;; amdgpu-corpus repo=ROCm/rocBLAS kind=compiled arch=gfx1100 opt=O3
	.text
	.amdgcn_target "amdgcn-amd-amdhsa--gfx1100"
	.amdhsa_code_object_version 6
	.section	.text._ZN12_GLOBAL__N_120geam_ex_scale_kernelILi32ELi32EffPKPKfPKPfEEviiT2_T3_lilT4_lil,"axG",@progbits,_ZN12_GLOBAL__N_120geam_ex_scale_kernelILi32ELi32EffPKPKfPKPfEEviiT2_T3_lilT4_lil,comdat
	.globl	_ZN12_GLOBAL__N_120geam_ex_scale_kernelILi32ELi32EffPKPKfPKPfEEviiT2_T3_lilT4_lil ; -- Begin function _ZN12_GLOBAL__N_120geam_ex_scale_kernelILi32ELi32EffPKPKfPKPfEEviiT2_T3_lilT4_lil
	.p2align	8
	.type	_ZN12_GLOBAL__N_120geam_ex_scale_kernelILi32ELi32EffPKPKfPKPfEEviiT2_T3_lilT4_lil,@function
_ZN12_GLOBAL__N_120geam_ex_scale_kernelILi32ELi32EffPKPKfPKPfEEviiT2_T3_lilT4_lil: ; @_ZN12_GLOBAL__N_120geam_ex_scale_kernelILi32ELi32EffPKPKfPKPfEEviiT2_T3_lilT4_lil
; %bb.0:
	s_load_b128 s[4:7], s[0:1], 0x0
	s_mov_b32 s16, s15
	s_mov_b32 s17, 0
	s_waitcnt lgkmcnt(0)
	v_cmp_eq_f32_e64 s7, s6, 0
	s_delay_alu instid0(VALU_DEP_1)
	s_and_b32 vcc_lo, exec_lo, s7
	s_cbranch_vccnz .LBB0_2
; %bb.1:
	s_load_b128 s[8:11], s[0:1], 0x10
	s_lshl_b64 s[2:3], s[16:17], 3
	s_waitcnt lgkmcnt(0)
	s_add_u32 s2, s8, s2
	s_addc_u32 s3, s9, s3
	s_lshl_b64 s[8:9], s[10:11], 2
	s_load_b64 s[2:3], s[2:3], 0x0
	s_waitcnt lgkmcnt(0)
	s_add_u32 s12, s2, s8
	s_addc_u32 s13, s3, s9
	s_branch .LBB0_3
.LBB0_2:
	s_mov_b64 s[12:13], 0
.LBB0_3:
	s_add_i32 s2, s4, -1
	v_bfe_u32 v2, v0, 10, 10
	s_ashr_i32 s3, s2, 31
	s_delay_alu instid0(SALU_CYCLE_1) | instskip(NEXT) | instid1(SALU_CYCLE_1)
	s_lshr_b32 s3, s3, 27
	s_add_i32 s2, s2, s3
	s_delay_alu instid0(SALU_CYCLE_1) | instskip(NEXT) | instid1(SALU_CYCLE_1)
	s_ashr_i32 s2, s2, 5
	s_add_i32 s3, s2, 1
	s_not_b32 s2, s2
	v_cvt_f32_u32_e32 v1, s3
	s_delay_alu instid0(VALU_DEP_1) | instskip(SKIP_2) | instid1(VALU_DEP_1)
	v_rcp_iflag_f32_e32 v1, v1
	s_waitcnt_depctr 0xfff
	v_mul_f32_e32 v1, 0x4f7ffffe, v1
	v_cvt_u32_f32_e32 v1, v1
	s_delay_alu instid0(VALU_DEP_1) | instskip(SKIP_1) | instid1(VALU_DEP_2)
	v_readfirstlane_b32 s8, v1
	v_and_b32_e32 v1, 0x3ff, v0
	s_mul_i32 s2, s2, s8
	s_delay_alu instid0(SALU_CYCLE_1) | instskip(NEXT) | instid1(SALU_CYCLE_1)
	s_mul_hi_u32 s2, s8, s2
	s_add_i32 s8, s8, s2
	s_delay_alu instid0(SALU_CYCLE_1) | instskip(NEXT) | instid1(SALU_CYCLE_1)
	s_mul_hi_u32 s2, s14, s8
	s_mul_i32 s8, s2, s3
	s_add_i32 s9, s2, 1
	s_sub_i32 s8, s14, s8
	s_delay_alu instid0(SALU_CYCLE_1)
	s_sub_i32 s10, s8, s3
	s_cmp_ge_u32 s8, s3
	s_cselect_b32 s2, s9, s2
	s_cselect_b32 s8, s10, s8
	s_add_i32 s9, s2, 1
	s_cmp_ge_u32 s8, s3
	s_cselect_b32 s2, s9, s2
	s_delay_alu instid0(SALU_CYCLE_1) | instskip(SKIP_2) | instid1(SALU_CYCLE_1)
	s_mul_i32 s3, s2, s3
	v_lshl_add_u32 v2, s2, 5, v2
	s_sub_i32 s3, s14, s3
	v_lshl_add_u32 v0, s3, 5, v1
	s_delay_alu instid0(VALU_DEP_2) | instskip(NEXT) | instid1(VALU_DEP_2)
	v_cmp_gt_u32_e64 s2, s5, v2
	v_cmp_gt_u32_e32 vcc_lo, s4, v0
	s_mov_b32 s4, -1
	s_delay_alu instid0(VALU_DEP_2) | instskip(NEXT) | instid1(SALU_CYCLE_1)
	s_and_b32 s2, vcc_lo, s2
	s_and_saveexec_b32 s3, s2
	s_cbranch_execz .LBB0_9
; %bb.4:
	s_load_b128 s[8:11], s[0:1], 0x30
	s_lshl_b64 s[2:3], s[16:17], 3
	s_waitcnt lgkmcnt(0)
	s_add_u32 s2, s8, s2
	s_addc_u32 s3, s9, s3
	s_and_not1_b32 vcc_lo, exec_lo, s7
	s_load_b64 s[2:3], s[2:3], 0x0
	s_cbranch_vccnz .LBB0_6
; %bb.5:
	v_mov_b32_e32 v1, 0
	s_mov_b32 s4, 0
.LBB0_6:
	s_delay_alu instid0(SALU_CYCLE_1) | instskip(NEXT) | instid1(VALU_DEP_1)
	v_cndmask_b32_e64 v3, 0, 1, s4
	v_cmp_ne_u32_e32 vcc_lo, 1, v3
	v_mov_b32_e32 v3, s4
	s_cbranch_vccnz .LBB0_8
; %bb.7:
	s_load_b32 s4, s[0:1], 0x20
	v_mov_b32_e32 v1, 0
	s_waitcnt lgkmcnt(0)
	s_delay_alu instid0(VALU_DEP_1)
	v_mad_u64_u32 v[3:4], null, v2, s4, v[0:1]
	s_ashr_i32 s4, s4, 31
	s_delay_alu instid0(VALU_DEP_1) | instid1(SALU_CYCLE_1)
	v_mad_u64_u32 v[5:6], null, v2, s4, v[4:5]
	s_delay_alu instid0(VALU_DEP_1) | instskip(NEXT) | instid1(VALU_DEP_1)
	v_mov_b32_e32 v4, v5
	v_lshlrev_b64 v[3:4], 2, v[3:4]
	s_delay_alu instid0(VALU_DEP_1) | instskip(NEXT) | instid1(VALU_DEP_2)
	v_add_co_u32 v3, vcc_lo, s12, v3
	v_add_co_ci_u32_e32 v4, vcc_lo, s13, v4, vcc_lo
	flat_load_b32 v3, v[3:4]
	s_waitcnt vmcnt(0) lgkmcnt(0)
	v_mul_f32_e32 v3, s6, v3
.LBB0_8:
	s_load_b32 s4, s[0:1], 0x40
	s_lshl_b64 s[0:1], s[10:11], 2
	v_lshlrev_b64 v[0:1], 2, v[0:1]
	s_waitcnt lgkmcnt(0)
	s_add_u32 s0, s2, s0
	s_addc_u32 s1, s3, s1
	v_mad_u64_u32 v[4:5], null, v2, s4, 0
	s_ashr_i32 s2, s4, 31
	s_delay_alu instid0(VALU_DEP_1) | instid1(SALU_CYCLE_1)
	v_mad_u64_u32 v[6:7], null, v2, s2, v[5:6]
	s_delay_alu instid0(VALU_DEP_1) | instskip(NEXT) | instid1(VALU_DEP_1)
	v_mov_b32_e32 v5, v6
	v_lshlrev_b64 v[4:5], 2, v[4:5]
	s_delay_alu instid0(VALU_DEP_1) | instskip(NEXT) | instid1(VALU_DEP_2)
	v_add_co_u32 v2, vcc_lo, s0, v4
	v_add_co_ci_u32_e32 v4, vcc_lo, s1, v5, vcc_lo
	s_delay_alu instid0(VALU_DEP_2) | instskip(NEXT) | instid1(VALU_DEP_2)
	v_add_co_u32 v0, vcc_lo, v2, v0
	v_add_co_ci_u32_e32 v1, vcc_lo, v4, v1, vcc_lo
	global_store_b32 v[0:1], v3, off
.LBB0_9:
	s_nop 0
	s_sendmsg sendmsg(MSG_DEALLOC_VGPRS)
	s_endpgm
	.section	.rodata,"a",@progbits
	.p2align	6, 0x0
	.amdhsa_kernel _ZN12_GLOBAL__N_120geam_ex_scale_kernelILi32ELi32EffPKPKfPKPfEEviiT2_T3_lilT4_lil
		.amdhsa_group_segment_fixed_size 0
		.amdhsa_private_segment_fixed_size 0
		.amdhsa_kernarg_size 80
		.amdhsa_user_sgpr_count 14
		.amdhsa_user_sgpr_dispatch_ptr 0
		.amdhsa_user_sgpr_queue_ptr 0
		.amdhsa_user_sgpr_kernarg_segment_ptr 1
		.amdhsa_user_sgpr_dispatch_id 0
		.amdhsa_user_sgpr_private_segment_size 0
		.amdhsa_wavefront_size32 1
		.amdhsa_uses_dynamic_stack 0
		.amdhsa_enable_private_segment 0
		.amdhsa_system_sgpr_workgroup_id_x 1
		.amdhsa_system_sgpr_workgroup_id_y 0
		.amdhsa_system_sgpr_workgroup_id_z 1
		.amdhsa_system_sgpr_workgroup_info 0
		.amdhsa_system_vgpr_workitem_id 1
		.amdhsa_next_free_vgpr 8
		.amdhsa_next_free_sgpr 18
		.amdhsa_reserve_vcc 1
		.amdhsa_float_round_mode_32 0
		.amdhsa_float_round_mode_16_64 0
		.amdhsa_float_denorm_mode_32 3
		.amdhsa_float_denorm_mode_16_64 3
		.amdhsa_dx10_clamp 1
		.amdhsa_ieee_mode 1
		.amdhsa_fp16_overflow 0
		.amdhsa_workgroup_processor_mode 1
		.amdhsa_memory_ordered 1
		.amdhsa_forward_progress 0
		.amdhsa_shared_vgpr_count 0
		.amdhsa_exception_fp_ieee_invalid_op 0
		.amdhsa_exception_fp_denorm_src 0
		.amdhsa_exception_fp_ieee_div_zero 0
		.amdhsa_exception_fp_ieee_overflow 0
		.amdhsa_exception_fp_ieee_underflow 0
		.amdhsa_exception_fp_ieee_inexact 0
		.amdhsa_exception_int_div_zero 0
	.end_amdhsa_kernel
	.section	.text._ZN12_GLOBAL__N_120geam_ex_scale_kernelILi32ELi32EffPKPKfPKPfEEviiT2_T3_lilT4_lil,"axG",@progbits,_ZN12_GLOBAL__N_120geam_ex_scale_kernelILi32ELi32EffPKPKfPKPfEEviiT2_T3_lilT4_lil,comdat
.Lfunc_end0:
	.size	_ZN12_GLOBAL__N_120geam_ex_scale_kernelILi32ELi32EffPKPKfPKPfEEviiT2_T3_lilT4_lil, .Lfunc_end0-_ZN12_GLOBAL__N_120geam_ex_scale_kernelILi32ELi32EffPKPKfPKPfEEviiT2_T3_lilT4_lil
                                        ; -- End function
	.section	.AMDGPU.csdata,"",@progbits
; Kernel info:
; codeLenInByte = 604
; NumSgprs: 20
; NumVgprs: 8
; ScratchSize: 0
; MemoryBound: 0
; FloatMode: 240
; IeeeMode: 1
; LDSByteSize: 0 bytes/workgroup (compile time only)
; SGPRBlocks: 2
; VGPRBlocks: 0
; NumSGPRsForWavesPerEU: 20
; NumVGPRsForWavesPerEU: 8
; Occupancy: 16
; WaveLimiterHint : 1
; COMPUTE_PGM_RSRC2:SCRATCH_EN: 0
; COMPUTE_PGM_RSRC2:USER_SGPR: 14
; COMPUTE_PGM_RSRC2:TRAP_HANDLER: 0
; COMPUTE_PGM_RSRC2:TGID_X_EN: 1
; COMPUTE_PGM_RSRC2:TGID_Y_EN: 0
; COMPUTE_PGM_RSRC2:TGID_Z_EN: 1
; COMPUTE_PGM_RSRC2:TIDIG_COMP_CNT: 1
	.section	.text._ZN12_GLOBAL__N_120geam_ex_scale_kernelILi32ELi32EfPKfPKS2_PKPfEEviiT2_T3_lilT4_lil,"axG",@progbits,_ZN12_GLOBAL__N_120geam_ex_scale_kernelILi32ELi32EfPKfPKS2_PKPfEEviiT2_T3_lilT4_lil,comdat
	.globl	_ZN12_GLOBAL__N_120geam_ex_scale_kernelILi32ELi32EfPKfPKS2_PKPfEEviiT2_T3_lilT4_lil ; -- Begin function _ZN12_GLOBAL__N_120geam_ex_scale_kernelILi32ELi32EfPKfPKS2_PKPfEEviiT2_T3_lilT4_lil
	.p2align	8
	.type	_ZN12_GLOBAL__N_120geam_ex_scale_kernelILi32ELi32EfPKfPKS2_PKPfEEviiT2_T3_lilT4_lil,@function
_ZN12_GLOBAL__N_120geam_ex_scale_kernelILi32ELi32EfPKfPKS2_PKPfEEviiT2_T3_lilT4_lil: ; @_ZN12_GLOBAL__N_120geam_ex_scale_kernelILi32ELi32EfPKfPKS2_PKPfEEviiT2_T3_lilT4_lil
; %bb.0:
	s_load_b128 s[4:7], s[0:1], 0x8
	s_mov_b32 s10, s15
	s_mov_b32 s11, 0
	s_waitcnt lgkmcnt(0)
	s_load_b32 s12, s[4:5], 0x0
	s_waitcnt lgkmcnt(0)
	v_cmp_eq_f32_e64 s13, s12, 0
	s_delay_alu instid0(VALU_DEP_1)
	s_and_b32 vcc_lo, exec_lo, s13
	s_cbranch_vccnz .LBB1_2
; %bb.1:
	s_lshl_b64 s[2:3], s[10:11], 3
	s_load_b64 s[4:5], s[0:1], 0x18
	s_add_u32 s2, s6, s2
	s_addc_u32 s3, s7, s3
	s_load_b64 s[2:3], s[2:3], 0x0
	s_waitcnt lgkmcnt(0)
	s_lshl_b64 s[4:5], s[4:5], 2
	s_delay_alu instid0(SALU_CYCLE_1)
	s_add_u32 s8, s2, s4
	s_addc_u32 s9, s3, s5
	s_branch .LBB1_3
.LBB1_2:
	s_mov_b64 s[8:9], 0
.LBB1_3:
	s_load_b64 s[2:3], s[0:1], 0x0
	v_bfe_u32 v2, v0, 10, 10
	s_waitcnt lgkmcnt(0)
	s_add_i32 s4, s2, -1
	s_delay_alu instid0(SALU_CYCLE_1) | instskip(NEXT) | instid1(SALU_CYCLE_1)
	s_ashr_i32 s5, s4, 31
	s_lshr_b32 s5, s5, 27
	s_delay_alu instid0(SALU_CYCLE_1) | instskip(NEXT) | instid1(SALU_CYCLE_1)
	s_add_i32 s4, s4, s5
	s_ashr_i32 s4, s4, 5
	s_delay_alu instid0(SALU_CYCLE_1) | instskip(SKIP_2) | instid1(VALU_DEP_1)
	s_add_i32 s5, s4, 1
	s_not_b32 s4, s4
	v_cvt_f32_u32_e32 v1, s5
	v_rcp_iflag_f32_e32 v1, v1
	s_waitcnt_depctr 0xfff
	v_mul_f32_e32 v1, 0x4f7ffffe, v1
	s_delay_alu instid0(VALU_DEP_1) | instskip(NEXT) | instid1(VALU_DEP_1)
	v_cvt_u32_f32_e32 v1, v1
	v_readfirstlane_b32 s6, v1
	v_and_b32_e32 v1, 0x3ff, v0
	s_delay_alu instid0(VALU_DEP_2) | instskip(NEXT) | instid1(SALU_CYCLE_1)
	s_mul_i32 s4, s4, s6
	s_mul_hi_u32 s4, s6, s4
	s_delay_alu instid0(SALU_CYCLE_1) | instskip(NEXT) | instid1(SALU_CYCLE_1)
	s_add_i32 s6, s6, s4
	s_mul_hi_u32 s4, s14, s6
	s_delay_alu instid0(SALU_CYCLE_1) | instskip(SKIP_2) | instid1(SALU_CYCLE_1)
	s_mul_i32 s6, s4, s5
	s_add_i32 s7, s4, 1
	s_sub_i32 s6, s14, s6
	s_sub_i32 s15, s6, s5
	s_cmp_ge_u32 s6, s5
	s_cselect_b32 s4, s7, s4
	s_cselect_b32 s6, s15, s6
	s_add_i32 s7, s4, 1
	s_cmp_ge_u32 s6, s5
	s_cselect_b32 s4, s7, s4
	s_delay_alu instid0(SALU_CYCLE_1) | instskip(SKIP_4) | instid1(VALU_DEP_1)
	s_mul_i32 s5, s4, s5
	v_lshl_add_u32 v2, s4, 5, v2
	s_sub_i32 s5, s14, s5
	s_mov_b32 s14, -1
	v_lshl_add_u32 v0, s5, 5, v1
	v_cmp_gt_u32_e32 vcc_lo, s2, v0
	v_cmp_gt_u32_e64 s2, s3, v2
	s_delay_alu instid0(VALU_DEP_1) | instskip(NEXT) | instid1(SALU_CYCLE_1)
	s_and_b32 s2, vcc_lo, s2
	s_and_saveexec_b32 s3, s2
	s_cbranch_execz .LBB1_9
; %bb.4:
	s_load_b128 s[4:7], s[0:1], 0x30
	s_lshl_b64 s[2:3], s[10:11], 3
	s_waitcnt lgkmcnt(0)
	s_add_u32 s2, s4, s2
	s_addc_u32 s3, s5, s3
	s_and_not1_b32 vcc_lo, exec_lo, s13
	s_load_b64 s[2:3], s[2:3], 0x0
	s_cbranch_vccnz .LBB1_6
; %bb.5:
	v_mov_b32_e32 v1, 0
	s_mov_b32 s14, 0
.LBB1_6:
	s_delay_alu instid0(SALU_CYCLE_1) | instskip(NEXT) | instid1(VALU_DEP_1)
	v_cndmask_b32_e64 v3, 0, 1, s14
	v_cmp_ne_u32_e32 vcc_lo, 1, v3
	v_mov_b32_e32 v3, s14
	s_cbranch_vccnz .LBB1_8
; %bb.7:
	s_load_b32 s4, s[0:1], 0x20
	v_mov_b32_e32 v1, 0
	s_waitcnt lgkmcnt(0)
	s_delay_alu instid0(VALU_DEP_1)
	v_mad_u64_u32 v[3:4], null, v2, s4, v[0:1]
	s_ashr_i32 s4, s4, 31
	s_delay_alu instid0(VALU_DEP_1) | instid1(SALU_CYCLE_1)
	v_mad_u64_u32 v[5:6], null, v2, s4, v[4:5]
	s_delay_alu instid0(VALU_DEP_1) | instskip(NEXT) | instid1(VALU_DEP_1)
	v_mov_b32_e32 v4, v5
	v_lshlrev_b64 v[3:4], 2, v[3:4]
	s_delay_alu instid0(VALU_DEP_1) | instskip(NEXT) | instid1(VALU_DEP_2)
	v_add_co_u32 v3, vcc_lo, s8, v3
	v_add_co_ci_u32_e32 v4, vcc_lo, s9, v4, vcc_lo
	flat_load_b32 v3, v[3:4]
	s_waitcnt vmcnt(0) lgkmcnt(0)
	v_mul_f32_e32 v3, s12, v3
.LBB1_8:
	s_load_b32 s4, s[0:1], 0x40
	s_lshl_b64 s[0:1], s[6:7], 2
	v_lshlrev_b64 v[0:1], 2, v[0:1]
	s_waitcnt lgkmcnt(0)
	s_add_u32 s0, s2, s0
	s_addc_u32 s1, s3, s1
	v_mad_u64_u32 v[4:5], null, v2, s4, 0
	s_ashr_i32 s2, s4, 31
	s_delay_alu instid0(VALU_DEP_1) | instid1(SALU_CYCLE_1)
	v_mad_u64_u32 v[6:7], null, v2, s2, v[5:6]
	s_delay_alu instid0(VALU_DEP_1) | instskip(NEXT) | instid1(VALU_DEP_1)
	v_mov_b32_e32 v5, v6
	v_lshlrev_b64 v[4:5], 2, v[4:5]
	s_delay_alu instid0(VALU_DEP_1) | instskip(NEXT) | instid1(VALU_DEP_2)
	v_add_co_u32 v2, vcc_lo, s0, v4
	v_add_co_ci_u32_e32 v4, vcc_lo, s1, v5, vcc_lo
	s_delay_alu instid0(VALU_DEP_2) | instskip(NEXT) | instid1(VALU_DEP_2)
	v_add_co_u32 v0, vcc_lo, v2, v0
	v_add_co_ci_u32_e32 v1, vcc_lo, v4, v1, vcc_lo
	global_store_b32 v[0:1], v3, off
.LBB1_9:
	s_nop 0
	s_sendmsg sendmsg(MSG_DEALLOC_VGPRS)
	s_endpgm
	.section	.rodata,"a",@progbits
	.p2align	6, 0x0
	.amdhsa_kernel _ZN12_GLOBAL__N_120geam_ex_scale_kernelILi32ELi32EfPKfPKS2_PKPfEEviiT2_T3_lilT4_lil
		.amdhsa_group_segment_fixed_size 0
		.amdhsa_private_segment_fixed_size 0
		.amdhsa_kernarg_size 80
		.amdhsa_user_sgpr_count 14
		.amdhsa_user_sgpr_dispatch_ptr 0
		.amdhsa_user_sgpr_queue_ptr 0
		.amdhsa_user_sgpr_kernarg_segment_ptr 1
		.amdhsa_user_sgpr_dispatch_id 0
		.amdhsa_user_sgpr_private_segment_size 0
		.amdhsa_wavefront_size32 1
		.amdhsa_uses_dynamic_stack 0
		.amdhsa_enable_private_segment 0
		.amdhsa_system_sgpr_workgroup_id_x 1
		.amdhsa_system_sgpr_workgroup_id_y 0
		.amdhsa_system_sgpr_workgroup_id_z 1
		.amdhsa_system_sgpr_workgroup_info 0
		.amdhsa_system_vgpr_workitem_id 1
		.amdhsa_next_free_vgpr 8
		.amdhsa_next_free_sgpr 16
		.amdhsa_reserve_vcc 1
		.amdhsa_float_round_mode_32 0
		.amdhsa_float_round_mode_16_64 0
		.amdhsa_float_denorm_mode_32 3
		.amdhsa_float_denorm_mode_16_64 3
		.amdhsa_dx10_clamp 1
		.amdhsa_ieee_mode 1
		.amdhsa_fp16_overflow 0
		.amdhsa_workgroup_processor_mode 1
		.amdhsa_memory_ordered 1
		.amdhsa_forward_progress 0
		.amdhsa_shared_vgpr_count 0
		.amdhsa_exception_fp_ieee_invalid_op 0
		.amdhsa_exception_fp_denorm_src 0
		.amdhsa_exception_fp_ieee_div_zero 0
		.amdhsa_exception_fp_ieee_overflow 0
		.amdhsa_exception_fp_ieee_underflow 0
		.amdhsa_exception_fp_ieee_inexact 0
		.amdhsa_exception_int_div_zero 0
	.end_amdhsa_kernel
	.section	.text._ZN12_GLOBAL__N_120geam_ex_scale_kernelILi32ELi32EfPKfPKS2_PKPfEEviiT2_T3_lilT4_lil,"axG",@progbits,_ZN12_GLOBAL__N_120geam_ex_scale_kernelILi32ELi32EfPKfPKS2_PKPfEEviiT2_T3_lilT4_lil,comdat
.Lfunc_end1:
	.size	_ZN12_GLOBAL__N_120geam_ex_scale_kernelILi32ELi32EfPKfPKS2_PKPfEEviiT2_T3_lilT4_lil, .Lfunc_end1-_ZN12_GLOBAL__N_120geam_ex_scale_kernelILi32ELi32EfPKfPKS2_PKPfEEviiT2_T3_lilT4_lil
                                        ; -- End function
	.section	.AMDGPU.csdata,"",@progbits
; Kernel info:
; codeLenInByte = 624
; NumSgprs: 18
; NumVgprs: 8
; ScratchSize: 0
; MemoryBound: 0
; FloatMode: 240
; IeeeMode: 1
; LDSByteSize: 0 bytes/workgroup (compile time only)
; SGPRBlocks: 2
; VGPRBlocks: 0
; NumSGPRsForWavesPerEU: 18
; NumVGPRsForWavesPerEU: 8
; Occupancy: 16
; WaveLimiterHint : 1
; COMPUTE_PGM_RSRC2:SCRATCH_EN: 0
; COMPUTE_PGM_RSRC2:USER_SGPR: 14
; COMPUTE_PGM_RSRC2:TRAP_HANDLER: 0
; COMPUTE_PGM_RSRC2:TGID_X_EN: 1
; COMPUTE_PGM_RSRC2:TGID_Y_EN: 0
; COMPUTE_PGM_RSRC2:TGID_Z_EN: 1
; COMPUTE_PGM_RSRC2:TIDIG_COMP_CNT: 1
	.section	.text._ZN12_GLOBAL__N_120geam_ex_round_kernelILi32ELi32EffPKPKfPKPfEEviiT2_T3_lilT4_lil,"axG",@progbits,_ZN12_GLOBAL__N_120geam_ex_round_kernelILi32ELi32EffPKPKfPKPfEEviiT2_T3_lilT4_lil,comdat
	.globl	_ZN12_GLOBAL__N_120geam_ex_round_kernelILi32ELi32EffPKPKfPKPfEEviiT2_T3_lilT4_lil ; -- Begin function _ZN12_GLOBAL__N_120geam_ex_round_kernelILi32ELi32EffPKPKfPKPfEEviiT2_T3_lilT4_lil
	.p2align	8
	.type	_ZN12_GLOBAL__N_120geam_ex_round_kernelILi32ELi32EffPKPKfPKPfEEviiT2_T3_lilT4_lil,@function
_ZN12_GLOBAL__N_120geam_ex_round_kernelILi32ELi32EffPKPKfPKPfEEviiT2_T3_lilT4_lil: ; @_ZN12_GLOBAL__N_120geam_ex_round_kernelILi32ELi32EffPKPKfPKPfEEviiT2_T3_lilT4_lil
; %bb.0:
	s_load_b128 s[4:7], s[0:1], 0x0
	s_mov_b32 s16, s15
	s_mov_b32 s17, 0
	s_waitcnt lgkmcnt(0)
	v_cmp_eq_f32_e64 s7, s6, 0
	s_delay_alu instid0(VALU_DEP_1)
	s_and_b32 vcc_lo, exec_lo, s7
	s_cbranch_vccnz .LBB2_2
; %bb.1:
	s_load_b128 s[8:11], s[0:1], 0x10
	s_lshl_b64 s[2:3], s[16:17], 3
	s_waitcnt lgkmcnt(0)
	s_add_u32 s2, s8, s2
	s_addc_u32 s3, s9, s3
	s_lshl_b64 s[8:9], s[10:11], 2
	s_load_b64 s[2:3], s[2:3], 0x0
	s_waitcnt lgkmcnt(0)
	s_add_u32 s12, s2, s8
	s_addc_u32 s13, s3, s9
	s_branch .LBB2_3
.LBB2_2:
	s_mov_b64 s[12:13], 0
.LBB2_3:
	s_add_i32 s2, s4, -1
	v_bfe_u32 v2, v0, 10, 10
	s_ashr_i32 s3, s2, 31
	s_delay_alu instid0(SALU_CYCLE_1) | instskip(NEXT) | instid1(SALU_CYCLE_1)
	s_lshr_b32 s3, s3, 27
	s_add_i32 s2, s2, s3
	s_delay_alu instid0(SALU_CYCLE_1) | instskip(NEXT) | instid1(SALU_CYCLE_1)
	s_ashr_i32 s2, s2, 5
	s_add_i32 s3, s2, 1
	s_not_b32 s2, s2
	v_cvt_f32_u32_e32 v1, s3
	s_delay_alu instid0(VALU_DEP_1) | instskip(SKIP_2) | instid1(VALU_DEP_1)
	v_rcp_iflag_f32_e32 v1, v1
	s_waitcnt_depctr 0xfff
	v_mul_f32_e32 v1, 0x4f7ffffe, v1
	v_cvt_u32_f32_e32 v1, v1
	s_delay_alu instid0(VALU_DEP_1) | instskip(SKIP_1) | instid1(VALU_DEP_2)
	v_readfirstlane_b32 s8, v1
	v_and_b32_e32 v1, 0x3ff, v0
	s_mul_i32 s2, s2, s8
	s_delay_alu instid0(SALU_CYCLE_1) | instskip(NEXT) | instid1(SALU_CYCLE_1)
	s_mul_hi_u32 s2, s8, s2
	s_add_i32 s8, s8, s2
	s_delay_alu instid0(SALU_CYCLE_1) | instskip(NEXT) | instid1(SALU_CYCLE_1)
	s_mul_hi_u32 s2, s14, s8
	s_mul_i32 s8, s2, s3
	s_add_i32 s9, s2, 1
	s_sub_i32 s8, s14, s8
	s_delay_alu instid0(SALU_CYCLE_1)
	s_sub_i32 s10, s8, s3
	s_cmp_ge_u32 s8, s3
	s_cselect_b32 s2, s9, s2
	s_cselect_b32 s8, s10, s8
	s_add_i32 s9, s2, 1
	s_cmp_ge_u32 s8, s3
	s_cselect_b32 s2, s9, s2
	s_delay_alu instid0(SALU_CYCLE_1) | instskip(SKIP_2) | instid1(SALU_CYCLE_1)
	s_mul_i32 s3, s2, s3
	v_lshl_add_u32 v3, s2, 5, v2
	s_sub_i32 s3, s14, s3
	v_lshl_add_u32 v0, s3, 5, v1
	s_delay_alu instid0(VALU_DEP_2) | instskip(NEXT) | instid1(VALU_DEP_2)
	v_cmp_gt_u32_e64 s2, s5, v3
	v_cmp_gt_u32_e32 vcc_lo, s4, v0
	s_mov_b32 s4, -1
	s_delay_alu instid0(VALU_DEP_2) | instskip(NEXT) | instid1(SALU_CYCLE_1)
	s_and_b32 s2, vcc_lo, s2
	s_and_saveexec_b32 s3, s2
	s_cbranch_execz .LBB2_10
; %bb.4:
	s_load_b128 s[8:11], s[0:1], 0x30
	s_lshl_b64 s[2:3], s[16:17], 3
	s_waitcnt lgkmcnt(0)
	s_add_u32 s2, s8, s2
	s_addc_u32 s3, s9, s3
	s_and_not1_b32 vcc_lo, exec_lo, s7
	s_load_b64 s[2:3], s[2:3], 0x0
	s_cbranch_vccnz .LBB2_6
; %bb.5:
	v_mov_b32_e32 v2, 0
	s_mov_b32 s4, 0
	s_delay_alu instid0(VALU_DEP_1)
	v_mov_b32_e32 v1, v2
	s_branch .LBB2_7
.LBB2_6:
                                        ; implicit-def: $vgpr1_vgpr2
.LBB2_7:
	v_cndmask_b32_e64 v4, 0, 1, s4
	s_delay_alu instid0(VALU_DEP_1)
	v_cmp_ne_u32_e32 vcc_lo, 1, v4
	v_mov_b32_e32 v4, s4
	s_cbranch_vccnz .LBB2_9
; %bb.8:
	s_load_b32 s4, s[0:1], 0x20
	v_mov_b32_e32 v2, 0
	s_delay_alu instid0(VALU_DEP_1) | instskip(SKIP_1) | instid1(VALU_DEP_1)
	v_mov_b32_e32 v1, v2
	s_waitcnt lgkmcnt(0)
	v_mad_u64_u32 v[4:5], null, v3, s4, v[0:1]
	s_ashr_i32 s4, s4, 31
	s_delay_alu instid0(VALU_DEP_1) | instid1(SALU_CYCLE_1)
	v_mad_u64_u32 v[6:7], null, v3, s4, v[5:6]
	s_delay_alu instid0(VALU_DEP_1) | instskip(NEXT) | instid1(VALU_DEP_1)
	v_mov_b32_e32 v5, v6
	v_lshlrev_b64 v[4:5], 2, v[4:5]
	s_delay_alu instid0(VALU_DEP_1) | instskip(NEXT) | instid1(VALU_DEP_2)
	v_add_co_u32 v4, vcc_lo, s12, v4
	v_add_co_ci_u32_e32 v5, vcc_lo, s13, v5, vcc_lo
	flat_load_b32 v4, v[4:5]
	s_waitcnt vmcnt(0) lgkmcnt(0)
	v_mul_f32_e32 v4, s6, v4
.LBB2_9:
	s_load_b32 s4, s[0:1], 0x40
	s_lshl_b64 s[0:1], s[10:11], 2
	v_lshlrev_b64 v[0:1], 2, v[0:1]
	s_waitcnt lgkmcnt(0)
	s_add_u32 s0, s2, s0
	s_addc_u32 s1, s3, s1
	s_ashr_i32 s2, s4, 31
	v_mul_lo_u32 v2, v2, s4
	v_mad_u64_u32 v[5:6], null, v3, s4, 0
	v_mul_lo_u32 v3, v3, s2
	s_delay_alu instid0(VALU_DEP_1) | instskip(NEXT) | instid1(VALU_DEP_1)
	v_add3_u32 v6, v6, v3, v2
	v_lshlrev_b64 v[2:3], 2, v[5:6]
	s_delay_alu instid0(VALU_DEP_1) | instskip(NEXT) | instid1(VALU_DEP_2)
	v_add_co_u32 v2, vcc_lo, s0, v2
	v_add_co_ci_u32_e32 v3, vcc_lo, s1, v3, vcc_lo
	s_delay_alu instid0(VALU_DEP_2) | instskip(NEXT) | instid1(VALU_DEP_2)
	v_add_co_u32 v0, vcc_lo, v2, v0
	v_add_co_ci_u32_e32 v1, vcc_lo, v3, v1, vcc_lo
	v_cmp_nlt_f32_e32 vcc_lo, 0, v4
	v_cndmask_b32_e32 v2, 0, v4, vcc_lo
	global_store_b32 v[0:1], v2, off
.LBB2_10:
	s_nop 0
	s_sendmsg sendmsg(MSG_DEALLOC_VGPRS)
	s_endpgm
	.section	.rodata,"a",@progbits
	.p2align	6, 0x0
	.amdhsa_kernel _ZN12_GLOBAL__N_120geam_ex_round_kernelILi32ELi32EffPKPKfPKPfEEviiT2_T3_lilT4_lil
		.amdhsa_group_segment_fixed_size 0
		.amdhsa_private_segment_fixed_size 0
		.amdhsa_kernarg_size 80
		.amdhsa_user_sgpr_count 14
		.amdhsa_user_sgpr_dispatch_ptr 0
		.amdhsa_user_sgpr_queue_ptr 0
		.amdhsa_user_sgpr_kernarg_segment_ptr 1
		.amdhsa_user_sgpr_dispatch_id 0
		.amdhsa_user_sgpr_private_segment_size 0
		.amdhsa_wavefront_size32 1
		.amdhsa_uses_dynamic_stack 0
		.amdhsa_enable_private_segment 0
		.amdhsa_system_sgpr_workgroup_id_x 1
		.amdhsa_system_sgpr_workgroup_id_y 0
		.amdhsa_system_sgpr_workgroup_id_z 1
		.amdhsa_system_sgpr_workgroup_info 0
		.amdhsa_system_vgpr_workitem_id 1
		.amdhsa_next_free_vgpr 8
		.amdhsa_next_free_sgpr 18
		.amdhsa_reserve_vcc 1
		.amdhsa_float_round_mode_32 0
		.amdhsa_float_round_mode_16_64 0
		.amdhsa_float_denorm_mode_32 3
		.amdhsa_float_denorm_mode_16_64 3
		.amdhsa_dx10_clamp 1
		.amdhsa_ieee_mode 1
		.amdhsa_fp16_overflow 0
		.amdhsa_workgroup_processor_mode 1
		.amdhsa_memory_ordered 1
		.amdhsa_forward_progress 0
		.amdhsa_shared_vgpr_count 0
		.amdhsa_exception_fp_ieee_invalid_op 0
		.amdhsa_exception_fp_denorm_src 0
		.amdhsa_exception_fp_ieee_div_zero 0
		.amdhsa_exception_fp_ieee_overflow 0
		.amdhsa_exception_fp_ieee_underflow 0
		.amdhsa_exception_fp_ieee_inexact 0
		.amdhsa_exception_int_div_zero 0
	.end_amdhsa_kernel
	.section	.text._ZN12_GLOBAL__N_120geam_ex_round_kernelILi32ELi32EffPKPKfPKPfEEviiT2_T3_lilT4_lil,"axG",@progbits,_ZN12_GLOBAL__N_120geam_ex_round_kernelILi32ELi32EffPKPKfPKPfEEviiT2_T3_lilT4_lil,comdat
.Lfunc_end2:
	.size	_ZN12_GLOBAL__N_120geam_ex_round_kernelILi32ELi32EffPKPKfPKPfEEviiT2_T3_lilT4_lil, .Lfunc_end2-_ZN12_GLOBAL__N_120geam_ex_round_kernelILi32ELi32EffPKPKfPKPfEEviiT2_T3_lilT4_lil
                                        ; -- End function
	.section	.AMDGPU.csdata,"",@progbits
; Kernel info:
; codeLenInByte = 636
; NumSgprs: 20
; NumVgprs: 8
; ScratchSize: 0
; MemoryBound: 0
; FloatMode: 240
; IeeeMode: 1
; LDSByteSize: 0 bytes/workgroup (compile time only)
; SGPRBlocks: 2
; VGPRBlocks: 0
; NumSGPRsForWavesPerEU: 20
; NumVGPRsForWavesPerEU: 8
; Occupancy: 16
; WaveLimiterHint : 1
; COMPUTE_PGM_RSRC2:SCRATCH_EN: 0
; COMPUTE_PGM_RSRC2:USER_SGPR: 14
; COMPUTE_PGM_RSRC2:TRAP_HANDLER: 0
; COMPUTE_PGM_RSRC2:TGID_X_EN: 1
; COMPUTE_PGM_RSRC2:TGID_Y_EN: 0
; COMPUTE_PGM_RSRC2:TGID_Z_EN: 1
; COMPUTE_PGM_RSRC2:TIDIG_COMP_CNT: 1
	.section	.text._ZN12_GLOBAL__N_120geam_min_plus_kernelIf15HIP_vector_typeIfLj2EEfLi32ELi8ELi256ELi64ELi4ELi64ELi4ELi4ELi64ELc78ELc78ELb0ELb0ELb1EPKfKS4_KPfEEviiiT16_PT17_ilSA_ilS8_SA_ilPT18_ili26rocblas_geam_ex_operation_,"axG",@progbits,_ZN12_GLOBAL__N_120geam_min_plus_kernelIf15HIP_vector_typeIfLj2EEfLi32ELi8ELi256ELi64ELi4ELi64ELi4ELi4ELi64ELc78ELc78ELb0ELb0ELb1EPKfKS4_KPfEEviiiT16_PT17_ilSA_ilS8_SA_ilPT18_ili26rocblas_geam_ex_operation_,comdat
	.globl	_ZN12_GLOBAL__N_120geam_min_plus_kernelIf15HIP_vector_typeIfLj2EEfLi32ELi8ELi256ELi64ELi4ELi64ELi4ELi4ELi64ELc78ELc78ELb0ELb0ELb1EPKfKS4_KPfEEviiiT16_PT17_ilSA_ilS8_SA_ilPT18_ili26rocblas_geam_ex_operation_ ; -- Begin function _ZN12_GLOBAL__N_120geam_min_plus_kernelIf15HIP_vector_typeIfLj2EEfLi32ELi8ELi256ELi64ELi4ELi64ELi4ELi4ELi64ELc78ELc78ELb0ELb0ELb1EPKfKS4_KPfEEviiiT16_PT17_ilSA_ilS8_SA_ilPT18_ili26rocblas_geam_ex_operation_
	.p2align	8
	.type	_ZN12_GLOBAL__N_120geam_min_plus_kernelIf15HIP_vector_typeIfLj2EEfLi32ELi8ELi256ELi64ELi4ELi64ELi4ELi4ELi64ELc78ELc78ELb0ELb0ELb1EPKfKS4_KPfEEviiiT16_PT17_ilSA_ilS8_SA_ilPT18_ili26rocblas_geam_ex_operation_,@function
_ZN12_GLOBAL__N_120geam_min_plus_kernelIf15HIP_vector_typeIfLj2EEfLi32ELi8ELi256ELi64ELi4ELi64ELi4ELi4ELi64ELc78ELc78ELb0ELb0ELb1EPKfKS4_KPfEEviiiT16_PT17_ilSA_ilS8_SA_ilPT18_ili26rocblas_geam_ex_operation_: ; @_ZN12_GLOBAL__N_120geam_min_plus_kernelIf15HIP_vector_typeIfLj2EEfLi32ELi8ELi256ELi64ELi4ELi64ELi4ELi4ELi64ELc78ELc78ELb0ELb0ELb1EPKfKS4_KPfEEviiiT16_PT17_ilSA_ilS8_SA_ilPT18_ili26rocblas_geam_ex_operation_
; %bb.0:
	s_clause 0x1
	s_load_b128 s[16:19], s[0:1], 0x10
	s_load_b128 s[4:7], s[0:1], 0x28
	s_mov_b32 s20, s15
	s_mov_b32 s21, 0
	s_mov_b64 s[12:13], 0
	s_lshl_b64 s[2:3], s[20:21], 2
	s_waitcnt lgkmcnt(0)
	s_add_u32 s8, s16, s2
	s_addc_u32 s9, s17, s3
	s_load_b32 s22, s[8:9], 0x0
	s_clause 0x1
	s_load_b128 s[8:11], s[0:1], 0x40
	s_load_b64 s[16:17], s[0:1], 0x50
	s_waitcnt lgkmcnt(0)
	v_cmp_eq_f32_e64 s15, s22, 0
	v_cmp_neq_f32_e64 s23, s22, 0
	s_add_u32 s2, s10, s2
	s_addc_u32 s3, s11, s3
	s_mov_b64 s[10:11], 0
	s_and_b32 vcc_lo, exec_lo, s15
	s_cbranch_vccnz .LBB3_2
; %bb.1:
	s_lshl_b64 s[10:11], s[20:21], 3
	s_delay_alu instid0(SALU_CYCLE_1)
	s_add_u32 s10, s18, s10
	s_addc_u32 s11, s19, s11
	s_lshl_b64 s[4:5], s[4:5], 2
	s_load_b64 s[10:11], s[10:11], 0x0
	s_waitcnt lgkmcnt(0)
	s_add_u32 s10, s10, s4
	s_addc_u32 s11, s11, s5
.LBB3_2:
	s_load_b32 s15, s[2:3], 0x0
	v_cndmask_b32_e64 v1, 0, 1, s23
	s_and_not1_b32 vcc_lo, exec_lo, s23
	s_delay_alu instid0(VALU_DEP_1)
	v_cmp_ne_u32_e64 s3, 1, v1
	s_cbranch_vccnz .LBB3_4
; %bb.3:
	s_lshl_b64 s[4:5], s[20:21], 3
	s_delay_alu instid0(SALU_CYCLE_1)
	s_add_u32 s4, s6, s4
	s_addc_u32 s5, s7, s5
	s_lshl_b64 s[6:7], s[8:9], 2
	s_load_b64 s[4:5], s[4:5], 0x0
	s_waitcnt lgkmcnt(0)
	s_add_u32 s12, s4, s6
	s_addc_u32 s13, s5, s7
.LBB3_4:
	s_load_b128 s[4:7], s[0:1], 0x60
	s_waitcnt lgkmcnt(0)
	v_cmp_eq_f32_e64 s2, s15, 0
	s_delay_alu instid0(VALU_DEP_1) | instskip(NEXT) | instid1(SALU_CYCLE_1)
	s_and_b32 s2, exec_lo, s2
	s_mov_b32 vcc_lo, s2
	s_cbranch_vccnz .LBB3_6
; %bb.5:
	s_lshl_b64 s[8:9], s[20:21], 3
	s_delay_alu instid0(SALU_CYCLE_1)
	s_add_u32 s8, s16, s8
	s_addc_u32 s9, s17, s9
	s_lshl_b64 s[4:5], s[4:5], 2
	s_load_b64 s[8:9], s[8:9], 0x0
	s_waitcnt lgkmcnt(0)
	s_add_u32 s4, s8, s4
	s_addc_u32 s5, s9, s5
	s_branch .LBB3_7
.LBB3_6:
	s_mov_b64 s[4:5], 0
.LBB3_7:
	s_clause 0x1
	s_load_b32 s8, s[0:1], 0x20
	s_load_b32 s18, s[0:1], 0x0
	s_lshl_b64 s[16:17], s[20:21], 3
	v_and_b32_e32 v17, 0x3ff, v0
	v_bfe_u32 v150, v0, 10, 10
	s_delay_alu instid0(VALU_DEP_1) | instskip(NEXT) | instid1(VALU_DEP_1)
	v_lshl_add_u32 v6, v150, 5, v17
	v_lshrrev_b32_e32 v13, 6, v6
	v_and_b32_e32 v14, 63, v6
	s_waitcnt lgkmcnt(0)
	s_ashr_i32 s9, s8, 31
	s_add_u32 s6, s6, s16
	s_addc_u32 s7, s7, s17
	s_add_i32 s16, s18, -1
	s_load_b64 s[6:7], s[6:7], 0x0
	s_ashr_i32 s17, s16, 31
	s_delay_alu instid0(SALU_CYCLE_1) | instskip(NEXT) | instid1(SALU_CYCLE_1)
	s_lshr_b32 s17, s17, 24
	s_add_i32 s16, s16, s17
	s_delay_alu instid0(SALU_CYCLE_1) | instskip(NEXT) | instid1(SALU_CYCLE_1)
	s_ashr_i32 s16, s16, 8
	s_add_i32 s18, s16, 1
	s_not_b32 s16, s16
	v_cvt_f32_u32_e32 v1, s18
	s_delay_alu instid0(VALU_DEP_1) | instskip(SKIP_2) | instid1(VALU_DEP_1)
	v_rcp_iflag_f32_e32 v1, v1
	s_waitcnt_depctr 0xfff
	v_mul_f32_e32 v1, 0x4f7ffffe, v1
	v_cvt_u32_f32_e32 v1, v1
	s_delay_alu instid0(VALU_DEP_1) | instskip(SKIP_1) | instid1(VALU_DEP_2)
	v_readfirstlane_b32 s17, v1
	v_mad_i64_i32 v[0:1], null, s8, v13, 0
	s_mul_i32 s16, s16, s17
	s_delay_alu instid0(SALU_CYCLE_1) | instskip(NEXT) | instid1(SALU_CYCLE_1)
	s_mul_hi_u32 s16, s17, s16
	s_add_i32 s17, s17, s16
	s_delay_alu instid0(VALU_DEP_1) | instskip(SKIP_1) | instid1(SALU_CYCLE_1)
	v_lshlrev_b64 v[1:2], 2, v[0:1]
	s_mul_hi_u32 s16, s14, s17
	s_mul_i32 s17, s16, s18
	s_add_i32 s19, s16, 1
	s_sub_i32 s17, s14, s17
	s_delay_alu instid0(VALU_DEP_1)
	v_add_co_u32 v4, vcc_lo, s10, v1
	s_sub_i32 s20, s17, s18
	s_cmp_ge_u32 s17, s18
	v_add_co_ci_u32_e32 v5, vcc_lo, s11, v2, vcc_lo
	s_cselect_b32 s16, s19, s16
	s_cselect_b32 s17, s20, s17
	s_add_i32 s19, s16, 1
	s_cmp_ge_u32 s17, s18
	s_cselect_b32 s17, s19, s16
	s_and_b32 vcc_lo, exec_lo, s3
	s_mul_i32 s18, s17, s18
	s_delay_alu instid0(SALU_CYCLE_1) | instskip(NEXT) | instid1(SALU_CYCLE_1)
	s_sub_i32 s16, s14, s18
	s_lshl_b32 s16, s16, 8
	s_delay_alu instid0(SALU_CYCLE_1) | instskip(NEXT) | instid1(VALU_DEP_1)
	v_or_b32_e32 v0, s16, v14
	v_ashrrev_i32_e32 v1, 31, v0
	s_cbranch_vccnz .LBB3_10
; %bb.8:
	s_delay_alu instid0(VALU_DEP_1) | instskip(NEXT) | instid1(VALU_DEP_1)
	v_lshlrev_b64 v[2:3], 2, v[0:1]
	v_add_co_u32 v2, vcc_lo, v4, v2
	s_delay_alu instid0(VALU_DEP_2)
	v_add_co_ci_u32_e32 v3, vcc_lo, v5, v3, vcc_lo
	s_clause 0x1
	flat_load_b32 v7, v[2:3]
	flat_load_b32 v3, v[2:3] offset:256
	s_waitcnt vmcnt(1) lgkmcnt(0)
	v_mul_f32_e32 v2, s22, v7
	s_waitcnt vmcnt(0)
	v_mul_f32_e32 v3, s22, v3
	s_and_b32 vcc_lo, exec_lo, s3
	s_cbranch_vccnz .LBB3_11
.LBB3_9:
	v_lshlrev_b64 v[7:8], 2, v[0:1]
	s_delay_alu instid0(VALU_DEP_1) | instskip(NEXT) | instid1(VALU_DEP_2)
	v_add_co_u32 v4, vcc_lo, v4, v7
	v_add_co_ci_u32_e32 v5, vcc_lo, v5, v8, vcc_lo
	s_clause 0x1
	flat_load_b32 v7, v[4:5] offset:512
	flat_load_b32 v5, v[4:5] offset:768
	s_waitcnt vmcnt(0) lgkmcnt(0)
	v_dual_mul_f32 v4, s22, v7 :: v_dual_mul_f32 v5, s22, v5
	s_branch .LBB3_12
.LBB3_10:
	v_dual_mov_b32 v2, 0 :: v_dual_mov_b32 v3, 0
	s_and_b32 vcc_lo, exec_lo, s3
	s_cbranch_vccz .LBB3_9
.LBB3_11:
	v_dual_mov_b32 v4, 0 :: v_dual_mov_b32 v5, 0
.LBB3_12:
	s_load_b32 s19, s[0:1], 0x38
	v_lshrrev_b32_e32 v6, 2, v6
	v_and_b32_e32 v7, 3, v17
	s_lshl_b32 s17, s17, 6
	s_and_b32 vcc_lo, exec_lo, s3
	s_delay_alu instid0(VALU_DEP_2) | instskip(NEXT) | instid1(VALU_DEP_2)
	v_add_nc_u32_e32 v18, s17, v6
	v_lshlrev_b32_e32 v15, 2, v7
	s_cbranch_vccnz .LBB3_14
; %bb.13:
	s_waitcnt lgkmcnt(0)
	s_delay_alu instid0(VALU_DEP_2) | instskip(NEXT) | instid1(VALU_DEP_1)
	v_mad_i64_i32 v[7:8], null, v18, s19, 0
	v_lshlrev_b64 v[7:8], 2, v[7:8]
	s_delay_alu instid0(VALU_DEP_1) | instskip(NEXT) | instid1(VALU_DEP_2)
	v_add_co_u32 v7, vcc_lo, s12, v7
	v_add_co_ci_u32_e32 v8, vcc_lo, s13, v8, vcc_lo
	s_delay_alu instid0(VALU_DEP_2) | instskip(NEXT) | instid1(VALU_DEP_2)
	v_add_co_u32 v7, vcc_lo, v7, v15
	v_add_co_ci_u32_e32 v8, vcc_lo, 0, v8, vcc_lo
	flat_load_b32 v7, v[7:8]
	s_waitcnt vmcnt(0) lgkmcnt(0)
	v_mul_f32_e32 v7, s22, v7
	s_branch .LBB3_15
.LBB3_14:
	v_mov_b32_e32 v7, 0
.LBB3_15:
	v_add_nc_u32_e32 v10, 4, v13
	s_delay_alu instid0(VALU_DEP_1) | instskip(NEXT) | instid1(VALU_DEP_1)
	v_mad_i64_i32 v[8:9], null, s8, v10, 0
	v_lshlrev_b64 v[8:9], 2, v[8:9]
	s_delay_alu instid0(VALU_DEP_1) | instskip(NEXT) | instid1(VALU_DEP_2)
	v_add_co_u32 v8, vcc_lo, s10, v8
	v_add_co_ci_u32_e32 v9, vcc_lo, s11, v9, vcc_lo
	s_and_b32 vcc_lo, exec_lo, s3
	s_cbranch_vccnz .LBB3_19
; %bb.16:
	v_lshlrev_b64 v[10:11], 2, v[0:1]
	s_delay_alu instid0(VALU_DEP_1) | instskip(NEXT) | instid1(VALU_DEP_2)
	v_add_co_u32 v10, vcc_lo, v8, v10
	v_add_co_ci_u32_e32 v11, vcc_lo, v9, v11, vcc_lo
	s_clause 0x1
	flat_load_b32 v12, v[10:11]
	flat_load_b32 v10, v[10:11] offset:256
	s_waitcnt vmcnt(0) lgkmcnt(0)
	v_dual_mul_f32 v11, s22, v12 :: v_dual_mul_f32 v10, s22, v10
	scratch_store_b32 off, v11, off         ; 4-byte Folded Spill
	s_and_b32 vcc_lo, exec_lo, s3
	scratch_store_b32 off, v10, off offset:4 ; 4-byte Folded Spill
	s_cbranch_vccnz .LBB3_20
.LBB3_17:
	v_lshlrev_b64 v[0:1], 2, v[0:1]
	s_delay_alu instid0(VALU_DEP_1) | instskip(NEXT) | instid1(VALU_DEP_2)
	v_add_co_u32 v0, vcc_lo, v8, v0
	v_add_co_ci_u32_e32 v1, vcc_lo, v9, v1, vcc_lo
	s_clause 0x1
	flat_load_b32 v8, v[0:1] offset:512
	flat_load_b32 v0, v[0:1] offset:768
	s_waitcnt vmcnt(1) lgkmcnt(0)
	v_mul_f32_e32 v1, s22, v8
	s_waitcnt vmcnt(0)
	v_mul_f32_e32 v0, s22, v0
	scratch_store_b32 off, v1, off offset:8 ; 4-byte Folded Spill
	s_and_b32 vcc_lo, exec_lo, s3
	s_clause 0x1
	scratch_store_b32 off, v0, off offset:12
	scratch_store_b32 off, v18, off offset:60
	s_cbranch_vccnz .LBB3_21
.LBB3_18:
	s_waitcnt lgkmcnt(0)
	v_mad_i64_i32 v[0:1], null, v18, s19, 0
	s_delay_alu instid0(VALU_DEP_1) | instskip(NEXT) | instid1(VALU_DEP_1)
	v_lshlrev_b64 v[0:1], 2, v[0:1]
	v_add_co_u32 v0, vcc_lo, s12, v0
	s_delay_alu instid0(VALU_DEP_2) | instskip(NEXT) | instid1(VALU_DEP_2)
	v_add_co_ci_u32_e32 v1, vcc_lo, s13, v1, vcc_lo
	v_add_co_u32 v0, vcc_lo, v0, v15
	s_delay_alu instid0(VALU_DEP_2)
	v_add_co_ci_u32_e32 v1, vcc_lo, 0, v1, vcc_lo
	flat_load_b32 v0, v[0:1] offset:16
	s_waitcnt vmcnt(0) lgkmcnt(0)
	v_mul_f32_e32 v0, s22, v0
	s_branch .LBB3_22
.LBB3_19:
	v_mov_b32_e32 v10, 0
	scratch_store_b32 off, v10, off         ; 4-byte Folded Spill
	v_mov_b32_e32 v10, 0
	s_and_b32 vcc_lo, exec_lo, s3
	scratch_store_b32 off, v10, off offset:4 ; 4-byte Folded Spill
	s_cbranch_vccz .LBB3_17
.LBB3_20:
	v_mov_b32_e32 v0, 0
	scratch_store_b32 off, v0, off offset:8 ; 4-byte Folded Spill
	v_mov_b32_e32 v0, 0
	s_and_b32 vcc_lo, exec_lo, s3
	s_clause 0x1
	scratch_store_b32 off, v0, off offset:12
	scratch_store_b32 off, v18, off offset:60
	s_cbranch_vccz .LBB3_18
.LBB3_21:
	v_mov_b32_e32 v0, 0
.LBB3_22:
	v_lshl_or_b32 v1, v6, 4, v15
	scratch_store_b32 off, v0, off offset:16 ; 4-byte Folded Spill
	v_lshlrev_b32_e32 v0, 2, v13
	v_lshlrev_b32_e32 v201, 4, v150
	;; [unrolled: 1-line block ×3, first 2 shown]
	scratch_store_b32 off, v1, off offset:20 ; 4-byte Folded Spill
	s_load_b32 s20, s[0:1], 0x8
	v_lshl_add_u32 v74, v14, 4, v0
	ds_store_b32 v1, v7 offset:8192
	ds_store_2addr_stride64_b32 v74, v2, v3 offset1:4
	ds_store_2addr_stride64_b32 v74, v4, v5 offset0:8 offset1:12
	s_waitcnt lgkmcnt(0)
	s_waitcnt_vscnt null, 0x0
	s_barrier
	buffer_gl0_inv
	ds_load_b128 v[26:29], v201 offset:8192
	ds_load_b128 v[0:3], v73
	s_clause 0x2
	scratch_store_b32 off, v13, off offset:64
	scratch_store_b32 off, v14, off offset:72
	scratch_store_b32 off, v15, off offset:68
	s_cmp_lt_i32 s20, 9
	s_waitcnt lgkmcnt(0)
	v_add_f32_e32 v144, v0, v26
	v_add_f32_e32 v18, v1, v27
	ds_load_b128 v[12:15], v73 offset:512
	ds_load_b128 v[8:11], v73 offset:1024
	ds_load_b128 v[4:7], v73 offset:1536
	ds_load_b128 v[30:33], v201 offset:8320
	v_add_f32_e32 v148, v3, v29
	v_add_f32_e32 v128, v2, v28
	scratch_store_b32 off, v18, off offset:28 ; 4-byte Folded Spill
	s_waitcnt lgkmcnt(3)
	v_dual_add_f32 v18, v13, v27 :: v_dual_add_f32 v135, v15, v29
	v_add_f32_e32 v83, v14, v28
	s_waitcnt lgkmcnt(1)
	v_dual_add_f32 v145, v8, v26 :: v_dual_add_f32 v130, v7, v29
	s_waitcnt lgkmcnt(0)
	v_add_f32_e32 v91, v9, v31
	scratch_store_b32 off, v18, off offset:32 ; 4-byte Folded Spill
	v_add_f32_e32 v18, v9, v27
	v_dual_add_f32 v87, v1, v31 :: v_dual_add_f32 v88, v0, v30
	v_add_f32_e32 v105, v15, v33
	v_add_f32_e32 v89, v13, v31
	scratch_store_b32 off, v18, off offset:36 ; 4-byte Folded Spill
	v_add_f32_e32 v18, v5, v27
	v_dual_add_f32 v90, v12, v30 :: v_dual_add_f32 v107, v11, v33
	v_dual_add_f32 v92, v8, v30 :: v_dual_add_f32 v109, v7, v33
	scratch_store_b32 off, v18, off offset:40 ; 4-byte Folded Spill
	v_add_f32_e32 v18, v4, v26
	v_add_f32_e32 v104, v2, v32
	v_add_f32_e32 v106, v14, v32
	v_dual_add_f32 v108, v10, v32 :: v_dual_add_f32 v129, v11, v29
	scratch_store_b32 off, v18, off offset:44 ; 4-byte Folded Spill
	ds_load_b128 v[34:37], v73 offset:2048
	ds_load_b128 v[38:41], v73 offset:2560
	v_dual_add_f32 v142, v12, v26 :: v_dual_add_f32 v93, v5, v31
	v_add_f32_e32 v94, v4, v30
	v_add_f32_e32 v110, v6, v32
	;; [unrolled: 1-line block ×5, first 2 shown]
	s_waitcnt lgkmcnt(0)
	v_dual_add_f32 v131, v37, v29 :: v_dual_add_f32 v18, v39, v27
	v_dual_add_f32 v143, v35, v27 :: v_dual_add_f32 v140, v34, v26
	v_add_f32_e32 v80, v36, v28
	v_dual_add_f32 v132, v41, v29 :: v_dual_add_f32 v95, v35, v31
	scratch_store_b32 off, v18, off offset:48 ; 4-byte Folded Spill
	v_add_f32_e32 v18, v38, v26
	v_dual_add_f32 v82, v40, v28 :: v_dual_add_f32 v97, v39, v31
	v_dual_add_f32 v96, v34, v30 :: v_dual_add_f32 v113, v41, v33
	scratch_store_b32 off, v18, off offset:52 ; 4-byte Folded Spill
	ds_load_b128 v[42:45], v73 offset:3072
	ds_load_b128 v[46:49], v73 offset:3584
	v_dual_add_f32 v98, v38, v30 :: v_dual_add_f32 v111, v37, v33
	v_add_f32_e32 v112, v36, v32
	s_waitcnt lgkmcnt(1)
	v_dual_add_f32 v114, v40, v32 :: v_dual_add_f32 v141, v43, v27
	s_waitcnt lgkmcnt(0)
	v_dual_add_f32 v18, v47, v27 :: v_dual_add_f32 v137, v42, v26
	v_dual_add_f32 v136, v46, v26 :: v_dual_add_f32 v133, v45, v29
	;; [unrolled: 1-line block ×3, first 2 shown]
	scratch_store_b32 off, v18, off offset:56 ; 4-byte Folded Spill
	v_dual_add_f32 v134, v49, v29 :: v_dual_add_f32 v101, v47, v31
	v_add_f32_e32 v86, v48, v28
	v_dual_add_f32 v100, v42, v30 :: v_dual_add_f32 v117, v49, v33
	v_dual_add_f32 v102, v46, v30 :: v_dual_add_f32 v115, v45, v33
	v_add_f32_e32 v116, v44, v32
	v_add_f32_e32 v118, v48, v32
	ds_load_b128 v[26:29], v201 offset:8448
	ds_load_b128 v[30:33], v201 offset:8576
	s_waitcnt lgkmcnt(1)
	v_add_f32_e32 v153, v46, v26
	v_dual_add_f32 v119, v1, v27 :: v_dual_add_f32 v120, v0, v26
	v_add_f32_e32 v127, v2, v28
	v_dual_add_f32 v121, v13, v27 :: v_dual_add_f32 v122, v12, v26
	;; [unrolled: 2-line block ×5, first 2 shown]
	v_dual_add_f32 v161, v36, v28 :: v_dual_add_f32 v78, v39, v27
	v_add_f32_e32 v163, v40, v28
	v_add_f32_e32 v149, v38, v26
	;; [unrolled: 1-line block ×3, first 2 shown]
	v_dual_add_f32 v151, v42, v26 :: v_dual_add_f32 v152, v47, v27
	v_dual_add_f32 v165, v44, v28 :: v_dual_add_f32 v126, v3, v29
	;; [unrolled: 1-line block ×3, first 2 shown]
	s_waitcnt lgkmcnt(0)
	v_dual_add_f32 v169, v0, v30 :: v_dual_add_f32 v156, v11, v29
	v_dual_add_f32 v171, v12, v30 :: v_dual_add_f32 v158, v7, v29
	;; [unrolled: 1-line block ×16, first 2 shown]
	v_add_f32_e32 v188, v11, v33
	v_add_f32_e32 v190, v7, v33
	;; [unrolled: 1-line block ×6, first 2 shown]
	ds_load_b128 v[26:29], v201 offset:8704
	ds_load_b128 v[30:33], v201 offset:8832
	scratch_store_b32 off, v17, off offset:24 ; 4-byte Folded Spill
	s_waitcnt lgkmcnt(1)
	v_dual_add_f32 v213, v42, v26 :: v_dual_add_f32 v200, v1, v27
	v_add_f32_e32 v215, v46, v26
	v_dual_add_f32 v147, v0, v26 :: v_dual_add_f32 v202, v13, v27
	v_add_f32_e32 v217, v2, v28
	;; [unrolled: 2-line block ×6, first 2 shown]
	v_dual_add_f32 v211, v38, v26 :: v_dual_add_f32 v212, v43, v27
	v_dual_add_f32 v227, v40, v28 :: v_dual_add_f32 v214, v47, v27
	;; [unrolled: 1-line block ×4, first 2 shown]
	s_waitcnt lgkmcnt(0)
	v_dual_add_f32 v233, v0, v30 :: v_dual_add_f32 v220, v11, v29
	v_dual_add_f32 v235, v12, v30 :: v_dual_add_f32 v222, v7, v29
	;; [unrolled: 1-line block ×14, first 2 shown]
	v_add_f32_e32 v69, v45, v33
	v_dual_add_f32 v248, v3, v33 :: v_dual_add_f32 v67, v44, v32
	v_add_f32_e32 v250, v15, v33
	v_add_f32_e32 v252, v11, v33
	;; [unrolled: 1-line block ×7, first 2 shown]
	ds_load_b128 v[26:29], v201 offset:8960
	ds_load_b128 v[30:33], v201 offset:9088
	s_waitcnt lgkmcnt(1)
	v_add_f32_e32 v61, v43, v27
	v_dual_add_f32 v52, v1, v27 :: v_dual_add_f32 v21, v42, v26
	v_add_f32_e32 v54, v0, v26
	v_dual_add_f32 v22, v12, v26 :: v_dual_add_f32 v65, v11, v29
	v_add_f32_e32 v53, v8, v26
	v_add_f32_e32 v57, v4, v26
	v_dual_add_f32 v60, v34, v26 :: v_dual_add_f32 v199, v37, v29
	v_add_f32_e32 v59, v38, v26
	v_dual_add_f32 v26, v46, v26 :: v_dual_add_f32 v17, v40, v28
	s_waitcnt lgkmcnt(0)
	v_add_f32_e32 v0, v0, v30
	v_dual_add_f32 v12, v12, v30 :: v_dual_add_f32 v37, v37, v33
	v_add_f32_e32 v8, v8, v30
	v_add_f32_e32 v4, v4, v30
	;; [unrolled: 1-line block ×6, first 2 shown]
	scratch_load_b32 v46, off, off offset:28 ; 4-byte Folded Reload
	v_dual_add_f32 v56, v13, v27 :: v_dual_add_f32 v63, v14, v28
	v_add_f32_e32 v51, v9, v27
	v_add_f32_e32 v55, v5, v27
	v_dual_add_f32 v58, v35, v27 :: v_dual_add_f32 v25, v10, v28
	v_add_f32_e32 v23, v39, v27
	v_add_f32_e32 v27, v47, v27
	v_dual_add_f32 v62, v3, v29 :: v_dual_add_f32 v1, v1, v31
	v_dual_add_f32 v24, v15, v29 :: v_dual_add_f32 v13, v13, v31
	;; [unrolled: 1-line block ×3, first 2 shown]
	v_add_f32_e32 v72, v6, v28
	v_dual_add_f32 v20, v41, v29 :: v_dual_add_f32 v35, v35, v31
	v_dual_add_f32 v14, v14, v32 :: v_dual_add_f32 v39, v39, v31
	;; [unrolled: 1-line block ×7, first 2 shown]
	v_add_f32_e32 v7, v7, v33
	v_min3_f32 v0, v0, v1, 0x7f7fffff
	v_dual_add_f32 v18, v44, v28 :: v_dual_add_f32 v15, v15, v33
	v_dual_add_f32 v28, v48, v28 :: v_dual_add_f32 v11, v11, v33
	v_add_f32_e32 v41, v41, v33
	v_dual_add_f32 v45, v45, v33 :: v_dual_add_f32 v36, v36, v32
	v_dual_add_f32 v33, v49, v33 :: v_dual_add_f32 v40, v40, v32
	v_add_f32_e32 v44, v44, v32
	v_add_f32_e32 v32, v48, v32
	v_min3_f32 v22, v22, v56, 0x7f7fffff
	v_add_f32_e32 v29, v49, v29
	s_waitcnt vmcnt(0)
	v_min3_f32 v46, v144, v46, 0x7f7fffff
	s_delay_alu instid0(VALU_DEP_1) | instskip(SKIP_3) | instid1(VALU_DEP_1)
	v_min3_f32 v148, v128, v148, v46
	scratch_load_b32 v46, off, off offset:32 ; 4-byte Folded Reload
	s_waitcnt vmcnt(0)
	v_min3_f32 v46, v142, v46, 0x7f7fffff
	v_min3_f32 v144, v83, v135, v46
	scratch_load_b32 v46, off, off offset:36 ; 4-byte Folded Reload
	s_waitcnt vmcnt(0)
	v_min3_f32 v46, v145, v46, 0x7f7fffff
	s_delay_alu instid0(VALU_DEP_1)
	v_min3_f32 v145, v81, v129, v46
	s_clause 0x1
	scratch_load_b32 v46, off, off offset:40
	scratch_load_b32 v47, off, off offset:44
	s_waitcnt vmcnt(0)
	v_min3_f32 v46, v47, v46, 0x7f7fffff
	s_delay_alu instid0(VALU_DEP_1) | instskip(SKIP_1) | instid1(VALU_DEP_1)
	v_min3_f32 v142, v85, v130, v46
	v_min3_f32 v46, v140, v143, 0x7f7fffff
	;; [unrolled: 1-line block ×3, first 2 shown]
	s_clause 0x1
	scratch_load_b32 v46, off, off offset:48
	scratch_load_b32 v47, off, off offset:52
	s_waitcnt vmcnt(0)
	v_min3_f32 v46, v47, v46, 0x7f7fffff
	s_delay_alu instid0(VALU_DEP_1) | instskip(SKIP_1) | instid1(VALU_DEP_1)
	v_min3_f32 v140, v82, v132, v46
	v_min3_f32 v46, v137, v141, 0x7f7fffff
	;; [unrolled: 1-line block ×3, first 2 shown]
	scratch_load_b32 v46, off, off offset:56 ; 4-byte Folded Reload
	s_waitcnt vmcnt(0)
	v_min3_f32 v46, v136, v46, 0x7f7fffff
	s_delay_alu instid0(VALU_DEP_1)
	v_min3_f32 v137, v86, v134, v46
	v_min3_f32 v46, v88, v87, 0x7f7fffff
	;; [unrolled: 1-line block ×4, first 2 shown]
	scratch_load_b32 v3, off, off offset:20 ; 4-byte Folded Reload
	v_min3_f32 v136, v104, v103, v46
	v_min3_f32 v46, v90, v89, 0x7f7fffff
	;; [unrolled: 1-line block ×4, first 2 shown]
	s_delay_alu instid0(VALU_DEP_3) | instskip(SKIP_1) | instid1(VALU_DEP_3)
	v_min3_f32 v134, v106, v105, v46
	v_min3_f32 v46, v92, v91, 0x7f7fffff
	;; [unrolled: 1-line block ×4, first 2 shown]
	s_delay_alu instid0(VALU_DEP_3) | instskip(SKIP_1) | instid1(VALU_DEP_3)
	v_min3_f32 v135, v108, v107, v46
	v_min3_f32 v46, v94, v93, 0x7f7fffff
	;; [unrolled: 1-line block ×27, first 2 shown]
	s_clause 0x1
	scratch_load_b32 v0, off, off
	scratch_load_b32 v1, off, off offset:4
	v_min3_f32 v89, v17, v20, v16
	v_min3_f32 v16, v21, v61, 0x7f7fffff
	;; [unrolled: 1-line block ×4, first 2 shown]
	s_delay_alu instid0(VALU_DEP_3) | instskip(SKIP_1) | instid1(VALU_DEP_3)
	v_min3_f32 v90, v18, v19, v16
	v_min3_f32 v16, v26, v27, 0x7f7fffff
	;; [unrolled: 1-line block ×4, first 2 shown]
	s_delay_alu instid0(VALU_DEP_3) | instskip(NEXT) | instid1(VALU_DEP_2)
	v_min3_f32 v87, v28, v29, v16
	v_min3_f32 v127, v155, v154, v46
	v_min3_f32 v46, v124, v123, 0x7f7fffff
	s_delay_alu instid0(VALU_DEP_1) | instskip(SKIP_1) | instid1(VALU_DEP_1)
	v_min3_f32 v126, v157, v156, v46
	v_min3_f32 v46, v138, v125, 0x7f7fffff
	v_min3_f32 v124, v159, v158, v46
	v_min3_f32 v46, v146, v139, 0x7f7fffff
	s_delay_alu instid0(VALU_DEP_1) | instskip(SKIP_1) | instid1(VALU_DEP_1)
	v_min3_f32 v125, v161, v160, v46
	;; [unrolled: 5-line block ×15, first 2 shown]
	v_min3_f32 v46, v247, v246, 0x7f7fffff
	v_min3_f32 v96, v50, v68, v46
	;; [unrolled: 1-line block ×3, first 2 shown]
	s_delay_alu instid0(VALU_DEP_1)
	v_min3_f32 v95, v64, v62, v46
	s_waitcnt vmcnt(0)
	ds_store_2addr_stride64_b32 v74, v0, v1 offset0:16 offset1:20
	s_clause 0x1
	scratch_load_b32 v0, off, off offset:8
	scratch_load_b32 v1, off, off offset:12
	s_waitcnt vmcnt(0)
	ds_store_2addr_stride64_b32 v74, v0, v1 offset0:24 offset1:28
	scratch_load_b32 v0, off, off offset:16 ; 4-byte Folded Reload
	s_waitcnt vmcnt(0)
	ds_store_b32 v3, v0 offset:9216
	s_waitcnt lgkmcnt(0)
	s_waitcnt_vscnt null, 0x0
	s_barrier
	buffer_gl0_inv
	s_cbranch_scc1 .LBB3_40
; %bb.23:
	s_clause 0x3
	scratch_load_b32 v2, off, off offset:60
	scratch_load_b32 v4, off, off offset:64
	;; [unrolled: 1-line block ×4, first 2 shown]
	v_add_nc_u32_e32 v75, 0x2000, v3
	v_add_nc_u32_e32 v78, 0x2400, v3
	v_dual_mov_b32 v199, v150 :: v_dual_add_nc_u32 v76, 0x2000, v201
	v_add_nc_u32_e32 v77, 0x1000, v74
	v_lshl_add_u32 v111, v150, 4, 0x2400
	s_waitcnt vmcnt(3)
	v_mad_i64_i32 v[0:1], null, s19, v2, 0
	scratch_load_b32 v2, off, off offset:72 ; 4-byte Folded Reload
	s_waitcnt vmcnt(3)
	v_add_nc_u32_e32 v3, 12, v4
	v_add_nc_u32_e32 v8, 8, v4
	s_waitcnt vmcnt(1)
	v_lshl_add_u32 v79, v200, 4, 0x1000
	v_lshlrev_b64 v[0:1], 2, v[0:1]
	s_delay_alu instid0(VALU_DEP_1) | instskip(NEXT) | instid1(VALU_DEP_2)
	v_add_co_u32 v6, vcc_lo, v0, v5
	v_add_co_ci_u32_e32 v7, vcc_lo, 0, v1, vcc_lo
	v_mad_i64_i32 v[0:1], null, v3, s8, 0
	s_delay_alu instid0(VALU_DEP_3) | instskip(SKIP_1) | instid1(VALU_DEP_4)
	v_add_co_u32 v6, vcc_lo, v6, s12
	v_mad_i64_i32 v[4:5], null, v8, s8, 0
	v_add_co_ci_u32_e32 v7, vcc_lo, s13, v7, vcc_lo
	s_delay_alu instid0(VALU_DEP_3) | instskip(SKIP_1) | instid1(VALU_DEP_3)
	v_add_co_u32 v64, vcc_lo, v6, 32
	v_lshlrev_b64 v[66:67], 2, v[0:1]
	v_add_co_ci_u32_e32 v65, vcc_lo, 0, v7, vcc_lo
	v_lshlrev_b64 v[68:69], 2, v[4:5]
	s_lshl_b64 s[8:9], s[8:9], 5
	s_waitcnt vmcnt(0)
	v_lshl_or_b32 v2, s14, 8, v2
	s_lshl_b32 s14, s18, 8
	s_delay_alu instid0(VALU_DEP_1) | instid1(SALU_CYCLE_1)
	v_subrev_nc_u32_e32 v2, s14, v2
	s_delay_alu instid0(VALU_DEP_1) | instskip(NEXT) | instid1(VALU_DEP_1)
	v_ashrrev_i32_e32 v3, 31, v2
	v_lshlrev_b64 v[2:3], 2, v[2:3]
	s_delay_alu instid0(VALU_DEP_1) | instskip(NEXT) | instid1(VALU_DEP_2)
	v_add_co_u32 v138, vcc_lo, s10, v2
	v_add_co_ci_u32_e32 v139, vcc_lo, s11, v3, vcc_lo
	s_add_i32 s10, s20, -8
	s_mov_b32 s11, 0
	s_branch .LBB3_26
.LBB3_24:                               ;   in Loop: Header=BB3_26 Depth=1
	flat_load_b32 v0, v[64:65] offset:16
	s_waitcnt vmcnt(0) lgkmcnt(0)
	v_mul_f32_e32 v0, s22, v0
.LBB3_25:                               ;   in Loop: Header=BB3_26 Depth=1
	ds_load_b128 v[92:95], v76
	ds_load_b128 v[151:154], v73
	ds_load_b128 v[155:158], v73 offset:512
	ds_load_b128 v[159:162], v73 offset:1024
	;; [unrolled: 1-line block ×14, first 2 shown]
	v_add_co_u32 v64, vcc_lo, v64, 32
	v_add_co_ci_u32_e32 v65, vcc_lo, 0, v65, vcc_lo
	v_add_co_u32 v138, vcc_lo, v138, s8
	s_waitcnt lgkmcnt(14)
	v_dual_add_f32 v11, v152, v93 :: v_dual_add_f32 v14, v151, v92
	s_waitcnt lgkmcnt(13)
	v_dual_add_f32 v15, v156, v93 :: v_dual_add_f32 v18, v155, v92
	;; [unrolled: 2-line block ×3, first 2 shown]
	s_waitcnt lgkmcnt(11)
	v_add_f32_e32 v23, v164, v93
	v_min3_f32 v11, v14, v11, v25
	v_min3_f32 v14, v18, v15, v28
	v_add_f32_e32 v18, v163, v92
	v_min3_f32 v15, v22, v19, v29
	s_waitcnt lgkmcnt(10)
	v_dual_add_f32 v19, v168, v93 :: v_dual_add_f32 v22, v167, v92
	s_waitcnt lgkmcnt(9)
	v_dual_add_f32 v25, v172, v93 :: v_dual_add_f32 v28, v171, v92
	;; [unrolled: 2-line block ×4, first 2 shown]
	v_min3_f32 v1, v18, v23, v1
	v_min3_f32 v18, v22, v19, v32
	;; [unrolled: 1-line block ×5, first 2 shown]
	s_waitcnt lgkmcnt(6)
	v_dual_add_f32 v25, v152, v97 :: v_dual_add_f32 v28, v151, v96
	v_dual_add_f32 v29, v156, v97 :: v_dual_add_f32 v32, v155, v96
	;; [unrolled: 1-line block ×5, first 2 shown]
	v_min3_f32 v4, v28, v25, v4
	v_min3_f32 v25, v32, v29, v40
	;; [unrolled: 1-line block ×5, first 2 shown]
	v_dual_add_f32 v33, v172, v97 :: v_dual_add_f32 v34, v171, v96
	v_dual_add_f32 v35, v176, v97 :: v_dual_add_f32 v36, v175, v96
	v_dual_add_f32 v37, v180, v97 :: v_dual_add_f32 v38, v179, v96
	s_waitcnt lgkmcnt(5)
	v_dual_add_f32 v39, v152, v101 :: v_dual_add_f32 v40, v151, v100
	v_dual_add_f32 v41, v156, v101 :: v_dual_add_f32 v44, v155, v100
	v_min3_f32 v5, v34, v33, v5
	v_min3_f32 v33, v36, v35, v48
	;; [unrolled: 1-line block ×5, first 2 shown]
	v_dual_add_f32 v37, v160, v101 :: v_dual_add_f32 v38, v159, v100
	v_dual_add_f32 v39, v164, v101 :: v_dual_add_f32 v40, v163, v100
	;; [unrolled: 1-line block ×5, first 2 shown]
	v_min3_f32 v8, v38, v37, v8
	v_min3_f32 v37, v40, v39, v54
	;; [unrolled: 1-line block ×5, first 2 shown]
	v_dual_add_f32 v41, v180, v101 :: v_dual_add_f32 v44, v179, v100
	s_waitcnt lgkmcnt(4)
	v_dual_add_f32 v45, v152, v105 :: v_dual_add_f32 v48, v151, v104
	v_dual_add_f32 v49, v156, v105 :: v_dual_add_f32 v52, v155, v104
	;; [unrolled: 1-line block ×4, first 2 shown]
	v_min3_f32 v9, v44, v41, v9
	v_min3_f32 v41, v48, v45, v58
	;; [unrolled: 1-line block ×5, first 2 shown]
	v_dual_add_f32 v49, v168, v105 :: v_dual_add_f32 v52, v167, v104
	v_dual_add_f32 v53, v172, v105 :: v_dual_add_f32 v54, v171, v104
	;; [unrolled: 1-line block ×4, first 2 shown]
	s_waitcnt lgkmcnt(3)
	v_dual_add_f32 v59, v152, v184 :: v_dual_add_f32 v60, v151, v183
	v_min3_f32 v12, v52, v49, v12
	v_min3_f32 v49, v54, v53, v50
	;; [unrolled: 1-line block ×5, first 2 shown]
	v_dual_add_f32 v53, v156, v184 :: v_dual_add_f32 v54, v155, v183
	v_dual_add_f32 v55, v160, v184 :: v_dual_add_f32 v56, v159, v183
	;; [unrolled: 1-line block ×5, first 2 shown]
	v_min3_f32 v13, v54, v53, v13
	v_min3_f32 v53, v56, v55, v80
	;; [unrolled: 1-line block ×5, first 2 shown]
	v_dual_add_f32 v57, v176, v184 :: v_dual_add_f32 v58, v175, v183
	v_dual_add_f32 v59, v180, v184 :: v_dual_add_f32 v60, v179, v183
	s_waitcnt lgkmcnt(2)
	v_dual_add_f32 v61, v152, v188 :: v_dual_add_f32 v62, v151, v187
	v_dual_add_f32 v63, v156, v188 :: v_dual_add_f32 v70, v155, v187
	;; [unrolled: 1-line block ×3, first 2 shown]
	v_min3_f32 v16, v58, v57, v16
	v_min3_f32 v46, v60, v59, v46
	;; [unrolled: 1-line block ×4, first 2 shown]
	v_dual_add_f32 v59, v164, v188 :: v_dual_add_f32 v60, v163, v187
	v_dual_add_f32 v61, v168, v188 :: v_dual_add_f32 v62, v167, v187
	;; [unrolled: 1-line block ×4, first 2 shown]
	v_min3_f32 v58, v72, v71, v85
	v_dual_add_f32 v71, v176, v188 :: v_dual_add_f32 v72, v175, v187
	v_min3_f32 v17, v60, v59, v17
	v_min3_f32 v42, v62, v61, v42
	;; [unrolled: 1-line block ×4, first 2 shown]
	s_waitcnt lgkmcnt(1)
	v_dual_add_f32 v61, v152, v192 :: v_dual_add_f32 v62, v151, v191
	v_dual_add_f32 v63, v156, v192 :: v_dual_add_f32 v70, v155, v191
	v_dual_add_f32 v80, v164, v192 :: v_dual_add_f32 v81, v163, v191
	v_dual_add_f32 v82, v168, v192 :: v_dual_add_f32 v83, v167, v191
	v_min3_f32 v59, v72, v71, v86
	v_dual_add_f32 v71, v160, v192 :: v_dual_add_f32 v72, v159, v191
	v_min3_f32 v20, v62, v61, v20
	v_min3_f32 v61, v70, v63, v88
	;; [unrolled: 1-line block ×4, first 2 shown]
	v_dual_add_f32 v80, v176, v192 :: v_dual_add_f32 v81, v175, v191
	v_dual_add_f32 v82, v180, v192 :: v_dual_add_f32 v83, v179, v191
	s_waitcnt lgkmcnt(0)
	v_dual_add_f32 v84, v152, v196 :: v_dual_add_f32 v85, v151, v195
	v_dual_add_f32 v86, v156, v196 :: v_dual_add_f32 v87, v155, v195
	v_min3_f32 v62, v72, v71, v89
	v_dual_add_f32 v71, v172, v192 :: v_dual_add_f32 v72, v171, v191
	v_min3_f32 v26, v81, v80, v26
	v_min3_f32 v27, v83, v82, v27
	;; [unrolled: 1-line block ×4, first 2 shown]
	v_dual_add_f32 v80, v164, v196 :: v_dual_add_f32 v81, v163, v195
	v_dual_add_f32 v82, v168, v196 :: v_dual_add_f32 v83, v167, v195
	;; [unrolled: 1-line block ×4, first 2 shown]
	v_min3_f32 v21, v72, v71, v21
	v_dual_add_f32 v71, v160, v196 :: v_dual_add_f32 v72, v159, v195
	v_min3_f32 v3, v81, v80, v3
	v_min3_f32 v6, v83, v82, v6
	;; [unrolled: 1-line block ×4, first 2 shown]
	v_dual_add_f32 v80, v154, v95 :: v_dual_add_f32 v81, v153, v94
	v_dual_add_f32 v82, v158, v95 :: v_dual_add_f32 v83, v157, v94
	;; [unrolled: 1-line block ×4, first 2 shown]
	v_min3_f32 v24, v72, v71, v24
	v_dual_add_f32 v71, v180, v196 :: v_dual_add_f32 v72, v179, v195
	v_min3_f32 v148, v81, v80, v11
	v_min3_f32 v144, v83, v82, v14
	v_min3_f32 v145, v85, v84, v15
	v_min3_f32 v142, v87, v86, v1
	v_add_f32_e32 v1, v170, v95
	v_dual_add_f32 v11, v169, v94 :: v_dual_add_f32 v14, v174, v95
	v_dual_add_f32 v15, v173, v94 :: v_dual_add_f32 v80, v182, v95
	v_min3_f32 v2, v72, v71, v2
	v_add_f32_e32 v72, v177, v94
	v_dual_add_f32 v81, v181, v94 :: v_dual_add_f32 v82, v154, v99
	v_add_f32_e32 v83, v153, v98
	v_min3_f32 v143, v11, v1, v18
	v_min3_f32 v140, v15, v14, v19
	v_dual_add_f32 v1, v158, v99 :: v_dual_add_f32 v14, v161, v98
	v_dual_add_f32 v11, v162, v99 :: v_dual_add_f32 v18, v165, v98
	v_add_f32_e32 v71, v178, v95
	v_min3_f32 v137, v81, v80, v23
	v_add_f32_e32 v15, v166, v99
	s_delay_alu instid0(VALU_DEP_4)
	v_min3_f32 v135, v14, v11, v28
	v_add_f32_e32 v14, v154, v103
	v_min3_f32 v136, v83, v82, v4
	v_add_f32_e32 v4, v157, v98
	v_min3_f32 v141, v72, v71, v22
	v_dual_add_f32 v22, v169, v98 :: v_dual_add_f32 v19, v170, v99
	v_add_f32_e32 v23, v174, v99
	v_add_f32_e32 v71, v173, v98
	v_min3_f32 v134, v4, v1, v25
	v_dual_add_f32 v1, v178, v99 :: v_dual_add_f32 v4, v177, v98
	v_min3_f32 v132, v18, v15, v29
	v_min3_f32 v133, v22, v19, v32
	v_dual_add_f32 v11, v181, v98 :: v_dual_add_f32 v22, v162, v103
	v_dual_add_f32 v15, v153, v102 :: v_dual_add_f32 v18, v158, v103
	v_add_f32_e32 v19, v157, v102
	v_min3_f32 v131, v4, v1, v33
	v_add_f32_e32 v4, v165, v102
	v_min3_f32 v130, v71, v23, v5
	v_add_f32_e32 v5, v182, v99
	v_add_f32_e32 v23, v161, v102
	v_min3_f32 v129, v15, v14, v35
	v_add_f32_e32 v14, v173, v102
	v_min3_f32 v127, v19, v18, v36
	v_min3_f32 v128, v11, v5, v34
	;; [unrolled: 1-line block ×3, first 2 shown]
	v_dual_add_f32 v1, v166, v103 :: v_dual_add_f32 v18, v177, v102
	v_dual_add_f32 v5, v170, v103 :: v_dual_add_f32 v22, v181, v102
	;; [unrolled: 1-line block ×3, first 2 shown]
	v_add_f32_e32 v15, v178, v103
	s_delay_alu instid0(VALU_DEP_4) | instskip(SKIP_1) | instid1(VALU_DEP_4)
	v_min3_f32 v124, v4, v1, v37
	v_add_f32_e32 v4, v153, v106
	v_min3_f32 v125, v8, v5, v38
	v_add_f32_e32 v8, v157, v106
	v_min3_f32 v122, v14, v11, v39
	v_min3_f32 v123, v18, v15, v40
	v_add_f32_e32 v5, v158, v107
	v_dual_add_f32 v14, v166, v107 :: v_dual_add_f32 v15, v165, v106
	v_add_f32_e32 v19, v182, v103
	v_add_f32_e32 v1, v154, v107
	v_dual_add_f32 v11, v161, v106 :: v_dual_add_f32 v18, v170, v107
	s_delay_alu instid0(VALU_DEP_4)
	v_min3_f32 v117, v15, v14, v48
	v_add_f32_e32 v14, v153, v185
	v_min3_f32 v118, v8, v5, v44
	v_dual_add_f32 v8, v177, v106 :: v_dual_add_f32 v5, v178, v107
	v_min3_f32 v121, v4, v1, v41
	v_dual_add_f32 v1, v174, v107 :: v_dual_add_f32 v4, v173, v106
	v_min3_f32 v120, v22, v19, v9
	v_add_f32_e32 v9, v162, v107
	v_add_f32_e32 v19, v169, v106
	v_min3_f32 v115, v8, v5, v50
	v_dual_add_f32 v5, v166, v186 :: v_dual_add_f32 v8, v165, v185
	v_add_f32_e32 v15, v158, v186
	s_delay_alu instid0(VALU_DEP_4)
	v_min3_f32 v116, v19, v18, v12
	v_add_f32_e32 v18, v157, v185
	v_min3_f32 v119, v11, v9, v45
	v_add_f32_e32 v9, v182, v107
	v_min3_f32 v114, v4, v1, v49
	v_dual_add_f32 v1, v162, v186 :: v_dual_add_f32 v4, v161, v185
	v_min3_f32 v107, v8, v5, v54
	v_dual_add_f32 v5, v154, v190 :: v_dual_add_f32 v8, v153, v189
	v_add_f32_e32 v11, v181, v106
	v_add_f32_e32 v12, v154, v186
	v_min3_f32 v110, v4, v1, v53
	v_dual_add_f32 v1, v182, v186 :: v_dual_add_f32 v4, v181, v185
	v_min3_f32 v104, v8, v5, v47
	v_dual_add_f32 v5, v174, v190 :: v_dual_add_f32 v8, v173, v189
	v_min3_f32 v112, v11, v9, v51
	v_min3_f32 v109, v18, v15, v13
	v_add_f32_e32 v9, v170, v186
	v_add_f32_e32 v11, v169, v185
	v_min3_f32 v113, v14, v12, v52
	v_dual_add_f32 v12, v174, v186 :: v_dual_add_f32 v13, v173, v185
	v_dual_add_f32 v14, v178, v186 :: v_dual_add_f32 v15, v177, v185
	v_min3_f32 v97, v8, v5, v43
	v_add_f32_e32 v8, v161, v193
	v_min3_f32 v103, v4, v1, v46
	v_dual_add_f32 v1, v170, v190 :: v_dual_add_f32 v4, v169, v189
	v_min3_f32 v106, v13, v12, v56
	v_min3_f32 v105, v15, v14, v16
	v_dual_add_f32 v12, v162, v190 :: v_dual_add_f32 v13, v161, v189
	v_dual_add_f32 v14, v166, v190 :: v_dual_add_f32 v15, v165, v189
	v_min3_f32 v100, v4, v1, v42
	v_add_f32_e32 v4, v157, v193
	v_min3_f32 v108, v11, v9, v55
	v_add_f32_e32 v9, v158, v190
	v_add_f32_e32 v11, v157, v189
	;; [unrolled: 1-line block ×3, first 2 shown]
	v_min3_f32 v102, v13, v12, v58
	v_add_f32_e32 v12, v182, v190
	v_min3_f32 v99, v15, v14, v17
	v_dual_add_f32 v13, v181, v189 :: v_dual_add_f32 v14, v154, v194
	v_add_f32_e32 v15, v153, v193
	v_min3_f32 v94, v8, v5, v62
	v_add_f32_e32 v8, v181, v193
	v_min3_f32 v101, v11, v9, v57
	v_add_f32_e32 v9, v178, v190
	v_add_f32_e32 v11, v177, v189
	v_min3_f32 v96, v13, v12, v60
	v_min3_f32 v95, v15, v14, v20
	v_add_f32_e32 v1, v158, v194
	v_add_f32_e32 v12, v170, v194
	v_min3_f32 v98, v11, v9, v59
	v_add_f32_e32 v9, v166, v194
	v_add_f32_e32 v11, v165, v193
	v_dual_add_f32 v13, v169, v193 :: v_dual_add_f32 v14, v174, v194
	v_add_f32_e32 v15, v173, v193
	v_min3_f32 v93, v4, v1, v61
	v_dual_add_f32 v1, v178, v194 :: v_dual_add_f32 v4, v177, v193
	v_add_f32_e32 v5, v182, v194
	s_delay_alu instid0(VALU_DEP_4)
	v_min3_f32 v89, v15, v14, v21
	v_add_f32_e32 v14, v162, v198
	v_min3_f32 v92, v13, v12, v70
	v_add_f32_e32 v12, v158, v198
	;; [unrolled: 2-line block ×3, first 2 shown]
	v_add_f32_e32 v11, v153, v197
	v_add_f32_e32 v13, v157, v197
	;; [unrolled: 1-line block ×3, first 2 shown]
	v_min3_f32 v90, v4, v1, v26
	v_min3_f32 v87, v8, v5, v27
	v_add_f32_e32 v1, v166, v198
	v_min3_f32 v86, v13, v12, v31
	v_min3_f32 v85, v15, v14, v24
	v_add_f32_e32 v14, v182, v198
	v_min3_f32 v88, v11, v9, v30
	v_dual_add_f32 v4, v165, v197 :: v_dual_add_f32 v5, v170, v198
	v_dual_add_f32 v8, v169, v197 :: v_dual_add_f32 v9, v174, v198
	;; [unrolled: 1-line block ×3, first 2 shown]
	v_add_f32_e32 v13, v177, v197
	v_add_f32_e32 v15, v181, v197
	v_min3_f32 v83, v4, v1, v3
	v_min3_f32 v84, v8, v5, v6
	;; [unrolled: 1-line block ×5, first 2 shown]
	v_add_co_ci_u32_e32 v139, vcc_lo, s9, v139, vcc_lo
	s_add_i32 s11, s11, 8
	ds_store_2addr_stride64_b32 v77, v146, v147 offset1:4
	ds_store_2addr_stride64_b32 v77, v149, v150 offset0:8 offset1:12
	ds_store_b32 v78, v0
	s_cmp_ge_i32 s11, s10
	s_waitcnt lgkmcnt(0)
	s_barrier
	buffer_gl0_inv
	s_cbranch_scc1 .LBB3_41
.LBB3_26:                               ; =>This Inner Loop Header: Depth=1
	s_and_b32 vcc_lo, exec_lo, s3
	s_cbranch_vccnz .LBB3_30
; %bb.27:                               ;   in Loop: Header=BB3_26 Depth=1
	v_add_co_u32 v0, vcc_lo, v138, v68
	v_add_co_ci_u32_e32 v1, vcc_lo, v139, v69, vcc_lo
	s_clause 0x1
	flat_load_b32 v2, v[0:1]
	flat_load_b32 v0, v[0:1] offset:256
	s_waitcnt vmcnt(0) lgkmcnt(0)
	v_dual_mul_f32 v146, s22, v2 :: v_dual_mul_f32 v147, s22, v0
	s_and_b32 vcc_lo, exec_lo, s3
	s_cbranch_vccnz .LBB3_31
.LBB3_28:                               ;   in Loop: Header=BB3_26 Depth=1
	v_add_co_u32 v0, vcc_lo, v138, v68
	v_add_co_ci_u32_e32 v1, vcc_lo, v139, v69, vcc_lo
	s_clause 0x1
	flat_load_b32 v2, v[0:1] offset:512
	flat_load_b32 v0, v[0:1] offset:768
	s_waitcnt vmcnt(0) lgkmcnt(0)
	v_dual_mul_f32 v149, s22, v2 :: v_dual_mul_f32 v150, s22, v0
	s_and_b32 vcc_lo, exec_lo, s3
	s_cbranch_vccnz .LBB3_32
.LBB3_29:                               ;   in Loop: Header=BB3_26 Depth=1
	flat_load_b32 v0, v[64:65]
	s_waitcnt vmcnt(0) lgkmcnt(0)
	v_mul_f32_e32 v151, s22, v0
	s_branch .LBB3_33
.LBB3_30:                               ;   in Loop: Header=BB3_26 Depth=1
	v_dual_mov_b32 v146, 0 :: v_dual_mov_b32 v147, 0
	s_and_b32 vcc_lo, exec_lo, s3
	s_cbranch_vccz .LBB3_28
.LBB3_31:                               ;   in Loop: Header=BB3_26 Depth=1
	v_dual_mov_b32 v149, 0 :: v_dual_mov_b32 v150, 0
	s_and_b32 vcc_lo, exec_lo, s3
	s_cbranch_vccz .LBB3_29
.LBB3_32:                               ;   in Loop: Header=BB3_26 Depth=1
	v_mov_b32_e32 v151, 0
.LBB3_33:                               ;   in Loop: Header=BB3_26 Depth=1
	ds_load_b128 v[32:35], v79
	ds_load_b128 v[28:31], v79 offset:512
	ds_load_b128 v[24:27], v79 offset:1024
	ds_load_b128 v[16:19], v79 offset:1536
	ds_load_b128 v[12:15], v79 offset:2048
	ds_load_b128 v[8:11], v79 offset:2560
	ds_load_b128 v[4:7], v79 offset:3072
	ds_load_b128 v[0:3], v79 offset:3584
	ds_load_b128 v[60:63], v111
	ds_load_b128 v[56:59], v111 offset:128
	ds_load_b128 v[52:55], v111 offset:256
	;; [unrolled: 1-line block ×7, first 2 shown]
	s_and_b32 vcc_lo, exec_lo, s3
	ds_store_2addr_stride64_b32 v74, v146, v147 offset1:4
	ds_store_2addr_stride64_b32 v74, v149, v150 offset0:8 offset1:12
	ds_store_b32 v75, v151
	s_waitcnt lgkmcnt(0)
	s_barrier
	buffer_gl0_inv
	s_cbranch_vccnz .LBB3_36
; %bb.34:                               ;   in Loop: Header=BB3_26 Depth=1
	v_add_co_u32 v146, vcc_lo, v138, v66
	v_add_co_ci_u32_e32 v147, vcc_lo, v139, v67, vcc_lo
	s_clause 0x1
	flat_load_b32 v70, v[146:147]
	flat_load_b32 v71, v[146:147] offset:256
	s_waitcnt vmcnt(0) lgkmcnt(0)
	v_dual_mul_f32 v146, s22, v70 :: v_dual_mul_f32 v147, s22, v71
	s_and_b32 vcc_lo, exec_lo, s3
	s_cbranch_vccnz .LBB3_37
.LBB3_35:                               ;   in Loop: Header=BB3_26 Depth=1
	v_add_co_u32 v149, vcc_lo, v138, v66
	v_add_co_ci_u32_e32 v150, vcc_lo, v139, v67, vcc_lo
	s_clause 0x1
	flat_load_b32 v70, v[149:150] offset:512
	flat_load_b32 v71, v[149:150] offset:768
	s_waitcnt vmcnt(0) lgkmcnt(0)
	v_dual_mul_f32 v149, s22, v70 :: v_dual_mul_f32 v150, s22, v71
	s_branch .LBB3_38
.LBB3_36:                               ;   in Loop: Header=BB3_26 Depth=1
	v_dual_mov_b32 v146, 0 :: v_dual_mov_b32 v147, 0
	s_and_b32 vcc_lo, exec_lo, s3
	s_cbranch_vccz .LBB3_35
.LBB3_37:                               ;   in Loop: Header=BB3_26 Depth=1
	v_dual_mov_b32 v149, 0 :: v_dual_mov_b32 v150, 0
.LBB3_38:                               ;   in Loop: Header=BB3_26 Depth=1
	v_dual_add_f32 v70, v33, v61 :: v_dual_add_f32 v71, v32, v60
	v_dual_add_f32 v72, v29, v61 :: v_dual_add_f32 v151, v28, v60
	;; [unrolled: 1-line block ×3, first 2 shown]
	s_delay_alu instid0(VALU_DEP_3) | instskip(SKIP_1) | instid1(VALU_DEP_4)
	v_min3_f32 v70, v71, v70, v148
	v_add_f32_e32 v148, v13, v61
	v_min3_f32 v71, v151, v72, v144
	v_add_f32_e32 v151, v12, v60
	v_min3_f32 v72, v153, v152, v145
	v_dual_add_f32 v144, v17, v61 :: v_dual_add_f32 v145, v16, v60
	v_dual_add_f32 v152, v9, v61 :: v_dual_add_f32 v153, v8, v60
	;; [unrolled: 1-line block ×4, first 2 shown]
	s_delay_alu instid0(VALU_DEP_4)
	v_min3_f32 v142, v145, v144, v142
	v_min3_f32 v143, v151, v148, v143
	v_dual_add_f32 v144, v29, v57 :: v_dual_add_f32 v145, v28, v56
	v_add_f32_e32 v148, v25, v57
	v_min3_f32 v60, v60, v61, v137
	v_add_f32_e32 v61, v33, v57
	v_add_f32_e32 v137, v32, v56
	;; [unrolled: 1-line block ×3, first 2 shown]
	v_min3_f32 v140, v153, v152, v140
	v_add_f32_e32 v152, v17, v57
	v_min3_f32 v141, v155, v154, v141
	v_dual_add_f32 v153, v16, v56 :: v_dual_add_f32 v154, v13, v57
	v_add_f32_e32 v155, v12, v56
	v_min3_f32 v61, v137, v61, v136
	v_add_f32_e32 v136, v9, v57
	v_min3_f32 v134, v145, v144, v134
	v_min3_f32 v135, v151, v148, v135
	v_dual_add_f32 v137, v8, v56 :: v_dual_add_f32 v144, v5, v57
	v_dual_add_f32 v145, v4, v56 :: v_dual_add_f32 v148, v33, v53
	;; [unrolled: 1-line block ×3, first 2 shown]
	v_add_f32_e32 v151, v32, v52
	v_min3_f32 v132, v153, v152, v132
	v_dual_add_f32 v152, v29, v53 :: v_dual_add_f32 v153, v28, v52
	v_min3_f32 v130, v137, v136, v130
	v_min3_f32 v56, v56, v57, v128
	v_add_f32_e32 v128, v25, v53
	v_min3_f32 v57, v151, v148, v129
	v_dual_add_f32 v129, v24, v52 :: v_dual_add_f32 v136, v17, v53
	v_add_f32_e32 v137, v16, v52
	v_min3_f32 v131, v145, v144, v131
	v_add_f32_e32 v144, v13, v53
	v_min3_f32 v127, v153, v152, v127
	v_dual_add_f32 v145, v12, v52 :: v_dual_add_f32 v148, v9, v53
	v_dual_add_f32 v151, v8, v52 :: v_dual_add_f32 v152, v5, v53
	v_add_f32_e32 v153, v4, v52
	v_min3_f32 v126, v129, v128, v126
	v_add_f32_e32 v128, v33, v49
	v_min3_f32 v124, v137, v136, v124
	v_dual_add_f32 v53, v1, v53 :: v_dual_add_f32 v52, v0, v52
	;; [unrolled: 6-line block ×3, first 2 shown]
	v_add_f32_e32 v151, v16, v48
	v_min3_f32 v120, v52, v53, v120
	v_add_f32_e32 v52, v13, v49
	v_min3_f32 v121, v129, v128, v121
	v_min3_f32 v118, v137, v136, v118
	v_dual_add_f32 v53, v12, v48 :: v_dual_add_f32 v128, v9, v49
	v_dual_add_f32 v129, v8, v48 :: v_dual_add_f32 v136, v5, v49
	v_add_f32_e32 v137, v4, v48
	v_dual_add_f32 v49, v1, v49 :: v_dual_add_f32 v48, v0, v48
	v_min3_f32 v119, v145, v144, v119
	v_dual_add_f32 v144, v33, v45 :: v_dual_add_f32 v145, v32, v44
	v_min3_f32 v116, v53, v52, v116
	v_min3_f32 v114, v129, v128, v114
	;; [unrolled: 1-line block ×3, first 2 shown]
	v_dual_add_f32 v48, v29, v45 :: v_dual_add_f32 v49, v28, v44
	v_dual_add_f32 v52, v25, v45 :: v_dual_add_f32 v53, v24, v44
	;; [unrolled: 1-line block ×3, first 2 shown]
	v_min3_f32 v115, v137, v136, v115
	v_add_f32_e32 v136, v13, v45
	v_min3_f32 v113, v145, v144, v113
	v_dual_add_f32 v137, v12, v44 :: v_dual_add_f32 v144, v9, v45
	v_add_f32_e32 v145, v8, v44
	v_min3_f32 v109, v49, v48, v109
	v_add_f32_e32 v48, v5, v45
	v_min3_f32 v110, v53, v52, v110
	v_min3_f32 v107, v129, v128, v107
	v_dual_add_f32 v49, v4, v44 :: v_dual_add_f32 v52, v33, v41
	v_dual_add_f32 v45, v1, v45 :: v_dual_add_f32 v44, v0, v44
	;; [unrolled: 1-line block ×3, first 2 shown]
	v_add_f32_e32 v129, v28, v40
	v_min3_f32 v108, v137, v136, v108
	v_dual_add_f32 v136, v25, v41 :: v_dual_add_f32 v137, v24, v40
	v_min3_f32 v105, v49, v48, v105
	v_min3_f32 v103, v44, v45, v103
	v_add_f32_e32 v44, v17, v41
	v_min3_f32 v104, v53, v52, v104
	v_min3_f32 v101, v129, v128, v101
	v_dual_add_f32 v45, v16, v40 :: v_dual_add_f32 v48, v13, v41
	v_dual_add_f32 v49, v12, v40 :: v_dual_add_f32 v52, v9, v41
	;; [unrolled: 1-line block ×3, first 2 shown]
	v_add_f32_e32 v129, v4, v40
	v_dual_add_f32 v41, v1, v41 :: v_dual_add_f32 v40, v0, v40
	v_min3_f32 v99, v45, v44, v99
	v_dual_add_f32 v44, v29, v37 :: v_dual_add_f32 v45, v28, v36
	v_min3_f32 v100, v49, v48, v100
	v_add_f32_e32 v48, v25, v37
	v_min3_f32 v96, v40, v41, v96
	v_dual_add_f32 v40, v33, v37 :: v_dual_add_f32 v41, v32, v36
	v_min3_f32 v97, v53, v52, v97
	v_min3_f32 v98, v129, v128, v98
	v_dual_add_f32 v49, v24, v36 :: v_dual_add_f32 v52, v17, v37
	v_dual_add_f32 v53, v16, v36 :: v_dual_add_f32 v128, v13, v37
	v_add_f32_e32 v129, v12, v36
	v_min3_f32 v95, v41, v40, v95
	v_add_f32_e32 v40, v9, v37
	v_min3_f32 v93, v45, v44, v93
	v_dual_add_f32 v41, v8, v36 :: v_dual_add_f32 v44, v5, v37
	v_add_f32_e32 v45, v4, v36
	v_dual_add_f32 v17, v17, v21 :: v_dual_add_f32 v12, v12, v20
	v_dual_add_f32 v13, v13, v21 :: v_dual_add_f32 v8, v8, v20
	;; [unrolled: 1-line block ×3, first 2 shown]
	v_add_f32_e32 v5, v5, v21
	v_min3_f32 v123, v153, v152, v123
	v_min3_f32 v117, v151, v148, v117
	v_dual_add_f32 v37, v1, v37 :: v_dual_add_f32 v32, v32, v20
	v_dual_add_f32 v36, v0, v36 :: v_dual_add_f32 v33, v33, v21
	;; [unrolled: 1-line block ×4, first 2 shown]
	v_add_f32_e32 v16, v16, v20
	v_min3_f32 v148, v12, v13, v84
	v_min3_f32 v151, v8, v9, v81
	v_dual_add_f32 v1, v1, v21 :: v_dual_add_f32 v8, v31, v63
	v_add_f32_e32 v0, v0, v20
	v_min3_f32 v152, v4, v5, v82
	v_dual_add_f32 v4, v35, v63 :: v_dual_add_f32 v5, v34, v62
	v_dual_add_f32 v12, v27, v63 :: v_dual_add_f32 v9, v30, v62
	v_add_f32_e32 v13, v26, v62
	v_min3_f32 v106, v145, v144, v106
	v_min3_f32 v144, v28, v29, v86
	;; [unrolled: 1-line block ×4, first 2 shown]
	v_dual_add_f32 v16, v19, v63 :: v_dual_add_f32 v17, v18, v62
	v_min3_f32 v25, v5, v4, v70
	v_min3_f32 v28, v9, v8, v71
	v_add_f32_e32 v8, v11, v63
	v_add_f32_e32 v4, v15, v63
	v_min3_f32 v29, v13, v12, v72
	v_dual_add_f32 v5, v14, v62 :: v_dual_add_f32 v12, v7, v63
	v_add_f32_e32 v9, v10, v62
	v_dual_add_f32 v13, v6, v62 :: v_dual_add_f32 v20, v35, v59
	v_min3_f32 v102, v137, v136, v102
	v_min3_f32 v136, v36, v37, v87
	;; [unrolled: 1-line block ×5, first 2 shown]
	v_dual_add_f32 v16, v3, v63 :: v_dual_add_f32 v17, v2, v62
	v_add_f32_e32 v21, v34, v58
	v_min3_f32 v32, v5, v4, v143
	v_min3_f32 v33, v9, v8, v140
	;; [unrolled: 1-line block ×3, first 2 shown]
	v_dual_add_f32 v5, v31, v59 :: v_dual_add_f32 v8, v30, v58
	v_dual_add_f32 v9, v27, v59 :: v_dual_add_f32 v12, v26, v58
	v_min3_f32 v133, v155, v154, v133
	v_min3_f32 v94, v49, v48, v94
	;; [unrolled: 1-line block ×4, first 2 shown]
	v_dual_add_f32 v13, v19, v59 :: v_dual_add_f32 v48, v10, v58
	v_min3_f32 v40, v8, v5, v134
	v_min3_f32 v41, v12, v9, v135
	v_add_f32_e32 v8, v7, v59
	v_min3_f32 v37, v17, v16, v60
	v_dual_add_f32 v16, v18, v58 :: v_dual_add_f32 v17, v15, v59
	v_add_f32_e32 v12, v3, v59
	v_min3_f32 v4, v21, v20, v61
	v_dual_add_f32 v20, v14, v58 :: v_dual_add_f32 v21, v11, v59
	v_min3_f32 v129, v45, v44, v90
	v_min3_f32 v44, v16, v13, v132
	v_dual_add_f32 v9, v6, v58 :: v_dual_add_f32 v16, v35, v55
	s_delay_alu instid0(VALU_DEP_4)
	v_min3_f32 v45, v20, v17, v133
	v_min3_f32 v5, v48, v21, v130
	v_dual_add_f32 v13, v2, v58 :: v_dual_add_f32 v20, v31, v55
	v_dual_add_f32 v17, v34, v54 :: v_dual_add_f32 v58, v27, v55
	v_add_f32_e32 v21, v30, v54
	v_add_f32_e32 v59, v26, v54
	v_min3_f32 v91, v53, v52, v91
	v_min3_f32 v48, v9, v8, v131
	;; [unrolled: 1-line block ×5, first 2 shown]
	v_dual_add_f32 v9, v19, v55 :: v_dual_add_f32 v12, v18, v54
	v_dual_add_f32 v13, v15, v55 :: v_dual_add_f32 v16, v14, v54
	v_add_f32_e32 v17, v11, v55
	v_add_f32_e32 v58, v3, v55
	v_min3_f32 v53, v21, v20, v127
	v_dual_add_f32 v20, v10, v54 :: v_dual_add_f32 v21, v7, v55
	v_add_f32_e32 v62, v18, v50
	v_add_f32_e32 v57, v6, v54
	;; [unrolled: 1-line block ×3, first 2 shown]
	v_min3_f32 v54, v12, v9, v124
	v_min3_f32 v55, v16, v13, v125
	;; [unrolled: 1-line block ×3, first 2 shown]
	v_add_f32_e32 v20, v27, v51
	v_dual_add_f32 v12, v35, v51 :: v_dual_add_f32 v13, v34, v50
	v_dual_add_f32 v16, v31, v51 :: v_dual_add_f32 v17, v30, v50
	;; [unrolled: 1-line block ×3, first 2 shown]
	v_add_f32_e32 v63, v15, v51
	v_min3_f32 v57, v57, v21, v123
	v_min3_f32 v9, v59, v58, v120
	v_add_f32_e32 v21, v26, v50
	v_min3_f32 v58, v13, v12, v121
	v_min3_f32 v59, v17, v16, v118
	v_add_f32_e32 v16, v10, v50
	v_min3_f32 v12, v70, v63, v116
	v_dual_add_f32 v63, v35, v47 :: v_dual_add_f32 v70, v34, v46
	v_min3_f32 v61, v62, v61, v117
	v_add_f32_e32 v13, v11, v51
	v_dual_add_f32 v17, v7, v51 :: v_dual_add_f32 v62, v2, v50
	s_delay_alu instid0(VALU_DEP_4)
	v_min3_f32 v63, v70, v63, v113
	v_add_f32_e32 v70, v15, v47
	v_min3_f32 v60, v21, v20, v119
	v_dual_add_f32 v20, v6, v50 :: v_dual_add_f32 v21, v3, v51
	v_dual_add_f32 v72, v30, v46 :: v_dual_add_f32 v71, v31, v47
	v_min3_f32 v50, v16, v13, v114
	s_delay_alu instid0(VALU_DEP_3) | instskip(NEXT) | instid1(VALU_DEP_4)
	v_min3_f32 v51, v20, v17, v115
	v_min3_f32 v62, v62, v21, v112
	v_dual_add_f32 v20, v19, v47 :: v_dual_add_f32 v21, v18, v46
	v_add_f32_e32 v84, v7, v47
	v_dual_add_f32 v16, v27, v47 :: v_dual_add_f32 v17, v26, v46
	v_add_f32_e32 v83, v10, v46
	v_dual_add_f32 v85, v6, v46 :: v_dual_add_f32 v86, v19, v43
	v_min3_f32 v81, v21, v20, v107
	v_add_f32_e32 v20, v2, v46
	v_min3_f32 v13, v72, v71, v109
	v_dual_add_f32 v71, v14, v46 :: v_dual_add_f32 v72, v11, v47
	v_min3_f32 v80, v17, v16, v110
	v_min3_f32 v16, v85, v84, v105
	v_add_f32_e32 v17, v3, v47
	s_delay_alu instid0(VALU_DEP_4)
	v_min3_f32 v82, v71, v70, v108
	v_min3_f32 v83, v83, v72, v106
	v_dual_add_f32 v21, v35, v43 :: v_dual_add_f32 v88, v2, v42
	v_dual_add_f32 v47, v34, v42 :: v_dual_add_f32 v70, v31, v43
	;; [unrolled: 1-line block ×3, first 2 shown]
	v_add_f32_e32 v85, v26, v42
	v_add_f32_e32 v87, v18, v42
	v_min3_f32 v46, v20, v17, v103
	s_delay_alu instid0(VALU_DEP_4)
	v_min3_f32 v84, v71, v70, v101
	v_add_f32_e32 v20, v15, v43
	v_min3_f32 v47, v47, v21, v104
	v_min3_f32 v85, v85, v72, v102
	;; [unrolled: 1-line block ×3, first 2 shown]
	v_dual_add_f32 v21, v14, v42 :: v_dual_add_f32 v70, v11, v43
	v_dual_add_f32 v71, v10, v42 :: v_dual_add_f32 v72, v7, v43
	;; [unrolled: 1-line block ×4, first 2 shown]
	v_add_f32_e32 v35, v35, v23
	s_delay_alu instid0(VALU_DEP_3) | instskip(NEXT) | instid1(VALU_DEP_4)
	v_min3_f32 v86, v86, v72, v98
	v_min3_f32 v87, v88, v87, v96
	v_add_f32_e32 v96, v15, v39
	v_min3_f32 v42, v21, v20, v100
	v_dual_add_f32 v21, v31, v39 :: v_dual_add_f32 v72, v26, v38
	v_add_f32_e32 v98, v11, v39
	v_min3_f32 v43, v71, v70, v97
	v_add_f32_e32 v70, v30, v38
	v_min3_f32 v20, v90, v89, v95
	v_add_f32_e32 v71, v27, v39
	v_dual_add_f32 v90, v19, v39 :: v_dual_add_f32 v95, v18, v38
	v_add_f32_e32 v97, v14, v38
	v_min3_f32 v88, v70, v21, v93
	v_add_f32_e32 v70, v7, v39
	v_dual_add_f32 v39, v3, v39 :: v_dual_add_f32 v34, v34, v22
	v_add_f32_e32 v99, v10, v38
	v_min3_f32 v89, v72, v71, v94
	v_min3_f32 v90, v95, v90, v91
	;; [unrolled: 1-line block ×3, first 2 shown]
	v_add_f32_e32 v71, v6, v38
	v_dual_add_f32 v38, v2, v38 :: v_dual_add_f32 v31, v31, v23
	v_add_f32_e32 v18, v18, v22
	v_add_f32_e32 v72, v30, v22
	v_dual_add_f32 v92, v27, v23 :: v_dual_add_f32 v93, v26, v22
	v_min3_f32 v30, v34, v35, v137
	v_dual_add_f32 v19, v19, v23 :: v_dual_add_f32 v14, v14, v22
	v_dual_add_f32 v15, v15, v23 :: v_dual_add_f32 v10, v10, v22
	;; [unrolled: 1-line block ×4, first 2 shown]
	v_add_f32_e32 v23, v3, v23
	v_min3_f32 v21, v99, v98, v128
	v_min3_f32 v26, v71, v70, v129
	;; [unrolled: 1-line block ×10, first 2 shown]
	s_and_b32 vcc_lo, exec_lo, s3
	s_cbranch_vccz .LBB3_24
; %bb.39:                               ;   in Loop: Header=BB3_26 Depth=1
	v_mov_b32_e32 v0, 0
	s_branch .LBB3_25
.LBB3_40:
	scratch_load_b32 v200, off, off offset:24 ; 4-byte Folded Reload
	v_mov_b32_e32 v199, v150
.LBB3_41:
	ds_load_b128 v[32:35], v73 offset:4096
	ds_load_b128 v[60:63], v201 offset:9216
	s_clause 0x2
	s_load_b32 s8, s[0:1], 0x70
	s_load_b32 s3, s[0:1], 0x58
	s_load_b64 s[0:1], s[0:1], 0x78
	v_add_nc_u32_e32 v111, s17, v199
	s_waitcnt vmcnt(0) lgkmcnt(0)
	v_dual_add_f32 v9, v34, v62 :: v_dual_add_nc_u32 v76, s16, v200
	v_add_f32_e32 v6, v33, v61
	s_delay_alu instid0(VALU_DEP_3) | instskip(SKIP_4) | instid1(VALU_DEP_4)
	v_mad_i64_i32 v[2:3], null, v111, s8, 0
	v_mad_i64_i32 v[4:5], null, v111, s3, 0
	v_dual_add_f32 v7, v32, v60 :: v_dual_add_f32 v8, v35, v63
	s_lshl_b64 s[0:1], s[0:1], 2
	v_ashrrev_i32_e32 v77, 31, v76
	v_lshlrev_b64 v[2:3], 2, v[2:3]
	s_delay_alu instid0(VALU_DEP_3)
	v_min3_f32 v6, v7, v6, v148
	v_lshlrev_b64 v[4:5], 2, v[4:5]
	s_add_u32 s0, s6, s0
	v_add_nc_u32_e32 v0, 32, v76
	s_addc_u32 s1, s7, s1
	v_min3_f32 v6, v9, v8, v6
	v_add_co_u32 v138, vcc_lo, s0, v2
	v_add_co_ci_u32_e32 v139, vcc_lo, s1, v3, vcc_lo
	v_add_co_u32 v146, vcc_lo, s4, v4
	v_lshlrev_b64 v[66:67], 2, v[76:77]
	v_ashrrev_i32_e32 v1, 31, v0
	v_add_co_ci_u32_e32 v147, vcc_lo, s5, v5, vcc_lo
	v_max_f32_e32 v2, v6, v6
	s_mov_b32 vcc_lo, s2
	s_cbranch_vccz .LBB3_43
; %bb.42:
	v_add_co_u32 v3, vcc_lo, v138, v66
	s_delay_alu instid0(VALU_DEP_2)
	v_min_f32_e32 v5, 0, v2
	v_add_co_ci_u32_e32 v4, vcc_lo, v139, v67, vcc_lo
	s_mov_b32 s6, 0
	global_store_b32 v[3:4], v5, off
	s_branch .LBB3_44
.LBB3_43:
	s_mov_b32 s6, -1
.LBB3_44:
	ds_load_b128 v[28:31], v73 offset:4608
	ds_load_b128 v[24:27], v73 offset:5120
	v_lshlrev_b64 v[64:65], 2, v[0:1]
	s_and_not1_b32 vcc_lo, exec_lo, s6
	s_cbranch_vccnz .LBB3_46
; %bb.45:
	v_add_co_u32 v0, vcc_lo, v146, v66
	v_add_co_ci_u32_e32 v1, vcc_lo, v147, v67, vcc_lo
	flat_load_b32 v0, v[0:1]
	s_waitcnt vmcnt(0) lgkmcnt(0)
	v_mul_f32_e32 v3, s15, v0
	v_add_co_u32 v0, vcc_lo, v138, v66
	v_add_co_ci_u32_e32 v1, vcc_lo, v139, v67, vcc_lo
	s_delay_alu instid0(VALU_DEP_3)
	v_min_f32_e32 v4, v3, v2
	v_add_co_u32 v2, vcc_lo, v146, v64
	v_add_co_ci_u32_e32 v3, vcc_lo, v147, v65, vcc_lo
	global_store_b32 v[0:1], v4, off
	flat_load_b32 v0, v[2:3]
	s_waitcnt vmcnt(0) lgkmcnt(0)
	v_mul_f32_e32 v69, s15, v0
	s_branch .LBB3_47
.LBB3_46:
	v_mov_b32_e32 v69, s6
.LBB3_47:
	ds_load_b128 v[20:23], v73 offset:5632
	ds_load_b128 v[16:19], v73 offset:6144
	;; [unrolled: 1-line block ×10, first 2 shown]
	s_waitcnt lgkmcnt(10)
	v_dual_add_f32 v68, v25, v61 :: v_dual_add_f32 v73, v31, v63
	v_dual_add_f32 v70, v24, v60 :: v_dual_add_f32 v71, v29, v61
	ds_load_b128 v[36:39], v201 offset:9984
	ds_load_b128 v[4:7], v201 offset:10112
	v_dual_add_f32 v72, v28, v60 :: v_dual_add_f32 v75, v27, v63
	v_add_f32_e32 v74, v30, v62
	v_min3_f32 v68, v70, v68, v145
	v_dual_add_f32 v77, v26, v62 :: v_dual_add_nc_u32 v70, 64, v76
	s_delay_alu instid0(VALU_DEP_4) | instskip(NEXT) | instid1(VALU_DEP_4)
	v_min3_f32 v72, v72, v71, v144
	v_min_f32_e32 v73, v74, v73
	s_delay_alu instid0(VALU_DEP_3) | instskip(SKIP_2) | instid1(VALU_DEP_4)
	v_min3_f32 v75, v77, v75, v68
	v_add_nc_u32_e32 v68, 0x60, v76
	v_ashrrev_i32_e32 v71, 31, v70
	v_min3_f32 v77, v69, v73, v72
	v_add_co_u32 v73, vcc_lo, v138, v64
	v_add_co_ci_u32_e32 v74, vcc_lo, v139, v65, vcc_lo
	s_delay_alu instid0(VALU_DEP_4)
	v_lshlrev_b64 v[70:71], 2, v[70:71]
	v_ashrrev_i32_e32 v69, 31, v68
	v_max_f32_e32 v72, v75, v75
	s_mov_b32 vcc_lo, s2
	global_store_b32 v[73:74], v77, off
	s_cbranch_vccz .LBB3_50
; %bb.48:
	v_add_co_u32 v73, vcc_lo, v138, v70
	v_min_f32_e32 v75, 0, v72
	v_add_co_ci_u32_e32 v74, vcc_lo, v139, v71, vcc_lo
	s_mov_b32 s6, 0
	global_store_b32 v[73:74], v75, off
	v_lshlrev_b64 v[68:69], 2, v[68:69]
	s_cbranch_execz .LBB3_51
; %bb.49:
	v_mov_b32_e32 v73, s6
	s_branch .LBB3_52
.LBB3_50:
	s_mov_b32 s6, -1
	v_lshlrev_b64 v[68:69], 2, v[68:69]
.LBB3_51:
	v_add_co_u32 v73, vcc_lo, v146, v70
	v_add_co_ci_u32_e32 v74, vcc_lo, v147, v71, vcc_lo
	flat_load_b32 v73, v[73:74]
	s_waitcnt vmcnt(0) lgkmcnt(0)
	v_mul_f32_e32 v75, s15, v73
	v_add_co_u32 v73, vcc_lo, v138, v70
	v_add_co_ci_u32_e32 v74, vcc_lo, v139, v71, vcc_lo
	v_add_co_u32 v77, vcc_lo, v146, v68
	s_delay_alu instid0(VALU_DEP_4)
	v_min_f32_e32 v72, v75, v72
	v_add_co_ci_u32_e32 v78, vcc_lo, v147, v69, vcc_lo
	global_store_b32 v[73:74], v72, off
	flat_load_b32 v72, v[77:78]
	s_waitcnt vmcnt(0) lgkmcnt(0)
	v_mul_f32_e32 v73, s15, v72
.LBB3_52:
	s_waitcnt lgkmcnt(10)
	v_dual_add_f32 v72, v17, v61 :: v_dual_add_f32 v77, v20, v60
	v_dual_add_f32 v74, v16, v60 :: v_dual_add_f32 v75, v21, v61
	;; [unrolled: 1-line block ×3, first 2 shown]
	v_add_f32_e32 v144, v18, v62
	s_delay_alu instid0(VALU_DEP_3) | instskip(SKIP_3) | instid1(VALU_DEP_3)
	v_min3_f32 v72, v74, v72, v143
	v_add_f32_e32 v143, v19, v63
	v_min3_f32 v77, v77, v75, v142
	v_min_f32_e32 v78, v79, v78
	v_min3_f32 v142, v144, v143, v72
	v_add_nc_u32_e32 v74, 0x80, v76
	s_delay_alu instid0(VALU_DEP_3)
	v_min3_f32 v143, v73, v78, v77
	v_add_nc_u32_e32 v72, 0xa0, v76
	v_add_co_u32 v78, vcc_lo, v138, v68
	v_max_f32_e32 v77, v142, v142
	v_ashrrev_i32_e32 v75, 31, v74
	v_add_co_ci_u32_e32 v79, vcc_lo, v139, v69, vcc_lo
	v_ashrrev_i32_e32 v73, 31, v72
	s_mov_b32 vcc_lo, s2
	s_delay_alu instid0(VALU_DEP_3)
	v_lshlrev_b64 v[74:75], 2, v[74:75]
	global_store_b32 v[78:79], v143, off
	s_cbranch_vccz .LBB3_55
; %bb.53:
	v_add_co_u32 v78, vcc_lo, v138, v74
	v_min_f32_e32 v142, 0, v77
	v_add_co_ci_u32_e32 v79, vcc_lo, v139, v75, vcc_lo
	s_mov_b32 s6, 0
	global_store_b32 v[78:79], v142, off
	v_lshlrev_b64 v[72:73], 2, v[72:73]
	s_cbranch_execz .LBB3_56
; %bb.54:
	v_mov_b32_e32 v77, s6
	s_branch .LBB3_57
.LBB3_55:
	s_mov_b32 s6, -1
	v_lshlrev_b64 v[72:73], 2, v[72:73]
.LBB3_56:
	v_add_co_u32 v78, vcc_lo, v146, v74
	v_add_co_ci_u32_e32 v79, vcc_lo, v147, v75, vcc_lo
	flat_load_b32 v78, v[78:79]
	s_waitcnt vmcnt(0) lgkmcnt(0)
	v_mul_f32_e32 v142, s15, v78
	v_add_co_u32 v78, vcc_lo, v138, v74
	v_add_co_ci_u32_e32 v79, vcc_lo, v139, v75, vcc_lo
	s_delay_alu instid0(VALU_DEP_3)
	v_min_f32_e32 v77, v142, v77
	v_add_co_u32 v142, vcc_lo, v146, v72
	v_add_co_ci_u32_e32 v143, vcc_lo, v147, v73, vcc_lo
	global_store_b32 v[78:79], v77, off
	flat_load_b32 v77, v[142:143]
	s_waitcnt vmcnt(0) lgkmcnt(0)
	v_mul_f32_e32 v77, s15, v77
.LBB3_57:
	s_waitcnt lgkmcnt(8)
	v_dual_add_f32 v78, v9, v61 :: v_dual_add_f32 v79, v8, v60
	v_dual_add_f32 v142, v13, v61 :: v_dual_add_f32 v143, v12, v60
	v_add_f32_e32 v144, v15, v63
	v_dual_add_f32 v145, v11, v63 :: v_dual_add_f32 v148, v10, v62
	s_delay_alu instid0(VALU_DEP_4) | instskip(SKIP_3) | instid1(VALU_DEP_4)
	v_min3_f32 v79, v79, v78, v141
	v_dual_add_f32 v141, v14, v62 :: v_dual_add_nc_u32 v78, 0xc0, v76
	v_min3_f32 v140, v143, v142, v140
	v_add_nc_u32_e32 v76, 0xe0, v76
	v_min3_f32 v143, v148, v145, v79
	s_delay_alu instid0(VALU_DEP_4) | instskip(SKIP_1) | instid1(VALU_DEP_2)
	v_min_f32_e32 v141, v141, v144
	v_ashrrev_i32_e32 v79, 31, v78
	v_min3_f32 v144, v77, v141, v140
	s_delay_alu instid0(VALU_DEP_4) | instskip(SKIP_1) | instid1(VALU_DEP_4)
	v_max_f32_e32 v140, v143, v143
	v_add_co_u32 v141, vcc_lo, v138, v72
	v_lshlrev_b64 v[78:79], 2, v[78:79]
	v_add_co_ci_u32_e32 v142, vcc_lo, v139, v73, vcc_lo
	v_ashrrev_i32_e32 v77, 31, v76
	s_mov_b32 vcc_lo, s2
	global_store_b32 v[141:142], v144, off
	s_cbranch_vccz .LBB3_60
; %bb.58:
	v_add_co_u32 v141, vcc_lo, v138, v78
	v_min_f32_e32 v143, 0, v140
	v_add_co_ci_u32_e32 v142, vcc_lo, v139, v79, vcc_lo
	s_mov_b32 s6, 0
	global_store_b32 v[141:142], v143, off
	v_lshlrev_b64 v[76:77], 2, v[76:77]
	s_cbranch_execz .LBB3_61
; %bb.59:
	v_mov_b32_e32 v140, s6
	s_branch .LBB3_62
.LBB3_60:
	s_mov_b32 s6, -1
	v_lshlrev_b64 v[76:77], 2, v[76:77]
.LBB3_61:
	v_add_co_u32 v141, vcc_lo, v146, v78
	v_add_co_ci_u32_e32 v142, vcc_lo, v147, v79, vcc_lo
	flat_load_b32 v141, v[141:142]
	s_waitcnt vmcnt(0) lgkmcnt(0)
	v_mul_f32_e32 v143, s15, v141
	v_add_co_u32 v141, vcc_lo, v138, v78
	v_add_co_ci_u32_e32 v142, vcc_lo, v139, v79, vcc_lo
	s_delay_alu instid0(VALU_DEP_3)
	v_min_f32_e32 v140, v143, v140
	v_add_co_u32 v143, vcc_lo, v146, v76
	v_add_co_ci_u32_e32 v144, vcc_lo, v147, v77, vcc_lo
	global_store_b32 v[141:142], v140, off
	flat_load_b32 v140, v[143:144]
	s_waitcnt vmcnt(0) lgkmcnt(0)
	v_mul_f32_e32 v140, s15, v140
.LBB3_62:
	s_waitcnt lgkmcnt(6)
	v_dual_add_f32 v141, v33, v57 :: v_dual_add_f32 v142, v32, v56
	v_dual_add_f32 v61, v1, v61 :: v_dual_add_f32 v60, v0, v60
	v_add_f32_e32 v143, v34, v58
	v_add_f32_e32 v62, v2, v62
	s_delay_alu instid0(VALU_DEP_4) | instskip(SKIP_3) | instid1(VALU_DEP_3)
	v_min3_f32 v136, v142, v141, v136
	v_add_f32_e32 v142, v35, v59
	v_add_nc_u32_e32 v141, 8, v111
	v_min3_f32 v137, v60, v61, v137
	v_min3_f32 v136, v143, v142, v136
	v_add_f32_e32 v63, v3, v63
	s_delay_alu instid0(VALU_DEP_4) | instskip(NEXT) | instid1(VALU_DEP_3)
	v_mad_i64_i32 v[60:61], null, v141, s8, 0
	v_max_f32_e32 v136, v136, v136
	s_delay_alu instid0(VALU_DEP_3) | instskip(SKIP_1) | instid1(VALU_DEP_4)
	v_min_f32_e32 v144, v62, v63
	v_mad_i64_i32 v[62:63], null, v141, s3, 0
	v_lshlrev_b64 v[60:61], 2, v[60:61]
	s_delay_alu instid0(VALU_DEP_3)
	v_min3_f32 v140, v140, v144, v137
	v_add_co_u32 v137, vcc_lo, v138, v76
	v_add_co_ci_u32_e32 v138, vcc_lo, v139, v77, vcc_lo
	v_lshlrev_b64 v[62:63], 2, v[62:63]
	v_add_co_u32 v60, vcc_lo, s0, v60
	v_add_co_ci_u32_e32 v61, vcc_lo, s1, v61, vcc_lo
	global_store_b32 v[137:138], v140, off
	v_add_co_u32 v62, vcc_lo, s4, v62
	v_add_co_ci_u32_e32 v63, vcc_lo, s5, v63, vcc_lo
	s_mov_b32 vcc_lo, s2
	s_cbranch_vccz .LBB3_65
; %bb.63:
	v_add_co_u32 v137, vcc_lo, v60, v66
	v_min_f32_e32 v139, 0, v136
	v_add_co_ci_u32_e32 v138, vcc_lo, v61, v67, vcc_lo
	s_mov_b32 s6, 0
	global_store_b32 v[137:138], v139, off
	s_cbranch_execz .LBB3_66
; %bb.64:
	v_mov_b32_e32 v136, s6
	s_branch .LBB3_67
.LBB3_65:
	s_mov_b32 s6, -1
.LBB3_66:
	v_add_co_u32 v137, vcc_lo, v62, v66
	v_add_co_ci_u32_e32 v138, vcc_lo, v63, v67, vcc_lo
	flat_load_b32 v137, v[137:138]
	s_waitcnt vmcnt(0) lgkmcnt(0)
	v_mul_f32_e32 v139, s15, v137
	v_add_co_u32 v137, vcc_lo, v60, v66
	v_add_co_ci_u32_e32 v138, vcc_lo, v61, v67, vcc_lo
	s_delay_alu instid0(VALU_DEP_3)
	v_min_f32_e32 v136, v139, v136
	v_add_co_u32 v139, vcc_lo, v62, v64
	v_add_co_ci_u32_e32 v140, vcc_lo, v63, v65, vcc_lo
	global_store_b32 v[137:138], v136, off
	flat_load_b32 v136, v[139:140]
	s_waitcnt vmcnt(0) lgkmcnt(0)
	v_mul_f32_e32 v136, s15, v136
.LBB3_67:
	v_dual_add_f32 v137, v29, v57 :: v_dual_add_f32 v138, v28, v56
	v_dual_add_f32 v139, v25, v57 :: v_dual_add_f32 v140, v24, v56
	v_dual_add_f32 v141, v31, v59 :: v_dual_add_f32 v142, v30, v58
	s_delay_alu instid0(VALU_DEP_3) | instskip(SKIP_1) | instid1(VALU_DEP_4)
	v_min3_f32 v134, v138, v137, v134
	v_dual_add_f32 v137, v27, v59 :: v_dual_add_f32 v138, v26, v58
	v_min3_f32 v135, v140, v139, v135
	s_delay_alu instid0(VALU_DEP_4) | instskip(NEXT) | instid1(VALU_DEP_2)
	v_min_f32_e32 v139, v142, v141
	v_min3_f32 v137, v138, v137, v135
	v_add_co_u32 v135, vcc_lo, v60, v64
	s_delay_alu instid0(VALU_DEP_3) | instskip(SKIP_1) | instid1(VALU_DEP_4)
	v_min3_f32 v138, v136, v139, v134
	v_add_co_ci_u32_e32 v136, vcc_lo, v61, v65, vcc_lo
	v_max_f32_e32 v134, v137, v137
	s_mov_b32 vcc_lo, s2
	global_store_b32 v[135:136], v138, off
	s_cbranch_vccz .LBB3_70
; %bb.68:
	v_add_co_u32 v135, vcc_lo, v60, v70
	v_min_f32_e32 v137, 0, v134
	v_add_co_ci_u32_e32 v136, vcc_lo, v61, v71, vcc_lo
	s_mov_b32 s6, 0
	global_store_b32 v[135:136], v137, off
	s_cbranch_execz .LBB3_71
; %bb.69:
	v_mov_b32_e32 v134, s6
	s_branch .LBB3_72
.LBB3_70:
	s_mov_b32 s6, -1
.LBB3_71:
	v_add_co_u32 v135, vcc_lo, v62, v70
	v_add_co_ci_u32_e32 v136, vcc_lo, v63, v71, vcc_lo
	flat_load_b32 v135, v[135:136]
	s_waitcnt vmcnt(0) lgkmcnt(0)
	v_mul_f32_e32 v137, s15, v135
	v_add_co_u32 v135, vcc_lo, v60, v70
	v_add_co_ci_u32_e32 v136, vcc_lo, v61, v71, vcc_lo
	s_delay_alu instid0(VALU_DEP_3)
	v_min_f32_e32 v134, v137, v134
	v_add_co_u32 v137, vcc_lo, v62, v68
	v_add_co_ci_u32_e32 v138, vcc_lo, v63, v69, vcc_lo
	global_store_b32 v[135:136], v134, off
	flat_load_b32 v134, v[137:138]
	s_waitcnt vmcnt(0) lgkmcnt(0)
	v_mul_f32_e32 v134, s15, v134
.LBB3_72:
	v_dual_add_f32 v135, v21, v57 :: v_dual_add_f32 v136, v20, v56
	v_dual_add_f32 v137, v17, v57 :: v_dual_add_f32 v138, v16, v56
	v_dual_add_f32 v139, v23, v59 :: v_dual_add_f32 v140, v22, v58
	s_delay_alu instid0(VALU_DEP_3) | instskip(SKIP_1) | instid1(VALU_DEP_4)
	v_min3_f32 v132, v136, v135, v132
	v_dual_add_f32 v135, v19, v59 :: v_dual_add_f32 v136, v18, v58
	v_min3_f32 v133, v138, v137, v133
	s_delay_alu instid0(VALU_DEP_4) | instskip(NEXT) | instid1(VALU_DEP_2)
	v_min_f32_e32 v137, v140, v139
	v_min3_f32 v135, v136, v135, v133
	v_add_co_u32 v133, vcc_lo, v60, v68
	s_delay_alu instid0(VALU_DEP_3) | instskip(SKIP_1) | instid1(VALU_DEP_4)
	v_min3_f32 v136, v134, v137, v132
	v_add_co_ci_u32_e32 v134, vcc_lo, v61, v69, vcc_lo
	v_max_f32_e32 v132, v135, v135
	s_mov_b32 vcc_lo, s2
	global_store_b32 v[133:134], v136, off
	;; [unrolled: 47-line block ×3, first 2 shown]
	s_cbranch_vccz .LBB3_80
; %bb.78:
	v_add_co_u32 v131, vcc_lo, v60, v78
	v_min_f32_e32 v133, 0, v130
	v_add_co_ci_u32_e32 v132, vcc_lo, v61, v79, vcc_lo
	s_mov_b32 s6, 0
	global_store_b32 v[131:132], v133, off
	s_cbranch_execz .LBB3_81
; %bb.79:
	v_mov_b32_e32 v62, s6
	s_branch .LBB3_82
.LBB3_80:
	s_mov_b32 s6, -1
.LBB3_81:
	v_add_co_u32 v131, vcc_lo, v62, v78
	v_add_co_ci_u32_e32 v132, vcc_lo, v63, v79, vcc_lo
	flat_load_b32 v131, v[131:132]
	s_waitcnt vmcnt(0) lgkmcnt(0)
	v_mul_f32_e32 v133, s15, v131
	v_add_co_u32 v131, vcc_lo, v60, v78
	v_add_co_ci_u32_e32 v132, vcc_lo, v61, v79, vcc_lo
	v_add_co_u32 v62, vcc_lo, v62, v76
	s_delay_alu instid0(VALU_DEP_4)
	v_min_f32_e32 v130, v133, v130
	v_add_co_ci_u32_e32 v63, vcc_lo, v63, v77, vcc_lo
	global_store_b32 v[131:132], v130, off
	flat_load_b32 v62, v[62:63]
	s_waitcnt vmcnt(0) lgkmcnt(0)
	v_mul_f32_e32 v62, s15, v62
.LBB3_82:
	s_waitcnt lgkmcnt(5)
	v_dual_add_f32 v63, v33, v53 :: v_dual_add_f32 v130, v32, v52
	v_dual_add_f32 v57, v1, v57 :: v_dual_add_f32 v56, v0, v56
	;; [unrolled: 1-line block ×3, first 2 shown]
	s_delay_alu instid0(VALU_DEP_3) | instskip(SKIP_1) | instid1(VALU_DEP_4)
	v_min3_f32 v63, v130, v63, v129
	v_add_nc_u32_e32 v129, 16, v111
	v_min3_f32 v128, v56, v57, v128
	v_dual_add_f32 v130, v35, v55 :: v_dual_add_f32 v131, v34, v54
	v_min_f32_e32 v132, v58, v59
	s_delay_alu instid0(VALU_DEP_4) | instskip(SKIP_1) | instid1(VALU_DEP_3)
	v_mad_i64_i32 v[56:57], null, v129, s8, 0
	v_mad_i64_i32 v[58:59], null, v129, s3, 0
	v_min3_f32 v128, v62, v132, v128
	v_add_co_u32 v62, vcc_lo, v60, v76
	v_min3_f32 v129, v131, v130, v63
	v_lshlrev_b64 v[56:57], 2, v[56:57]
	v_add_co_ci_u32_e32 v63, vcc_lo, v61, v77, vcc_lo
	v_lshlrev_b64 v[58:59], 2, v[58:59]
	s_delay_alu instid0(VALU_DEP_4) | instskip(NEXT) | instid1(VALU_DEP_4)
	v_max_f32_e32 v60, v129, v129
	v_add_co_u32 v56, vcc_lo, s0, v56
	v_add_co_ci_u32_e32 v57, vcc_lo, s1, v57, vcc_lo
	s_delay_alu instid0(VALU_DEP_4)
	v_add_co_u32 v58, vcc_lo, s4, v58
	v_add_co_ci_u32_e32 v59, vcc_lo, s5, v59, vcc_lo
	s_mov_b32 vcc_lo, s2
	global_store_b32 v[62:63], v128, off
	s_cbranch_vccz .LBB3_85
; %bb.83:
	v_add_co_u32 v61, vcc_lo, v56, v66
	v_min_f32_e32 v63, 0, v60
	v_add_co_ci_u32_e32 v62, vcc_lo, v57, v67, vcc_lo
	s_mov_b32 s6, 0
	global_store_b32 v[61:62], v63, off
	s_cbranch_execz .LBB3_86
; %bb.84:
	v_mov_b32_e32 v60, s6
	s_branch .LBB3_87
.LBB3_85:
	s_mov_b32 s6, -1
.LBB3_86:
	v_add_co_u32 v61, vcc_lo, v58, v66
	v_add_co_ci_u32_e32 v62, vcc_lo, v59, v67, vcc_lo
	flat_load_b32 v61, v[61:62]
	s_waitcnt vmcnt(0) lgkmcnt(0)
	v_mul_f32_e32 v63, s15, v61
	v_add_co_u32 v61, vcc_lo, v56, v66
	v_add_co_ci_u32_e32 v62, vcc_lo, v57, v67, vcc_lo
	v_add_co_u32 v128, vcc_lo, v58, v64
	s_delay_alu instid0(VALU_DEP_4)
	v_min_f32_e32 v60, v63, v60
	v_add_co_ci_u32_e32 v129, vcc_lo, v59, v65, vcc_lo
	global_store_b32 v[61:62], v60, off
	flat_load_b32 v60, v[128:129]
	s_waitcnt vmcnt(0) lgkmcnt(0)
	v_mul_f32_e32 v60, s15, v60
.LBB3_87:
	v_dual_add_f32 v61, v29, v53 :: v_dual_add_f32 v62, v28, v52
	v_dual_add_f32 v63, v25, v53 :: v_dual_add_f32 v128, v24, v52
	;; [unrolled: 1-line block ×3, first 2 shown]
	s_delay_alu instid0(VALU_DEP_3) | instskip(NEXT) | instid1(VALU_DEP_3)
	v_min3_f32 v61, v62, v61, v127
	v_min3_f32 v62, v128, v63, v126
	v_dual_add_f32 v63, v27, v55 :: v_dual_add_f32 v126, v26, v54
	s_delay_alu instid0(VALU_DEP_1) | instskip(SKIP_1) | instid1(VALU_DEP_1)
	v_min3_f32 v63, v126, v63, v62
	v_min_f32_e32 v127, v130, v129
	v_min3_f32 v126, v60, v127, v61
	s_delay_alu instid0(VALU_DEP_3)
	v_max_f32_e32 v60, v63, v63
	v_add_co_u32 v61, vcc_lo, v56, v64
	v_add_co_ci_u32_e32 v62, vcc_lo, v57, v65, vcc_lo
	s_mov_b32 vcc_lo, s2
	global_store_b32 v[61:62], v126, off
	s_cbranch_vccz .LBB3_90
; %bb.88:
	v_add_co_u32 v61, vcc_lo, v56, v70
	v_min_f32_e32 v63, 0, v60
	v_add_co_ci_u32_e32 v62, vcc_lo, v57, v71, vcc_lo
	s_mov_b32 s6, 0
	global_store_b32 v[61:62], v63, off
	s_cbranch_execz .LBB3_91
; %bb.89:
	v_mov_b32_e32 v60, s6
	s_branch .LBB3_92
.LBB3_90:
	s_mov_b32 s6, -1
.LBB3_91:
	v_add_co_u32 v61, vcc_lo, v58, v70
	v_add_co_ci_u32_e32 v62, vcc_lo, v59, v71, vcc_lo
	flat_load_b32 v61, v[61:62]
	s_waitcnt vmcnt(0) lgkmcnt(0)
	v_mul_f32_e32 v63, s15, v61
	v_add_co_u32 v61, vcc_lo, v56, v70
	v_add_co_ci_u32_e32 v62, vcc_lo, v57, v71, vcc_lo
	v_add_co_u32 v126, vcc_lo, v58, v68
	s_delay_alu instid0(VALU_DEP_4)
	v_min_f32_e32 v60, v63, v60
	v_add_co_ci_u32_e32 v127, vcc_lo, v59, v69, vcc_lo
	global_store_b32 v[61:62], v60, off
	flat_load_b32 v60, v[126:127]
	s_waitcnt vmcnt(0) lgkmcnt(0)
	v_mul_f32_e32 v60, s15, v60
.LBB3_92:
	v_dual_add_f32 v61, v21, v53 :: v_dual_add_f32 v62, v20, v52
	v_dual_add_f32 v63, v17, v53 :: v_dual_add_f32 v126, v16, v52
	v_dual_add_f32 v127, v23, v55 :: v_dual_add_f32 v128, v22, v54
	s_delay_alu instid0(VALU_DEP_3) | instskip(SKIP_1) | instid1(VALU_DEP_4)
	v_min3_f32 v61, v62, v61, v124
	v_add_f32_e32 v124, v18, v54
	v_min3_f32 v62, v126, v63, v125
	v_add_f32_e32 v63, v19, v55
	v_min_f32_e32 v125, v128, v127
	s_delay_alu instid0(VALU_DEP_2) | instskip(NEXT) | instid1(VALU_DEP_2)
	v_min3_f32 v63, v124, v63, v62
	v_min3_f32 v124, v60, v125, v61
	v_add_co_u32 v61, vcc_lo, v56, v68
	v_add_co_ci_u32_e32 v62, vcc_lo, v57, v69, vcc_lo
	s_delay_alu instid0(VALU_DEP_4)
	v_max_f32_e32 v60, v63, v63
	s_mov_b32 vcc_lo, s2
	global_store_b32 v[61:62], v124, off
	s_cbranch_vccz .LBB3_95
; %bb.93:
	v_add_co_u32 v61, vcc_lo, v56, v74
	v_min_f32_e32 v63, 0, v60
	v_add_co_ci_u32_e32 v62, vcc_lo, v57, v75, vcc_lo
	s_mov_b32 s6, 0
	global_store_b32 v[61:62], v63, off
	s_cbranch_execz .LBB3_96
; %bb.94:
	v_mov_b32_e32 v60, s6
	s_branch .LBB3_97
.LBB3_95:
	s_mov_b32 s6, -1
.LBB3_96:
	v_add_co_u32 v61, vcc_lo, v58, v74
	v_add_co_ci_u32_e32 v62, vcc_lo, v59, v75, vcc_lo
	flat_load_b32 v61, v[61:62]
	s_waitcnt vmcnt(0) lgkmcnt(0)
	v_mul_f32_e32 v63, s15, v61
	v_add_co_u32 v61, vcc_lo, v56, v74
	v_add_co_ci_u32_e32 v62, vcc_lo, v57, v75, vcc_lo
	v_add_co_u32 v124, vcc_lo, v58, v72
	s_delay_alu instid0(VALU_DEP_4)
	v_min_f32_e32 v60, v63, v60
	v_add_co_ci_u32_e32 v125, vcc_lo, v59, v73, vcc_lo
	global_store_b32 v[61:62], v60, off
	flat_load_b32 v60, v[124:125]
	s_waitcnt vmcnt(0) lgkmcnt(0)
	v_mul_f32_e32 v60, s15, v60
.LBB3_97:
	v_dual_add_f32 v61, v13, v53 :: v_dual_add_f32 v62, v12, v52
	v_dual_add_f32 v63, v9, v53 :: v_dual_add_f32 v124, v8, v52
	;; [unrolled: 1-line block ×3, first 2 shown]
	s_delay_alu instid0(VALU_DEP_3) | instskip(SKIP_1) | instid1(VALU_DEP_4)
	v_min3_f32 v61, v62, v61, v122
	v_add_f32_e32 v122, v10, v54
	v_min3_f32 v62, v124, v63, v123
	v_add_f32_e32 v63, v11, v55
	s_delay_alu instid0(VALU_DEP_1) | instskip(SKIP_1) | instid1(VALU_DEP_1)
	v_min3_f32 v63, v122, v63, v62
	v_min_f32_e32 v123, v126, v125
	v_min3_f32 v122, v60, v123, v61
	s_delay_alu instid0(VALU_DEP_3)
	v_max_f32_e32 v60, v63, v63
	v_add_co_u32 v61, vcc_lo, v56, v72
	v_add_co_ci_u32_e32 v62, vcc_lo, v57, v73, vcc_lo
	s_mov_b32 vcc_lo, s2
	global_store_b32 v[61:62], v122, off
	s_cbranch_vccz .LBB3_100
; %bb.98:
	v_add_co_u32 v61, vcc_lo, v56, v78
	v_min_f32_e32 v63, 0, v60
	v_add_co_ci_u32_e32 v62, vcc_lo, v57, v79, vcc_lo
	s_mov_b32 s6, 0
	global_store_b32 v[61:62], v63, off
	s_cbranch_execz .LBB3_101
; %bb.99:
	v_mov_b32_e32 v58, s6
	s_branch .LBB3_102
.LBB3_100:
	s_mov_b32 s6, -1
.LBB3_101:
	v_add_co_u32 v61, vcc_lo, v58, v78
	v_add_co_ci_u32_e32 v62, vcc_lo, v59, v79, vcc_lo
	flat_load_b32 v61, v[61:62]
	s_waitcnt vmcnt(0) lgkmcnt(0)
	v_mul_f32_e32 v63, s15, v61
	v_add_co_u32 v61, vcc_lo, v56, v78
	v_add_co_ci_u32_e32 v62, vcc_lo, v57, v79, vcc_lo
	v_add_co_u32 v58, vcc_lo, v58, v76
	s_delay_alu instid0(VALU_DEP_4)
	v_min_f32_e32 v60, v63, v60
	v_add_co_ci_u32_e32 v59, vcc_lo, v59, v77, vcc_lo
	global_store_b32 v[61:62], v60, off
	flat_load_b32 v58, v[58:59]
	s_waitcnt vmcnt(0) lgkmcnt(0)
	v_mul_f32_e32 v58, s15, v58
.LBB3_102:
	s_waitcnt lgkmcnt(4)
	v_dual_add_f32 v59, v33, v49 :: v_dual_add_f32 v60, v32, v48
	v_dual_add_f32 v53, v1, v53 :: v_dual_add_f32 v52, v0, v52
	v_dual_add_f32 v55, v3, v55 :: v_dual_add_f32 v54, v2, v54
	s_delay_alu instid0(VALU_DEP_3) | instskip(SKIP_1) | instid1(VALU_DEP_4)
	v_min3_f32 v59, v60, v59, v121
	v_dual_add_f32 v63, v34, v50 :: v_dual_add_nc_u32 v60, 24, v111
	v_min3_f32 v61, v52, v53, v120
	s_delay_alu instid0(VALU_DEP_4) | instskip(SKIP_1) | instid1(VALU_DEP_4)
	v_min_f32_e32 v120, v54, v55
	v_add_f32_e32 v62, v35, v51
	v_mad_i64_i32 v[52:53], null, v60, s8, 0
	v_mad_i64_i32 v[54:55], null, v60, s3, 0
	s_delay_alu instid0(VALU_DEP_4)
	v_min3_f32 v61, v58, v120, v61
	v_add_co_u32 v58, vcc_lo, v56, v76
	v_min3_f32 v60, v63, v62, v59
	v_lshlrev_b64 v[52:53], 2, v[52:53]
	v_add_co_ci_u32_e32 v59, vcc_lo, v57, v77, vcc_lo
	v_lshlrev_b64 v[54:55], 2, v[54:55]
	s_delay_alu instid0(VALU_DEP_4) | instskip(NEXT) | instid1(VALU_DEP_4)
	v_max_f32_e32 v56, v60, v60
	v_add_co_u32 v52, vcc_lo, s0, v52
	v_add_co_ci_u32_e32 v53, vcc_lo, s1, v53, vcc_lo
	s_delay_alu instid0(VALU_DEP_4)
	v_add_co_u32 v54, vcc_lo, s4, v54
	v_add_co_ci_u32_e32 v55, vcc_lo, s5, v55, vcc_lo
	s_mov_b32 vcc_lo, s2
	global_store_b32 v[58:59], v61, off
	s_cbranch_vccz .LBB3_105
; %bb.103:
	v_add_co_u32 v57, vcc_lo, v52, v66
	v_min_f32_e32 v59, 0, v56
	v_add_co_ci_u32_e32 v58, vcc_lo, v53, v67, vcc_lo
	s_mov_b32 s6, 0
	global_store_b32 v[57:58], v59, off
	s_cbranch_execz .LBB3_106
; %bb.104:
	v_mov_b32_e32 v56, s6
	s_branch .LBB3_107
.LBB3_105:
	s_mov_b32 s6, -1
.LBB3_106:
	v_add_co_u32 v57, vcc_lo, v54, v66
	v_add_co_ci_u32_e32 v58, vcc_lo, v55, v67, vcc_lo
	flat_load_b32 v57, v[57:58]
	s_waitcnt vmcnt(0) lgkmcnt(0)
	v_mul_f32_e32 v59, s15, v57
	v_add_co_u32 v57, vcc_lo, v52, v66
	v_add_co_ci_u32_e32 v58, vcc_lo, v53, v67, vcc_lo
	s_delay_alu instid0(VALU_DEP_3)
	v_min_f32_e32 v56, v59, v56
	v_add_co_u32 v59, vcc_lo, v54, v64
	v_add_co_ci_u32_e32 v60, vcc_lo, v55, v65, vcc_lo
	global_store_b32 v[57:58], v56, off
	flat_load_b32 v56, v[59:60]
	s_waitcnt vmcnt(0) lgkmcnt(0)
	v_mul_f32_e32 v56, s15, v56
.LBB3_107:
	v_dual_add_f32 v57, v29, v49 :: v_dual_add_f32 v58, v28, v48
	v_dual_add_f32 v59, v25, v49 :: v_dual_add_f32 v60, v24, v48
	v_dual_add_f32 v61, v31, v51 :: v_dual_add_f32 v62, v30, v50
	s_delay_alu instid0(VALU_DEP_3) | instskip(NEXT) | instid1(VALU_DEP_3)
	v_min3_f32 v57, v58, v57, v118
	v_min3_f32 v58, v60, v59, v119
	v_dual_add_f32 v59, v27, v51 :: v_dual_add_f32 v60, v26, v50
	s_delay_alu instid0(VALU_DEP_1) | instskip(SKIP_1) | instid1(VALU_DEP_1)
	v_min3_f32 v59, v60, v59, v58
	v_min_f32_e32 v61, v62, v61
	v_min3_f32 v60, v56, v61, v57
	s_delay_alu instid0(VALU_DEP_3)
	v_max_f32_e32 v56, v59, v59
	v_add_co_u32 v57, vcc_lo, v52, v64
	v_add_co_ci_u32_e32 v58, vcc_lo, v53, v65, vcc_lo
	s_mov_b32 vcc_lo, s2
	global_store_b32 v[57:58], v60, off
	s_cbranch_vccz .LBB3_110
; %bb.108:
	v_add_co_u32 v57, vcc_lo, v52, v70
	v_min_f32_e32 v59, 0, v56
	v_add_co_ci_u32_e32 v58, vcc_lo, v53, v71, vcc_lo
	s_mov_b32 s6, 0
	global_store_b32 v[57:58], v59, off
	s_cbranch_execz .LBB3_111
; %bb.109:
	v_mov_b32_e32 v56, s6
	s_branch .LBB3_112
.LBB3_110:
	s_mov_b32 s6, -1
.LBB3_111:
	v_add_co_u32 v57, vcc_lo, v54, v70
	v_add_co_ci_u32_e32 v58, vcc_lo, v55, v71, vcc_lo
	flat_load_b32 v57, v[57:58]
	s_waitcnt vmcnt(0) lgkmcnt(0)
	v_mul_f32_e32 v59, s15, v57
	v_add_co_u32 v57, vcc_lo, v52, v70
	v_add_co_ci_u32_e32 v58, vcc_lo, v53, v71, vcc_lo
	s_delay_alu instid0(VALU_DEP_3)
	v_min_f32_e32 v56, v59, v56
	v_add_co_u32 v59, vcc_lo, v54, v68
	v_add_co_ci_u32_e32 v60, vcc_lo, v55, v69, vcc_lo
	global_store_b32 v[57:58], v56, off
	flat_load_b32 v56, v[59:60]
	s_waitcnt vmcnt(0) lgkmcnt(0)
	v_mul_f32_e32 v56, s15, v56
.LBB3_112:
	v_dual_add_f32 v57, v21, v49 :: v_dual_add_f32 v58, v20, v48
	v_dual_add_f32 v59, v17, v49 :: v_dual_add_f32 v60, v16, v48
	v_dual_add_f32 v61, v23, v51 :: v_dual_add_f32 v62, v22, v50
	s_delay_alu instid0(VALU_DEP_3) | instskip(NEXT) | instid1(VALU_DEP_3)
	v_min3_f32 v57, v58, v57, v117
	v_min3_f32 v58, v60, v59, v116
	v_dual_add_f32 v59, v19, v51 :: v_dual_add_f32 v60, v18, v50
	s_delay_alu instid0(VALU_DEP_1) | instskip(SKIP_1) | instid1(VALU_DEP_1)
	v_min3_f32 v59, v60, v59, v58
	v_min_f32_e32 v61, v62, v61
	v_min3_f32 v60, v56, v61, v57
	s_delay_alu instid0(VALU_DEP_3)
	v_max_f32_e32 v56, v59, v59
	v_add_co_u32 v57, vcc_lo, v52, v68
	v_add_co_ci_u32_e32 v58, vcc_lo, v53, v69, vcc_lo
	s_mov_b32 vcc_lo, s2
	global_store_b32 v[57:58], v60, off
	s_cbranch_vccz .LBB3_115
; %bb.113:
	v_add_co_u32 v57, vcc_lo, v52, v74
	v_min_f32_e32 v59, 0, v56
	v_add_co_ci_u32_e32 v58, vcc_lo, v53, v75, vcc_lo
	s_mov_b32 s6, 0
	global_store_b32 v[57:58], v59, off
	s_cbranch_execz .LBB3_116
; %bb.114:
	v_mov_b32_e32 v56, s6
	s_branch .LBB3_117
.LBB3_115:
	s_mov_b32 s6, -1
.LBB3_116:
	v_add_co_u32 v57, vcc_lo, v54, v74
	v_add_co_ci_u32_e32 v58, vcc_lo, v55, v75, vcc_lo
	flat_load_b32 v57, v[57:58]
	s_waitcnt vmcnt(0) lgkmcnt(0)
	v_mul_f32_e32 v59, s15, v57
	v_add_co_u32 v57, vcc_lo, v52, v74
	v_add_co_ci_u32_e32 v58, vcc_lo, v53, v75, vcc_lo
	s_delay_alu instid0(VALU_DEP_3)
	v_min_f32_e32 v56, v59, v56
	v_add_co_u32 v59, vcc_lo, v54, v72
	v_add_co_ci_u32_e32 v60, vcc_lo, v55, v73, vcc_lo
	global_store_b32 v[57:58], v56, off
	flat_load_b32 v56, v[59:60]
	s_waitcnt vmcnt(0) lgkmcnt(0)
	v_mul_f32_e32 v56, s15, v56
.LBB3_117:
	v_dual_add_f32 v57, v13, v49 :: v_dual_add_f32 v58, v12, v48
	v_dual_add_f32 v59, v9, v49 :: v_dual_add_f32 v60, v8, v48
	v_dual_add_f32 v61, v15, v51 :: v_dual_add_f32 v62, v14, v50
	s_delay_alu instid0(VALU_DEP_3) | instskip(NEXT) | instid1(VALU_DEP_3)
	v_min3_f32 v57, v58, v57, v114
	v_min3_f32 v58, v60, v59, v115
	v_dual_add_f32 v59, v11, v51 :: v_dual_add_f32 v60, v10, v50
	s_delay_alu instid0(VALU_DEP_1) | instskip(SKIP_1) | instid1(VALU_DEP_1)
	v_min3_f32 v59, v60, v59, v58
	v_min_f32_e32 v61, v62, v61
	v_min3_f32 v60, v56, v61, v57
	s_delay_alu instid0(VALU_DEP_3)
	v_max_f32_e32 v56, v59, v59
	v_add_co_u32 v57, vcc_lo, v52, v72
	v_add_co_ci_u32_e32 v58, vcc_lo, v53, v73, vcc_lo
	s_mov_b32 vcc_lo, s2
	global_store_b32 v[57:58], v60, off
	s_cbranch_vccz .LBB3_120
; %bb.118:
	v_add_co_u32 v57, vcc_lo, v52, v78
	v_min_f32_e32 v59, 0, v56
	v_add_co_ci_u32_e32 v58, vcc_lo, v53, v79, vcc_lo
	s_mov_b32 s6, 0
	global_store_b32 v[57:58], v59, off
	s_cbranch_execz .LBB3_121
; %bb.119:
	v_mov_b32_e32 v54, s6
	s_branch .LBB3_122
.LBB3_120:
	s_mov_b32 s6, -1
.LBB3_121:
	v_add_co_u32 v57, vcc_lo, v54, v78
	v_add_co_ci_u32_e32 v58, vcc_lo, v55, v79, vcc_lo
	flat_load_b32 v57, v[57:58]
	s_waitcnt vmcnt(0) lgkmcnt(0)
	v_mul_f32_e32 v59, s15, v57
	v_add_co_u32 v57, vcc_lo, v52, v78
	v_add_co_ci_u32_e32 v58, vcc_lo, v53, v79, vcc_lo
	v_add_co_u32 v54, vcc_lo, v54, v76
	s_delay_alu instid0(VALU_DEP_4)
	v_min_f32_e32 v56, v59, v56
	v_add_co_ci_u32_e32 v55, vcc_lo, v55, v77, vcc_lo
	global_store_b32 v[57:58], v56, off
	flat_load_b32 v54, v[54:55]
	s_waitcnt vmcnt(0) lgkmcnt(0)
	v_mul_f32_e32 v54, s15, v54
.LBB3_122:
	s_waitcnt lgkmcnt(3)
	v_dual_add_f32 v55, v33, v45 :: v_dual_add_f32 v56, v32, v44
	v_dual_add_f32 v49, v1, v49 :: v_dual_add_f32 v48, v0, v48
	;; [unrolled: 1-line block ×3, first 2 shown]
	s_delay_alu instid0(VALU_DEP_3) | instskip(SKIP_1) | instid1(VALU_DEP_4)
	v_min3_f32 v55, v56, v55, v113
	v_dual_add_f32 v59, v34, v46 :: v_dual_add_nc_u32 v56, 32, v111
	v_min3_f32 v57, v48, v49, v112
	s_delay_alu instid0(VALU_DEP_4) | instskip(SKIP_1) | instid1(VALU_DEP_4)
	v_min_f32_e32 v60, v50, v51
	v_add_f32_e32 v58, v35, v47
	v_mad_i64_i32 v[48:49], null, v56, s8, 0
	v_mad_i64_i32 v[50:51], null, v56, s3, 0
	s_delay_alu instid0(VALU_DEP_4)
	v_min3_f32 v57, v54, v60, v57
	v_add_co_u32 v54, vcc_lo, v52, v76
	v_min3_f32 v56, v59, v58, v55
	v_lshlrev_b64 v[48:49], 2, v[48:49]
	v_add_co_ci_u32_e32 v55, vcc_lo, v53, v77, vcc_lo
	v_lshlrev_b64 v[50:51], 2, v[50:51]
	s_delay_alu instid0(VALU_DEP_4) | instskip(NEXT) | instid1(VALU_DEP_4)
	v_max_f32_e32 v52, v56, v56
	v_add_co_u32 v48, vcc_lo, s0, v48
	v_add_co_ci_u32_e32 v49, vcc_lo, s1, v49, vcc_lo
	s_delay_alu instid0(VALU_DEP_4)
	v_add_co_u32 v50, vcc_lo, s4, v50
	v_add_co_ci_u32_e32 v51, vcc_lo, s5, v51, vcc_lo
	s_mov_b32 vcc_lo, s2
	global_store_b32 v[54:55], v57, off
	s_cbranch_vccz .LBB3_125
; %bb.123:
	v_add_co_u32 v53, vcc_lo, v48, v66
	v_min_f32_e32 v55, 0, v52
	v_add_co_ci_u32_e32 v54, vcc_lo, v49, v67, vcc_lo
	s_mov_b32 s6, 0
	global_store_b32 v[53:54], v55, off
	s_cbranch_execz .LBB3_126
; %bb.124:
	v_mov_b32_e32 v52, s6
	s_branch .LBB3_127
.LBB3_125:
	s_mov_b32 s6, -1
.LBB3_126:
	v_add_co_u32 v53, vcc_lo, v50, v66
	v_add_co_ci_u32_e32 v54, vcc_lo, v51, v67, vcc_lo
	flat_load_b32 v53, v[53:54]
	s_waitcnt vmcnt(0) lgkmcnt(0)
	v_mul_f32_e32 v55, s15, v53
	v_add_co_u32 v53, vcc_lo, v48, v66
	v_add_co_ci_u32_e32 v54, vcc_lo, v49, v67, vcc_lo
	s_delay_alu instid0(VALU_DEP_3)
	v_min_f32_e32 v52, v55, v52
	v_add_co_u32 v55, vcc_lo, v50, v64
	v_add_co_ci_u32_e32 v56, vcc_lo, v51, v65, vcc_lo
	global_store_b32 v[53:54], v52, off
	flat_load_b32 v52, v[55:56]
	s_waitcnt vmcnt(0) lgkmcnt(0)
	v_mul_f32_e32 v52, s15, v52
.LBB3_127:
	v_dual_add_f32 v53, v29, v45 :: v_dual_add_f32 v54, v28, v44
	v_dual_add_f32 v55, v25, v45 :: v_dual_add_f32 v56, v24, v44
	v_dual_add_f32 v57, v31, v47 :: v_dual_add_f32 v58, v30, v46
	s_delay_alu instid0(VALU_DEP_3) | instskip(NEXT) | instid1(VALU_DEP_3)
	v_min3_f32 v53, v54, v53, v109
	v_min3_f32 v54, v56, v55, v110
	v_dual_add_f32 v55, v27, v47 :: v_dual_add_f32 v56, v26, v46
	s_delay_alu instid0(VALU_DEP_1) | instskip(SKIP_1) | instid1(VALU_DEP_1)
	v_min3_f32 v55, v56, v55, v54
	v_min_f32_e32 v57, v58, v57
	v_min3_f32 v56, v52, v57, v53
	s_delay_alu instid0(VALU_DEP_3)
	v_max_f32_e32 v52, v55, v55
	v_add_co_u32 v53, vcc_lo, v48, v64
	v_add_co_ci_u32_e32 v54, vcc_lo, v49, v65, vcc_lo
	s_mov_b32 vcc_lo, s2
	global_store_b32 v[53:54], v56, off
	s_cbranch_vccz .LBB3_130
; %bb.128:
	v_add_co_u32 v53, vcc_lo, v48, v70
	v_min_f32_e32 v55, 0, v52
	v_add_co_ci_u32_e32 v54, vcc_lo, v49, v71, vcc_lo
	s_mov_b32 s6, 0
	global_store_b32 v[53:54], v55, off
	s_cbranch_execz .LBB3_131
; %bb.129:
	v_mov_b32_e32 v52, s6
	s_branch .LBB3_132
.LBB3_130:
	s_mov_b32 s6, -1
.LBB3_131:
	v_add_co_u32 v53, vcc_lo, v50, v70
	v_add_co_ci_u32_e32 v54, vcc_lo, v51, v71, vcc_lo
	flat_load_b32 v53, v[53:54]
	s_waitcnt vmcnt(0) lgkmcnt(0)
	v_mul_f32_e32 v55, s15, v53
	v_add_co_u32 v53, vcc_lo, v48, v70
	v_add_co_ci_u32_e32 v54, vcc_lo, v49, v71, vcc_lo
	s_delay_alu instid0(VALU_DEP_3)
	v_min_f32_e32 v52, v55, v52
	v_add_co_u32 v55, vcc_lo, v50, v68
	v_add_co_ci_u32_e32 v56, vcc_lo, v51, v69, vcc_lo
	global_store_b32 v[53:54], v52, off
	flat_load_b32 v52, v[55:56]
	s_waitcnt vmcnt(0) lgkmcnt(0)
	v_mul_f32_e32 v52, s15, v52
.LBB3_132:
	v_dual_add_f32 v53, v21, v45 :: v_dual_add_f32 v54, v20, v44
	v_dual_add_f32 v55, v17, v45 :: v_dual_add_f32 v56, v16, v44
	v_dual_add_f32 v57, v23, v47 :: v_dual_add_f32 v58, v22, v46
	s_delay_alu instid0(VALU_DEP_3) | instskip(NEXT) | instid1(VALU_DEP_3)
	v_min3_f32 v53, v54, v53, v107
	v_min3_f32 v54, v56, v55, v108
	v_dual_add_f32 v55, v19, v47 :: v_dual_add_f32 v56, v18, v46
	s_delay_alu instid0(VALU_DEP_1) | instskip(SKIP_1) | instid1(VALU_DEP_1)
	v_min3_f32 v55, v56, v55, v54
	v_min_f32_e32 v57, v58, v57
	v_min3_f32 v56, v52, v57, v53
	s_delay_alu instid0(VALU_DEP_3)
	v_max_f32_e32 v52, v55, v55
	;; [unrolled: 47-line block ×3, first 2 shown]
	v_add_co_u32 v53, vcc_lo, v48, v72
	v_add_co_ci_u32_e32 v54, vcc_lo, v49, v73, vcc_lo
	s_mov_b32 vcc_lo, s2
	global_store_b32 v[53:54], v56, off
	s_cbranch_vccz .LBB3_140
; %bb.138:
	v_add_co_u32 v53, vcc_lo, v48, v78
	v_min_f32_e32 v55, 0, v52
	v_add_co_ci_u32_e32 v54, vcc_lo, v49, v79, vcc_lo
	s_mov_b32 s6, 0
	global_store_b32 v[53:54], v55, off
	s_cbranch_execz .LBB3_141
; %bb.139:
	v_mov_b32_e32 v50, s6
	s_branch .LBB3_142
.LBB3_140:
	s_mov_b32 s6, -1
.LBB3_141:
	v_add_co_u32 v53, vcc_lo, v50, v78
	v_add_co_ci_u32_e32 v54, vcc_lo, v51, v79, vcc_lo
	flat_load_b32 v53, v[53:54]
	s_waitcnt vmcnt(0) lgkmcnt(0)
	v_mul_f32_e32 v55, s15, v53
	v_add_co_u32 v53, vcc_lo, v48, v78
	v_add_co_ci_u32_e32 v54, vcc_lo, v49, v79, vcc_lo
	v_add_co_u32 v50, vcc_lo, v50, v76
	s_delay_alu instid0(VALU_DEP_4)
	v_min_f32_e32 v52, v55, v52
	v_add_co_ci_u32_e32 v51, vcc_lo, v51, v77, vcc_lo
	global_store_b32 v[53:54], v52, off
	flat_load_b32 v50, v[50:51]
	s_waitcnt vmcnt(0) lgkmcnt(0)
	v_mul_f32_e32 v50, s15, v50
.LBB3_142:
	s_waitcnt lgkmcnt(2)
	v_dual_add_f32 v51, v33, v41 :: v_dual_add_f32 v52, v32, v40
	v_dual_add_f32 v45, v1, v45 :: v_dual_add_f32 v44, v0, v44
	;; [unrolled: 1-line block ×3, first 2 shown]
	s_delay_alu instid0(VALU_DEP_3) | instskip(SKIP_1) | instid1(VALU_DEP_4)
	v_min3_f32 v51, v52, v51, v104
	v_dual_add_f32 v55, v34, v42 :: v_dual_add_nc_u32 v52, 40, v111
	v_min3_f32 v53, v44, v45, v103
	s_delay_alu instid0(VALU_DEP_4) | instskip(SKIP_1) | instid1(VALU_DEP_4)
	v_min_f32_e32 v56, v46, v47
	v_add_f32_e32 v54, v35, v43
	v_mad_i64_i32 v[44:45], null, v52, s8, 0
	v_mad_i64_i32 v[46:47], null, v52, s3, 0
	s_delay_alu instid0(VALU_DEP_4)
	v_min3_f32 v53, v50, v56, v53
	v_add_co_u32 v50, vcc_lo, v48, v76
	v_min3_f32 v52, v55, v54, v51
	v_lshlrev_b64 v[44:45], 2, v[44:45]
	v_add_co_ci_u32_e32 v51, vcc_lo, v49, v77, vcc_lo
	v_lshlrev_b64 v[46:47], 2, v[46:47]
	s_delay_alu instid0(VALU_DEP_4) | instskip(NEXT) | instid1(VALU_DEP_4)
	v_max_f32_e32 v48, v52, v52
	v_add_co_u32 v44, vcc_lo, s0, v44
	v_add_co_ci_u32_e32 v45, vcc_lo, s1, v45, vcc_lo
	s_delay_alu instid0(VALU_DEP_4)
	v_add_co_u32 v46, vcc_lo, s4, v46
	v_add_co_ci_u32_e32 v47, vcc_lo, s5, v47, vcc_lo
	s_mov_b32 vcc_lo, s2
	global_store_b32 v[50:51], v53, off
	s_cbranch_vccz .LBB3_145
; %bb.143:
	v_add_co_u32 v49, vcc_lo, v44, v66
	v_min_f32_e32 v51, 0, v48
	v_add_co_ci_u32_e32 v50, vcc_lo, v45, v67, vcc_lo
	s_mov_b32 s6, 0
	global_store_b32 v[49:50], v51, off
	s_cbranch_execz .LBB3_146
; %bb.144:
	v_mov_b32_e32 v48, s6
	s_branch .LBB3_147
.LBB3_145:
	s_mov_b32 s6, -1
.LBB3_146:
	v_add_co_u32 v49, vcc_lo, v46, v66
	v_add_co_ci_u32_e32 v50, vcc_lo, v47, v67, vcc_lo
	flat_load_b32 v49, v[49:50]
	s_waitcnt vmcnt(0) lgkmcnt(0)
	v_mul_f32_e32 v51, s15, v49
	v_add_co_u32 v49, vcc_lo, v44, v66
	v_add_co_ci_u32_e32 v50, vcc_lo, v45, v67, vcc_lo
	s_delay_alu instid0(VALU_DEP_3)
	v_min_f32_e32 v48, v51, v48
	v_add_co_u32 v51, vcc_lo, v46, v64
	v_add_co_ci_u32_e32 v52, vcc_lo, v47, v65, vcc_lo
	global_store_b32 v[49:50], v48, off
	flat_load_b32 v48, v[51:52]
	s_waitcnt vmcnt(0) lgkmcnt(0)
	v_mul_f32_e32 v48, s15, v48
.LBB3_147:
	v_dual_add_f32 v49, v29, v41 :: v_dual_add_f32 v50, v28, v40
	v_dual_add_f32 v51, v25, v41 :: v_dual_add_f32 v52, v24, v40
	v_dual_add_f32 v53, v31, v43 :: v_dual_add_f32 v54, v30, v42
	s_delay_alu instid0(VALU_DEP_3) | instskip(NEXT) | instid1(VALU_DEP_3)
	v_min3_f32 v49, v50, v49, v101
	v_min3_f32 v50, v52, v51, v102
	v_dual_add_f32 v51, v27, v43 :: v_dual_add_f32 v52, v26, v42
	s_delay_alu instid0(VALU_DEP_1) | instskip(SKIP_1) | instid1(VALU_DEP_1)
	v_min3_f32 v51, v52, v51, v50
	v_min_f32_e32 v53, v54, v53
	v_min3_f32 v52, v48, v53, v49
	s_delay_alu instid0(VALU_DEP_3)
	v_max_f32_e32 v48, v51, v51
	v_add_co_u32 v49, vcc_lo, v44, v64
	v_add_co_ci_u32_e32 v50, vcc_lo, v45, v65, vcc_lo
	s_mov_b32 vcc_lo, s2
	global_store_b32 v[49:50], v52, off
	s_cbranch_vccz .LBB3_150
; %bb.148:
	v_add_co_u32 v49, vcc_lo, v44, v70
	v_min_f32_e32 v51, 0, v48
	v_add_co_ci_u32_e32 v50, vcc_lo, v45, v71, vcc_lo
	s_mov_b32 s6, 0
	global_store_b32 v[49:50], v51, off
	s_cbranch_execz .LBB3_151
; %bb.149:
	v_mov_b32_e32 v48, s6
	s_branch .LBB3_152
.LBB3_150:
	s_mov_b32 s6, -1
.LBB3_151:
	v_add_co_u32 v49, vcc_lo, v46, v70
	v_add_co_ci_u32_e32 v50, vcc_lo, v47, v71, vcc_lo
	flat_load_b32 v49, v[49:50]
	s_waitcnt vmcnt(0) lgkmcnt(0)
	v_mul_f32_e32 v51, s15, v49
	v_add_co_u32 v49, vcc_lo, v44, v70
	v_add_co_ci_u32_e32 v50, vcc_lo, v45, v71, vcc_lo
	s_delay_alu instid0(VALU_DEP_3)
	v_min_f32_e32 v48, v51, v48
	v_add_co_u32 v51, vcc_lo, v46, v68
	v_add_co_ci_u32_e32 v52, vcc_lo, v47, v69, vcc_lo
	global_store_b32 v[49:50], v48, off
	flat_load_b32 v48, v[51:52]
	s_waitcnt vmcnt(0) lgkmcnt(0)
	v_mul_f32_e32 v48, s15, v48
.LBB3_152:
	v_dual_add_f32 v49, v21, v41 :: v_dual_add_f32 v50, v20, v40
	v_dual_add_f32 v51, v17, v41 :: v_dual_add_f32 v52, v16, v40
	v_dual_add_f32 v53, v23, v43 :: v_dual_add_f32 v54, v22, v42
	s_delay_alu instid0(VALU_DEP_3) | instskip(NEXT) | instid1(VALU_DEP_3)
	v_min3_f32 v49, v50, v49, v99
	v_min3_f32 v50, v52, v51, v100
	v_dual_add_f32 v51, v19, v43 :: v_dual_add_f32 v52, v18, v42
	s_delay_alu instid0(VALU_DEP_1) | instskip(SKIP_1) | instid1(VALU_DEP_1)
	v_min3_f32 v51, v52, v51, v50
	v_min_f32_e32 v53, v54, v53
	v_min3_f32 v52, v48, v53, v49
	s_delay_alu instid0(VALU_DEP_3)
	v_max_f32_e32 v48, v51, v51
	;; [unrolled: 47-line block ×3, first 2 shown]
	v_add_co_u32 v49, vcc_lo, v44, v72
	v_add_co_ci_u32_e32 v50, vcc_lo, v45, v73, vcc_lo
	s_mov_b32 vcc_lo, s2
	global_store_b32 v[49:50], v52, off
	s_cbranch_vccz .LBB3_160
; %bb.158:
	v_add_co_u32 v49, vcc_lo, v44, v78
	v_min_f32_e32 v51, 0, v48
	v_add_co_ci_u32_e32 v50, vcc_lo, v45, v79, vcc_lo
	s_mov_b32 s6, 0
	global_store_b32 v[49:50], v51, off
	s_cbranch_execz .LBB3_161
; %bb.159:
	v_mov_b32_e32 v46, s6
	s_branch .LBB3_162
.LBB3_160:
	s_mov_b32 s6, -1
.LBB3_161:
	v_add_co_u32 v49, vcc_lo, v46, v78
	v_add_co_ci_u32_e32 v50, vcc_lo, v47, v79, vcc_lo
	flat_load_b32 v49, v[49:50]
	s_waitcnt vmcnt(0) lgkmcnt(0)
	v_mul_f32_e32 v51, s15, v49
	v_add_co_u32 v49, vcc_lo, v44, v78
	v_add_co_ci_u32_e32 v50, vcc_lo, v45, v79, vcc_lo
	v_add_co_u32 v46, vcc_lo, v46, v76
	s_delay_alu instid0(VALU_DEP_4)
	v_min_f32_e32 v48, v51, v48
	v_add_co_ci_u32_e32 v47, vcc_lo, v47, v77, vcc_lo
	global_store_b32 v[49:50], v48, off
	flat_load_b32 v46, v[46:47]
	s_waitcnt vmcnt(0) lgkmcnt(0)
	v_mul_f32_e32 v46, s15, v46
.LBB3_162:
	s_waitcnt lgkmcnt(1)
	v_dual_add_f32 v47, v33, v37 :: v_dual_add_f32 v48, v32, v36
	v_dual_add_f32 v41, v1, v41 :: v_dual_add_f32 v40, v0, v40
	;; [unrolled: 1-line block ×3, first 2 shown]
	s_delay_alu instid0(VALU_DEP_3) | instskip(SKIP_1) | instid1(VALU_DEP_4)
	v_min3_f32 v47, v48, v47, v95
	v_dual_add_f32 v51, v34, v38 :: v_dual_add_nc_u32 v48, 48, v111
	v_min3_f32 v49, v40, v41, v96
	s_delay_alu instid0(VALU_DEP_4) | instskip(SKIP_1) | instid1(VALU_DEP_4)
	v_min_f32_e32 v52, v42, v43
	v_add_f32_e32 v50, v35, v39
	v_mad_i64_i32 v[40:41], null, v48, s8, 0
	v_mad_i64_i32 v[42:43], null, v48, s3, 0
	s_delay_alu instid0(VALU_DEP_4)
	v_min3_f32 v49, v46, v52, v49
	v_add_co_u32 v46, vcc_lo, v44, v76
	v_min3_f32 v48, v51, v50, v47
	v_lshlrev_b64 v[40:41], 2, v[40:41]
	v_add_co_ci_u32_e32 v47, vcc_lo, v45, v77, vcc_lo
	v_lshlrev_b64 v[42:43], 2, v[42:43]
	s_delay_alu instid0(VALU_DEP_4) | instskip(NEXT) | instid1(VALU_DEP_4)
	v_max_f32_e32 v44, v48, v48
	v_add_co_u32 v40, vcc_lo, s0, v40
	v_add_co_ci_u32_e32 v41, vcc_lo, s1, v41, vcc_lo
	s_delay_alu instid0(VALU_DEP_4)
	v_add_co_u32 v42, vcc_lo, s4, v42
	v_add_co_ci_u32_e32 v43, vcc_lo, s5, v43, vcc_lo
	s_mov_b32 vcc_lo, s2
	global_store_b32 v[46:47], v49, off
	s_cbranch_vccz .LBB3_165
; %bb.163:
	v_add_co_u32 v45, vcc_lo, v40, v66
	v_min_f32_e32 v47, 0, v44
	v_add_co_ci_u32_e32 v46, vcc_lo, v41, v67, vcc_lo
	s_mov_b32 s6, 0
	global_store_b32 v[45:46], v47, off
	s_cbranch_execz .LBB3_166
; %bb.164:
	v_mov_b32_e32 v44, s6
	s_branch .LBB3_167
.LBB3_165:
	s_mov_b32 s6, -1
.LBB3_166:
	v_add_co_u32 v45, vcc_lo, v42, v66
	v_add_co_ci_u32_e32 v46, vcc_lo, v43, v67, vcc_lo
	flat_load_b32 v45, v[45:46]
	s_waitcnt vmcnt(0) lgkmcnt(0)
	v_mul_f32_e32 v47, s15, v45
	v_add_co_u32 v45, vcc_lo, v40, v66
	v_add_co_ci_u32_e32 v46, vcc_lo, v41, v67, vcc_lo
	s_delay_alu instid0(VALU_DEP_3)
	v_min_f32_e32 v44, v47, v44
	v_add_co_u32 v47, vcc_lo, v42, v64
	v_add_co_ci_u32_e32 v48, vcc_lo, v43, v65, vcc_lo
	global_store_b32 v[45:46], v44, off
	flat_load_b32 v44, v[47:48]
	s_waitcnt vmcnt(0) lgkmcnt(0)
	v_mul_f32_e32 v44, s15, v44
.LBB3_167:
	v_dual_add_f32 v45, v29, v37 :: v_dual_add_f32 v46, v28, v36
	v_dual_add_f32 v47, v25, v37 :: v_dual_add_f32 v48, v24, v36
	v_dual_add_f32 v49, v31, v39 :: v_dual_add_f32 v50, v30, v38
	s_delay_alu instid0(VALU_DEP_3) | instskip(NEXT) | instid1(VALU_DEP_3)
	v_min3_f32 v45, v46, v45, v93
	v_min3_f32 v46, v48, v47, v94
	v_dual_add_f32 v47, v27, v39 :: v_dual_add_f32 v48, v26, v38
	s_delay_alu instid0(VALU_DEP_1) | instskip(SKIP_1) | instid1(VALU_DEP_1)
	v_min3_f32 v47, v48, v47, v46
	v_min_f32_e32 v49, v50, v49
	v_min3_f32 v48, v44, v49, v45
	s_delay_alu instid0(VALU_DEP_3)
	v_max_f32_e32 v44, v47, v47
	v_add_co_u32 v45, vcc_lo, v40, v64
	v_add_co_ci_u32_e32 v46, vcc_lo, v41, v65, vcc_lo
	s_mov_b32 vcc_lo, s2
	global_store_b32 v[45:46], v48, off
	s_cbranch_vccz .LBB3_170
; %bb.168:
	v_add_co_u32 v45, vcc_lo, v40, v70
	v_min_f32_e32 v47, 0, v44
	v_add_co_ci_u32_e32 v46, vcc_lo, v41, v71, vcc_lo
	s_mov_b32 s6, 0
	global_store_b32 v[45:46], v47, off
	s_cbranch_execz .LBB3_171
; %bb.169:
	v_mov_b32_e32 v44, s6
	s_branch .LBB3_172
.LBB3_170:
	s_mov_b32 s6, -1
.LBB3_171:
	v_add_co_u32 v45, vcc_lo, v42, v70
	v_add_co_ci_u32_e32 v46, vcc_lo, v43, v71, vcc_lo
	flat_load_b32 v45, v[45:46]
	s_waitcnt vmcnt(0) lgkmcnt(0)
	v_mul_f32_e32 v47, s15, v45
	v_add_co_u32 v45, vcc_lo, v40, v70
	v_add_co_ci_u32_e32 v46, vcc_lo, v41, v71, vcc_lo
	s_delay_alu instid0(VALU_DEP_3)
	v_min_f32_e32 v44, v47, v44
	v_add_co_u32 v47, vcc_lo, v42, v68
	v_add_co_ci_u32_e32 v48, vcc_lo, v43, v69, vcc_lo
	global_store_b32 v[45:46], v44, off
	flat_load_b32 v44, v[47:48]
	s_waitcnt vmcnt(0) lgkmcnt(0)
	v_mul_f32_e32 v44, s15, v44
.LBB3_172:
	v_dual_add_f32 v45, v21, v37 :: v_dual_add_f32 v46, v20, v36
	v_dual_add_f32 v47, v17, v37 :: v_dual_add_f32 v48, v16, v36
	v_dual_add_f32 v49, v23, v39 :: v_dual_add_f32 v50, v22, v38
	s_delay_alu instid0(VALU_DEP_3) | instskip(NEXT) | instid1(VALU_DEP_3)
	v_min3_f32 v45, v46, v45, v91
	v_min3_f32 v46, v48, v47, v92
	v_dual_add_f32 v47, v19, v39 :: v_dual_add_f32 v48, v18, v38
	s_delay_alu instid0(VALU_DEP_1) | instskip(SKIP_1) | instid1(VALU_DEP_1)
	v_min3_f32 v47, v48, v47, v46
	v_min_f32_e32 v49, v50, v49
	v_min3_f32 v48, v44, v49, v45
	s_delay_alu instid0(VALU_DEP_3)
	v_max_f32_e32 v44, v47, v47
	;; [unrolled: 47-line block ×3, first 2 shown]
	v_add_co_u32 v45, vcc_lo, v40, v72
	v_add_co_ci_u32_e32 v46, vcc_lo, v41, v73, vcc_lo
	s_mov_b32 vcc_lo, s2
	global_store_b32 v[45:46], v48, off
	s_cbranch_vccz .LBB3_180
; %bb.178:
	v_add_co_u32 v45, vcc_lo, v40, v78
	v_min_f32_e32 v47, 0, v44
	v_add_co_ci_u32_e32 v46, vcc_lo, v41, v79, vcc_lo
	s_mov_b32 s6, 0
	global_store_b32 v[45:46], v47, off
	s_cbranch_execz .LBB3_181
; %bb.179:
	v_mov_b32_e32 v42, s6
	s_branch .LBB3_182
.LBB3_180:
	s_mov_b32 s6, -1
.LBB3_181:
	v_add_co_u32 v45, vcc_lo, v42, v78
	v_add_co_ci_u32_e32 v46, vcc_lo, v43, v79, vcc_lo
	flat_load_b32 v45, v[45:46]
	s_waitcnt vmcnt(0) lgkmcnt(0)
	v_mul_f32_e32 v47, s15, v45
	v_add_co_u32 v45, vcc_lo, v40, v78
	v_add_co_ci_u32_e32 v46, vcc_lo, v41, v79, vcc_lo
	v_add_co_u32 v42, vcc_lo, v42, v76
	s_delay_alu instid0(VALU_DEP_4)
	v_min_f32_e32 v44, v47, v44
	v_add_co_ci_u32_e32 v43, vcc_lo, v43, v77, vcc_lo
	global_store_b32 v[45:46], v44, off
	flat_load_b32 v42, v[42:43]
	s_waitcnt vmcnt(0) lgkmcnt(0)
	v_mul_f32_e32 v42, s15, v42
.LBB3_182:
	v_dual_add_f32 v37, v1, v37 :: v_dual_add_f32 v36, v0, v36
	s_waitcnt lgkmcnt(0)
	v_dual_add_f32 v33, v33, v5 :: v_dual_add_f32 v32, v32, v4
	v_dual_add_f32 v38, v2, v38 :: v_dual_add_nc_u32 v43, 56, v111
	s_delay_alu instid0(VALU_DEP_3) | instskip(SKIP_1) | instid1(VALU_DEP_4)
	v_min3_f32 v36, v36, v37, v87
	v_add_f32_e32 v39, v3, v39
	v_min3_f32 v37, v32, v33, v88
	s_delay_alu instid0(VALU_DEP_4) | instskip(SKIP_3) | instid1(VALU_DEP_4)
	v_mad_i64_i32 v[32:33], null, v43, s8, 0
	v_dual_add_f32 v44, v35, v7 :: v_dual_add_f32 v45, v34, v6
	v_mad_i64_i32 v[34:35], null, v43, s3, 0
	v_min_f32_e32 v38, v38, v39
	v_lshlrev_b64 v[32:33], 2, v[32:33]
	s_delay_alu instid0(VALU_DEP_4)
	v_min3_f32 v39, v45, v44, v37
	v_add_co_u32 v37, vcc_lo, v40, v76
	v_lshlrev_b64 v[34:35], 2, v[34:35]
	v_min3_f32 v42, v42, v38, v36
	v_add_co_ci_u32_e32 v38, vcc_lo, v41, v77, vcc_lo
	v_add_co_u32 v32, vcc_lo, s0, v32
	v_add_co_ci_u32_e32 v33, vcc_lo, s1, v33, vcc_lo
	v_add_co_u32 v34, vcc_lo, s4, v34
	v_add_co_ci_u32_e32 v35, vcc_lo, s5, v35, vcc_lo
	v_max_f32_e32 v36, v39, v39
	s_mov_b32 vcc_lo, s2
	global_store_b32 v[37:38], v42, off
	s_cbranch_vccz .LBB3_185
; %bb.183:
	v_add_co_u32 v37, vcc_lo, v32, v66
	v_min_f32_e32 v39, 0, v36
	v_add_co_ci_u32_e32 v38, vcc_lo, v33, v67, vcc_lo
	s_mov_b32 s0, 0
	global_store_b32 v[37:38], v39, off
	s_cbranch_execz .LBB3_186
; %bb.184:
	v_mov_b32_e32 v36, s0
	s_branch .LBB3_187
.LBB3_185:
	s_mov_b32 s0, -1
.LBB3_186:
	v_add_co_u32 v37, vcc_lo, v34, v66
	v_add_co_ci_u32_e32 v38, vcc_lo, v35, v67, vcc_lo
	flat_load_b32 v37, v[37:38]
	s_waitcnt vmcnt(0) lgkmcnt(0)
	v_mul_f32_e32 v39, s15, v37
	v_add_co_u32 v37, vcc_lo, v32, v66
	v_add_co_ci_u32_e32 v38, vcc_lo, v33, v67, vcc_lo
	s_delay_alu instid0(VALU_DEP_3)
	v_min_f32_e32 v36, v39, v36
	v_add_co_u32 v39, vcc_lo, v34, v64
	v_add_co_ci_u32_e32 v40, vcc_lo, v35, v65, vcc_lo
	global_store_b32 v[37:38], v36, off
	flat_load_b32 v36, v[39:40]
	s_waitcnt vmcnt(0) lgkmcnt(0)
	v_mul_f32_e32 v36, s15, v36
.LBB3_187:
	v_dual_add_f32 v25, v25, v5 :: v_dual_add_f32 v24, v24, v4
	v_dual_add_f32 v29, v29, v5 :: v_dual_add_f32 v28, v28, v4
	v_dual_add_f32 v31, v31, v7 :: v_dual_add_f32 v30, v30, v6
	s_delay_alu instid0(VALU_DEP_3) | instskip(SKIP_1) | instid1(VALU_DEP_4)
	v_min3_f32 v24, v24, v25, v85
	v_dual_add_f32 v25, v27, v7 :: v_dual_add_f32 v26, v26, v6
	v_min3_f32 v28, v28, v29, v86
	s_delay_alu instid0(VALU_DEP_2) | instskip(SKIP_3) | instid1(VALU_DEP_4)
	v_min3_f32 v24, v26, v25, v24
	v_min_f32_e32 v27, v30, v31
	v_add_co_u32 v25, vcc_lo, v32, v64
	v_add_co_ci_u32_e32 v26, vcc_lo, v33, v65, vcc_lo
	v_max_f32_e32 v24, v24, v24
	s_delay_alu instid0(VALU_DEP_4)
	v_min3_f32 v27, v36, v27, v28
	s_mov_b32 vcc_lo, s2
	global_store_b32 v[25:26], v27, off
	s_cbranch_vccz .LBB3_190
; %bb.188:
	v_add_co_u32 v25, vcc_lo, v32, v70
	v_min_f32_e32 v27, 0, v24
	v_add_co_ci_u32_e32 v26, vcc_lo, v33, v71, vcc_lo
	s_mov_b32 s0, 0
	global_store_b32 v[25:26], v27, off
	s_cbranch_execz .LBB3_191
; %bb.189:
	v_mov_b32_e32 v24, s0
	s_branch .LBB3_192
.LBB3_190:
	s_mov_b32 s0, -1
.LBB3_191:
	v_add_co_u32 v25, vcc_lo, v34, v70
	v_add_co_ci_u32_e32 v26, vcc_lo, v35, v71, vcc_lo
	flat_load_b32 v25, v[25:26]
	s_waitcnt vmcnt(0) lgkmcnt(0)
	v_mul_f32_e32 v27, s15, v25
	v_add_co_u32 v25, vcc_lo, v32, v70
	v_add_co_ci_u32_e32 v26, vcc_lo, v33, v71, vcc_lo
	s_delay_alu instid0(VALU_DEP_3)
	v_min_f32_e32 v24, v27, v24
	v_add_co_u32 v27, vcc_lo, v34, v68
	v_add_co_ci_u32_e32 v28, vcc_lo, v35, v69, vcc_lo
	global_store_b32 v[25:26], v24, off
	flat_load_b32 v24, v[27:28]
	s_waitcnt vmcnt(0) lgkmcnt(0)
	v_mul_f32_e32 v24, s15, v24
.LBB3_192:
	v_dual_add_f32 v17, v17, v5 :: v_dual_add_f32 v16, v16, v4
	v_dual_add_f32 v21, v21, v5 :: v_dual_add_f32 v20, v20, v4
	v_dual_add_f32 v23, v23, v7 :: v_dual_add_f32 v22, v22, v6
	s_delay_alu instid0(VALU_DEP_3) | instskip(SKIP_1) | instid1(VALU_DEP_4)
	v_min3_f32 v16, v16, v17, v84
	v_dual_add_f32 v17, v19, v7 :: v_dual_add_f32 v18, v18, v6
	v_min3_f32 v20, v20, v21, v83
	s_delay_alu instid0(VALU_DEP_2) | instskip(SKIP_3) | instid1(VALU_DEP_4)
	v_min3_f32 v16, v18, v17, v16
	v_min_f32_e32 v19, v22, v23
	v_add_co_u32 v17, vcc_lo, v32, v68
	v_add_co_ci_u32_e32 v18, vcc_lo, v33, v69, vcc_lo
	v_max_f32_e32 v16, v16, v16
	s_delay_alu instid0(VALU_DEP_4)
	v_min3_f32 v19, v24, v19, v20
	;; [unrolled: 47-line block ×3, first 2 shown]
	s_mov_b32 vcc_lo, s2
	global_store_b32 v[9:10], v11, off
	s_cbranch_vccz .LBB3_200
; %bb.198:
	v_add_co_u32 v9, vcc_lo, v32, v78
	v_min_f32_e32 v11, 0, v8
	v_add_co_ci_u32_e32 v10, vcc_lo, v33, v79, vcc_lo
	s_mov_b32 s0, 0
	global_store_b32 v[9:10], v11, off
	s_cbranch_execz .LBB3_201
; %bb.199:
	v_mov_b32_e32 v8, s0
	s_branch .LBB3_202
.LBB3_200:
	s_mov_b32 s0, -1
.LBB3_201:
	v_add_co_u32 v9, vcc_lo, v34, v78
	v_add_co_ci_u32_e32 v10, vcc_lo, v35, v79, vcc_lo
	flat_load_b32 v9, v[9:10]
	s_waitcnt vmcnt(0) lgkmcnt(0)
	v_mul_f32_e32 v11, s15, v9
	v_add_co_u32 v9, vcc_lo, v32, v78
	v_add_co_ci_u32_e32 v10, vcc_lo, v33, v79, vcc_lo
	s_delay_alu instid0(VALU_DEP_3)
	v_min_f32_e32 v8, v11, v8
	v_add_co_u32 v11, vcc_lo, v34, v76
	v_add_co_ci_u32_e32 v12, vcc_lo, v35, v77, vcc_lo
	global_store_b32 v[9:10], v8, off
	flat_load_b32 v8, v[11:12]
	s_waitcnt vmcnt(0) lgkmcnt(0)
	v_mul_f32_e32 v8, s15, v8
.LBB3_202:
	v_dual_add_f32 v3, v3, v7 :: v_dual_add_f32 v2, v2, v6
	v_dual_add_f32 v1, v1, v5 :: v_dual_add_f32 v0, v0, v4
	s_delay_alu instid0(VALU_DEP_2) | instskip(NEXT) | instid1(VALU_DEP_2)
	v_min_f32_e32 v2, v2, v3
	v_min3_f32 v0, v0, v1, v80
	s_delay_alu instid0(VALU_DEP_1)
	v_min3_f32 v2, v8, v2, v0
	v_add_co_u32 v0, vcc_lo, v32, v76
	v_add_co_ci_u32_e32 v1, vcc_lo, v33, v77, vcc_lo
	global_store_b32 v[0:1], v2, off
	s_nop 0
	s_sendmsg sendmsg(MSG_DEALLOC_VGPRS)
	s_endpgm
	.section	.rodata,"a",@progbits
	.p2align	6, 0x0
	.amdhsa_kernel _ZN12_GLOBAL__N_120geam_min_plus_kernelIf15HIP_vector_typeIfLj2EEfLi32ELi8ELi256ELi64ELi4ELi64ELi4ELi4ELi64ELc78ELc78ELb0ELb0ELb1EPKfKS4_KPfEEviiiT16_PT17_ilSA_ilS8_SA_ilPT18_ili26rocblas_geam_ex_operation_
		.amdhsa_group_segment_fixed_size 10240
		.amdhsa_private_segment_fixed_size 80
		.amdhsa_kernarg_size 136
		.amdhsa_user_sgpr_count 14
		.amdhsa_user_sgpr_dispatch_ptr 0
		.amdhsa_user_sgpr_queue_ptr 0
		.amdhsa_user_sgpr_kernarg_segment_ptr 1
		.amdhsa_user_sgpr_dispatch_id 0
		.amdhsa_user_sgpr_private_segment_size 0
		.amdhsa_wavefront_size32 1
		.amdhsa_uses_dynamic_stack 0
		.amdhsa_enable_private_segment 1
		.amdhsa_system_sgpr_workgroup_id_x 1
		.amdhsa_system_sgpr_workgroup_id_y 0
		.amdhsa_system_sgpr_workgroup_id_z 1
		.amdhsa_system_sgpr_workgroup_info 0
		.amdhsa_system_vgpr_workitem_id 1
		.amdhsa_next_free_vgpr 256
		.amdhsa_next_free_sgpr 24
		.amdhsa_reserve_vcc 1
		.amdhsa_float_round_mode_32 0
		.amdhsa_float_round_mode_16_64 0
		.amdhsa_float_denorm_mode_32 3
		.amdhsa_float_denorm_mode_16_64 3
		.amdhsa_dx10_clamp 1
		.amdhsa_ieee_mode 1
		.amdhsa_fp16_overflow 0
		.amdhsa_workgroup_processor_mode 1
		.amdhsa_memory_ordered 1
		.amdhsa_forward_progress 0
		.amdhsa_shared_vgpr_count 0
		.amdhsa_exception_fp_ieee_invalid_op 0
		.amdhsa_exception_fp_denorm_src 0
		.amdhsa_exception_fp_ieee_div_zero 0
		.amdhsa_exception_fp_ieee_overflow 0
		.amdhsa_exception_fp_ieee_underflow 0
		.amdhsa_exception_fp_ieee_inexact 0
		.amdhsa_exception_int_div_zero 0
	.end_amdhsa_kernel
	.section	.text._ZN12_GLOBAL__N_120geam_min_plus_kernelIf15HIP_vector_typeIfLj2EEfLi32ELi8ELi256ELi64ELi4ELi64ELi4ELi4ELi64ELc78ELc78ELb0ELb0ELb1EPKfKS4_KPfEEviiiT16_PT17_ilSA_ilS8_SA_ilPT18_ili26rocblas_geam_ex_operation_,"axG",@progbits,_ZN12_GLOBAL__N_120geam_min_plus_kernelIf15HIP_vector_typeIfLj2EEfLi32ELi8ELi256ELi64ELi4ELi64ELi4ELi4ELi64ELc78ELc78ELb0ELb0ELb1EPKfKS4_KPfEEviiiT16_PT17_ilSA_ilS8_SA_ilPT18_ili26rocblas_geam_ex_operation_,comdat
.Lfunc_end3:
	.size	_ZN12_GLOBAL__N_120geam_min_plus_kernelIf15HIP_vector_typeIfLj2EEfLi32ELi8ELi256ELi64ELi4ELi64ELi4ELi4ELi64ELc78ELc78ELb0ELb0ELb1EPKfKS4_KPfEEviiiT16_PT17_ilSA_ilS8_SA_ilPT18_ili26rocblas_geam_ex_operation_, .Lfunc_end3-_ZN12_GLOBAL__N_120geam_min_plus_kernelIf15HIP_vector_typeIfLj2EEfLi32ELi8ELi256ELi64ELi4ELi64ELi4ELi4ELi64ELc78ELc78ELb0ELb0ELb1EPKfKS4_KPfEEviiiT16_PT17_ilSA_ilS8_SA_ilPT18_ili26rocblas_geam_ex_operation_
                                        ; -- End function
	.section	.AMDGPU.csdata,"",@progbits
; Kernel info:
; codeLenInByte = 18084
; NumSgprs: 26
; NumVgprs: 256
; ScratchSize: 80
; MemoryBound: 0
; FloatMode: 240
; IeeeMode: 1
; LDSByteSize: 10240 bytes/workgroup (compile time only)
; SGPRBlocks: 3
; VGPRBlocks: 31
; NumSGPRsForWavesPerEU: 26
; NumVGPRsForWavesPerEU: 256
; Occupancy: 5
; WaveLimiterHint : 1
; COMPUTE_PGM_RSRC2:SCRATCH_EN: 1
; COMPUTE_PGM_RSRC2:USER_SGPR: 14
; COMPUTE_PGM_RSRC2:TRAP_HANDLER: 0
; COMPUTE_PGM_RSRC2:TGID_X_EN: 1
; COMPUTE_PGM_RSRC2:TGID_Y_EN: 0
; COMPUTE_PGM_RSRC2:TGID_Z_EN: 1
; COMPUTE_PGM_RSRC2:TIDIG_COMP_CNT: 1
	.section	.text._ZN12_GLOBAL__N_120geam_min_plus_kernelIf15HIP_vector_typeIfLj2EEfLi32ELi8ELi256ELi64ELi4ELi64ELi4ELi4ELi64ELc78ELc78ELb1ELb0ELb1EfKPKfKPfEEviiiT16_PT17_ilSA_ilS8_SA_ilPT18_ili26rocblas_geam_ex_operation_,"axG",@progbits,_ZN12_GLOBAL__N_120geam_min_plus_kernelIf15HIP_vector_typeIfLj2EEfLi32ELi8ELi256ELi64ELi4ELi64ELi4ELi4ELi64ELc78ELc78ELb1ELb0ELb1EfKPKfKPfEEviiiT16_PT17_ilSA_ilS8_SA_ilPT18_ili26rocblas_geam_ex_operation_,comdat
	.globl	_ZN12_GLOBAL__N_120geam_min_plus_kernelIf15HIP_vector_typeIfLj2EEfLi32ELi8ELi256ELi64ELi4ELi64ELi4ELi4ELi64ELc78ELc78ELb1ELb0ELb1EfKPKfKPfEEviiiT16_PT17_ilSA_ilS8_SA_ilPT18_ili26rocblas_geam_ex_operation_ ; -- Begin function _ZN12_GLOBAL__N_120geam_min_plus_kernelIf15HIP_vector_typeIfLj2EEfLi32ELi8ELi256ELi64ELi4ELi64ELi4ELi4ELi64ELc78ELc78ELb1ELb0ELb1EfKPKfKPfEEviiiT16_PT17_ilSA_ilS8_SA_ilPT18_ili26rocblas_geam_ex_operation_
	.p2align	8
	.type	_ZN12_GLOBAL__N_120geam_min_plus_kernelIf15HIP_vector_typeIfLj2EEfLi32ELi8ELi256ELi64ELi4ELi64ELi4ELi4ELi64ELc78ELc78ELb1ELb0ELb1EfKPKfKPfEEviiiT16_PT17_ilSA_ilS8_SA_ilPT18_ili26rocblas_geam_ex_operation_,@function
_ZN12_GLOBAL__N_120geam_min_plus_kernelIf15HIP_vector_typeIfLj2EEfLi32ELi8ELi256ELi64ELi4ELi64ELi4ELi4ELi64ELc78ELc78ELb1ELb0ELb1EfKPKfKPfEEviiiT16_PT17_ilSA_ilS8_SA_ilPT18_ili26rocblas_geam_ex_operation_: ; @_ZN12_GLOBAL__N_120geam_min_plus_kernelIf15HIP_vector_typeIfLj2EEfLi32ELi8ELi256ELi64ELi4ELi64ELi4ELi4ELi64ELc78ELc78ELb1ELb0ELb1EfKPKfKPfEEviiiT16_PT17_ilSA_ilS8_SA_ilPT18_ili26rocblas_geam_ex_operation_
; %bb.0:
	s_clause 0x1
	s_load_b64 s[8:9], s[0:1], 0x8
	s_load_b128 s[4:7], s[0:1], 0x20
	s_mov_b32 s16, s15
	s_mov_b32 s17, 0
	s_waitcnt lgkmcnt(0)
	v_cmp_eq_f32_e64 s2, s9, 0
	s_delay_alu instid0(VALU_DEP_1)
	s_and_b32 vcc_lo, exec_lo, s2
	s_cbranch_vccnz .LBB4_3
; %bb.1:
	s_load_b64 s[10:11], s[0:1], 0x10
	s_lshl_b64 s[12:13], s[16:17], 3
	s_waitcnt lgkmcnt(0)
	s_add_u32 s10, s10, s12
	s_addc_u32 s11, s11, s13
	s_lshl_b64 s[4:5], s[4:5], 2
	s_load_b64 s[10:11], s[10:11], 0x0
	s_waitcnt lgkmcnt(0)
	s_add_u32 s10, s10, s4
	s_addc_u32 s11, s11, s5
	s_and_not1_b32 vcc_lo, exec_lo, s2
	s_cbranch_vccnz .LBB4_4
.LBB4_2:
	s_mov_b64 s[12:13], 0
	s_and_not1_b32 vcc_lo, exec_lo, s17
	s_cbranch_vccz .LBB4_5
	s_branch .LBB4_6
.LBB4_3:
	s_mov_b64 s[10:11], 0
	s_and_not1_b32 vcc_lo, exec_lo, s2
	s_cbranch_vccz .LBB4_2
.LBB4_4:
	s_mov_b32 s17, -1
                                        ; implicit-def: $sgpr12_sgpr13
.LBB4_5:
	s_mov_b32 s17, 0
	s_load_b64 s[4:5], s[0:1], 0x38
	s_lshl_b64 s[2:3], s[16:17], 3
	s_delay_alu instid0(SALU_CYCLE_1) | instskip(SKIP_4) | instid1(SALU_CYCLE_1)
	s_add_u32 s2, s6, s2
	s_addc_u32 s3, s7, s3
	s_load_b64 s[2:3], s[2:3], 0x0
	s_waitcnt lgkmcnt(0)
	s_lshl_b64 s[4:5], s[4:5], 2
	s_add_u32 s12, s2, s4
	s_addc_u32 s13, s3, s5
.LBB4_6:
	s_clause 0x1
	s_load_b32 s3, s[0:1], 0x40
	s_load_b128 s[4:7], s[0:1], 0x58
	s_waitcnt lgkmcnt(0)
	v_cmp_eq_f32_e64 s2, s3, 0
	s_delay_alu instid0(VALU_DEP_1) | instskip(NEXT) | instid1(SALU_CYCLE_1)
	s_and_b32 s2, exec_lo, s2
	s_mov_b32 vcc_lo, s2
	s_cbranch_vccnz .LBB4_8
; %bb.7:
	s_load_b64 s[18:19], s[0:1], 0x48
	s_lshl_b64 s[20:21], s[16:17], 3
	s_waitcnt lgkmcnt(0)
	s_add_u32 s18, s18, s20
	s_addc_u32 s19, s19, s21
	s_lshl_b64 s[4:5], s[4:5], 2
	s_load_b64 s[18:19], s[18:19], 0x0
	s_waitcnt lgkmcnt(0)
	s_add_u32 s4, s18, s4
	s_addc_u32 s5, s19, s5
	s_branch .LBB4_9
.LBB4_8:
	s_mov_b64 s[4:5], 0
.LBB4_9:
	s_load_b32 s9, s[0:1], 0x0
	s_lshl_b64 s[18:19], s[16:17], 3
	v_and_b32_e32 v12, 0x3ff, v0
	s_add_u32 s6, s6, s18
	s_addc_u32 s7, s7, s19
	v_bfe_u32 v13, v0, 10, 10
	s_clause 0x1
	s_load_b32 s16, s[0:1], 0x18
	s_load_b32 s17, s[0:1], 0x30
	v_and_b32_e32 v5, 3, v12
	v_lshlrev_b32_e32 v71, 4, v12
	v_lshl_add_u32 v2, v13, 5, v12
	v_lshlrev_b32_e32 v171, 4, v13
	s_delay_alu instid0(VALU_DEP_4) | instskip(NEXT) | instid1(VALU_DEP_3)
	v_lshlrev_b32_e32 v15, 2, v5
	v_lshrrev_b32_e32 v6, 2, v2
	v_lshrrev_b32_e32 v14, 6, v2
	v_and_b32_e32 v7, 63, v2
	s_waitcnt lgkmcnt(0)
	s_add_i32 s9, s9, -1
	s_delay_alu instid0(VALU_DEP_2) | instskip(SKIP_1) | instid1(SALU_CYCLE_1)
	v_add_nc_u32_e32 v11, 4, v14
	s_ashr_i32 s15, s9, 31
	s_lshr_b32 s15, s15, 24
	s_delay_alu instid0(SALU_CYCLE_1) | instskip(NEXT) | instid1(SALU_CYCLE_1)
	s_add_i32 s9, s9, s15
	s_ashr_i32 s9, s9, 8
	s_delay_alu instid0(SALU_CYCLE_1) | instskip(SKIP_2) | instid1(VALU_DEP_1)
	s_add_i32 s18, s9, 1
	s_not_b32 s9, s9
	v_cvt_f32_u32_e32 v1, s18
	v_rcp_iflag_f32_e32 v1, v1
	s_waitcnt_depctr 0xfff
	v_mul_f32_e32 v1, 0x4f7ffffe, v1
	s_delay_alu instid0(VALU_DEP_1) | instskip(NEXT) | instid1(VALU_DEP_1)
	v_cvt_u32_f32_e32 v1, v1
	v_readfirstlane_b32 s15, v1
	v_mad_i64_i32 v[0:1], null, s16, v14, 0
	s_delay_alu instid0(VALU_DEP_2) | instskip(NEXT) | instid1(SALU_CYCLE_1)
	s_mul_i32 s9, s9, s15
	s_mul_hi_u32 s9, s15, s9
	s_delay_alu instid0(VALU_DEP_1) | instskip(SKIP_1) | instid1(SALU_CYCLE_1)
	v_lshlrev_b64 v[0:1], 2, v[0:1]
	s_add_i32 s15, s15, s9
	s_mul_hi_u32 s9, s14, s15
	s_delay_alu instid0(SALU_CYCLE_1)
	s_mul_i32 s15, s9, s18
	s_add_i32 s19, s9, 1
	s_sub_i32 s15, s14, s15
	v_add_co_u32 v0, vcc_lo, s10, v0
	s_sub_i32 s20, s15, s18
	s_cmp_ge_u32 s15, s18
	v_add_co_ci_u32_e32 v1, vcc_lo, s11, v1, vcc_lo
	s_cselect_b32 s9, s19, s9
	s_cselect_b32 s15, s20, s15
	s_add_i32 s19, s9, 1
	s_cmp_ge_u32 s15, s18
	s_cselect_b32 s9, s19, s9
	s_delay_alu instid0(SALU_CYCLE_1)
	s_lshl_b32 s15, s9, 6
	s_mul_i32 s9, s9, s18
	v_add_nc_u32_e32 v4, s15, v6
	s_sub_i32 s9, s14, s9
	v_lshl_or_b32 v6, v6, 4, v15
	s_lshl_b32 s14, s9, 8
	s_cmp_lt_i32 s8, 9
	v_mad_i64_i32 v[2:3], null, v4, s17, 0
	v_or_b32_e32 v4, s14, v7
	s_delay_alu instid0(VALU_DEP_1) | instskip(NEXT) | instid1(VALU_DEP_3)
	v_ashrrev_i32_e32 v5, 31, v4
	v_lshlrev_b64 v[8:9], 2, v[2:3]
	s_delay_alu instid0(VALU_DEP_2) | instskip(NEXT) | instid1(VALU_DEP_2)
	v_lshlrev_b64 v[16:17], 2, v[4:5]
	v_add_co_u32 v2, vcc_lo, s12, v8
	s_delay_alu instid0(VALU_DEP_3) | instskip(NEXT) | instid1(VALU_DEP_3)
	v_add_co_ci_u32_e32 v3, vcc_lo, s13, v9, vcc_lo
	v_add_co_u32 v0, vcc_lo, v0, v16
	s_delay_alu instid0(VALU_DEP_4) | instskip(NEXT) | instid1(VALU_DEP_4)
	v_add_co_ci_u32_e32 v1, vcc_lo, v1, v17, vcc_lo
	v_add_co_u32 v2, vcc_lo, v2, v15
	scratch_store_b64 off, v[8:9], off offset:76 ; 8-byte Folded Spill
	v_add_co_ci_u32_e32 v3, vcc_lo, 0, v3, vcc_lo
	s_clause 0x3
	flat_load_b32 v4, v[0:1]
	flat_load_b32 v5, v[0:1] offset:256
	flat_load_b32 v8, v[0:1] offset:512
	;; [unrolled: 1-line block ×3, first 2 shown]
	flat_load_b32 v10, v[2:3]
	v_mad_i64_i32 v[0:1], null, s16, v11, 0
	v_lshlrev_b32_e32 v11, 2, v14
	s_load_b64 s[6:7], s[6:7], 0x0
	scratch_store_b32 off, v12, off         ; 4-byte Folded Spill
	v_lshl_add_u32 v74, v7, 4, v11
	v_lshlrev_b64 v[0:1], 2, v[0:1]
	s_delay_alu instid0(VALU_DEP_1) | instskip(NEXT) | instid1(VALU_DEP_2)
	v_add_co_u32 v0, vcc_lo, s10, v0
	v_add_co_ci_u32_e32 v1, vcc_lo, s11, v1, vcc_lo
	s_delay_alu instid0(VALU_DEP_2) | instskip(NEXT) | instid1(VALU_DEP_2)
	v_add_co_u32 v0, vcc_lo, v0, v16
	v_add_co_ci_u32_e32 v1, vcc_lo, v1, v17, vcc_lo
	flat_load_b32 v7, v[0:1]
	s_clause 0x1
	scratch_store_b32 off, v13, off offset:4
	scratch_store_b32 off, v6, off offset:28
	s_waitcnt vmcnt(0) lgkmcnt(0)
	scratch_store_b32 off, v7, off offset:8 ; 4-byte Folded Spill
	flat_load_b32 v7, v[0:1] offset:256
	scratch_store_b32 off, v14, off offset:68 ; 4-byte Folded Spill
	s_waitcnt vmcnt(0) lgkmcnt(0)
	scratch_store_b32 off, v7, off offset:12 ; 4-byte Folded Spill
	s_clause 0x1
	flat_load_b32 v7, v[0:1] offset:512
	flat_load_b32 v0, v[0:1] offset:768
	s_waitcnt vmcnt(1) lgkmcnt(1)
	scratch_store_b32 off, v7, off offset:16 ; 4-byte Folded Spill
	s_waitcnt vmcnt(0) lgkmcnt(0)
	s_clause 0x1
	scratch_store_b32 off, v0, off offset:20
	scratch_store_b32 off, v15, off offset:72
	flat_load_b32 v0, v[2:3] offset:16
	s_waitcnt vmcnt(0) lgkmcnt(0)
	scratch_store_b32 off, v0, off offset:24 ; 4-byte Folded Spill
	ds_store_2addr_stride64_b32 v74, v4, v5 offset1:4
	ds_store_2addr_stride64_b32 v74, v8, v9 offset0:8 offset1:12
	ds_store_b32 v6, v10 offset:8192
	s_waitcnt lgkmcnt(0)
	s_waitcnt_vscnt null, 0x0
	s_barrier
	buffer_gl0_inv
	ds_load_b128 v[28:31], v171 offset:8192
	ds_load_b128 v[0:3], v71
	ds_load_b128 v[12:15], v71 offset:512
	ds_load_b128 v[8:11], v71 offset:1024
	;; [unrolled: 1-line block ×4, first 2 shown]
	s_waitcnt lgkmcnt(4)
	v_add_f32_e32 v18, v1, v29
	v_dual_add_f32 v146, v0, v28 :: v_dual_add_f32 v141, v3, v31
	s_waitcnt lgkmcnt(1)
	v_dual_add_f32 v142, v15, v31 :: v_dual_add_f32 v85, v6, v30
	scratch_store_b32 off, v18, off offset:32 ; 4-byte Folded Spill
	v_dual_add_f32 v18, v13, v29 :: v_dual_add_f32 v145, v11, v31
	s_waitcnt lgkmcnt(0)
	v_add_f32_e32 v105, v3, v35
	v_add_f32_e32 v89, v1, v33
	;; [unrolled: 1-line block ×3, first 2 shown]
	scratch_store_b32 off, v18, off offset:36 ; 4-byte Folded Spill
	v_dual_add_f32 v18, v12, v28 :: v_dual_add_f32 v81, v10, v30
	v_add_f32_e32 v91, v13, v33
	v_add_f32_e32 v109, v11, v35
	;; [unrolled: 1-line block ×3, first 2 shown]
	scratch_store_b32 off, v18, off offset:48 ; 4-byte Folded Spill
	v_add_f32_e32 v18, v9, v29
	v_add_f32_e32 v93, v9, v33
	;; [unrolled: 1-line block ×4, first 2 shown]
	scratch_store_b32 off, v18, off offset:40 ; 4-byte Folded Spill
	v_add_f32_e32 v18, v8, v28
	scratch_store_b32 off, v18, off offset:52 ; 4-byte Folded Spill
	v_add_f32_e32 v18, v5, v29
	;; [unrolled: 2-line block ×3, first 2 shown]
	scratch_store_b32 off, v18, off offset:56 ; 4-byte Folded Spill
	ds_load_b128 v[36:39], v71 offset:2048
	ds_load_b128 v[40:43], v71 offset:2560
	v_add_f32_e32 v144, v2, v30
	v_add_f32_e32 v90, v0, v32
	;; [unrolled: 1-line block ×5, first 2 shown]
	s_waitcnt lgkmcnt(1)
	v_dual_add_f32 v18, v37, v29 :: v_dual_add_f32 v137, v36, v28
	s_waitcnt lgkmcnt(0)
	v_dual_add_f32 v143, v40, v28 :: v_dual_add_f32 v132, v39, v31
	v_add_f32_e32 v87, v38, v30
	scratch_store_b32 off, v18, off offset:60 ; 4-byte Folded Spill
	v_dual_add_f32 v18, v41, v29 :: v_dual_add_f32 v131, v43, v31
	v_dual_add_f32 v84, v42, v30 :: v_dual_add_f32 v97, v37, v33
	v_add_f32_e32 v98, v36, v32
	scratch_store_b32 off, v18, off offset:64 ; 4-byte Folded Spill
	ds_load_b128 v[44:47], v71 offset:3072
	ds_load_b128 v[48:51], v71 offset:3584
	v_add_f32_e32 v130, v14, v30
	v_add_f32_e32 v94, v8, v32
	v_dual_add_f32 v96, v4, v32 :: v_dual_add_f32 v99, v41, v33
	v_add_f32_e32 v100, v40, v32
	v_add_f32_e32 v110, v10, v34
	v_dual_add_f32 v112, v6, v34 :: v_dual_add_f32 v113, v39, v35
	v_dual_add_f32 v114, v38, v34 :: v_dual_add_f32 v115, v43, v35
	v_add_f32_e32 v116, v42, v34
	s_waitcnt lgkmcnt(0)
	v_dual_add_f32 v138, v45, v29 :: v_dual_add_f32 v139, v48, v28
	v_add_f32_e32 v136, v44, v28
	v_dual_add_f32 v140, v49, v29 :: v_dual_add_f32 v133, v47, v31
	v_add_f32_e32 v86, v46, v30
	v_add_f32_e32 v134, v51, v31
	v_dual_add_f32 v88, v50, v30 :: v_dual_add_f32 v101, v45, v33
	v_dual_add_f32 v102, v44, v32 :: v_dual_add_f32 v103, v49, v33
	;; [unrolled: 1-line block ×4, first 2 shown]
	v_add_f32_e32 v120, v50, v34
	ds_load_b128 v[28:31], v171 offset:8448
	ds_load_b128 v[32:35], v171 offset:8576
	s_waitcnt lgkmcnt(1)
	v_add_f32_e32 v127, v5, v29
	v_dual_add_f32 v121, v1, v29 :: v_dual_add_f32 v122, v0, v28
	v_add_f32_e32 v129, v2, v30
	v_dual_add_f32 v123, v13, v29 :: v_dual_add_f32 v124, v12, v28
	;; [unrolled: 2-line block ×4, first 2 shown]
	v_dual_add_f32 v149, v36, v28 :: v_dual_add_f32 v150, v41, v29
	v_dual_add_f32 v151, v40, v28 :: v_dual_add_f32 v152, v45, v29
	;; [unrolled: 1-line block ×9, first 2 shown]
	s_waitcnt lgkmcnt(0)
	v_dual_add_f32 v166, v47, v31 :: v_dual_add_f32 v173, v12, v32
	v_dual_add_f32 v168, v51, v31 :: v_dual_add_f32 v175, v8, v32
	;; [unrolled: 1-line block ×15, first 2 shown]
	v_add_f32_e32 v194, v39, v35
	v_add_f32_e32 v196, v43, v35
	;; [unrolled: 1-line block ×4, first 2 shown]
	ds_load_b128 v[28:31], v171 offset:8704
	ds_load_b128 v[32:35], v171 offset:8832
	s_waitcnt lgkmcnt(1)
	v_dual_add_f32 v209, v4, v28 :: v_dual_add_f32 v202, v1, v29
	v_add_f32_e32 v211, v36, v28
	v_dual_add_f32 v203, v0, v28 :: v_dual_add_f32 v204, v13, v29
	v_add_f32_e32 v213, v40, v28
	v_dual_add_f32 v205, v12, v28 :: v_dual_add_f32 v206, v9, v29
	v_add_f32_e32 v215, v44, v28
	v_dual_add_f32 v207, v8, v28 :: v_dual_add_f32 v208, v5, v29
	v_dual_add_f32 v217, v48, v28 :: v_dual_add_f32 v210, v37, v29
	;; [unrolled: 1-line block ×10, first 2 shown]
	s_waitcnt lgkmcnt(0)
	v_dual_add_f32 v235, v0, v32 :: v_dual_add_f32 v228, v43, v31
	v_dual_add_f32 v237, v12, v32 :: v_dual_add_f32 v230, v47, v31
	;; [unrolled: 1-line block ×14, first 2 shown]
	v_add_f32_e32 v72, v7, v35
	v_add_f32_e32 v70, v39, v35
	;; [unrolled: 1-line block ×7, first 2 shown]
	ds_load_b128 v[28:31], v171 offset:8960
	ds_load_b128 v[32:35], v171 offset:9088
	s_waitcnt lgkmcnt(1)
	v_add_f32_e32 v77, v41, v29
	v_add_f32_e32 v55, v0, v28
	v_dual_add_f32 v59, v12, v28 :: v_dual_add_f32 v60, v9, v29
	v_add_f32_e32 v69, v40, v28
	v_add_f32_e32 v62, v8, v28
	;; [unrolled: 1-line block ×4, first 2 shown]
	v_dual_add_f32 v64, v44, v28 :: v_dual_add_f32 v79, v14, v30
	v_dual_add_f32 v28, v48, v28 :: v_dual_add_f32 v83, v11, v31
	s_waitcnt lgkmcnt(0)
	v_add_f32_e32 v0, v0, v32
	v_add_f32_e32 v12, v12, v32
	;; [unrolled: 1-line block ×3, first 2 shown]
	v_dual_add_f32 v4, v4, v32 :: v_dual_add_f32 v41, v41, v33
	v_add_f32_e32 v36, v36, v32
	v_add_f32_e32 v40, v40, v32
	;; [unrolled: 1-line block ×4, first 2 shown]
	scratch_load_b32 v48, off, off offset:32 ; 4-byte Folded Reload
	v_add_f32_e32 v53, v1, v29
	v_add_f32_e32 v57, v13, v29
	;; [unrolled: 1-line block ×3, first 2 shown]
	v_dual_add_f32 v68, v37, v29 :: v_dual_add_f32 v65, v2, v30
	v_dual_add_f32 v22, v45, v29 :: v_dual_add_f32 v67, v15, v31
	;; [unrolled: 1-line block ×5, first 2 shown]
	v_add_f32_e32 v9, v9, v33
	v_add_f32_e32 v5, v5, v33
	;; [unrolled: 1-line block ×4, first 2 shown]
	v_dual_add_f32 v33, v49, v33 :: v_dual_add_f32 v66, v3, v31
	v_add_f32_e32 v23, v38, v30
	v_add_f32_e32 v78, v10, v30
	v_dual_add_f32 v80, v7, v31 :: v_dual_add_f32 v25, v42, v30
	v_dual_add_f32 v20, v39, v31 :: v_dual_add_f32 v27, v46, v30
	v_dual_add_f32 v30, v50, v30 :: v_dual_add_f32 v3, v3, v35
	v_dual_add_f32 v2, v2, v34 :: v_dual_add_f32 v11, v11, v35
	v_add_f32_e32 v15, v15, v35
	v_min3_f32 v0, v0, v1, 0x7f7fffff
	v_dual_add_f32 v14, v14, v34 :: v_dual_add_f32 v7, v7, v35
	v_dual_add_f32 v10, v10, v34 :: v_dual_add_f32 v39, v39, v35
	;; [unrolled: 1-line block ×5, first 2 shown]
	v_add_f32_e32 v46, v46, v34
	v_dual_add_f32 v34, v50, v34 :: v_dual_add_f32 v31, v51, v31
	s_waitcnt vmcnt(0)
	v_min3_f32 v48, v146, v48, 0x7f7fffff
	s_delay_alu instid0(VALU_DEP_1)
	v_min3_f32 v146, v144, v141, v48
	s_clause 0x1
	scratch_load_b32 v48, off, off offset:36
	scratch_load_b32 v49, off, off offset:48
	s_waitcnt vmcnt(0)
	v_min3_f32 v48, v49, v48, 0x7f7fffff
	s_delay_alu instid0(VALU_DEP_1)
	v_min3_f32 v144, v130, v142, v48
	s_clause 0x1
	scratch_load_b32 v48, off, off offset:40
	scratch_load_b32 v49, off, off offset:52
	;; [unrolled: 7-line block ×3, first 2 shown]
	s_waitcnt vmcnt(0)
	v_min3_f32 v48, v49, v48, 0x7f7fffff
	s_delay_alu instid0(VALU_DEP_1) | instskip(SKIP_3) | instid1(VALU_DEP_1)
	v_min3_f32 v141, v85, v135, v48
	scratch_load_b32 v48, off, off offset:60 ; 4-byte Folded Reload
	s_waitcnt vmcnt(0)
	v_min3_f32 v48, v137, v48, 0x7f7fffff
	v_min3_f32 v142, v87, v132, v48
	scratch_load_b32 v48, off, off offset:64 ; 4-byte Folded Reload
	s_waitcnt vmcnt(0)
	v_min3_f32 v48, v143, v48, 0x7f7fffff
	s_delay_alu instid0(VALU_DEP_1) | instskip(SKIP_1) | instid1(VALU_DEP_1)
	v_min3_f32 v137, v84, v131, v48
	v_min3_f32 v48, v136, v138, 0x7f7fffff
	;; [unrolled: 1-line block ×4, first 2 shown]
	s_delay_alu instid0(VALU_DEP_1) | instskip(SKIP_3) | instid1(VALU_DEP_3)
	v_min3_f32 v134, v88, v134, v48
	v_min3_f32 v48, v90, v89, 0x7f7fffff
	;; [unrolled: 1-line block ×6, first 2 shown]
	s_delay_alu instid0(VALU_DEP_3) | instskip(SKIP_1) | instid1(VALU_DEP_3)
	v_min3_f32 v87, v14, v15, v0
	v_min3_f32 v0, v8, v9, 0x7f7fffff
	v_min3_f32 v139, v108, v107, v48
	v_min3_f32 v48, v94, v93, 0x7f7fffff
	s_delay_alu instid0(VALU_DEP_3) | instskip(SKIP_1) | instid1(VALU_DEP_3)
	v_min3_f32 v88, v10, v11, v0
	v_min3_f32 v0, v4, v5, 0x7f7fffff
	v_min3_f32 v140, v110, v109, v48
	v_min3_f32 v48, v96, v95, 0x7f7fffff
	;; [unrolled: 5-line block ×6, first 2 shown]
	s_delay_alu instid0(VALU_DEP_3)
	v_min3_f32 v95, v34, v35, v0
	s_clause 0x2
	scratch_load_b32 v0, off, off offset:28
	scratch_load_b32 v1, off, off offset:8
	;; [unrolled: 1-line block ×3, first 2 shown]
	v_min3_f32 v130, v120, v119, v48
	v_min3_f32 v48, v122, v121, 0x7f7fffff
	s_delay_alu instid0(VALU_DEP_1) | instskip(SKIP_1) | instid1(VALU_DEP_1)
	v_min3_f32 v131, v129, v128, v48
	v_min3_f32 v48, v124, v123, 0x7f7fffff
	v_min3_f32 v128, v157, v156, v48
	v_min3_f32 v48, v126, v125, 0x7f7fffff
	s_delay_alu instid0(VALU_DEP_1) | instskip(SKIP_1) | instid1(VALU_DEP_1)
	v_min3_f32 v129, v159, v158, v48
	v_min3_f32 v48, v147, v127, 0x7f7fffff
	;; [unrolled: 5-line block ×20, first 2 shown]
	v_min3_f32 v89, v30, v31, v18
	s_waitcnt vmcnt(0)
	ds_store_2addr_stride64_b32 v74, v1, v2 offset0:16 offset1:20
	s_clause 0x1
	scratch_load_b32 v1, off, off offset:16
	scratch_load_b32 v2, off, off offset:20
	s_waitcnt vmcnt(0)
	ds_store_2addr_stride64_b32 v74, v1, v2 offset0:24 offset1:28
	scratch_load_b32 v1, off, off offset:24 ; 4-byte Folded Reload
	s_waitcnt vmcnt(0)
	ds_store_b32 v0, v1 offset:9216
	s_waitcnt lgkmcnt(0)
	s_waitcnt_vscnt null, 0x0
	s_barrier
	buffer_gl0_inv
	s_cbranch_scc1 .LBB4_12
; %bb.10:
	v_add_nc_u32_e32 v75, 0x2000, v0
	v_add_nc_u32_e32 v78, 0x2400, v0
	s_clause 0x2
	scratch_load_b32 v173, off, off
	scratch_load_b32 v172, off, off offset:4
	scratch_load_b32 v0, off, off offset:68
	v_add_nc_u32_e32 v76, 0x2000, v171
	v_add_nc_u32_e32 v77, 0x1000, v74
	s_ashr_i32 s17, s16, 31
	s_waitcnt vmcnt(2)
	v_lshl_add_u32 v79, v173, 4, 0x1000
	s_waitcnt vmcnt(1)
	v_lshl_add_u32 v80, v172, 4, 0x2400
	s_waitcnt vmcnt(0)
	v_add_nc_u32_e32 v2, 8, v0
	v_add_nc_u32_e32 v4, 12, v0
	s_clause 0x1
	scratch_load_b32 v0, off, off offset:72
	scratch_load_b64 v[5:6], off, off offset:76
	s_waitcnt vmcnt(0)
	v_add_co_u32 v5, vcc_lo, v5, v0
	v_add_co_ci_u32_e32 v6, vcc_lo, 0, v6, vcc_lo
	v_add_co_u32 v82, vcc_lo, s10, v16
	v_mad_i64_i32 v[0:1], null, v2, s16, 0
	v_mad_i64_i32 v[2:3], null, v4, s16, 0
	v_add_co_ci_u32_e32 v83, vcc_lo, s11, v17, vcc_lo
	v_add_co_u32 v4, vcc_lo, v5, s12
	v_add_co_ci_u32_e32 v5, vcc_lo, s13, v6, vcc_lo
	v_lshlrev_b64 v[64:65], 2, v[0:1]
	s_delay_alu instid0(VALU_DEP_3) | instskip(SKIP_1) | instid1(VALU_DEP_4)
	v_add_co_u32 v68, vcc_lo, v4, 48
	v_lshlrev_b64 v[66:67], 2, v[2:3]
	v_add_co_ci_u32_e32 v69, vcc_lo, 0, v5, vcc_lo
	s_add_i32 s10, s8, -8
	s_lshl_b64 s[8:9], s[16:17], 5
	s_mov_b32 s11, 0
.LBB4_11:                               ; =>This Inner Loop Header: Depth=1
	v_add_co_u32 v0, vcc_lo, v82, v64
	v_add_co_ci_u32_e32 v1, vcc_lo, v83, v65, vcc_lo
	s_add_i32 s11, s11, 8
	s_clause 0x3
	flat_load_b32 v147, v[0:1]
	flat_load_b32 v148, v[0:1] offset:256
	flat_load_b32 v149, v[0:1] offset:512
	;; [unrolled: 1-line block ×3, first 2 shown]
	v_add_co_u32 v0, vcc_lo, -16, v68
	v_add_co_ci_u32_e32 v1, vcc_lo, -1, v69, vcc_lo
	s_cmp_ge_i32 s11, s10
	flat_load_b32 v151, v[0:1]
	ds_load_b128 v[28:31], v79
	ds_load_b128 v[24:27], v79 offset:512
	ds_load_b128 v[20:23], v79 offset:1024
	;; [unrolled: 1-line block ×7, first 2 shown]
	ds_load_b128 v[60:63], v80
	ds_load_b128 v[56:59], v80 offset:128
	ds_load_b128 v[52:55], v80 offset:256
	;; [unrolled: 1-line block ×7, first 2 shown]
	s_waitcnt vmcnt(3) lgkmcnt(19)
	ds_store_2addr_stride64_b32 v74, v147, v148 offset1:4
	s_waitcnt vmcnt(1) lgkmcnt(18)
	ds_store_2addr_stride64_b32 v74, v149, v150 offset0:8 offset1:12
	s_waitcnt vmcnt(0) lgkmcnt(18)
	ds_store_b32 v75, v151
	s_waitcnt lgkmcnt(10)
	v_add_f32_e32 v70, v29, v61
	v_add_f32_e32 v72, v28, v60
	s_waitcnt lgkmcnt(0)
	s_barrier
	buffer_gl0_inv
	v_min3_f32 v146, v72, v70, v146
	v_add_f32_e32 v70, v25, v61
	v_add_f32_e32 v72, v24, v60
	s_delay_alu instid0(VALU_DEP_1) | instskip(SKIP_2) | instid1(VALU_DEP_1)
	v_min3_f32 v144, v72, v70, v144
	v_add_f32_e32 v70, v21, v61
	v_add_f32_e32 v72, v20, v60
	v_min3_f32 v145, v72, v70, v145
	v_add_f32_e32 v70, v17, v61
	v_add_f32_e32 v72, v16, v60
	s_delay_alu instid0(VALU_DEP_1) | instskip(SKIP_2) | instid1(VALU_DEP_1)
	v_min3_f32 v152, v72, v70, v141
	v_add_f32_e32 v70, v13, v61
	v_add_f32_e32 v72, v12, v60
	v_min3_f32 v153, v72, v70, v142
	v_add_f32_e32 v70, v9, v61
	v_add_f32_e32 v72, v8, v60
	s_delay_alu instid0(VALU_DEP_1) | instskip(SKIP_3) | instid1(VALU_DEP_2)
	v_min3_f32 v154, v72, v70, v137
	v_add_f32_e32 v70, v5, v61
	v_dual_add_f32 v72, v4, v60 :: v_dual_add_f32 v61, v1, v61
	v_add_f32_e32 v60, v0, v60
	v_min3_f32 v155, v72, v70, v138
	v_add_f32_e32 v70, v4, v36
	s_delay_alu instid0(VALU_DEP_3) | instskip(SKIP_1) | instid1(VALU_DEP_1)
	v_min3_f32 v156, v60, v61, v134
	v_dual_add_f32 v60, v29, v57 :: v_dual_add_f32 v61, v28, v56
	v_min3_f32 v142, v61, v60, v143
	v_dual_add_f32 v60, v25, v57 :: v_dual_add_f32 v61, v24, v56
	s_delay_alu instid0(VALU_DEP_1) | instskip(SKIP_1) | instid1(VALU_DEP_1)
	v_min3_f32 v141, v61, v60, v139
	v_dual_add_f32 v60, v21, v57 :: v_dual_add_f32 v61, v20, v56
	v_min3_f32 v139, v61, v60, v140
	v_dual_add_f32 v60, v17, v57 :: v_dual_add_f32 v61, v16, v56
	s_delay_alu instid0(VALU_DEP_1) | instskip(SKIP_1) | instid1(VALU_DEP_1)
	v_min3_f32 v138, v61, v60, v135
	v_dual_add_f32 v60, v13, v57 :: v_dual_add_f32 v61, v12, v56
	v_min3_f32 v137, v61, v60, v136
	v_dual_add_f32 v60, v9, v57 :: v_dual_add_f32 v61, v8, v56
	s_delay_alu instid0(VALU_DEP_1) | instskip(SKIP_2) | instid1(VALU_DEP_2)
	v_min3_f32 v136, v61, v60, v132
	v_dual_add_f32 v60, v5, v57 :: v_dual_add_f32 v61, v4, v56
	v_dual_add_f32 v57, v1, v57 :: v_dual_add_f32 v56, v0, v56
	v_min3_f32 v135, v61, v60, v133
	s_delay_alu instid0(VALU_DEP_2) | instskip(SKIP_1) | instid1(VALU_DEP_1)
	v_min3_f32 v134, v56, v57, v130
	v_dual_add_f32 v56, v29, v53 :: v_dual_add_f32 v57, v28, v52
	v_min3_f32 v133, v57, v56, v131
	v_dual_add_f32 v56, v25, v53 :: v_dual_add_f32 v57, v24, v52
	s_delay_alu instid0(VALU_DEP_1) | instskip(SKIP_1) | instid1(VALU_DEP_1)
	v_min3_f32 v132, v57, v56, v128
	v_dual_add_f32 v56, v21, v53 :: v_dual_add_f32 v57, v20, v52
	v_min3_f32 v131, v57, v56, v129
	v_dual_add_f32 v56, v17, v53 :: v_dual_add_f32 v57, v16, v52
	s_delay_alu instid0(VALU_DEP_1) | instskip(SKIP_1) | instid1(VALU_DEP_1)
	v_min3_f32 v130, v57, v56, v126
	v_dual_add_f32 v56, v13, v53 :: v_dual_add_f32 v57, v12, v52
	v_min3_f32 v129, v57, v56, v127
	v_dual_add_f32 v56, v9, v53 :: v_dual_add_f32 v57, v8, v52
	s_delay_alu instid0(VALU_DEP_1) | instskip(SKIP_2) | instid1(VALU_DEP_2)
	v_min3_f32 v128, v57, v56, v124
	v_dual_add_f32 v56, v5, v53 :: v_dual_add_f32 v57, v4, v52
	v_dual_add_f32 v53, v1, v53 :: v_dual_add_f32 v52, v0, v52
	v_min3_f32 v127, v57, v56, v125
	s_delay_alu instid0(VALU_DEP_2) | instskip(SKIP_1) | instid1(VALU_DEP_1)
	;; [unrolled: 20-line block ×3, first 2 shown]
	v_min3_f32 v117, v48, v49, v112
	v_dual_add_f32 v48, v29, v45 :: v_dual_add_f32 v49, v28, v44
	v_min3_f32 v116, v49, v48, v119
	v_dual_add_f32 v48, v25, v45 :: v_dual_add_f32 v49, v24, v44
	s_delay_alu instid0(VALU_DEP_1) | instskip(SKIP_1) | instid1(VALU_DEP_1)
	v_min3_f32 v115, v49, v48, v113
	v_dual_add_f32 v48, v21, v45 :: v_dual_add_f32 v49, v20, v44
	v_min3_f32 v113, v49, v48, v114
	v_dual_add_f32 v48, v17, v45 :: v_dual_add_f32 v49, v16, v44
	s_delay_alu instid0(VALU_DEP_1) | instskip(SKIP_1) | instid1(VALU_DEP_1)
	v_min3_f32 v112, v49, v48, v110
	v_dual_add_f32 v48, v13, v45 :: v_dual_add_f32 v49, v12, v44
	v_min3_f32 v111, v49, v48, v111
	v_dual_add_f32 v48, v9, v45 :: v_dual_add_f32 v49, v8, v44
	s_delay_alu instid0(VALU_DEP_1) | instskip(SKIP_2) | instid1(VALU_DEP_1)
	v_min3_f32 v110, v49, v48, v108
	v_dual_add_f32 v48, v5, v45 :: v_dual_add_f32 v49, v4, v44
	v_dual_add_f32 v45, v1, v45 :: v_dual_add_f32 v44, v0, v44
	v_min3_f32 v108, v44, v45, v106
	v_dual_add_f32 v44, v29, v41 :: v_dual_add_f32 v45, v28, v40
	s_delay_alu instid0(VALU_DEP_1) | instskip(SKIP_1) | instid1(VALU_DEP_1)
	v_min3_f32 v107, v45, v44, v107
	v_dual_add_f32 v44, v25, v41 :: v_dual_add_f32 v45, v24, v40
	v_min3_f32 v106, v45, v44, v104
	v_dual_add_f32 v44, v21, v41 :: v_dual_add_f32 v45, v20, v40
	s_delay_alu instid0(VALU_DEP_1) | instskip(SKIP_1) | instid1(VALU_DEP_1)
	v_min3_f32 v104, v45, v44, v105
	;; [unrolled: 5-line block ×3, first 2 shown]
	v_dual_add_f32 v44, v9, v41 :: v_dual_add_f32 v45, v8, v40
	v_min3_f32 v57, v45, v44, v100
	v_dual_add_f32 v44, v5, v41 :: v_dual_add_f32 v45, v4, v40
	v_dual_add_f32 v41, v1, v41 :: v_dual_add_f32 v40, v0, v40
	v_min3_f32 v109, v49, v48, v109
	v_add_f32_e32 v4, v4, v32
	s_delay_alu instid0(VALU_DEP_4) | instskip(NEXT) | instid1(VALU_DEP_4)
	v_min3_f32 v56, v45, v44, v101
	v_min3_f32 v53, v40, v41, v98
	v_dual_add_f32 v40, v29, v37 :: v_dual_add_f32 v41, v28, v36
	v_dual_add_f32 v29, v29, v33 :: v_dual_add_f32 v28, v28, v32
	s_delay_alu instid0(VALU_DEP_2) | instskip(SKIP_1) | instid1(VALU_DEP_3)
	v_min3_f32 v52, v41, v40, v99
	v_dual_add_f32 v40, v25, v37 :: v_dual_add_f32 v41, v24, v36
	v_min3_f32 v28, v28, v29, v90
	v_dual_add_f32 v25, v25, v33 :: v_dual_add_f32 v24, v24, v32
	s_delay_alu instid0(VALU_DEP_3) | instskip(SKIP_2) | instid1(VALU_DEP_4)
	v_min3_f32 v49, v41, v40, v96
	v_dual_add_f32 v40, v21, v37 :: v_dual_add_f32 v41, v20, v36
	v_dual_add_f32 v21, v21, v33 :: v_dual_add_f32 v20, v20, v32
	v_min3_f32 v24, v24, v25, v87
	s_delay_alu instid0(VALU_DEP_3) | instskip(SKIP_1) | instid1(VALU_DEP_4)
	v_min3_f32 v48, v41, v40, v97
	v_dual_add_f32 v40, v17, v37 :: v_dual_add_f32 v41, v16, v36
	v_min3_f32 v20, v20, v21, v88
	v_dual_add_f32 v17, v17, v33 :: v_dual_add_f32 v16, v16, v32
	s_delay_alu instid0(VALU_DEP_3) | instskip(SKIP_2) | instid1(VALU_DEP_2)
	v_min3_f32 v45, v41, v40, v93
	v_dual_add_f32 v40, v13, v37 :: v_dual_add_f32 v41, v12, v36
	v_dual_add_f32 v13, v13, v33 :: v_dual_add_f32 v12, v12, v32
	v_min3_f32 v44, v41, v40, v94
	v_dual_add_f32 v40, v9, v37 :: v_dual_add_f32 v41, v8, v36
	v_add_f32_e32 v36, v0, v36
	v_add_f32_e32 v0, v0, v32
	v_min3_f32 v12, v12, v13, v86
	v_add_f32_e32 v8, v8, v32
	v_min3_f32 v41, v41, v40, v91
	v_add_f32_e32 v40, v5, v37
	v_add_f32_e32 v37, v1, v37
	;; [unrolled: 1-line block ×5, first 2 shown]
	s_delay_alu instid0(VALU_DEP_4) | instskip(NEXT) | instid1(VALU_DEP_4)
	v_min3_f32 v36, v36, v37, v89
	v_min3_f32 v4, v4, v5, v84
	s_delay_alu instid0(VALU_DEP_4) | instskip(SKIP_2) | instid1(VALU_DEP_1)
	v_min3_f32 v0, v0, v1, v95
	v_add_f32_e32 v1, v31, v63
	v_add_f32_e32 v5, v30, v62
	v_min3_f32 v90, v5, v1, v146
	v_add_f32_e32 v1, v27, v63
	v_add_f32_e32 v5, v26, v62
	s_delay_alu instid0(VALU_DEP_1) | instskip(SKIP_2) | instid1(VALU_DEP_1)
	v_min3_f32 v89, v5, v1, v144
	v_add_f32_e32 v1, v23, v63
	v_add_f32_e32 v5, v22, v62
	v_min3_f32 v88, v5, v1, v145
	v_add_f32_e32 v5, v18, v62
	v_add_f32_e32 v1, v19, v63
	v_min3_f32 v40, v70, v40, v92
	s_delay_alu instid0(VALU_DEP_2) | instskip(SKIP_2) | instid1(VALU_DEP_1)
	v_min3_f32 v87, v5, v1, v152
	v_add_f32_e32 v1, v15, v63
	v_add_f32_e32 v5, v14, v62
	v_min3_f32 v86, v5, v1, v153
	v_add_f32_e32 v1, v11, v63
	v_add_f32_e32 v5, v10, v62
	v_min3_f32 v16, v16, v17, v85
	s_delay_alu instid0(VALU_DEP_2) | instskip(SKIP_3) | instid1(VALU_DEP_2)
	v_min3_f32 v85, v5, v1, v154
	v_add_f32_e32 v1, v7, v63
	v_add_f32_e32 v5, v6, v62
	v_min3_f32 v8, v8, v9, v81
	v_min3_f32 v84, v5, v1, v155
	v_add_f32_e32 v1, v3, v63
	v_add_f32_e32 v5, v2, v62
	s_delay_alu instid0(VALU_DEP_1) | instskip(SKIP_2) | instid1(VALU_DEP_1)
	v_min3_f32 v81, v5, v1, v156
	v_add_f32_e32 v1, v31, v59
	v_add_f32_e32 v5, v30, v58
	v_min3_f32 v91, v5, v1, v142
	v_add_f32_e32 v1, v27, v59
	v_add_f32_e32 v5, v26, v58
	s_delay_alu instid0(VALU_DEP_1) | instskip(SKIP_2) | instid1(VALU_DEP_1)
	v_min3_f32 v92, v5, v1, v141
	v_add_f32_e32 v1, v23, v59
	v_add_f32_e32 v5, v22, v58
	;; [unrolled: 7-line block ×24, first 2 shown]
	v_min3_f32 v161, v5, v1, v40
	v_add_f32_e32 v1, v3, v39
	v_add_f32_e32 v5, v2, v38
	;; [unrolled: 1-line block ×3, first 2 shown]
	s_delay_alu instid0(VALU_DEP_2) | instskip(SKIP_2) | instid1(VALU_DEP_1)
	v_min3_f32 v162, v5, v1, v36
	v_add_f32_e32 v1, v31, v35
	v_add_f32_e32 v5, v30, v34
	v_min3_f32 v163, v5, v1, v28
	v_add_f32_e32 v1, v27, v35
	v_add_f32_e32 v5, v26, v34
	s_delay_alu instid0(VALU_DEP_1) | instskip(SKIP_2) | instid1(VALU_DEP_1)
	v_min3_f32 v164, v5, v1, v24
	v_add_f32_e32 v1, v23, v35
	v_add_f32_e32 v5, v22, v34
	v_min3_f32 v165, v5, v1, v20
	v_add_f32_e32 v1, v19, v35
	v_add_f32_e32 v5, v18, v34
	s_delay_alu instid0(VALU_DEP_1) | instskip(SKIP_2) | instid1(VALU_DEP_1)
	;; [unrolled: 7-line block ×3, first 2 shown]
	v_min3_f32 v168, v5, v1, v8
	v_add_f32_e32 v1, v7, v35
	v_add_f32_e32 v5, v6, v34
	v_min3_f32 v169, v5, v1, v4
	v_add_f32_e32 v1, v3, v35
	s_delay_alu instid0(VALU_DEP_1)
	v_min3_f32 v170, v2, v1, v0
	v_add_co_u32 v0, vcc_lo, v82, v66
	v_add_co_ci_u32_e32 v1, vcc_lo, v83, v67, vcc_lo
	s_clause 0x3
	flat_load_b32 v147, v[0:1]
	flat_load_b32 v148, v[0:1] offset:256
	flat_load_b32 v149, v[0:1] offset:512
	;; [unrolled: 1-line block ×3, first 2 shown]
	flat_load_b32 v151, v[68:69]
	ds_load_b128 v[32:35], v71
	ds_load_b128 v[28:31], v71 offset:512
	ds_load_b128 v[24:27], v71 offset:1024
	;; [unrolled: 1-line block ×7, first 2 shown]
	ds_load_b128 v[60:63], v76
	ds_load_b128 v[56:59], v76 offset:128
	ds_load_b128 v[52:55], v76 offset:256
	;; [unrolled: 1-line block ×7, first 2 shown]
	v_add_co_u32 v68, vcc_lo, v68, 32
	v_add_co_ci_u32_e32 v69, vcc_lo, 0, v69, vcc_lo
	v_add_co_u32 v82, vcc_lo, v82, s8
	v_add_co_ci_u32_e32 v83, vcc_lo, s9, v83, vcc_lo
	s_waitcnt vmcnt(3) lgkmcnt(19)
	ds_store_2addr_stride64_b32 v77, v147, v148 offset1:4
	s_waitcnt vmcnt(1) lgkmcnt(18)
	ds_store_2addr_stride64_b32 v77, v149, v150 offset0:8 offset1:12
	s_waitcnt vmcnt(0) lgkmcnt(18)
	ds_store_b32 v78, v151
	s_waitcnt lgkmcnt(10)
	v_dual_add_f32 v104, v33, v61 :: v_dual_add_f32 v105, v32, v60
	s_waitcnt lgkmcnt(0)
	s_barrier
	buffer_gl0_inv
	v_min3_f32 v118, v105, v104, v90
	v_add_f32_e32 v90, v29, v61
	v_add_f32_e32 v104, v28, v60
	s_delay_alu instid0(VALU_DEP_1) | instskip(SKIP_1) | instid1(VALU_DEP_1)
	v_min3_f32 v119, v104, v90, v89
	v_dual_add_f32 v89, v25, v61 :: v_dual_add_f32 v90, v24, v60
	v_min3_f32 v120, v90, v89, v88
	v_dual_add_f32 v88, v21, v61 :: v_dual_add_f32 v89, v20, v60
	s_delay_alu instid0(VALU_DEP_1) | instskip(SKIP_1) | instid1(VALU_DEP_1)
	v_min3_f32 v121, v89, v88, v87
	v_dual_add_f32 v87, v17, v61 :: v_dual_add_f32 v88, v16, v60
	v_min3_f32 v122, v88, v87, v86
	v_dual_add_f32 v86, v9, v61 :: v_dual_add_f32 v87, v8, v60
	s_delay_alu instid0(VALU_DEP_1) | instskip(SKIP_2) | instid1(VALU_DEP_2)
	v_min3_f32 v123, v87, v86, v85
	v_dual_add_f32 v85, v5, v61 :: v_dual_add_f32 v86, v4, v60
	v_dual_add_f32 v61, v1, v61 :: v_dual_add_f32 v60, v0, v60
	v_min3_f32 v124, v86, v85, v84
	s_delay_alu instid0(VALU_DEP_2) | instskip(SKIP_1) | instid1(VALU_DEP_1)
	v_min3_f32 v125, v60, v61, v81
	v_dual_add_f32 v60, v33, v57 :: v_dual_add_f32 v61, v32, v56
	v_min3_f32 v117, v61, v60, v91
	v_dual_add_f32 v60, v29, v57 :: v_dual_add_f32 v61, v28, v56
	s_delay_alu instid0(VALU_DEP_1) | instskip(SKIP_1) | instid1(VALU_DEP_1)
	v_min3_f32 v116, v61, v60, v92
	v_dual_add_f32 v60, v25, v57 :: v_dual_add_f32 v61, v24, v56
	v_min3_f32 v115, v61, v60, v93
	v_dual_add_f32 v60, v21, v57 :: v_dual_add_f32 v61, v20, v56
	s_delay_alu instid0(VALU_DEP_1) | instskip(SKIP_1) | instid1(VALU_DEP_1)
	v_min3_f32 v114, v61, v60, v94
	v_dual_add_f32 v60, v17, v57 :: v_dual_add_f32 v61, v16, v56
	v_min3_f32 v113, v61, v60, v95
	v_dual_add_f32 v60, v9, v57 :: v_dual_add_f32 v61, v8, v56
	s_delay_alu instid0(VALU_DEP_1) | instskip(SKIP_2) | instid1(VALU_DEP_2)
	v_min3_f32 v112, v61, v60, v96
	v_dual_add_f32 v60, v5, v57 :: v_dual_add_f32 v61, v4, v56
	v_dual_add_f32 v57, v1, v57 :: v_dual_add_f32 v56, v0, v56
	v_min3_f32 v111, v61, v60, v97
	s_delay_alu instid0(VALU_DEP_2) | instskip(SKIP_1) | instid1(VALU_DEP_1)
	v_min3_f32 v110, v56, v57, v98
	v_dual_add_f32 v56, v33, v53 :: v_dual_add_f32 v57, v32, v52
	v_min3_f32 v109, v57, v56, v99
	v_dual_add_f32 v56, v29, v53 :: v_dual_add_f32 v57, v28, v52
	;; [unrolled: 20-line block ×5, first 2 shown]
	s_delay_alu instid0(VALU_DEP_1) | instskip(SKIP_1) | instid1(VALU_DEP_1)
	v_min3_f32 v84, v45, v44, v146
	v_dual_add_f32 v44, v25, v41 :: v_dual_add_f32 v45, v24, v40
	v_min3_f32 v81, v45, v44, v152
	v_dual_add_f32 v44, v21, v41 :: v_dual_add_f32 v45, v20, v40
	s_delay_alu instid0(VALU_DEP_1) | instskip(SKIP_1) | instid1(VALU_DEP_1)
	v_min3_f32 v61, v45, v44, v153
	v_dual_add_f32 v44, v17, v41 :: v_dual_add_f32 v45, v16, v40
	v_min3_f32 v60, v45, v44, v154
	v_dual_add_f32 v44, v9, v41 :: v_dual_add_f32 v45, v8, v40
	s_delay_alu instid0(VALU_DEP_1) | instskip(SKIP_2) | instid1(VALU_DEP_2)
	v_min3_f32 v57, v45, v44, v155
	v_dual_add_f32 v44, v5, v41 :: v_dual_add_f32 v45, v4, v40
	v_dual_add_f32 v41, v1, v41 :: v_dual_add_f32 v40, v0, v40
	v_min3_f32 v56, v45, v44, v156
	s_delay_alu instid0(VALU_DEP_2) | instskip(SKIP_2) | instid1(VALU_DEP_2)
	v_min3_f32 v53, v40, v41, v157
	v_dual_add_f32 v40, v33, v37 :: v_dual_add_f32 v41, v32, v36
	v_dual_add_f32 v33, v33, v13 :: v_dual_add_f32 v32, v32, v12
	v_min3_f32 v52, v41, v40, v70
	v_dual_add_f32 v40, v29, v37 :: v_dual_add_f32 v41, v28, v36
	v_add_f32_e32 v70, v4, v36
	v_add_f32_e32 v4, v4, v12
	v_min3_f32 v32, v32, v33, v163
	v_add_f32_e32 v29, v29, v13
	v_min3_f32 v49, v41, v40, v72
	v_dual_add_f32 v40, v25, v37 :: v_dual_add_f32 v41, v24, v36
	v_dual_add_f32 v28, v28, v12 :: v_dual_add_f32 v25, v25, v13
	v_add_f32_e32 v24, v24, v12
	s_delay_alu instid0(VALU_DEP_3) | instskip(SKIP_1) | instid1(VALU_DEP_4)
	v_min3_f32 v48, v41, v40, v73
	v_dual_add_f32 v40, v21, v37 :: v_dual_add_f32 v41, v20, v36
	v_min3_f32 v28, v28, v29, v164
	s_delay_alu instid0(VALU_DEP_4) | instskip(SKIP_1) | instid1(VALU_DEP_4)
	v_min3_f32 v24, v24, v25, v165
	v_dual_add_f32 v21, v21, v13 :: v_dual_add_f32 v20, v20, v12
	v_min3_f32 v45, v41, v40, v158
	v_dual_add_f32 v40, v17, v37 :: v_dual_add_f32 v41, v16, v36
	v_add_f32_e32 v17, v17, v13
	s_delay_alu instid0(VALU_DEP_4) | instskip(SKIP_1) | instid1(VALU_DEP_4)
	v_min3_f32 v20, v20, v21, v166
	v_add_f32_e32 v16, v16, v12
	v_min3_f32 v44, v41, v40, v159
	v_dual_add_f32 v40, v9, v37 :: v_dual_add_f32 v41, v8, v36
	v_add_f32_e32 v36, v0, v36
	v_add_f32_e32 v0, v0, v12
	v_min3_f32 v16, v16, v17, v167
	v_add_f32_e32 v9, v9, v13
	v_min3_f32 v41, v41, v40, v160
	v_add_f32_e32 v40, v5, v37
	v_add_f32_e32 v37, v1, v37
	;; [unrolled: 1-line block ×3, first 2 shown]
	v_dual_add_f32 v1, v1, v13 :: v_dual_add_f32 v8, v8, v12
	s_delay_alu instid0(VALU_DEP_4) | instskip(NEXT) | instid1(VALU_DEP_4)
	v_min3_f32 v40, v70, v40, v161
	v_min3_f32 v36, v36, v37, v162
	s_delay_alu instid0(VALU_DEP_4) | instskip(NEXT) | instid1(VALU_DEP_4)
	v_min3_f32 v4, v4, v5, v169
	v_min3_f32 v0, v0, v1, v170
	v_add_f32_e32 v1, v35, v63
	v_add_f32_e32 v5, v34, v62
	v_min3_f32 v8, v8, v9, v168
	s_delay_alu instid0(VALU_DEP_2) | instskip(SKIP_2) | instid1(VALU_DEP_1)
	v_min3_f32 v146, v5, v1, v118
	v_add_f32_e32 v1, v31, v63
	v_add_f32_e32 v5, v30, v62
	v_min3_f32 v144, v5, v1, v119
	v_add_f32_e32 v1, v27, v63
	v_add_f32_e32 v5, v26, v62
	s_delay_alu instid0(VALU_DEP_1) | instskip(SKIP_2) | instid1(VALU_DEP_1)
	v_min3_f32 v145, v5, v1, v120
	v_add_f32_e32 v1, v23, v63
	v_add_f32_e32 v5, v22, v62
	v_min3_f32 v141, v5, v1, v121
	v_add_f32_e32 v1, v19, v63
	v_add_f32_e32 v5, v18, v62
	s_delay_alu instid0(VALU_DEP_1) | instskip(SKIP_2) | instid1(VALU_DEP_1)
	v_min3_f32 v142, v5, v1, v122
	v_add_f32_e32 v1, v11, v63
	v_add_f32_e32 v5, v10, v62
	v_min3_f32 v137, v5, v1, v123
	v_add_f32_e32 v1, v7, v63
	v_add_f32_e32 v5, v6, v62
	s_delay_alu instid0(VALU_DEP_1) | instskip(SKIP_2) | instid1(VALU_DEP_1)
	v_min3_f32 v138, v5, v1, v124
	v_add_f32_e32 v1, v3, v63
	v_add_f32_e32 v5, v2, v62
	v_min3_f32 v134, v5, v1, v125
	v_add_f32_e32 v1, v35, v59
	v_add_f32_e32 v5, v34, v58
	s_delay_alu instid0(VALU_DEP_1) | instskip(SKIP_2) | instid1(VALU_DEP_1)
	v_min3_f32 v143, v5, v1, v117
	v_add_f32_e32 v1, v31, v59
	v_add_f32_e32 v5, v30, v58
	v_min3_f32 v139, v5, v1, v116
	v_add_f32_e32 v1, v27, v59
	v_add_f32_e32 v5, v26, v58
	s_delay_alu instid0(VALU_DEP_1) | instskip(SKIP_2) | instid1(VALU_DEP_1)
	v_min3_f32 v140, v5, v1, v115
	v_add_f32_e32 v1, v23, v59
	v_add_f32_e32 v5, v22, v58
	v_min3_f32 v135, v5, v1, v114
	v_add_f32_e32 v1, v19, v59
	v_add_f32_e32 v5, v18, v58
	s_delay_alu instid0(VALU_DEP_1) | instskip(SKIP_2) | instid1(VALU_DEP_1)
	v_min3_f32 v136, v5, v1, v113
	v_add_f32_e32 v1, v11, v59
	v_add_f32_e32 v5, v10, v58
	v_min3_f32 v132, v5, v1, v112
	v_add_f32_e32 v1, v7, v59
	v_add_f32_e32 v5, v6, v58
	s_delay_alu instid0(VALU_DEP_1) | instskip(SKIP_2) | instid1(VALU_DEP_1)
	v_min3_f32 v133, v5, v1, v111
	v_add_f32_e32 v1, v3, v59
	v_add_f32_e32 v5, v2, v58
	v_min3_f32 v130, v5, v1, v110
	v_add_f32_e32 v1, v35, v55
	v_add_f32_e32 v5, v34, v54
	s_delay_alu instid0(VALU_DEP_1) | instskip(SKIP_2) | instid1(VALU_DEP_1)
	v_min3_f32 v131, v5, v1, v109
	v_add_f32_e32 v1, v31, v55
	v_add_f32_e32 v5, v30, v54
	v_min3_f32 v128, v5, v1, v108
	v_add_f32_e32 v1, v27, v55
	v_add_f32_e32 v5, v26, v54
	s_delay_alu instid0(VALU_DEP_1) | instskip(SKIP_2) | instid1(VALU_DEP_1)
	v_min3_f32 v129, v5, v1, v107
	v_add_f32_e32 v1, v23, v55
	v_add_f32_e32 v5, v22, v54
	v_min3_f32 v126, v5, v1, v106
	v_add_f32_e32 v1, v19, v55
	v_add_f32_e32 v5, v18, v54
	s_delay_alu instid0(VALU_DEP_1) | instskip(SKIP_2) | instid1(VALU_DEP_1)
	v_min3_f32 v127, v5, v1, v105
	v_add_f32_e32 v1, v11, v55
	v_add_f32_e32 v5, v10, v54
	v_min3_f32 v124, v5, v1, v104
	v_add_f32_e32 v1, v7, v55
	v_add_f32_e32 v5, v6, v54
	s_delay_alu instid0(VALU_DEP_1) | instskip(SKIP_2) | instid1(VALU_DEP_1)
	v_min3_f32 v125, v5, v1, v103
	v_add_f32_e32 v1, v3, v55
	v_add_f32_e32 v5, v2, v54
	v_min3_f32 v122, v5, v1, v102
	v_add_f32_e32 v1, v35, v51
	v_add_f32_e32 v5, v34, v50
	s_delay_alu instid0(VALU_DEP_1) | instskip(SKIP_2) | instid1(VALU_DEP_1)
	v_min3_f32 v123, v5, v1, v101
	v_add_f32_e32 v1, v31, v51
	v_add_f32_e32 v5, v30, v50
	v_min3_f32 v120, v5, v1, v100
	v_add_f32_e32 v1, v27, v51
	v_add_f32_e32 v5, v26, v50
	s_delay_alu instid0(VALU_DEP_1) | instskip(SKIP_2) | instid1(VALU_DEP_1)
	v_min3_f32 v121, v5, v1, v99
	v_add_f32_e32 v1, v23, v51
	v_add_f32_e32 v5, v22, v50
	v_min3_f32 v117, v5, v1, v98
	v_add_f32_e32 v1, v19, v51
	v_add_f32_e32 v5, v18, v50
	s_delay_alu instid0(VALU_DEP_1) | instskip(SKIP_2) | instid1(VALU_DEP_1)
	v_min3_f32 v118, v5, v1, v97
	v_add_f32_e32 v1, v11, v51
	v_add_f32_e32 v5, v10, v50
	v_min3_f32 v115, v5, v1, v96
	v_add_f32_e32 v1, v7, v51
	v_add_f32_e32 v5, v6, v50
	s_delay_alu instid0(VALU_DEP_1) | instskip(SKIP_2) | instid1(VALU_DEP_1)
	v_min3_f32 v116, v5, v1, v95
	v_add_f32_e32 v1, v3, v51
	v_add_f32_e32 v5, v2, v50
	v_min3_f32 v112, v5, v1, v94
	v_add_f32_e32 v1, v35, v47
	v_add_f32_e32 v5, v34, v46
	s_delay_alu instid0(VALU_DEP_1) | instskip(SKIP_2) | instid1(VALU_DEP_1)
	v_min3_f32 v119, v5, v1, v93
	v_add_f32_e32 v1, v31, v47
	v_add_f32_e32 v5, v30, v46
	v_min3_f32 v113, v5, v1, v92
	v_add_f32_e32 v1, v27, v47
	v_add_f32_e32 v5, v26, v46
	s_delay_alu instid0(VALU_DEP_1) | instskip(SKIP_2) | instid1(VALU_DEP_1)
	v_min3_f32 v114, v5, v1, v91
	v_add_f32_e32 v1, v23, v47
	v_add_f32_e32 v5, v22, v46
	v_min3_f32 v110, v5, v1, v90
	v_add_f32_e32 v1, v19, v47
	v_add_f32_e32 v5, v18, v46
	s_delay_alu instid0(VALU_DEP_1) | instskip(SKIP_2) | instid1(VALU_DEP_1)
	v_min3_f32 v111, v5, v1, v89
	v_add_f32_e32 v1, v11, v47
	v_add_f32_e32 v5, v10, v46
	v_min3_f32 v108, v5, v1, v88
	v_add_f32_e32 v1, v7, v47
	v_add_f32_e32 v5, v6, v46
	s_delay_alu instid0(VALU_DEP_1) | instskip(SKIP_2) | instid1(VALU_DEP_1)
	v_min3_f32 v109, v5, v1, v87
	v_add_f32_e32 v1, v3, v47
	v_add_f32_e32 v5, v2, v46
	v_min3_f32 v106, v5, v1, v86
	v_add_f32_e32 v1, v35, v43
	v_add_f32_e32 v5, v34, v42
	s_delay_alu instid0(VALU_DEP_1) | instskip(SKIP_2) | instid1(VALU_DEP_1)
	v_min3_f32 v107, v5, v1, v85
	v_add_f32_e32 v1, v31, v43
	v_add_f32_e32 v5, v30, v42
	v_min3_f32 v104, v5, v1, v84
	v_add_f32_e32 v1, v27, v43
	v_add_f32_e32 v5, v26, v42
	s_delay_alu instid0(VALU_DEP_1) | instskip(SKIP_2) | instid1(VALU_DEP_1)
	v_min3_f32 v105, v5, v1, v81
	v_add_f32_e32 v1, v23, v43
	v_add_f32_e32 v5, v22, v42
	v_min3_f32 v102, v5, v1, v61
	v_add_f32_e32 v1, v19, v43
	v_add_f32_e32 v5, v18, v42
	s_delay_alu instid0(VALU_DEP_1) | instskip(SKIP_2) | instid1(VALU_DEP_1)
	v_min3_f32 v103, v5, v1, v60
	v_add_f32_e32 v1, v11, v43
	v_add_f32_e32 v5, v10, v42
	v_min3_f32 v100, v5, v1, v57
	v_add_f32_e32 v1, v7, v43
	v_add_f32_e32 v5, v6, v42
	s_delay_alu instid0(VALU_DEP_1) | instskip(SKIP_2) | instid1(VALU_DEP_1)
	v_min3_f32 v101, v5, v1, v56
	v_add_f32_e32 v1, v3, v43
	v_add_f32_e32 v5, v2, v42
	v_min3_f32 v98, v5, v1, v53
	v_add_f32_e32 v1, v35, v39
	v_add_f32_e32 v5, v34, v38
	s_delay_alu instid0(VALU_DEP_1) | instskip(SKIP_2) | instid1(VALU_DEP_1)
	v_min3_f32 v99, v5, v1, v52
	v_add_f32_e32 v1, v31, v39
	v_add_f32_e32 v5, v30, v38
	v_min3_f32 v96, v5, v1, v49
	v_add_f32_e32 v1, v27, v39
	v_add_f32_e32 v5, v26, v38
	s_delay_alu instid0(VALU_DEP_1) | instskip(SKIP_2) | instid1(VALU_DEP_1)
	v_min3_f32 v97, v5, v1, v48
	v_add_f32_e32 v1, v23, v39
	v_add_f32_e32 v5, v22, v38
	v_min3_f32 v93, v5, v1, v45
	v_add_f32_e32 v1, v19, v39
	v_add_f32_e32 v5, v18, v38
	s_delay_alu instid0(VALU_DEP_1) | instskip(SKIP_2) | instid1(VALU_DEP_1)
	v_min3_f32 v94, v5, v1, v44
	v_add_f32_e32 v1, v11, v39
	v_add_f32_e32 v5, v10, v38
	v_min3_f32 v91, v5, v1, v41
	v_add_f32_e32 v1, v7, v39
	v_add_f32_e32 v5, v6, v38
	s_delay_alu instid0(VALU_DEP_1) | instskip(SKIP_3) | instid1(VALU_DEP_2)
	v_min3_f32 v92, v5, v1, v40
	v_add_f32_e32 v1, v3, v39
	v_add_f32_e32 v5, v2, v38
	;; [unrolled: 1-line block ×3, first 2 shown]
	v_min3_f32 v89, v5, v1, v36
	v_add_f32_e32 v1, v35, v15
	v_add_f32_e32 v5, v34, v14
	s_delay_alu instid0(VALU_DEP_1) | instskip(SKIP_2) | instid1(VALU_DEP_1)
	v_min3_f32 v90, v5, v1, v32
	v_add_f32_e32 v1, v31, v15
	v_add_f32_e32 v5, v30, v14
	v_min3_f32 v87, v5, v1, v28
	v_add_f32_e32 v1, v27, v15
	v_add_f32_e32 v5, v26, v14
	s_delay_alu instid0(VALU_DEP_1) | instskip(SKIP_2) | instid1(VALU_DEP_1)
	v_min3_f32 v88, v5, v1, v24
	v_add_f32_e32 v1, v23, v15
	v_add_f32_e32 v5, v22, v14
	v_min3_f32 v85, v5, v1, v20
	v_add_f32_e32 v1, v19, v15
	v_add_f32_e32 v5, v18, v14
	s_delay_alu instid0(VALU_DEP_1) | instskip(SKIP_2) | instid1(VALU_DEP_1)
	v_min3_f32 v86, v5, v1, v16
	v_add_f32_e32 v1, v11, v15
	v_add_f32_e32 v5, v10, v14
	v_min3_f32 v81, v5, v1, v8
	v_add_f32_e32 v1, v7, v15
	v_add_f32_e32 v5, v6, v14
	s_delay_alu instid0(VALU_DEP_1) | instskip(SKIP_1) | instid1(VALU_DEP_1)
	v_min3_f32 v84, v5, v1, v4
	v_add_f32_e32 v1, v3, v15
	v_min3_f32 v95, v2, v1, v0
	s_cbranch_scc0 .LBB4_11
	s_branch .LBB4_13
.LBB4_12:
	s_clause 0x1
	scratch_load_b32 v172, off, off offset:4
	scratch_load_b32 v173, off, off
.LBB4_13:
	ds_load_b128 v[32:35], v71 offset:4096
	ds_load_b128 v[60:63], v171 offset:9216
	s_clause 0x2
	s_load_b32 s9, s[0:1], 0x68
	s_load_b32 s8, s[0:1], 0x50
	s_load_b64 s[0:1], s[0:1], 0x70
	s_waitcnt vmcnt(1)
	v_add_nc_u32_e32 v80, s15, v172
	s_waitcnt vmcnt(0)
	v_add_nc_u32_e32 v76, s14, v173
	s_waitcnt lgkmcnt(0)
	s_delay_alu instid0(VALU_DEP_2)
	v_mad_i64_i32 v[2:3], null, v80, s9, 0
	v_add_f32_e32 v7, v32, v60
	v_mad_i64_i32 v[4:5], null, v80, s8, 0
	v_add_f32_e32 v6, v33, v61
	v_dual_add_f32 v9, v34, v62 :: v_dual_add_nc_u32 v0, 32, v76
	v_lshlrev_b64 v[2:3], 2, v[2:3]
	v_add_f32_e32 v8, v35, v63
	s_delay_alu instid0(VALU_DEP_4)
	v_min3_f32 v6, v7, v6, v146
	s_lshl_b64 s[0:1], s[0:1], 2
	v_lshlrev_b64 v[4:5], 2, v[4:5]
	s_add_u32 s0, s6, s0
	v_ashrrev_i32_e32 v77, 31, v76
	s_addc_u32 s1, s7, s1
	v_min3_f32 v6, v9, v8, v6
	v_add_co_u32 v82, vcc_lo, s0, v2
	v_add_co_ci_u32_e32 v83, vcc_lo, s1, v3, vcc_lo
	v_add_co_u32 v146, vcc_lo, s4, v4
	v_lshlrev_b64 v[66:67], 2, v[76:77]
	v_ashrrev_i32_e32 v1, 31, v0
	v_add_co_ci_u32_e32 v147, vcc_lo, s5, v5, vcc_lo
	v_max_f32_e32 v2, v6, v6
	s_mov_b32 vcc_lo, s2
	s_cbranch_vccz .LBB4_15
; %bb.14:
	v_add_co_u32 v3, vcc_lo, v82, v66
	s_delay_alu instid0(VALU_DEP_2)
	v_min_f32_e32 v5, 0, v2
	v_add_co_ci_u32_e32 v4, vcc_lo, v83, v67, vcc_lo
	s_mov_b32 s6, 0
	global_store_b32 v[3:4], v5, off
	s_branch .LBB4_16
.LBB4_15:
	s_mov_b32 s6, -1
.LBB4_16:
	ds_load_b128 v[28:31], v71 offset:4608
	ds_load_b128 v[24:27], v71 offset:5120
	v_lshlrev_b64 v[64:65], 2, v[0:1]
	s_and_not1_b32 vcc_lo, exec_lo, s6
	s_cbranch_vccnz .LBB4_18
; %bb.17:
	v_add_co_u32 v0, vcc_lo, v146, v66
	v_add_co_ci_u32_e32 v1, vcc_lo, v147, v67, vcc_lo
	flat_load_b32 v0, v[0:1]
	s_waitcnt vmcnt(0) lgkmcnt(0)
	v_mul_f32_e32 v3, s3, v0
	v_add_co_u32 v0, vcc_lo, v82, v66
	v_add_co_ci_u32_e32 v1, vcc_lo, v83, v67, vcc_lo
	s_delay_alu instid0(VALU_DEP_3)
	v_min_f32_e32 v4, v3, v2
	v_add_co_u32 v2, vcc_lo, v146, v64
	v_add_co_ci_u32_e32 v3, vcc_lo, v147, v65, vcc_lo
	global_store_b32 v[0:1], v4, off
	flat_load_b32 v0, v[2:3]
	s_waitcnt vmcnt(0) lgkmcnt(0)
	v_mul_f32_e32 v69, s3, v0
	s_branch .LBB4_19
.LBB4_18:
	v_mov_b32_e32 v69, s6
.LBB4_19:
	ds_load_b128 v[20:23], v71 offset:5632
	ds_load_b128 v[16:19], v71 offset:6144
	ds_load_b128 v[12:15], v71 offset:6656
	ds_load_b128 v[8:11], v71 offset:7168
	ds_load_b128 v[0:3], v71 offset:7680
	ds_load_b128 v[56:59], v171 offset:9344
	ds_load_b128 v[52:55], v171 offset:9472
	ds_load_b128 v[48:51], v171 offset:9600
	ds_load_b128 v[44:47], v171 offset:9728
	ds_load_b128 v[40:43], v171 offset:9856
	s_waitcnt lgkmcnt(10)
	v_dual_add_f32 v68, v25, v61 :: v_dual_add_f32 v73, v31, v63
	v_dual_add_f32 v70, v24, v60 :: v_dual_add_f32 v71, v29, v61
	ds_load_b128 v[36:39], v171 offset:9984
	ds_load_b128 v[4:7], v171 offset:10112
	v_dual_add_f32 v72, v28, v60 :: v_dual_add_f32 v75, v27, v63
	v_add_f32_e32 v74, v30, v62
	v_min3_f32 v68, v70, v68, v145
	v_dual_add_f32 v77, v26, v62 :: v_dual_add_nc_u32 v70, 64, v76
	s_delay_alu instid0(VALU_DEP_4) | instskip(NEXT) | instid1(VALU_DEP_4)
	v_min3_f32 v72, v72, v71, v144
	v_min_f32_e32 v73, v74, v73
	s_delay_alu instid0(VALU_DEP_3) | instskip(SKIP_2) | instid1(VALU_DEP_4)
	v_min3_f32 v75, v77, v75, v68
	v_add_nc_u32_e32 v68, 0x60, v76
	v_ashrrev_i32_e32 v71, 31, v70
	v_min3_f32 v77, v69, v73, v72
	v_add_co_u32 v73, vcc_lo, v82, v64
	v_add_co_ci_u32_e32 v74, vcc_lo, v83, v65, vcc_lo
	s_delay_alu instid0(VALU_DEP_4)
	v_lshlrev_b64 v[70:71], 2, v[70:71]
	v_ashrrev_i32_e32 v69, 31, v68
	v_max_f32_e32 v72, v75, v75
	s_mov_b32 vcc_lo, s2
	global_store_b32 v[73:74], v77, off
	s_cbranch_vccz .LBB4_22
; %bb.20:
	v_add_co_u32 v73, vcc_lo, v82, v70
	v_min_f32_e32 v75, 0, v72
	v_add_co_ci_u32_e32 v74, vcc_lo, v83, v71, vcc_lo
	s_mov_b32 s6, 0
	global_store_b32 v[73:74], v75, off
	v_lshlrev_b64 v[68:69], 2, v[68:69]
	s_cbranch_execz .LBB4_23
; %bb.21:
	v_mov_b32_e32 v73, s6
	s_branch .LBB4_24
.LBB4_22:
	s_mov_b32 s6, -1
	v_lshlrev_b64 v[68:69], 2, v[68:69]
.LBB4_23:
	v_add_co_u32 v73, vcc_lo, v146, v70
	v_add_co_ci_u32_e32 v74, vcc_lo, v147, v71, vcc_lo
	flat_load_b32 v73, v[73:74]
	s_waitcnt vmcnt(0) lgkmcnt(0)
	v_mul_f32_e32 v75, s3, v73
	v_add_co_u32 v73, vcc_lo, v82, v70
	v_add_co_ci_u32_e32 v74, vcc_lo, v83, v71, vcc_lo
	v_add_co_u32 v77, vcc_lo, v146, v68
	s_delay_alu instid0(VALU_DEP_4)
	v_min_f32_e32 v72, v75, v72
	v_add_co_ci_u32_e32 v78, vcc_lo, v147, v69, vcc_lo
	global_store_b32 v[73:74], v72, off
	flat_load_b32 v72, v[77:78]
	s_waitcnt vmcnt(0) lgkmcnt(0)
	v_mul_f32_e32 v73, s3, v72
.LBB4_24:
	s_waitcnt lgkmcnt(10)
	v_dual_add_f32 v72, v17, v61 :: v_dual_add_f32 v77, v20, v60
	v_dual_add_f32 v74, v16, v60 :: v_dual_add_f32 v75, v21, v61
	;; [unrolled: 1-line block ×3, first 2 shown]
	v_add_f32_e32 v144, v18, v62
	s_delay_alu instid0(VALU_DEP_3) | instskip(SKIP_4) | instid1(VALU_DEP_4)
	v_min3_f32 v72, v74, v72, v142
	v_add_nc_u32_e32 v74, 0x80, v76
	v_add_f32_e32 v142, v19, v63
	v_min3_f32 v77, v77, v75, v141
	v_min_f32_e32 v78, v79, v78
	v_ashrrev_i32_e32 v75, 31, v74
	s_delay_alu instid0(VALU_DEP_4) | instskip(SKIP_1) | instid1(VALU_DEP_4)
	v_min3_f32 v141, v144, v142, v72
	v_add_nc_u32_e32 v72, 0xa0, v76
	v_min3_f32 v142, v73, v78, v77
	v_add_co_u32 v78, vcc_lo, v82, v68
	s_delay_alu instid0(VALU_DEP_4)
	v_max_f32_e32 v77, v141, v141
	v_lshlrev_b64 v[74:75], 2, v[74:75]
	v_add_co_ci_u32_e32 v79, vcc_lo, v83, v69, vcc_lo
	v_ashrrev_i32_e32 v73, 31, v72
	s_mov_b32 vcc_lo, s2
	global_store_b32 v[78:79], v142, off
	s_cbranch_vccz .LBB4_27
; %bb.25:
	v_add_co_u32 v78, vcc_lo, v82, v74
	v_min_f32_e32 v141, 0, v77
	v_add_co_ci_u32_e32 v79, vcc_lo, v83, v75, vcc_lo
	s_mov_b32 s6, 0
	global_store_b32 v[78:79], v141, off
	v_lshlrev_b64 v[72:73], 2, v[72:73]
	s_cbranch_execz .LBB4_28
; %bb.26:
	v_mov_b32_e32 v77, s6
	s_branch .LBB4_29
.LBB4_27:
	s_mov_b32 s6, -1
	v_lshlrev_b64 v[72:73], 2, v[72:73]
.LBB4_28:
	v_add_co_u32 v78, vcc_lo, v146, v74
	v_add_co_ci_u32_e32 v79, vcc_lo, v147, v75, vcc_lo
	flat_load_b32 v78, v[78:79]
	s_waitcnt vmcnt(0) lgkmcnt(0)
	v_mul_f32_e32 v141, s3, v78
	v_add_co_u32 v78, vcc_lo, v82, v74
	v_add_co_ci_u32_e32 v79, vcc_lo, v83, v75, vcc_lo
	s_delay_alu instid0(VALU_DEP_3)
	v_min_f32_e32 v77, v141, v77
	v_add_co_u32 v141, vcc_lo, v146, v72
	v_add_co_ci_u32_e32 v142, vcc_lo, v147, v73, vcc_lo
	global_store_b32 v[78:79], v77, off
	flat_load_b32 v77, v[141:142]
	s_waitcnt vmcnt(0) lgkmcnt(0)
	v_mul_f32_e32 v77, s3, v77
.LBB4_29:
	s_waitcnt lgkmcnt(8)
	v_dual_add_f32 v78, v9, v61 :: v_dual_add_f32 v79, v8, v60
	v_add_f32_e32 v144, v15, v63
	v_dual_add_f32 v148, v10, v62 :: v_dual_add_f32 v141, v13, v61
	v_add_f32_e32 v142, v12, v60
	s_delay_alu instid0(VALU_DEP_4) | instskip(SKIP_2) | instid1(VALU_DEP_4)
	v_min3_f32 v79, v79, v78, v138
	v_dual_add_f32 v138, v14, v62 :: v_dual_add_f32 v145, v11, v63
	v_add_nc_u32_e32 v78, 0xc0, v76
	v_min3_f32 v137, v142, v141, v137
	v_add_nc_u32_e32 v76, 0xe0, v76
	s_delay_alu instid0(VALU_DEP_4) | instskip(SKIP_3) | instid1(VALU_DEP_4)
	v_min_f32_e32 v138, v138, v144
	v_min3_f32 v144, v148, v145, v79
	v_ashrrev_i32_e32 v79, 31, v78
	v_add_co_u32 v141, vcc_lo, v82, v72
	v_min3_f32 v138, v77, v138, v137
	v_add_co_ci_u32_e32 v142, vcc_lo, v83, v73, vcc_lo
	s_delay_alu instid0(VALU_DEP_4)
	v_lshlrev_b64 v[78:79], 2, v[78:79]
	v_ashrrev_i32_e32 v77, 31, v76
	v_max_f32_e32 v137, v144, v144
	s_mov_b32 vcc_lo, s2
	global_store_b32 v[141:142], v138, off
	s_cbranch_vccz .LBB4_32
; %bb.30:
	v_add_co_u32 v141, vcc_lo, v82, v78
	v_min_f32_e32 v138, 0, v137
	v_add_co_ci_u32_e32 v142, vcc_lo, v83, v79, vcc_lo
	s_mov_b32 s6, 0
	global_store_b32 v[141:142], v138, off
	v_lshlrev_b64 v[76:77], 2, v[76:77]
	s_cbranch_execz .LBB4_33
; %bb.31:
	v_mov_b32_e32 v137, s6
	s_branch .LBB4_34
.LBB4_32:
	s_mov_b32 s6, -1
	v_lshlrev_b64 v[76:77], 2, v[76:77]
.LBB4_33:
	v_add_co_u32 v141, vcc_lo, v146, v78
	v_add_co_ci_u32_e32 v142, vcc_lo, v147, v79, vcc_lo
	flat_load_b32 v138, v[141:142]
	v_add_co_u32 v141, vcc_lo, v82, v78
	v_add_co_ci_u32_e32 v142, vcc_lo, v83, v79, vcc_lo
	s_waitcnt vmcnt(0) lgkmcnt(0)
	v_mul_f32_e32 v138, s3, v138
	s_delay_alu instid0(VALU_DEP_1)
	v_min_f32_e32 v144, v138, v137
	v_add_co_u32 v137, vcc_lo, v146, v76
	v_add_co_ci_u32_e32 v138, vcc_lo, v147, v77, vcc_lo
	global_store_b32 v[141:142], v144, off
	flat_load_b32 v137, v[137:138]
	s_waitcnt vmcnt(0) lgkmcnt(0)
	v_mul_f32_e32 v137, s3, v137
.LBB4_34:
	s_waitcnt lgkmcnt(6)
	v_dual_add_f32 v138, v33, v57 :: v_dual_add_f32 v141, v32, v56
	v_dual_add_f32 v61, v1, v61 :: v_dual_add_f32 v60, v0, v60
	;; [unrolled: 1-line block ×3, first 2 shown]
	s_delay_alu instid0(VALU_DEP_3) | instskip(SKIP_1) | instid1(VALU_DEP_4)
	v_min3_f32 v138, v141, v138, v143
	v_add_nc_u32_e32 v141, 8, v80
	v_min3_f32 v134, v60, v61, v134
	v_dual_add_f32 v142, v35, v59 :: v_dual_add_f32 v143, v34, v58
	v_min_f32_e32 v144, v62, v63
	s_delay_alu instid0(VALU_DEP_4) | instskip(SKIP_1) | instid1(VALU_DEP_3)
	v_mad_i64_i32 v[60:61], null, v141, s9, 0
	v_mad_i64_i32 v[62:63], null, v141, s8, 0
	v_min3_f32 v134, v137, v144, v134
	v_add_co_u32 v137, vcc_lo, v82, v76
	v_min3_f32 v141, v143, v142, v138
	v_lshlrev_b64 v[60:61], 2, v[60:61]
	v_add_co_ci_u32_e32 v138, vcc_lo, v83, v77, vcc_lo
	v_lshlrev_b64 v[62:63], 2, v[62:63]
	s_delay_alu instid0(VALU_DEP_4) | instskip(NEXT) | instid1(VALU_DEP_4)
	v_max_f32_e32 v82, v141, v141
	v_add_co_u32 v60, vcc_lo, s0, v60
	v_add_co_ci_u32_e32 v61, vcc_lo, s1, v61, vcc_lo
	s_delay_alu instid0(VALU_DEP_4)
	v_add_co_u32 v62, vcc_lo, s4, v62
	v_add_co_ci_u32_e32 v63, vcc_lo, s5, v63, vcc_lo
	s_mov_b32 vcc_lo, s2
	global_store_b32 v[137:138], v134, off
	s_cbranch_vccz .LBB4_37
; %bb.35:
	v_add_co_u32 v137, vcc_lo, v60, v66
	v_min_f32_e32 v83, 0, v82
	v_add_co_ci_u32_e32 v138, vcc_lo, v61, v67, vcc_lo
	s_mov_b32 s6, 0
	global_store_b32 v[137:138], v83, off
	s_cbranch_execz .LBB4_38
; %bb.36:
	v_mov_b32_e32 v82, s6
	s_branch .LBB4_39
.LBB4_37:
	s_mov_b32 s6, -1
.LBB4_38:
	v_add_co_u32 v137, vcc_lo, v62, v66
	v_add_co_ci_u32_e32 v138, vcc_lo, v63, v67, vcc_lo
	flat_load_b32 v83, v[137:138]
	v_add_co_u32 v137, vcc_lo, v60, v66
	v_add_co_ci_u32_e32 v138, vcc_lo, v61, v67, vcc_lo
	s_waitcnt vmcnt(0) lgkmcnt(0)
	v_mul_f32_e32 v83, s3, v83
	s_delay_alu instid0(VALU_DEP_1)
	v_min_f32_e32 v134, v83, v82
	v_add_co_u32 v82, vcc_lo, v62, v64
	v_add_co_ci_u32_e32 v83, vcc_lo, v63, v65, vcc_lo
	global_store_b32 v[137:138], v134, off
	flat_load_b32 v82, v[82:83]
	s_waitcnt vmcnt(0) lgkmcnt(0)
	v_mul_f32_e32 v82, s3, v82
.LBB4_39:
	v_dual_add_f32 v83, v29, v57 :: v_dual_add_f32 v134, v28, v56
	v_dual_add_f32 v137, v25, v57 :: v_dual_add_f32 v138, v24, v56
	;; [unrolled: 1-line block ×3, first 2 shown]
	s_delay_alu instid0(VALU_DEP_3) | instskip(NEXT) | instid1(VALU_DEP_3)
	v_min3_f32 v83, v134, v83, v139
	v_min3_f32 v134, v138, v137, v140
	v_dual_add_f32 v137, v27, v59 :: v_dual_add_f32 v138, v26, v58
	s_delay_alu instid0(VALU_DEP_4) | instskip(NEXT) | instid1(VALU_DEP_2)
	v_min_f32_e32 v139, v142, v141
	v_min3_f32 v134, v138, v137, v134
	v_add_co_u32 v137, vcc_lo, v60, v64
	s_delay_alu instid0(VALU_DEP_3) | instskip(SKIP_1) | instid1(VALU_DEP_4)
	v_min3_f32 v83, v82, v139, v83
	v_add_co_ci_u32_e32 v138, vcc_lo, v61, v65, vcc_lo
	v_max_f32_e32 v82, v134, v134
	s_mov_b32 vcc_lo, s2
	global_store_b32 v[137:138], v83, off
	s_cbranch_vccz .LBB4_42
; %bb.40:
	v_add_co_u32 v137, vcc_lo, v60, v70
	v_min_f32_e32 v83, 0, v82
	v_add_co_ci_u32_e32 v138, vcc_lo, v61, v71, vcc_lo
	s_mov_b32 s6, 0
	global_store_b32 v[137:138], v83, off
	s_cbranch_execz .LBB4_43
; %bb.41:
	v_mov_b32_e32 v82, s6
	s_branch .LBB4_44
.LBB4_42:
	s_mov_b32 s6, -1
.LBB4_43:
	v_add_co_u32 v137, vcc_lo, v62, v70
	v_add_co_ci_u32_e32 v138, vcc_lo, v63, v71, vcc_lo
	flat_load_b32 v83, v[137:138]
	v_add_co_u32 v137, vcc_lo, v60, v70
	v_add_co_ci_u32_e32 v138, vcc_lo, v61, v71, vcc_lo
	s_waitcnt vmcnt(0) lgkmcnt(0)
	v_mul_f32_e32 v83, s3, v83
	s_delay_alu instid0(VALU_DEP_1)
	v_min_f32_e32 v134, v83, v82
	v_add_co_u32 v82, vcc_lo, v62, v68
	v_add_co_ci_u32_e32 v83, vcc_lo, v63, v69, vcc_lo
	global_store_b32 v[137:138], v134, off
	flat_load_b32 v82, v[82:83]
	s_waitcnt vmcnt(0) lgkmcnt(0)
	v_mul_f32_e32 v82, s3, v82
.LBB4_44:
	v_dual_add_f32 v83, v21, v57 :: v_dual_add_f32 v134, v20, v56
	v_dual_add_f32 v137, v17, v57 :: v_dual_add_f32 v138, v16, v56
	;; [unrolled: 1-line block ×3, first 2 shown]
	s_delay_alu instid0(VALU_DEP_3) | instskip(SKIP_1) | instid1(VALU_DEP_4)
	v_min3_f32 v83, v134, v83, v135
	v_add_f32_e32 v135, v19, v59
	v_min3_f32 v134, v138, v137, v136
	s_delay_alu instid0(VALU_DEP_4) | instskip(NEXT) | instid1(VALU_DEP_1)
	v_dual_add_f32 v136, v18, v58 :: v_dual_min_f32 v137, v140, v139
	v_min3_f32 v136, v136, v135, v134
	v_add_co_u32 v134, vcc_lo, v60, v68
	s_delay_alu instid0(VALU_DEP_3) | instskip(SKIP_1) | instid1(VALU_DEP_4)
	v_min3_f32 v83, v82, v137, v83
	v_add_co_ci_u32_e32 v135, vcc_lo, v61, v69, vcc_lo
	v_max_f32_e32 v82, v136, v136
	s_mov_b32 vcc_lo, s2
	global_store_b32 v[134:135], v83, off
	s_cbranch_vccz .LBB4_47
; %bb.45:
	v_add_co_u32 v134, vcc_lo, v60, v74
	v_min_f32_e32 v83, 0, v82
	v_add_co_ci_u32_e32 v135, vcc_lo, v61, v75, vcc_lo
	s_mov_b32 s6, 0
	global_store_b32 v[134:135], v83, off
	s_cbranch_execz .LBB4_48
; %bb.46:
	v_mov_b32_e32 v82, s6
	s_branch .LBB4_49
.LBB4_47:
	s_mov_b32 s6, -1
.LBB4_48:
	v_add_co_u32 v134, vcc_lo, v62, v74
	v_add_co_ci_u32_e32 v135, vcc_lo, v63, v75, vcc_lo
	flat_load_b32 v83, v[134:135]
	v_add_co_u32 v134, vcc_lo, v60, v74
	v_add_co_ci_u32_e32 v135, vcc_lo, v61, v75, vcc_lo
	s_waitcnt vmcnt(0) lgkmcnt(0)
	v_mul_f32_e32 v83, s3, v83
	s_delay_alu instid0(VALU_DEP_1)
	v_min_f32_e32 v136, v83, v82
	v_add_co_u32 v82, vcc_lo, v62, v72
	v_add_co_ci_u32_e32 v83, vcc_lo, v63, v73, vcc_lo
	global_store_b32 v[134:135], v136, off
	flat_load_b32 v82, v[82:83]
	s_waitcnt vmcnt(0) lgkmcnt(0)
	v_mul_f32_e32 v82, s3, v82
.LBB4_49:
	v_dual_add_f32 v83, v13, v57 :: v_dual_add_f32 v134, v12, v56
	v_dual_add_f32 v135, v9, v57 :: v_dual_add_f32 v136, v8, v56
	v_dual_add_f32 v137, v15, v59 :: v_dual_add_f32 v138, v14, v58
	s_delay_alu instid0(VALU_DEP_3) | instskip(SKIP_1) | instid1(VALU_DEP_4)
	v_min3_f32 v83, v134, v83, v132
	v_add_f32_e32 v134, v10, v58
	v_min3_f32 v132, v136, v135, v133
	v_add_f32_e32 v133, v11, v59
	v_min_f32_e32 v135, v138, v137
	s_delay_alu instid0(VALU_DEP_2) | instskip(SKIP_1) | instid1(VALU_DEP_3)
	v_min3_f32 v134, v134, v133, v132
	v_add_co_u32 v132, vcc_lo, v60, v72
	v_min3_f32 v83, v82, v135, v83
	v_add_co_ci_u32_e32 v133, vcc_lo, v61, v73, vcc_lo
	s_delay_alu instid0(VALU_DEP_4)
	v_max_f32_e32 v82, v134, v134
	s_mov_b32 vcc_lo, s2
	global_store_b32 v[132:133], v83, off
	s_cbranch_vccz .LBB4_52
; %bb.50:
	v_add_co_u32 v132, vcc_lo, v60, v78
	v_min_f32_e32 v83, 0, v82
	v_add_co_ci_u32_e32 v133, vcc_lo, v61, v79, vcc_lo
	s_mov_b32 s6, 0
	global_store_b32 v[132:133], v83, off
	s_cbranch_execz .LBB4_53
; %bb.51:
	v_mov_b32_e32 v62, s6
	s_branch .LBB4_54
.LBB4_52:
	s_mov_b32 s6, -1
.LBB4_53:
	v_add_co_u32 v132, vcc_lo, v62, v78
	v_add_co_ci_u32_e32 v133, vcc_lo, v63, v79, vcc_lo
	flat_load_b32 v83, v[132:133]
	v_add_co_u32 v132, vcc_lo, v60, v78
	v_add_co_ci_u32_e32 v133, vcc_lo, v61, v79, vcc_lo
	v_add_co_u32 v62, vcc_lo, v62, v76
	v_add_co_ci_u32_e32 v63, vcc_lo, v63, v77, vcc_lo
	s_waitcnt vmcnt(0) lgkmcnt(0)
	v_mul_f32_e32 v83, s3, v83
	s_delay_alu instid0(VALU_DEP_1)
	v_min_f32_e32 v82, v83, v82
	global_store_b32 v[132:133], v82, off
	flat_load_b32 v62, v[62:63]
	s_waitcnt vmcnt(0) lgkmcnt(0)
	v_mul_f32_e32 v62, s3, v62
.LBB4_54:
	s_waitcnt lgkmcnt(5)
	v_dual_add_f32 v63, v33, v53 :: v_dual_add_f32 v82, v32, v52
	v_dual_add_f32 v57, v1, v57 :: v_dual_add_f32 v56, v0, v56
	;; [unrolled: 1-line block ×3, first 2 shown]
	s_delay_alu instid0(VALU_DEP_3) | instskip(SKIP_1) | instid1(VALU_DEP_4)
	v_min3_f32 v63, v82, v63, v131
	v_add_nc_u32_e32 v82, 16, v80
	v_min3_f32 v83, v56, v57, v130
	v_dual_add_f32 v130, v35, v55 :: v_dual_add_f32 v131, v34, v54
	v_min_f32_e32 v132, v58, v59
	s_delay_alu instid0(VALU_DEP_4) | instskip(SKIP_1) | instid1(VALU_DEP_3)
	v_mad_i64_i32 v[56:57], null, v82, s9, 0
	v_mad_i64_i32 v[58:59], null, v82, s8, 0
	v_min3_f32 v83, v62, v132, v83
	v_add_co_u32 v62, vcc_lo, v60, v76
	v_min3_f32 v82, v131, v130, v63
	v_lshlrev_b64 v[56:57], 2, v[56:57]
	v_add_co_ci_u32_e32 v63, vcc_lo, v61, v77, vcc_lo
	v_lshlrev_b64 v[58:59], 2, v[58:59]
	s_delay_alu instid0(VALU_DEP_4) | instskip(NEXT) | instid1(VALU_DEP_4)
	v_max_f32_e32 v60, v82, v82
	v_add_co_u32 v56, vcc_lo, s0, v56
	v_add_co_ci_u32_e32 v57, vcc_lo, s1, v57, vcc_lo
	s_delay_alu instid0(VALU_DEP_4)
	v_add_co_u32 v58, vcc_lo, s4, v58
	v_add_co_ci_u32_e32 v59, vcc_lo, s5, v59, vcc_lo
	s_mov_b32 vcc_lo, s2
	global_store_b32 v[62:63], v83, off
	s_cbranch_vccz .LBB4_57
; %bb.55:
	v_add_co_u32 v61, vcc_lo, v56, v66
	v_min_f32_e32 v63, 0, v60
	v_add_co_ci_u32_e32 v62, vcc_lo, v57, v67, vcc_lo
	s_mov_b32 s6, 0
	global_store_b32 v[61:62], v63, off
	s_cbranch_execz .LBB4_58
; %bb.56:
	v_mov_b32_e32 v60, s6
	s_branch .LBB4_59
.LBB4_57:
	s_mov_b32 s6, -1
.LBB4_58:
	v_add_co_u32 v61, vcc_lo, v58, v66
	v_add_co_ci_u32_e32 v62, vcc_lo, v59, v67, vcc_lo
	flat_load_b32 v61, v[61:62]
	s_waitcnt vmcnt(0) lgkmcnt(0)
	v_mul_f32_e32 v63, s3, v61
	v_add_co_u32 v61, vcc_lo, v56, v66
	v_add_co_ci_u32_e32 v62, vcc_lo, v57, v67, vcc_lo
	v_add_co_u32 v82, vcc_lo, v58, v64
	s_delay_alu instid0(VALU_DEP_4)
	v_min_f32_e32 v60, v63, v60
	v_add_co_ci_u32_e32 v83, vcc_lo, v59, v65, vcc_lo
	global_store_b32 v[61:62], v60, off
	flat_load_b32 v60, v[82:83]
	s_waitcnt vmcnt(0) lgkmcnt(0)
	v_mul_f32_e32 v60, s3, v60
.LBB4_59:
	v_dual_add_f32 v61, v29, v53 :: v_dual_add_f32 v62, v28, v52
	v_dual_add_f32 v63, v25, v53 :: v_dual_add_f32 v82, v24, v52
	v_dual_add_f32 v83, v31, v55 :: v_dual_add_f32 v130, v30, v54
	s_delay_alu instid0(VALU_DEP_3) | instskip(NEXT) | instid1(VALU_DEP_3)
	v_min3_f32 v61, v62, v61, v128
	v_min3_f32 v62, v82, v63, v129
	v_dual_add_f32 v63, v27, v55 :: v_dual_add_f32 v82, v26, v54
	s_delay_alu instid0(VALU_DEP_4) | instskip(NEXT) | instid1(VALU_DEP_2)
	v_min_f32_e32 v83, v130, v83
	v_min3_f32 v63, v82, v63, v62
	s_delay_alu instid0(VALU_DEP_2) | instskip(SKIP_2) | instid1(VALU_DEP_4)
	v_min3_f32 v82, v60, v83, v61
	v_add_co_u32 v61, vcc_lo, v56, v64
	v_add_co_ci_u32_e32 v62, vcc_lo, v57, v65, vcc_lo
	v_max_f32_e32 v60, v63, v63
	s_mov_b32 vcc_lo, s2
	global_store_b32 v[61:62], v82, off
	s_cbranch_vccz .LBB4_62
; %bb.60:
	v_add_co_u32 v61, vcc_lo, v56, v70
	v_min_f32_e32 v63, 0, v60
	v_add_co_ci_u32_e32 v62, vcc_lo, v57, v71, vcc_lo
	s_mov_b32 s6, 0
	global_store_b32 v[61:62], v63, off
	s_cbranch_execz .LBB4_63
; %bb.61:
	v_mov_b32_e32 v60, s6
	s_branch .LBB4_64
.LBB4_62:
	s_mov_b32 s6, -1
.LBB4_63:
	v_add_co_u32 v61, vcc_lo, v58, v70
	v_add_co_ci_u32_e32 v62, vcc_lo, v59, v71, vcc_lo
	flat_load_b32 v61, v[61:62]
	s_waitcnt vmcnt(0) lgkmcnt(0)
	v_mul_f32_e32 v63, s3, v61
	v_add_co_u32 v61, vcc_lo, v56, v70
	v_add_co_ci_u32_e32 v62, vcc_lo, v57, v71, vcc_lo
	v_add_co_u32 v82, vcc_lo, v58, v68
	s_delay_alu instid0(VALU_DEP_4)
	v_min_f32_e32 v60, v63, v60
	v_add_co_ci_u32_e32 v83, vcc_lo, v59, v69, vcc_lo
	global_store_b32 v[61:62], v60, off
	flat_load_b32 v60, v[82:83]
	s_waitcnt vmcnt(0) lgkmcnt(0)
	v_mul_f32_e32 v60, s3, v60
.LBB4_64:
	v_dual_add_f32 v61, v21, v53 :: v_dual_add_f32 v62, v20, v52
	v_dual_add_f32 v63, v17, v53 :: v_dual_add_f32 v82, v16, v52
	v_dual_add_f32 v83, v23, v55 :: v_dual_add_f32 v128, v22, v54
	s_delay_alu instid0(VALU_DEP_3) | instskip(NEXT) | instid1(VALU_DEP_3)
	v_min3_f32 v61, v62, v61, v126
	v_min3_f32 v62, v82, v63, v127
	v_dual_add_f32 v63, v19, v55 :: v_dual_add_f32 v82, v18, v54
	s_delay_alu instid0(VALU_DEP_4) | instskip(NEXT) | instid1(VALU_DEP_2)
	v_min_f32_e32 v83, v128, v83
	v_min3_f32 v63, v82, v63, v62
	s_delay_alu instid0(VALU_DEP_2) | instskip(SKIP_2) | instid1(VALU_DEP_4)
	v_min3_f32 v82, v60, v83, v61
	v_add_co_u32 v61, vcc_lo, v56, v68
	v_add_co_ci_u32_e32 v62, vcc_lo, v57, v69, vcc_lo
	v_max_f32_e32 v60, v63, v63
	;; [unrolled: 47-line block ×3, first 2 shown]
	s_mov_b32 vcc_lo, s2
	global_store_b32 v[61:62], v82, off
	s_cbranch_vccz .LBB4_72
; %bb.70:
	v_add_co_u32 v61, vcc_lo, v56, v78
	v_min_f32_e32 v63, 0, v60
	v_add_co_ci_u32_e32 v62, vcc_lo, v57, v79, vcc_lo
	s_mov_b32 s6, 0
	global_store_b32 v[61:62], v63, off
	s_cbranch_execz .LBB4_73
; %bb.71:
	v_mov_b32_e32 v58, s6
	s_branch .LBB4_74
.LBB4_72:
	s_mov_b32 s6, -1
.LBB4_73:
	v_add_co_u32 v61, vcc_lo, v58, v78
	v_add_co_ci_u32_e32 v62, vcc_lo, v59, v79, vcc_lo
	flat_load_b32 v61, v[61:62]
	s_waitcnt vmcnt(0) lgkmcnt(0)
	v_mul_f32_e32 v63, s3, v61
	v_add_co_u32 v61, vcc_lo, v56, v78
	v_add_co_ci_u32_e32 v62, vcc_lo, v57, v79, vcc_lo
	v_add_co_u32 v58, vcc_lo, v58, v76
	s_delay_alu instid0(VALU_DEP_4)
	v_min_f32_e32 v60, v63, v60
	v_add_co_ci_u32_e32 v59, vcc_lo, v59, v77, vcc_lo
	global_store_b32 v[61:62], v60, off
	flat_load_b32 v58, v[58:59]
	s_waitcnt vmcnt(0) lgkmcnt(0)
	v_mul_f32_e32 v58, s3, v58
.LBB4_74:
	s_waitcnt lgkmcnt(4)
	v_dual_add_f32 v59, v33, v49 :: v_dual_add_f32 v60, v32, v48
	v_dual_add_f32 v53, v1, v53 :: v_dual_add_f32 v52, v0, v52
	;; [unrolled: 1-line block ×3, first 2 shown]
	s_delay_alu instid0(VALU_DEP_3) | instskip(SKIP_1) | instid1(VALU_DEP_4)
	v_min3_f32 v59, v60, v59, v123
	v_add_nc_u32_e32 v60, 24, v80
	v_min3_f32 v61, v52, v53, v122
	v_dual_add_f32 v62, v35, v51 :: v_dual_add_f32 v63, v34, v50
	v_min_f32_e32 v82, v54, v55
	s_delay_alu instid0(VALU_DEP_4) | instskip(SKIP_1) | instid1(VALU_DEP_3)
	v_mad_i64_i32 v[52:53], null, v60, s9, 0
	v_mad_i64_i32 v[54:55], null, v60, s8, 0
	v_min3_f32 v61, v58, v82, v61
	v_add_co_u32 v58, vcc_lo, v56, v76
	v_min3_f32 v60, v63, v62, v59
	v_lshlrev_b64 v[52:53], 2, v[52:53]
	v_add_co_ci_u32_e32 v59, vcc_lo, v57, v77, vcc_lo
	v_lshlrev_b64 v[54:55], 2, v[54:55]
	s_delay_alu instid0(VALU_DEP_4) | instskip(NEXT) | instid1(VALU_DEP_4)
	v_max_f32_e32 v56, v60, v60
	v_add_co_u32 v52, vcc_lo, s0, v52
	v_add_co_ci_u32_e32 v53, vcc_lo, s1, v53, vcc_lo
	s_delay_alu instid0(VALU_DEP_4)
	v_add_co_u32 v54, vcc_lo, s4, v54
	v_add_co_ci_u32_e32 v55, vcc_lo, s5, v55, vcc_lo
	s_mov_b32 vcc_lo, s2
	global_store_b32 v[58:59], v61, off
	s_cbranch_vccz .LBB4_77
; %bb.75:
	v_add_co_u32 v57, vcc_lo, v52, v66
	v_min_f32_e32 v59, 0, v56
	v_add_co_ci_u32_e32 v58, vcc_lo, v53, v67, vcc_lo
	s_mov_b32 s6, 0
	global_store_b32 v[57:58], v59, off
	s_cbranch_execz .LBB4_78
; %bb.76:
	v_mov_b32_e32 v56, s6
	s_branch .LBB4_79
.LBB4_77:
	s_mov_b32 s6, -1
.LBB4_78:
	v_add_co_u32 v57, vcc_lo, v54, v66
	v_add_co_ci_u32_e32 v58, vcc_lo, v55, v67, vcc_lo
	flat_load_b32 v57, v[57:58]
	s_waitcnt vmcnt(0) lgkmcnt(0)
	v_mul_f32_e32 v59, s3, v57
	v_add_co_u32 v57, vcc_lo, v52, v66
	v_add_co_ci_u32_e32 v58, vcc_lo, v53, v67, vcc_lo
	s_delay_alu instid0(VALU_DEP_3)
	v_min_f32_e32 v56, v59, v56
	v_add_co_u32 v59, vcc_lo, v54, v64
	v_add_co_ci_u32_e32 v60, vcc_lo, v55, v65, vcc_lo
	global_store_b32 v[57:58], v56, off
	flat_load_b32 v56, v[59:60]
	s_waitcnt vmcnt(0) lgkmcnt(0)
	v_mul_f32_e32 v56, s3, v56
.LBB4_79:
	v_dual_add_f32 v57, v29, v49 :: v_dual_add_f32 v58, v28, v48
	v_dual_add_f32 v59, v25, v49 :: v_dual_add_f32 v60, v24, v48
	v_dual_add_f32 v61, v31, v51 :: v_dual_add_f32 v62, v30, v50
	s_delay_alu instid0(VALU_DEP_3) | instskip(NEXT) | instid1(VALU_DEP_3)
	v_min3_f32 v57, v58, v57, v120
	v_min3_f32 v58, v60, v59, v121
	v_dual_add_f32 v59, v27, v51 :: v_dual_add_f32 v60, v26, v50
	s_delay_alu instid0(VALU_DEP_1) | instskip(SKIP_1) | instid1(VALU_DEP_1)
	v_min3_f32 v59, v60, v59, v58
	v_min_f32_e32 v61, v62, v61
	v_min3_f32 v60, v56, v61, v57
	s_delay_alu instid0(VALU_DEP_3)
	v_max_f32_e32 v56, v59, v59
	v_add_co_u32 v57, vcc_lo, v52, v64
	v_add_co_ci_u32_e32 v58, vcc_lo, v53, v65, vcc_lo
	s_mov_b32 vcc_lo, s2
	global_store_b32 v[57:58], v60, off
	s_cbranch_vccz .LBB4_82
; %bb.80:
	v_add_co_u32 v57, vcc_lo, v52, v70
	v_min_f32_e32 v59, 0, v56
	v_add_co_ci_u32_e32 v58, vcc_lo, v53, v71, vcc_lo
	s_mov_b32 s6, 0
	global_store_b32 v[57:58], v59, off
	s_cbranch_execz .LBB4_83
; %bb.81:
	v_mov_b32_e32 v56, s6
	s_branch .LBB4_84
.LBB4_82:
	s_mov_b32 s6, -1
.LBB4_83:
	v_add_co_u32 v57, vcc_lo, v54, v70
	v_add_co_ci_u32_e32 v58, vcc_lo, v55, v71, vcc_lo
	flat_load_b32 v57, v[57:58]
	s_waitcnt vmcnt(0) lgkmcnt(0)
	v_mul_f32_e32 v59, s3, v57
	v_add_co_u32 v57, vcc_lo, v52, v70
	v_add_co_ci_u32_e32 v58, vcc_lo, v53, v71, vcc_lo
	s_delay_alu instid0(VALU_DEP_3)
	v_min_f32_e32 v56, v59, v56
	v_add_co_u32 v59, vcc_lo, v54, v68
	v_add_co_ci_u32_e32 v60, vcc_lo, v55, v69, vcc_lo
	global_store_b32 v[57:58], v56, off
	flat_load_b32 v56, v[59:60]
	s_waitcnt vmcnt(0) lgkmcnt(0)
	v_mul_f32_e32 v56, s3, v56
.LBB4_84:
	v_dual_add_f32 v57, v21, v49 :: v_dual_add_f32 v58, v20, v48
	v_dual_add_f32 v59, v17, v49 :: v_dual_add_f32 v60, v16, v48
	v_dual_add_f32 v61, v23, v51 :: v_dual_add_f32 v62, v22, v50
	s_delay_alu instid0(VALU_DEP_3) | instskip(NEXT) | instid1(VALU_DEP_3)
	v_min3_f32 v57, v58, v57, v117
	v_min3_f32 v58, v60, v59, v118
	v_dual_add_f32 v59, v19, v51 :: v_dual_add_f32 v60, v18, v50
	s_delay_alu instid0(VALU_DEP_1) | instskip(SKIP_1) | instid1(VALU_DEP_1)
	v_min3_f32 v59, v60, v59, v58
	v_min_f32_e32 v61, v62, v61
	v_min3_f32 v60, v56, v61, v57
	s_delay_alu instid0(VALU_DEP_3)
	v_max_f32_e32 v56, v59, v59
	;; [unrolled: 47-line block ×3, first 2 shown]
	v_add_co_u32 v57, vcc_lo, v52, v72
	v_add_co_ci_u32_e32 v58, vcc_lo, v53, v73, vcc_lo
	s_mov_b32 vcc_lo, s2
	global_store_b32 v[57:58], v60, off
	s_cbranch_vccz .LBB4_92
; %bb.90:
	v_add_co_u32 v57, vcc_lo, v52, v78
	v_min_f32_e32 v59, 0, v56
	v_add_co_ci_u32_e32 v58, vcc_lo, v53, v79, vcc_lo
	s_mov_b32 s6, 0
	global_store_b32 v[57:58], v59, off
	s_cbranch_execz .LBB4_93
; %bb.91:
	v_mov_b32_e32 v54, s6
	s_branch .LBB4_94
.LBB4_92:
	s_mov_b32 s6, -1
.LBB4_93:
	v_add_co_u32 v57, vcc_lo, v54, v78
	v_add_co_ci_u32_e32 v58, vcc_lo, v55, v79, vcc_lo
	flat_load_b32 v57, v[57:58]
	s_waitcnt vmcnt(0) lgkmcnt(0)
	v_mul_f32_e32 v59, s3, v57
	v_add_co_u32 v57, vcc_lo, v52, v78
	v_add_co_ci_u32_e32 v58, vcc_lo, v53, v79, vcc_lo
	v_add_co_u32 v54, vcc_lo, v54, v76
	s_delay_alu instid0(VALU_DEP_4)
	v_min_f32_e32 v56, v59, v56
	v_add_co_ci_u32_e32 v55, vcc_lo, v55, v77, vcc_lo
	global_store_b32 v[57:58], v56, off
	flat_load_b32 v54, v[54:55]
	s_waitcnt vmcnt(0) lgkmcnt(0)
	v_mul_f32_e32 v54, s3, v54
.LBB4_94:
	s_waitcnt lgkmcnt(3)
	v_dual_add_f32 v55, v33, v45 :: v_dual_add_f32 v56, v32, v44
	v_dual_add_f32 v49, v1, v49 :: v_dual_add_f32 v48, v0, v48
	;; [unrolled: 1-line block ×3, first 2 shown]
	s_delay_alu instid0(VALU_DEP_3) | instskip(SKIP_1) | instid1(VALU_DEP_4)
	v_min3_f32 v55, v56, v55, v119
	v_add_nc_u32_e32 v56, 32, v80
	v_min3_f32 v57, v48, v49, v112
	v_dual_add_f32 v58, v35, v47 :: v_dual_add_f32 v59, v34, v46
	v_min_f32_e32 v60, v50, v51
	s_delay_alu instid0(VALU_DEP_4) | instskip(SKIP_1) | instid1(VALU_DEP_3)
	v_mad_i64_i32 v[48:49], null, v56, s9, 0
	v_mad_i64_i32 v[50:51], null, v56, s8, 0
	v_min3_f32 v57, v54, v60, v57
	v_add_co_u32 v54, vcc_lo, v52, v76
	v_min3_f32 v56, v59, v58, v55
	v_lshlrev_b64 v[48:49], 2, v[48:49]
	v_add_co_ci_u32_e32 v55, vcc_lo, v53, v77, vcc_lo
	v_lshlrev_b64 v[50:51], 2, v[50:51]
	s_delay_alu instid0(VALU_DEP_4) | instskip(NEXT) | instid1(VALU_DEP_4)
	v_max_f32_e32 v52, v56, v56
	v_add_co_u32 v48, vcc_lo, s0, v48
	v_add_co_ci_u32_e32 v49, vcc_lo, s1, v49, vcc_lo
	s_delay_alu instid0(VALU_DEP_4)
	v_add_co_u32 v50, vcc_lo, s4, v50
	v_add_co_ci_u32_e32 v51, vcc_lo, s5, v51, vcc_lo
	s_mov_b32 vcc_lo, s2
	global_store_b32 v[54:55], v57, off
	s_cbranch_vccz .LBB4_97
; %bb.95:
	v_add_co_u32 v53, vcc_lo, v48, v66
	v_min_f32_e32 v55, 0, v52
	v_add_co_ci_u32_e32 v54, vcc_lo, v49, v67, vcc_lo
	s_mov_b32 s6, 0
	global_store_b32 v[53:54], v55, off
	s_cbranch_execz .LBB4_98
; %bb.96:
	v_mov_b32_e32 v52, s6
	s_branch .LBB4_99
.LBB4_97:
	s_mov_b32 s6, -1
.LBB4_98:
	v_add_co_u32 v53, vcc_lo, v50, v66
	v_add_co_ci_u32_e32 v54, vcc_lo, v51, v67, vcc_lo
	flat_load_b32 v53, v[53:54]
	s_waitcnt vmcnt(0) lgkmcnt(0)
	v_mul_f32_e32 v55, s3, v53
	v_add_co_u32 v53, vcc_lo, v48, v66
	v_add_co_ci_u32_e32 v54, vcc_lo, v49, v67, vcc_lo
	s_delay_alu instid0(VALU_DEP_3)
	v_min_f32_e32 v52, v55, v52
	v_add_co_u32 v55, vcc_lo, v50, v64
	v_add_co_ci_u32_e32 v56, vcc_lo, v51, v65, vcc_lo
	global_store_b32 v[53:54], v52, off
	flat_load_b32 v52, v[55:56]
	s_waitcnt vmcnt(0) lgkmcnt(0)
	v_mul_f32_e32 v52, s3, v52
.LBB4_99:
	v_dual_add_f32 v53, v29, v45 :: v_dual_add_f32 v54, v28, v44
	v_dual_add_f32 v55, v25, v45 :: v_dual_add_f32 v56, v24, v44
	v_dual_add_f32 v57, v31, v47 :: v_dual_add_f32 v58, v30, v46
	s_delay_alu instid0(VALU_DEP_3) | instskip(NEXT) | instid1(VALU_DEP_3)
	v_min3_f32 v53, v54, v53, v113
	v_min3_f32 v54, v56, v55, v114
	v_dual_add_f32 v55, v27, v47 :: v_dual_add_f32 v56, v26, v46
	s_delay_alu instid0(VALU_DEP_1) | instskip(SKIP_1) | instid1(VALU_DEP_1)
	v_min3_f32 v55, v56, v55, v54
	v_min_f32_e32 v57, v58, v57
	v_min3_f32 v56, v52, v57, v53
	s_delay_alu instid0(VALU_DEP_3)
	v_max_f32_e32 v52, v55, v55
	v_add_co_u32 v53, vcc_lo, v48, v64
	v_add_co_ci_u32_e32 v54, vcc_lo, v49, v65, vcc_lo
	s_mov_b32 vcc_lo, s2
	global_store_b32 v[53:54], v56, off
	s_cbranch_vccz .LBB4_102
; %bb.100:
	v_add_co_u32 v53, vcc_lo, v48, v70
	v_min_f32_e32 v55, 0, v52
	v_add_co_ci_u32_e32 v54, vcc_lo, v49, v71, vcc_lo
	s_mov_b32 s6, 0
	global_store_b32 v[53:54], v55, off
	s_cbranch_execz .LBB4_103
; %bb.101:
	v_mov_b32_e32 v52, s6
	s_branch .LBB4_104
.LBB4_102:
	s_mov_b32 s6, -1
.LBB4_103:
	v_add_co_u32 v53, vcc_lo, v50, v70
	v_add_co_ci_u32_e32 v54, vcc_lo, v51, v71, vcc_lo
	flat_load_b32 v53, v[53:54]
	s_waitcnt vmcnt(0) lgkmcnt(0)
	v_mul_f32_e32 v55, s3, v53
	v_add_co_u32 v53, vcc_lo, v48, v70
	v_add_co_ci_u32_e32 v54, vcc_lo, v49, v71, vcc_lo
	s_delay_alu instid0(VALU_DEP_3)
	v_min_f32_e32 v52, v55, v52
	v_add_co_u32 v55, vcc_lo, v50, v68
	v_add_co_ci_u32_e32 v56, vcc_lo, v51, v69, vcc_lo
	global_store_b32 v[53:54], v52, off
	flat_load_b32 v52, v[55:56]
	s_waitcnt vmcnt(0) lgkmcnt(0)
	v_mul_f32_e32 v52, s3, v52
.LBB4_104:
	v_dual_add_f32 v53, v21, v45 :: v_dual_add_f32 v54, v20, v44
	v_dual_add_f32 v55, v17, v45 :: v_dual_add_f32 v56, v16, v44
	v_dual_add_f32 v57, v23, v47 :: v_dual_add_f32 v58, v22, v46
	s_delay_alu instid0(VALU_DEP_3) | instskip(NEXT) | instid1(VALU_DEP_3)
	v_min3_f32 v53, v54, v53, v110
	v_min3_f32 v54, v56, v55, v111
	v_dual_add_f32 v55, v19, v47 :: v_dual_add_f32 v56, v18, v46
	s_delay_alu instid0(VALU_DEP_1) | instskip(SKIP_1) | instid1(VALU_DEP_1)
	v_min3_f32 v55, v56, v55, v54
	v_min_f32_e32 v57, v58, v57
	v_min3_f32 v56, v52, v57, v53
	s_delay_alu instid0(VALU_DEP_3)
	v_max_f32_e32 v52, v55, v55
	;; [unrolled: 47-line block ×3, first 2 shown]
	v_add_co_u32 v53, vcc_lo, v48, v72
	v_add_co_ci_u32_e32 v54, vcc_lo, v49, v73, vcc_lo
	s_mov_b32 vcc_lo, s2
	global_store_b32 v[53:54], v56, off
	s_cbranch_vccz .LBB4_112
; %bb.110:
	v_add_co_u32 v53, vcc_lo, v48, v78
	v_min_f32_e32 v55, 0, v52
	v_add_co_ci_u32_e32 v54, vcc_lo, v49, v79, vcc_lo
	s_mov_b32 s6, 0
	global_store_b32 v[53:54], v55, off
	s_cbranch_execz .LBB4_113
; %bb.111:
	v_mov_b32_e32 v50, s6
	s_branch .LBB4_114
.LBB4_112:
	s_mov_b32 s6, -1
.LBB4_113:
	v_add_co_u32 v53, vcc_lo, v50, v78
	v_add_co_ci_u32_e32 v54, vcc_lo, v51, v79, vcc_lo
	flat_load_b32 v53, v[53:54]
	s_waitcnt vmcnt(0) lgkmcnt(0)
	v_mul_f32_e32 v55, s3, v53
	v_add_co_u32 v53, vcc_lo, v48, v78
	v_add_co_ci_u32_e32 v54, vcc_lo, v49, v79, vcc_lo
	v_add_co_u32 v50, vcc_lo, v50, v76
	s_delay_alu instid0(VALU_DEP_4)
	v_min_f32_e32 v52, v55, v52
	v_add_co_ci_u32_e32 v51, vcc_lo, v51, v77, vcc_lo
	global_store_b32 v[53:54], v52, off
	flat_load_b32 v50, v[50:51]
	s_waitcnt vmcnt(0) lgkmcnt(0)
	v_mul_f32_e32 v50, s3, v50
.LBB4_114:
	s_waitcnt lgkmcnt(2)
	v_dual_add_f32 v51, v33, v41 :: v_dual_add_f32 v52, v32, v40
	v_dual_add_f32 v45, v1, v45 :: v_dual_add_f32 v44, v0, v44
	;; [unrolled: 1-line block ×3, first 2 shown]
	s_delay_alu instid0(VALU_DEP_3) | instskip(SKIP_1) | instid1(VALU_DEP_4)
	v_min3_f32 v51, v52, v51, v107
	v_add_nc_u32_e32 v52, 40, v80
	v_min3_f32 v53, v44, v45, v106
	v_dual_add_f32 v54, v35, v43 :: v_dual_add_f32 v55, v34, v42
	v_min_f32_e32 v56, v46, v47
	s_delay_alu instid0(VALU_DEP_4) | instskip(SKIP_1) | instid1(VALU_DEP_3)
	v_mad_i64_i32 v[44:45], null, v52, s9, 0
	v_mad_i64_i32 v[46:47], null, v52, s8, 0
	v_min3_f32 v53, v50, v56, v53
	v_add_co_u32 v50, vcc_lo, v48, v76
	v_min3_f32 v52, v55, v54, v51
	v_lshlrev_b64 v[44:45], 2, v[44:45]
	v_add_co_ci_u32_e32 v51, vcc_lo, v49, v77, vcc_lo
	v_lshlrev_b64 v[46:47], 2, v[46:47]
	s_delay_alu instid0(VALU_DEP_4) | instskip(NEXT) | instid1(VALU_DEP_4)
	v_max_f32_e32 v48, v52, v52
	v_add_co_u32 v44, vcc_lo, s0, v44
	v_add_co_ci_u32_e32 v45, vcc_lo, s1, v45, vcc_lo
	s_delay_alu instid0(VALU_DEP_4)
	v_add_co_u32 v46, vcc_lo, s4, v46
	v_add_co_ci_u32_e32 v47, vcc_lo, s5, v47, vcc_lo
	s_mov_b32 vcc_lo, s2
	global_store_b32 v[50:51], v53, off
	s_cbranch_vccz .LBB4_117
; %bb.115:
	v_add_co_u32 v49, vcc_lo, v44, v66
	v_min_f32_e32 v51, 0, v48
	v_add_co_ci_u32_e32 v50, vcc_lo, v45, v67, vcc_lo
	s_mov_b32 s6, 0
	global_store_b32 v[49:50], v51, off
	s_cbranch_execz .LBB4_118
; %bb.116:
	v_mov_b32_e32 v48, s6
	s_branch .LBB4_119
.LBB4_117:
	s_mov_b32 s6, -1
.LBB4_118:
	v_add_co_u32 v49, vcc_lo, v46, v66
	v_add_co_ci_u32_e32 v50, vcc_lo, v47, v67, vcc_lo
	flat_load_b32 v49, v[49:50]
	s_waitcnt vmcnt(0) lgkmcnt(0)
	v_mul_f32_e32 v51, s3, v49
	v_add_co_u32 v49, vcc_lo, v44, v66
	v_add_co_ci_u32_e32 v50, vcc_lo, v45, v67, vcc_lo
	s_delay_alu instid0(VALU_DEP_3)
	v_min_f32_e32 v48, v51, v48
	v_add_co_u32 v51, vcc_lo, v46, v64
	v_add_co_ci_u32_e32 v52, vcc_lo, v47, v65, vcc_lo
	global_store_b32 v[49:50], v48, off
	flat_load_b32 v48, v[51:52]
	s_waitcnt vmcnt(0) lgkmcnt(0)
	v_mul_f32_e32 v48, s3, v48
.LBB4_119:
	v_dual_add_f32 v49, v29, v41 :: v_dual_add_f32 v50, v28, v40
	v_dual_add_f32 v51, v25, v41 :: v_dual_add_f32 v52, v24, v40
	v_dual_add_f32 v53, v31, v43 :: v_dual_add_f32 v54, v30, v42
	s_delay_alu instid0(VALU_DEP_3) | instskip(NEXT) | instid1(VALU_DEP_3)
	v_min3_f32 v49, v50, v49, v104
	v_min3_f32 v50, v52, v51, v105
	v_dual_add_f32 v51, v27, v43 :: v_dual_add_f32 v52, v26, v42
	s_delay_alu instid0(VALU_DEP_1) | instskip(SKIP_1) | instid1(VALU_DEP_1)
	v_min3_f32 v51, v52, v51, v50
	v_min_f32_e32 v53, v54, v53
	v_min3_f32 v52, v48, v53, v49
	s_delay_alu instid0(VALU_DEP_3)
	v_max_f32_e32 v48, v51, v51
	v_add_co_u32 v49, vcc_lo, v44, v64
	v_add_co_ci_u32_e32 v50, vcc_lo, v45, v65, vcc_lo
	s_mov_b32 vcc_lo, s2
	global_store_b32 v[49:50], v52, off
	s_cbranch_vccz .LBB4_122
; %bb.120:
	v_add_co_u32 v49, vcc_lo, v44, v70
	v_min_f32_e32 v51, 0, v48
	v_add_co_ci_u32_e32 v50, vcc_lo, v45, v71, vcc_lo
	s_mov_b32 s6, 0
	global_store_b32 v[49:50], v51, off
	s_cbranch_execz .LBB4_123
; %bb.121:
	v_mov_b32_e32 v48, s6
	s_branch .LBB4_124
.LBB4_122:
	s_mov_b32 s6, -1
.LBB4_123:
	v_add_co_u32 v49, vcc_lo, v46, v70
	v_add_co_ci_u32_e32 v50, vcc_lo, v47, v71, vcc_lo
	flat_load_b32 v49, v[49:50]
	s_waitcnt vmcnt(0) lgkmcnt(0)
	v_mul_f32_e32 v51, s3, v49
	v_add_co_u32 v49, vcc_lo, v44, v70
	v_add_co_ci_u32_e32 v50, vcc_lo, v45, v71, vcc_lo
	s_delay_alu instid0(VALU_DEP_3)
	v_min_f32_e32 v48, v51, v48
	v_add_co_u32 v51, vcc_lo, v46, v68
	v_add_co_ci_u32_e32 v52, vcc_lo, v47, v69, vcc_lo
	global_store_b32 v[49:50], v48, off
	flat_load_b32 v48, v[51:52]
	s_waitcnt vmcnt(0) lgkmcnt(0)
	v_mul_f32_e32 v48, s3, v48
.LBB4_124:
	v_dual_add_f32 v49, v21, v41 :: v_dual_add_f32 v50, v20, v40
	v_dual_add_f32 v51, v17, v41 :: v_dual_add_f32 v52, v16, v40
	v_dual_add_f32 v53, v23, v43 :: v_dual_add_f32 v54, v22, v42
	s_delay_alu instid0(VALU_DEP_3) | instskip(NEXT) | instid1(VALU_DEP_3)
	v_min3_f32 v49, v50, v49, v102
	v_min3_f32 v50, v52, v51, v103
	v_dual_add_f32 v51, v19, v43 :: v_dual_add_f32 v52, v18, v42
	s_delay_alu instid0(VALU_DEP_1) | instskip(SKIP_1) | instid1(VALU_DEP_1)
	v_min3_f32 v51, v52, v51, v50
	v_min_f32_e32 v53, v54, v53
	v_min3_f32 v52, v48, v53, v49
	s_delay_alu instid0(VALU_DEP_3)
	v_max_f32_e32 v48, v51, v51
	;; [unrolled: 47-line block ×3, first 2 shown]
	v_add_co_u32 v49, vcc_lo, v44, v72
	v_add_co_ci_u32_e32 v50, vcc_lo, v45, v73, vcc_lo
	s_mov_b32 vcc_lo, s2
	global_store_b32 v[49:50], v52, off
	s_cbranch_vccz .LBB4_132
; %bb.130:
	v_add_co_u32 v49, vcc_lo, v44, v78
	v_min_f32_e32 v51, 0, v48
	v_add_co_ci_u32_e32 v50, vcc_lo, v45, v79, vcc_lo
	s_mov_b32 s6, 0
	global_store_b32 v[49:50], v51, off
	s_cbranch_execz .LBB4_133
; %bb.131:
	v_mov_b32_e32 v46, s6
	s_branch .LBB4_134
.LBB4_132:
	s_mov_b32 s6, -1
.LBB4_133:
	v_add_co_u32 v49, vcc_lo, v46, v78
	v_add_co_ci_u32_e32 v50, vcc_lo, v47, v79, vcc_lo
	flat_load_b32 v49, v[49:50]
	s_waitcnt vmcnt(0) lgkmcnt(0)
	v_mul_f32_e32 v51, s3, v49
	v_add_co_u32 v49, vcc_lo, v44, v78
	v_add_co_ci_u32_e32 v50, vcc_lo, v45, v79, vcc_lo
	v_add_co_u32 v46, vcc_lo, v46, v76
	s_delay_alu instid0(VALU_DEP_4)
	v_min_f32_e32 v48, v51, v48
	v_add_co_ci_u32_e32 v47, vcc_lo, v47, v77, vcc_lo
	global_store_b32 v[49:50], v48, off
	flat_load_b32 v46, v[46:47]
	s_waitcnt vmcnt(0) lgkmcnt(0)
	v_mul_f32_e32 v46, s3, v46
.LBB4_134:
	s_waitcnt lgkmcnt(1)
	v_dual_add_f32 v47, v33, v37 :: v_dual_add_f32 v48, v32, v36
	v_dual_add_f32 v41, v1, v41 :: v_dual_add_f32 v40, v0, v40
	v_dual_add_f32 v42, v2, v42 :: v_dual_add_f32 v43, v3, v43
	s_delay_alu instid0(VALU_DEP_3) | instskip(SKIP_1) | instid1(VALU_DEP_4)
	v_min3_f32 v47, v48, v47, v99
	v_add_nc_u32_e32 v48, 48, v80
	v_min3_f32 v49, v40, v41, v98
	v_dual_add_f32 v50, v35, v39 :: v_dual_add_f32 v51, v34, v38
	v_min_f32_e32 v52, v42, v43
	s_delay_alu instid0(VALU_DEP_4) | instskip(SKIP_1) | instid1(VALU_DEP_3)
	v_mad_i64_i32 v[40:41], null, v48, s9, 0
	v_mad_i64_i32 v[42:43], null, v48, s8, 0
	v_min3_f32 v49, v46, v52, v49
	v_add_co_u32 v46, vcc_lo, v44, v76
	v_min3_f32 v48, v51, v50, v47
	v_lshlrev_b64 v[40:41], 2, v[40:41]
	v_add_co_ci_u32_e32 v47, vcc_lo, v45, v77, vcc_lo
	v_lshlrev_b64 v[42:43], 2, v[42:43]
	s_delay_alu instid0(VALU_DEP_4) | instskip(NEXT) | instid1(VALU_DEP_4)
	v_max_f32_e32 v44, v48, v48
	v_add_co_u32 v40, vcc_lo, s0, v40
	v_add_co_ci_u32_e32 v41, vcc_lo, s1, v41, vcc_lo
	s_delay_alu instid0(VALU_DEP_4)
	v_add_co_u32 v42, vcc_lo, s4, v42
	v_add_co_ci_u32_e32 v43, vcc_lo, s5, v43, vcc_lo
	s_mov_b32 vcc_lo, s2
	global_store_b32 v[46:47], v49, off
	s_cbranch_vccz .LBB4_137
; %bb.135:
	v_add_co_u32 v45, vcc_lo, v40, v66
	v_min_f32_e32 v47, 0, v44
	v_add_co_ci_u32_e32 v46, vcc_lo, v41, v67, vcc_lo
	s_mov_b32 s6, 0
	global_store_b32 v[45:46], v47, off
	s_cbranch_execz .LBB4_138
; %bb.136:
	v_mov_b32_e32 v44, s6
	s_branch .LBB4_139
.LBB4_137:
	s_mov_b32 s6, -1
.LBB4_138:
	v_add_co_u32 v45, vcc_lo, v42, v66
	v_add_co_ci_u32_e32 v46, vcc_lo, v43, v67, vcc_lo
	flat_load_b32 v45, v[45:46]
	s_waitcnt vmcnt(0) lgkmcnt(0)
	v_mul_f32_e32 v47, s3, v45
	v_add_co_u32 v45, vcc_lo, v40, v66
	v_add_co_ci_u32_e32 v46, vcc_lo, v41, v67, vcc_lo
	s_delay_alu instid0(VALU_DEP_3)
	v_min_f32_e32 v44, v47, v44
	v_add_co_u32 v47, vcc_lo, v42, v64
	v_add_co_ci_u32_e32 v48, vcc_lo, v43, v65, vcc_lo
	global_store_b32 v[45:46], v44, off
	flat_load_b32 v44, v[47:48]
	s_waitcnt vmcnt(0) lgkmcnt(0)
	v_mul_f32_e32 v44, s3, v44
.LBB4_139:
	v_dual_add_f32 v45, v29, v37 :: v_dual_add_f32 v46, v28, v36
	v_dual_add_f32 v47, v25, v37 :: v_dual_add_f32 v48, v24, v36
	v_dual_add_f32 v49, v31, v39 :: v_dual_add_f32 v50, v30, v38
	s_delay_alu instid0(VALU_DEP_3) | instskip(NEXT) | instid1(VALU_DEP_3)
	v_min3_f32 v45, v46, v45, v96
	v_min3_f32 v46, v48, v47, v97
	v_dual_add_f32 v47, v27, v39 :: v_dual_add_f32 v48, v26, v38
	s_delay_alu instid0(VALU_DEP_1) | instskip(SKIP_1) | instid1(VALU_DEP_1)
	v_min3_f32 v47, v48, v47, v46
	v_min_f32_e32 v49, v50, v49
	v_min3_f32 v48, v44, v49, v45
	s_delay_alu instid0(VALU_DEP_3)
	v_max_f32_e32 v44, v47, v47
	v_add_co_u32 v45, vcc_lo, v40, v64
	v_add_co_ci_u32_e32 v46, vcc_lo, v41, v65, vcc_lo
	s_mov_b32 vcc_lo, s2
	global_store_b32 v[45:46], v48, off
	s_cbranch_vccz .LBB4_142
; %bb.140:
	v_add_co_u32 v45, vcc_lo, v40, v70
	v_min_f32_e32 v47, 0, v44
	v_add_co_ci_u32_e32 v46, vcc_lo, v41, v71, vcc_lo
	s_mov_b32 s6, 0
	global_store_b32 v[45:46], v47, off
	s_cbranch_execz .LBB4_143
; %bb.141:
	v_mov_b32_e32 v44, s6
	s_branch .LBB4_144
.LBB4_142:
	s_mov_b32 s6, -1
.LBB4_143:
	v_add_co_u32 v45, vcc_lo, v42, v70
	v_add_co_ci_u32_e32 v46, vcc_lo, v43, v71, vcc_lo
	flat_load_b32 v45, v[45:46]
	s_waitcnt vmcnt(0) lgkmcnt(0)
	v_mul_f32_e32 v47, s3, v45
	v_add_co_u32 v45, vcc_lo, v40, v70
	v_add_co_ci_u32_e32 v46, vcc_lo, v41, v71, vcc_lo
	s_delay_alu instid0(VALU_DEP_3)
	v_min_f32_e32 v44, v47, v44
	v_add_co_u32 v47, vcc_lo, v42, v68
	v_add_co_ci_u32_e32 v48, vcc_lo, v43, v69, vcc_lo
	global_store_b32 v[45:46], v44, off
	flat_load_b32 v44, v[47:48]
	s_waitcnt vmcnt(0) lgkmcnt(0)
	v_mul_f32_e32 v44, s3, v44
.LBB4_144:
	v_dual_add_f32 v45, v21, v37 :: v_dual_add_f32 v46, v20, v36
	v_dual_add_f32 v47, v17, v37 :: v_dual_add_f32 v48, v16, v36
	v_dual_add_f32 v49, v23, v39 :: v_dual_add_f32 v50, v22, v38
	s_delay_alu instid0(VALU_DEP_3) | instskip(NEXT) | instid1(VALU_DEP_3)
	v_min3_f32 v45, v46, v45, v93
	v_min3_f32 v46, v48, v47, v94
	v_dual_add_f32 v47, v19, v39 :: v_dual_add_f32 v48, v18, v38
	s_delay_alu instid0(VALU_DEP_1) | instskip(SKIP_1) | instid1(VALU_DEP_1)
	v_min3_f32 v47, v48, v47, v46
	v_min_f32_e32 v49, v50, v49
	v_min3_f32 v48, v44, v49, v45
	s_delay_alu instid0(VALU_DEP_3)
	v_max_f32_e32 v44, v47, v47
	;; [unrolled: 47-line block ×3, first 2 shown]
	v_add_co_u32 v45, vcc_lo, v40, v72
	v_add_co_ci_u32_e32 v46, vcc_lo, v41, v73, vcc_lo
	s_mov_b32 vcc_lo, s2
	global_store_b32 v[45:46], v48, off
	s_cbranch_vccz .LBB4_152
; %bb.150:
	v_add_co_u32 v45, vcc_lo, v40, v78
	v_min_f32_e32 v47, 0, v44
	v_add_co_ci_u32_e32 v46, vcc_lo, v41, v79, vcc_lo
	s_mov_b32 s6, 0
	global_store_b32 v[45:46], v47, off
	s_cbranch_execz .LBB4_153
; %bb.151:
	v_mov_b32_e32 v42, s6
	s_branch .LBB4_154
.LBB4_152:
	s_mov_b32 s6, -1
.LBB4_153:
	v_add_co_u32 v45, vcc_lo, v42, v78
	v_add_co_ci_u32_e32 v46, vcc_lo, v43, v79, vcc_lo
	flat_load_b32 v45, v[45:46]
	s_waitcnt vmcnt(0) lgkmcnt(0)
	v_mul_f32_e32 v47, s3, v45
	v_add_co_u32 v45, vcc_lo, v40, v78
	v_add_co_ci_u32_e32 v46, vcc_lo, v41, v79, vcc_lo
	v_add_co_u32 v42, vcc_lo, v42, v76
	s_delay_alu instid0(VALU_DEP_4)
	v_min_f32_e32 v44, v47, v44
	v_add_co_ci_u32_e32 v43, vcc_lo, v43, v77, vcc_lo
	global_store_b32 v[45:46], v44, off
	flat_load_b32 v42, v[42:43]
	s_waitcnt vmcnt(0) lgkmcnt(0)
	v_mul_f32_e32 v42, s3, v42
.LBB4_154:
	v_dual_add_f32 v37, v1, v37 :: v_dual_add_f32 v36, v0, v36
	s_waitcnt lgkmcnt(0)
	v_dual_add_f32 v33, v33, v5 :: v_dual_add_f32 v32, v32, v4
	v_dual_add_f32 v38, v2, v38 :: v_dual_add_nc_u32 v43, 56, v80
	s_delay_alu instid0(VALU_DEP_3) | instskip(SKIP_1) | instid1(VALU_DEP_4)
	v_min3_f32 v36, v36, v37, v89
	v_add_f32_e32 v39, v3, v39
	v_min3_f32 v37, v32, v33, v90
	s_delay_alu instid0(VALU_DEP_4) | instskip(SKIP_3) | instid1(VALU_DEP_4)
	v_mad_i64_i32 v[32:33], null, v43, s9, 0
	v_dual_add_f32 v44, v35, v7 :: v_dual_add_f32 v45, v34, v6
	v_mad_i64_i32 v[34:35], null, v43, s8, 0
	v_min_f32_e32 v38, v38, v39
	v_lshlrev_b64 v[32:33], 2, v[32:33]
	s_delay_alu instid0(VALU_DEP_4)
	v_min3_f32 v39, v45, v44, v37
	v_add_co_u32 v37, vcc_lo, v40, v76
	v_lshlrev_b64 v[34:35], 2, v[34:35]
	v_min3_f32 v42, v42, v38, v36
	v_add_co_ci_u32_e32 v38, vcc_lo, v41, v77, vcc_lo
	v_add_co_u32 v32, vcc_lo, s0, v32
	v_add_co_ci_u32_e32 v33, vcc_lo, s1, v33, vcc_lo
	v_add_co_u32 v34, vcc_lo, s4, v34
	v_add_co_ci_u32_e32 v35, vcc_lo, s5, v35, vcc_lo
	v_max_f32_e32 v36, v39, v39
	s_mov_b32 vcc_lo, s2
	global_store_b32 v[37:38], v42, off
	s_cbranch_vccz .LBB4_157
; %bb.155:
	v_add_co_u32 v37, vcc_lo, v32, v66
	v_min_f32_e32 v39, 0, v36
	v_add_co_ci_u32_e32 v38, vcc_lo, v33, v67, vcc_lo
	s_mov_b32 s0, 0
	global_store_b32 v[37:38], v39, off
	s_cbranch_execz .LBB4_158
; %bb.156:
	v_mov_b32_e32 v36, s0
	s_branch .LBB4_159
.LBB4_157:
	s_mov_b32 s0, -1
.LBB4_158:
	v_add_co_u32 v37, vcc_lo, v34, v66
	v_add_co_ci_u32_e32 v38, vcc_lo, v35, v67, vcc_lo
	flat_load_b32 v37, v[37:38]
	s_waitcnt vmcnt(0) lgkmcnt(0)
	v_mul_f32_e32 v39, s3, v37
	v_add_co_u32 v37, vcc_lo, v32, v66
	v_add_co_ci_u32_e32 v38, vcc_lo, v33, v67, vcc_lo
	s_delay_alu instid0(VALU_DEP_3)
	v_min_f32_e32 v36, v39, v36
	v_add_co_u32 v39, vcc_lo, v34, v64
	v_add_co_ci_u32_e32 v40, vcc_lo, v35, v65, vcc_lo
	global_store_b32 v[37:38], v36, off
	flat_load_b32 v36, v[39:40]
	s_waitcnt vmcnt(0) lgkmcnt(0)
	v_mul_f32_e32 v36, s3, v36
.LBB4_159:
	v_dual_add_f32 v25, v25, v5 :: v_dual_add_f32 v24, v24, v4
	v_dual_add_f32 v29, v29, v5 :: v_dual_add_f32 v28, v28, v4
	v_dual_add_f32 v31, v31, v7 :: v_dual_add_f32 v30, v30, v6
	s_delay_alu instid0(VALU_DEP_3) | instskip(SKIP_1) | instid1(VALU_DEP_4)
	v_min3_f32 v24, v24, v25, v88
	v_dual_add_f32 v25, v27, v7 :: v_dual_add_f32 v26, v26, v6
	v_min3_f32 v28, v28, v29, v87
	s_delay_alu instid0(VALU_DEP_2) | instskip(SKIP_3) | instid1(VALU_DEP_4)
	v_min3_f32 v24, v26, v25, v24
	v_min_f32_e32 v27, v30, v31
	v_add_co_u32 v25, vcc_lo, v32, v64
	v_add_co_ci_u32_e32 v26, vcc_lo, v33, v65, vcc_lo
	v_max_f32_e32 v24, v24, v24
	s_delay_alu instid0(VALU_DEP_4)
	v_min3_f32 v27, v36, v27, v28
	s_mov_b32 vcc_lo, s2
	global_store_b32 v[25:26], v27, off
	s_cbranch_vccz .LBB4_162
; %bb.160:
	v_add_co_u32 v25, vcc_lo, v32, v70
	v_min_f32_e32 v27, 0, v24
	v_add_co_ci_u32_e32 v26, vcc_lo, v33, v71, vcc_lo
	s_mov_b32 s0, 0
	global_store_b32 v[25:26], v27, off
	s_cbranch_execz .LBB4_163
; %bb.161:
	v_mov_b32_e32 v24, s0
	s_branch .LBB4_164
.LBB4_162:
	s_mov_b32 s0, -1
.LBB4_163:
	v_add_co_u32 v25, vcc_lo, v34, v70
	v_add_co_ci_u32_e32 v26, vcc_lo, v35, v71, vcc_lo
	flat_load_b32 v25, v[25:26]
	s_waitcnt vmcnt(0) lgkmcnt(0)
	v_mul_f32_e32 v27, s3, v25
	v_add_co_u32 v25, vcc_lo, v32, v70
	v_add_co_ci_u32_e32 v26, vcc_lo, v33, v71, vcc_lo
	s_delay_alu instid0(VALU_DEP_3)
	v_min_f32_e32 v24, v27, v24
	v_add_co_u32 v27, vcc_lo, v34, v68
	v_add_co_ci_u32_e32 v28, vcc_lo, v35, v69, vcc_lo
	global_store_b32 v[25:26], v24, off
	flat_load_b32 v24, v[27:28]
	s_waitcnt vmcnt(0) lgkmcnt(0)
	v_mul_f32_e32 v24, s3, v24
.LBB4_164:
	v_dual_add_f32 v17, v17, v5 :: v_dual_add_f32 v16, v16, v4
	v_dual_add_f32 v21, v21, v5 :: v_dual_add_f32 v20, v20, v4
	v_dual_add_f32 v23, v23, v7 :: v_dual_add_f32 v22, v22, v6
	s_delay_alu instid0(VALU_DEP_3) | instskip(SKIP_1) | instid1(VALU_DEP_4)
	v_min3_f32 v16, v16, v17, v86
	v_dual_add_f32 v17, v19, v7 :: v_dual_add_f32 v18, v18, v6
	v_min3_f32 v20, v20, v21, v85
	s_delay_alu instid0(VALU_DEP_2) | instskip(SKIP_3) | instid1(VALU_DEP_4)
	v_min3_f32 v16, v18, v17, v16
	v_min_f32_e32 v19, v22, v23
	v_add_co_u32 v17, vcc_lo, v32, v68
	v_add_co_ci_u32_e32 v18, vcc_lo, v33, v69, vcc_lo
	v_max_f32_e32 v16, v16, v16
	s_delay_alu instid0(VALU_DEP_4)
	v_min3_f32 v19, v24, v19, v20
	;; [unrolled: 47-line block ×3, first 2 shown]
	s_mov_b32 vcc_lo, s2
	global_store_b32 v[9:10], v11, off
	s_cbranch_vccz .LBB4_172
; %bb.170:
	v_add_co_u32 v9, vcc_lo, v32, v78
	v_min_f32_e32 v11, 0, v8
	v_add_co_ci_u32_e32 v10, vcc_lo, v33, v79, vcc_lo
	s_mov_b32 s0, 0
	global_store_b32 v[9:10], v11, off
	s_cbranch_execz .LBB4_173
; %bb.171:
	v_mov_b32_e32 v8, s0
	s_branch .LBB4_174
.LBB4_172:
	s_mov_b32 s0, -1
.LBB4_173:
	v_add_co_u32 v9, vcc_lo, v34, v78
	v_add_co_ci_u32_e32 v10, vcc_lo, v35, v79, vcc_lo
	flat_load_b32 v9, v[9:10]
	s_waitcnt vmcnt(0) lgkmcnt(0)
	v_mul_f32_e32 v11, s3, v9
	v_add_co_u32 v9, vcc_lo, v32, v78
	v_add_co_ci_u32_e32 v10, vcc_lo, v33, v79, vcc_lo
	s_delay_alu instid0(VALU_DEP_3)
	v_min_f32_e32 v8, v11, v8
	v_add_co_u32 v11, vcc_lo, v34, v76
	v_add_co_ci_u32_e32 v12, vcc_lo, v35, v77, vcc_lo
	global_store_b32 v[9:10], v8, off
	flat_load_b32 v8, v[11:12]
	s_waitcnt vmcnt(0) lgkmcnt(0)
	v_mul_f32_e32 v8, s3, v8
.LBB4_174:
	v_dual_add_f32 v3, v3, v7 :: v_dual_add_f32 v2, v2, v6
	v_dual_add_f32 v1, v1, v5 :: v_dual_add_f32 v0, v0, v4
	s_delay_alu instid0(VALU_DEP_2) | instskip(NEXT) | instid1(VALU_DEP_2)
	v_min_f32_e32 v2, v2, v3
	v_min3_f32 v0, v0, v1, v95
	s_delay_alu instid0(VALU_DEP_1)
	v_min3_f32 v2, v8, v2, v0
	v_add_co_u32 v0, vcc_lo, v32, v76
	v_add_co_ci_u32_e32 v1, vcc_lo, v33, v77, vcc_lo
	global_store_b32 v[0:1], v2, off
	s_nop 0
	s_sendmsg sendmsg(MSG_DEALLOC_VGPRS)
	s_endpgm
	.section	.rodata,"a",@progbits
	.p2align	6, 0x0
	.amdhsa_kernel _ZN12_GLOBAL__N_120geam_min_plus_kernelIf15HIP_vector_typeIfLj2EEfLi32ELi8ELi256ELi64ELi4ELi64ELi4ELi4ELi64ELc78ELc78ELb1ELb0ELb1EfKPKfKPfEEviiiT16_PT17_ilSA_ilS8_SA_ilPT18_ili26rocblas_geam_ex_operation_
		.amdhsa_group_segment_fixed_size 10240
		.amdhsa_private_segment_fixed_size 88
		.amdhsa_kernarg_size 128
		.amdhsa_user_sgpr_count 14
		.amdhsa_user_sgpr_dispatch_ptr 0
		.amdhsa_user_sgpr_queue_ptr 0
		.amdhsa_user_sgpr_kernarg_segment_ptr 1
		.amdhsa_user_sgpr_dispatch_id 0
		.amdhsa_user_sgpr_private_segment_size 0
		.amdhsa_wavefront_size32 1
		.amdhsa_uses_dynamic_stack 0
		.amdhsa_enable_private_segment 1
		.amdhsa_system_sgpr_workgroup_id_x 1
		.amdhsa_system_sgpr_workgroup_id_y 0
		.amdhsa_system_sgpr_workgroup_id_z 1
		.amdhsa_system_sgpr_workgroup_info 0
		.amdhsa_system_vgpr_workitem_id 1
		.amdhsa_next_free_vgpr 256
		.amdhsa_next_free_sgpr 22
		.amdhsa_reserve_vcc 1
		.amdhsa_float_round_mode_32 0
		.amdhsa_float_round_mode_16_64 0
		.amdhsa_float_denorm_mode_32 3
		.amdhsa_float_denorm_mode_16_64 3
		.amdhsa_dx10_clamp 1
		.amdhsa_ieee_mode 1
		.amdhsa_fp16_overflow 0
		.amdhsa_workgroup_processor_mode 1
		.amdhsa_memory_ordered 1
		.amdhsa_forward_progress 0
		.amdhsa_shared_vgpr_count 0
		.amdhsa_exception_fp_ieee_invalid_op 0
		.amdhsa_exception_fp_denorm_src 0
		.amdhsa_exception_fp_ieee_div_zero 0
		.amdhsa_exception_fp_ieee_overflow 0
		.amdhsa_exception_fp_ieee_underflow 0
		.amdhsa_exception_fp_ieee_inexact 0
		.amdhsa_exception_int_div_zero 0
	.end_amdhsa_kernel
	.section	.text._ZN12_GLOBAL__N_120geam_min_plus_kernelIf15HIP_vector_typeIfLj2EEfLi32ELi8ELi256ELi64ELi4ELi64ELi4ELi4ELi64ELc78ELc78ELb1ELb0ELb1EfKPKfKPfEEviiiT16_PT17_ilSA_ilS8_SA_ilPT18_ili26rocblas_geam_ex_operation_,"axG",@progbits,_ZN12_GLOBAL__N_120geam_min_plus_kernelIf15HIP_vector_typeIfLj2EEfLi32ELi8ELi256ELi64ELi4ELi64ELi4ELi4ELi64ELc78ELc78ELb1ELb0ELb1EfKPKfKPfEEviiiT16_PT17_ilSA_ilS8_SA_ilPT18_ili26rocblas_geam_ex_operation_,comdat
.Lfunc_end4:
	.size	_ZN12_GLOBAL__N_120geam_min_plus_kernelIf15HIP_vector_typeIfLj2EEfLi32ELi8ELi256ELi64ELi4ELi64ELi4ELi4ELi64ELc78ELc78ELb1ELb0ELb1EfKPKfKPfEEviiiT16_PT17_ilSA_ilS8_SA_ilPT18_ili26rocblas_geam_ex_operation_, .Lfunc_end4-_ZN12_GLOBAL__N_120geam_min_plus_kernelIf15HIP_vector_typeIfLj2EEfLi32ELi8ELi256ELi64ELi4ELi64ELi4ELi4ELi64ELc78ELc78ELb1ELb0ELb1EfKPKfKPfEEviiiT16_PT17_ilSA_ilS8_SA_ilPT18_ili26rocblas_geam_ex_operation_
                                        ; -- End function
	.section	.AMDGPU.csdata,"",@progbits
; Kernel info:
; codeLenInByte = 17880
; NumSgprs: 24
; NumVgprs: 256
; ScratchSize: 88
; MemoryBound: 0
; FloatMode: 240
; IeeeMode: 1
; LDSByteSize: 10240 bytes/workgroup (compile time only)
; SGPRBlocks: 2
; VGPRBlocks: 31
; NumSGPRsForWavesPerEU: 24
; NumVGPRsForWavesPerEU: 256
; Occupancy: 5
; WaveLimiterHint : 1
; COMPUTE_PGM_RSRC2:SCRATCH_EN: 1
; COMPUTE_PGM_RSRC2:USER_SGPR: 14
; COMPUTE_PGM_RSRC2:TRAP_HANDLER: 0
; COMPUTE_PGM_RSRC2:TGID_X_EN: 1
; COMPUTE_PGM_RSRC2:TGID_Y_EN: 0
; COMPUTE_PGM_RSRC2:TGID_Z_EN: 1
; COMPUTE_PGM_RSRC2:TIDIG_COMP_CNT: 1
	.section	.text._ZN12_GLOBAL__N_120geam_min_plus_kernelIf15HIP_vector_typeIfLj2EEfLi32ELi8ELi256ELi64ELi4ELi64ELi4ELi4ELi64ELc78ELc78ELb0ELb0ELb1EfKPKfKPfEEviiiT16_PT17_ilSA_ilS8_SA_ilPT18_ili26rocblas_geam_ex_operation_,"axG",@progbits,_ZN12_GLOBAL__N_120geam_min_plus_kernelIf15HIP_vector_typeIfLj2EEfLi32ELi8ELi256ELi64ELi4ELi64ELi4ELi4ELi64ELc78ELc78ELb0ELb0ELb1EfKPKfKPfEEviiiT16_PT17_ilSA_ilS8_SA_ilPT18_ili26rocblas_geam_ex_operation_,comdat
	.globl	_ZN12_GLOBAL__N_120geam_min_plus_kernelIf15HIP_vector_typeIfLj2EEfLi32ELi8ELi256ELi64ELi4ELi64ELi4ELi4ELi64ELc78ELc78ELb0ELb0ELb1EfKPKfKPfEEviiiT16_PT17_ilSA_ilS8_SA_ilPT18_ili26rocblas_geam_ex_operation_ ; -- Begin function _ZN12_GLOBAL__N_120geam_min_plus_kernelIf15HIP_vector_typeIfLj2EEfLi32ELi8ELi256ELi64ELi4ELi64ELi4ELi4ELi64ELc78ELc78ELb0ELb0ELb1EfKPKfKPfEEviiiT16_PT17_ilSA_ilS8_SA_ilPT18_ili26rocblas_geam_ex_operation_
	.p2align	8
	.type	_ZN12_GLOBAL__N_120geam_min_plus_kernelIf15HIP_vector_typeIfLj2EEfLi32ELi8ELi256ELi64ELi4ELi64ELi4ELi4ELi64ELc78ELc78ELb0ELb0ELb1EfKPKfKPfEEviiiT16_PT17_ilSA_ilS8_SA_ilPT18_ili26rocblas_geam_ex_operation_,@function
_ZN12_GLOBAL__N_120geam_min_plus_kernelIf15HIP_vector_typeIfLj2EEfLi32ELi8ELi256ELi64ELi4ELi64ELi4ELi4ELi64ELc78ELc78ELb0ELb0ELb1EfKPKfKPfEEviiiT16_PT17_ilSA_ilS8_SA_ilPT18_ili26rocblas_geam_ex_operation_: ; @_ZN12_GLOBAL__N_120geam_min_plus_kernelIf15HIP_vector_typeIfLj2EEfLi32ELi8ELi256ELi64ELi4ELi64ELi4ELi4ELi64ELc78ELc78ELb0ELb0ELb1EfKPKfKPfEEviiiT16_PT17_ilSA_ilS8_SA_ilPT18_ili26rocblas_geam_ex_operation_
; %bb.0:
	s_clause 0x1
	s_load_b64 s[8:9], s[0:1], 0x8
	s_load_b128 s[4:7], s[0:1], 0x20
	s_mov_b32 s18, s15
	s_mov_b32 s19, 0
	s_waitcnt lgkmcnt(0)
	v_cmp_eq_f32_e64 s2, s9, 0
	s_delay_alu instid0(VALU_DEP_1)
	s_and_b32 vcc_lo, exec_lo, s2
	s_cbranch_vccnz .LBB5_3
; %bb.1:
	s_load_b64 s[10:11], s[0:1], 0x10
	s_lshl_b64 s[12:13], s[18:19], 3
	s_waitcnt lgkmcnt(0)
	s_add_u32 s10, s10, s12
	s_addc_u32 s11, s11, s13
	s_lshl_b64 s[4:5], s[4:5], 2
	s_load_b64 s[10:11], s[10:11], 0x0
	s_waitcnt lgkmcnt(0)
	s_add_u32 s10, s10, s4
	s_addc_u32 s11, s11, s5
	s_and_not1_b32 vcc_lo, exec_lo, s2
	s_cbranch_vccnz .LBB5_4
.LBB5_2:
	s_mov_b64 s[12:13], 0
	s_and_not1_b32 vcc_lo, exec_lo, s19
	s_cbranch_vccz .LBB5_5
	s_branch .LBB5_6
.LBB5_3:
	s_mov_b64 s[10:11], 0
	s_and_not1_b32 vcc_lo, exec_lo, s2
	s_cbranch_vccz .LBB5_2
.LBB5_4:
	s_mov_b32 s19, -1
                                        ; implicit-def: $sgpr12_sgpr13
.LBB5_5:
	s_mov_b32 s19, 0
	s_load_b64 s[4:5], s[0:1], 0x38
	s_lshl_b64 s[2:3], s[18:19], 3
	s_delay_alu instid0(SALU_CYCLE_1) | instskip(SKIP_4) | instid1(SALU_CYCLE_1)
	s_add_u32 s2, s6, s2
	s_addc_u32 s3, s7, s3
	s_load_b64 s[2:3], s[2:3], 0x0
	s_waitcnt lgkmcnt(0)
	s_lshl_b64 s[4:5], s[4:5], 2
	s_add_u32 s12, s2, s4
	s_addc_u32 s13, s3, s5
.LBB5_6:
	s_clause 0x1
	s_load_b32 s15, s[0:1], 0x40
	s_load_b128 s[4:7], s[0:1], 0x58
	v_cmp_neq_f32_e64 s21, s9, 0
	s_waitcnt lgkmcnt(0)
	v_cmp_eq_f32_e64 s2, s15, 0
	s_delay_alu instid0(VALU_DEP_1) | instskip(NEXT) | instid1(SALU_CYCLE_1)
	s_and_b32 s2, exec_lo, s2
	s_mov_b32 vcc_lo, s2
	s_cbranch_vccnz .LBB5_8
; %bb.7:
	s_load_b64 s[16:17], s[0:1], 0x48
	s_lshl_b64 s[22:23], s[18:19], 3
	s_waitcnt lgkmcnt(0)
	s_add_u32 s16, s16, s22
	s_addc_u32 s17, s17, s23
	s_lshl_b64 s[4:5], s[4:5], 2
	s_load_b64 s[16:17], s[16:17], 0x0
	s_waitcnt lgkmcnt(0)
	s_add_u32 s4, s16, s4
	s_addc_u32 s5, s17, s5
	s_branch .LBB5_9
.LBB5_8:
	s_mov_b64 s[4:5], 0
.LBB5_9:
	s_clause 0x1
	s_load_b32 s16, s[0:1], 0x18
	s_load_b32 s3, s[0:1], 0x0
	s_lshl_b64 s[18:19], s[18:19], 3
	v_and_b32_e32 v17, 0x3ff, v0
	v_bfe_u32 v150, v0, 10, 10
	v_cndmask_b32_e64 v3, 0, 1, s21
	s_delay_alu instid0(VALU_DEP_2) | instskip(NEXT) | instid1(VALU_DEP_1)
	v_lshl_add_u32 v6, v150, 5, v17
	v_lshrrev_b32_e32 v13, 6, v6
	v_and_b32_e32 v14, 63, v6
	s_waitcnt lgkmcnt(0)
	s_ashr_i32 s17, s16, 31
	s_add_u32 s6, s6, s18
	s_addc_u32 s7, s7, s19
	s_add_i32 s3, s3, -1
	s_load_b64 s[6:7], s[6:7], 0x0
	s_ashr_i32 s18, s3, 31
	s_delay_alu instid0(SALU_CYCLE_1) | instskip(NEXT) | instid1(SALU_CYCLE_1)
	s_lshr_b32 s18, s18, 24
	s_add_i32 s3, s3, s18
	s_delay_alu instid0(SALU_CYCLE_1) | instskip(NEXT) | instid1(SALU_CYCLE_1)
	s_ashr_i32 s3, s3, 8
	s_add_i32 s18, s3, 1
	s_not_b32 s3, s3
	v_cvt_f32_u32_e32 v1, s18
	s_delay_alu instid0(VALU_DEP_1) | instskip(SKIP_2) | instid1(VALU_DEP_1)
	v_rcp_iflag_f32_e32 v1, v1
	s_waitcnt_depctr 0xfff
	v_mul_f32_e32 v1, 0x4f7ffffe, v1
	v_cvt_u32_f32_e32 v1, v1
	s_delay_alu instid0(VALU_DEP_1) | instskip(SKIP_1) | instid1(VALU_DEP_2)
	v_readfirstlane_b32 s19, v1
	v_mad_i64_i32 v[0:1], null, s16, v13, 0
	s_mul_i32 s3, s3, s19
	s_delay_alu instid0(SALU_CYCLE_1) | instskip(NEXT) | instid1(SALU_CYCLE_1)
	s_mul_hi_u32 s3, s19, s3
	s_add_i32 s19, s19, s3
	s_delay_alu instid0(VALU_DEP_1) | instskip(SKIP_1) | instid1(SALU_CYCLE_1)
	v_lshlrev_b64 v[1:2], 2, v[0:1]
	s_mul_hi_u32 s3, s14, s19
	s_mul_i32 s19, s3, s18
	s_add_i32 s20, s3, 1
	s_sub_i32 s19, s14, s19
	s_delay_alu instid0(VALU_DEP_1)
	v_add_co_u32 v4, vcc_lo, s10, v1
	s_sub_i32 s22, s19, s18
	s_cmp_ge_u32 s19, s18
	v_add_co_ci_u32_e32 v5, vcc_lo, s11, v2, vcc_lo
	s_cselect_b32 s3, s20, s3
	s_cselect_b32 s19, s22, s19
	s_add_i32 s20, s3, 1
	s_cmp_ge_u32 s19, s18
	s_cselect_b32 s19, s20, s3
	s_and_not1_b32 vcc_lo, exec_lo, s21
	s_mul_i32 s20, s19, s18
	s_delay_alu instid0(SALU_CYCLE_1) | instskip(NEXT) | instid1(SALU_CYCLE_1)
	s_sub_i32 s3, s14, s20
	s_lshl_b32 s18, s3, 8
	v_cmp_ne_u32_e64 s3, 1, v3
	v_or_b32_e32 v0, s18, v14
	s_delay_alu instid0(VALU_DEP_1)
	v_ashrrev_i32_e32 v1, 31, v0
	s_cbranch_vccnz .LBB5_12
; %bb.10:
	s_delay_alu instid0(VALU_DEP_1) | instskip(NEXT) | instid1(VALU_DEP_1)
	v_lshlrev_b64 v[2:3], 2, v[0:1]
	v_add_co_u32 v2, vcc_lo, v4, v2
	s_delay_alu instid0(VALU_DEP_2)
	v_add_co_ci_u32_e32 v3, vcc_lo, v5, v3, vcc_lo
	s_clause 0x1
	flat_load_b32 v7, v[2:3]
	flat_load_b32 v3, v[2:3] offset:256
	s_waitcnt vmcnt(1) lgkmcnt(0)
	v_mul_f32_e32 v2, s9, v7
	s_waitcnt vmcnt(0)
	v_mul_f32_e32 v3, s9, v3
	s_and_b32 vcc_lo, exec_lo, s3
	s_cbranch_vccnz .LBB5_13
.LBB5_11:
	v_lshlrev_b64 v[7:8], 2, v[0:1]
	s_delay_alu instid0(VALU_DEP_1) | instskip(NEXT) | instid1(VALU_DEP_2)
	v_add_co_u32 v4, vcc_lo, v4, v7
	v_add_co_ci_u32_e32 v5, vcc_lo, v5, v8, vcc_lo
	s_clause 0x1
	flat_load_b32 v7, v[4:5] offset:512
	flat_load_b32 v5, v[4:5] offset:768
	s_waitcnt vmcnt(0) lgkmcnt(0)
	v_dual_mul_f32 v4, s9, v7 :: v_dual_mul_f32 v5, s9, v5
	s_branch .LBB5_14
.LBB5_12:
	v_dual_mov_b32 v2, 0 :: v_dual_mov_b32 v3, 0
	s_and_b32 vcc_lo, exec_lo, s3
	s_cbranch_vccz .LBB5_11
.LBB5_13:
	v_dual_mov_b32 v4, 0 :: v_dual_mov_b32 v5, 0
.LBB5_14:
	s_load_b32 s21, s[0:1], 0x30
	v_lshrrev_b32_e32 v6, 2, v6
	v_and_b32_e32 v7, 3, v17
	s_lshl_b32 s19, s19, 6
	s_and_b32 vcc_lo, exec_lo, s3
	s_delay_alu instid0(VALU_DEP_2) | instskip(NEXT) | instid1(VALU_DEP_2)
	v_add_nc_u32_e32 v18, s19, v6
	v_lshlrev_b32_e32 v15, 2, v7
	s_cbranch_vccnz .LBB5_16
; %bb.15:
	s_waitcnt lgkmcnt(0)
	s_delay_alu instid0(VALU_DEP_2) | instskip(NEXT) | instid1(VALU_DEP_1)
	v_mad_i64_i32 v[7:8], null, v18, s21, 0
	v_lshlrev_b64 v[7:8], 2, v[7:8]
	s_delay_alu instid0(VALU_DEP_1) | instskip(NEXT) | instid1(VALU_DEP_2)
	v_add_co_u32 v7, vcc_lo, s12, v7
	v_add_co_ci_u32_e32 v8, vcc_lo, s13, v8, vcc_lo
	s_delay_alu instid0(VALU_DEP_2) | instskip(NEXT) | instid1(VALU_DEP_2)
	v_add_co_u32 v7, vcc_lo, v7, v15
	v_add_co_ci_u32_e32 v8, vcc_lo, 0, v8, vcc_lo
	flat_load_b32 v7, v[7:8]
	s_waitcnt vmcnt(0) lgkmcnt(0)
	v_mul_f32_e32 v7, s9, v7
	s_branch .LBB5_17
.LBB5_16:
	v_mov_b32_e32 v7, 0
.LBB5_17:
	v_add_nc_u32_e32 v10, 4, v13
	s_delay_alu instid0(VALU_DEP_1) | instskip(NEXT) | instid1(VALU_DEP_1)
	v_mad_i64_i32 v[8:9], null, s16, v10, 0
	v_lshlrev_b64 v[8:9], 2, v[8:9]
	s_delay_alu instid0(VALU_DEP_1) | instskip(NEXT) | instid1(VALU_DEP_2)
	v_add_co_u32 v8, vcc_lo, s10, v8
	v_add_co_ci_u32_e32 v9, vcc_lo, s11, v9, vcc_lo
	s_and_b32 vcc_lo, exec_lo, s3
	s_cbranch_vccnz .LBB5_21
; %bb.18:
	v_lshlrev_b64 v[10:11], 2, v[0:1]
	s_delay_alu instid0(VALU_DEP_1) | instskip(NEXT) | instid1(VALU_DEP_2)
	v_add_co_u32 v10, vcc_lo, v8, v10
	v_add_co_ci_u32_e32 v11, vcc_lo, v9, v11, vcc_lo
	s_clause 0x1
	flat_load_b32 v12, v[10:11]
	flat_load_b32 v10, v[10:11] offset:256
	s_waitcnt vmcnt(0) lgkmcnt(0)
	v_dual_mul_f32 v11, s9, v12 :: v_dual_mul_f32 v10, s9, v10
	scratch_store_b32 off, v11, off         ; 4-byte Folded Spill
	s_and_b32 vcc_lo, exec_lo, s3
	scratch_store_b32 off, v10, off offset:4 ; 4-byte Folded Spill
	s_cbranch_vccnz .LBB5_22
.LBB5_19:
	v_lshlrev_b64 v[0:1], 2, v[0:1]
	s_delay_alu instid0(VALU_DEP_1) | instskip(NEXT) | instid1(VALU_DEP_2)
	v_add_co_u32 v0, vcc_lo, v8, v0
	v_add_co_ci_u32_e32 v1, vcc_lo, v9, v1, vcc_lo
	s_clause 0x1
	flat_load_b32 v8, v[0:1] offset:512
	flat_load_b32 v0, v[0:1] offset:768
	s_waitcnt vmcnt(1) lgkmcnt(0)
	v_mul_f32_e32 v1, s9, v8
	s_waitcnt vmcnt(0)
	v_mul_f32_e32 v0, s9, v0
	scratch_store_b32 off, v1, off offset:8 ; 4-byte Folded Spill
	s_and_b32 vcc_lo, exec_lo, s3
	s_clause 0x1
	scratch_store_b32 off, v0, off offset:12
	scratch_store_b32 off, v18, off offset:60
	s_cbranch_vccnz .LBB5_23
.LBB5_20:
	s_waitcnt lgkmcnt(0)
	v_mad_i64_i32 v[0:1], null, v18, s21, 0
	s_delay_alu instid0(VALU_DEP_1) | instskip(NEXT) | instid1(VALU_DEP_1)
	v_lshlrev_b64 v[0:1], 2, v[0:1]
	v_add_co_u32 v0, vcc_lo, s12, v0
	s_delay_alu instid0(VALU_DEP_2) | instskip(NEXT) | instid1(VALU_DEP_2)
	v_add_co_ci_u32_e32 v1, vcc_lo, s13, v1, vcc_lo
	v_add_co_u32 v0, vcc_lo, v0, v15
	s_delay_alu instid0(VALU_DEP_2)
	v_add_co_ci_u32_e32 v1, vcc_lo, 0, v1, vcc_lo
	flat_load_b32 v0, v[0:1] offset:16
	s_waitcnt vmcnt(0) lgkmcnt(0)
	v_mul_f32_e32 v0, s9, v0
	s_branch .LBB5_24
.LBB5_21:
	v_mov_b32_e32 v10, 0
	scratch_store_b32 off, v10, off         ; 4-byte Folded Spill
	v_mov_b32_e32 v10, 0
	s_and_b32 vcc_lo, exec_lo, s3
	scratch_store_b32 off, v10, off offset:4 ; 4-byte Folded Spill
	s_cbranch_vccz .LBB5_19
.LBB5_22:
	v_mov_b32_e32 v0, 0
	scratch_store_b32 off, v0, off offset:8 ; 4-byte Folded Spill
	v_mov_b32_e32 v0, 0
	s_and_b32 vcc_lo, exec_lo, s3
	s_clause 0x1
	scratch_store_b32 off, v0, off offset:12
	scratch_store_b32 off, v18, off offset:60
	s_cbranch_vccz .LBB5_20
.LBB5_23:
	v_mov_b32_e32 v0, 0
.LBB5_24:
	v_lshl_or_b32 v1, v6, 4, v15
	scratch_store_b32 off, v0, off offset:16 ; 4-byte Folded Spill
	v_lshlrev_b32_e32 v0, 2, v13
	v_lshlrev_b32_e32 v201, 4, v150
	;; [unrolled: 1-line block ×3, first 2 shown]
	scratch_store_b32 off, v1, off offset:20 ; 4-byte Folded Spill
	s_cmp_lt_i32 s8, 9
	v_lshl_add_u32 v74, v14, 4, v0
	ds_store_b32 v1, v7 offset:8192
	ds_store_2addr_stride64_b32 v74, v2, v3 offset1:4
	ds_store_2addr_stride64_b32 v74, v4, v5 offset0:8 offset1:12
	s_waitcnt lgkmcnt(0)
	s_waitcnt_vscnt null, 0x0
	s_barrier
	buffer_gl0_inv
	ds_load_b128 v[26:29], v201 offset:8192
	ds_load_b128 v[0:3], v73
	s_clause 0x2
	scratch_store_b32 off, v13, off offset:64
	scratch_store_b32 off, v14, off offset:72
	;; [unrolled: 1-line block ×3, first 2 shown]
	s_waitcnt lgkmcnt(0)
	v_add_f32_e32 v144, v0, v26
	v_add_f32_e32 v18, v1, v27
	ds_load_b128 v[12:15], v73 offset:512
	ds_load_b128 v[8:11], v73 offset:1024
	;; [unrolled: 1-line block ×4, first 2 shown]
	v_add_f32_e32 v148, v3, v29
	v_add_f32_e32 v128, v2, v28
	scratch_store_b32 off, v18, off offset:28 ; 4-byte Folded Spill
	s_waitcnt lgkmcnt(3)
	v_dual_add_f32 v18, v13, v27 :: v_dual_add_f32 v135, v15, v29
	v_add_f32_e32 v83, v14, v28
	s_waitcnt lgkmcnt(1)
	v_dual_add_f32 v145, v8, v26 :: v_dual_add_f32 v130, v7, v29
	s_waitcnt lgkmcnt(0)
	v_add_f32_e32 v91, v9, v31
	scratch_store_b32 off, v18, off offset:32 ; 4-byte Folded Spill
	v_add_f32_e32 v18, v9, v27
	v_dual_add_f32 v87, v1, v31 :: v_dual_add_f32 v88, v0, v30
	v_add_f32_e32 v105, v15, v33
	v_add_f32_e32 v89, v13, v31
	scratch_store_b32 off, v18, off offset:36 ; 4-byte Folded Spill
	v_add_f32_e32 v18, v5, v27
	v_dual_add_f32 v90, v12, v30 :: v_dual_add_f32 v107, v11, v33
	v_dual_add_f32 v92, v8, v30 :: v_dual_add_f32 v109, v7, v33
	scratch_store_b32 off, v18, off offset:40 ; 4-byte Folded Spill
	v_add_f32_e32 v18, v4, v26
	v_add_f32_e32 v104, v2, v32
	;; [unrolled: 1-line block ×3, first 2 shown]
	v_dual_add_f32 v108, v10, v32 :: v_dual_add_f32 v129, v11, v29
	scratch_store_b32 off, v18, off offset:44 ; 4-byte Folded Spill
	ds_load_b128 v[34:37], v73 offset:2048
	ds_load_b128 v[38:41], v73 offset:2560
	v_dual_add_f32 v142, v12, v26 :: v_dual_add_f32 v93, v5, v31
	v_add_f32_e32 v94, v4, v30
	v_add_f32_e32 v110, v6, v32
	;; [unrolled: 1-line block ×5, first 2 shown]
	s_waitcnt lgkmcnt(0)
	v_dual_add_f32 v131, v37, v29 :: v_dual_add_f32 v18, v39, v27
	v_dual_add_f32 v143, v35, v27 :: v_dual_add_f32 v140, v34, v26
	v_add_f32_e32 v80, v36, v28
	v_dual_add_f32 v132, v41, v29 :: v_dual_add_f32 v95, v35, v31
	scratch_store_b32 off, v18, off offset:48 ; 4-byte Folded Spill
	v_add_f32_e32 v18, v38, v26
	v_dual_add_f32 v82, v40, v28 :: v_dual_add_f32 v97, v39, v31
	v_dual_add_f32 v96, v34, v30 :: v_dual_add_f32 v113, v41, v33
	scratch_store_b32 off, v18, off offset:52 ; 4-byte Folded Spill
	ds_load_b128 v[42:45], v73 offset:3072
	ds_load_b128 v[46:49], v73 offset:3584
	v_dual_add_f32 v98, v38, v30 :: v_dual_add_f32 v111, v37, v33
	v_add_f32_e32 v112, v36, v32
	s_waitcnt lgkmcnt(1)
	v_dual_add_f32 v114, v40, v32 :: v_dual_add_f32 v141, v43, v27
	s_waitcnt lgkmcnt(0)
	v_dual_add_f32 v18, v47, v27 :: v_dual_add_f32 v137, v42, v26
	v_dual_add_f32 v136, v46, v26 :: v_dual_add_f32 v133, v45, v29
	;; [unrolled: 1-line block ×3, first 2 shown]
	scratch_store_b32 off, v18, off offset:56 ; 4-byte Folded Spill
	v_dual_add_f32 v134, v49, v29 :: v_dual_add_f32 v101, v47, v31
	v_add_f32_e32 v86, v48, v28
	v_dual_add_f32 v100, v42, v30 :: v_dual_add_f32 v117, v49, v33
	v_dual_add_f32 v102, v46, v30 :: v_dual_add_f32 v115, v45, v33
	v_add_f32_e32 v116, v44, v32
	v_add_f32_e32 v118, v48, v32
	ds_load_b128 v[26:29], v201 offset:8448
	ds_load_b128 v[30:33], v201 offset:8576
	s_waitcnt lgkmcnt(1)
	v_add_f32_e32 v153, v46, v26
	v_dual_add_f32 v119, v1, v27 :: v_dual_add_f32 v120, v0, v26
	v_add_f32_e32 v127, v2, v28
	v_dual_add_f32 v121, v13, v27 :: v_dual_add_f32 v122, v12, v26
	;; [unrolled: 2-line block ×5, first 2 shown]
	v_dual_add_f32 v161, v36, v28 :: v_dual_add_f32 v78, v39, v27
	v_add_f32_e32 v163, v40, v28
	v_add_f32_e32 v149, v38, v26
	v_add_f32_e32 v79, v43, v27
	v_dual_add_f32 v151, v42, v26 :: v_dual_add_f32 v152, v47, v27
	v_dual_add_f32 v165, v44, v28 :: v_dual_add_f32 v126, v3, v29
	;; [unrolled: 1-line block ×3, first 2 shown]
	s_waitcnt lgkmcnt(0)
	v_dual_add_f32 v169, v0, v30 :: v_dual_add_f32 v156, v11, v29
	v_dual_add_f32 v171, v12, v30 :: v_dual_add_f32 v158, v7, v29
	;; [unrolled: 1-line block ×16, first 2 shown]
	v_add_f32_e32 v188, v11, v33
	v_add_f32_e32 v190, v7, v33
	;; [unrolled: 1-line block ×6, first 2 shown]
	ds_load_b128 v[26:29], v201 offset:8704
	ds_load_b128 v[30:33], v201 offset:8832
	scratch_store_b32 off, v17, off offset:24 ; 4-byte Folded Spill
	s_waitcnt lgkmcnt(1)
	v_dual_add_f32 v213, v42, v26 :: v_dual_add_f32 v200, v1, v27
	v_add_f32_e32 v215, v46, v26
	v_dual_add_f32 v147, v0, v26 :: v_dual_add_f32 v202, v13, v27
	v_add_f32_e32 v217, v2, v28
	;; [unrolled: 2-line block ×6, first 2 shown]
	v_dual_add_f32 v211, v38, v26 :: v_dual_add_f32 v212, v43, v27
	v_dual_add_f32 v227, v40, v28 :: v_dual_add_f32 v214, v47, v27
	;; [unrolled: 1-line block ×4, first 2 shown]
	s_waitcnt lgkmcnt(0)
	v_dual_add_f32 v233, v0, v30 :: v_dual_add_f32 v220, v11, v29
	v_dual_add_f32 v235, v12, v30 :: v_dual_add_f32 v222, v7, v29
	;; [unrolled: 1-line block ×14, first 2 shown]
	v_add_f32_e32 v69, v45, v33
	v_dual_add_f32 v248, v3, v33 :: v_dual_add_f32 v67, v44, v32
	v_add_f32_e32 v250, v15, v33
	v_add_f32_e32 v252, v11, v33
	;; [unrolled: 1-line block ×7, first 2 shown]
	ds_load_b128 v[26:29], v201 offset:8960
	ds_load_b128 v[30:33], v201 offset:9088
	s_waitcnt lgkmcnt(1)
	v_add_f32_e32 v23, v43, v27
	v_dual_add_f32 v52, v1, v27 :: v_dual_add_f32 v21, v42, v26
	v_add_f32_e32 v54, v0, v26
	v_add_f32_e32 v51, v12, v26
	;; [unrolled: 1-line block ×3, first 2 shown]
	v_dual_add_f32 v22, v4, v26 :: v_dual_add_f32 v65, v11, v29
	v_dual_add_f32 v60, v34, v26 :: v_dual_add_f32 v199, v37, v29
	v_add_f32_e32 v61, v38, v26
	v_dual_add_f32 v26, v46, v26 :: v_dual_add_f32 v17, v40, v28
	s_waitcnt lgkmcnt(0)
	v_add_f32_e32 v0, v0, v30
	v_dual_add_f32 v12, v12, v30 :: v_dual_add_f32 v37, v37, v33
	v_add_f32_e32 v8, v8, v30
	v_add_f32_e32 v4, v4, v30
	;; [unrolled: 1-line block ×6, first 2 shown]
	scratch_load_b32 v46, off, off offset:28 ; 4-byte Folded Reload
	v_dual_add_f32 v56, v13, v27 :: v_dual_add_f32 v63, v14, v28
	v_add_f32_e32 v53, v9, v27
	v_add_f32_e32 v57, v5, v27
	v_dual_add_f32 v58, v35, v27 :: v_dual_add_f32 v25, v10, v28
	v_add_f32_e32 v59, v39, v27
	v_add_f32_e32 v27, v47, v27
	v_dual_add_f32 v24, v3, v29 :: v_dual_add_f32 v1, v1, v31
	v_dual_add_f32 v64, v15, v29 :: v_dual_add_f32 v13, v13, v31
	;; [unrolled: 1-line block ×3, first 2 shown]
	v_add_f32_e32 v72, v6, v28
	v_dual_add_f32 v20, v41, v29 :: v_dual_add_f32 v35, v35, v31
	v_dual_add_f32 v14, v14, v32 :: v_dual_add_f32 v39, v39, v31
	;; [unrolled: 1-line block ×7, first 2 shown]
	v_add_f32_e32 v7, v7, v33
	v_min3_f32 v0, v0, v1, 0x7f7fffff
	v_dual_add_f32 v18, v44, v28 :: v_dual_add_f32 v15, v15, v33
	v_dual_add_f32 v28, v48, v28 :: v_dual_add_f32 v11, v11, v33
	v_add_f32_e32 v41, v41, v33
	v_dual_add_f32 v45, v45, v33 :: v_dual_add_f32 v36, v36, v32
	v_dual_add_f32 v33, v49, v33 :: v_dual_add_f32 v40, v40, v32
	v_add_f32_e32 v44, v44, v32
	v_add_f32_e32 v32, v48, v32
	v_min3_f32 v22, v22, v57, 0x7f7fffff
	v_add_f32_e32 v29, v49, v29
	s_waitcnt vmcnt(0)
	v_min3_f32 v46, v144, v46, 0x7f7fffff
	s_delay_alu instid0(VALU_DEP_1) | instskip(SKIP_3) | instid1(VALU_DEP_1)
	v_min3_f32 v148, v128, v148, v46
	scratch_load_b32 v46, off, off offset:32 ; 4-byte Folded Reload
	s_waitcnt vmcnt(0)
	v_min3_f32 v46, v142, v46, 0x7f7fffff
	v_min3_f32 v144, v83, v135, v46
	scratch_load_b32 v46, off, off offset:36 ; 4-byte Folded Reload
	s_waitcnt vmcnt(0)
	v_min3_f32 v46, v145, v46, 0x7f7fffff
	s_delay_alu instid0(VALU_DEP_1)
	v_min3_f32 v145, v81, v129, v46
	s_clause 0x1
	scratch_load_b32 v46, off, off offset:40
	scratch_load_b32 v47, off, off offset:44
	s_waitcnt vmcnt(0)
	v_min3_f32 v46, v47, v46, 0x7f7fffff
	s_delay_alu instid0(VALU_DEP_1) | instskip(SKIP_1) | instid1(VALU_DEP_1)
	v_min3_f32 v142, v85, v130, v46
	v_min3_f32 v46, v140, v143, 0x7f7fffff
	;; [unrolled: 1-line block ×3, first 2 shown]
	s_clause 0x1
	scratch_load_b32 v46, off, off offset:48
	scratch_load_b32 v47, off, off offset:52
	s_waitcnt vmcnt(0)
	v_min3_f32 v46, v47, v46, 0x7f7fffff
	s_delay_alu instid0(VALU_DEP_1) | instskip(SKIP_1) | instid1(VALU_DEP_1)
	v_min3_f32 v140, v82, v132, v46
	v_min3_f32 v46, v137, v141, 0x7f7fffff
	;; [unrolled: 1-line block ×3, first 2 shown]
	scratch_load_b32 v46, off, off offset:56 ; 4-byte Folded Reload
	s_waitcnt vmcnt(0)
	v_min3_f32 v46, v136, v46, 0x7f7fffff
	s_delay_alu instid0(VALU_DEP_1)
	v_min3_f32 v137, v86, v134, v46
	v_min3_f32 v46, v88, v87, 0x7f7fffff
	;; [unrolled: 1-line block ×4, first 2 shown]
	scratch_load_b32 v3, off, off offset:20 ; 4-byte Folded Reload
	v_min3_f32 v136, v104, v103, v46
	v_min3_f32 v46, v90, v89, 0x7f7fffff
	;; [unrolled: 1-line block ×4, first 2 shown]
	s_delay_alu instid0(VALU_DEP_3) | instskip(SKIP_1) | instid1(VALU_DEP_3)
	v_min3_f32 v134, v106, v105, v46
	v_min3_f32 v46, v92, v91, 0x7f7fffff
	v_min3_f32 v85, v10, v11, v0
	v_min3_f32 v0, v4, v5, 0x7f7fffff
	v_min3_f32 v91, v72, v66, v22
	v_min3_f32 v22, v60, v58, 0x7f7fffff
	v_min3_f32 v135, v108, v107, v46
	v_min3_f32 v46, v94, v93, 0x7f7fffff
	v_min3_f32 v83, v6, v7, v0
	v_min3_f32 v0, v34, v35, 0x7f7fffff
	v_min3_f32 v92, v16, v199, v22
	v_min3_f32 v16, v61, v59, 0x7f7fffff
	v_min3_f32 v132, v110, v109, v46
	v_min3_f32 v46, v96, v95, 0x7f7fffff
	v_min3_f32 v84, v36, v37, v0
	v_min3_f32 v0, v38, v39, 0x7f7fffff
	v_min3_f32 v89, v17, v20, v16
	v_min3_f32 v16, v21, v23, 0x7f7fffff
	v_min3_f32 v133, v112, v111, v46
	v_min3_f32 v46, v98, v97, 0x7f7fffff
	v_min3_f32 v81, v40, v41, v0
	v_min3_f32 v0, v42, v43, 0x7f7fffff
	v_min3_f32 v90, v18, v19, v16
	v_min3_f32 v16, v26, v27, 0x7f7fffff
	v_min3_f32 v130, v114, v113, v46
	v_min3_f32 v46, v100, v99, 0x7f7fffff
	v_min3_f32 v82, v44, v45, v0
	v_min3_f32 v0, v30, v31, 0x7f7fffff
	v_min3_f32 v87, v28, v29, v16
	s_delay_alu instid0(VALU_DEP_4) | instskip(SKIP_1) | instid1(VALU_DEP_4)
	v_min3_f32 v131, v116, v115, v46
	v_min3_f32 v46, v102, v101, 0x7f7fffff
	;; [unrolled: 1-line block ×3, first 2 shown]
	s_clause 0x1
	scratch_load_b32 v0, off, off
	scratch_load_b32 v1, off, off offset:4
	v_min3_f32 v128, v118, v117, v46
	v_min3_f32 v46, v120, v119, 0x7f7fffff
	s_delay_alu instid0(VALU_DEP_1) | instskip(SKIP_1) | instid1(VALU_DEP_1)
	v_min3_f32 v129, v127, v126, v46
	v_min3_f32 v46, v122, v121, 0x7f7fffff
	v_min3_f32 v127, v155, v154, v46
	v_min3_f32 v46, v124, v123, 0x7f7fffff
	s_delay_alu instid0(VALU_DEP_1) | instskip(SKIP_1) | instid1(VALU_DEP_1)
	v_min3_f32 v126, v157, v156, v46
	v_min3_f32 v46, v138, v125, 0x7f7fffff
	;; [unrolled: 5-line block ×17, first 2 shown]
	v_min3_f32 v93, v63, v64, v24
	v_min3_f32 v24, v55, v53, 0x7f7fffff
	s_delay_alu instid0(VALU_DEP_1)
	v_min3_f32 v94, v25, v65, v24
	s_waitcnt vmcnt(0)
	ds_store_2addr_stride64_b32 v74, v0, v1 offset0:16 offset1:20
	s_clause 0x1
	scratch_load_b32 v0, off, off offset:8
	scratch_load_b32 v1, off, off offset:12
	s_waitcnt vmcnt(0)
	ds_store_2addr_stride64_b32 v74, v0, v1 offset0:24 offset1:28
	scratch_load_b32 v0, off, off offset:16 ; 4-byte Folded Reload
	s_waitcnt vmcnt(0)
	ds_store_b32 v3, v0 offset:9216
	s_waitcnt lgkmcnt(0)
	s_waitcnt_vscnt null, 0x0
	s_barrier
	buffer_gl0_inv
	s_cbranch_scc1 .LBB5_42
; %bb.25:
	s_clause 0x3
	scratch_load_b32 v2, off, off offset:60
	scratch_load_b32 v4, off, off offset:64
	;; [unrolled: 1-line block ×4, first 2 shown]
	v_add_nc_u32_e32 v75, 0x2000, v3
	v_add_nc_u32_e32 v78, 0x2400, v3
	v_dual_mov_b32 v199, v150 :: v_dual_add_nc_u32 v76, 0x2000, v201
	v_add_nc_u32_e32 v77, 0x1000, v74
	v_lshl_add_u32 v111, v150, 4, 0x2400
	s_add_i32 s8, s8, -8
	s_waitcnt vmcnt(3)
	v_mad_i64_i32 v[0:1], null, s21, v2, 0
	scratch_load_b32 v2, off, off offset:72 ; 4-byte Folded Reload
	s_waitcnt vmcnt(3)
	v_add_nc_u32_e32 v3, 12, v4
	v_add_nc_u32_e32 v8, 8, v4
	s_waitcnt vmcnt(1)
	v_lshl_add_u32 v79, v200, 4, 0x1000
	v_lshlrev_b64 v[0:1], 2, v[0:1]
	s_delay_alu instid0(VALU_DEP_1) | instskip(NEXT) | instid1(VALU_DEP_2)
	v_add_co_u32 v6, vcc_lo, v0, v5
	v_add_co_ci_u32_e32 v7, vcc_lo, 0, v1, vcc_lo
	v_mad_i64_i32 v[0:1], null, v3, s16, 0
	s_delay_alu instid0(VALU_DEP_3) | instskip(SKIP_1) | instid1(VALU_DEP_4)
	v_add_co_u32 v6, vcc_lo, v6, s12
	v_mad_i64_i32 v[4:5], null, v8, s16, 0
	v_add_co_ci_u32_e32 v7, vcc_lo, s13, v7, vcc_lo
	s_delay_alu instid0(VALU_DEP_3) | instskip(SKIP_1) | instid1(VALU_DEP_3)
	v_add_co_u32 v64, vcc_lo, v6, 32
	v_lshlrev_b64 v[66:67], 2, v[0:1]
	v_add_co_ci_u32_e32 v65, vcc_lo, 0, v7, vcc_lo
	v_lshlrev_b64 v[68:69], 2, v[4:5]
	s_mov_b32 s12, 0
	s_waitcnt vmcnt(0)
	v_lshl_or_b32 v2, s14, 8, v2
	s_lshl_b32 s14, s20, 8
	s_delay_alu instid0(VALU_DEP_1) | instid1(SALU_CYCLE_1)
	v_subrev_nc_u32_e32 v2, s14, v2
	s_delay_alu instid0(VALU_DEP_1) | instskip(NEXT) | instid1(VALU_DEP_1)
	v_ashrrev_i32_e32 v3, 31, v2
	v_lshlrev_b64 v[2:3], 2, v[2:3]
	s_delay_alu instid0(VALU_DEP_1) | instskip(NEXT) | instid1(VALU_DEP_2)
	v_add_co_u32 v138, vcc_lo, s10, v2
	v_add_co_ci_u32_e32 v139, vcc_lo, s11, v3, vcc_lo
	s_lshl_b64 s[10:11], s[16:17], 5
	s_branch .LBB5_28
.LBB5_26:                               ;   in Loop: Header=BB5_28 Depth=1
	flat_load_b32 v0, v[64:65] offset:16
	s_waitcnt vmcnt(0) lgkmcnt(0)
	v_mul_f32_e32 v0, s9, v0
.LBB5_27:                               ;   in Loop: Header=BB5_28 Depth=1
	ds_load_b128 v[92:95], v76
	ds_load_b128 v[151:154], v73
	ds_load_b128 v[155:158], v73 offset:512
	ds_load_b128 v[159:162], v73 offset:1024
	;; [unrolled: 1-line block ×14, first 2 shown]
	v_add_co_u32 v64, vcc_lo, v64, 32
	v_add_co_ci_u32_e32 v65, vcc_lo, 0, v65, vcc_lo
	v_add_co_u32 v138, vcc_lo, v138, s10
	s_waitcnt lgkmcnt(14)
	v_dual_add_f32 v11, v152, v93 :: v_dual_add_f32 v14, v151, v92
	s_waitcnt lgkmcnt(13)
	v_dual_add_f32 v15, v156, v93 :: v_dual_add_f32 v18, v155, v92
	;; [unrolled: 2-line block ×3, first 2 shown]
	s_waitcnt lgkmcnt(11)
	v_add_f32_e32 v23, v164, v93
	v_min3_f32 v11, v14, v11, v25
	v_min3_f32 v14, v18, v15, v28
	v_add_f32_e32 v18, v163, v92
	v_min3_f32 v15, v22, v19, v29
	s_waitcnt lgkmcnt(10)
	v_dual_add_f32 v19, v168, v93 :: v_dual_add_f32 v22, v167, v92
	s_waitcnt lgkmcnt(9)
	v_dual_add_f32 v25, v172, v93 :: v_dual_add_f32 v28, v171, v92
	;; [unrolled: 2-line block ×4, first 2 shown]
	v_min3_f32 v1, v18, v23, v1
	v_min3_f32 v18, v22, v19, v32
	;; [unrolled: 1-line block ×5, first 2 shown]
	s_waitcnt lgkmcnt(6)
	v_dual_add_f32 v25, v152, v97 :: v_dual_add_f32 v28, v151, v96
	v_dual_add_f32 v29, v156, v97 :: v_dual_add_f32 v32, v155, v96
	;; [unrolled: 1-line block ×5, first 2 shown]
	v_min3_f32 v4, v28, v25, v4
	v_min3_f32 v25, v32, v29, v40
	;; [unrolled: 1-line block ×5, first 2 shown]
	v_dual_add_f32 v33, v172, v97 :: v_dual_add_f32 v34, v171, v96
	v_dual_add_f32 v35, v176, v97 :: v_dual_add_f32 v36, v175, v96
	;; [unrolled: 1-line block ×3, first 2 shown]
	s_waitcnt lgkmcnt(5)
	v_dual_add_f32 v39, v152, v101 :: v_dual_add_f32 v40, v151, v100
	v_dual_add_f32 v41, v156, v101 :: v_dual_add_f32 v44, v155, v100
	v_min3_f32 v5, v34, v33, v5
	v_min3_f32 v33, v36, v35, v48
	;; [unrolled: 1-line block ×5, first 2 shown]
	v_dual_add_f32 v37, v160, v101 :: v_dual_add_f32 v38, v159, v100
	v_dual_add_f32 v39, v164, v101 :: v_dual_add_f32 v40, v163, v100
	;; [unrolled: 1-line block ×5, first 2 shown]
	v_min3_f32 v8, v38, v37, v8
	v_min3_f32 v37, v40, v39, v54
	;; [unrolled: 1-line block ×5, first 2 shown]
	v_dual_add_f32 v41, v180, v101 :: v_dual_add_f32 v44, v179, v100
	s_waitcnt lgkmcnt(4)
	v_dual_add_f32 v45, v152, v105 :: v_dual_add_f32 v48, v151, v104
	v_dual_add_f32 v49, v156, v105 :: v_dual_add_f32 v52, v155, v104
	v_dual_add_f32 v53, v160, v105 :: v_dual_add_f32 v54, v159, v104
	v_dual_add_f32 v55, v164, v105 :: v_dual_add_f32 v56, v163, v104
	v_min3_f32 v9, v44, v41, v9
	v_min3_f32 v41, v48, v45, v58
	;; [unrolled: 1-line block ×5, first 2 shown]
	v_dual_add_f32 v49, v168, v105 :: v_dual_add_f32 v52, v167, v104
	v_dual_add_f32 v53, v172, v105 :: v_dual_add_f32 v54, v171, v104
	;; [unrolled: 1-line block ×4, first 2 shown]
	s_waitcnt lgkmcnt(3)
	v_dual_add_f32 v59, v152, v184 :: v_dual_add_f32 v60, v151, v183
	v_min3_f32 v12, v52, v49, v12
	v_min3_f32 v49, v54, v53, v50
	;; [unrolled: 1-line block ×5, first 2 shown]
	v_dual_add_f32 v53, v156, v184 :: v_dual_add_f32 v54, v155, v183
	v_dual_add_f32 v55, v160, v184 :: v_dual_add_f32 v56, v159, v183
	v_dual_add_f32 v57, v164, v184 :: v_dual_add_f32 v58, v163, v183
	v_dual_add_f32 v59, v168, v184 :: v_dual_add_f32 v60, v167, v183
	v_dual_add_f32 v61, v172, v184 :: v_dual_add_f32 v62, v171, v183
	v_min3_f32 v13, v54, v53, v13
	v_min3_f32 v53, v56, v55, v80
	;; [unrolled: 1-line block ×5, first 2 shown]
	v_dual_add_f32 v57, v176, v184 :: v_dual_add_f32 v58, v175, v183
	v_dual_add_f32 v59, v180, v184 :: v_dual_add_f32 v60, v179, v183
	s_waitcnt lgkmcnt(2)
	v_dual_add_f32 v61, v152, v188 :: v_dual_add_f32 v62, v151, v187
	v_dual_add_f32 v63, v156, v188 :: v_dual_add_f32 v70, v155, v187
	;; [unrolled: 1-line block ×3, first 2 shown]
	v_min3_f32 v16, v58, v57, v16
	v_min3_f32 v46, v60, v59, v46
	;; [unrolled: 1-line block ×4, first 2 shown]
	v_dual_add_f32 v59, v164, v188 :: v_dual_add_f32 v60, v163, v187
	v_dual_add_f32 v61, v168, v188 :: v_dual_add_f32 v62, v167, v187
	;; [unrolled: 1-line block ×4, first 2 shown]
	v_min3_f32 v58, v72, v71, v85
	v_dual_add_f32 v71, v176, v188 :: v_dual_add_f32 v72, v175, v187
	v_min3_f32 v17, v60, v59, v17
	v_min3_f32 v42, v62, v61, v42
	;; [unrolled: 1-line block ×4, first 2 shown]
	s_waitcnt lgkmcnt(1)
	v_dual_add_f32 v61, v152, v192 :: v_dual_add_f32 v62, v151, v191
	v_dual_add_f32 v63, v156, v192 :: v_dual_add_f32 v70, v155, v191
	;; [unrolled: 1-line block ×4, first 2 shown]
	v_min3_f32 v59, v72, v71, v86
	v_dual_add_f32 v71, v160, v192 :: v_dual_add_f32 v72, v159, v191
	v_min3_f32 v20, v62, v61, v20
	v_min3_f32 v61, v70, v63, v88
	;; [unrolled: 1-line block ×4, first 2 shown]
	v_dual_add_f32 v80, v176, v192 :: v_dual_add_f32 v81, v175, v191
	v_dual_add_f32 v82, v180, v192 :: v_dual_add_f32 v83, v179, v191
	s_waitcnt lgkmcnt(0)
	v_dual_add_f32 v84, v152, v196 :: v_dual_add_f32 v85, v151, v195
	v_dual_add_f32 v86, v156, v196 :: v_dual_add_f32 v87, v155, v195
	v_min3_f32 v62, v72, v71, v89
	v_dual_add_f32 v71, v172, v192 :: v_dual_add_f32 v72, v171, v191
	v_min3_f32 v26, v81, v80, v26
	v_min3_f32 v27, v83, v82, v27
	;; [unrolled: 1-line block ×4, first 2 shown]
	v_dual_add_f32 v80, v164, v196 :: v_dual_add_f32 v81, v163, v195
	v_dual_add_f32 v82, v168, v196 :: v_dual_add_f32 v83, v167, v195
	;; [unrolled: 1-line block ×4, first 2 shown]
	v_min3_f32 v21, v72, v71, v21
	v_dual_add_f32 v71, v160, v196 :: v_dual_add_f32 v72, v159, v195
	v_min3_f32 v3, v81, v80, v3
	v_min3_f32 v6, v83, v82, v6
	;; [unrolled: 1-line block ×4, first 2 shown]
	v_dual_add_f32 v80, v154, v95 :: v_dual_add_f32 v81, v153, v94
	v_dual_add_f32 v82, v158, v95 :: v_dual_add_f32 v83, v157, v94
	;; [unrolled: 1-line block ×4, first 2 shown]
	v_min3_f32 v24, v72, v71, v24
	v_dual_add_f32 v71, v180, v196 :: v_dual_add_f32 v72, v179, v195
	v_min3_f32 v148, v81, v80, v11
	v_min3_f32 v144, v83, v82, v14
	;; [unrolled: 1-line block ×4, first 2 shown]
	v_add_f32_e32 v1, v170, v95
	v_dual_add_f32 v11, v169, v94 :: v_dual_add_f32 v14, v174, v95
	v_dual_add_f32 v15, v173, v94 :: v_dual_add_f32 v80, v182, v95
	v_min3_f32 v2, v72, v71, v2
	v_add_f32_e32 v72, v177, v94
	v_dual_add_f32 v81, v181, v94 :: v_dual_add_f32 v82, v154, v99
	v_add_f32_e32 v83, v153, v98
	v_min3_f32 v143, v11, v1, v18
	v_min3_f32 v140, v15, v14, v19
	v_dual_add_f32 v1, v158, v99 :: v_dual_add_f32 v14, v161, v98
	v_dual_add_f32 v11, v162, v99 :: v_dual_add_f32 v18, v165, v98
	v_add_f32_e32 v71, v178, v95
	v_min3_f32 v137, v81, v80, v23
	v_add_f32_e32 v15, v166, v99
	s_delay_alu instid0(VALU_DEP_4)
	v_min3_f32 v135, v14, v11, v28
	v_add_f32_e32 v14, v154, v103
	v_min3_f32 v136, v83, v82, v4
	v_add_f32_e32 v4, v157, v98
	v_min3_f32 v141, v72, v71, v22
	v_dual_add_f32 v22, v169, v98 :: v_dual_add_f32 v19, v170, v99
	v_add_f32_e32 v23, v174, v99
	v_add_f32_e32 v71, v173, v98
	v_min3_f32 v134, v4, v1, v25
	v_dual_add_f32 v1, v178, v99 :: v_dual_add_f32 v4, v177, v98
	v_min3_f32 v132, v18, v15, v29
	v_min3_f32 v133, v22, v19, v32
	v_dual_add_f32 v11, v181, v98 :: v_dual_add_f32 v22, v162, v103
	v_dual_add_f32 v15, v153, v102 :: v_dual_add_f32 v18, v158, v103
	v_add_f32_e32 v19, v157, v102
	v_min3_f32 v131, v4, v1, v33
	v_add_f32_e32 v4, v165, v102
	v_min3_f32 v130, v71, v23, v5
	v_add_f32_e32 v5, v182, v99
	v_add_f32_e32 v23, v161, v102
	v_min3_f32 v129, v15, v14, v35
	v_add_f32_e32 v14, v173, v102
	v_min3_f32 v127, v19, v18, v36
	v_min3_f32 v128, v11, v5, v34
	;; [unrolled: 1-line block ×3, first 2 shown]
	v_dual_add_f32 v1, v166, v103 :: v_dual_add_f32 v18, v177, v102
	v_dual_add_f32 v5, v170, v103 :: v_dual_add_f32 v22, v181, v102
	;; [unrolled: 1-line block ×3, first 2 shown]
	v_add_f32_e32 v15, v178, v103
	s_delay_alu instid0(VALU_DEP_4) | instskip(SKIP_1) | instid1(VALU_DEP_4)
	v_min3_f32 v124, v4, v1, v37
	v_add_f32_e32 v4, v153, v106
	v_min3_f32 v125, v8, v5, v38
	v_add_f32_e32 v8, v157, v106
	v_min3_f32 v122, v14, v11, v39
	v_min3_f32 v123, v18, v15, v40
	v_add_f32_e32 v5, v158, v107
	v_dual_add_f32 v14, v166, v107 :: v_dual_add_f32 v15, v165, v106
	v_add_f32_e32 v19, v182, v103
	v_add_f32_e32 v1, v154, v107
	v_dual_add_f32 v11, v161, v106 :: v_dual_add_f32 v18, v170, v107
	s_delay_alu instid0(VALU_DEP_4)
	v_min3_f32 v117, v15, v14, v48
	v_add_f32_e32 v14, v153, v185
	v_min3_f32 v118, v8, v5, v44
	v_dual_add_f32 v8, v177, v106 :: v_dual_add_f32 v5, v178, v107
	v_min3_f32 v121, v4, v1, v41
	v_dual_add_f32 v1, v174, v107 :: v_dual_add_f32 v4, v173, v106
	v_min3_f32 v120, v22, v19, v9
	v_add_f32_e32 v9, v162, v107
	v_add_f32_e32 v19, v169, v106
	v_min3_f32 v115, v8, v5, v50
	v_dual_add_f32 v5, v166, v186 :: v_dual_add_f32 v8, v165, v185
	v_add_f32_e32 v15, v158, v186
	s_delay_alu instid0(VALU_DEP_4)
	v_min3_f32 v116, v19, v18, v12
	v_add_f32_e32 v18, v157, v185
	v_min3_f32 v119, v11, v9, v45
	v_add_f32_e32 v9, v182, v107
	v_min3_f32 v114, v4, v1, v49
	v_dual_add_f32 v1, v162, v186 :: v_dual_add_f32 v4, v161, v185
	v_min3_f32 v107, v8, v5, v54
	v_dual_add_f32 v5, v154, v190 :: v_dual_add_f32 v8, v153, v189
	v_add_f32_e32 v11, v181, v106
	v_add_f32_e32 v12, v154, v186
	v_min3_f32 v110, v4, v1, v53
	v_dual_add_f32 v1, v182, v186 :: v_dual_add_f32 v4, v181, v185
	v_min3_f32 v104, v8, v5, v47
	v_dual_add_f32 v5, v174, v190 :: v_dual_add_f32 v8, v173, v189
	v_min3_f32 v112, v11, v9, v51
	v_min3_f32 v109, v18, v15, v13
	v_add_f32_e32 v9, v170, v186
	v_add_f32_e32 v11, v169, v185
	v_min3_f32 v113, v14, v12, v52
	v_dual_add_f32 v12, v174, v186 :: v_dual_add_f32 v13, v173, v185
	v_dual_add_f32 v14, v178, v186 :: v_dual_add_f32 v15, v177, v185
	v_min3_f32 v97, v8, v5, v43
	v_add_f32_e32 v8, v161, v193
	v_min3_f32 v103, v4, v1, v46
	v_dual_add_f32 v1, v170, v190 :: v_dual_add_f32 v4, v169, v189
	v_min3_f32 v106, v13, v12, v56
	v_min3_f32 v105, v15, v14, v16
	v_dual_add_f32 v12, v162, v190 :: v_dual_add_f32 v13, v161, v189
	v_dual_add_f32 v14, v166, v190 :: v_dual_add_f32 v15, v165, v189
	v_min3_f32 v100, v4, v1, v42
	v_add_f32_e32 v4, v157, v193
	v_min3_f32 v108, v11, v9, v55
	v_add_f32_e32 v9, v158, v190
	v_add_f32_e32 v11, v157, v189
	;; [unrolled: 1-line block ×3, first 2 shown]
	v_min3_f32 v102, v13, v12, v58
	v_add_f32_e32 v12, v182, v190
	v_min3_f32 v99, v15, v14, v17
	v_dual_add_f32 v13, v181, v189 :: v_dual_add_f32 v14, v154, v194
	v_add_f32_e32 v15, v153, v193
	v_min3_f32 v94, v8, v5, v62
	v_add_f32_e32 v8, v181, v193
	v_min3_f32 v101, v11, v9, v57
	v_add_f32_e32 v9, v178, v190
	v_add_f32_e32 v11, v177, v189
	v_min3_f32 v96, v13, v12, v60
	v_min3_f32 v95, v15, v14, v20
	v_add_f32_e32 v1, v158, v194
	v_add_f32_e32 v12, v170, v194
	v_min3_f32 v98, v11, v9, v59
	v_add_f32_e32 v9, v166, v194
	v_add_f32_e32 v11, v165, v193
	v_dual_add_f32 v13, v169, v193 :: v_dual_add_f32 v14, v174, v194
	v_add_f32_e32 v15, v173, v193
	v_min3_f32 v93, v4, v1, v61
	v_dual_add_f32 v1, v178, v194 :: v_dual_add_f32 v4, v177, v193
	v_add_f32_e32 v5, v182, v194
	s_delay_alu instid0(VALU_DEP_4)
	v_min3_f32 v89, v15, v14, v21
	v_add_f32_e32 v14, v162, v198
	v_min3_f32 v92, v13, v12, v70
	v_add_f32_e32 v12, v158, v198
	;; [unrolled: 2-line block ×3, first 2 shown]
	v_add_f32_e32 v11, v153, v197
	v_add_f32_e32 v13, v157, v197
	;; [unrolled: 1-line block ×3, first 2 shown]
	v_min3_f32 v90, v4, v1, v26
	v_min3_f32 v87, v8, v5, v27
	v_add_f32_e32 v1, v166, v198
	v_min3_f32 v86, v13, v12, v31
	v_min3_f32 v85, v15, v14, v24
	v_add_f32_e32 v14, v182, v198
	v_min3_f32 v88, v11, v9, v30
	v_dual_add_f32 v4, v165, v197 :: v_dual_add_f32 v5, v170, v198
	v_dual_add_f32 v8, v169, v197 :: v_dual_add_f32 v9, v174, v198
	;; [unrolled: 1-line block ×3, first 2 shown]
	v_add_f32_e32 v13, v177, v197
	v_add_f32_e32 v15, v181, v197
	v_min3_f32 v83, v4, v1, v3
	v_min3_f32 v84, v8, v5, v6
	;; [unrolled: 1-line block ×5, first 2 shown]
	v_add_co_ci_u32_e32 v139, vcc_lo, s11, v139, vcc_lo
	s_add_i32 s12, s12, 8
	ds_store_2addr_stride64_b32 v77, v146, v147 offset1:4
	ds_store_2addr_stride64_b32 v77, v149, v150 offset0:8 offset1:12
	ds_store_b32 v78, v0
	s_cmp_ge_i32 s12, s8
	s_waitcnt lgkmcnt(0)
	s_barrier
	buffer_gl0_inv
	s_cbranch_scc1 .LBB5_43
.LBB5_28:                               ; =>This Inner Loop Header: Depth=1
	s_and_b32 vcc_lo, exec_lo, s3
	s_cbranch_vccnz .LBB5_32
; %bb.29:                               ;   in Loop: Header=BB5_28 Depth=1
	v_add_co_u32 v0, vcc_lo, v138, v68
	v_add_co_ci_u32_e32 v1, vcc_lo, v139, v69, vcc_lo
	s_clause 0x1
	flat_load_b32 v2, v[0:1]
	flat_load_b32 v0, v[0:1] offset:256
	s_waitcnt vmcnt(0) lgkmcnt(0)
	v_dual_mul_f32 v146, s9, v2 :: v_dual_mul_f32 v147, s9, v0
	s_and_b32 vcc_lo, exec_lo, s3
	s_cbranch_vccnz .LBB5_33
.LBB5_30:                               ;   in Loop: Header=BB5_28 Depth=1
	v_add_co_u32 v0, vcc_lo, v138, v68
	v_add_co_ci_u32_e32 v1, vcc_lo, v139, v69, vcc_lo
	s_clause 0x1
	flat_load_b32 v2, v[0:1] offset:512
	flat_load_b32 v0, v[0:1] offset:768
	s_waitcnt vmcnt(0) lgkmcnt(0)
	v_dual_mul_f32 v149, s9, v2 :: v_dual_mul_f32 v150, s9, v0
	s_and_b32 vcc_lo, exec_lo, s3
	s_cbranch_vccnz .LBB5_34
.LBB5_31:                               ;   in Loop: Header=BB5_28 Depth=1
	flat_load_b32 v0, v[64:65]
	s_waitcnt vmcnt(0) lgkmcnt(0)
	v_mul_f32_e32 v151, s9, v0
	s_branch .LBB5_35
.LBB5_32:                               ;   in Loop: Header=BB5_28 Depth=1
	v_dual_mov_b32 v146, 0 :: v_dual_mov_b32 v147, 0
	s_and_b32 vcc_lo, exec_lo, s3
	s_cbranch_vccz .LBB5_30
.LBB5_33:                               ;   in Loop: Header=BB5_28 Depth=1
	v_dual_mov_b32 v149, 0 :: v_dual_mov_b32 v150, 0
	s_and_b32 vcc_lo, exec_lo, s3
	s_cbranch_vccz .LBB5_31
.LBB5_34:                               ;   in Loop: Header=BB5_28 Depth=1
	v_mov_b32_e32 v151, 0
.LBB5_35:                               ;   in Loop: Header=BB5_28 Depth=1
	ds_load_b128 v[32:35], v79
	ds_load_b128 v[28:31], v79 offset:512
	ds_load_b128 v[24:27], v79 offset:1024
	;; [unrolled: 1-line block ×7, first 2 shown]
	ds_load_b128 v[60:63], v111
	ds_load_b128 v[56:59], v111 offset:128
	ds_load_b128 v[52:55], v111 offset:256
	;; [unrolled: 1-line block ×7, first 2 shown]
	s_and_b32 vcc_lo, exec_lo, s3
	ds_store_2addr_stride64_b32 v74, v146, v147 offset1:4
	ds_store_2addr_stride64_b32 v74, v149, v150 offset0:8 offset1:12
	ds_store_b32 v75, v151
	s_waitcnt lgkmcnt(0)
	s_barrier
	buffer_gl0_inv
	s_cbranch_vccnz .LBB5_38
; %bb.36:                               ;   in Loop: Header=BB5_28 Depth=1
	v_add_co_u32 v146, vcc_lo, v138, v66
	v_add_co_ci_u32_e32 v147, vcc_lo, v139, v67, vcc_lo
	s_clause 0x1
	flat_load_b32 v70, v[146:147]
	flat_load_b32 v71, v[146:147] offset:256
	s_waitcnt vmcnt(0) lgkmcnt(0)
	v_dual_mul_f32 v146, s9, v70 :: v_dual_mul_f32 v147, s9, v71
	s_and_b32 vcc_lo, exec_lo, s3
	s_cbranch_vccnz .LBB5_39
.LBB5_37:                               ;   in Loop: Header=BB5_28 Depth=1
	v_add_co_u32 v149, vcc_lo, v138, v66
	v_add_co_ci_u32_e32 v150, vcc_lo, v139, v67, vcc_lo
	s_clause 0x1
	flat_load_b32 v70, v[149:150] offset:512
	flat_load_b32 v71, v[149:150] offset:768
	s_waitcnt vmcnt(0) lgkmcnt(0)
	v_dual_mul_f32 v149, s9, v70 :: v_dual_mul_f32 v150, s9, v71
	s_branch .LBB5_40
.LBB5_38:                               ;   in Loop: Header=BB5_28 Depth=1
	v_dual_mov_b32 v146, 0 :: v_dual_mov_b32 v147, 0
	s_and_b32 vcc_lo, exec_lo, s3
	s_cbranch_vccz .LBB5_37
.LBB5_39:                               ;   in Loop: Header=BB5_28 Depth=1
	v_dual_mov_b32 v149, 0 :: v_dual_mov_b32 v150, 0
.LBB5_40:                               ;   in Loop: Header=BB5_28 Depth=1
	v_dual_add_f32 v70, v33, v61 :: v_dual_add_f32 v71, v32, v60
	v_dual_add_f32 v72, v29, v61 :: v_dual_add_f32 v151, v28, v60
	v_dual_add_f32 v152, v25, v61 :: v_dual_add_f32 v153, v24, v60
	s_delay_alu instid0(VALU_DEP_3) | instskip(SKIP_1) | instid1(VALU_DEP_4)
	v_min3_f32 v70, v71, v70, v148
	v_add_f32_e32 v148, v13, v61
	v_min3_f32 v71, v151, v72, v144
	v_add_f32_e32 v151, v12, v60
	v_min3_f32 v72, v153, v152, v145
	v_dual_add_f32 v144, v17, v61 :: v_dual_add_f32 v145, v16, v60
	v_dual_add_f32 v152, v9, v61 :: v_dual_add_f32 v153, v8, v60
	;; [unrolled: 1-line block ×4, first 2 shown]
	s_delay_alu instid0(VALU_DEP_4)
	v_min3_f32 v142, v145, v144, v142
	v_min3_f32 v143, v151, v148, v143
	v_dual_add_f32 v144, v29, v57 :: v_dual_add_f32 v145, v28, v56
	v_add_f32_e32 v148, v25, v57
	v_min3_f32 v60, v60, v61, v137
	v_add_f32_e32 v61, v33, v57
	v_add_f32_e32 v137, v32, v56
	;; [unrolled: 1-line block ×3, first 2 shown]
	v_min3_f32 v140, v153, v152, v140
	v_add_f32_e32 v152, v17, v57
	v_min3_f32 v141, v155, v154, v141
	v_dual_add_f32 v153, v16, v56 :: v_dual_add_f32 v154, v13, v57
	v_add_f32_e32 v155, v12, v56
	v_min3_f32 v61, v137, v61, v136
	v_add_f32_e32 v136, v9, v57
	v_min3_f32 v134, v145, v144, v134
	v_min3_f32 v135, v151, v148, v135
	v_dual_add_f32 v137, v8, v56 :: v_dual_add_f32 v144, v5, v57
	v_dual_add_f32 v145, v4, v56 :: v_dual_add_f32 v148, v33, v53
	;; [unrolled: 1-line block ×3, first 2 shown]
	v_add_f32_e32 v151, v32, v52
	v_min3_f32 v132, v153, v152, v132
	v_dual_add_f32 v152, v29, v53 :: v_dual_add_f32 v153, v28, v52
	v_min3_f32 v130, v137, v136, v130
	v_min3_f32 v56, v56, v57, v128
	v_add_f32_e32 v128, v25, v53
	v_min3_f32 v57, v151, v148, v129
	v_dual_add_f32 v129, v24, v52 :: v_dual_add_f32 v136, v17, v53
	v_add_f32_e32 v137, v16, v52
	v_min3_f32 v131, v145, v144, v131
	v_add_f32_e32 v144, v13, v53
	v_min3_f32 v127, v153, v152, v127
	v_dual_add_f32 v145, v12, v52 :: v_dual_add_f32 v148, v9, v53
	v_dual_add_f32 v151, v8, v52 :: v_dual_add_f32 v152, v5, v53
	v_add_f32_e32 v153, v4, v52
	v_min3_f32 v126, v129, v128, v126
	v_add_f32_e32 v128, v33, v49
	v_min3_f32 v124, v137, v136, v124
	v_dual_add_f32 v53, v1, v53 :: v_dual_add_f32 v52, v0, v52
	;; [unrolled: 6-line block ×3, first 2 shown]
	v_add_f32_e32 v151, v16, v48
	v_min3_f32 v120, v52, v53, v120
	v_add_f32_e32 v52, v13, v49
	v_min3_f32 v121, v129, v128, v121
	v_min3_f32 v118, v137, v136, v118
	v_dual_add_f32 v53, v12, v48 :: v_dual_add_f32 v128, v9, v49
	v_dual_add_f32 v129, v8, v48 :: v_dual_add_f32 v136, v5, v49
	v_add_f32_e32 v137, v4, v48
	v_dual_add_f32 v49, v1, v49 :: v_dual_add_f32 v48, v0, v48
	v_min3_f32 v119, v145, v144, v119
	v_dual_add_f32 v144, v33, v45 :: v_dual_add_f32 v145, v32, v44
	v_min3_f32 v116, v53, v52, v116
	v_min3_f32 v114, v129, v128, v114
	;; [unrolled: 1-line block ×3, first 2 shown]
	v_dual_add_f32 v48, v29, v45 :: v_dual_add_f32 v49, v28, v44
	v_dual_add_f32 v52, v25, v45 :: v_dual_add_f32 v53, v24, v44
	;; [unrolled: 1-line block ×3, first 2 shown]
	v_min3_f32 v115, v137, v136, v115
	v_add_f32_e32 v136, v13, v45
	v_min3_f32 v113, v145, v144, v113
	v_dual_add_f32 v137, v12, v44 :: v_dual_add_f32 v144, v9, v45
	v_add_f32_e32 v145, v8, v44
	v_min3_f32 v109, v49, v48, v109
	v_add_f32_e32 v48, v5, v45
	v_min3_f32 v110, v53, v52, v110
	v_min3_f32 v107, v129, v128, v107
	v_dual_add_f32 v49, v4, v44 :: v_dual_add_f32 v52, v33, v41
	v_dual_add_f32 v45, v1, v45 :: v_dual_add_f32 v44, v0, v44
	;; [unrolled: 1-line block ×3, first 2 shown]
	v_add_f32_e32 v129, v28, v40
	v_min3_f32 v108, v137, v136, v108
	v_dual_add_f32 v136, v25, v41 :: v_dual_add_f32 v137, v24, v40
	v_min3_f32 v105, v49, v48, v105
	v_min3_f32 v103, v44, v45, v103
	v_add_f32_e32 v44, v17, v41
	v_min3_f32 v104, v53, v52, v104
	v_min3_f32 v101, v129, v128, v101
	v_dual_add_f32 v45, v16, v40 :: v_dual_add_f32 v48, v13, v41
	v_dual_add_f32 v49, v12, v40 :: v_dual_add_f32 v52, v9, v41
	;; [unrolled: 1-line block ×3, first 2 shown]
	v_add_f32_e32 v129, v4, v40
	v_dual_add_f32 v41, v1, v41 :: v_dual_add_f32 v40, v0, v40
	v_min3_f32 v99, v45, v44, v99
	v_dual_add_f32 v44, v29, v37 :: v_dual_add_f32 v45, v28, v36
	v_min3_f32 v100, v49, v48, v100
	v_add_f32_e32 v48, v25, v37
	v_min3_f32 v96, v40, v41, v96
	v_dual_add_f32 v40, v33, v37 :: v_dual_add_f32 v41, v32, v36
	v_min3_f32 v97, v53, v52, v97
	v_min3_f32 v98, v129, v128, v98
	v_dual_add_f32 v49, v24, v36 :: v_dual_add_f32 v52, v17, v37
	v_dual_add_f32 v53, v16, v36 :: v_dual_add_f32 v128, v13, v37
	v_add_f32_e32 v129, v12, v36
	v_min3_f32 v95, v41, v40, v95
	v_add_f32_e32 v40, v9, v37
	v_min3_f32 v93, v45, v44, v93
	v_dual_add_f32 v41, v8, v36 :: v_dual_add_f32 v44, v5, v37
	v_add_f32_e32 v45, v4, v36
	v_dual_add_f32 v17, v17, v21 :: v_dual_add_f32 v12, v12, v20
	v_dual_add_f32 v13, v13, v21 :: v_dual_add_f32 v8, v8, v20
	;; [unrolled: 1-line block ×3, first 2 shown]
	v_add_f32_e32 v5, v5, v21
	v_min3_f32 v123, v153, v152, v123
	v_min3_f32 v117, v151, v148, v117
	v_dual_add_f32 v37, v1, v37 :: v_dual_add_f32 v32, v32, v20
	v_dual_add_f32 v36, v0, v36 :: v_dual_add_f32 v33, v33, v21
	;; [unrolled: 1-line block ×4, first 2 shown]
	v_add_f32_e32 v16, v16, v20
	v_min3_f32 v148, v12, v13, v84
	v_min3_f32 v151, v8, v9, v81
	v_dual_add_f32 v1, v1, v21 :: v_dual_add_f32 v8, v31, v63
	v_add_f32_e32 v0, v0, v20
	v_min3_f32 v152, v4, v5, v82
	v_dual_add_f32 v4, v35, v63 :: v_dual_add_f32 v5, v34, v62
	v_dual_add_f32 v12, v27, v63 :: v_dual_add_f32 v9, v30, v62
	v_add_f32_e32 v13, v26, v62
	v_min3_f32 v106, v145, v144, v106
	v_min3_f32 v144, v28, v29, v86
	;; [unrolled: 1-line block ×4, first 2 shown]
	v_dual_add_f32 v16, v19, v63 :: v_dual_add_f32 v17, v18, v62
	v_min3_f32 v25, v5, v4, v70
	v_min3_f32 v28, v9, v8, v71
	v_add_f32_e32 v8, v11, v63
	v_add_f32_e32 v4, v15, v63
	v_min3_f32 v29, v13, v12, v72
	v_dual_add_f32 v5, v14, v62 :: v_dual_add_f32 v12, v7, v63
	v_add_f32_e32 v9, v10, v62
	v_dual_add_f32 v13, v6, v62 :: v_dual_add_f32 v20, v35, v59
	v_min3_f32 v102, v137, v136, v102
	v_min3_f32 v136, v36, v37, v87
	;; [unrolled: 1-line block ×5, first 2 shown]
	v_dual_add_f32 v16, v3, v63 :: v_dual_add_f32 v17, v2, v62
	v_add_f32_e32 v21, v34, v58
	v_min3_f32 v32, v5, v4, v143
	v_min3_f32 v33, v9, v8, v140
	;; [unrolled: 1-line block ×3, first 2 shown]
	v_dual_add_f32 v5, v31, v59 :: v_dual_add_f32 v8, v30, v58
	v_dual_add_f32 v9, v27, v59 :: v_dual_add_f32 v12, v26, v58
	v_min3_f32 v133, v155, v154, v133
	v_min3_f32 v94, v49, v48, v94
	;; [unrolled: 1-line block ×4, first 2 shown]
	v_dual_add_f32 v13, v19, v59 :: v_dual_add_f32 v48, v10, v58
	v_min3_f32 v40, v8, v5, v134
	v_min3_f32 v41, v12, v9, v135
	v_add_f32_e32 v8, v7, v59
	v_min3_f32 v37, v17, v16, v60
	v_dual_add_f32 v16, v18, v58 :: v_dual_add_f32 v17, v15, v59
	v_add_f32_e32 v12, v3, v59
	v_min3_f32 v4, v21, v20, v61
	v_dual_add_f32 v20, v14, v58 :: v_dual_add_f32 v21, v11, v59
	v_min3_f32 v129, v45, v44, v90
	v_min3_f32 v44, v16, v13, v132
	v_dual_add_f32 v9, v6, v58 :: v_dual_add_f32 v16, v35, v55
	s_delay_alu instid0(VALU_DEP_4)
	v_min3_f32 v45, v20, v17, v133
	v_min3_f32 v5, v48, v21, v130
	v_dual_add_f32 v13, v2, v58 :: v_dual_add_f32 v20, v31, v55
	v_dual_add_f32 v17, v34, v54 :: v_dual_add_f32 v58, v27, v55
	v_add_f32_e32 v21, v30, v54
	v_add_f32_e32 v59, v26, v54
	v_min3_f32 v91, v53, v52, v91
	v_min3_f32 v48, v9, v8, v131
	;; [unrolled: 1-line block ×5, first 2 shown]
	v_dual_add_f32 v9, v19, v55 :: v_dual_add_f32 v12, v18, v54
	v_dual_add_f32 v13, v15, v55 :: v_dual_add_f32 v16, v14, v54
	v_add_f32_e32 v17, v11, v55
	v_add_f32_e32 v58, v3, v55
	v_min3_f32 v53, v21, v20, v127
	v_dual_add_f32 v20, v10, v54 :: v_dual_add_f32 v21, v7, v55
	v_add_f32_e32 v62, v18, v50
	v_add_f32_e32 v57, v6, v54
	;; [unrolled: 1-line block ×3, first 2 shown]
	v_min3_f32 v54, v12, v9, v124
	v_min3_f32 v55, v16, v13, v125
	;; [unrolled: 1-line block ×3, first 2 shown]
	v_add_f32_e32 v20, v27, v51
	v_dual_add_f32 v12, v35, v51 :: v_dual_add_f32 v13, v34, v50
	v_dual_add_f32 v16, v31, v51 :: v_dual_add_f32 v17, v30, v50
	;; [unrolled: 1-line block ×3, first 2 shown]
	v_add_f32_e32 v63, v15, v51
	v_min3_f32 v57, v57, v21, v123
	v_min3_f32 v9, v59, v58, v120
	v_add_f32_e32 v21, v26, v50
	v_min3_f32 v58, v13, v12, v121
	v_min3_f32 v59, v17, v16, v118
	v_add_f32_e32 v16, v10, v50
	v_min3_f32 v12, v70, v63, v116
	v_dual_add_f32 v63, v35, v47 :: v_dual_add_f32 v70, v34, v46
	v_min3_f32 v61, v62, v61, v117
	v_add_f32_e32 v13, v11, v51
	v_dual_add_f32 v17, v7, v51 :: v_dual_add_f32 v62, v2, v50
	s_delay_alu instid0(VALU_DEP_4)
	v_min3_f32 v63, v70, v63, v113
	v_add_f32_e32 v70, v15, v47
	v_min3_f32 v60, v21, v20, v119
	v_dual_add_f32 v20, v6, v50 :: v_dual_add_f32 v21, v3, v51
	v_dual_add_f32 v72, v30, v46 :: v_dual_add_f32 v71, v31, v47
	v_min3_f32 v50, v16, v13, v114
	s_delay_alu instid0(VALU_DEP_3) | instskip(NEXT) | instid1(VALU_DEP_4)
	v_min3_f32 v51, v20, v17, v115
	v_min3_f32 v62, v62, v21, v112
	v_dual_add_f32 v20, v19, v47 :: v_dual_add_f32 v21, v18, v46
	v_add_f32_e32 v84, v7, v47
	v_dual_add_f32 v16, v27, v47 :: v_dual_add_f32 v17, v26, v46
	v_add_f32_e32 v83, v10, v46
	v_dual_add_f32 v85, v6, v46 :: v_dual_add_f32 v86, v19, v43
	v_min3_f32 v81, v21, v20, v107
	v_add_f32_e32 v20, v2, v46
	v_min3_f32 v13, v72, v71, v109
	v_dual_add_f32 v71, v14, v46 :: v_dual_add_f32 v72, v11, v47
	v_min3_f32 v80, v17, v16, v110
	v_min3_f32 v16, v85, v84, v105
	v_add_f32_e32 v17, v3, v47
	s_delay_alu instid0(VALU_DEP_4)
	v_min3_f32 v82, v71, v70, v108
	v_min3_f32 v83, v83, v72, v106
	v_dual_add_f32 v21, v35, v43 :: v_dual_add_f32 v88, v2, v42
	v_dual_add_f32 v47, v34, v42 :: v_dual_add_f32 v70, v31, v43
	;; [unrolled: 1-line block ×3, first 2 shown]
	v_add_f32_e32 v85, v26, v42
	v_add_f32_e32 v87, v18, v42
	v_min3_f32 v46, v20, v17, v103
	s_delay_alu instid0(VALU_DEP_4)
	v_min3_f32 v84, v71, v70, v101
	v_add_f32_e32 v20, v15, v43
	v_min3_f32 v47, v47, v21, v104
	v_min3_f32 v85, v85, v72, v102
	;; [unrolled: 1-line block ×3, first 2 shown]
	v_dual_add_f32 v21, v14, v42 :: v_dual_add_f32 v70, v11, v43
	v_dual_add_f32 v71, v10, v42 :: v_dual_add_f32 v72, v7, v43
	;; [unrolled: 1-line block ×4, first 2 shown]
	v_add_f32_e32 v35, v35, v23
	s_delay_alu instid0(VALU_DEP_3) | instskip(NEXT) | instid1(VALU_DEP_4)
	v_min3_f32 v86, v86, v72, v98
	v_min3_f32 v87, v88, v87, v96
	v_add_f32_e32 v96, v15, v39
	v_min3_f32 v42, v21, v20, v100
	v_dual_add_f32 v21, v31, v39 :: v_dual_add_f32 v72, v26, v38
	v_add_f32_e32 v98, v11, v39
	v_min3_f32 v43, v71, v70, v97
	v_add_f32_e32 v70, v30, v38
	v_min3_f32 v20, v90, v89, v95
	v_add_f32_e32 v71, v27, v39
	v_dual_add_f32 v90, v19, v39 :: v_dual_add_f32 v95, v18, v38
	v_add_f32_e32 v97, v14, v38
	v_min3_f32 v88, v70, v21, v93
	v_add_f32_e32 v70, v7, v39
	v_dual_add_f32 v39, v3, v39 :: v_dual_add_f32 v34, v34, v22
	v_add_f32_e32 v99, v10, v38
	v_min3_f32 v89, v72, v71, v94
	v_min3_f32 v90, v95, v90, v91
	;; [unrolled: 1-line block ×3, first 2 shown]
	v_add_f32_e32 v71, v6, v38
	v_dual_add_f32 v38, v2, v38 :: v_dual_add_f32 v31, v31, v23
	v_add_f32_e32 v18, v18, v22
	v_add_f32_e32 v72, v30, v22
	v_dual_add_f32 v92, v27, v23 :: v_dual_add_f32 v93, v26, v22
	v_min3_f32 v30, v34, v35, v137
	v_dual_add_f32 v19, v19, v23 :: v_dual_add_f32 v14, v14, v22
	v_dual_add_f32 v15, v15, v23 :: v_dual_add_f32 v10, v10, v22
	;; [unrolled: 1-line block ×4, first 2 shown]
	v_add_f32_e32 v23, v3, v23
	v_min3_f32 v21, v99, v98, v128
	v_min3_f32 v26, v71, v70, v129
	;; [unrolled: 1-line block ×10, first 2 shown]
	s_and_b32 vcc_lo, exec_lo, s3
	s_cbranch_vccz .LBB5_26
; %bb.41:                               ;   in Loop: Header=BB5_28 Depth=1
	v_mov_b32_e32 v0, 0
	s_branch .LBB5_27
.LBB5_42:
	scratch_load_b32 v200, off, off offset:24 ; 4-byte Folded Reload
	v_mov_b32_e32 v199, v150
.LBB5_43:
	ds_load_b128 v[32:35], v73 offset:4096
	ds_load_b128 v[60:63], v201 offset:9216
	s_clause 0x2
	s_load_b32 s8, s[0:1], 0x68
	s_load_b32 s3, s[0:1], 0x50
	s_load_b64 s[0:1], s[0:1], 0x70
	v_add_nc_u32_e32 v111, s19, v199
	s_waitcnt vmcnt(0) lgkmcnt(0)
	v_dual_add_f32 v9, v34, v62 :: v_dual_add_nc_u32 v76, s18, v200
	v_add_f32_e32 v6, v33, v61
	s_delay_alu instid0(VALU_DEP_3) | instskip(SKIP_4) | instid1(VALU_DEP_4)
	v_mad_i64_i32 v[2:3], null, v111, s8, 0
	v_mad_i64_i32 v[4:5], null, v111, s3, 0
	v_dual_add_f32 v7, v32, v60 :: v_dual_add_f32 v8, v35, v63
	s_lshl_b64 s[0:1], s[0:1], 2
	v_ashrrev_i32_e32 v77, 31, v76
	v_lshlrev_b64 v[2:3], 2, v[2:3]
	s_delay_alu instid0(VALU_DEP_3)
	v_min3_f32 v6, v7, v6, v148
	v_lshlrev_b64 v[4:5], 2, v[4:5]
	s_add_u32 s0, s6, s0
	v_add_nc_u32_e32 v0, 32, v76
	s_addc_u32 s1, s7, s1
	v_min3_f32 v6, v9, v8, v6
	v_add_co_u32 v138, vcc_lo, s0, v2
	v_add_co_ci_u32_e32 v139, vcc_lo, s1, v3, vcc_lo
	v_add_co_u32 v146, vcc_lo, s4, v4
	v_lshlrev_b64 v[66:67], 2, v[76:77]
	v_ashrrev_i32_e32 v1, 31, v0
	v_add_co_ci_u32_e32 v147, vcc_lo, s5, v5, vcc_lo
	v_max_f32_e32 v2, v6, v6
	s_mov_b32 vcc_lo, s2
	s_cbranch_vccz .LBB5_45
; %bb.44:
	v_add_co_u32 v3, vcc_lo, v138, v66
	s_delay_alu instid0(VALU_DEP_2)
	v_min_f32_e32 v5, 0, v2
	v_add_co_ci_u32_e32 v4, vcc_lo, v139, v67, vcc_lo
	s_mov_b32 s6, 0
	global_store_b32 v[3:4], v5, off
	s_branch .LBB5_46
.LBB5_45:
	s_mov_b32 s6, -1
.LBB5_46:
	ds_load_b128 v[28:31], v73 offset:4608
	ds_load_b128 v[24:27], v73 offset:5120
	v_lshlrev_b64 v[64:65], 2, v[0:1]
	s_and_not1_b32 vcc_lo, exec_lo, s6
	s_cbranch_vccnz .LBB5_48
; %bb.47:
	v_add_co_u32 v0, vcc_lo, v146, v66
	v_add_co_ci_u32_e32 v1, vcc_lo, v147, v67, vcc_lo
	flat_load_b32 v0, v[0:1]
	s_waitcnt vmcnt(0) lgkmcnt(0)
	v_mul_f32_e32 v3, s15, v0
	v_add_co_u32 v0, vcc_lo, v138, v66
	v_add_co_ci_u32_e32 v1, vcc_lo, v139, v67, vcc_lo
	s_delay_alu instid0(VALU_DEP_3)
	v_min_f32_e32 v4, v3, v2
	v_add_co_u32 v2, vcc_lo, v146, v64
	v_add_co_ci_u32_e32 v3, vcc_lo, v147, v65, vcc_lo
	global_store_b32 v[0:1], v4, off
	flat_load_b32 v0, v[2:3]
	s_waitcnt vmcnt(0) lgkmcnt(0)
	v_mul_f32_e32 v69, s15, v0
	s_branch .LBB5_49
.LBB5_48:
	v_mov_b32_e32 v69, s6
.LBB5_49:
	ds_load_b128 v[20:23], v73 offset:5632
	ds_load_b128 v[16:19], v73 offset:6144
	;; [unrolled: 1-line block ×10, first 2 shown]
	s_waitcnt lgkmcnt(10)
	v_dual_add_f32 v68, v25, v61 :: v_dual_add_f32 v73, v31, v63
	v_dual_add_f32 v70, v24, v60 :: v_dual_add_f32 v71, v29, v61
	ds_load_b128 v[36:39], v201 offset:9984
	ds_load_b128 v[4:7], v201 offset:10112
	v_dual_add_f32 v72, v28, v60 :: v_dual_add_f32 v75, v27, v63
	v_add_f32_e32 v74, v30, v62
	v_min3_f32 v68, v70, v68, v145
	v_dual_add_f32 v77, v26, v62 :: v_dual_add_nc_u32 v70, 64, v76
	s_delay_alu instid0(VALU_DEP_4) | instskip(NEXT) | instid1(VALU_DEP_4)
	v_min3_f32 v72, v72, v71, v144
	v_min_f32_e32 v73, v74, v73
	s_delay_alu instid0(VALU_DEP_3) | instskip(SKIP_2) | instid1(VALU_DEP_4)
	v_min3_f32 v75, v77, v75, v68
	v_add_nc_u32_e32 v68, 0x60, v76
	v_ashrrev_i32_e32 v71, 31, v70
	v_min3_f32 v77, v69, v73, v72
	v_add_co_u32 v73, vcc_lo, v138, v64
	v_add_co_ci_u32_e32 v74, vcc_lo, v139, v65, vcc_lo
	s_delay_alu instid0(VALU_DEP_4)
	v_lshlrev_b64 v[70:71], 2, v[70:71]
	v_ashrrev_i32_e32 v69, 31, v68
	v_max_f32_e32 v72, v75, v75
	s_mov_b32 vcc_lo, s2
	global_store_b32 v[73:74], v77, off
	s_cbranch_vccz .LBB5_52
; %bb.50:
	v_add_co_u32 v73, vcc_lo, v138, v70
	v_min_f32_e32 v75, 0, v72
	v_add_co_ci_u32_e32 v74, vcc_lo, v139, v71, vcc_lo
	s_mov_b32 s6, 0
	global_store_b32 v[73:74], v75, off
	v_lshlrev_b64 v[68:69], 2, v[68:69]
	s_cbranch_execz .LBB5_53
; %bb.51:
	v_mov_b32_e32 v73, s6
	s_branch .LBB5_54
.LBB5_52:
	s_mov_b32 s6, -1
	v_lshlrev_b64 v[68:69], 2, v[68:69]
.LBB5_53:
	v_add_co_u32 v73, vcc_lo, v146, v70
	v_add_co_ci_u32_e32 v74, vcc_lo, v147, v71, vcc_lo
	flat_load_b32 v73, v[73:74]
	s_waitcnt vmcnt(0) lgkmcnt(0)
	v_mul_f32_e32 v75, s15, v73
	v_add_co_u32 v73, vcc_lo, v138, v70
	v_add_co_ci_u32_e32 v74, vcc_lo, v139, v71, vcc_lo
	v_add_co_u32 v77, vcc_lo, v146, v68
	s_delay_alu instid0(VALU_DEP_4)
	v_min_f32_e32 v72, v75, v72
	v_add_co_ci_u32_e32 v78, vcc_lo, v147, v69, vcc_lo
	global_store_b32 v[73:74], v72, off
	flat_load_b32 v72, v[77:78]
	s_waitcnt vmcnt(0) lgkmcnt(0)
	v_mul_f32_e32 v73, s15, v72
.LBB5_54:
	s_waitcnt lgkmcnt(10)
	v_dual_add_f32 v72, v17, v61 :: v_dual_add_f32 v77, v20, v60
	v_dual_add_f32 v74, v16, v60 :: v_dual_add_f32 v75, v21, v61
	;; [unrolled: 1-line block ×3, first 2 shown]
	v_add_f32_e32 v144, v18, v62
	s_delay_alu instid0(VALU_DEP_3) | instskip(SKIP_3) | instid1(VALU_DEP_3)
	v_min3_f32 v72, v74, v72, v143
	v_add_f32_e32 v143, v19, v63
	v_min3_f32 v77, v77, v75, v142
	v_min_f32_e32 v78, v79, v78
	v_min3_f32 v142, v144, v143, v72
	v_add_nc_u32_e32 v74, 0x80, v76
	s_delay_alu instid0(VALU_DEP_3)
	v_min3_f32 v143, v73, v78, v77
	v_add_nc_u32_e32 v72, 0xa0, v76
	v_add_co_u32 v78, vcc_lo, v138, v68
	v_max_f32_e32 v77, v142, v142
	v_ashrrev_i32_e32 v75, 31, v74
	v_add_co_ci_u32_e32 v79, vcc_lo, v139, v69, vcc_lo
	v_ashrrev_i32_e32 v73, 31, v72
	s_mov_b32 vcc_lo, s2
	s_delay_alu instid0(VALU_DEP_3)
	v_lshlrev_b64 v[74:75], 2, v[74:75]
	global_store_b32 v[78:79], v143, off
	s_cbranch_vccz .LBB5_57
; %bb.55:
	v_add_co_u32 v78, vcc_lo, v138, v74
	v_min_f32_e32 v142, 0, v77
	v_add_co_ci_u32_e32 v79, vcc_lo, v139, v75, vcc_lo
	s_mov_b32 s6, 0
	global_store_b32 v[78:79], v142, off
	v_lshlrev_b64 v[72:73], 2, v[72:73]
	s_cbranch_execz .LBB5_58
; %bb.56:
	v_mov_b32_e32 v77, s6
	s_branch .LBB5_59
.LBB5_57:
	s_mov_b32 s6, -1
	v_lshlrev_b64 v[72:73], 2, v[72:73]
.LBB5_58:
	v_add_co_u32 v78, vcc_lo, v146, v74
	v_add_co_ci_u32_e32 v79, vcc_lo, v147, v75, vcc_lo
	flat_load_b32 v78, v[78:79]
	s_waitcnt vmcnt(0) lgkmcnt(0)
	v_mul_f32_e32 v142, s15, v78
	v_add_co_u32 v78, vcc_lo, v138, v74
	v_add_co_ci_u32_e32 v79, vcc_lo, v139, v75, vcc_lo
	s_delay_alu instid0(VALU_DEP_3)
	v_min_f32_e32 v77, v142, v77
	v_add_co_u32 v142, vcc_lo, v146, v72
	v_add_co_ci_u32_e32 v143, vcc_lo, v147, v73, vcc_lo
	global_store_b32 v[78:79], v77, off
	flat_load_b32 v77, v[142:143]
	s_waitcnt vmcnt(0) lgkmcnt(0)
	v_mul_f32_e32 v77, s15, v77
.LBB5_59:
	s_waitcnt lgkmcnt(8)
	v_dual_add_f32 v78, v9, v61 :: v_dual_add_f32 v79, v8, v60
	v_dual_add_f32 v142, v13, v61 :: v_dual_add_f32 v143, v12, v60
	v_add_f32_e32 v144, v15, v63
	v_dual_add_f32 v145, v11, v63 :: v_dual_add_f32 v148, v10, v62
	s_delay_alu instid0(VALU_DEP_4) | instskip(SKIP_3) | instid1(VALU_DEP_4)
	v_min3_f32 v79, v79, v78, v141
	v_dual_add_f32 v141, v14, v62 :: v_dual_add_nc_u32 v78, 0xc0, v76
	v_min3_f32 v140, v143, v142, v140
	v_add_nc_u32_e32 v76, 0xe0, v76
	v_min3_f32 v143, v148, v145, v79
	s_delay_alu instid0(VALU_DEP_4) | instskip(SKIP_1) | instid1(VALU_DEP_2)
	v_min_f32_e32 v141, v141, v144
	v_ashrrev_i32_e32 v79, 31, v78
	v_min3_f32 v144, v77, v141, v140
	s_delay_alu instid0(VALU_DEP_4) | instskip(SKIP_1) | instid1(VALU_DEP_4)
	v_max_f32_e32 v140, v143, v143
	v_add_co_u32 v141, vcc_lo, v138, v72
	v_lshlrev_b64 v[78:79], 2, v[78:79]
	v_add_co_ci_u32_e32 v142, vcc_lo, v139, v73, vcc_lo
	v_ashrrev_i32_e32 v77, 31, v76
	s_mov_b32 vcc_lo, s2
	global_store_b32 v[141:142], v144, off
	s_cbranch_vccz .LBB5_62
; %bb.60:
	v_add_co_u32 v141, vcc_lo, v138, v78
	v_min_f32_e32 v143, 0, v140
	v_add_co_ci_u32_e32 v142, vcc_lo, v139, v79, vcc_lo
	s_mov_b32 s6, 0
	global_store_b32 v[141:142], v143, off
	v_lshlrev_b64 v[76:77], 2, v[76:77]
	s_cbranch_execz .LBB5_63
; %bb.61:
	v_mov_b32_e32 v140, s6
	s_branch .LBB5_64
.LBB5_62:
	s_mov_b32 s6, -1
	v_lshlrev_b64 v[76:77], 2, v[76:77]
.LBB5_63:
	v_add_co_u32 v141, vcc_lo, v146, v78
	v_add_co_ci_u32_e32 v142, vcc_lo, v147, v79, vcc_lo
	flat_load_b32 v141, v[141:142]
	s_waitcnt vmcnt(0) lgkmcnt(0)
	v_mul_f32_e32 v143, s15, v141
	v_add_co_u32 v141, vcc_lo, v138, v78
	v_add_co_ci_u32_e32 v142, vcc_lo, v139, v79, vcc_lo
	s_delay_alu instid0(VALU_DEP_3)
	v_min_f32_e32 v140, v143, v140
	v_add_co_u32 v143, vcc_lo, v146, v76
	v_add_co_ci_u32_e32 v144, vcc_lo, v147, v77, vcc_lo
	global_store_b32 v[141:142], v140, off
	flat_load_b32 v140, v[143:144]
	s_waitcnt vmcnt(0) lgkmcnt(0)
	v_mul_f32_e32 v140, s15, v140
.LBB5_64:
	s_waitcnt lgkmcnt(6)
	v_dual_add_f32 v141, v33, v57 :: v_dual_add_f32 v142, v32, v56
	v_dual_add_f32 v61, v1, v61 :: v_dual_add_f32 v60, v0, v60
	v_add_f32_e32 v143, v34, v58
	v_add_f32_e32 v62, v2, v62
	s_delay_alu instid0(VALU_DEP_4) | instskip(SKIP_3) | instid1(VALU_DEP_3)
	v_min3_f32 v136, v142, v141, v136
	v_add_f32_e32 v142, v35, v59
	v_add_nc_u32_e32 v141, 8, v111
	v_min3_f32 v137, v60, v61, v137
	v_min3_f32 v136, v143, v142, v136
	v_add_f32_e32 v63, v3, v63
	s_delay_alu instid0(VALU_DEP_4) | instskip(NEXT) | instid1(VALU_DEP_3)
	v_mad_i64_i32 v[60:61], null, v141, s8, 0
	v_max_f32_e32 v136, v136, v136
	s_delay_alu instid0(VALU_DEP_3) | instskip(SKIP_1) | instid1(VALU_DEP_4)
	v_min_f32_e32 v144, v62, v63
	v_mad_i64_i32 v[62:63], null, v141, s3, 0
	v_lshlrev_b64 v[60:61], 2, v[60:61]
	s_delay_alu instid0(VALU_DEP_3)
	v_min3_f32 v140, v140, v144, v137
	v_add_co_u32 v137, vcc_lo, v138, v76
	v_add_co_ci_u32_e32 v138, vcc_lo, v139, v77, vcc_lo
	v_lshlrev_b64 v[62:63], 2, v[62:63]
	v_add_co_u32 v60, vcc_lo, s0, v60
	v_add_co_ci_u32_e32 v61, vcc_lo, s1, v61, vcc_lo
	global_store_b32 v[137:138], v140, off
	v_add_co_u32 v62, vcc_lo, s4, v62
	v_add_co_ci_u32_e32 v63, vcc_lo, s5, v63, vcc_lo
	s_mov_b32 vcc_lo, s2
	s_cbranch_vccz .LBB5_67
; %bb.65:
	v_add_co_u32 v137, vcc_lo, v60, v66
	v_min_f32_e32 v139, 0, v136
	v_add_co_ci_u32_e32 v138, vcc_lo, v61, v67, vcc_lo
	s_mov_b32 s6, 0
	global_store_b32 v[137:138], v139, off
	s_cbranch_execz .LBB5_68
; %bb.66:
	v_mov_b32_e32 v136, s6
	s_branch .LBB5_69
.LBB5_67:
	s_mov_b32 s6, -1
.LBB5_68:
	v_add_co_u32 v137, vcc_lo, v62, v66
	v_add_co_ci_u32_e32 v138, vcc_lo, v63, v67, vcc_lo
	flat_load_b32 v137, v[137:138]
	s_waitcnt vmcnt(0) lgkmcnt(0)
	v_mul_f32_e32 v139, s15, v137
	v_add_co_u32 v137, vcc_lo, v60, v66
	v_add_co_ci_u32_e32 v138, vcc_lo, v61, v67, vcc_lo
	s_delay_alu instid0(VALU_DEP_3)
	v_min_f32_e32 v136, v139, v136
	v_add_co_u32 v139, vcc_lo, v62, v64
	v_add_co_ci_u32_e32 v140, vcc_lo, v63, v65, vcc_lo
	global_store_b32 v[137:138], v136, off
	flat_load_b32 v136, v[139:140]
	s_waitcnt vmcnt(0) lgkmcnt(0)
	v_mul_f32_e32 v136, s15, v136
.LBB5_69:
	v_dual_add_f32 v137, v29, v57 :: v_dual_add_f32 v138, v28, v56
	v_dual_add_f32 v139, v25, v57 :: v_dual_add_f32 v140, v24, v56
	v_dual_add_f32 v141, v31, v59 :: v_dual_add_f32 v142, v30, v58
	s_delay_alu instid0(VALU_DEP_3) | instskip(SKIP_1) | instid1(VALU_DEP_4)
	v_min3_f32 v134, v138, v137, v134
	v_dual_add_f32 v137, v27, v59 :: v_dual_add_f32 v138, v26, v58
	v_min3_f32 v135, v140, v139, v135
	s_delay_alu instid0(VALU_DEP_4) | instskip(NEXT) | instid1(VALU_DEP_2)
	v_min_f32_e32 v139, v142, v141
	v_min3_f32 v137, v138, v137, v135
	v_add_co_u32 v135, vcc_lo, v60, v64
	s_delay_alu instid0(VALU_DEP_3) | instskip(SKIP_1) | instid1(VALU_DEP_4)
	v_min3_f32 v138, v136, v139, v134
	v_add_co_ci_u32_e32 v136, vcc_lo, v61, v65, vcc_lo
	v_max_f32_e32 v134, v137, v137
	s_mov_b32 vcc_lo, s2
	global_store_b32 v[135:136], v138, off
	s_cbranch_vccz .LBB5_72
; %bb.70:
	v_add_co_u32 v135, vcc_lo, v60, v70
	v_min_f32_e32 v137, 0, v134
	v_add_co_ci_u32_e32 v136, vcc_lo, v61, v71, vcc_lo
	s_mov_b32 s6, 0
	global_store_b32 v[135:136], v137, off
	s_cbranch_execz .LBB5_73
; %bb.71:
	v_mov_b32_e32 v134, s6
	s_branch .LBB5_74
.LBB5_72:
	s_mov_b32 s6, -1
.LBB5_73:
	v_add_co_u32 v135, vcc_lo, v62, v70
	v_add_co_ci_u32_e32 v136, vcc_lo, v63, v71, vcc_lo
	flat_load_b32 v135, v[135:136]
	s_waitcnt vmcnt(0) lgkmcnt(0)
	v_mul_f32_e32 v137, s15, v135
	v_add_co_u32 v135, vcc_lo, v60, v70
	v_add_co_ci_u32_e32 v136, vcc_lo, v61, v71, vcc_lo
	s_delay_alu instid0(VALU_DEP_3)
	v_min_f32_e32 v134, v137, v134
	v_add_co_u32 v137, vcc_lo, v62, v68
	v_add_co_ci_u32_e32 v138, vcc_lo, v63, v69, vcc_lo
	global_store_b32 v[135:136], v134, off
	flat_load_b32 v134, v[137:138]
	s_waitcnt vmcnt(0) lgkmcnt(0)
	v_mul_f32_e32 v134, s15, v134
.LBB5_74:
	v_dual_add_f32 v135, v21, v57 :: v_dual_add_f32 v136, v20, v56
	v_dual_add_f32 v137, v17, v57 :: v_dual_add_f32 v138, v16, v56
	v_dual_add_f32 v139, v23, v59 :: v_dual_add_f32 v140, v22, v58
	s_delay_alu instid0(VALU_DEP_3) | instskip(SKIP_1) | instid1(VALU_DEP_4)
	v_min3_f32 v132, v136, v135, v132
	v_dual_add_f32 v135, v19, v59 :: v_dual_add_f32 v136, v18, v58
	v_min3_f32 v133, v138, v137, v133
	s_delay_alu instid0(VALU_DEP_4) | instskip(NEXT) | instid1(VALU_DEP_2)
	v_min_f32_e32 v137, v140, v139
	v_min3_f32 v135, v136, v135, v133
	v_add_co_u32 v133, vcc_lo, v60, v68
	s_delay_alu instid0(VALU_DEP_3) | instskip(SKIP_1) | instid1(VALU_DEP_4)
	v_min3_f32 v136, v134, v137, v132
	v_add_co_ci_u32_e32 v134, vcc_lo, v61, v69, vcc_lo
	v_max_f32_e32 v132, v135, v135
	s_mov_b32 vcc_lo, s2
	global_store_b32 v[133:134], v136, off
	;; [unrolled: 47-line block ×3, first 2 shown]
	s_cbranch_vccz .LBB5_82
; %bb.80:
	v_add_co_u32 v131, vcc_lo, v60, v78
	v_min_f32_e32 v133, 0, v130
	v_add_co_ci_u32_e32 v132, vcc_lo, v61, v79, vcc_lo
	s_mov_b32 s6, 0
	global_store_b32 v[131:132], v133, off
	s_cbranch_execz .LBB5_83
; %bb.81:
	v_mov_b32_e32 v62, s6
	s_branch .LBB5_84
.LBB5_82:
	s_mov_b32 s6, -1
.LBB5_83:
	v_add_co_u32 v131, vcc_lo, v62, v78
	v_add_co_ci_u32_e32 v132, vcc_lo, v63, v79, vcc_lo
	flat_load_b32 v131, v[131:132]
	s_waitcnt vmcnt(0) lgkmcnt(0)
	v_mul_f32_e32 v133, s15, v131
	v_add_co_u32 v131, vcc_lo, v60, v78
	v_add_co_ci_u32_e32 v132, vcc_lo, v61, v79, vcc_lo
	v_add_co_u32 v62, vcc_lo, v62, v76
	s_delay_alu instid0(VALU_DEP_4)
	v_min_f32_e32 v130, v133, v130
	v_add_co_ci_u32_e32 v63, vcc_lo, v63, v77, vcc_lo
	global_store_b32 v[131:132], v130, off
	flat_load_b32 v62, v[62:63]
	s_waitcnt vmcnt(0) lgkmcnt(0)
	v_mul_f32_e32 v62, s15, v62
.LBB5_84:
	s_waitcnt lgkmcnt(5)
	v_dual_add_f32 v63, v33, v53 :: v_dual_add_f32 v130, v32, v52
	v_dual_add_f32 v57, v1, v57 :: v_dual_add_f32 v56, v0, v56
	;; [unrolled: 1-line block ×3, first 2 shown]
	s_delay_alu instid0(VALU_DEP_3) | instskip(SKIP_1) | instid1(VALU_DEP_4)
	v_min3_f32 v63, v130, v63, v129
	v_add_nc_u32_e32 v129, 16, v111
	v_min3_f32 v128, v56, v57, v128
	v_dual_add_f32 v130, v35, v55 :: v_dual_add_f32 v131, v34, v54
	v_min_f32_e32 v132, v58, v59
	s_delay_alu instid0(VALU_DEP_4) | instskip(SKIP_1) | instid1(VALU_DEP_3)
	v_mad_i64_i32 v[56:57], null, v129, s8, 0
	v_mad_i64_i32 v[58:59], null, v129, s3, 0
	v_min3_f32 v128, v62, v132, v128
	v_add_co_u32 v62, vcc_lo, v60, v76
	v_min3_f32 v129, v131, v130, v63
	v_lshlrev_b64 v[56:57], 2, v[56:57]
	v_add_co_ci_u32_e32 v63, vcc_lo, v61, v77, vcc_lo
	v_lshlrev_b64 v[58:59], 2, v[58:59]
	s_delay_alu instid0(VALU_DEP_4) | instskip(NEXT) | instid1(VALU_DEP_4)
	v_max_f32_e32 v60, v129, v129
	v_add_co_u32 v56, vcc_lo, s0, v56
	v_add_co_ci_u32_e32 v57, vcc_lo, s1, v57, vcc_lo
	s_delay_alu instid0(VALU_DEP_4)
	v_add_co_u32 v58, vcc_lo, s4, v58
	v_add_co_ci_u32_e32 v59, vcc_lo, s5, v59, vcc_lo
	s_mov_b32 vcc_lo, s2
	global_store_b32 v[62:63], v128, off
	s_cbranch_vccz .LBB5_87
; %bb.85:
	v_add_co_u32 v61, vcc_lo, v56, v66
	v_min_f32_e32 v63, 0, v60
	v_add_co_ci_u32_e32 v62, vcc_lo, v57, v67, vcc_lo
	s_mov_b32 s6, 0
	global_store_b32 v[61:62], v63, off
	s_cbranch_execz .LBB5_88
; %bb.86:
	v_mov_b32_e32 v60, s6
	s_branch .LBB5_89
.LBB5_87:
	s_mov_b32 s6, -1
.LBB5_88:
	v_add_co_u32 v61, vcc_lo, v58, v66
	v_add_co_ci_u32_e32 v62, vcc_lo, v59, v67, vcc_lo
	flat_load_b32 v61, v[61:62]
	s_waitcnt vmcnt(0) lgkmcnt(0)
	v_mul_f32_e32 v63, s15, v61
	v_add_co_u32 v61, vcc_lo, v56, v66
	v_add_co_ci_u32_e32 v62, vcc_lo, v57, v67, vcc_lo
	v_add_co_u32 v128, vcc_lo, v58, v64
	s_delay_alu instid0(VALU_DEP_4)
	v_min_f32_e32 v60, v63, v60
	v_add_co_ci_u32_e32 v129, vcc_lo, v59, v65, vcc_lo
	global_store_b32 v[61:62], v60, off
	flat_load_b32 v60, v[128:129]
	s_waitcnt vmcnt(0) lgkmcnt(0)
	v_mul_f32_e32 v60, s15, v60
.LBB5_89:
	v_dual_add_f32 v61, v29, v53 :: v_dual_add_f32 v62, v28, v52
	v_dual_add_f32 v63, v25, v53 :: v_dual_add_f32 v128, v24, v52
	;; [unrolled: 1-line block ×3, first 2 shown]
	s_delay_alu instid0(VALU_DEP_3) | instskip(NEXT) | instid1(VALU_DEP_3)
	v_min3_f32 v61, v62, v61, v127
	v_min3_f32 v62, v128, v63, v126
	v_dual_add_f32 v63, v27, v55 :: v_dual_add_f32 v126, v26, v54
	s_delay_alu instid0(VALU_DEP_1) | instskip(SKIP_1) | instid1(VALU_DEP_1)
	v_min3_f32 v63, v126, v63, v62
	v_min_f32_e32 v127, v130, v129
	v_min3_f32 v126, v60, v127, v61
	s_delay_alu instid0(VALU_DEP_3)
	v_max_f32_e32 v60, v63, v63
	v_add_co_u32 v61, vcc_lo, v56, v64
	v_add_co_ci_u32_e32 v62, vcc_lo, v57, v65, vcc_lo
	s_mov_b32 vcc_lo, s2
	global_store_b32 v[61:62], v126, off
	s_cbranch_vccz .LBB5_92
; %bb.90:
	v_add_co_u32 v61, vcc_lo, v56, v70
	v_min_f32_e32 v63, 0, v60
	v_add_co_ci_u32_e32 v62, vcc_lo, v57, v71, vcc_lo
	s_mov_b32 s6, 0
	global_store_b32 v[61:62], v63, off
	s_cbranch_execz .LBB5_93
; %bb.91:
	v_mov_b32_e32 v60, s6
	s_branch .LBB5_94
.LBB5_92:
	s_mov_b32 s6, -1
.LBB5_93:
	v_add_co_u32 v61, vcc_lo, v58, v70
	v_add_co_ci_u32_e32 v62, vcc_lo, v59, v71, vcc_lo
	flat_load_b32 v61, v[61:62]
	s_waitcnt vmcnt(0) lgkmcnt(0)
	v_mul_f32_e32 v63, s15, v61
	v_add_co_u32 v61, vcc_lo, v56, v70
	v_add_co_ci_u32_e32 v62, vcc_lo, v57, v71, vcc_lo
	v_add_co_u32 v126, vcc_lo, v58, v68
	s_delay_alu instid0(VALU_DEP_4)
	v_min_f32_e32 v60, v63, v60
	v_add_co_ci_u32_e32 v127, vcc_lo, v59, v69, vcc_lo
	global_store_b32 v[61:62], v60, off
	flat_load_b32 v60, v[126:127]
	s_waitcnt vmcnt(0) lgkmcnt(0)
	v_mul_f32_e32 v60, s15, v60
.LBB5_94:
	v_dual_add_f32 v61, v21, v53 :: v_dual_add_f32 v62, v20, v52
	v_dual_add_f32 v63, v17, v53 :: v_dual_add_f32 v126, v16, v52
	;; [unrolled: 1-line block ×3, first 2 shown]
	s_delay_alu instid0(VALU_DEP_3) | instskip(SKIP_1) | instid1(VALU_DEP_4)
	v_min3_f32 v61, v62, v61, v124
	v_add_f32_e32 v124, v18, v54
	v_min3_f32 v62, v126, v63, v125
	v_add_f32_e32 v63, v19, v55
	v_min_f32_e32 v125, v128, v127
	s_delay_alu instid0(VALU_DEP_2) | instskip(NEXT) | instid1(VALU_DEP_2)
	v_min3_f32 v63, v124, v63, v62
	v_min3_f32 v124, v60, v125, v61
	v_add_co_u32 v61, vcc_lo, v56, v68
	v_add_co_ci_u32_e32 v62, vcc_lo, v57, v69, vcc_lo
	s_delay_alu instid0(VALU_DEP_4)
	v_max_f32_e32 v60, v63, v63
	s_mov_b32 vcc_lo, s2
	global_store_b32 v[61:62], v124, off
	s_cbranch_vccz .LBB5_97
; %bb.95:
	v_add_co_u32 v61, vcc_lo, v56, v74
	v_min_f32_e32 v63, 0, v60
	v_add_co_ci_u32_e32 v62, vcc_lo, v57, v75, vcc_lo
	s_mov_b32 s6, 0
	global_store_b32 v[61:62], v63, off
	s_cbranch_execz .LBB5_98
; %bb.96:
	v_mov_b32_e32 v60, s6
	s_branch .LBB5_99
.LBB5_97:
	s_mov_b32 s6, -1
.LBB5_98:
	v_add_co_u32 v61, vcc_lo, v58, v74
	v_add_co_ci_u32_e32 v62, vcc_lo, v59, v75, vcc_lo
	flat_load_b32 v61, v[61:62]
	s_waitcnt vmcnt(0) lgkmcnt(0)
	v_mul_f32_e32 v63, s15, v61
	v_add_co_u32 v61, vcc_lo, v56, v74
	v_add_co_ci_u32_e32 v62, vcc_lo, v57, v75, vcc_lo
	v_add_co_u32 v124, vcc_lo, v58, v72
	s_delay_alu instid0(VALU_DEP_4)
	v_min_f32_e32 v60, v63, v60
	v_add_co_ci_u32_e32 v125, vcc_lo, v59, v73, vcc_lo
	global_store_b32 v[61:62], v60, off
	flat_load_b32 v60, v[124:125]
	s_waitcnt vmcnt(0) lgkmcnt(0)
	v_mul_f32_e32 v60, s15, v60
.LBB5_99:
	v_dual_add_f32 v61, v13, v53 :: v_dual_add_f32 v62, v12, v52
	v_dual_add_f32 v63, v9, v53 :: v_dual_add_f32 v124, v8, v52
	;; [unrolled: 1-line block ×3, first 2 shown]
	s_delay_alu instid0(VALU_DEP_3) | instskip(SKIP_1) | instid1(VALU_DEP_4)
	v_min3_f32 v61, v62, v61, v122
	v_add_f32_e32 v122, v10, v54
	v_min3_f32 v62, v124, v63, v123
	v_add_f32_e32 v63, v11, v55
	s_delay_alu instid0(VALU_DEP_1) | instskip(SKIP_1) | instid1(VALU_DEP_1)
	v_min3_f32 v63, v122, v63, v62
	v_min_f32_e32 v123, v126, v125
	v_min3_f32 v122, v60, v123, v61
	s_delay_alu instid0(VALU_DEP_3)
	v_max_f32_e32 v60, v63, v63
	v_add_co_u32 v61, vcc_lo, v56, v72
	v_add_co_ci_u32_e32 v62, vcc_lo, v57, v73, vcc_lo
	s_mov_b32 vcc_lo, s2
	global_store_b32 v[61:62], v122, off
	s_cbranch_vccz .LBB5_102
; %bb.100:
	v_add_co_u32 v61, vcc_lo, v56, v78
	v_min_f32_e32 v63, 0, v60
	v_add_co_ci_u32_e32 v62, vcc_lo, v57, v79, vcc_lo
	s_mov_b32 s6, 0
	global_store_b32 v[61:62], v63, off
	s_cbranch_execz .LBB5_103
; %bb.101:
	v_mov_b32_e32 v58, s6
	s_branch .LBB5_104
.LBB5_102:
	s_mov_b32 s6, -1
.LBB5_103:
	v_add_co_u32 v61, vcc_lo, v58, v78
	v_add_co_ci_u32_e32 v62, vcc_lo, v59, v79, vcc_lo
	flat_load_b32 v61, v[61:62]
	s_waitcnt vmcnt(0) lgkmcnt(0)
	v_mul_f32_e32 v63, s15, v61
	v_add_co_u32 v61, vcc_lo, v56, v78
	v_add_co_ci_u32_e32 v62, vcc_lo, v57, v79, vcc_lo
	v_add_co_u32 v58, vcc_lo, v58, v76
	s_delay_alu instid0(VALU_DEP_4)
	v_min_f32_e32 v60, v63, v60
	v_add_co_ci_u32_e32 v59, vcc_lo, v59, v77, vcc_lo
	global_store_b32 v[61:62], v60, off
	flat_load_b32 v58, v[58:59]
	s_waitcnt vmcnt(0) lgkmcnt(0)
	v_mul_f32_e32 v58, s15, v58
.LBB5_104:
	s_waitcnt lgkmcnt(4)
	v_dual_add_f32 v59, v33, v49 :: v_dual_add_f32 v60, v32, v48
	v_dual_add_f32 v53, v1, v53 :: v_dual_add_f32 v52, v0, v52
	;; [unrolled: 1-line block ×3, first 2 shown]
	s_delay_alu instid0(VALU_DEP_3) | instskip(SKIP_1) | instid1(VALU_DEP_4)
	v_min3_f32 v59, v60, v59, v121
	v_dual_add_f32 v63, v34, v50 :: v_dual_add_nc_u32 v60, 24, v111
	v_min3_f32 v61, v52, v53, v120
	s_delay_alu instid0(VALU_DEP_4) | instskip(SKIP_1) | instid1(VALU_DEP_4)
	v_min_f32_e32 v120, v54, v55
	v_add_f32_e32 v62, v35, v51
	v_mad_i64_i32 v[52:53], null, v60, s8, 0
	v_mad_i64_i32 v[54:55], null, v60, s3, 0
	s_delay_alu instid0(VALU_DEP_4)
	v_min3_f32 v61, v58, v120, v61
	v_add_co_u32 v58, vcc_lo, v56, v76
	v_min3_f32 v60, v63, v62, v59
	v_lshlrev_b64 v[52:53], 2, v[52:53]
	v_add_co_ci_u32_e32 v59, vcc_lo, v57, v77, vcc_lo
	v_lshlrev_b64 v[54:55], 2, v[54:55]
	s_delay_alu instid0(VALU_DEP_4) | instskip(NEXT) | instid1(VALU_DEP_4)
	v_max_f32_e32 v56, v60, v60
	v_add_co_u32 v52, vcc_lo, s0, v52
	v_add_co_ci_u32_e32 v53, vcc_lo, s1, v53, vcc_lo
	s_delay_alu instid0(VALU_DEP_4)
	v_add_co_u32 v54, vcc_lo, s4, v54
	v_add_co_ci_u32_e32 v55, vcc_lo, s5, v55, vcc_lo
	s_mov_b32 vcc_lo, s2
	global_store_b32 v[58:59], v61, off
	s_cbranch_vccz .LBB5_107
; %bb.105:
	v_add_co_u32 v57, vcc_lo, v52, v66
	v_min_f32_e32 v59, 0, v56
	v_add_co_ci_u32_e32 v58, vcc_lo, v53, v67, vcc_lo
	s_mov_b32 s6, 0
	global_store_b32 v[57:58], v59, off
	s_cbranch_execz .LBB5_108
; %bb.106:
	v_mov_b32_e32 v56, s6
	s_branch .LBB5_109
.LBB5_107:
	s_mov_b32 s6, -1
.LBB5_108:
	v_add_co_u32 v57, vcc_lo, v54, v66
	v_add_co_ci_u32_e32 v58, vcc_lo, v55, v67, vcc_lo
	flat_load_b32 v57, v[57:58]
	s_waitcnt vmcnt(0) lgkmcnt(0)
	v_mul_f32_e32 v59, s15, v57
	v_add_co_u32 v57, vcc_lo, v52, v66
	v_add_co_ci_u32_e32 v58, vcc_lo, v53, v67, vcc_lo
	s_delay_alu instid0(VALU_DEP_3)
	v_min_f32_e32 v56, v59, v56
	v_add_co_u32 v59, vcc_lo, v54, v64
	v_add_co_ci_u32_e32 v60, vcc_lo, v55, v65, vcc_lo
	global_store_b32 v[57:58], v56, off
	flat_load_b32 v56, v[59:60]
	s_waitcnt vmcnt(0) lgkmcnt(0)
	v_mul_f32_e32 v56, s15, v56
.LBB5_109:
	v_dual_add_f32 v57, v29, v49 :: v_dual_add_f32 v58, v28, v48
	v_dual_add_f32 v59, v25, v49 :: v_dual_add_f32 v60, v24, v48
	v_dual_add_f32 v61, v31, v51 :: v_dual_add_f32 v62, v30, v50
	s_delay_alu instid0(VALU_DEP_3) | instskip(NEXT) | instid1(VALU_DEP_3)
	v_min3_f32 v57, v58, v57, v118
	v_min3_f32 v58, v60, v59, v119
	v_dual_add_f32 v59, v27, v51 :: v_dual_add_f32 v60, v26, v50
	s_delay_alu instid0(VALU_DEP_1) | instskip(SKIP_1) | instid1(VALU_DEP_1)
	v_min3_f32 v59, v60, v59, v58
	v_min_f32_e32 v61, v62, v61
	v_min3_f32 v60, v56, v61, v57
	s_delay_alu instid0(VALU_DEP_3)
	v_max_f32_e32 v56, v59, v59
	v_add_co_u32 v57, vcc_lo, v52, v64
	v_add_co_ci_u32_e32 v58, vcc_lo, v53, v65, vcc_lo
	s_mov_b32 vcc_lo, s2
	global_store_b32 v[57:58], v60, off
	s_cbranch_vccz .LBB5_112
; %bb.110:
	v_add_co_u32 v57, vcc_lo, v52, v70
	v_min_f32_e32 v59, 0, v56
	v_add_co_ci_u32_e32 v58, vcc_lo, v53, v71, vcc_lo
	s_mov_b32 s6, 0
	global_store_b32 v[57:58], v59, off
	s_cbranch_execz .LBB5_113
; %bb.111:
	v_mov_b32_e32 v56, s6
	s_branch .LBB5_114
.LBB5_112:
	s_mov_b32 s6, -1
.LBB5_113:
	v_add_co_u32 v57, vcc_lo, v54, v70
	v_add_co_ci_u32_e32 v58, vcc_lo, v55, v71, vcc_lo
	flat_load_b32 v57, v[57:58]
	s_waitcnt vmcnt(0) lgkmcnt(0)
	v_mul_f32_e32 v59, s15, v57
	v_add_co_u32 v57, vcc_lo, v52, v70
	v_add_co_ci_u32_e32 v58, vcc_lo, v53, v71, vcc_lo
	s_delay_alu instid0(VALU_DEP_3)
	v_min_f32_e32 v56, v59, v56
	v_add_co_u32 v59, vcc_lo, v54, v68
	v_add_co_ci_u32_e32 v60, vcc_lo, v55, v69, vcc_lo
	global_store_b32 v[57:58], v56, off
	flat_load_b32 v56, v[59:60]
	s_waitcnt vmcnt(0) lgkmcnt(0)
	v_mul_f32_e32 v56, s15, v56
.LBB5_114:
	v_dual_add_f32 v57, v21, v49 :: v_dual_add_f32 v58, v20, v48
	v_dual_add_f32 v59, v17, v49 :: v_dual_add_f32 v60, v16, v48
	v_dual_add_f32 v61, v23, v51 :: v_dual_add_f32 v62, v22, v50
	s_delay_alu instid0(VALU_DEP_3) | instskip(NEXT) | instid1(VALU_DEP_3)
	v_min3_f32 v57, v58, v57, v117
	v_min3_f32 v58, v60, v59, v116
	v_dual_add_f32 v59, v19, v51 :: v_dual_add_f32 v60, v18, v50
	s_delay_alu instid0(VALU_DEP_1) | instskip(SKIP_1) | instid1(VALU_DEP_1)
	v_min3_f32 v59, v60, v59, v58
	v_min_f32_e32 v61, v62, v61
	v_min3_f32 v60, v56, v61, v57
	s_delay_alu instid0(VALU_DEP_3)
	v_max_f32_e32 v56, v59, v59
	;; [unrolled: 47-line block ×3, first 2 shown]
	v_add_co_u32 v57, vcc_lo, v52, v72
	v_add_co_ci_u32_e32 v58, vcc_lo, v53, v73, vcc_lo
	s_mov_b32 vcc_lo, s2
	global_store_b32 v[57:58], v60, off
	s_cbranch_vccz .LBB5_122
; %bb.120:
	v_add_co_u32 v57, vcc_lo, v52, v78
	v_min_f32_e32 v59, 0, v56
	v_add_co_ci_u32_e32 v58, vcc_lo, v53, v79, vcc_lo
	s_mov_b32 s6, 0
	global_store_b32 v[57:58], v59, off
	s_cbranch_execz .LBB5_123
; %bb.121:
	v_mov_b32_e32 v54, s6
	s_branch .LBB5_124
.LBB5_122:
	s_mov_b32 s6, -1
.LBB5_123:
	v_add_co_u32 v57, vcc_lo, v54, v78
	v_add_co_ci_u32_e32 v58, vcc_lo, v55, v79, vcc_lo
	flat_load_b32 v57, v[57:58]
	s_waitcnt vmcnt(0) lgkmcnt(0)
	v_mul_f32_e32 v59, s15, v57
	v_add_co_u32 v57, vcc_lo, v52, v78
	v_add_co_ci_u32_e32 v58, vcc_lo, v53, v79, vcc_lo
	v_add_co_u32 v54, vcc_lo, v54, v76
	s_delay_alu instid0(VALU_DEP_4)
	v_min_f32_e32 v56, v59, v56
	v_add_co_ci_u32_e32 v55, vcc_lo, v55, v77, vcc_lo
	global_store_b32 v[57:58], v56, off
	flat_load_b32 v54, v[54:55]
	s_waitcnt vmcnt(0) lgkmcnt(0)
	v_mul_f32_e32 v54, s15, v54
.LBB5_124:
	s_waitcnt lgkmcnt(3)
	v_dual_add_f32 v55, v33, v45 :: v_dual_add_f32 v56, v32, v44
	v_dual_add_f32 v49, v1, v49 :: v_dual_add_f32 v48, v0, v48
	;; [unrolled: 1-line block ×3, first 2 shown]
	s_delay_alu instid0(VALU_DEP_3) | instskip(SKIP_1) | instid1(VALU_DEP_4)
	v_min3_f32 v55, v56, v55, v113
	v_dual_add_f32 v59, v34, v46 :: v_dual_add_nc_u32 v56, 32, v111
	v_min3_f32 v57, v48, v49, v112
	s_delay_alu instid0(VALU_DEP_4) | instskip(SKIP_1) | instid1(VALU_DEP_4)
	v_min_f32_e32 v60, v50, v51
	v_add_f32_e32 v58, v35, v47
	v_mad_i64_i32 v[48:49], null, v56, s8, 0
	v_mad_i64_i32 v[50:51], null, v56, s3, 0
	s_delay_alu instid0(VALU_DEP_4)
	v_min3_f32 v57, v54, v60, v57
	v_add_co_u32 v54, vcc_lo, v52, v76
	v_min3_f32 v56, v59, v58, v55
	v_lshlrev_b64 v[48:49], 2, v[48:49]
	v_add_co_ci_u32_e32 v55, vcc_lo, v53, v77, vcc_lo
	v_lshlrev_b64 v[50:51], 2, v[50:51]
	s_delay_alu instid0(VALU_DEP_4) | instskip(NEXT) | instid1(VALU_DEP_4)
	v_max_f32_e32 v52, v56, v56
	v_add_co_u32 v48, vcc_lo, s0, v48
	v_add_co_ci_u32_e32 v49, vcc_lo, s1, v49, vcc_lo
	s_delay_alu instid0(VALU_DEP_4)
	v_add_co_u32 v50, vcc_lo, s4, v50
	v_add_co_ci_u32_e32 v51, vcc_lo, s5, v51, vcc_lo
	s_mov_b32 vcc_lo, s2
	global_store_b32 v[54:55], v57, off
	s_cbranch_vccz .LBB5_127
; %bb.125:
	v_add_co_u32 v53, vcc_lo, v48, v66
	v_min_f32_e32 v55, 0, v52
	v_add_co_ci_u32_e32 v54, vcc_lo, v49, v67, vcc_lo
	s_mov_b32 s6, 0
	global_store_b32 v[53:54], v55, off
	s_cbranch_execz .LBB5_128
; %bb.126:
	v_mov_b32_e32 v52, s6
	s_branch .LBB5_129
.LBB5_127:
	s_mov_b32 s6, -1
.LBB5_128:
	v_add_co_u32 v53, vcc_lo, v50, v66
	v_add_co_ci_u32_e32 v54, vcc_lo, v51, v67, vcc_lo
	flat_load_b32 v53, v[53:54]
	s_waitcnt vmcnt(0) lgkmcnt(0)
	v_mul_f32_e32 v55, s15, v53
	v_add_co_u32 v53, vcc_lo, v48, v66
	v_add_co_ci_u32_e32 v54, vcc_lo, v49, v67, vcc_lo
	s_delay_alu instid0(VALU_DEP_3)
	v_min_f32_e32 v52, v55, v52
	v_add_co_u32 v55, vcc_lo, v50, v64
	v_add_co_ci_u32_e32 v56, vcc_lo, v51, v65, vcc_lo
	global_store_b32 v[53:54], v52, off
	flat_load_b32 v52, v[55:56]
	s_waitcnt vmcnt(0) lgkmcnt(0)
	v_mul_f32_e32 v52, s15, v52
.LBB5_129:
	v_dual_add_f32 v53, v29, v45 :: v_dual_add_f32 v54, v28, v44
	v_dual_add_f32 v55, v25, v45 :: v_dual_add_f32 v56, v24, v44
	v_dual_add_f32 v57, v31, v47 :: v_dual_add_f32 v58, v30, v46
	s_delay_alu instid0(VALU_DEP_3) | instskip(NEXT) | instid1(VALU_DEP_3)
	v_min3_f32 v53, v54, v53, v109
	v_min3_f32 v54, v56, v55, v110
	v_dual_add_f32 v55, v27, v47 :: v_dual_add_f32 v56, v26, v46
	s_delay_alu instid0(VALU_DEP_1) | instskip(SKIP_1) | instid1(VALU_DEP_1)
	v_min3_f32 v55, v56, v55, v54
	v_min_f32_e32 v57, v58, v57
	v_min3_f32 v56, v52, v57, v53
	s_delay_alu instid0(VALU_DEP_3)
	v_max_f32_e32 v52, v55, v55
	v_add_co_u32 v53, vcc_lo, v48, v64
	v_add_co_ci_u32_e32 v54, vcc_lo, v49, v65, vcc_lo
	s_mov_b32 vcc_lo, s2
	global_store_b32 v[53:54], v56, off
	s_cbranch_vccz .LBB5_132
; %bb.130:
	v_add_co_u32 v53, vcc_lo, v48, v70
	v_min_f32_e32 v55, 0, v52
	v_add_co_ci_u32_e32 v54, vcc_lo, v49, v71, vcc_lo
	s_mov_b32 s6, 0
	global_store_b32 v[53:54], v55, off
	s_cbranch_execz .LBB5_133
; %bb.131:
	v_mov_b32_e32 v52, s6
	s_branch .LBB5_134
.LBB5_132:
	s_mov_b32 s6, -1
.LBB5_133:
	v_add_co_u32 v53, vcc_lo, v50, v70
	v_add_co_ci_u32_e32 v54, vcc_lo, v51, v71, vcc_lo
	flat_load_b32 v53, v[53:54]
	s_waitcnt vmcnt(0) lgkmcnt(0)
	v_mul_f32_e32 v55, s15, v53
	v_add_co_u32 v53, vcc_lo, v48, v70
	v_add_co_ci_u32_e32 v54, vcc_lo, v49, v71, vcc_lo
	s_delay_alu instid0(VALU_DEP_3)
	v_min_f32_e32 v52, v55, v52
	v_add_co_u32 v55, vcc_lo, v50, v68
	v_add_co_ci_u32_e32 v56, vcc_lo, v51, v69, vcc_lo
	global_store_b32 v[53:54], v52, off
	flat_load_b32 v52, v[55:56]
	s_waitcnt vmcnt(0) lgkmcnt(0)
	v_mul_f32_e32 v52, s15, v52
.LBB5_134:
	v_dual_add_f32 v53, v21, v45 :: v_dual_add_f32 v54, v20, v44
	v_dual_add_f32 v55, v17, v45 :: v_dual_add_f32 v56, v16, v44
	v_dual_add_f32 v57, v23, v47 :: v_dual_add_f32 v58, v22, v46
	s_delay_alu instid0(VALU_DEP_3) | instskip(NEXT) | instid1(VALU_DEP_3)
	v_min3_f32 v53, v54, v53, v107
	v_min3_f32 v54, v56, v55, v108
	v_dual_add_f32 v55, v19, v47 :: v_dual_add_f32 v56, v18, v46
	s_delay_alu instid0(VALU_DEP_1) | instskip(SKIP_1) | instid1(VALU_DEP_1)
	v_min3_f32 v55, v56, v55, v54
	v_min_f32_e32 v57, v58, v57
	v_min3_f32 v56, v52, v57, v53
	s_delay_alu instid0(VALU_DEP_3)
	v_max_f32_e32 v52, v55, v55
	;; [unrolled: 47-line block ×3, first 2 shown]
	v_add_co_u32 v53, vcc_lo, v48, v72
	v_add_co_ci_u32_e32 v54, vcc_lo, v49, v73, vcc_lo
	s_mov_b32 vcc_lo, s2
	global_store_b32 v[53:54], v56, off
	s_cbranch_vccz .LBB5_142
; %bb.140:
	v_add_co_u32 v53, vcc_lo, v48, v78
	v_min_f32_e32 v55, 0, v52
	v_add_co_ci_u32_e32 v54, vcc_lo, v49, v79, vcc_lo
	s_mov_b32 s6, 0
	global_store_b32 v[53:54], v55, off
	s_cbranch_execz .LBB5_143
; %bb.141:
	v_mov_b32_e32 v50, s6
	s_branch .LBB5_144
.LBB5_142:
	s_mov_b32 s6, -1
.LBB5_143:
	v_add_co_u32 v53, vcc_lo, v50, v78
	v_add_co_ci_u32_e32 v54, vcc_lo, v51, v79, vcc_lo
	flat_load_b32 v53, v[53:54]
	s_waitcnt vmcnt(0) lgkmcnt(0)
	v_mul_f32_e32 v55, s15, v53
	v_add_co_u32 v53, vcc_lo, v48, v78
	v_add_co_ci_u32_e32 v54, vcc_lo, v49, v79, vcc_lo
	v_add_co_u32 v50, vcc_lo, v50, v76
	s_delay_alu instid0(VALU_DEP_4)
	v_min_f32_e32 v52, v55, v52
	v_add_co_ci_u32_e32 v51, vcc_lo, v51, v77, vcc_lo
	global_store_b32 v[53:54], v52, off
	flat_load_b32 v50, v[50:51]
	s_waitcnt vmcnt(0) lgkmcnt(0)
	v_mul_f32_e32 v50, s15, v50
.LBB5_144:
	s_waitcnt lgkmcnt(2)
	v_dual_add_f32 v51, v33, v41 :: v_dual_add_f32 v52, v32, v40
	v_dual_add_f32 v45, v1, v45 :: v_dual_add_f32 v44, v0, v44
	;; [unrolled: 1-line block ×3, first 2 shown]
	s_delay_alu instid0(VALU_DEP_3) | instskip(SKIP_1) | instid1(VALU_DEP_4)
	v_min3_f32 v51, v52, v51, v104
	v_dual_add_f32 v55, v34, v42 :: v_dual_add_nc_u32 v52, 40, v111
	v_min3_f32 v53, v44, v45, v103
	s_delay_alu instid0(VALU_DEP_4) | instskip(SKIP_1) | instid1(VALU_DEP_4)
	v_min_f32_e32 v56, v46, v47
	v_add_f32_e32 v54, v35, v43
	v_mad_i64_i32 v[44:45], null, v52, s8, 0
	v_mad_i64_i32 v[46:47], null, v52, s3, 0
	s_delay_alu instid0(VALU_DEP_4)
	v_min3_f32 v53, v50, v56, v53
	v_add_co_u32 v50, vcc_lo, v48, v76
	v_min3_f32 v52, v55, v54, v51
	v_lshlrev_b64 v[44:45], 2, v[44:45]
	v_add_co_ci_u32_e32 v51, vcc_lo, v49, v77, vcc_lo
	v_lshlrev_b64 v[46:47], 2, v[46:47]
	s_delay_alu instid0(VALU_DEP_4) | instskip(NEXT) | instid1(VALU_DEP_4)
	v_max_f32_e32 v48, v52, v52
	v_add_co_u32 v44, vcc_lo, s0, v44
	v_add_co_ci_u32_e32 v45, vcc_lo, s1, v45, vcc_lo
	s_delay_alu instid0(VALU_DEP_4)
	v_add_co_u32 v46, vcc_lo, s4, v46
	v_add_co_ci_u32_e32 v47, vcc_lo, s5, v47, vcc_lo
	s_mov_b32 vcc_lo, s2
	global_store_b32 v[50:51], v53, off
	s_cbranch_vccz .LBB5_147
; %bb.145:
	v_add_co_u32 v49, vcc_lo, v44, v66
	v_min_f32_e32 v51, 0, v48
	v_add_co_ci_u32_e32 v50, vcc_lo, v45, v67, vcc_lo
	s_mov_b32 s6, 0
	global_store_b32 v[49:50], v51, off
	s_cbranch_execz .LBB5_148
; %bb.146:
	v_mov_b32_e32 v48, s6
	s_branch .LBB5_149
.LBB5_147:
	s_mov_b32 s6, -1
.LBB5_148:
	v_add_co_u32 v49, vcc_lo, v46, v66
	v_add_co_ci_u32_e32 v50, vcc_lo, v47, v67, vcc_lo
	flat_load_b32 v49, v[49:50]
	s_waitcnt vmcnt(0) lgkmcnt(0)
	v_mul_f32_e32 v51, s15, v49
	v_add_co_u32 v49, vcc_lo, v44, v66
	v_add_co_ci_u32_e32 v50, vcc_lo, v45, v67, vcc_lo
	s_delay_alu instid0(VALU_DEP_3)
	v_min_f32_e32 v48, v51, v48
	v_add_co_u32 v51, vcc_lo, v46, v64
	v_add_co_ci_u32_e32 v52, vcc_lo, v47, v65, vcc_lo
	global_store_b32 v[49:50], v48, off
	flat_load_b32 v48, v[51:52]
	s_waitcnt vmcnt(0) lgkmcnt(0)
	v_mul_f32_e32 v48, s15, v48
.LBB5_149:
	v_dual_add_f32 v49, v29, v41 :: v_dual_add_f32 v50, v28, v40
	v_dual_add_f32 v51, v25, v41 :: v_dual_add_f32 v52, v24, v40
	v_dual_add_f32 v53, v31, v43 :: v_dual_add_f32 v54, v30, v42
	s_delay_alu instid0(VALU_DEP_3) | instskip(NEXT) | instid1(VALU_DEP_3)
	v_min3_f32 v49, v50, v49, v101
	v_min3_f32 v50, v52, v51, v102
	v_dual_add_f32 v51, v27, v43 :: v_dual_add_f32 v52, v26, v42
	s_delay_alu instid0(VALU_DEP_1) | instskip(SKIP_1) | instid1(VALU_DEP_1)
	v_min3_f32 v51, v52, v51, v50
	v_min_f32_e32 v53, v54, v53
	v_min3_f32 v52, v48, v53, v49
	s_delay_alu instid0(VALU_DEP_3)
	v_max_f32_e32 v48, v51, v51
	v_add_co_u32 v49, vcc_lo, v44, v64
	v_add_co_ci_u32_e32 v50, vcc_lo, v45, v65, vcc_lo
	s_mov_b32 vcc_lo, s2
	global_store_b32 v[49:50], v52, off
	s_cbranch_vccz .LBB5_152
; %bb.150:
	v_add_co_u32 v49, vcc_lo, v44, v70
	v_min_f32_e32 v51, 0, v48
	v_add_co_ci_u32_e32 v50, vcc_lo, v45, v71, vcc_lo
	s_mov_b32 s6, 0
	global_store_b32 v[49:50], v51, off
	s_cbranch_execz .LBB5_153
; %bb.151:
	v_mov_b32_e32 v48, s6
	s_branch .LBB5_154
.LBB5_152:
	s_mov_b32 s6, -1
.LBB5_153:
	v_add_co_u32 v49, vcc_lo, v46, v70
	v_add_co_ci_u32_e32 v50, vcc_lo, v47, v71, vcc_lo
	flat_load_b32 v49, v[49:50]
	s_waitcnt vmcnt(0) lgkmcnt(0)
	v_mul_f32_e32 v51, s15, v49
	v_add_co_u32 v49, vcc_lo, v44, v70
	v_add_co_ci_u32_e32 v50, vcc_lo, v45, v71, vcc_lo
	s_delay_alu instid0(VALU_DEP_3)
	v_min_f32_e32 v48, v51, v48
	v_add_co_u32 v51, vcc_lo, v46, v68
	v_add_co_ci_u32_e32 v52, vcc_lo, v47, v69, vcc_lo
	global_store_b32 v[49:50], v48, off
	flat_load_b32 v48, v[51:52]
	s_waitcnt vmcnt(0) lgkmcnt(0)
	v_mul_f32_e32 v48, s15, v48
.LBB5_154:
	v_dual_add_f32 v49, v21, v41 :: v_dual_add_f32 v50, v20, v40
	v_dual_add_f32 v51, v17, v41 :: v_dual_add_f32 v52, v16, v40
	v_dual_add_f32 v53, v23, v43 :: v_dual_add_f32 v54, v22, v42
	s_delay_alu instid0(VALU_DEP_3) | instskip(NEXT) | instid1(VALU_DEP_3)
	v_min3_f32 v49, v50, v49, v99
	v_min3_f32 v50, v52, v51, v100
	v_dual_add_f32 v51, v19, v43 :: v_dual_add_f32 v52, v18, v42
	s_delay_alu instid0(VALU_DEP_1) | instskip(SKIP_1) | instid1(VALU_DEP_1)
	v_min3_f32 v51, v52, v51, v50
	v_min_f32_e32 v53, v54, v53
	v_min3_f32 v52, v48, v53, v49
	s_delay_alu instid0(VALU_DEP_3)
	v_max_f32_e32 v48, v51, v51
	;; [unrolled: 47-line block ×3, first 2 shown]
	v_add_co_u32 v49, vcc_lo, v44, v72
	v_add_co_ci_u32_e32 v50, vcc_lo, v45, v73, vcc_lo
	s_mov_b32 vcc_lo, s2
	global_store_b32 v[49:50], v52, off
	s_cbranch_vccz .LBB5_162
; %bb.160:
	v_add_co_u32 v49, vcc_lo, v44, v78
	v_min_f32_e32 v51, 0, v48
	v_add_co_ci_u32_e32 v50, vcc_lo, v45, v79, vcc_lo
	s_mov_b32 s6, 0
	global_store_b32 v[49:50], v51, off
	s_cbranch_execz .LBB5_163
; %bb.161:
	v_mov_b32_e32 v46, s6
	s_branch .LBB5_164
.LBB5_162:
	s_mov_b32 s6, -1
.LBB5_163:
	v_add_co_u32 v49, vcc_lo, v46, v78
	v_add_co_ci_u32_e32 v50, vcc_lo, v47, v79, vcc_lo
	flat_load_b32 v49, v[49:50]
	s_waitcnt vmcnt(0) lgkmcnt(0)
	v_mul_f32_e32 v51, s15, v49
	v_add_co_u32 v49, vcc_lo, v44, v78
	v_add_co_ci_u32_e32 v50, vcc_lo, v45, v79, vcc_lo
	v_add_co_u32 v46, vcc_lo, v46, v76
	s_delay_alu instid0(VALU_DEP_4)
	v_min_f32_e32 v48, v51, v48
	v_add_co_ci_u32_e32 v47, vcc_lo, v47, v77, vcc_lo
	global_store_b32 v[49:50], v48, off
	flat_load_b32 v46, v[46:47]
	s_waitcnt vmcnt(0) lgkmcnt(0)
	v_mul_f32_e32 v46, s15, v46
.LBB5_164:
	s_waitcnt lgkmcnt(1)
	v_dual_add_f32 v47, v33, v37 :: v_dual_add_f32 v48, v32, v36
	v_dual_add_f32 v41, v1, v41 :: v_dual_add_f32 v40, v0, v40
	;; [unrolled: 1-line block ×3, first 2 shown]
	s_delay_alu instid0(VALU_DEP_3) | instskip(SKIP_1) | instid1(VALU_DEP_4)
	v_min3_f32 v47, v48, v47, v95
	v_dual_add_f32 v51, v34, v38 :: v_dual_add_nc_u32 v48, 48, v111
	v_min3_f32 v49, v40, v41, v96
	s_delay_alu instid0(VALU_DEP_4) | instskip(SKIP_1) | instid1(VALU_DEP_4)
	v_min_f32_e32 v52, v42, v43
	v_add_f32_e32 v50, v35, v39
	v_mad_i64_i32 v[40:41], null, v48, s8, 0
	v_mad_i64_i32 v[42:43], null, v48, s3, 0
	s_delay_alu instid0(VALU_DEP_4)
	v_min3_f32 v49, v46, v52, v49
	v_add_co_u32 v46, vcc_lo, v44, v76
	v_min3_f32 v48, v51, v50, v47
	v_lshlrev_b64 v[40:41], 2, v[40:41]
	v_add_co_ci_u32_e32 v47, vcc_lo, v45, v77, vcc_lo
	v_lshlrev_b64 v[42:43], 2, v[42:43]
	s_delay_alu instid0(VALU_DEP_4) | instskip(NEXT) | instid1(VALU_DEP_4)
	v_max_f32_e32 v44, v48, v48
	v_add_co_u32 v40, vcc_lo, s0, v40
	v_add_co_ci_u32_e32 v41, vcc_lo, s1, v41, vcc_lo
	s_delay_alu instid0(VALU_DEP_4)
	v_add_co_u32 v42, vcc_lo, s4, v42
	v_add_co_ci_u32_e32 v43, vcc_lo, s5, v43, vcc_lo
	s_mov_b32 vcc_lo, s2
	global_store_b32 v[46:47], v49, off
	s_cbranch_vccz .LBB5_167
; %bb.165:
	v_add_co_u32 v45, vcc_lo, v40, v66
	v_min_f32_e32 v47, 0, v44
	v_add_co_ci_u32_e32 v46, vcc_lo, v41, v67, vcc_lo
	s_mov_b32 s6, 0
	global_store_b32 v[45:46], v47, off
	s_cbranch_execz .LBB5_168
; %bb.166:
	v_mov_b32_e32 v44, s6
	s_branch .LBB5_169
.LBB5_167:
	s_mov_b32 s6, -1
.LBB5_168:
	v_add_co_u32 v45, vcc_lo, v42, v66
	v_add_co_ci_u32_e32 v46, vcc_lo, v43, v67, vcc_lo
	flat_load_b32 v45, v[45:46]
	s_waitcnt vmcnt(0) lgkmcnt(0)
	v_mul_f32_e32 v47, s15, v45
	v_add_co_u32 v45, vcc_lo, v40, v66
	v_add_co_ci_u32_e32 v46, vcc_lo, v41, v67, vcc_lo
	s_delay_alu instid0(VALU_DEP_3)
	v_min_f32_e32 v44, v47, v44
	v_add_co_u32 v47, vcc_lo, v42, v64
	v_add_co_ci_u32_e32 v48, vcc_lo, v43, v65, vcc_lo
	global_store_b32 v[45:46], v44, off
	flat_load_b32 v44, v[47:48]
	s_waitcnt vmcnt(0) lgkmcnt(0)
	v_mul_f32_e32 v44, s15, v44
.LBB5_169:
	v_dual_add_f32 v45, v29, v37 :: v_dual_add_f32 v46, v28, v36
	v_dual_add_f32 v47, v25, v37 :: v_dual_add_f32 v48, v24, v36
	v_dual_add_f32 v49, v31, v39 :: v_dual_add_f32 v50, v30, v38
	s_delay_alu instid0(VALU_DEP_3) | instskip(NEXT) | instid1(VALU_DEP_3)
	v_min3_f32 v45, v46, v45, v93
	v_min3_f32 v46, v48, v47, v94
	v_dual_add_f32 v47, v27, v39 :: v_dual_add_f32 v48, v26, v38
	s_delay_alu instid0(VALU_DEP_1) | instskip(SKIP_1) | instid1(VALU_DEP_1)
	v_min3_f32 v47, v48, v47, v46
	v_min_f32_e32 v49, v50, v49
	v_min3_f32 v48, v44, v49, v45
	s_delay_alu instid0(VALU_DEP_3)
	v_max_f32_e32 v44, v47, v47
	v_add_co_u32 v45, vcc_lo, v40, v64
	v_add_co_ci_u32_e32 v46, vcc_lo, v41, v65, vcc_lo
	s_mov_b32 vcc_lo, s2
	global_store_b32 v[45:46], v48, off
	s_cbranch_vccz .LBB5_172
; %bb.170:
	v_add_co_u32 v45, vcc_lo, v40, v70
	v_min_f32_e32 v47, 0, v44
	v_add_co_ci_u32_e32 v46, vcc_lo, v41, v71, vcc_lo
	s_mov_b32 s6, 0
	global_store_b32 v[45:46], v47, off
	s_cbranch_execz .LBB5_173
; %bb.171:
	v_mov_b32_e32 v44, s6
	s_branch .LBB5_174
.LBB5_172:
	s_mov_b32 s6, -1
.LBB5_173:
	v_add_co_u32 v45, vcc_lo, v42, v70
	v_add_co_ci_u32_e32 v46, vcc_lo, v43, v71, vcc_lo
	flat_load_b32 v45, v[45:46]
	s_waitcnt vmcnt(0) lgkmcnt(0)
	v_mul_f32_e32 v47, s15, v45
	v_add_co_u32 v45, vcc_lo, v40, v70
	v_add_co_ci_u32_e32 v46, vcc_lo, v41, v71, vcc_lo
	s_delay_alu instid0(VALU_DEP_3)
	v_min_f32_e32 v44, v47, v44
	v_add_co_u32 v47, vcc_lo, v42, v68
	v_add_co_ci_u32_e32 v48, vcc_lo, v43, v69, vcc_lo
	global_store_b32 v[45:46], v44, off
	flat_load_b32 v44, v[47:48]
	s_waitcnt vmcnt(0) lgkmcnt(0)
	v_mul_f32_e32 v44, s15, v44
.LBB5_174:
	v_dual_add_f32 v45, v21, v37 :: v_dual_add_f32 v46, v20, v36
	v_dual_add_f32 v47, v17, v37 :: v_dual_add_f32 v48, v16, v36
	v_dual_add_f32 v49, v23, v39 :: v_dual_add_f32 v50, v22, v38
	s_delay_alu instid0(VALU_DEP_3) | instskip(NEXT) | instid1(VALU_DEP_3)
	v_min3_f32 v45, v46, v45, v91
	v_min3_f32 v46, v48, v47, v92
	v_dual_add_f32 v47, v19, v39 :: v_dual_add_f32 v48, v18, v38
	s_delay_alu instid0(VALU_DEP_1) | instskip(SKIP_1) | instid1(VALU_DEP_1)
	v_min3_f32 v47, v48, v47, v46
	v_min_f32_e32 v49, v50, v49
	v_min3_f32 v48, v44, v49, v45
	s_delay_alu instid0(VALU_DEP_3)
	v_max_f32_e32 v44, v47, v47
	;; [unrolled: 47-line block ×3, first 2 shown]
	v_add_co_u32 v45, vcc_lo, v40, v72
	v_add_co_ci_u32_e32 v46, vcc_lo, v41, v73, vcc_lo
	s_mov_b32 vcc_lo, s2
	global_store_b32 v[45:46], v48, off
	s_cbranch_vccz .LBB5_182
; %bb.180:
	v_add_co_u32 v45, vcc_lo, v40, v78
	v_min_f32_e32 v47, 0, v44
	v_add_co_ci_u32_e32 v46, vcc_lo, v41, v79, vcc_lo
	s_mov_b32 s6, 0
	global_store_b32 v[45:46], v47, off
	s_cbranch_execz .LBB5_183
; %bb.181:
	v_mov_b32_e32 v42, s6
	s_branch .LBB5_184
.LBB5_182:
	s_mov_b32 s6, -1
.LBB5_183:
	v_add_co_u32 v45, vcc_lo, v42, v78
	v_add_co_ci_u32_e32 v46, vcc_lo, v43, v79, vcc_lo
	flat_load_b32 v45, v[45:46]
	s_waitcnt vmcnt(0) lgkmcnt(0)
	v_mul_f32_e32 v47, s15, v45
	v_add_co_u32 v45, vcc_lo, v40, v78
	v_add_co_ci_u32_e32 v46, vcc_lo, v41, v79, vcc_lo
	v_add_co_u32 v42, vcc_lo, v42, v76
	s_delay_alu instid0(VALU_DEP_4)
	v_min_f32_e32 v44, v47, v44
	v_add_co_ci_u32_e32 v43, vcc_lo, v43, v77, vcc_lo
	global_store_b32 v[45:46], v44, off
	flat_load_b32 v42, v[42:43]
	s_waitcnt vmcnt(0) lgkmcnt(0)
	v_mul_f32_e32 v42, s15, v42
.LBB5_184:
	v_dual_add_f32 v37, v1, v37 :: v_dual_add_f32 v36, v0, v36
	s_waitcnt lgkmcnt(0)
	v_dual_add_f32 v33, v33, v5 :: v_dual_add_f32 v32, v32, v4
	v_dual_add_f32 v38, v2, v38 :: v_dual_add_nc_u32 v43, 56, v111
	s_delay_alu instid0(VALU_DEP_3) | instskip(SKIP_1) | instid1(VALU_DEP_4)
	v_min3_f32 v36, v36, v37, v87
	v_add_f32_e32 v39, v3, v39
	v_min3_f32 v37, v32, v33, v88
	s_delay_alu instid0(VALU_DEP_4) | instskip(SKIP_3) | instid1(VALU_DEP_4)
	v_mad_i64_i32 v[32:33], null, v43, s8, 0
	v_dual_add_f32 v44, v35, v7 :: v_dual_add_f32 v45, v34, v6
	v_mad_i64_i32 v[34:35], null, v43, s3, 0
	v_min_f32_e32 v38, v38, v39
	v_lshlrev_b64 v[32:33], 2, v[32:33]
	s_delay_alu instid0(VALU_DEP_4)
	v_min3_f32 v39, v45, v44, v37
	v_add_co_u32 v37, vcc_lo, v40, v76
	v_lshlrev_b64 v[34:35], 2, v[34:35]
	v_min3_f32 v42, v42, v38, v36
	v_add_co_ci_u32_e32 v38, vcc_lo, v41, v77, vcc_lo
	v_add_co_u32 v32, vcc_lo, s0, v32
	v_add_co_ci_u32_e32 v33, vcc_lo, s1, v33, vcc_lo
	v_add_co_u32 v34, vcc_lo, s4, v34
	v_add_co_ci_u32_e32 v35, vcc_lo, s5, v35, vcc_lo
	v_max_f32_e32 v36, v39, v39
	s_mov_b32 vcc_lo, s2
	global_store_b32 v[37:38], v42, off
	s_cbranch_vccz .LBB5_187
; %bb.185:
	v_add_co_u32 v37, vcc_lo, v32, v66
	v_min_f32_e32 v39, 0, v36
	v_add_co_ci_u32_e32 v38, vcc_lo, v33, v67, vcc_lo
	s_mov_b32 s0, 0
	global_store_b32 v[37:38], v39, off
	s_cbranch_execz .LBB5_188
; %bb.186:
	v_mov_b32_e32 v36, s0
	s_branch .LBB5_189
.LBB5_187:
	s_mov_b32 s0, -1
.LBB5_188:
	v_add_co_u32 v37, vcc_lo, v34, v66
	v_add_co_ci_u32_e32 v38, vcc_lo, v35, v67, vcc_lo
	flat_load_b32 v37, v[37:38]
	s_waitcnt vmcnt(0) lgkmcnt(0)
	v_mul_f32_e32 v39, s15, v37
	v_add_co_u32 v37, vcc_lo, v32, v66
	v_add_co_ci_u32_e32 v38, vcc_lo, v33, v67, vcc_lo
	s_delay_alu instid0(VALU_DEP_3)
	v_min_f32_e32 v36, v39, v36
	v_add_co_u32 v39, vcc_lo, v34, v64
	v_add_co_ci_u32_e32 v40, vcc_lo, v35, v65, vcc_lo
	global_store_b32 v[37:38], v36, off
	flat_load_b32 v36, v[39:40]
	s_waitcnt vmcnt(0) lgkmcnt(0)
	v_mul_f32_e32 v36, s15, v36
.LBB5_189:
	v_dual_add_f32 v25, v25, v5 :: v_dual_add_f32 v24, v24, v4
	v_dual_add_f32 v29, v29, v5 :: v_dual_add_f32 v28, v28, v4
	v_dual_add_f32 v31, v31, v7 :: v_dual_add_f32 v30, v30, v6
	s_delay_alu instid0(VALU_DEP_3) | instskip(SKIP_1) | instid1(VALU_DEP_4)
	v_min3_f32 v24, v24, v25, v85
	v_dual_add_f32 v25, v27, v7 :: v_dual_add_f32 v26, v26, v6
	v_min3_f32 v28, v28, v29, v86
	s_delay_alu instid0(VALU_DEP_2) | instskip(SKIP_3) | instid1(VALU_DEP_4)
	v_min3_f32 v24, v26, v25, v24
	v_min_f32_e32 v27, v30, v31
	v_add_co_u32 v25, vcc_lo, v32, v64
	v_add_co_ci_u32_e32 v26, vcc_lo, v33, v65, vcc_lo
	v_max_f32_e32 v24, v24, v24
	s_delay_alu instid0(VALU_DEP_4)
	v_min3_f32 v27, v36, v27, v28
	s_mov_b32 vcc_lo, s2
	global_store_b32 v[25:26], v27, off
	s_cbranch_vccz .LBB5_192
; %bb.190:
	v_add_co_u32 v25, vcc_lo, v32, v70
	v_min_f32_e32 v27, 0, v24
	v_add_co_ci_u32_e32 v26, vcc_lo, v33, v71, vcc_lo
	s_mov_b32 s0, 0
	global_store_b32 v[25:26], v27, off
	s_cbranch_execz .LBB5_193
; %bb.191:
	v_mov_b32_e32 v24, s0
	s_branch .LBB5_194
.LBB5_192:
	s_mov_b32 s0, -1
.LBB5_193:
	v_add_co_u32 v25, vcc_lo, v34, v70
	v_add_co_ci_u32_e32 v26, vcc_lo, v35, v71, vcc_lo
	flat_load_b32 v25, v[25:26]
	s_waitcnt vmcnt(0) lgkmcnt(0)
	v_mul_f32_e32 v27, s15, v25
	v_add_co_u32 v25, vcc_lo, v32, v70
	v_add_co_ci_u32_e32 v26, vcc_lo, v33, v71, vcc_lo
	s_delay_alu instid0(VALU_DEP_3)
	v_min_f32_e32 v24, v27, v24
	v_add_co_u32 v27, vcc_lo, v34, v68
	v_add_co_ci_u32_e32 v28, vcc_lo, v35, v69, vcc_lo
	global_store_b32 v[25:26], v24, off
	flat_load_b32 v24, v[27:28]
	s_waitcnt vmcnt(0) lgkmcnt(0)
	v_mul_f32_e32 v24, s15, v24
.LBB5_194:
	v_dual_add_f32 v17, v17, v5 :: v_dual_add_f32 v16, v16, v4
	v_dual_add_f32 v21, v21, v5 :: v_dual_add_f32 v20, v20, v4
	v_dual_add_f32 v23, v23, v7 :: v_dual_add_f32 v22, v22, v6
	s_delay_alu instid0(VALU_DEP_3) | instskip(SKIP_1) | instid1(VALU_DEP_4)
	v_min3_f32 v16, v16, v17, v84
	v_dual_add_f32 v17, v19, v7 :: v_dual_add_f32 v18, v18, v6
	v_min3_f32 v20, v20, v21, v83
	s_delay_alu instid0(VALU_DEP_2) | instskip(SKIP_3) | instid1(VALU_DEP_4)
	v_min3_f32 v16, v18, v17, v16
	v_min_f32_e32 v19, v22, v23
	v_add_co_u32 v17, vcc_lo, v32, v68
	v_add_co_ci_u32_e32 v18, vcc_lo, v33, v69, vcc_lo
	v_max_f32_e32 v16, v16, v16
	s_delay_alu instid0(VALU_DEP_4)
	v_min3_f32 v19, v24, v19, v20
	;; [unrolled: 47-line block ×3, first 2 shown]
	s_mov_b32 vcc_lo, s2
	global_store_b32 v[9:10], v11, off
	s_cbranch_vccz .LBB5_202
; %bb.200:
	v_add_co_u32 v9, vcc_lo, v32, v78
	v_min_f32_e32 v11, 0, v8
	v_add_co_ci_u32_e32 v10, vcc_lo, v33, v79, vcc_lo
	s_mov_b32 s0, 0
	global_store_b32 v[9:10], v11, off
	s_cbranch_execz .LBB5_203
; %bb.201:
	v_mov_b32_e32 v8, s0
	s_branch .LBB5_204
.LBB5_202:
	s_mov_b32 s0, -1
.LBB5_203:
	v_add_co_u32 v9, vcc_lo, v34, v78
	v_add_co_ci_u32_e32 v10, vcc_lo, v35, v79, vcc_lo
	flat_load_b32 v9, v[9:10]
	s_waitcnt vmcnt(0) lgkmcnt(0)
	v_mul_f32_e32 v11, s15, v9
	v_add_co_u32 v9, vcc_lo, v32, v78
	v_add_co_ci_u32_e32 v10, vcc_lo, v33, v79, vcc_lo
	s_delay_alu instid0(VALU_DEP_3)
	v_min_f32_e32 v8, v11, v8
	v_add_co_u32 v11, vcc_lo, v34, v76
	v_add_co_ci_u32_e32 v12, vcc_lo, v35, v77, vcc_lo
	global_store_b32 v[9:10], v8, off
	flat_load_b32 v8, v[11:12]
	s_waitcnt vmcnt(0) lgkmcnt(0)
	v_mul_f32_e32 v8, s15, v8
.LBB5_204:
	v_dual_add_f32 v3, v3, v7 :: v_dual_add_f32 v2, v2, v6
	v_dual_add_f32 v1, v1, v5 :: v_dual_add_f32 v0, v0, v4
	s_delay_alu instid0(VALU_DEP_2) | instskip(NEXT) | instid1(VALU_DEP_2)
	v_min_f32_e32 v2, v2, v3
	v_min3_f32 v0, v0, v1, v80
	s_delay_alu instid0(VALU_DEP_1)
	v_min3_f32 v2, v8, v2, v0
	v_add_co_u32 v0, vcc_lo, v32, v76
	v_add_co_ci_u32_e32 v1, vcc_lo, v33, v77, vcc_lo
	global_store_b32 v[0:1], v2, off
	s_nop 0
	s_sendmsg sendmsg(MSG_DEALLOC_VGPRS)
	s_endpgm
	.section	.rodata,"a",@progbits
	.p2align	6, 0x0
	.amdhsa_kernel _ZN12_GLOBAL__N_120geam_min_plus_kernelIf15HIP_vector_typeIfLj2EEfLi32ELi8ELi256ELi64ELi4ELi64ELi4ELi4ELi64ELc78ELc78ELb0ELb0ELb1EfKPKfKPfEEviiiT16_PT17_ilSA_ilS8_SA_ilPT18_ili26rocblas_geam_ex_operation_
		.amdhsa_group_segment_fixed_size 10240
		.amdhsa_private_segment_fixed_size 80
		.amdhsa_kernarg_size 128
		.amdhsa_user_sgpr_count 14
		.amdhsa_user_sgpr_dispatch_ptr 0
		.amdhsa_user_sgpr_queue_ptr 0
		.amdhsa_user_sgpr_kernarg_segment_ptr 1
		.amdhsa_user_sgpr_dispatch_id 0
		.amdhsa_user_sgpr_private_segment_size 0
		.amdhsa_wavefront_size32 1
		.amdhsa_uses_dynamic_stack 0
		.amdhsa_enable_private_segment 1
		.amdhsa_system_sgpr_workgroup_id_x 1
		.amdhsa_system_sgpr_workgroup_id_y 0
		.amdhsa_system_sgpr_workgroup_id_z 1
		.amdhsa_system_sgpr_workgroup_info 0
		.amdhsa_system_vgpr_workitem_id 1
		.amdhsa_next_free_vgpr 256
		.amdhsa_next_free_sgpr 24
		.amdhsa_reserve_vcc 1
		.amdhsa_float_round_mode_32 0
		.amdhsa_float_round_mode_16_64 0
		.amdhsa_float_denorm_mode_32 3
		.amdhsa_float_denorm_mode_16_64 3
		.amdhsa_dx10_clamp 1
		.amdhsa_ieee_mode 1
		.amdhsa_fp16_overflow 0
		.amdhsa_workgroup_processor_mode 1
		.amdhsa_memory_ordered 1
		.amdhsa_forward_progress 0
		.amdhsa_shared_vgpr_count 0
		.amdhsa_exception_fp_ieee_invalid_op 0
		.amdhsa_exception_fp_denorm_src 0
		.amdhsa_exception_fp_ieee_div_zero 0
		.amdhsa_exception_fp_ieee_overflow 0
		.amdhsa_exception_fp_ieee_underflow 0
		.amdhsa_exception_fp_ieee_inexact 0
		.amdhsa_exception_int_div_zero 0
	.end_amdhsa_kernel
	.section	.text._ZN12_GLOBAL__N_120geam_min_plus_kernelIf15HIP_vector_typeIfLj2EEfLi32ELi8ELi256ELi64ELi4ELi64ELi4ELi4ELi64ELc78ELc78ELb0ELb0ELb1EfKPKfKPfEEviiiT16_PT17_ilSA_ilS8_SA_ilPT18_ili26rocblas_geam_ex_operation_,"axG",@progbits,_ZN12_GLOBAL__N_120geam_min_plus_kernelIf15HIP_vector_typeIfLj2EEfLi32ELi8ELi256ELi64ELi4ELi64ELi4ELi4ELi64ELc78ELc78ELb0ELb0ELb1EfKPKfKPfEEviiiT16_PT17_ilSA_ilS8_SA_ilPT18_ili26rocblas_geam_ex_operation_,comdat
.Lfunc_end5:
	.size	_ZN12_GLOBAL__N_120geam_min_plus_kernelIf15HIP_vector_typeIfLj2EEfLi32ELi8ELi256ELi64ELi4ELi64ELi4ELi4ELi64ELc78ELc78ELb0ELb0ELb1EfKPKfKPfEEviiiT16_PT17_ilSA_ilS8_SA_ilPT18_ili26rocblas_geam_ex_operation_, .Lfunc_end5-_ZN12_GLOBAL__N_120geam_min_plus_kernelIf15HIP_vector_typeIfLj2EEfLi32ELi8ELi256ELi64ELi4ELi64ELi4ELi4ELi64ELc78ELc78ELb0ELb0ELb1EfKPKfKPfEEviiiT16_PT17_ilSA_ilS8_SA_ilPT18_ili26rocblas_geam_ex_operation_
                                        ; -- End function
	.section	.AMDGPU.csdata,"",@progbits
; Kernel info:
; codeLenInByte = 18080
; NumSgprs: 26
; NumVgprs: 256
; ScratchSize: 80
; MemoryBound: 0
; FloatMode: 240
; IeeeMode: 1
; LDSByteSize: 10240 bytes/workgroup (compile time only)
; SGPRBlocks: 3
; VGPRBlocks: 31
; NumSGPRsForWavesPerEU: 26
; NumVGPRsForWavesPerEU: 256
; Occupancy: 5
; WaveLimiterHint : 1
; COMPUTE_PGM_RSRC2:SCRATCH_EN: 1
; COMPUTE_PGM_RSRC2:USER_SGPR: 14
; COMPUTE_PGM_RSRC2:TRAP_HANDLER: 0
; COMPUTE_PGM_RSRC2:TGID_X_EN: 1
; COMPUTE_PGM_RSRC2:TGID_Y_EN: 0
; COMPUTE_PGM_RSRC2:TGID_Z_EN: 1
; COMPUTE_PGM_RSRC2:TIDIG_COMP_CNT: 1
	.section	.text._ZN12_GLOBAL__N_120geam_min_plus_kernelIf15HIP_vector_typeIfLj2EEfLi32ELi8ELi256ELi64ELi4ELi64ELi4ELi4ELi64ELc78ELc78ELb0ELb1ELb1EPKfKS4_KPfEEviiiT16_PT17_ilSA_ilS8_SA_ilPT18_ili26rocblas_geam_ex_operation_,"axG",@progbits,_ZN12_GLOBAL__N_120geam_min_plus_kernelIf15HIP_vector_typeIfLj2EEfLi32ELi8ELi256ELi64ELi4ELi64ELi4ELi4ELi64ELc78ELc78ELb0ELb1ELb1EPKfKS4_KPfEEviiiT16_PT17_ilSA_ilS8_SA_ilPT18_ili26rocblas_geam_ex_operation_,comdat
	.globl	_ZN12_GLOBAL__N_120geam_min_plus_kernelIf15HIP_vector_typeIfLj2EEfLi32ELi8ELi256ELi64ELi4ELi64ELi4ELi4ELi64ELc78ELc78ELb0ELb1ELb1EPKfKS4_KPfEEviiiT16_PT17_ilSA_ilS8_SA_ilPT18_ili26rocblas_geam_ex_operation_ ; -- Begin function _ZN12_GLOBAL__N_120geam_min_plus_kernelIf15HIP_vector_typeIfLj2EEfLi32ELi8ELi256ELi64ELi4ELi64ELi4ELi4ELi64ELc78ELc78ELb0ELb1ELb1EPKfKS4_KPfEEviiiT16_PT17_ilSA_ilS8_SA_ilPT18_ili26rocblas_geam_ex_operation_
	.p2align	8
	.type	_ZN12_GLOBAL__N_120geam_min_plus_kernelIf15HIP_vector_typeIfLj2EEfLi32ELi8ELi256ELi64ELi4ELi64ELi4ELi4ELi64ELc78ELc78ELb0ELb1ELb1EPKfKS4_KPfEEviiiT16_PT17_ilSA_ilS8_SA_ilPT18_ili26rocblas_geam_ex_operation_,@function
_ZN12_GLOBAL__N_120geam_min_plus_kernelIf15HIP_vector_typeIfLj2EEfLi32ELi8ELi256ELi64ELi4ELi64ELi4ELi4ELi64ELc78ELc78ELb0ELb1ELb1EPKfKS4_KPfEEviiiT16_PT17_ilSA_ilS8_SA_ilPT18_ili26rocblas_geam_ex_operation_: ; @_ZN12_GLOBAL__N_120geam_min_plus_kernelIf15HIP_vector_typeIfLj2EEfLi32ELi8ELi256ELi64ELi4ELi64ELi4ELi4ELi64ELc78ELc78ELb0ELb1ELb1EPKfKS4_KPfEEviiiT16_PT17_ilSA_ilS8_SA_ilPT18_ili26rocblas_geam_ex_operation_
; %bb.0:
	s_clause 0x1
	s_load_b128 s[16:19], s[0:1], 0x10
	s_load_b128 s[4:7], s[0:1], 0x28
	s_mov_b32 s2, s15
	s_mov_b32 s3, 0
	s_mov_b64 s[22:23], 0
	s_lshl_b64 s[20:21], s[2:3], 2
	s_waitcnt lgkmcnt(0)
	s_add_u32 s8, s16, s20
	s_addc_u32 s9, s17, s21
	s_load_b32 s24, s[8:9], 0x0
	s_clause 0x1
	s_load_b128 s[8:11], s[0:1], 0x40
	s_load_b64 s[12:13], s[0:1], 0x50
	s_waitcnt lgkmcnt(0)
	v_cmp_eq_f32_e64 s15, s24, 0
	v_cmp_neq_f32_e64 s16, s24, 0
	s_add_u32 s10, s10, s20
	s_addc_u32 s11, s11, s21
	s_mov_b64 s[20:21], 0
	s_and_b32 vcc_lo, exec_lo, s15
	s_cbranch_vccnz .LBB6_2
; %bb.1:
	s_lshl_b64 s[20:21], s[2:3], 3
	s_delay_alu instid0(SALU_CYCLE_1)
	s_add_u32 s18, s18, s20
	s_addc_u32 s19, s19, s21
	s_lshl_b64 s[4:5], s[4:5], 2
	s_load_b64 s[18:19], s[18:19], 0x0
	s_waitcnt lgkmcnt(0)
	s_add_u32 s20, s18, s4
	s_addc_u32 s21, s19, s5
.LBB6_2:
	s_load_b32 s15, s[10:11], 0x0
	s_and_not1_b32 vcc_lo, exec_lo, s16
	s_cbranch_vccnz .LBB6_4
; %bb.3:
	s_lshl_b64 s[4:5], s[2:3], 3
	s_delay_alu instid0(SALU_CYCLE_1)
	s_add_u32 s4, s6, s4
	s_addc_u32 s5, s7, s5
	s_lshl_b64 s[6:7], s[8:9], 2
	s_load_b64 s[4:5], s[4:5], 0x0
	s_waitcnt lgkmcnt(0)
	s_add_u32 s22, s4, s6
	s_addc_u32 s23, s5, s7
.LBB6_4:
	s_load_b128 s[4:7], s[0:1], 0x60
	s_waitcnt lgkmcnt(0)
	v_cmp_eq_f32_e64 s8, s15, 0
	v_cmp_neq_f32_e64 s9, s15, 0
	s_delay_alu instid0(VALU_DEP_2)
	s_and_b32 vcc_lo, exec_lo, s8
	s_cbranch_vccnz .LBB6_6
; %bb.5:
	s_lshl_b64 s[10:11], s[2:3], 3
	s_delay_alu instid0(SALU_CYCLE_1)
	s_add_u32 s10, s12, s10
	s_addc_u32 s11, s13, s11
	s_lshl_b64 s[4:5], s[4:5], 2
	s_load_b64 s[10:11], s[10:11], 0x0
	s_waitcnt lgkmcnt(0)
	s_add_u32 s10, s10, s4
	s_addc_u32 s11, s11, s5
	s_branch .LBB6_7
.LBB6_6:
	s_mov_b64 s[10:11], 0
.LBB6_7:
	s_clause 0x1
	s_load_b128 s[16:19], s[0:1], 0x0
	s_load_b32 s25, s[0:1], 0x20
	s_lshl_b64 s[2:3], s[2:3], 3
	v_and_b32_e32 v18, 0x3ff, v0
	s_add_u32 s2, s6, s2
	s_addc_u32 s3, s7, s3
	v_bfe_u32 v19, v0, 10, 10
	s_load_b64 s[12:13], s[2:3], 0x0
	s_delay_alu instid0(VALU_DEP_1) | instskip(NEXT) | instid1(VALU_DEP_1)
	v_lshl_add_u32 v5, v19, 5, v18
	v_lshrrev_b32_e32 v70, 6, v5
	v_and_b32_e32 v0, 63, v5
	s_waitcnt lgkmcnt(0)
	s_add_i32 s4, s16, -1
	s_delay_alu instid0(SALU_CYCLE_1) | instskip(NEXT) | instid1(SALU_CYCLE_1)
	s_ashr_i32 s5, s4, 31
	s_lshr_b32 s5, s5, 24
	s_delay_alu instid0(SALU_CYCLE_1) | instskip(NEXT) | instid1(SALU_CYCLE_1)
	s_add_i32 s4, s4, s5
	s_ashr_i32 s4, s4, 8
	s_delay_alu instid0(SALU_CYCLE_1) | instskip(SKIP_2) | instid1(VALU_DEP_1)
	s_add_i32 s5, s4, 1
	s_not_b32 s4, s4
	v_cvt_f32_u32_e32 v1, s5
	v_rcp_iflag_f32_e32 v1, v1
	s_waitcnt_depctr 0xfff
	v_mul_f32_e32 v1, 0x4f7ffffe, v1
	s_delay_alu instid0(VALU_DEP_1) | instskip(NEXT) | instid1(VALU_DEP_1)
	v_cvt_u32_f32_e32 v1, v1
	v_readfirstlane_b32 s6, v1
	s_delay_alu instid0(VALU_DEP_1) | instskip(NEXT) | instid1(SALU_CYCLE_1)
	s_mul_i32 s4, s4, s6
	s_mul_hi_u32 s4, s6, s4
	s_delay_alu instid0(SALU_CYCLE_1) | instskip(NEXT) | instid1(SALU_CYCLE_1)
	s_add_i32 s6, s6, s4
	s_mul_hi_u32 s4, s14, s6
	s_delay_alu instid0(SALU_CYCLE_1) | instskip(SKIP_2) | instid1(SALU_CYCLE_1)
	s_mul_i32 s6, s4, s5
	s_add_i32 s7, s4, 1
	s_sub_i32 s6, s14, s6
	s_sub_i32 s8, s6, s5
	s_cmp_ge_u32 s6, s5
	s_cselect_b32 s4, s7, s4
	s_cselect_b32 s6, s8, s6
	s_add_i32 s7, s4, 1
	s_cmp_ge_u32 s6, s5
	s_cselect_b32 s6, s7, s4
	s_add_i32 s26, s18, -1
	s_mul_i32 s4, s6, s5
	v_min_i32_e32 v3, s26, v70
	s_sub_i32 s4, s14, s4
	v_cmp_le_i32_e64 s5, s18, v70
	s_lshl_b32 s8, s4, 8
	v_cmp_eq_f32_e64 s14, s24, 0
	v_mad_i64_i32 v[1:2], null, s25, v3, 0
	v_or_b32_e32 v16, s8, v0
	s_delay_alu instid0(VALU_DEP_1) | instskip(NEXT) | instid1(VALU_DEP_3)
	v_cmp_le_i32_e32 vcc_lo, s16, v16
	v_lshlrev_b64 v[2:3], 2, v[1:2]
	v_ashrrev_i32_e32 v17, 31, v16
	s_or_b32 s3, vcc_lo, s5
	s_delay_alu instid0(VALU_DEP_2) | instskip(SKIP_1) | instid1(VALU_DEP_4)
	v_add_co_u32 v6, s2, s20, v2
	v_cndmask_b32_e64 v1, 0, 0x7f7fffff, s3
	v_add_co_ci_u32_e64 v7, s2, s21, v3, s2
	s_or_b32 s2, s14, s3
	s_delay_alu instid0(SALU_CYCLE_1) | instskip(NEXT) | instid1(SALU_CYCLE_1)
	s_xor_b32 s2, s2, -1
	s_and_saveexec_b32 s3, s2
	s_cbranch_execz .LBB6_9
; %bb.8:
	v_lshlrev_b64 v[1:2], 2, v[16:17]
	s_delay_alu instid0(VALU_DEP_1) | instskip(NEXT) | instid1(VALU_DEP_1)
	v_add_co_u32 v1, s2, v6, v1
	v_add_co_ci_u32_e64 v2, s2, v7, v2, s2
	flat_load_b32 v1, v[1:2]
	s_waitcnt vmcnt(0) lgkmcnt(0)
	v_mul_f32_e32 v1, s24, v1
.LBB6_9:
	s_or_b32 exec_lo, exec_lo, s3
	v_or_b32_e32 v2, 64, v16
	s_delay_alu instid0(VALU_DEP_1) | instskip(NEXT) | instid1(VALU_DEP_1)
	v_cmp_le_i32_e64 s2, s16, v2
	s_or_b32 s3, s2, s5
	s_delay_alu instid0(SALU_CYCLE_1) | instskip(SKIP_1) | instid1(SALU_CYCLE_1)
	v_cndmask_b32_e64 v2, 0, 0x7f7fffff, s3
	s_or_b32 s3, s14, s3
	s_xor_b32 s3, s3, -1
	s_delay_alu instid0(SALU_CYCLE_1)
	s_and_saveexec_b32 s4, s3
	s_cbranch_execz .LBB6_11
; %bb.10:
	v_lshlrev_b64 v[2:3], 2, v[16:17]
	s_delay_alu instid0(VALU_DEP_1) | instskip(NEXT) | instid1(VALU_DEP_1)
	v_add_co_u32 v2, s3, v6, v2
	v_add_co_ci_u32_e64 v3, s3, v7, v3, s3
	flat_load_b32 v2, v[2:3] offset:256
	s_waitcnt vmcnt(0) lgkmcnt(0)
	v_mul_f32_e32 v2, s24, v2
.LBB6_11:
	s_or_b32 exec_lo, exec_lo, s4
	v_or_b32_e32 v3, 0x80, v16
	s_delay_alu instid0(VALU_DEP_1) | instskip(NEXT) | instid1(VALU_DEP_1)
	v_cmp_le_i32_e64 s3, s16, v3
	s_or_b32 s4, s3, s5
	s_delay_alu instid0(SALU_CYCLE_1) | instskip(SKIP_1) | instid1(SALU_CYCLE_1)
	v_cndmask_b32_e64 v3, 0, 0x7f7fffff, s4
	s_or_b32 s4, s14, s4
	s_xor_b32 s4, s4, -1
	s_delay_alu instid0(SALU_CYCLE_1)
	s_and_saveexec_b32 s7, s4
	s_cbranch_execz .LBB6_13
; %bb.12:
	v_lshlrev_b64 v[3:4], 2, v[16:17]
	s_delay_alu instid0(VALU_DEP_1) | instskip(NEXT) | instid1(VALU_DEP_1)
	v_add_co_u32 v3, s4, v6, v3
	v_add_co_ci_u32_e64 v4, s4, v7, v4, s4
	flat_load_b32 v3, v[3:4] offset:512
	s_waitcnt vmcnt(0) lgkmcnt(0)
	v_mul_f32_e32 v3, s24, v3
.LBB6_13:
	;; [unrolled: 21-line block ×3, first 2 shown]
	s_or_b32 exec_lo, exec_lo, s7
	v_lshrrev_b32_e32 v5, 2, v5
	s_load_b32 s27, s[0:1], 0x38
	s_lshl_b32 s19, s6, 6
	v_and_b32_e32 v72, 3, v18
	s_delay_alu instid0(VALU_DEP_2) | instskip(NEXT) | instid1(VALU_DEP_2)
	v_add_nc_u32_e32 v6, s19, v5
	v_cmp_le_i32_e64 s6, s18, v72
	s_delay_alu instid0(VALU_DEP_2) | instskip(SKIP_2) | instid1(SALU_CYCLE_1)
	v_cmp_le_i32_e64 s5, s17, v6
	scratch_store_b32 off, v6, off          ; 4-byte Folded Spill
	s_or_b32 s6, s6, s5
	v_cndmask_b32_e64 v6, 0, 0x7f7fffff, s6
	s_or_b32 s6, s14, s6
	s_delay_alu instid0(SALU_CYCLE_1) | instskip(NEXT) | instid1(SALU_CYCLE_1)
	s_xor_b32 s6, s6, -1
	s_and_saveexec_b32 s7, s6
	s_cbranch_execz .LBB6_17
; %bb.16:
	scratch_load_b32 v8, off, off           ; 4-byte Folded Reload
	s_waitcnt vmcnt(0) lgkmcnt(0)
	v_mad_i64_i32 v[6:7], null, v8, s27, 0
	v_min_u32_e32 v8, s26, v72
	s_delay_alu instid0(VALU_DEP_1) | instskip(NEXT) | instid1(VALU_DEP_3)
	v_lshlrev_b32_e32 v8, 2, v8
	v_lshlrev_b64 v[6:7], 2, v[6:7]
	s_delay_alu instid0(VALU_DEP_1) | instskip(NEXT) | instid1(VALU_DEP_1)
	v_add_co_u32 v6, s6, s22, v6
	v_add_co_ci_u32_e64 v7, s6, s23, v7, s6
	s_delay_alu instid0(VALU_DEP_2) | instskip(NEXT) | instid1(VALU_DEP_1)
	v_add_co_u32 v6, s6, v6, v8
	v_add_co_ci_u32_e64 v7, s6, 0, v7, s6
	flat_load_b32 v6, v[6:7]
	s_waitcnt vmcnt(0) lgkmcnt(0)
	v_mul_f32_e32 v6, s24, v6
.LBB6_17:
	s_or_b32 exec_lo, exec_lo, s7
	v_add_nc_u32_e32 v9, 4, v70
	s_delay_alu instid0(VALU_DEP_1) | instskip(SKIP_1) | instid1(VALU_DEP_2)
	v_min_i32_e32 v10, s26, v9
	v_cmp_le_i32_e64 s6, s18, v9
	v_mad_i64_i32 v[7:8], null, s25, v10, 0
	s_delay_alu instid0(VALU_DEP_1) | instskip(NEXT) | instid1(VALU_DEP_1)
	v_lshlrev_b64 v[7:8], 2, v[7:8]
	v_add_co_u32 v7, s7, s20, v7
	s_delay_alu instid0(VALU_DEP_1) | instskip(SKIP_1) | instid1(SALU_CYCLE_1)
	v_add_co_ci_u32_e64 v8, s7, s21, v8, s7
	s_or_b32 s7, vcc_lo, s6
	v_cndmask_b32_e64 v9, 0, 0x7f7fffff, s7
	s_or_b32 s7, s14, s7
	s_delay_alu instid0(SALU_CYCLE_1) | instskip(NEXT) | instid1(SALU_CYCLE_1)
	s_xor_b32 s7, s7, -1
	s_and_saveexec_b32 s28, s7
	s_cbranch_execz .LBB6_19
; %bb.18:
	v_lshlrev_b64 v[9:10], 2, v[16:17]
	s_delay_alu instid0(VALU_DEP_1) | instskip(NEXT) | instid1(VALU_DEP_1)
	v_add_co_u32 v9, s7, v7, v9
	v_add_co_ci_u32_e64 v10, s7, v8, v10, s7
	flat_load_b32 v9, v[9:10]
	s_waitcnt vmcnt(0) lgkmcnt(0)
	v_mul_f32_e32 v9, s24, v9
.LBB6_19:
	s_or_b32 exec_lo, exec_lo, s28
	s_or_b32 s7, s2, s6
	scratch_store_b32 off, v9, off offset:4 ; 4-byte Folded Spill
	v_cndmask_b32_e64 v9, 0, 0x7f7fffff, s7
	s_or_b32 s7, s14, s7
	s_delay_alu instid0(SALU_CYCLE_1) | instskip(NEXT) | instid1(SALU_CYCLE_1)
	s_xor_b32 s7, s7, -1
	s_and_saveexec_b32 s28, s7
	s_cbranch_execz .LBB6_21
; %bb.20:
	v_lshlrev_b64 v[9:10], 2, v[16:17]
	s_delay_alu instid0(VALU_DEP_1) | instskip(NEXT) | instid1(VALU_DEP_1)
	v_add_co_u32 v9, s7, v7, v9
	v_add_co_ci_u32_e64 v10, s7, v8, v10, s7
	flat_load_b32 v9, v[9:10] offset:256
	s_waitcnt vmcnt(0) lgkmcnt(0)
	v_mul_f32_e32 v9, s24, v9
.LBB6_21:
	s_or_b32 exec_lo, exec_lo, s28
	s_or_b32 s7, s3, s6
	scratch_store_b32 off, v9, off offset:8 ; 4-byte Folded Spill
	v_cndmask_b32_e64 v9, 0, 0x7f7fffff, s7
	s_or_b32 s7, s14, s7
	s_delay_alu instid0(SALU_CYCLE_1) | instskip(NEXT) | instid1(SALU_CYCLE_1)
	s_xor_b32 s7, s7, -1
	s_and_saveexec_b32 s28, s7
	s_cbranch_execz .LBB6_23
; %bb.22:
	v_lshlrev_b64 v[9:10], 2, v[16:17]
	s_delay_alu instid0(VALU_DEP_1) | instskip(NEXT) | instid1(VALU_DEP_1)
	v_add_co_u32 v9, s7, v7, v9
	v_add_co_ci_u32_e64 v10, s7, v8, v10, s7
	flat_load_b32 v9, v[9:10] offset:512
	s_waitcnt vmcnt(0) lgkmcnt(0)
	v_mul_f32_e32 v9, s24, v9
.LBB6_23:
	;; [unrolled: 18-line block ×3, first 2 shown]
	s_or_b32 exec_lo, exec_lo, s7
	v_or_b32_e32 v7, 4, v72
	scratch_store_b32 off, v9, off offset:16 ; 4-byte Folded Spill
	v_cmp_le_i32_e64 s6, s18, v7
	s_delay_alu instid0(VALU_DEP_1) | instskip(NEXT) | instid1(SALU_CYCLE_1)
	s_or_b32 s6, s6, s5
	v_cndmask_b32_e64 v149, 0, 0x7f7fffff, s6
	s_or_b32 s6, s14, s6
	s_delay_alu instid0(SALU_CYCLE_1) | instskip(NEXT) | instid1(SALU_CYCLE_1)
	s_xor_b32 s6, s6, -1
	s_and_saveexec_b32 s7, s6
	s_cbranch_execz .LBB6_27
; %bb.26:
	scratch_load_b32 v10, off, off          ; 4-byte Folded Reload
	s_waitcnt vmcnt(0) lgkmcnt(0)
	v_mad_i64_i32 v[8:9], null, v10, s27, 0
	v_min_u32_e32 v10, s26, v7
	s_delay_alu instid0(VALU_DEP_2) | instskip(NEXT) | instid1(VALU_DEP_2)
	v_lshlrev_b64 v[7:8], 2, v[8:9]
	v_lshlrev_b32_e32 v9, 2, v10
	s_delay_alu instid0(VALU_DEP_2) | instskip(NEXT) | instid1(VALU_DEP_1)
	v_add_co_u32 v7, s6, s22, v7
	v_add_co_ci_u32_e64 v8, s6, s23, v8, s6
	s_delay_alu instid0(VALU_DEP_2) | instskip(NEXT) | instid1(VALU_DEP_1)
	v_add_co_u32 v7, s6, v7, v9
	v_add_co_ci_u32_e64 v8, s6, 0, v8, s6
	flat_load_b32 v7, v[7:8]
	s_waitcnt vmcnt(0) lgkmcnt(0)
	v_mul_f32_e32 v149, s24, v7
.LBB6_27:
	s_or_b32 exec_lo, exec_lo, s7
	v_lshlrev_b32_e32 v7, 2, v70
	v_lshlrev_b32_e32 v8, 2, v72
	v_lshlrev_b32_e32 v71, 4, v19
	v_lshlrev_b32_e32 v73, 4, v18
	s_cmp_lt_i32 s18, 9
	v_lshl_add_u32 v74, v0, 4, v7
	v_lshl_or_b32 v0, v5, 4, v8
	scratch_store_b32 off, v0, off offset:20 ; 4-byte Folded Spill
	ds_store_2addr_stride64_b32 v74, v1, v2 offset1:4
	ds_store_2addr_stride64_b32 v74, v3, v4 offset0:8 offset1:12
	ds_store_b32 v0, v6 offset:8192
	s_waitcnt lgkmcnt(0)
	s_waitcnt_vscnt null, 0x0
	s_barrier
	buffer_gl0_inv
	ds_load_b128 v[26:29], v71 offset:8192
	ds_load_b128 v[0:3], v73
	ds_load_b128 v[12:15], v73 offset:512
	ds_load_b128 v[8:11], v73 offset:1024
	;; [unrolled: 1-line block ×4, first 2 shown]
	s_waitcnt lgkmcnt(4)
	v_dual_add_f32 v20, v1, v27 :: v_dual_add_f32 v145, v0, v26
	s_waitcnt lgkmcnt(3)
	v_add_f32_e32 v144, v12, v26
	s_waitcnt lgkmcnt(0)
	v_dual_add_f32 v146, v3, v29 :: v_dual_add_f32 v91, v13, v31
	scratch_store_b32 off, v20, off offset:32 ; 4-byte Folded Spill
	v_dual_add_f32 v20, v13, v27 :: v_dual_add_f32 v143, v8, v26
	v_dual_add_f32 v138, v15, v29 :: v_dual_add_f32 v93, v9, v31
	v_add_f32_e32 v81, v2, v28
	scratch_store_b32 off, v20, off offset:36 ; 4-byte Folded Spill
	v_add_f32_e32 v20, v9, v27
	v_dual_add_f32 v132, v14, v28 :: v_dual_add_f32 v95, v5, v31
	v_add_f32_e32 v139, v11, v29
	v_add_f32_e32 v140, v7, v29
	scratch_store_b32 off, v20, off offset:40 ; 4-byte Folded Spill
	v_add_f32_e32 v20, v5, v27
	v_dual_add_f32 v90, v0, v30 :: v_dual_add_f32 v85, v3, v33
	v_dual_add_f32 v92, v12, v30 :: v_dual_add_f32 v107, v15, v33
	scratch_store_b32 off, v20, off offset:44 ; 4-byte Folded Spill
	v_add_f32_e32 v20, v4, v26
	v_dual_add_f32 v94, v8, v30 :: v_dual_add_f32 v109, v11, v33
	v_dual_add_f32 v96, v4, v30 :: v_dual_add_f32 v111, v7, v33
	scratch_store_b32 off, v20, off offset:48 ; 4-byte Folded Spill
	ds_load_b128 v[34:37], v73 offset:2048
	ds_load_b128 v[38:41], v73 offset:2560
	v_add_f32_e32 v134, v10, v28
	v_add_f32_e32 v106, v2, v32
	;; [unrolled: 1-line block ×5, first 2 shown]
	s_waitcnt lgkmcnt(1)
	v_dual_add_f32 v20, v35, v27 :: v_dual_add_f32 v131, v36, v28
	s_waitcnt lgkmcnt(0)
	v_add_f32_e32 v135, v41, v29
	v_add_f32_e32 v133, v40, v28
	;; [unrolled: 1-line block ×3, first 2 shown]
	scratch_store_b32 off, v20, off offset:52 ; 4-byte Folded Spill
	v_add_f32_e32 v20, v39, v27
	v_dual_add_f32 v142, v34, v26 :: v_dual_add_f32 v141, v37, v29
	v_add_f32_e32 v97, v35, v31
	v_add_f32_e32 v99, v39, v31
	scratch_store_b32 off, v20, off offset:56 ; 4-byte Folded Spill
	v_add_f32_e32 v20, v38, v26
	v_add_f32_e32 v84, v37, v33
	;; [unrolled: 1-line block ×4, first 2 shown]
	scratch_store_b32 off, v20, off offset:60 ; 4-byte Folded Spill
	ds_load_b128 v[42:45], v73 offset:3072
	ds_load_b128 v[46:49], v73 offset:3584
	v_add_f32_e32 v98, v34, v30
	v_add_f32_e32 v100, v38, v30
	;; [unrolled: 1-line block ×4, first 2 shown]
	s_waitcnt lgkmcnt(0)
	v_dual_add_f32 v20, v43, v27 :: v_dual_add_f32 v137, v49, v29
	v_add_f32_e32 v136, v45, v29
	v_dual_add_f32 v86, v44, v28 :: v_dual_add_f32 v101, v43, v31
	scratch_store_b32 off, v20, off offset:64 ; 4-byte Folded Spill
	v_add_f32_e32 v20, v42, v26
	v_dual_add_f32 v88, v48, v28 :: v_dual_add_f32 v103, v47, v31
	v_add_f32_e32 v102, v42, v30
	v_add_f32_e32 v104, v46, v30
	scratch_store_b32 off, v20, off offset:72 ; 4-byte Folded Spill
	v_dual_add_f32 v20, v47, v27 :: v_dual_add_f32 v117, v45, v33
	v_dual_add_f32 v118, v44, v32 :: v_dual_add_f32 v119, v49, v33
	v_add_f32_e32 v120, v48, v32
	scratch_store_b32 off, v20, off offset:68 ; 4-byte Folded Spill
	v_add_f32_e32 v20, v46, v26
	scratch_store_b32 off, v20, off offset:76 ; 4-byte Folded Spill
	ds_load_b128 v[26:29], v71 offset:8448
	ds_load_b128 v[30:33], v71 offset:8576
	s_clause 0x1
	scratch_store_b32 off, v18, off offset:24
	scratch_store_b32 off, v19, off offset:28
	s_waitcnt lgkmcnt(1)
	v_dual_add_f32 v121, v1, v27 :: v_dual_add_f32 v122, v0, v26
	v_add_f32_e32 v161, v37, v29
	v_dual_add_f32 v123, v13, v27 :: v_dual_add_f32 v124, v12, v26
	v_add_f32_e32 v163, v41, v29
	;; [unrolled: 2-line block ×3, first 2 shown]
	v_dual_add_f32 v127, v5, v27 :: v_dual_add_f32 v128, v4, v26
	v_dual_add_f32 v167, v49, v29 :: v_dual_add_f32 v82, v35, v27
	s_waitcnt lgkmcnt(0)
	v_dual_add_f32 v193, v37, v33 :: v_dual_add_f32 v148, v34, v26
	v_add_f32_e32 v169, v1, v31
	v_dual_add_f32 v83, v39, v27 :: v_dual_add_f32 v150, v38, v26
	v_add_f32_e32 v171, v13, v31
	;; [unrolled: 2-line block ×7, first 2 shown]
	v_dual_add_f32 v159, v7, v29 :: v_dual_add_f32 v160, v6, v28
	v_dual_add_f32 v185, v3, v33 :: v_dual_add_f32 v162, v36, v28
	;; [unrolled: 1-line block ×9, first 2 shown]
	v_add_f32_e32 v178, v34, v30
	v_add_f32_e32 v180, v38, v30
	;; [unrolled: 1-line block ×12, first 2 shown]
	ds_load_b128 v[26:29], v71 offset:8704
	ds_load_b128 v[30:33], v71 offset:8832
	s_waitcnt lgkmcnt(1)
	v_add_f32_e32 v227, v41, v29
	v_dual_add_f32 v201, v1, v27 :: v_dual_add_f32 v202, v0, v26
	v_add_f32_e32 v229, v45, v29
	v_dual_add_f32 v203, v13, v27 :: v_dual_add_f32 v204, v12, v26
	v_add_f32_e32 v231, v49, v29
	v_dual_add_f32 v205, v9, v27 :: v_dual_add_f32 v206, v8, v26
	s_waitcnt lgkmcnt(0)
	v_add_f32_e32 v233, v1, v31
	v_dual_add_f32 v207, v5, v27 :: v_dual_add_f32 v208, v4, v26
	v_add_f32_e32 v235, v13, v31
	v_dual_add_f32 v209, v35, v27 :: v_dual_add_f32 v210, v34, v26
	;; [unrolled: 2-line block ×10, first 2 shown]
	v_dual_add_f32 v253, v11, v33 :: v_dual_add_f32 v228, v40, v28
	v_dual_add_f32 v255, v7, v33 :: v_dual_add_f32 v230, v44, v28
	v_add_f32_e32 v232, v48, v28
	v_dual_add_f32 v234, v0, v30 :: v_dual_add_f32 v69, v6, v32
	v_add_f32_e32 v236, v12, v30
	v_add_f32_e32 v238, v8, v30
	;; [unrolled: 1-line block ×3, first 2 shown]
	v_dual_add_f32 v242, v34, v30 :: v_dual_add_f32 v51, v48, v32
	v_add_f32_e32 v244, v38, v30
	v_add_f32_e32 v246, v42, v30
	v_add_f32_e32 v248, v46, v30
	v_add_f32_e32 v250, v2, v32
	v_add_f32_e32 v252, v14, v32
	v_add_f32_e32 v254, v10, v32
	v_add_f32_e32 v68, v37, v33
	v_add_f32_e32 v24, v36, v32
	v_add_f32_e32 v18, v41, v33
	v_add_f32_e32 v50, v40, v32
	v_add_f32_e32 v52, v45, v33
	v_add_f32_e32 v54, v44, v32
	v_add_f32_e32 v56, v49, v33
	ds_load_b128 v[26:29], v71 offset:8960
	ds_load_b128 v[30:33], v71 offset:9088
	s_waitcnt lgkmcnt(1)
	v_add_f32_e32 v105, v6, v28
	v_add_f32_e32 v55, v0, v26
	;; [unrolled: 1-line block ×9, first 2 shown]
	s_waitcnt lgkmcnt(0)
	v_add_f32_e32 v0, v0, v30
	v_add_f32_e32 v12, v12, v30
	;; [unrolled: 1-line block ×8, first 2 shown]
	scratch_load_b32 v46, off, off offset:32 ; 4-byte Folded Reload
	v_add_f32_e32 v53, v1, v27
	v_add_f32_e32 v57, v13, v27
	v_dual_add_f32 v60, v9, v27 :: v_dual_add_f32 v147, v44, v28
	v_add_f32_e32 v25, v5, v27
	v_add_f32_e32 v62, v35, v27
	;; [unrolled: 1-line block ×5, first 2 shown]
	v_dual_add_f32 v77, v2, v28 :: v_dual_add_f32 v76, v11, v29
	v_dual_add_f32 v13, v13, v31 :: v_dual_add_f32 v80, v7, v29
	;; [unrolled: 1-line block ×3, first 2 shown]
	v_add_f32_e32 v5, v5, v31
	v_dual_add_f32 v1, v1, v31 :: v_dual_add_f32 v2, v2, v32
	v_add_f32_e32 v39, v39, v31
	v_add_f32_e32 v35, v35, v31
	;; [unrolled: 1-line block ×6, first 2 shown]
	v_min3_f32 v0, v0, v1, 0x7f7fffff
	v_add_f32_e32 v79, v15, v29
	v_add_f32_e32 v67, v14, v28
	v_dual_add_f32 v78, v10, v28 :: v_dual_add_f32 v15, v15, v33
	v_add_f32_e32 v14, v14, v32
	v_dual_add_f32 v20, v36, v28 :: v_dual_add_f32 v11, v11, v33
	v_dual_add_f32 v23, v45, v29 :: v_dual_add_f32 v10, v10, v32
	v_add_f32_e32 v45, v45, v33
	v_add_f32_e32 v113, v37, v29
	v_dual_add_f32 v21, v41, v29 :: v_dual_add_f32 v28, v48, v28
	v_dual_add_f32 v7, v7, v33 :: v_dual_add_f32 v6, v6, v32
	v_add_f32_e32 v37, v37, v33
	v_add_f32_e32 v41, v41, v33
	v_dual_add_f32 v33, v49, v33 :: v_dual_add_f32 v36, v36, v32
	v_add_f32_e32 v40, v40, v32
	v_add_f32_e32 v44, v44, v32
	v_dual_add_f32 v32, v48, v32 :: v_dual_add_f32 v29, v49, v29
	s_waitcnt vmcnt(0)
	v_min3_f32 v46, v145, v46, 0x7f7fffff
	s_delay_alu instid0(VALU_DEP_1) | instskip(SKIP_3) | instid1(VALU_DEP_1)
	v_min3_f32 v146, v81, v146, v46
	scratch_load_b32 v46, off, off offset:36 ; 4-byte Folded Reload
	s_waitcnt vmcnt(0)
	v_min3_f32 v46, v144, v46, 0x7f7fffff
	v_min3_f32 v145, v132, v138, v46
	scratch_load_b32 v46, off, off offset:40 ; 4-byte Folded Reload
	s_waitcnt vmcnt(0)
	v_min3_f32 v46, v143, v46, 0x7f7fffff
	s_delay_alu instid0(VALU_DEP_1)
	v_min3_f32 v144, v134, v139, v46
	s_clause 0x1
	scratch_load_b32 v46, off, off offset:44
	scratch_load_b32 v47, off, off offset:48
	s_waitcnt vmcnt(0)
	v_min3_f32 v46, v47, v46, 0x7f7fffff
	s_delay_alu instid0(VALU_DEP_1) | instskip(SKIP_3) | instid1(VALU_DEP_1)
	v_min3_f32 v143, v87, v140, v46
	scratch_load_b32 v46, off, off offset:52 ; 4-byte Folded Reload
	s_waitcnt vmcnt(0)
	v_min3_f32 v46, v142, v46, 0x7f7fffff
	v_min3_f32 v142, v131, v141, v46
	s_clause 0x1
	scratch_load_b32 v46, off, off offset:56
	scratch_load_b32 v47, off, off offset:60
	s_waitcnt vmcnt(0)
	v_min3_f32 v46, v47, v46, 0x7f7fffff
	s_delay_alu instid0(VALU_DEP_1)
	v_min3_f32 v141, v133, v135, v46
	s_clause 0x1
	scratch_load_b32 v46, off, off offset:64
	scratch_load_b32 v47, off, off offset:72
	s_waitcnt vmcnt(0)
	v_min3_f32 v46, v47, v46, 0x7f7fffff
	s_delay_alu instid0(VALU_DEP_1)
	;; [unrolled: 7-line block ×3, first 2 shown]
	v_min3_f32 v140, v88, v137, v46
	v_min3_f32 v46, v90, v89, 0x7f7fffff
	;; [unrolled: 1-line block ×4, first 2 shown]
	scratch_load_b32 v3, off, off offset:20 ; 4-byte Folded Reload
	v_min3_f32 v139, v106, v85, v46
	v_min3_f32 v46, v92, v91, 0x7f7fffff
	v_min3_f32 v88, v14, v15, v0
	v_min3_f32 v0, v8, v9, 0x7f7fffff
	s_delay_alu instid0(VALU_DEP_3) | instskip(SKIP_1) | instid1(VALU_DEP_3)
	v_min3_f32 v138, v108, v107, v46
	v_min3_f32 v46, v94, v93, 0x7f7fffff
	v_min3_f32 v87, v10, v11, v0
	v_min3_f32 v0, v4, v5, 0x7f7fffff
	s_delay_alu instid0(VALU_DEP_3) | instskip(SKIP_1) | instid1(VALU_DEP_3)
	;; [unrolled: 5-line block ×4, first 2 shown]
	v_min3_f32 v135, v114, v84, v46
	v_min3_f32 v46, v100, v99, 0x7f7fffff
	;; [unrolled: 1-line block ×4, first 2 shown]
	s_delay_alu instid0(VALU_DEP_3) | instskip(SKIP_1) | instid1(VALU_DEP_1)
	v_min3_f32 v134, v116, v115, v46
	v_min3_f32 v46, v102, v101, 0x7f7fffff
	v_min3_f32 v133, v118, v117, v46
	v_min3_f32 v46, v104, v103, 0x7f7fffff
	s_delay_alu instid0(VALU_DEP_1) | instskip(SKIP_1) | instid1(VALU_DEP_1)
	v_min3_f32 v132, v120, v119, v46
	v_min3_f32 v46, v122, v121, 0x7f7fffff
	v_min3_f32 v131, v130, v129, v46
	v_min3_f32 v46, v124, v123, 0x7f7fffff
	s_delay_alu instid0(VALU_DEP_1) | instskip(SKIP_1) | instid1(VALU_DEP_1)
	;; [unrolled: 5-line block ×3, first 2 shown]
	v_min3_f32 v128, v160, v159, v46
	v_min3_f32 v46, v148, v82, 0x7f7fffff
	;; [unrolled: 1-line block ×6, first 2 shown]
	s_delay_alu instid0(VALU_DEP_3) | instskip(SKIP_1) | instid1(VALU_DEP_3)
	v_min3_f32 v126, v164, v163, v46
	v_min3_f32 v46, v152, v151, 0x7f7fffff
	;; [unrolled: 1-line block ×3, first 2 shown]
	s_clause 0x1
	scratch_load_b32 v0, off, off offset:4
	scratch_load_b32 v1, off, off offset:8
	v_min3_f32 v125, v166, v165, v46
	v_min3_f32 v46, v154, v153, 0x7f7fffff
	s_delay_alu instid0(VALU_DEP_1) | instskip(SKIP_1) | instid1(VALU_DEP_1)
	v_min3_f32 v124, v168, v167, v46
	v_min3_f32 v46, v170, v169, 0x7f7fffff
	v_min3_f32 v123, v186, v185, v46
	v_min3_f32 v46, v172, v171, 0x7f7fffff
	s_delay_alu instid0(VALU_DEP_1) | instskip(SKIP_1) | instid1(VALU_DEP_1)
	v_min3_f32 v122, v188, v187, v46
	v_min3_f32 v46, v174, v173, 0x7f7fffff
	;; [unrolled: 5-line block ×16, first 2 shown]
	v_min3_f32 v91, v147, v23, v18
	v_min3_f32 v18, v26, v27, 0x7f7fffff
	s_delay_alu instid0(VALU_DEP_1)
	v_min3_f32 v90, v28, v29, v18
	s_waitcnt vmcnt(0)
	ds_store_2addr_stride64_b32 v74, v0, v1 offset0:16 offset1:20
	s_clause 0x1
	scratch_load_b32 v0, off, off offset:12
	scratch_load_b32 v1, off, off offset:16
	s_waitcnt vmcnt(0)
	ds_store_2addr_stride64_b32 v74, v0, v1 offset0:24 offset1:28
	ds_store_b32 v3, v149 offset:9216
	s_waitcnt lgkmcnt(0)
	s_waitcnt_vscnt null, 0x0
	s_barrier
	buffer_gl0_inv
	s_cbranch_scc1 .LBB6_50
; %bb.28:
	s_clause 0x2
	scratch_load_b32 v2, off, off
	scratch_load_b32 v197, off, off offset:24
	scratch_load_b32 v198, off, off offset:28
	v_lshlrev_b64 v[64:65], 2, v[16:17]
	v_add_nc_u32_e32 v75, 0x2000, v3
	v_add_nc_u32_e32 v76, 0x2000, v71
	;; [unrolled: 1-line block ×4, first 2 shown]
	s_waitcnt vmcnt(2)
	v_mad_i64_i32 v[0:1], null, s27, v2, 0
	v_lshlrev_b32_e32 v2, 2, v72
	s_waitcnt vmcnt(1)
	v_lshl_add_u32 v79, v197, 4, 0x1000
	s_waitcnt vmcnt(0)
	v_lshl_add_u32 v80, v198, 4, 0x2400
	s_delay_alu instid0(VALU_DEP_4) | instskip(NEXT) | instid1(VALU_DEP_1)
	v_lshlrev_b64 v[0:1], 2, v[0:1]
	v_add_co_u32 v0, s6, v0, v2
	s_delay_alu instid0(VALU_DEP_1) | instskip(NEXT) | instid1(VALU_DEP_2)
	v_add_co_ci_u32_e64 v1, s6, 0, v1, s6
	v_add_co_u32 v0, s6, v0, s22
	s_delay_alu instid0(VALU_DEP_1) | instskip(SKIP_1) | instid1(VALU_DEP_2)
	v_add_co_ci_u32_e64 v1, s6, s23, v1, s6
	s_add_i32 s22, s18, -8
	v_add_co_u32 v66, s6, v0, 48
	s_delay_alu instid0(VALU_DEP_1)
	v_add_co_ci_u32_e64 v67, s6, 0, v1, s6
	s_mov_b32 s23, 0
	s_branch .LBB6_30
.LBB6_29:                               ;   in Loop: Header=BB6_30 Depth=1
	s_or_b32 exec_lo, exec_lo, s6
	ds_load_b128 v[93:96], v76
	ds_load_b128 v[149:152], v73
	ds_load_b128 v[153:156], v73 offset:512
	ds_load_b128 v[157:160], v73 offset:1024
	;; [unrolled: 1-line block ×14, first 2 shown]
	v_add_co_u32 v66, s6, v66, 32
	s_delay_alu instid0(VALU_DEP_1)
	v_add_co_ci_u32_e64 v67, s6, 0, v67, s6
	s_add_i32 s23, s23, 8
	ds_store_2addr_stride64_b32 v77, v105, v113 offset1:4
	ds_store_2addr_stride64_b32 v77, v147, v148 offset0:8 offset1:12
	ds_store_b32 v78, v0
	s_waitcnt lgkmcnt(17)
	v_dual_add_f32 v19, v150, v94 :: v_dual_add_f32 v22, v149, v93
	s_waitcnt lgkmcnt(16)
	v_dual_add_f32 v23, v154, v94 :: v_dual_add_f32 v26, v153, v93
	;; [unrolled: 2-line block ×3, first 2 shown]
	s_waitcnt lgkmcnt(14)
	v_add_f32_e32 v31, v162, v94
	v_min3_f32 v19, v22, v19, v44
	v_min3_f32 v22, v26, v23, v45
	v_add_f32_e32 v26, v161, v93
	v_min3_f32 v23, v30, v27, v48
	s_waitcnt lgkmcnt(13)
	v_dual_add_f32 v27, v166, v94 :: v_dual_add_f32 v30, v165, v93
	s_waitcnt lgkmcnt(12)
	v_dual_add_f32 v34, v170, v94 :: v_dual_add_f32 v35, v169, v93
	;; [unrolled: 2-line block ×4, first 2 shown]
	v_min3_f32 v1, v26, v31, v1
	v_min3_f32 v4, v30, v27, v4
	;; [unrolled: 1-line block ×5, first 2 shown]
	s_waitcnt lgkmcnt(9)
	v_dual_add_f32 v31, v150, v98 :: v_dual_add_f32 v34, v149, v97
	v_dual_add_f32 v35, v154, v98 :: v_dual_add_f32 v38, v153, v97
	;; [unrolled: 1-line block ×5, first 2 shown]
	v_min3_f32 v5, v34, v31, v5
	v_min3_f32 v8, v38, v35, v8
	;; [unrolled: 1-line block ×5, first 2 shown]
	v_dual_add_f32 v38, v170, v98 :: v_dual_add_f32 v39, v169, v97
	v_dual_add_f32 v44, v174, v98 :: v_dual_add_f32 v45, v173, v97
	;; [unrolled: 1-line block ×3, first 2 shown]
	s_waitcnt lgkmcnt(8)
	v_dual_add_f32 v52, v150, v102 :: v_dual_add_f32 v53, v149, v101
	v_dual_add_f32 v56, v154, v102 :: v_dual_add_f32 v57, v153, v101
	v_min3_f32 v9, v39, v38, v9
	v_min3_f32 v12, v45, v44, v12
	;; [unrolled: 1-line block ×5, first 2 shown]
	v_dual_add_f32 v45, v158, v102 :: v_dual_add_f32 v48, v157, v101
	v_dual_add_f32 v49, v162, v102 :: v_dual_add_f32 v52, v161, v101
	;; [unrolled: 1-line block ×5, first 2 shown]
	v_min3_f32 v13, v48, v45, v13
	v_min3_f32 v16, v52, v49, v16
	;; [unrolled: 1-line block ×5, first 2 shown]
	v_dual_add_f32 v52, v178, v102 :: v_dual_add_f32 v53, v177, v101
	s_waitcnt lgkmcnt(7)
	v_dual_add_f32 v54, v150, v107 :: v_dual_add_f32 v55, v149, v106
	v_dual_add_f32 v56, v154, v107 :: v_dual_add_f32 v57, v153, v106
	;; [unrolled: 1-line block ×4, first 2 shown]
	v_min3_f32 v17, v53, v52, v17
	v_min3_f32 v20, v55, v54, v20
	;; [unrolled: 1-line block ×5, first 2 shown]
	v_dual_add_f32 v55, v166, v107 :: v_dual_add_f32 v56, v165, v106
	v_dual_add_f32 v57, v170, v107 :: v_dual_add_f32 v58, v169, v106
	;; [unrolled: 1-line block ×4, first 2 shown]
	s_waitcnt lgkmcnt(6)
	v_dual_add_f32 v63, v150, v182 :: v_dual_add_f32 v68, v149, v181
	v_min3_f32 v21, v56, v55, v21
	v_min3_f32 v24, v58, v57, v24
	;; [unrolled: 1-line block ×5, first 2 shown]
	v_dual_add_f32 v56, v154, v182 :: v_dual_add_f32 v57, v153, v181
	v_dual_add_f32 v58, v158, v182 :: v_dual_add_f32 v59, v157, v181
	;; [unrolled: 1-line block ×5, first 2 shown]
	v_min3_f32 v25, v57, v56, v25
	v_min3_f32 v28, v59, v58, v28
	;; [unrolled: 1-line block ×5, first 2 shown]
	v_dual_add_f32 v57, v174, v182 :: v_dual_add_f32 v58, v173, v181
	v_dual_add_f32 v59, v178, v182 :: v_dual_add_f32 v60, v177, v181
	s_waitcnt lgkmcnt(5)
	v_dual_add_f32 v61, v150, v186 :: v_dual_add_f32 v62, v149, v185
	v_dual_add_f32 v63, v154, v186 :: v_dual_add_f32 v68, v153, v185
	;; [unrolled: 1-line block ×3, first 2 shown]
	v_add_f32_e32 v81, v157, v185
	v_min3_f32 v29, v58, v57, v29
	v_min3_f32 v32, v60, v59, v32
	v_add_f32_e32 v60, v162, v186
	v_min3_f32 v57, v62, v61, v85
	v_min3_f32 v58, v68, v63, v86
	;; [unrolled: 1-line block ×3, first 2 shown]
	v_dual_add_f32 v61, v161, v185 :: v_dual_add_f32 v62, v166, v186
	v_dual_add_f32 v63, v165, v185 :: v_dual_add_f32 v68, v170, v186
	;; [unrolled: 1-line block ×3, first 2 shown]
	v_add_f32_e32 v83, v178, v186
	v_add_f32_e32 v69, v169, v185
	v_min3_f32 v33, v61, v60, v33
	v_min3_f32 v36, v63, v62, v36
	s_waitcnt lgkmcnt(4)
	v_add_f32_e32 v62, v150, v190
	v_min3_f32 v60, v82, v81, v88
	v_add_f32_e32 v63, v149, v189
	v_dual_add_f32 v81, v158, v190 :: v_dual_add_f32 v82, v157, v189
	v_min3_f32 v61, v84, v83, v89
	v_dual_add_f32 v84, v161, v189 :: v_dual_add_f32 v83, v162, v190
	v_add_f32_e32 v86, v165, v189
	v_min3_f32 v43, v69, v68, v43
	v_dual_add_f32 v68, v154, v190 :: v_dual_add_f32 v69, v153, v189
	v_min3_f32 v37, v63, v62, v37
	v_min3_f32 v62, v82, v81, v90
	v_add_f32_e32 v82, v174, v190
	v_min3_f32 v63, v84, v83, v91
	v_add_f32_e32 v83, v173, v189
	v_add_f32_e32 v85, v166, v190
	s_waitcnt lgkmcnt(3)
	v_add_f32_e32 v87, v149, v193
	v_min3_f32 v40, v69, v68, v40
	v_dual_add_f32 v81, v169, v189 :: v_dual_add_f32 v84, v178, v190
	v_min3_f32 v42, v83, v82, v42
	v_dual_add_f32 v82, v162, v194 :: v_dual_add_f32 v83, v161, v193
	v_dual_add_f32 v88, v154, v194 :: v_dual_add_f32 v89, v153, v193
	v_add_f32_e32 v69, v170, v190
	s_cmp_ge_i32 s23, s22
	s_delay_alu instid0(VALU_DEP_3)
	v_min3_f32 v3, v83, v82, v3
	v_add_f32_e32 v82, v152, v96
	v_min3_f32 v68, v86, v85, v92
	v_dual_add_f32 v85, v177, v189 :: v_dual_add_f32 v86, v150, v194
	v_add_f32_e32 v83, v151, v95
	s_waitcnt lgkmcnt(0)
	s_barrier
	s_delay_alu instid0(VALU_DEP_2)
	v_min3_f32 v10, v85, v84, v10
	v_add_f32_e32 v84, v166, v194
	v_min3_f32 v18, v89, v88, v18
	v_dual_add_f32 v85, v165, v193 :: v_dual_add_f32 v88, v174, v194
	v_add_f32_e32 v89, v173, v193
	v_min3_f32 v11, v87, v86, v11
	v_dual_add_f32 v86, v170, v194 :: v_dual_add_f32 v87, v169, v193
	v_min3_f32 v146, v83, v82, v19
	v_add_f32_e32 v82, v180, v96
	v_min3_f32 v15, v89, v88, v15
	v_add_f32_e32 v88, v164, v96
	;; [unrolled: 2-line block ×4, first 2 shown]
	v_add_f32_e32 v85, v155, v95
	v_add_f32_e32 v69, v158, v194
	;; [unrolled: 1-line block ×5, first 2 shown]
	v_min3_f32 v145, v85, v84, v22
	v_add_f32_e32 v22, v172, v96
	v_min3_f32 v14, v87, v86, v14
	v_dual_add_f32 v86, v160, v96 :: v_dual_add_f32 v87, v159, v95
	v_min3_f32 v140, v83, v82, v30
	v_add_f32_e32 v30, v172, v100
	v_min3_f32 v2, v81, v69, v2
	v_add_f32_e32 v81, v177, v193
	v_min3_f32 v144, v87, v86, v23
	v_add_f32_e32 v23, v171, v95
	v_dual_add_f32 v69, v178, v194 :: v_dual_add_f32 v84, v152, v100
	v_add_f32_e32 v85, v151, v99
	buffer_gl0_inv
	v_min3_f32 v141, v23, v22, v26
	v_dual_add_f32 v22, v164, v100 :: v_dual_add_f32 v23, v163, v99
	v_min3_f32 v139, v85, v84, v5
	v_add_f32_e32 v5, v160, v100
	v_add_f32_e32 v26, v168, v100
	s_delay_alu instid0(VALU_DEP_4) | instskip(SKIP_4) | instid1(VALU_DEP_2)
	v_min3_f32 v136, v23, v22, v34
	v_add_f32_e32 v22, v156, v104
	v_min3_f32 v143, v89, v88, v1
	v_add_f32_e32 v1, v168, v96
	v_add_f32_e32 v23, v155, v103
	v_min3_f32 v142, v19, v1, v4
	v_dual_add_f32 v1, v156, v100 :: v_dual_add_f32 v4, v155, v99
	s_delay_alu instid0(VALU_DEP_3) | instskip(SKIP_2) | instid1(VALU_DEP_4)
	v_min3_f32 v130, v23, v22, v44
	v_dual_add_f32 v22, v180, v104 :: v_dual_add_f32 v23, v179, v103
	v_min3_f32 v6, v81, v69, v6
	v_min3_f32 v138, v4, v1, v8
	v_dual_add_f32 v1, v176, v100 :: v_dual_add_f32 v4, v175, v99
	s_delay_alu instid0(VALU_DEP_4) | instskip(SKIP_2) | instid1(VALU_DEP_4)
	v_min3_f32 v124, v23, v22, v17
	v_add_f32_e32 v17, v168, v109
	v_dual_add_f32 v69, v176, v96 :: v_dual_add_f32 v8, v179, v99
	v_min3_f32 v133, v4, v1, v12
	v_dual_add_f32 v1, v164, v104 :: v_dual_add_f32 v4, v163, v103
	v_add_f32_e32 v81, v175, v95
	v_add_f32_e32 v19, v159, v99
	;; [unrolled: 1-line block ×3, first 2 shown]
	s_delay_alu instid0(VALU_DEP_4) | instskip(SKIP_1) | instid1(VALU_DEP_4)
	v_min3_f32 v128, v4, v1, v16
	v_dual_add_f32 v1, v152, v109 :: v_dual_add_f32 v4, v151, v108
	v_min3_f32 v137, v19, v5, v31
	v_add_f32_e32 v19, v151, v103
	v_add_f32_e32 v16, v163, v108
	;; [unrolled: 1-line block ×3, first 2 shown]
	v_min3_f32 v123, v4, v1, v20
	v_dual_add_f32 v1, v172, v109 :: v_dual_add_f32 v4, v171, v108
	s_delay_alu instid0(VALU_DEP_1) | instskip(SKIP_1) | instid1(VALU_DEP_1)
	v_min3_f32 v118, v4, v1, v24
	v_dual_add_f32 v1, v160, v184 :: v_dual_add_f32 v4, v159, v183
	v_min3_f32 v112, v4, v1, v28
	v_dual_add_f32 v4, v179, v183 :: v_dual_add_f32 v1, v180, v184
	s_delay_alu instid0(VALU_DEP_1) | instskip(SKIP_1) | instid1(VALU_DEP_1)
	v_min3_f32 v107, v4, v1, v32
	v_dual_add_f32 v4, v167, v187 :: v_dual_add_f32 v1, v168, v188
	;; [unrolled: 5-line block ×3, first 2 shown]
	v_min3_f32 v91, v4, v1, v42
	v_add_f32_e32 v4, v168, v196
	v_min3_f32 v81, v81, v69, v27
	v_add_f32_e32 v27, v167, v99
	v_add_f32_e32 v69, v171, v99
	;; [unrolled: 1-line block ×3, first 2 shown]
	s_delay_alu instid0(VALU_DEP_3) | instskip(NEXT) | instid1(VALU_DEP_3)
	v_min3_f32 v135, v27, v26, v35
	v_min3_f32 v134, v69, v30, v9
	v_add_f32_e32 v9, v152, v104
	v_dual_add_f32 v26, v160, v104 :: v_dual_add_f32 v27, v159, v103
	s_delay_alu instid0(VALU_DEP_2) | instskip(SKIP_1) | instid1(VALU_DEP_3)
	v_min3_f32 v131, v19, v9, v39
	v_add_f32_e32 v19, v175, v103
	v_min3_f32 v129, v27, v26, v13
	v_add_f32_e32 v13, v176, v104
	v_add_f32_e32 v9, v172, v104
	s_delay_alu instid0(VALU_DEP_2) | instskip(SKIP_2) | instid1(VALU_DEP_2)
	v_min3_f32 v125, v19, v13, v49
	v_add_f32_e32 v13, v164, v109
	v_add_f32_e32 v19, v167, v108
	v_min3_f32 v120, v16, v13, v54
	v_dual_add_f32 v13, v152, v184 :: v_dual_add_f32 v16, v151, v183
	v_min3_f32 v132, v8, v5, v38
	v_dual_add_f32 v5, v168, v104 :: v_dual_add_f32 v8, v167, v103
	v_min3_f32 v119, v19, v17, v21
	s_delay_alu instid0(VALU_DEP_4)
	v_min3_f32 v115, v16, v13, v55
	v_add_f32_e32 v16, v171, v183
	v_min3_f32 v126, v12, v9, v48
	v_dual_add_f32 v9, v160, v109 :: v_dual_add_f32 v12, v159, v108
	v_add_f32_e32 v13, v172, v184
	v_add_f32_e32 v17, v156, v184
	;; [unrolled: 1-line block ×3, first 2 shown]
	s_delay_alu instid0(VALU_DEP_4) | instskip(SKIP_1) | instid1(VALU_DEP_1)
	v_min3_f32 v121, v12, v9, v53
	v_dual_add_f32 v9, v180, v109 :: v_dual_add_f32 v12, v179, v108
	v_min3_f32 v116, v12, v9, v51
	v_add_f32_e32 v12, v167, v183
	v_min3_f32 v127, v8, v5, v45
	v_dual_add_f32 v5, v156, v109 :: v_dual_add_f32 v8, v155, v108
	v_add_f32_e32 v9, v168, v184
	s_delay_alu instid0(VALU_DEP_2) | instskip(SKIP_3) | instid1(VALU_DEP_1)
	v_min3_f32 v122, v8, v5, v52
	v_dual_add_f32 v5, v176, v109 :: v_dual_add_f32 v8, v175, v108
	v_min3_f32 v109, v16, v13, v56
	v_dual_add_f32 v13, v160, v188 :: v_dual_add_f32 v16, v159, v187
	v_min3_f32 v103, v16, v13, v59
	v_add_f32_e32 v16, v179, v187
	v_min3_f32 v110, v12, v9, v47
	v_dual_add_f32 v9, v156, v188 :: v_dual_add_f32 v12, v155, v187
	v_min3_f32 v117, v8, v5, v50
	v_dual_add_f32 v5, v164, v184 :: v_dual_add_f32 v8, v163, v183
	v_add_f32_e32 v13, v180, v188
	s_delay_alu instid0(VALU_DEP_4) | instskip(SKIP_1) | instid1(VALU_DEP_4)
	v_min3_f32 v104, v12, v9, v58
	v_dual_add_f32 v12, v175, v187 :: v_dual_add_f32 v9, v176, v188
	v_min3_f32 v111, v8, v5, v46
	v_dual_add_f32 v5, v152, v188 :: v_dual_add_f32 v8, v151, v187
	v_min3_f32 v98, v16, v13, v61
	v_add_f32_e32 v16, v167, v191
	v_min3_f32 v99, v12, v9, v60
	v_add_f32_e32 v12, v163, v191
	;; [unrolled: 2-line block ×4, first 2 shown]
	v_add_f32_e32 v19, v175, v183
	v_add_f32_e32 v13, v168, v192
	;; [unrolled: 1-line block ×4, first 2 shown]
	s_delay_alu instid0(VALU_DEP_4)
	v_min3_f32 v108, v19, v17, v29
	v_add_f32_e32 v17, v164, v188
	v_add_f32_e32 v19, v163, v187
	v_min3_f32 v93, v16, v13, v68
	v_add_f32_e32 v16, v155, v195
	v_min3_f32 v94, v12, v9, v63
	;; [unrolled: 2-line block ×3, first 2 shown]
	v_add_f32_e32 v17, v152, v192
	v_add_f32_e32 v19, v151, v191
	v_dual_add_f32 v12, v151, v195 :: v_dual_add_f32 v13, v156, v196
	s_delay_alu instid0(VALU_DEP_2) | instskip(SKIP_2) | instid1(VALU_DEP_4)
	v_min3_f32 v97, v19, v17, v37
	v_add_f32_e32 v17, v172, v192
	v_add_f32_e32 v19, v171, v191
	v_min3_f32 v89, v12, v9, v11
	v_min3_f32 v88, v16, v13, v18
	v_add_f32_e32 v9, v171, v195
	v_add_f32_e32 v11, v175, v195
	v_min3_f32 v92, v19, v17, v41
	v_add_f32_e32 v17, v160, v196
	v_dual_add_f32 v19, v159, v195 :: v_dual_add_f32 v12, v180, v196
	v_add_f32_e32 v13, v179, v195
	s_delay_alu instid0(VALU_DEP_2) | instskip(SKIP_4) | instid1(VALU_DEP_4)
	v_min3_f32 v87, v19, v17, v2
	v_add_f32_e32 v2, v163, v195
	v_min3_f32 v100, v8, v5, v43
	v_dual_add_f32 v5, v160, v192 :: v_dual_add_f32 v8, v159, v191
	v_min3_f32 v82, v13, v12, v6
	v_min3_f32 v86, v2, v1, v3
	s_delay_alu instid0(VALU_DEP_3) | instskip(SKIP_1) | instid1(VALU_DEP_1)
	v_min3_f32 v95, v8, v5, v62
	v_dual_add_f32 v5, v180, v192 :: v_dual_add_f32 v8, v179, v191
	v_min3_f32 v90, v8, v5, v10
	v_dual_add_f32 v5, v167, v195 :: v_dual_add_f32 v8, v172, v196
	v_add_f32_e32 v10, v176, v196
	s_delay_alu instid0(VALU_DEP_2) | instskip(NEXT) | instid1(VALU_DEP_3)
	v_min3_f32 v85, v5, v4, v7
	v_min3_f32 v84, v9, v8, v14
	s_delay_alu instid0(VALU_DEP_3)
	v_min3_f32 v83, v11, v10, v15
	s_cbranch_scc1 .LBB6_51
.LBB6_30:                               ; =>This Inner Loop Header: Depth=1
	v_add_nc_u32_e32 v4, s23, v70
	s_delay_alu instid0(VALU_DEP_1) | instskip(NEXT) | instid1(VALU_DEP_1)
	v_add_nc_u32_e32 v2, 8, v4
	v_min_i32_e32 v3, s26, v2
	v_cmp_le_i32_e64 s6, s18, v2
	s_delay_alu instid0(VALU_DEP_2) | instskip(NEXT) | instid1(VALU_DEP_1)
	v_mad_i64_i32 v[0:1], null, v3, s25, 0
	v_lshlrev_b64 v[0:1], 2, v[0:1]
	s_delay_alu instid0(VALU_DEP_1) | instskip(NEXT) | instid1(VALU_DEP_1)
	v_add_co_u32 v0, s7, s20, v0
	v_add_co_ci_u32_e64 v1, s7, s21, v1, s7
	s_or_b32 s7, vcc_lo, s6
	s_delay_alu instid0(SALU_CYCLE_1) | instskip(SKIP_1) | instid1(SALU_CYCLE_1)
	v_cndmask_b32_e64 v105, 0, 0x7f7fffff, s7
	s_or_b32 s7, s14, s7
	s_xor_b32 s7, s7, -1
	s_delay_alu instid0(SALU_CYCLE_1)
	s_and_saveexec_b32 s27, s7
	s_cbranch_execz .LBB6_32
; %bb.31:                               ;   in Loop: Header=BB6_30 Depth=1
	v_add_co_u32 v2, s7, v0, v64
	s_delay_alu instid0(VALU_DEP_1)
	v_add_co_ci_u32_e64 v3, s7, v1, v65, s7
	flat_load_b32 v2, v[2:3]
	s_waitcnt vmcnt(0) lgkmcnt(0)
	v_mul_f32_e32 v105, s24, v2
.LBB6_32:                               ;   in Loop: Header=BB6_30 Depth=1
	s_or_b32 exec_lo, exec_lo, s27
	s_or_b32 s7, s2, s6
	s_delay_alu instid0(SALU_CYCLE_1) | instskip(SKIP_1) | instid1(SALU_CYCLE_1)
	v_cndmask_b32_e64 v113, 0, 0x7f7fffff, s7
	s_or_b32 s7, s14, s7
	s_xor_b32 s7, s7, -1
	s_delay_alu instid0(SALU_CYCLE_1)
	s_and_saveexec_b32 s27, s7
	s_cbranch_execz .LBB6_34
; %bb.33:                               ;   in Loop: Header=BB6_30 Depth=1
	v_add_co_u32 v2, s7, v0, v64
	s_delay_alu instid0(VALU_DEP_1)
	v_add_co_ci_u32_e64 v3, s7, v1, v65, s7
	flat_load_b32 v2, v[2:3] offset:256
	s_waitcnt vmcnt(0) lgkmcnt(0)
	v_mul_f32_e32 v113, s24, v2
.LBB6_34:                               ;   in Loop: Header=BB6_30 Depth=1
	s_or_b32 exec_lo, exec_lo, s27
	s_or_b32 s7, s3, s6
	s_delay_alu instid0(SALU_CYCLE_1) | instskip(SKIP_1) | instid1(SALU_CYCLE_1)
	v_cndmask_b32_e64 v147, 0, 0x7f7fffff, s7
	s_or_b32 s7, s14, s7
	s_xor_b32 s7, s7, -1
	s_delay_alu instid0(SALU_CYCLE_1)
	s_and_saveexec_b32 s27, s7
	s_cbranch_execz .LBB6_36
; %bb.35:                               ;   in Loop: Header=BB6_30 Depth=1
	v_add_co_u32 v2, s7, v0, v64
	s_delay_alu instid0(VALU_DEP_1)
	v_add_co_ci_u32_e64 v3, s7, v1, v65, s7
	flat_load_b32 v2, v[2:3] offset:512
	s_waitcnt vmcnt(0) lgkmcnt(0)
	v_mul_f32_e32 v147, s24, v2
.LBB6_36:                               ;   in Loop: Header=BB6_30 Depth=1
	s_or_b32 exec_lo, exec_lo, s27
	s_or_b32 s6, s4, s6
	s_delay_alu instid0(SALU_CYCLE_1) | instskip(SKIP_1) | instid1(SALU_CYCLE_1)
	v_cndmask_b32_e64 v148, 0, 0x7f7fffff, s6
	s_or_b32 s6, s14, s6
	s_xor_b32 s6, s6, -1
	s_delay_alu instid0(SALU_CYCLE_1)
	s_and_saveexec_b32 s7, s6
	s_cbranch_execz .LBB6_38
; %bb.37:                               ;   in Loop: Header=BB6_30 Depth=1
	v_add_co_u32 v0, s6, v0, v64
	s_delay_alu instid0(VALU_DEP_1)
	v_add_co_ci_u32_e64 v1, s6, v1, v65, s6
	flat_load_b32 v0, v[0:1] offset:768
	s_waitcnt vmcnt(0) lgkmcnt(0)
	v_mul_f32_e32 v148, s24, v0
.LBB6_38:                               ;   in Loop: Header=BB6_30 Depth=1
	s_or_b32 exec_lo, exec_lo, s7
	v_add_nc_u32_e32 v149, s23, v72
	s_delay_alu instid0(VALU_DEP_1) | instskip(NEXT) | instid1(VALU_DEP_1)
	v_add_nc_u32_e32 v0, 8, v149
	v_cmp_le_i32_e64 s6, s18, v0
	s_delay_alu instid0(VALU_DEP_1) | instskip(NEXT) | instid1(SALU_CYCLE_1)
	s_or_b32 s6, s6, s5
	v_cndmask_b32_e64 v150, 0, 0x7f7fffff, s6
	s_or_b32 s6, s14, s6
	s_delay_alu instid0(SALU_CYCLE_1) | instskip(NEXT) | instid1(SALU_CYCLE_1)
	s_xor_b32 s6, s6, -1
	s_and_saveexec_b32 s7, s6
	s_cbranch_execz .LBB6_40
; %bb.39:                               ;   in Loop: Header=BB6_30 Depth=1
	v_add_co_u32 v0, s6, -16, v66
	s_delay_alu instid0(VALU_DEP_1)
	v_add_co_ci_u32_e64 v1, s6, -1, v67, s6
	flat_load_b32 v0, v[0:1]
	s_waitcnt vmcnt(0) lgkmcnt(0)
	v_mul_f32_e32 v150, s24, v0
.LBB6_40:                               ;   in Loop: Header=BB6_30 Depth=1
	s_or_b32 exec_lo, exec_lo, s7
	v_add_nc_u32_e32 v68, 12, v4
	ds_load_b128 v[20:23], v79
	ds_load_b128 v[16:19], v79 offset:512
	ds_load_b128 v[8:11], v79 offset:1024
	;; [unrolled: 1-line block ×7, first 2 shown]
	ds_load_b128 v[60:63], v80
	ds_load_b128 v[56:59], v80 offset:128
	ds_load_b128 v[52:55], v80 offset:256
	;; [unrolled: 1-line block ×3, first 2 shown]
	v_min_i32_e32 v28, s26, v68
	v_cmp_le_i32_e64 s6, s18, v68
	s_delay_alu instid0(VALU_DEP_2)
	v_mad_i64_i32 v[151:152], null, v28, s25, 0
	ds_load_b128 v[44:47], v80 offset:512
	ds_load_b128 v[40:43], v80 offset:640
	;; [unrolled: 1-line block ×4, first 2 shown]
	ds_store_2addr_stride64_b32 v74, v105, v113 offset1:4
	ds_store_2addr_stride64_b32 v74, v147, v148 offset0:8 offset1:12
	ds_store_b32 v75, v150
	s_waitcnt lgkmcnt(0)
	s_barrier
	buffer_gl0_inv
	v_lshlrev_b64 v[151:152], 2, v[151:152]
	s_delay_alu instid0(VALU_DEP_1) | instskip(NEXT) | instid1(VALU_DEP_1)
	v_add_co_u32 v150, s7, s20, v151
	v_add_co_ci_u32_e64 v151, s7, s21, v152, s7
	s_or_b32 s7, vcc_lo, s6
	s_delay_alu instid0(SALU_CYCLE_1) | instskip(SKIP_1) | instid1(SALU_CYCLE_1)
	v_cndmask_b32_e64 v105, 0, 0x7f7fffff, s7
	s_or_b32 s7, s14, s7
	s_xor_b32 s7, s7, -1
	s_delay_alu instid0(SALU_CYCLE_1)
	s_and_saveexec_b32 s27, s7
	s_cbranch_execz .LBB6_42
; %bb.41:                               ;   in Loop: Header=BB6_30 Depth=1
	v_add_co_u32 v147, s7, v150, v64
	s_delay_alu instid0(VALU_DEP_1)
	v_add_co_ci_u32_e64 v148, s7, v151, v65, s7
	flat_load_b32 v68, v[147:148]
	s_waitcnt vmcnt(0) lgkmcnt(0)
	v_mul_f32_e32 v105, s24, v68
.LBB6_42:                               ;   in Loop: Header=BB6_30 Depth=1
	s_or_b32 exec_lo, exec_lo, s27
	s_or_b32 s7, s2, s6
	s_delay_alu instid0(SALU_CYCLE_1) | instskip(SKIP_1) | instid1(SALU_CYCLE_1)
	v_cndmask_b32_e64 v113, 0, 0x7f7fffff, s7
	s_or_b32 s7, s14, s7
	s_xor_b32 s7, s7, -1
	s_delay_alu instid0(SALU_CYCLE_1)
	s_and_saveexec_b32 s27, s7
	s_cbranch_execz .LBB6_44
; %bb.43:                               ;   in Loop: Header=BB6_30 Depth=1
	v_add_co_u32 v147, s7, v150, v64
	s_delay_alu instid0(VALU_DEP_1)
	v_add_co_ci_u32_e64 v148, s7, v151, v65, s7
	flat_load_b32 v68, v[147:148] offset:256
	s_waitcnt vmcnt(0) lgkmcnt(0)
	v_mul_f32_e32 v113, s24, v68
.LBB6_44:                               ;   in Loop: Header=BB6_30 Depth=1
	s_or_b32 exec_lo, exec_lo, s27
	s_or_b32 s7, s3, s6
	s_delay_alu instid0(SALU_CYCLE_1) | instskip(SKIP_1) | instid1(SALU_CYCLE_1)
	v_cndmask_b32_e64 v147, 0, 0x7f7fffff, s7
	s_or_b32 s7, s14, s7
	s_xor_b32 s7, s7, -1
	s_delay_alu instid0(SALU_CYCLE_1)
	s_and_saveexec_b32 s27, s7
	s_cbranch_execz .LBB6_46
; %bb.45:                               ;   in Loop: Header=BB6_30 Depth=1
	v_add_co_u32 v147, s7, v150, v64
	s_delay_alu instid0(VALU_DEP_1)
	v_add_co_ci_u32_e64 v148, s7, v151, v65, s7
	flat_load_b32 v68, v[147:148] offset:512
	s_waitcnt vmcnt(0) lgkmcnt(0)
	v_mul_f32_e32 v147, s24, v68
.LBB6_46:                               ;   in Loop: Header=BB6_30 Depth=1
	;; [unrolled: 17-line block ×3, first 2 shown]
	s_or_b32 exec_lo, exec_lo, s7
	v_dual_add_f32 v68, v21, v61 :: v_dual_add_f32 v69, v20, v60
	v_dual_add_f32 v150, v17, v61 :: v_dual_add_f32 v151, v16, v60
	;; [unrolled: 1-line block ×4, first 2 shown]
	s_delay_alu instid0(VALU_DEP_4) | instskip(NEXT) | instid1(VALU_DEP_4)
	v_min3_f32 v68, v69, v68, v146
	v_min3_f32 v69, v151, v150, v145
	s_delay_alu instid0(VALU_DEP_4)
	v_min3_f32 v144, v153, v152, v144
	v_dual_add_f32 v145, v33, v61 :: v_dual_add_f32 v146, v32, v60
	v_min3_f32 v143, v155, v154, v143
	v_dual_add_f32 v150, v25, v61 :: v_dual_add_f32 v151, v24, v60
	v_dual_add_f32 v152, v13, v61 :: v_dual_add_f32 v153, v12, v60
	v_dual_add_f32 v61, v5, v61 :: v_dual_add_f32 v60, v4, v60
	v_dual_add_f32 v154, v21, v57 :: v_dual_add_f32 v155, v20, v56
	v_min3_f32 v142, v146, v145, v142
	v_min3_f32 v141, v151, v150, v141
	s_delay_alu instid0(VALU_DEP_4)
	v_min3_f32 v60, v60, v61, v140
	v_add_f32_e32 v140, v16, v56
	v_min3_f32 v61, v155, v154, v139
	v_add_f32_e32 v139, v17, v57
	v_dual_add_f32 v145, v9, v57 :: v_dual_add_f32 v146, v8, v56
	v_dual_add_f32 v150, v1, v57 :: v_dual_add_f32 v151, v0, v56
	v_min3_f32 v81, v153, v152, v81
	v_dual_add_f32 v152, v33, v57 :: v_dual_add_f32 v153, v32, v56
	v_dual_add_f32 v154, v25, v57 :: v_dual_add_f32 v155, v24, v56
	v_min3_f32 v138, v140, v139, v138
	v_min3_f32 v137, v146, v145, v137
	;; [unrolled: 1-line block ×3, first 2 shown]
	v_dual_add_f32 v139, v13, v57 :: v_dual_add_f32 v140, v12, v56
	v_dual_add_f32 v57, v5, v57 :: v_dual_add_f32 v56, v4, v56
	;; [unrolled: 1-line block ×4, first 2 shown]
	v_min3_f32 v135, v153, v152, v135
	v_dual_add_f32 v152, v9, v53 :: v_dual_add_f32 v153, v8, v52
	v_min3_f32 v133, v140, v139, v133
	v_min3_f32 v132, v56, v57, v132
	;; [unrolled: 1-line block ×4, first 2 shown]
	v_dual_add_f32 v56, v1, v53 :: v_dual_add_f32 v57, v0, v52
	v_dual_add_f32 v139, v33, v53 :: v_dual_add_f32 v140, v32, v52
	;; [unrolled: 1-line block ×5, first 2 shown]
	v_min3_f32 v128, v57, v56, v128
	v_dual_add_f32 v56, v17, v49 :: v_dual_add_f32 v57, v16, v48
	v_min3_f32 v127, v140, v139, v127
	s_delay_alu instid0(VALU_DEP_4)
	v_min3_f32 v124, v52, v53, v124
	v_dual_add_f32 v52, v21, v49 :: v_dual_add_f32 v53, v20, v48
	v_min3_f32 v126, v146, v145, v126
	v_min3_f32 v125, v151, v150, v125
	v_dual_add_f32 v139, v9, v49 :: v_dual_add_f32 v140, v8, v48
	v_dual_add_f32 v145, v1, v49 :: v_dual_add_f32 v146, v0, v48
	v_dual_add_f32 v150, v33, v49 :: v_dual_add_f32 v151, v32, v48
	v_min3_f32 v123, v53, v52, v123
	v_min3_f32 v122, v57, v56, v122
	v_dual_add_f32 v52, v25, v49 :: v_dual_add_f32 v53, v24, v48
	v_dual_add_f32 v56, v13, v49 :: v_dual_add_f32 v57, v12, v48
	;; [unrolled: 5-line block ×3, first 2 shown]
	v_min3_f32 v116, v48, v49, v116
	v_dual_add_f32 v48, v9, v45 :: v_dual_add_f32 v49, v8, v44
	v_min3_f32 v118, v53, v52, v118
	v_min3_f32 v117, v57, v56, v117
	;; [unrolled: 1-line block ×4, first 2 shown]
	v_dual_add_f32 v52, v1, v45 :: v_dual_add_f32 v53, v0, v44
	v_dual_add_f32 v56, v33, v45 :: v_dual_add_f32 v57, v32, v44
	;; [unrolled: 1-line block ×4, first 2 shown]
	v_min3_f32 v112, v49, v48, v112
	v_dual_add_f32 v45, v5, v45 :: v_dual_add_f32 v44, v4, v44
	v_dual_add_f32 v48, v21, v41 :: v_dual_add_f32 v49, v20, v40
	v_min3_f32 v111, v53, v52, v111
	v_min3_f32 v110, v57, v56, v110
	v_dual_add_f32 v52, v17, v41 :: v_dual_add_f32 v53, v16, v40
	v_dual_add_f32 v56, v9, v41 :: v_dual_add_f32 v57, v8, v40
	v_min3_f32 v107, v44, v45, v107
	;; [unrolled: 4-line block ×3, first 2 shown]
	v_dual_add_f32 v139, v1, v41 :: v_dual_add_f32 v140, v0, v40
	v_min3_f32 v104, v53, v52, v104
	v_min3_f32 v103, v57, v56, v103
	v_dual_add_f32 v52, v13, v41 :: v_dual_add_f32 v53, v12, v40
	v_dual_add_f32 v41, v5, v41 :: v_dual_add_f32 v40, v4, v40
	;; [unrolled: 1-line block ×3, first 2 shown]
	v_min3_f32 v101, v45, v44, v101
	v_min3_f32 v100, v49, v48, v100
	v_dual_add_f32 v44, v17, v37 :: v_dual_add_f32 v45, v16, v36
	v_dual_add_f32 v48, v9, v37 :: v_dual_add_f32 v49, v8, v36
	;; [unrolled: 1-line block ×4, first 2 shown]
	v_min3_f32 v108, v146, v145, v108
	v_min3_f32 v99, v53, v52, v99
	;; [unrolled: 1-line block ×4, first 2 shown]
	v_dual_add_f32 v52, v1, v37 :: v_dual_add_f32 v53, v0, v36
	v_dual_add_f32 v56, v33, v37 :: v_dual_add_f32 v57, v32, v36
	;; [unrolled: 1-line block ×3, first 2 shown]
	v_min3_f32 v96, v45, v44, v96
	v_dual_add_f32 v44, v13, v37 :: v_dual_add_f32 v45, v12, v36
	v_dual_add_f32 v37, v5, v37 :: v_dual_add_f32 v36, v4, v36
	;; [unrolled: 1-line block ×3, first 2 shown]
	v_min3_f32 v145, v16, v17, v88
	v_min3_f32 v146, v8, v9, v87
	v_dual_add_f32 v1, v1, v29 :: v_dual_add_f32 v0, v0, v28
	v_dual_add_f32 v8, v33, v29 :: v_dual_add_f32 v9, v32, v28
	;; [unrolled: 1-line block ×5, first 2 shown]
	v_min3_f32 v129, v153, v152, v129
	v_min3_f32 v119, v151, v150, v119
	;; [unrolled: 1-line block ×9, first 2 shown]
	v_dual_add_f32 v1, v23, v63 :: v_dual_add_f32 v4, v22, v62
	v_dual_add_f32 v5, v19, v63 :: v_dual_add_f32 v8, v18, v62
	;; [unrolled: 1-line block ×5, first 2 shown]
	v_min3_f32 v95, v49, v48, v95
	v_min3_f32 v97, v98, v97, v92
	;; [unrolled: 1-line block ×8, first 2 shown]
	v_dual_add_f32 v5, v27, v63 :: v_dual_add_f32 v8, v26, v62
	v_dual_add_f32 v9, v15, v63 :: v_dual_add_f32 v12, v14, v62
	v_dual_add_f32 v13, v7, v63 :: v_dual_add_f32 v16, v6, v62
	v_dual_add_f32 v17, v23, v59 :: v_dual_add_f32 v20, v22, v58
	v_dual_add_f32 v21, v19, v59 :: v_dual_add_f32 v24, v18, v58
	v_min3_f32 v134, v155, v154, v134
	v_min3_f32 v94, v53, v52, v94
	;; [unrolled: 1-line block ×7, first 2 shown]
	v_dual_add_f32 v9, v11, v59 :: v_dual_add_f32 v12, v10, v58
	v_dual_add_f32 v13, v3, v59 :: v_dual_add_f32 v16, v2, v58
	;; [unrolled: 1-line block ×5, first 2 shown]
	v_min3_f32 v93, v57, v56, v93
	v_min3_f32 v56, v12, v9, v137
	;; [unrolled: 1-line block ×6, first 2 shown]
	v_dual_add_f32 v13, v7, v59 :: v_dual_add_f32 v16, v6, v58
	v_dual_add_f32 v17, v23, v55 :: v_dual_add_f32 v20, v22, v54
	;; [unrolled: 1-line block ×5, first 2 shown]
	v_min3_f32 v139, v36, v37, v90
	v_min3_f32 v58, v16, v13, v132
	;; [unrolled: 1-line block ×6, first 2 shown]
	v_dual_add_f32 v17, v35, v55 :: v_dual_add_f32 v20, v34, v54
	v_dual_add_f32 v21, v27, v55 :: v_dual_add_f32 v24, v26, v54
	v_dual_add_f32 v25, v15, v55 :: v_dual_add_f32 v28, v14, v54
	v_dual_add_f32 v29, v7, v55 :: v_dual_add_f32 v32, v6, v54
	v_dual_add_f32 v33, v23, v51 :: v_dual_add_f32 v36, v22, v50
	v_min3_f32 v54, v20, v17, v127
	v_min3_f32 v55, v24, v21, v126
	v_min3_f32 v62, v28, v25, v125
	v_min3_f32 v17, v32, v29, v124
	v_min3_f32 v20, v36, v33, v123
	v_dual_add_f32 v21, v19, v51 :: v_dual_add_f32 v24, v18, v50
	v_dual_add_f32 v25, v11, v51 :: v_dual_add_f32 v28, v10, v50
	v_dual_add_f32 v29, v3, v51 :: v_dual_add_f32 v32, v2, v50
	v_dual_add_f32 v33, v35, v51 :: v_dual_add_f32 v36, v34, v50
	v_dual_add_f32 v37, v27, v51 :: v_dual_add_f32 v68, v26, v50
	v_min3_f32 v63, v24, v21, v122
	v_min3_f32 v81, v28, v25, v121
	v_min3_f32 v82, v32, v29, v120
	v_min3_f32 v21, v36, v33, v119
	v_min3_f32 v24, v68, v37, v118
	;; [unrolled: 10-line block ×3, first 2 shown]
	v_dual_add_f32 v29, v3, v47 :: v_dual_add_f32 v32, v2, v46
	v_dual_add_f32 v33, v35, v47 :: v_dual_add_f32 v36, v34, v46
	;; [unrolled: 1-line block ×3, first 2 shown]
	v_add_f32_e32 v69, v15, v47
	v_dual_add_f32 v85, v14, v46 :: v_dual_add_f32 v86, v7, v47
	v_dual_add_f32 v87, v6, v46 :: v_dual_add_f32 v88, v3, v43
	v_min3_f32 v46, v32, v29, v111
	v_min3_f32 v47, v36, v33, v110
	v_min3_f32 v84, v68, v37, v109
	s_delay_alu instid0(VALU_DEP_4)
	v_min3_f32 v32, v87, v86, v107
	v_dual_add_f32 v33, v23, v43 :: v_dual_add_f32 v68, v18, v42
	v_add_f32_e32 v36, v22, v42
	v_min3_f32 v29, v85, v69, v108
	v_add_f32_e32 v37, v19, v43
	v_add_f32_e32 v69, v11, v43
	v_dual_add_f32 v87, v10, v42 :: v_dual_add_f32 v90, v35, v43
	v_add_f32_e32 v89, v2, v42
	v_dual_add_f32 v91, v34, v42 :: v_dual_add_f32 v92, v19, v39
	v_min3_f32 v85, v36, v33, v106
	v_min3_f32 v86, v68, v37, v104
	v_add_f32_e32 v37, v27, v43
	s_delay_alu instid0(VALU_DEP_4)
	v_min3_f32 v36, v91, v90, v101
	v_add_f32_e32 v68, v26, v42
	v_add_f32_e32 v90, v23, v39
	v_min3_f32 v33, v89, v88, v102
	v_add_f32_e32 v88, v14, v42
	v_add_f32_e32 v42, v6, v42
	v_min3_f32 v87, v87, v69, v103
	v_add_f32_e32 v69, v15, v43
	v_add_f32_e32 v89, v7, v43
	v_add_f32_e32 v91, v22, v38
	v_add_f32_e32 v101, v18, v38
	v_min3_f32 v43, v68, v37, v100
	v_add_f32_e32 v68, v3, v39
	v_min3_f32 v89, v42, v89, v40
	v_min3_f32 v37, v91, v90, v41
	;; [unrolled: 1-line block ×3, first 2 shown]
	v_add_f32_e32 v92, v35, v39
	v_dual_add_f32 v41, v11, v39 :: v_dual_add_f32 v100, v26, v38
	v_add_f32_e32 v42, v10, v38
	v_min3_f32 v88, v88, v69, v99
	v_add_f32_e32 v69, v2, v38
	v_dual_add_f32 v99, v27, v39 :: v_dual_add_f32 v102, v14, v38
	v_add_f32_e32 v101, v15, v39
	v_dual_add_f32 v39, v7, v39 :: v_dual_add_f32 v22, v22, v30
	v_dual_add_f32 v23, v23, v31 :: v_dual_add_f32 v18, v18, v30
	v_add_f32_e32 v96, v34, v38
	v_min3_f32 v91, v69, v68, v94
	v_add_f32_e32 v19, v19, v31
	v_add_f32_e32 v68, v11, v31
	v_min3_f32 v11, v22, v23, v140
	v_dual_add_f32 v23, v26, v30 :: v_dual_add_nc_u32 v26, 12, v149
	v_min3_f32 v92, v96, v92, v93
	v_add_f32_e32 v3, v3, v31
	v_dual_add_f32 v93, v2, v30 :: v_dual_add_f32 v22, v27, v31
	s_delay_alu instid0(VALU_DEP_4)
	v_cmp_le_i32_e64 s6, s18, v26
	v_add_f32_e32 v38, v6, v38
	v_add_f32_e32 v69, v10, v30
	v_min3_f32 v18, v18, v19, v145
	v_add_f32_e32 v19, v34, v30
	v_add_f32_e32 v15, v15, v31
	;; [unrolled: 1-line block ×4, first 2 shown]
	v_min3_f32 v3, v93, v3, v0
	v_add_f32_e32 v0, v35, v31
	v_add_f32_e32 v31, v7, v31
	s_or_b32 s6, s6, s5
	v_min3_f32 v90, v42, v41, v95
	v_min3_f32 v41, v100, v99, v97
	;; [unrolled: 1-line block ×9, first 2 shown]
	v_cndmask_b32_e64 v0, 0, 0x7f7fffff, s6
	s_or_b32 s6, s14, s6
	s_delay_alu instid0(SALU_CYCLE_1) | instskip(NEXT) | instid1(SALU_CYCLE_1)
	s_xor_b32 s7, s6, -1
	s_and_saveexec_b32 s6, s7
	s_cbranch_execz .LBB6_29
; %bb.49:                               ;   in Loop: Header=BB6_30 Depth=1
	flat_load_b32 v0, v[66:67]
	s_waitcnt vmcnt(0) lgkmcnt(0)
	v_mul_f32_e32 v0, s24, v0
	s_branch .LBB6_29
.LBB6_50:
	s_clause 0x1
	scratch_load_b32 v197, off, off offset:24
	scratch_load_b32 v198, off, off offset:28
.LBB6_51:
	s_clause 0x2
	s_load_b32 s18, s[0:1], 0x58
	s_load_b32 s14, s[0:1], 0x70
	s_load_b64 s[0:1], s[0:1], 0x78
	s_waitcnt vmcnt(0)
	v_add_nc_u32_e32 v113, s19, v198
	ds_load_b128 v[32:35], v73 offset:4096
	ds_load_b128 v[28:31], v73 offset:4608
	ds_load_b128 v[24:27], v73 offset:5120
	ds_load_b128 v[20:23], v73 offset:5632
	ds_load_b128 v[16:19], v73 offset:6144
	ds_load_b128 v[12:15], v73 offset:6656
	ds_load_b128 v[8:11], v73 offset:7168
	ds_load_b128 v[0:3], v73 offset:7680
	ds_load_b128 v[60:63], v71 offset:9216
	ds_load_b128 v[56:59], v71 offset:9344
	ds_load_b128 v[52:55], v71 offset:9472
	ds_load_b128 v[48:51], v71 offset:9600
	ds_load_b128 v[44:47], v71 offset:9728
	ds_load_b128 v[40:43], v71 offset:9856
	ds_load_b128 v[36:39], v71 offset:9984
	ds_load_b128 v[4:7], v71 offset:10112
	v_add_nc_u32_e32 v64, s8, v197
	v_cmp_gt_i32_e64 s8, s17, v113
	v_cndmask_b32_e64 v105, 0, 1, s9
	s_waitcnt lgkmcnt(0)
	v_mad_i64_i32 v[65:66], null, v113, s18, 0
	v_mad_i64_i32 v[69:70], null, v113, s14, 0
	s_lshl_b64 s[0:1], s[0:1], 2
	s_delay_alu instid0(SALU_CYCLE_1) | instskip(SKIP_1) | instid1(VALU_DEP_2)
	s_add_u32 s12, s12, s0
	s_addc_u32 s13, s13, s1
	v_lshlrev_b64 v[65:66], 2, v[65:66]
	v_cmp_gt_i32_e64 s0, s16, v64
	s_delay_alu instid0(VALU_DEP_3) | instskip(NEXT) | instid1(VALU_DEP_2)
	v_lshlrev_b64 v[67:68], 2, v[69:70]
	s_and_b32 s2, s0, s8
	s_delay_alu instid0(VALU_DEP_3) | instskip(NEXT) | instid1(VALU_DEP_4)
	v_add_co_u32 v149, vcc_lo, s10, v65
	v_add_co_ci_u32_e32 v150, vcc_lo, s11, v66, vcc_lo
	s_delay_alu instid0(VALU_DEP_3) | instskip(NEXT) | instid1(VALU_DEP_4)
	v_add_co_u32 v147, vcc_lo, s12, v67
	v_add_co_ci_u32_e32 v148, vcc_lo, s13, v68, vcc_lo
	v_ashrrev_i32_e32 v65, 31, v64
	s_and_saveexec_b32 s1, s2
	s_cbranch_execz .LBB6_56
; %bb.52:
	s_delay_alu instid0(VALU_DEP_1)
	v_lshlrev_b64 v[66:67], 2, v[64:65]
	s_and_not1_b32 vcc_lo, exec_lo, s9
	s_cbranch_vccnz .LBB6_54
; %bb.53:
	s_delay_alu instid0(VALU_DEP_1) | instskip(NEXT) | instid1(VALU_DEP_2)
	v_add_co_u32 v68, vcc_lo, v149, v66
	v_add_co_ci_u32_e32 v69, vcc_lo, v150, v67, vcc_lo
	flat_load_b32 v68, v[68:69]
	s_waitcnt vmcnt(0) lgkmcnt(0)
	v_mul_f32_e32 v68, s15, v68
	s_branch .LBB6_55
.LBB6_54:
	v_mov_b32_e32 v68, 0
.LBB6_55:
	v_dual_add_f32 v69, v33, v61 :: v_dual_add_f32 v70, v32, v60
	v_dual_add_f32 v71, v35, v63 :: v_dual_add_f32 v72, v34, v62
	v_add_co_u32 v66, vcc_lo, v147, v66
	s_delay_alu instid0(VALU_DEP_3) | instskip(SKIP_1) | instid1(VALU_DEP_4)
	v_min3_f32 v69, v70, v69, v146
	v_add_co_ci_u32_e32 v67, vcc_lo, v148, v67, vcc_lo
	v_min_f32_e32 v70, v72, v71
	s_delay_alu instid0(VALU_DEP_1)
	v_min3_f32 v68, v68, v70, v69
	global_store_b32 v[66:67], v68, off
.LBB6_56:
	s_or_b32 exec_lo, exec_lo, s1
	v_add_nc_u32_e32 v66, 32, v64
	s_delay_alu instid0(VALU_DEP_1) | instskip(SKIP_1) | instid1(VALU_DEP_2)
	v_cmp_gt_i32_e64 s1, s16, v66
	v_ashrrev_i32_e32 v67, 31, v66
	s_and_b32 s3, s1, s8
	s_delay_alu instid0(SALU_CYCLE_1)
	s_and_saveexec_b32 s2, s3
	s_cbranch_execz .LBB6_61
; %bb.57:
	v_cmp_ne_u32_e32 vcc_lo, 1, v105
	v_lshlrev_b64 v[68:69], 2, v[66:67]
	s_cbranch_vccnz .LBB6_59
; %bb.58:
	s_delay_alu instid0(VALU_DEP_1) | instskip(NEXT) | instid1(VALU_DEP_2)
	v_add_co_u32 v70, vcc_lo, v149, v68
	v_add_co_ci_u32_e32 v71, vcc_lo, v150, v69, vcc_lo
	flat_load_b32 v70, v[70:71]
	s_waitcnt vmcnt(0) lgkmcnt(0)
	v_mul_f32_e32 v70, s15, v70
	s_branch .LBB6_60
.LBB6_59:
	v_mov_b32_e32 v70, 0
.LBB6_60:
	v_dual_add_f32 v71, v29, v61 :: v_dual_add_f32 v72, v28, v60
	v_dual_add_f32 v73, v31, v63 :: v_dual_add_f32 v74, v30, v62
	s_delay_alu instid0(VALU_DEP_4) | instskip(NEXT) | instid1(VALU_DEP_3)
	v_add_co_u32 v68, vcc_lo, v147, v68
	v_min3_f32 v71, v72, v71, v145
	v_add_co_ci_u32_e32 v69, vcc_lo, v148, v69, vcc_lo
	s_delay_alu instid0(VALU_DEP_4) | instskip(NEXT) | instid1(VALU_DEP_1)
	v_min_f32_e32 v72, v74, v73
	v_min3_f32 v70, v70, v72, v71
	global_store_b32 v[68:69], v70, off
.LBB6_61:
	s_or_b32 exec_lo, exec_lo, s2
	v_add_nc_u32_e32 v68, 64, v64
	s_delay_alu instid0(VALU_DEP_1) | instskip(SKIP_1) | instid1(VALU_DEP_2)
	v_cmp_gt_i32_e64 s2, s16, v68
	v_ashrrev_i32_e32 v69, 31, v68
	s_and_b32 s4, s2, s8
	s_delay_alu instid0(SALU_CYCLE_1)
	s_and_saveexec_b32 s3, s4
	s_cbranch_execz .LBB6_66
; %bb.62:
	v_cmp_ne_u32_e32 vcc_lo, 1, v105
	v_lshlrev_b64 v[70:71], 2, v[68:69]
	s_cbranch_vccnz .LBB6_64
; %bb.63:
	s_delay_alu instid0(VALU_DEP_1) | instskip(NEXT) | instid1(VALU_DEP_2)
	v_add_co_u32 v72, vcc_lo, v149, v70
	v_add_co_ci_u32_e32 v73, vcc_lo, v150, v71, vcc_lo
	flat_load_b32 v72, v[72:73]
	s_waitcnt vmcnt(0) lgkmcnt(0)
	v_mul_f32_e32 v72, s15, v72
	s_branch .LBB6_65
.LBB6_64:
	v_mov_b32_e32 v72, 0
.LBB6_65:
	v_dual_add_f32 v73, v25, v61 :: v_dual_add_f32 v74, v24, v60
	v_dual_add_f32 v75, v27, v63 :: v_dual_add_f32 v76, v26, v62
	s_delay_alu instid0(VALU_DEP_4) | instskip(NEXT) | instid1(VALU_DEP_3)
	v_add_co_u32 v70, vcc_lo, v147, v70
	v_min3_f32 v73, v74, v73, v144
	v_add_co_ci_u32_e32 v71, vcc_lo, v148, v71, vcc_lo
	s_delay_alu instid0(VALU_DEP_4) | instskip(NEXT) | instid1(VALU_DEP_1)
	v_min_f32_e32 v74, v76, v75
	v_min3_f32 v72, v72, v74, v73
	global_store_b32 v[70:71], v72, off
.LBB6_66:
	;; [unrolled: 35-line block ×6, first 2 shown]
	s_or_b32 exec_lo, exec_lo, s7
	v_add_nc_u32_e32 v78, 0xe0, v64
	s_delay_alu instid0(VALU_DEP_1) | instskip(SKIP_1) | instid1(VALU_DEP_2)
	v_cmp_gt_i32_e64 s7, s16, v78
	v_ashrrev_i32_e32 v79, 31, v78
	s_and_b32 s9, s7, s8
	s_delay_alu instid0(SALU_CYCLE_1)
	s_and_saveexec_b32 s8, s9
	s_cbranch_execz .LBB6_91
; %bb.87:
	v_cmp_ne_u32_e32 vcc_lo, 1, v105
	v_lshlrev_b64 v[80:81], 2, v[78:79]
	s_cbranch_vccnz .LBB6_89
; %bb.88:
	s_delay_alu instid0(VALU_DEP_1) | instskip(NEXT) | instid1(VALU_DEP_2)
	v_add_co_u32 v141, vcc_lo, v149, v80
	v_add_co_ci_u32_e32 v142, vcc_lo, v150, v81, vcc_lo
	flat_load_b32 v141, v[141:142]
	s_waitcnt vmcnt(0) lgkmcnt(0)
	v_mul_f32_e32 v141, s15, v141
	s_branch .LBB6_90
.LBB6_89:
	v_mov_b32_e32 v141, 0
.LBB6_90:
	v_dual_add_f32 v61, v1, v61 :: v_dual_add_f32 v60, v0, v60
	v_dual_add_f32 v63, v3, v63 :: v_dual_add_f32 v62, v2, v62
	s_delay_alu instid0(VALU_DEP_2) | instskip(NEXT) | instid1(VALU_DEP_2)
	v_min3_f32 v60, v60, v61, v140
	v_min_f32_e32 v61, v62, v63
	s_delay_alu instid0(VALU_DEP_1)
	v_min3_f32 v62, v141, v61, v60
	v_add_co_u32 v60, vcc_lo, v147, v80
	v_add_co_ci_u32_e32 v61, vcc_lo, v148, v81, vcc_lo
	global_store_b32 v[60:61], v62, off
.LBB6_91:
	s_or_b32 exec_lo, exec_lo, s8
	v_add_nc_u32_e32 v80, 8, v113
	s_delay_alu instid0(VALU_DEP_1) | instskip(SKIP_2) | instid1(VALU_DEP_3)
	v_mad_i64_i32 v[60:61], null, v80, s18, 0
	v_mad_i64_i32 v[62:63], null, v80, s14, 0
	v_cmp_gt_i32_e64 s8, s17, v80
	v_lshlrev_b64 v[60:61], 2, v[60:61]
	s_delay_alu instid0(VALU_DEP_2) | instskip(NEXT) | instid1(VALU_DEP_3)
	s_and_b32 s16, s0, s8
	v_lshlrev_b64 v[62:63], 2, v[62:63]
	s_delay_alu instid0(VALU_DEP_2) | instskip(NEXT) | instid1(VALU_DEP_3)
	v_add_co_u32 v80, vcc_lo, s10, v60
	v_add_co_ci_u32_e32 v81, vcc_lo, s11, v61, vcc_lo
	s_delay_alu instid0(VALU_DEP_3) | instskip(NEXT) | instid1(VALU_DEP_4)
	v_add_co_u32 v62, vcc_lo, s12, v62
	v_add_co_ci_u32_e32 v63, vcc_lo, s13, v63, vcc_lo
	s_and_saveexec_b32 s9, s16
	s_cbranch_execnz .LBB6_99
; %bb.92:
	s_or_b32 exec_lo, exec_lo, s9
	s_and_b32 s16, s1, s8
	s_delay_alu instid0(SALU_CYCLE_1)
	s_and_saveexec_b32 s9, s16
	s_cbranch_execnz .LBB6_103
.LBB6_93:
	s_or_b32 exec_lo, exec_lo, s9
	s_and_b32 s16, s2, s8
	s_delay_alu instid0(SALU_CYCLE_1)
	s_and_saveexec_b32 s9, s16
	s_cbranch_execnz .LBB6_107
.LBB6_94:
	s_or_b32 exec_lo, exec_lo, s9
	s_and_b32 s16, s3, s8
	s_delay_alu instid0(SALU_CYCLE_1)
	s_and_saveexec_b32 s9, s16
	s_cbranch_execnz .LBB6_111
.LBB6_95:
	s_or_b32 exec_lo, exec_lo, s9
	s_and_b32 s16, s4, s8
	s_delay_alu instid0(SALU_CYCLE_1)
	s_and_saveexec_b32 s9, s16
	s_cbranch_execnz .LBB6_115
.LBB6_96:
	s_or_b32 exec_lo, exec_lo, s9
	s_and_b32 s16, s5, s8
	s_delay_alu instid0(SALU_CYCLE_1)
	s_and_saveexec_b32 s9, s16
	s_cbranch_execnz .LBB6_119
.LBB6_97:
	s_or_b32 exec_lo, exec_lo, s9
	s_and_b32 s16, s6, s8
	s_delay_alu instid0(SALU_CYCLE_1)
	s_and_saveexec_b32 s9, s16
	s_cbranch_execnz .LBB6_123
.LBB6_98:
	s_or_b32 exec_lo, exec_lo, s9
	s_and_b32 s9, s7, s8
	s_delay_alu instid0(SALU_CYCLE_1)
	s_and_saveexec_b32 s8, s9
	s_cbranch_execnz .LBB6_127
	s_branch .LBB6_131
.LBB6_99:
	v_cmp_ne_u32_e32 vcc_lo, 1, v105
	v_lshlrev_b64 v[60:61], 2, v[64:65]
	s_cbranch_vccnz .LBB6_101
; %bb.100:
	s_delay_alu instid0(VALU_DEP_1) | instskip(NEXT) | instid1(VALU_DEP_2)
	v_add_co_u32 v140, vcc_lo, v80, v60
	v_add_co_ci_u32_e32 v141, vcc_lo, v81, v61, vcc_lo
	flat_load_b32 v140, v[140:141]
	s_waitcnt vmcnt(0) lgkmcnt(0)
	v_mul_f32_e32 v140, s15, v140
	s_branch .LBB6_102
.LBB6_101:
	v_mov_b32_e32 v140, 0
.LBB6_102:
	v_dual_add_f32 v141, v33, v57 :: v_dual_add_f32 v142, v32, v56
	v_dual_add_f32 v143, v35, v59 :: v_dual_add_f32 v144, v34, v58
	s_delay_alu instid0(VALU_DEP_4) | instskip(NEXT) | instid1(VALU_DEP_3)
	v_add_co_u32 v60, vcc_lo, v62, v60
	v_min3_f32 v139, v142, v141, v139
	v_add_co_ci_u32_e32 v61, vcc_lo, v63, v61, vcc_lo
	s_delay_alu instid0(VALU_DEP_4) | instskip(NEXT) | instid1(VALU_DEP_1)
	v_min_f32_e32 v141, v144, v143
	v_min3_f32 v139, v140, v141, v139
	global_store_b32 v[60:61], v139, off
	s_or_b32 exec_lo, exec_lo, s9
	s_and_b32 s16, s1, s8
	s_delay_alu instid0(SALU_CYCLE_1)
	s_and_saveexec_b32 s9, s16
	s_cbranch_execz .LBB6_93
.LBB6_103:
	v_cmp_ne_u32_e32 vcc_lo, 1, v105
	v_lshlrev_b64 v[60:61], 2, v[66:67]
	s_cbranch_vccnz .LBB6_105
; %bb.104:
	s_delay_alu instid0(VALU_DEP_1) | instskip(NEXT) | instid1(VALU_DEP_2)
	v_add_co_u32 v139, vcc_lo, v80, v60
	v_add_co_ci_u32_e32 v140, vcc_lo, v81, v61, vcc_lo
	flat_load_b32 v139, v[139:140]
	s_waitcnt vmcnt(0) lgkmcnt(0)
	v_mul_f32_e32 v139, s15, v139
	s_branch .LBB6_106
.LBB6_105:
	v_mov_b32_e32 v139, 0
.LBB6_106:
	v_dual_add_f32 v140, v29, v57 :: v_dual_add_f32 v141, v28, v56
	v_dual_add_f32 v142, v31, v59 :: v_dual_add_f32 v143, v30, v58
	s_delay_alu instid0(VALU_DEP_4) | instskip(NEXT) | instid1(VALU_DEP_3)
	v_add_co_u32 v60, vcc_lo, v62, v60
	v_min3_f32 v138, v141, v140, v138
	v_add_co_ci_u32_e32 v61, vcc_lo, v63, v61, vcc_lo
	s_delay_alu instid0(VALU_DEP_4) | instskip(NEXT) | instid1(VALU_DEP_1)
	v_min_f32_e32 v140, v143, v142
	v_min3_f32 v138, v139, v140, v138
	global_store_b32 v[60:61], v138, off
	s_or_b32 exec_lo, exec_lo, s9
	s_and_b32 s16, s2, s8
	s_delay_alu instid0(SALU_CYCLE_1)
	s_and_saveexec_b32 s9, s16
	s_cbranch_execz .LBB6_94
.LBB6_107:
	v_cmp_ne_u32_e32 vcc_lo, 1, v105
	v_lshlrev_b64 v[60:61], 2, v[68:69]
	s_cbranch_vccnz .LBB6_109
; %bb.108:
	s_delay_alu instid0(VALU_DEP_1) | instskip(NEXT) | instid1(VALU_DEP_2)
	v_add_co_u32 v138, vcc_lo, v80, v60
	v_add_co_ci_u32_e32 v139, vcc_lo, v81, v61, vcc_lo
	flat_load_b32 v138, v[138:139]
	s_waitcnt vmcnt(0) lgkmcnt(0)
	v_mul_f32_e32 v138, s15, v138
	s_branch .LBB6_110
.LBB6_109:
	v_mov_b32_e32 v138, 0
.LBB6_110:
	v_dual_add_f32 v139, v25, v57 :: v_dual_add_f32 v140, v24, v56
	v_dual_add_f32 v141, v27, v59 :: v_dual_add_f32 v142, v26, v58
	s_delay_alu instid0(VALU_DEP_4) | instskip(NEXT) | instid1(VALU_DEP_3)
	v_add_co_u32 v60, vcc_lo, v62, v60
	v_min3_f32 v137, v140, v139, v137
	v_add_co_ci_u32_e32 v61, vcc_lo, v63, v61, vcc_lo
	s_delay_alu instid0(VALU_DEP_4) | instskip(NEXT) | instid1(VALU_DEP_1)
	v_min_f32_e32 v139, v142, v141
	v_min3_f32 v137, v138, v139, v137
	global_store_b32 v[60:61], v137, off
	s_or_b32 exec_lo, exec_lo, s9
	s_and_b32 s16, s3, s8
	s_delay_alu instid0(SALU_CYCLE_1)
	s_and_saveexec_b32 s9, s16
	s_cbranch_execz .LBB6_95
.LBB6_111:
	v_cmp_ne_u32_e32 vcc_lo, 1, v105
	v_lshlrev_b64 v[60:61], 2, v[70:71]
	s_cbranch_vccnz .LBB6_113
; %bb.112:
	s_delay_alu instid0(VALU_DEP_1) | instskip(NEXT) | instid1(VALU_DEP_2)
	v_add_co_u32 v137, vcc_lo, v80, v60
	v_add_co_ci_u32_e32 v138, vcc_lo, v81, v61, vcc_lo
	flat_load_b32 v137, v[137:138]
	s_waitcnt vmcnt(0) lgkmcnt(0)
	v_mul_f32_e32 v137, s15, v137
	s_branch .LBB6_114
.LBB6_113:
	v_mov_b32_e32 v137, 0
.LBB6_114:
	v_dual_add_f32 v138, v21, v57 :: v_dual_add_f32 v139, v20, v56
	v_dual_add_f32 v140, v23, v59 :: v_dual_add_f32 v141, v22, v58
	s_delay_alu instid0(VALU_DEP_4) | instskip(NEXT) | instid1(VALU_DEP_3)
	v_add_co_u32 v60, vcc_lo, v62, v60
	v_min3_f32 v136, v139, v138, v136
	v_add_co_ci_u32_e32 v61, vcc_lo, v63, v61, vcc_lo
	s_delay_alu instid0(VALU_DEP_4) | instskip(NEXT) | instid1(VALU_DEP_1)
	v_min_f32_e32 v138, v141, v140
	v_min3_f32 v136, v137, v138, v136
	global_store_b32 v[60:61], v136, off
	s_or_b32 exec_lo, exec_lo, s9
	s_and_b32 s16, s4, s8
	s_delay_alu instid0(SALU_CYCLE_1)
	s_and_saveexec_b32 s9, s16
	s_cbranch_execz .LBB6_96
.LBB6_115:
	v_cmp_ne_u32_e32 vcc_lo, 1, v105
	v_lshlrev_b64 v[60:61], 2, v[72:73]
	s_cbranch_vccnz .LBB6_117
; %bb.116:
	s_delay_alu instid0(VALU_DEP_1) | instskip(NEXT) | instid1(VALU_DEP_2)
	v_add_co_u32 v136, vcc_lo, v80, v60
	v_add_co_ci_u32_e32 v137, vcc_lo, v81, v61, vcc_lo
	flat_load_b32 v136, v[136:137]
	s_waitcnt vmcnt(0) lgkmcnt(0)
	v_mul_f32_e32 v136, s15, v136
	s_branch .LBB6_118
.LBB6_117:
	v_mov_b32_e32 v136, 0
.LBB6_118:
	v_dual_add_f32 v137, v17, v57 :: v_dual_add_f32 v138, v16, v56
	v_dual_add_f32 v139, v19, v59 :: v_dual_add_f32 v140, v18, v58
	s_delay_alu instid0(VALU_DEP_4) | instskip(NEXT) | instid1(VALU_DEP_3)
	v_add_co_u32 v60, vcc_lo, v62, v60
	v_min3_f32 v135, v138, v137, v135
	v_add_co_ci_u32_e32 v61, vcc_lo, v63, v61, vcc_lo
	s_delay_alu instid0(VALU_DEP_4) | instskip(NEXT) | instid1(VALU_DEP_1)
	v_min_f32_e32 v137, v140, v139
	v_min3_f32 v135, v136, v137, v135
	global_store_b32 v[60:61], v135, off
	s_or_b32 exec_lo, exec_lo, s9
	s_and_b32 s16, s5, s8
	s_delay_alu instid0(SALU_CYCLE_1)
	s_and_saveexec_b32 s9, s16
	s_cbranch_execz .LBB6_97
.LBB6_119:
	v_cmp_ne_u32_e32 vcc_lo, 1, v105
	v_lshlrev_b64 v[60:61], 2, v[74:75]
	s_cbranch_vccnz .LBB6_121
; %bb.120:
	s_delay_alu instid0(VALU_DEP_1) | instskip(NEXT) | instid1(VALU_DEP_2)
	v_add_co_u32 v135, vcc_lo, v80, v60
	v_add_co_ci_u32_e32 v136, vcc_lo, v81, v61, vcc_lo
	flat_load_b32 v135, v[135:136]
	s_waitcnt vmcnt(0) lgkmcnt(0)
	v_mul_f32_e32 v135, s15, v135
	s_branch .LBB6_122
.LBB6_121:
	v_mov_b32_e32 v135, 0
.LBB6_122:
	v_dual_add_f32 v136, v13, v57 :: v_dual_add_f32 v137, v12, v56
	v_dual_add_f32 v138, v15, v59 :: v_dual_add_f32 v139, v14, v58
	s_delay_alu instid0(VALU_DEP_4) | instskip(NEXT) | instid1(VALU_DEP_3)
	v_add_co_u32 v60, vcc_lo, v62, v60
	v_min3_f32 v134, v137, v136, v134
	v_add_co_ci_u32_e32 v61, vcc_lo, v63, v61, vcc_lo
	s_delay_alu instid0(VALU_DEP_4) | instskip(NEXT) | instid1(VALU_DEP_1)
	v_min_f32_e32 v136, v139, v138
	v_min3_f32 v134, v135, v136, v134
	global_store_b32 v[60:61], v134, off
	s_or_b32 exec_lo, exec_lo, s9
	s_and_b32 s16, s6, s8
	s_delay_alu instid0(SALU_CYCLE_1)
	s_and_saveexec_b32 s9, s16
	s_cbranch_execz .LBB6_98
.LBB6_123:
	v_cmp_ne_u32_e32 vcc_lo, 1, v105
	v_lshlrev_b64 v[60:61], 2, v[76:77]
	s_cbranch_vccnz .LBB6_125
; %bb.124:
	s_delay_alu instid0(VALU_DEP_1) | instskip(NEXT) | instid1(VALU_DEP_2)
	v_add_co_u32 v134, vcc_lo, v80, v60
	v_add_co_ci_u32_e32 v135, vcc_lo, v81, v61, vcc_lo
	flat_load_b32 v134, v[134:135]
	s_waitcnt vmcnt(0) lgkmcnt(0)
	v_mul_f32_e32 v134, s15, v134
	s_branch .LBB6_126
.LBB6_125:
	v_mov_b32_e32 v134, 0
.LBB6_126:
	v_dual_add_f32 v135, v9, v57 :: v_dual_add_f32 v136, v8, v56
	v_dual_add_f32 v137, v11, v59 :: v_dual_add_f32 v138, v10, v58
	s_delay_alu instid0(VALU_DEP_4) | instskip(NEXT) | instid1(VALU_DEP_3)
	v_add_co_u32 v60, vcc_lo, v62, v60
	v_min3_f32 v133, v136, v135, v133
	v_add_co_ci_u32_e32 v61, vcc_lo, v63, v61, vcc_lo
	s_delay_alu instid0(VALU_DEP_4) | instskip(NEXT) | instid1(VALU_DEP_1)
	v_min_f32_e32 v135, v138, v137
	v_min3_f32 v133, v134, v135, v133
	global_store_b32 v[60:61], v133, off
	s_or_b32 exec_lo, exec_lo, s9
	s_and_b32 s9, s7, s8
	s_delay_alu instid0(SALU_CYCLE_1)
	s_and_saveexec_b32 s8, s9
	s_cbranch_execz .LBB6_131
.LBB6_127:
	v_cmp_ne_u32_e32 vcc_lo, 1, v105
	v_lshlrev_b64 v[60:61], 2, v[78:79]
	s_cbranch_vccnz .LBB6_129
; %bb.128:
	s_delay_alu instid0(VALU_DEP_1) | instskip(NEXT) | instid1(VALU_DEP_2)
	v_add_co_u32 v80, vcc_lo, v80, v60
	v_add_co_ci_u32_e32 v81, vcc_lo, v81, v61, vcc_lo
	flat_load_b32 v80, v[80:81]
	s_waitcnt vmcnt(0) lgkmcnt(0)
	v_mul_f32_e32 v80, s15, v80
	s_branch .LBB6_130
.LBB6_129:
	v_mov_b32_e32 v80, 0
.LBB6_130:
	v_dual_add_f32 v57, v1, v57 :: v_dual_add_f32 v56, v0, v56
	v_dual_add_f32 v59, v3, v59 :: v_dual_add_f32 v58, v2, v58
	s_delay_alu instid0(VALU_DEP_2) | instskip(NEXT) | instid1(VALU_DEP_2)
	v_min3_f32 v56, v56, v57, v132
	v_min_f32_e32 v57, v58, v59
	s_delay_alu instid0(VALU_DEP_1)
	v_min3_f32 v58, v80, v57, v56
	v_add_co_u32 v56, vcc_lo, v62, v60
	v_add_co_ci_u32_e32 v57, vcc_lo, v63, v61, vcc_lo
	global_store_b32 v[56:57], v58, off
.LBB6_131:
	s_or_b32 exec_lo, exec_lo, s8
	v_add_nc_u32_e32 v60, 16, v113
	s_delay_alu instid0(VALU_DEP_1) | instskip(SKIP_2) | instid1(VALU_DEP_3)
	v_mad_i64_i32 v[56:57], null, v60, s18, 0
	v_mad_i64_i32 v[58:59], null, v60, s14, 0
	v_cmp_gt_i32_e64 s8, s17, v60
	v_lshlrev_b64 v[56:57], 2, v[56:57]
	s_delay_alu instid0(VALU_DEP_2) | instskip(NEXT) | instid1(VALU_DEP_3)
	s_and_b32 s16, s0, s8
	v_lshlrev_b64 v[58:59], 2, v[58:59]
	s_delay_alu instid0(VALU_DEP_2) | instskip(NEXT) | instid1(VALU_DEP_3)
	v_add_co_u32 v60, vcc_lo, s10, v56
	v_add_co_ci_u32_e32 v61, vcc_lo, s11, v57, vcc_lo
	s_delay_alu instid0(VALU_DEP_3) | instskip(NEXT) | instid1(VALU_DEP_4)
	v_add_co_u32 v58, vcc_lo, s12, v58
	v_add_co_ci_u32_e32 v59, vcc_lo, s13, v59, vcc_lo
	s_and_saveexec_b32 s9, s16
	s_cbranch_execnz .LBB6_139
; %bb.132:
	s_or_b32 exec_lo, exec_lo, s9
	s_and_b32 s16, s1, s8
	s_delay_alu instid0(SALU_CYCLE_1)
	s_and_saveexec_b32 s9, s16
	s_cbranch_execnz .LBB6_143
.LBB6_133:
	s_or_b32 exec_lo, exec_lo, s9
	s_and_b32 s16, s2, s8
	s_delay_alu instid0(SALU_CYCLE_1)
	s_and_saveexec_b32 s9, s16
	s_cbranch_execnz .LBB6_147
.LBB6_134:
	s_or_b32 exec_lo, exec_lo, s9
	s_and_b32 s16, s3, s8
	s_delay_alu instid0(SALU_CYCLE_1)
	s_and_saveexec_b32 s9, s16
	s_cbranch_execnz .LBB6_151
.LBB6_135:
	s_or_b32 exec_lo, exec_lo, s9
	s_and_b32 s16, s4, s8
	s_delay_alu instid0(SALU_CYCLE_1)
	s_and_saveexec_b32 s9, s16
	s_cbranch_execnz .LBB6_155
.LBB6_136:
	s_or_b32 exec_lo, exec_lo, s9
	s_and_b32 s16, s5, s8
	s_delay_alu instid0(SALU_CYCLE_1)
	s_and_saveexec_b32 s9, s16
	s_cbranch_execnz .LBB6_159
.LBB6_137:
	s_or_b32 exec_lo, exec_lo, s9
	s_and_b32 s16, s6, s8
	s_delay_alu instid0(SALU_CYCLE_1)
	s_and_saveexec_b32 s9, s16
	s_cbranch_execnz .LBB6_163
.LBB6_138:
	s_or_b32 exec_lo, exec_lo, s9
	s_and_b32 s9, s7, s8
	s_delay_alu instid0(SALU_CYCLE_1)
	s_and_saveexec_b32 s8, s9
	s_cbranch_execnz .LBB6_167
	s_branch .LBB6_171
.LBB6_139:
	v_cmp_ne_u32_e32 vcc_lo, 1, v105
	v_lshlrev_b64 v[56:57], 2, v[64:65]
	s_cbranch_vccnz .LBB6_141
; %bb.140:
	s_delay_alu instid0(VALU_DEP_1) | instskip(NEXT) | instid1(VALU_DEP_2)
	v_add_co_u32 v62, vcc_lo, v60, v56
	v_add_co_ci_u32_e32 v63, vcc_lo, v61, v57, vcc_lo
	flat_load_b32 v62, v[62:63]
	s_waitcnt vmcnt(0) lgkmcnt(0)
	v_mul_f32_e32 v62, s15, v62
	s_branch .LBB6_142
.LBB6_141:
	v_mov_b32_e32 v62, 0
.LBB6_142:
	v_dual_add_f32 v63, v33, v53 :: v_dual_add_f32 v80, v32, v52
	v_dual_add_f32 v81, v35, v55 :: v_dual_add_f32 v132, v34, v54
	s_delay_alu instid0(VALU_DEP_4) | instskip(NEXT) | instid1(VALU_DEP_3)
	v_add_co_u32 v56, vcc_lo, v58, v56
	v_min3_f32 v63, v80, v63, v131
	v_add_co_ci_u32_e32 v57, vcc_lo, v59, v57, vcc_lo
	s_delay_alu instid0(VALU_DEP_4) | instskip(NEXT) | instid1(VALU_DEP_1)
	v_min_f32_e32 v80, v132, v81
	v_min3_f32 v62, v62, v80, v63
	global_store_b32 v[56:57], v62, off
	s_or_b32 exec_lo, exec_lo, s9
	s_and_b32 s16, s1, s8
	s_delay_alu instid0(SALU_CYCLE_1)
	s_and_saveexec_b32 s9, s16
	s_cbranch_execz .LBB6_133
.LBB6_143:
	v_cmp_ne_u32_e32 vcc_lo, 1, v105
	v_lshlrev_b64 v[56:57], 2, v[66:67]
	s_cbranch_vccnz .LBB6_145
; %bb.144:
	s_delay_alu instid0(VALU_DEP_1) | instskip(NEXT) | instid1(VALU_DEP_2)
	v_add_co_u32 v62, vcc_lo, v60, v56
	v_add_co_ci_u32_e32 v63, vcc_lo, v61, v57, vcc_lo
	flat_load_b32 v62, v[62:63]
	s_waitcnt vmcnt(0) lgkmcnt(0)
	v_mul_f32_e32 v62, s15, v62
	s_branch .LBB6_146
.LBB6_145:
	v_mov_b32_e32 v62, 0
.LBB6_146:
	v_dual_add_f32 v63, v29, v53 :: v_dual_add_f32 v80, v28, v52
	v_add_f32_e32 v81, v31, v55
	v_add_f32_e32 v131, v30, v54
	v_add_co_u32 v56, vcc_lo, v58, v56
	s_delay_alu instid0(VALU_DEP_4) | instskip(SKIP_1) | instid1(VALU_DEP_4)
	v_min3_f32 v63, v80, v63, v130
	v_add_co_ci_u32_e32 v57, vcc_lo, v59, v57, vcc_lo
	v_min_f32_e32 v80, v131, v81
	s_delay_alu instid0(VALU_DEP_1) | instskip(SKIP_3) | instid1(SALU_CYCLE_1)
	v_min3_f32 v62, v62, v80, v63
	global_store_b32 v[56:57], v62, off
	s_or_b32 exec_lo, exec_lo, s9
	s_and_b32 s16, s2, s8
	s_and_saveexec_b32 s9, s16
	s_cbranch_execz .LBB6_134
.LBB6_147:
	v_cmp_ne_u32_e32 vcc_lo, 1, v105
	v_lshlrev_b64 v[56:57], 2, v[68:69]
	s_cbranch_vccnz .LBB6_149
; %bb.148:
	s_delay_alu instid0(VALU_DEP_1) | instskip(NEXT) | instid1(VALU_DEP_2)
	v_add_co_u32 v62, vcc_lo, v60, v56
	v_add_co_ci_u32_e32 v63, vcc_lo, v61, v57, vcc_lo
	flat_load_b32 v62, v[62:63]
	s_waitcnt vmcnt(0) lgkmcnt(0)
	v_mul_f32_e32 v62, s15, v62
	s_branch .LBB6_150
.LBB6_149:
	v_mov_b32_e32 v62, 0
.LBB6_150:
	v_dual_add_f32 v63, v25, v53 :: v_dual_add_f32 v80, v24, v52
	v_dual_add_f32 v81, v27, v55 :: v_dual_add_f32 v130, v26, v54
	s_delay_alu instid0(VALU_DEP_4) | instskip(NEXT) | instid1(VALU_DEP_3)
	v_add_co_u32 v56, vcc_lo, v58, v56
	v_min3_f32 v63, v80, v63, v129
	v_add_co_ci_u32_e32 v57, vcc_lo, v59, v57, vcc_lo
	s_delay_alu instid0(VALU_DEP_4) | instskip(NEXT) | instid1(VALU_DEP_1)
	v_min_f32_e32 v80, v130, v81
	v_min3_f32 v62, v62, v80, v63
	global_store_b32 v[56:57], v62, off
	s_or_b32 exec_lo, exec_lo, s9
	s_and_b32 s16, s3, s8
	s_delay_alu instid0(SALU_CYCLE_1)
	s_and_saveexec_b32 s9, s16
	s_cbranch_execz .LBB6_135
.LBB6_151:
	v_cmp_ne_u32_e32 vcc_lo, 1, v105
	v_lshlrev_b64 v[56:57], 2, v[70:71]
	s_cbranch_vccnz .LBB6_153
; %bb.152:
	s_delay_alu instid0(VALU_DEP_1) | instskip(NEXT) | instid1(VALU_DEP_2)
	v_add_co_u32 v62, vcc_lo, v60, v56
	v_add_co_ci_u32_e32 v63, vcc_lo, v61, v57, vcc_lo
	flat_load_b32 v62, v[62:63]
	s_waitcnt vmcnt(0) lgkmcnt(0)
	v_mul_f32_e32 v62, s15, v62
	s_branch .LBB6_154
.LBB6_153:
	v_mov_b32_e32 v62, 0
.LBB6_154:
	v_dual_add_f32 v63, v21, v53 :: v_dual_add_f32 v80, v20, v52
	v_add_f32_e32 v81, v23, v55
	v_add_f32_e32 v129, v22, v54
	v_add_co_u32 v56, vcc_lo, v58, v56
	s_delay_alu instid0(VALU_DEP_4) | instskip(SKIP_1) | instid1(VALU_DEP_4)
	v_min3_f32 v63, v80, v63, v128
	v_add_co_ci_u32_e32 v57, vcc_lo, v59, v57, vcc_lo
	v_min_f32_e32 v80, v129, v81
	s_delay_alu instid0(VALU_DEP_1) | instskip(SKIP_3) | instid1(SALU_CYCLE_1)
	v_min3_f32 v62, v62, v80, v63
	global_store_b32 v[56:57], v62, off
	s_or_b32 exec_lo, exec_lo, s9
	s_and_b32 s16, s4, s8
	s_and_saveexec_b32 s9, s16
	s_cbranch_execz .LBB6_136
.LBB6_155:
	v_cmp_ne_u32_e32 vcc_lo, 1, v105
	v_lshlrev_b64 v[56:57], 2, v[72:73]
	s_cbranch_vccnz .LBB6_157
; %bb.156:
	s_delay_alu instid0(VALU_DEP_1) | instskip(NEXT) | instid1(VALU_DEP_2)
	v_add_co_u32 v62, vcc_lo, v60, v56
	v_add_co_ci_u32_e32 v63, vcc_lo, v61, v57, vcc_lo
	flat_load_b32 v62, v[62:63]
	s_waitcnt vmcnt(0) lgkmcnt(0)
	v_mul_f32_e32 v62, s15, v62
	s_branch .LBB6_158
.LBB6_157:
	v_mov_b32_e32 v62, 0
.LBB6_158:
	v_dual_add_f32 v63, v17, v53 :: v_dual_add_f32 v80, v16, v52
	v_dual_add_f32 v81, v19, v55 :: v_dual_add_f32 v128, v18, v54
	s_delay_alu instid0(VALU_DEP_4) | instskip(NEXT) | instid1(VALU_DEP_3)
	v_add_co_u32 v56, vcc_lo, v58, v56
	v_min3_f32 v63, v80, v63, v127
	v_add_co_ci_u32_e32 v57, vcc_lo, v59, v57, vcc_lo
	s_delay_alu instid0(VALU_DEP_4) | instskip(NEXT) | instid1(VALU_DEP_1)
	v_min_f32_e32 v80, v128, v81
	v_min3_f32 v62, v62, v80, v63
	global_store_b32 v[56:57], v62, off
	s_or_b32 exec_lo, exec_lo, s9
	s_and_b32 s16, s5, s8
	s_delay_alu instid0(SALU_CYCLE_1)
	s_and_saveexec_b32 s9, s16
	s_cbranch_execz .LBB6_137
.LBB6_159:
	v_cmp_ne_u32_e32 vcc_lo, 1, v105
	v_lshlrev_b64 v[56:57], 2, v[74:75]
	s_cbranch_vccnz .LBB6_161
; %bb.160:
	s_delay_alu instid0(VALU_DEP_1) | instskip(NEXT) | instid1(VALU_DEP_2)
	v_add_co_u32 v62, vcc_lo, v60, v56
	v_add_co_ci_u32_e32 v63, vcc_lo, v61, v57, vcc_lo
	flat_load_b32 v62, v[62:63]
	s_waitcnt vmcnt(0) lgkmcnt(0)
	v_mul_f32_e32 v62, s15, v62
	s_branch .LBB6_162
.LBB6_161:
	v_mov_b32_e32 v62, 0
.LBB6_162:
	v_dual_add_f32 v63, v13, v53 :: v_dual_add_f32 v80, v12, v52
	v_add_f32_e32 v81, v15, v55
	v_add_f32_e32 v127, v14, v54
	v_add_co_u32 v56, vcc_lo, v58, v56
	s_delay_alu instid0(VALU_DEP_4) | instskip(SKIP_1) | instid1(VALU_DEP_4)
	v_min3_f32 v63, v80, v63, v126
	v_add_co_ci_u32_e32 v57, vcc_lo, v59, v57, vcc_lo
	v_min_f32_e32 v80, v127, v81
	s_delay_alu instid0(VALU_DEP_1) | instskip(SKIP_3) | instid1(SALU_CYCLE_1)
	v_min3_f32 v62, v62, v80, v63
	global_store_b32 v[56:57], v62, off
	s_or_b32 exec_lo, exec_lo, s9
	s_and_b32 s16, s6, s8
	s_and_saveexec_b32 s9, s16
	s_cbranch_execz .LBB6_138
.LBB6_163:
	v_cmp_ne_u32_e32 vcc_lo, 1, v105
	v_lshlrev_b64 v[56:57], 2, v[76:77]
	s_cbranch_vccnz .LBB6_165
; %bb.164:
	s_delay_alu instid0(VALU_DEP_1) | instskip(NEXT) | instid1(VALU_DEP_2)
	v_add_co_u32 v62, vcc_lo, v60, v56
	v_add_co_ci_u32_e32 v63, vcc_lo, v61, v57, vcc_lo
	flat_load_b32 v62, v[62:63]
	s_waitcnt vmcnt(0) lgkmcnt(0)
	v_mul_f32_e32 v62, s15, v62
	s_branch .LBB6_166
.LBB6_165:
	v_mov_b32_e32 v62, 0
.LBB6_166:
	v_dual_add_f32 v63, v9, v53 :: v_dual_add_f32 v80, v8, v52
	v_dual_add_f32 v81, v11, v55 :: v_dual_add_f32 v126, v10, v54
	s_delay_alu instid0(VALU_DEP_4) | instskip(NEXT) | instid1(VALU_DEP_3)
	v_add_co_u32 v56, vcc_lo, v58, v56
	v_min3_f32 v63, v80, v63, v125
	v_add_co_ci_u32_e32 v57, vcc_lo, v59, v57, vcc_lo
	s_delay_alu instid0(VALU_DEP_4) | instskip(NEXT) | instid1(VALU_DEP_1)
	v_min_f32_e32 v80, v126, v81
	v_min3_f32 v62, v62, v80, v63
	global_store_b32 v[56:57], v62, off
	s_or_b32 exec_lo, exec_lo, s9
	s_and_b32 s9, s7, s8
	s_delay_alu instid0(SALU_CYCLE_1)
	s_and_saveexec_b32 s8, s9
	s_cbranch_execz .LBB6_171
.LBB6_167:
	v_cmp_ne_u32_e32 vcc_lo, 1, v105
	v_lshlrev_b64 v[56:57], 2, v[78:79]
	s_cbranch_vccnz .LBB6_169
; %bb.168:
	s_delay_alu instid0(VALU_DEP_1) | instskip(NEXT) | instid1(VALU_DEP_2)
	v_add_co_u32 v60, vcc_lo, v60, v56
	v_add_co_ci_u32_e32 v61, vcc_lo, v61, v57, vcc_lo
	flat_load_b32 v60, v[60:61]
	s_waitcnt vmcnt(0) lgkmcnt(0)
	v_mul_f32_e32 v60, s15, v60
	s_branch .LBB6_170
.LBB6_169:
	v_mov_b32_e32 v60, 0
.LBB6_170:
	v_dual_add_f32 v53, v1, v53 :: v_dual_add_f32 v52, v0, v52
	v_dual_add_f32 v55, v3, v55 :: v_dual_add_f32 v54, v2, v54
	s_delay_alu instid0(VALU_DEP_2) | instskip(NEXT) | instid1(VALU_DEP_2)
	v_min3_f32 v52, v52, v53, v124
	v_min_f32_e32 v53, v54, v55
	s_delay_alu instid0(VALU_DEP_1)
	v_min3_f32 v54, v60, v53, v52
	v_add_co_u32 v52, vcc_lo, v58, v56
	v_add_co_ci_u32_e32 v53, vcc_lo, v59, v57, vcc_lo
	global_store_b32 v[52:53], v54, off
.LBB6_171:
	s_or_b32 exec_lo, exec_lo, s8
	v_add_nc_u32_e32 v56, 24, v113
	s_delay_alu instid0(VALU_DEP_1) | instskip(SKIP_2) | instid1(VALU_DEP_3)
	v_mad_i64_i32 v[52:53], null, v56, s18, 0
	v_mad_i64_i32 v[54:55], null, v56, s14, 0
	v_cmp_gt_i32_e64 s8, s17, v56
	v_lshlrev_b64 v[52:53], 2, v[52:53]
	s_delay_alu instid0(VALU_DEP_2) | instskip(NEXT) | instid1(VALU_DEP_3)
	s_and_b32 s16, s0, s8
	v_lshlrev_b64 v[54:55], 2, v[54:55]
	s_delay_alu instid0(VALU_DEP_2) | instskip(NEXT) | instid1(VALU_DEP_3)
	v_add_co_u32 v56, vcc_lo, s10, v52
	v_add_co_ci_u32_e32 v57, vcc_lo, s11, v53, vcc_lo
	s_delay_alu instid0(VALU_DEP_3) | instskip(NEXT) | instid1(VALU_DEP_4)
	v_add_co_u32 v54, vcc_lo, s12, v54
	v_add_co_ci_u32_e32 v55, vcc_lo, s13, v55, vcc_lo
	s_and_saveexec_b32 s9, s16
	s_cbranch_execnz .LBB6_179
; %bb.172:
	s_or_b32 exec_lo, exec_lo, s9
	s_and_b32 s16, s1, s8
	s_delay_alu instid0(SALU_CYCLE_1)
	s_and_saveexec_b32 s9, s16
	s_cbranch_execnz .LBB6_183
.LBB6_173:
	s_or_b32 exec_lo, exec_lo, s9
	s_and_b32 s16, s2, s8
	s_delay_alu instid0(SALU_CYCLE_1)
	s_and_saveexec_b32 s9, s16
	s_cbranch_execnz .LBB6_187
.LBB6_174:
	s_or_b32 exec_lo, exec_lo, s9
	s_and_b32 s16, s3, s8
	s_delay_alu instid0(SALU_CYCLE_1)
	s_and_saveexec_b32 s9, s16
	s_cbranch_execnz .LBB6_191
.LBB6_175:
	s_or_b32 exec_lo, exec_lo, s9
	s_and_b32 s16, s4, s8
	s_delay_alu instid0(SALU_CYCLE_1)
	s_and_saveexec_b32 s9, s16
	s_cbranch_execnz .LBB6_195
.LBB6_176:
	s_or_b32 exec_lo, exec_lo, s9
	s_and_b32 s16, s5, s8
	s_delay_alu instid0(SALU_CYCLE_1)
	s_and_saveexec_b32 s9, s16
	s_cbranch_execnz .LBB6_199
.LBB6_177:
	s_or_b32 exec_lo, exec_lo, s9
	s_and_b32 s16, s6, s8
	s_delay_alu instid0(SALU_CYCLE_1)
	s_and_saveexec_b32 s9, s16
	s_cbranch_execnz .LBB6_203
.LBB6_178:
	s_or_b32 exec_lo, exec_lo, s9
	s_and_b32 s9, s7, s8
	s_delay_alu instid0(SALU_CYCLE_1)
	s_and_saveexec_b32 s8, s9
	s_cbranch_execnz .LBB6_207
	s_branch .LBB6_211
.LBB6_179:
	v_cmp_ne_u32_e32 vcc_lo, 1, v105
	v_lshlrev_b64 v[52:53], 2, v[64:65]
	s_cbranch_vccnz .LBB6_181
; %bb.180:
	s_delay_alu instid0(VALU_DEP_1) | instskip(NEXT) | instid1(VALU_DEP_2)
	v_add_co_u32 v58, vcc_lo, v56, v52
	v_add_co_ci_u32_e32 v59, vcc_lo, v57, v53, vcc_lo
	flat_load_b32 v58, v[58:59]
	s_waitcnt vmcnt(0) lgkmcnt(0)
	v_mul_f32_e32 v58, s15, v58
	s_branch .LBB6_182
.LBB6_181:
	v_mov_b32_e32 v58, 0
.LBB6_182:
	v_dual_add_f32 v59, v33, v49 :: v_dual_add_f32 v60, v32, v48
	v_dual_add_f32 v61, v35, v51 :: v_dual_add_f32 v62, v34, v50
	s_delay_alu instid0(VALU_DEP_4) | instskip(NEXT) | instid1(VALU_DEP_3)
	v_add_co_u32 v52, vcc_lo, v54, v52
	v_min3_f32 v59, v60, v59, v123
	v_add_co_ci_u32_e32 v53, vcc_lo, v55, v53, vcc_lo
	s_delay_alu instid0(VALU_DEP_4) | instskip(NEXT) | instid1(VALU_DEP_1)
	v_min_f32_e32 v60, v62, v61
	v_min3_f32 v58, v58, v60, v59
	global_store_b32 v[52:53], v58, off
	s_or_b32 exec_lo, exec_lo, s9
	s_and_b32 s16, s1, s8
	s_delay_alu instid0(SALU_CYCLE_1)
	s_and_saveexec_b32 s9, s16
	s_cbranch_execz .LBB6_173
.LBB6_183:
	v_cmp_ne_u32_e32 vcc_lo, 1, v105
	v_lshlrev_b64 v[52:53], 2, v[66:67]
	s_cbranch_vccnz .LBB6_185
; %bb.184:
	s_delay_alu instid0(VALU_DEP_1) | instskip(NEXT) | instid1(VALU_DEP_2)
	v_add_co_u32 v58, vcc_lo, v56, v52
	v_add_co_ci_u32_e32 v59, vcc_lo, v57, v53, vcc_lo
	flat_load_b32 v58, v[58:59]
	s_waitcnt vmcnt(0) lgkmcnt(0)
	v_mul_f32_e32 v58, s15, v58
	s_branch .LBB6_186
.LBB6_185:
	v_mov_b32_e32 v58, 0
.LBB6_186:
	v_dual_add_f32 v59, v29, v49 :: v_dual_add_f32 v60, v28, v48
	v_dual_add_f32 v61, v31, v51 :: v_dual_add_f32 v62, v30, v50
	s_delay_alu instid0(VALU_DEP_4) | instskip(NEXT) | instid1(VALU_DEP_3)
	v_add_co_u32 v52, vcc_lo, v54, v52
	v_min3_f32 v59, v60, v59, v122
	v_add_co_ci_u32_e32 v53, vcc_lo, v55, v53, vcc_lo
	s_delay_alu instid0(VALU_DEP_4) | instskip(NEXT) | instid1(VALU_DEP_1)
	v_min_f32_e32 v60, v62, v61
	v_min3_f32 v58, v58, v60, v59
	global_store_b32 v[52:53], v58, off
	s_or_b32 exec_lo, exec_lo, s9
	s_and_b32 s16, s2, s8
	s_delay_alu instid0(SALU_CYCLE_1)
	s_and_saveexec_b32 s9, s16
	s_cbranch_execz .LBB6_174
.LBB6_187:
	v_cmp_ne_u32_e32 vcc_lo, 1, v105
	v_lshlrev_b64 v[52:53], 2, v[68:69]
	s_cbranch_vccnz .LBB6_189
; %bb.188:
	s_delay_alu instid0(VALU_DEP_1) | instskip(NEXT) | instid1(VALU_DEP_2)
	v_add_co_u32 v58, vcc_lo, v56, v52
	v_add_co_ci_u32_e32 v59, vcc_lo, v57, v53, vcc_lo
	flat_load_b32 v58, v[58:59]
	s_waitcnt vmcnt(0) lgkmcnt(0)
	v_mul_f32_e32 v58, s15, v58
	s_branch .LBB6_190
.LBB6_189:
	v_mov_b32_e32 v58, 0
.LBB6_190:
	v_dual_add_f32 v59, v25, v49 :: v_dual_add_f32 v60, v24, v48
	v_dual_add_f32 v61, v27, v51 :: v_dual_add_f32 v62, v26, v50
	s_delay_alu instid0(VALU_DEP_4) | instskip(NEXT) | instid1(VALU_DEP_3)
	v_add_co_u32 v52, vcc_lo, v54, v52
	v_min3_f32 v59, v60, v59, v121
	v_add_co_ci_u32_e32 v53, vcc_lo, v55, v53, vcc_lo
	s_delay_alu instid0(VALU_DEP_4) | instskip(NEXT) | instid1(VALU_DEP_1)
	v_min_f32_e32 v60, v62, v61
	v_min3_f32 v58, v58, v60, v59
	global_store_b32 v[52:53], v58, off
	s_or_b32 exec_lo, exec_lo, s9
	s_and_b32 s16, s3, s8
	s_delay_alu instid0(SALU_CYCLE_1)
	s_and_saveexec_b32 s9, s16
	s_cbranch_execz .LBB6_175
.LBB6_191:
	v_cmp_ne_u32_e32 vcc_lo, 1, v105
	v_lshlrev_b64 v[52:53], 2, v[70:71]
	s_cbranch_vccnz .LBB6_193
; %bb.192:
	s_delay_alu instid0(VALU_DEP_1) | instskip(NEXT) | instid1(VALU_DEP_2)
	v_add_co_u32 v58, vcc_lo, v56, v52
	v_add_co_ci_u32_e32 v59, vcc_lo, v57, v53, vcc_lo
	flat_load_b32 v58, v[58:59]
	s_waitcnt vmcnt(0) lgkmcnt(0)
	v_mul_f32_e32 v58, s15, v58
	s_branch .LBB6_194
.LBB6_193:
	v_mov_b32_e32 v58, 0
.LBB6_194:
	v_dual_add_f32 v59, v21, v49 :: v_dual_add_f32 v60, v20, v48
	v_dual_add_f32 v61, v23, v51 :: v_dual_add_f32 v62, v22, v50
	s_delay_alu instid0(VALU_DEP_4) | instskip(NEXT) | instid1(VALU_DEP_3)
	v_add_co_u32 v52, vcc_lo, v54, v52
	v_min3_f32 v59, v60, v59, v120
	v_add_co_ci_u32_e32 v53, vcc_lo, v55, v53, vcc_lo
	s_delay_alu instid0(VALU_DEP_4) | instskip(NEXT) | instid1(VALU_DEP_1)
	v_min_f32_e32 v60, v62, v61
	v_min3_f32 v58, v58, v60, v59
	global_store_b32 v[52:53], v58, off
	s_or_b32 exec_lo, exec_lo, s9
	s_and_b32 s16, s4, s8
	s_delay_alu instid0(SALU_CYCLE_1)
	s_and_saveexec_b32 s9, s16
	s_cbranch_execz .LBB6_176
.LBB6_195:
	v_cmp_ne_u32_e32 vcc_lo, 1, v105
	v_lshlrev_b64 v[52:53], 2, v[72:73]
	s_cbranch_vccnz .LBB6_197
; %bb.196:
	s_delay_alu instid0(VALU_DEP_1) | instskip(NEXT) | instid1(VALU_DEP_2)
	v_add_co_u32 v58, vcc_lo, v56, v52
	v_add_co_ci_u32_e32 v59, vcc_lo, v57, v53, vcc_lo
	flat_load_b32 v58, v[58:59]
	s_waitcnt vmcnt(0) lgkmcnt(0)
	v_mul_f32_e32 v58, s15, v58
	s_branch .LBB6_198
.LBB6_197:
	v_mov_b32_e32 v58, 0
.LBB6_198:
	v_dual_add_f32 v59, v17, v49 :: v_dual_add_f32 v60, v16, v48
	v_dual_add_f32 v61, v19, v51 :: v_dual_add_f32 v62, v18, v50
	s_delay_alu instid0(VALU_DEP_4) | instskip(NEXT) | instid1(VALU_DEP_3)
	v_add_co_u32 v52, vcc_lo, v54, v52
	v_min3_f32 v59, v60, v59, v119
	v_add_co_ci_u32_e32 v53, vcc_lo, v55, v53, vcc_lo
	s_delay_alu instid0(VALU_DEP_4) | instskip(NEXT) | instid1(VALU_DEP_1)
	v_min_f32_e32 v60, v62, v61
	v_min3_f32 v58, v58, v60, v59
	global_store_b32 v[52:53], v58, off
	s_or_b32 exec_lo, exec_lo, s9
	s_and_b32 s16, s5, s8
	s_delay_alu instid0(SALU_CYCLE_1)
	s_and_saveexec_b32 s9, s16
	s_cbranch_execz .LBB6_177
.LBB6_199:
	v_cmp_ne_u32_e32 vcc_lo, 1, v105
	v_lshlrev_b64 v[52:53], 2, v[74:75]
	s_cbranch_vccnz .LBB6_201
; %bb.200:
	s_delay_alu instid0(VALU_DEP_1) | instskip(NEXT) | instid1(VALU_DEP_2)
	v_add_co_u32 v58, vcc_lo, v56, v52
	v_add_co_ci_u32_e32 v59, vcc_lo, v57, v53, vcc_lo
	flat_load_b32 v58, v[58:59]
	s_waitcnt vmcnt(0) lgkmcnt(0)
	v_mul_f32_e32 v58, s15, v58
	s_branch .LBB6_202
.LBB6_201:
	v_mov_b32_e32 v58, 0
.LBB6_202:
	v_dual_add_f32 v59, v13, v49 :: v_dual_add_f32 v60, v12, v48
	v_dual_add_f32 v61, v15, v51 :: v_dual_add_f32 v62, v14, v50
	s_delay_alu instid0(VALU_DEP_4) | instskip(NEXT) | instid1(VALU_DEP_3)
	v_add_co_u32 v52, vcc_lo, v54, v52
	v_min3_f32 v59, v60, v59, v118
	v_add_co_ci_u32_e32 v53, vcc_lo, v55, v53, vcc_lo
	s_delay_alu instid0(VALU_DEP_4) | instskip(NEXT) | instid1(VALU_DEP_1)
	v_min_f32_e32 v60, v62, v61
	v_min3_f32 v58, v58, v60, v59
	global_store_b32 v[52:53], v58, off
	s_or_b32 exec_lo, exec_lo, s9
	s_and_b32 s16, s6, s8
	s_delay_alu instid0(SALU_CYCLE_1)
	s_and_saveexec_b32 s9, s16
	s_cbranch_execz .LBB6_178
.LBB6_203:
	v_cmp_ne_u32_e32 vcc_lo, 1, v105
	v_lshlrev_b64 v[52:53], 2, v[76:77]
	s_cbranch_vccnz .LBB6_205
; %bb.204:
	s_delay_alu instid0(VALU_DEP_1) | instskip(NEXT) | instid1(VALU_DEP_2)
	v_add_co_u32 v58, vcc_lo, v56, v52
	v_add_co_ci_u32_e32 v59, vcc_lo, v57, v53, vcc_lo
	flat_load_b32 v58, v[58:59]
	s_waitcnt vmcnt(0) lgkmcnt(0)
	v_mul_f32_e32 v58, s15, v58
	s_branch .LBB6_206
.LBB6_205:
	v_mov_b32_e32 v58, 0
.LBB6_206:
	v_dual_add_f32 v59, v9, v49 :: v_dual_add_f32 v60, v8, v48
	v_dual_add_f32 v61, v11, v51 :: v_dual_add_f32 v62, v10, v50
	s_delay_alu instid0(VALU_DEP_4) | instskip(NEXT) | instid1(VALU_DEP_3)
	v_add_co_u32 v52, vcc_lo, v54, v52
	v_min3_f32 v59, v60, v59, v117
	v_add_co_ci_u32_e32 v53, vcc_lo, v55, v53, vcc_lo
	s_delay_alu instid0(VALU_DEP_4) | instskip(NEXT) | instid1(VALU_DEP_1)
	v_min_f32_e32 v60, v62, v61
	v_min3_f32 v58, v58, v60, v59
	global_store_b32 v[52:53], v58, off
	s_or_b32 exec_lo, exec_lo, s9
	s_and_b32 s9, s7, s8
	s_delay_alu instid0(SALU_CYCLE_1)
	s_and_saveexec_b32 s8, s9
	s_cbranch_execz .LBB6_211
.LBB6_207:
	v_cmp_ne_u32_e32 vcc_lo, 1, v105
	v_lshlrev_b64 v[52:53], 2, v[78:79]
	s_cbranch_vccnz .LBB6_209
; %bb.208:
	s_delay_alu instid0(VALU_DEP_1) | instskip(NEXT) | instid1(VALU_DEP_2)
	v_add_co_u32 v56, vcc_lo, v56, v52
	v_add_co_ci_u32_e32 v57, vcc_lo, v57, v53, vcc_lo
	flat_load_b32 v56, v[56:57]
	s_waitcnt vmcnt(0) lgkmcnt(0)
	v_mul_f32_e32 v56, s15, v56
	s_branch .LBB6_210
.LBB6_209:
	v_mov_b32_e32 v56, 0
.LBB6_210:
	v_dual_add_f32 v49, v1, v49 :: v_dual_add_f32 v48, v0, v48
	v_dual_add_f32 v51, v3, v51 :: v_dual_add_f32 v50, v2, v50
	s_delay_alu instid0(VALU_DEP_2) | instskip(NEXT) | instid1(VALU_DEP_2)
	v_min3_f32 v48, v48, v49, v116
	v_min_f32_e32 v49, v50, v51
	s_delay_alu instid0(VALU_DEP_1)
	v_min3_f32 v50, v56, v49, v48
	v_add_co_u32 v48, vcc_lo, v54, v52
	v_add_co_ci_u32_e32 v49, vcc_lo, v55, v53, vcc_lo
	global_store_b32 v[48:49], v50, off
.LBB6_211:
	s_or_b32 exec_lo, exec_lo, s8
	v_add_nc_u32_e32 v52, 32, v113
	s_delay_alu instid0(VALU_DEP_1) | instskip(SKIP_2) | instid1(VALU_DEP_3)
	v_mad_i64_i32 v[48:49], null, v52, s18, 0
	v_mad_i64_i32 v[50:51], null, v52, s14, 0
	v_cmp_gt_i32_e64 s8, s17, v52
	v_lshlrev_b64 v[48:49], 2, v[48:49]
	s_delay_alu instid0(VALU_DEP_2) | instskip(NEXT) | instid1(VALU_DEP_3)
	s_and_b32 s16, s0, s8
	v_lshlrev_b64 v[50:51], 2, v[50:51]
	s_delay_alu instid0(VALU_DEP_2) | instskip(NEXT) | instid1(VALU_DEP_3)
	v_add_co_u32 v52, vcc_lo, s10, v48
	v_add_co_ci_u32_e32 v53, vcc_lo, s11, v49, vcc_lo
	s_delay_alu instid0(VALU_DEP_3) | instskip(NEXT) | instid1(VALU_DEP_4)
	v_add_co_u32 v50, vcc_lo, s12, v50
	v_add_co_ci_u32_e32 v51, vcc_lo, s13, v51, vcc_lo
	s_and_saveexec_b32 s9, s16
	s_cbranch_execnz .LBB6_219
; %bb.212:
	s_or_b32 exec_lo, exec_lo, s9
	s_and_b32 s16, s1, s8
	s_delay_alu instid0(SALU_CYCLE_1)
	s_and_saveexec_b32 s9, s16
	s_cbranch_execnz .LBB6_223
.LBB6_213:
	s_or_b32 exec_lo, exec_lo, s9
	s_and_b32 s16, s2, s8
	s_delay_alu instid0(SALU_CYCLE_1)
	s_and_saveexec_b32 s9, s16
	s_cbranch_execnz .LBB6_227
.LBB6_214:
	s_or_b32 exec_lo, exec_lo, s9
	s_and_b32 s16, s3, s8
	s_delay_alu instid0(SALU_CYCLE_1)
	s_and_saveexec_b32 s9, s16
	s_cbranch_execnz .LBB6_231
.LBB6_215:
	s_or_b32 exec_lo, exec_lo, s9
	s_and_b32 s16, s4, s8
	s_delay_alu instid0(SALU_CYCLE_1)
	s_and_saveexec_b32 s9, s16
	s_cbranch_execnz .LBB6_235
.LBB6_216:
	s_or_b32 exec_lo, exec_lo, s9
	s_and_b32 s16, s5, s8
	s_delay_alu instid0(SALU_CYCLE_1)
	s_and_saveexec_b32 s9, s16
	s_cbranch_execnz .LBB6_239
.LBB6_217:
	s_or_b32 exec_lo, exec_lo, s9
	s_and_b32 s16, s6, s8
	s_delay_alu instid0(SALU_CYCLE_1)
	s_and_saveexec_b32 s9, s16
	s_cbranch_execnz .LBB6_243
.LBB6_218:
	s_or_b32 exec_lo, exec_lo, s9
	s_and_b32 s9, s7, s8
	s_delay_alu instid0(SALU_CYCLE_1)
	s_and_saveexec_b32 s8, s9
	s_cbranch_execnz .LBB6_247
	s_branch .LBB6_251
.LBB6_219:
	v_cmp_ne_u32_e32 vcc_lo, 1, v105
	v_lshlrev_b64 v[48:49], 2, v[64:65]
	s_cbranch_vccnz .LBB6_221
; %bb.220:
	s_delay_alu instid0(VALU_DEP_1) | instskip(NEXT) | instid1(VALU_DEP_2)
	v_add_co_u32 v54, vcc_lo, v52, v48
	v_add_co_ci_u32_e32 v55, vcc_lo, v53, v49, vcc_lo
	flat_load_b32 v54, v[54:55]
	s_waitcnt vmcnt(0) lgkmcnt(0)
	v_mul_f32_e32 v54, s15, v54
	s_branch .LBB6_222
.LBB6_221:
	v_mov_b32_e32 v54, 0
.LBB6_222:
	v_dual_add_f32 v55, v33, v45 :: v_dual_add_f32 v56, v32, v44
	v_dual_add_f32 v57, v35, v47 :: v_dual_add_f32 v58, v34, v46
	s_delay_alu instid0(VALU_DEP_4) | instskip(NEXT) | instid1(VALU_DEP_3)
	v_add_co_u32 v48, vcc_lo, v50, v48
	v_min3_f32 v55, v56, v55, v115
	v_add_co_ci_u32_e32 v49, vcc_lo, v51, v49, vcc_lo
	s_delay_alu instid0(VALU_DEP_4) | instskip(NEXT) | instid1(VALU_DEP_1)
	v_min_f32_e32 v56, v58, v57
	v_min3_f32 v54, v54, v56, v55
	global_store_b32 v[48:49], v54, off
	s_or_b32 exec_lo, exec_lo, s9
	s_and_b32 s16, s1, s8
	s_delay_alu instid0(SALU_CYCLE_1)
	s_and_saveexec_b32 s9, s16
	s_cbranch_execz .LBB6_213
.LBB6_223:
	v_cmp_ne_u32_e32 vcc_lo, 1, v105
	v_lshlrev_b64 v[48:49], 2, v[66:67]
	s_cbranch_vccnz .LBB6_225
; %bb.224:
	s_delay_alu instid0(VALU_DEP_1) | instskip(NEXT) | instid1(VALU_DEP_2)
	v_add_co_u32 v54, vcc_lo, v52, v48
	v_add_co_ci_u32_e32 v55, vcc_lo, v53, v49, vcc_lo
	flat_load_b32 v54, v[54:55]
	s_waitcnt vmcnt(0) lgkmcnt(0)
	v_mul_f32_e32 v54, s15, v54
	s_branch .LBB6_226
.LBB6_225:
	v_mov_b32_e32 v54, 0
.LBB6_226:
	v_dual_add_f32 v55, v29, v45 :: v_dual_add_f32 v56, v28, v44
	v_dual_add_f32 v57, v31, v47 :: v_dual_add_f32 v58, v30, v46
	s_delay_alu instid0(VALU_DEP_4) | instskip(NEXT) | instid1(VALU_DEP_3)
	v_add_co_u32 v48, vcc_lo, v50, v48
	v_min3_f32 v55, v56, v55, v114
	v_add_co_ci_u32_e32 v49, vcc_lo, v51, v49, vcc_lo
	s_delay_alu instid0(VALU_DEP_4) | instskip(NEXT) | instid1(VALU_DEP_1)
	v_min_f32_e32 v56, v58, v57
	v_min3_f32 v54, v54, v56, v55
	global_store_b32 v[48:49], v54, off
	s_or_b32 exec_lo, exec_lo, s9
	s_and_b32 s16, s2, s8
	s_delay_alu instid0(SALU_CYCLE_1)
	s_and_saveexec_b32 s9, s16
	s_cbranch_execz .LBB6_214
.LBB6_227:
	v_cmp_ne_u32_e32 vcc_lo, 1, v105
	v_lshlrev_b64 v[48:49], 2, v[68:69]
	s_cbranch_vccnz .LBB6_229
; %bb.228:
	s_delay_alu instid0(VALU_DEP_1) | instskip(NEXT) | instid1(VALU_DEP_2)
	v_add_co_u32 v54, vcc_lo, v52, v48
	v_add_co_ci_u32_e32 v55, vcc_lo, v53, v49, vcc_lo
	flat_load_b32 v54, v[54:55]
	s_waitcnt vmcnt(0) lgkmcnt(0)
	v_mul_f32_e32 v54, s15, v54
	s_branch .LBB6_230
.LBB6_229:
	v_mov_b32_e32 v54, 0
.LBB6_230:
	v_dual_add_f32 v55, v25, v45 :: v_dual_add_f32 v56, v24, v44
	v_dual_add_f32 v57, v27, v47 :: v_dual_add_f32 v58, v26, v46
	s_delay_alu instid0(VALU_DEP_4) | instskip(NEXT) | instid1(VALU_DEP_3)
	v_add_co_u32 v48, vcc_lo, v50, v48
	v_min3_f32 v55, v56, v55, v112
	v_add_co_ci_u32_e32 v49, vcc_lo, v51, v49, vcc_lo
	s_delay_alu instid0(VALU_DEP_4) | instskip(NEXT) | instid1(VALU_DEP_1)
	v_min_f32_e32 v56, v58, v57
	v_min3_f32 v54, v54, v56, v55
	global_store_b32 v[48:49], v54, off
	s_or_b32 exec_lo, exec_lo, s9
	s_and_b32 s16, s3, s8
	s_delay_alu instid0(SALU_CYCLE_1)
	s_and_saveexec_b32 s9, s16
	s_cbranch_execz .LBB6_215
.LBB6_231:
	v_cmp_ne_u32_e32 vcc_lo, 1, v105
	v_lshlrev_b64 v[48:49], 2, v[70:71]
	s_cbranch_vccnz .LBB6_233
; %bb.232:
	s_delay_alu instid0(VALU_DEP_1) | instskip(NEXT) | instid1(VALU_DEP_2)
	v_add_co_u32 v54, vcc_lo, v52, v48
	v_add_co_ci_u32_e32 v55, vcc_lo, v53, v49, vcc_lo
	flat_load_b32 v54, v[54:55]
	s_waitcnt vmcnt(0) lgkmcnt(0)
	v_mul_f32_e32 v54, s15, v54
	s_branch .LBB6_234
.LBB6_233:
	v_mov_b32_e32 v54, 0
.LBB6_234:
	v_dual_add_f32 v55, v21, v45 :: v_dual_add_f32 v56, v20, v44
	v_dual_add_f32 v57, v23, v47 :: v_dual_add_f32 v58, v22, v46
	s_delay_alu instid0(VALU_DEP_4) | instskip(NEXT) | instid1(VALU_DEP_3)
	v_add_co_u32 v48, vcc_lo, v50, v48
	v_min3_f32 v55, v56, v55, v111
	v_add_co_ci_u32_e32 v49, vcc_lo, v51, v49, vcc_lo
	s_delay_alu instid0(VALU_DEP_4) | instskip(NEXT) | instid1(VALU_DEP_1)
	v_min_f32_e32 v56, v58, v57
	v_min3_f32 v54, v54, v56, v55
	global_store_b32 v[48:49], v54, off
	s_or_b32 exec_lo, exec_lo, s9
	s_and_b32 s16, s4, s8
	s_delay_alu instid0(SALU_CYCLE_1)
	s_and_saveexec_b32 s9, s16
	s_cbranch_execz .LBB6_216
.LBB6_235:
	v_cmp_ne_u32_e32 vcc_lo, 1, v105
	v_lshlrev_b64 v[48:49], 2, v[72:73]
	s_cbranch_vccnz .LBB6_237
; %bb.236:
	s_delay_alu instid0(VALU_DEP_1) | instskip(NEXT) | instid1(VALU_DEP_2)
	v_add_co_u32 v54, vcc_lo, v52, v48
	v_add_co_ci_u32_e32 v55, vcc_lo, v53, v49, vcc_lo
	flat_load_b32 v54, v[54:55]
	s_waitcnt vmcnt(0) lgkmcnt(0)
	v_mul_f32_e32 v54, s15, v54
	s_branch .LBB6_238
.LBB6_237:
	v_mov_b32_e32 v54, 0
.LBB6_238:
	v_dual_add_f32 v55, v17, v45 :: v_dual_add_f32 v56, v16, v44
	v_dual_add_f32 v57, v19, v47 :: v_dual_add_f32 v58, v18, v46
	s_delay_alu instid0(VALU_DEP_4) | instskip(NEXT) | instid1(VALU_DEP_3)
	v_add_co_u32 v48, vcc_lo, v50, v48
	v_min3_f32 v55, v56, v55, v110
	v_add_co_ci_u32_e32 v49, vcc_lo, v51, v49, vcc_lo
	s_delay_alu instid0(VALU_DEP_4) | instskip(NEXT) | instid1(VALU_DEP_1)
	v_min_f32_e32 v56, v58, v57
	v_min3_f32 v54, v54, v56, v55
	global_store_b32 v[48:49], v54, off
	s_or_b32 exec_lo, exec_lo, s9
	s_and_b32 s16, s5, s8
	s_delay_alu instid0(SALU_CYCLE_1)
	s_and_saveexec_b32 s9, s16
	s_cbranch_execz .LBB6_217
.LBB6_239:
	v_cmp_ne_u32_e32 vcc_lo, 1, v105
	v_lshlrev_b64 v[48:49], 2, v[74:75]
	s_cbranch_vccnz .LBB6_241
; %bb.240:
	s_delay_alu instid0(VALU_DEP_1) | instskip(NEXT) | instid1(VALU_DEP_2)
	v_add_co_u32 v54, vcc_lo, v52, v48
	v_add_co_ci_u32_e32 v55, vcc_lo, v53, v49, vcc_lo
	flat_load_b32 v54, v[54:55]
	s_waitcnt vmcnt(0) lgkmcnt(0)
	v_mul_f32_e32 v54, s15, v54
	s_branch .LBB6_242
.LBB6_241:
	v_mov_b32_e32 v54, 0
.LBB6_242:
	v_dual_add_f32 v55, v13, v45 :: v_dual_add_f32 v56, v12, v44
	v_dual_add_f32 v57, v15, v47 :: v_dual_add_f32 v58, v14, v46
	s_delay_alu instid0(VALU_DEP_4) | instskip(NEXT) | instid1(VALU_DEP_3)
	v_add_co_u32 v48, vcc_lo, v50, v48
	v_min3_f32 v55, v56, v55, v109
	v_add_co_ci_u32_e32 v49, vcc_lo, v51, v49, vcc_lo
	s_delay_alu instid0(VALU_DEP_4) | instskip(NEXT) | instid1(VALU_DEP_1)
	v_min_f32_e32 v56, v58, v57
	v_min3_f32 v54, v54, v56, v55
	global_store_b32 v[48:49], v54, off
	s_or_b32 exec_lo, exec_lo, s9
	s_and_b32 s16, s6, s8
	s_delay_alu instid0(SALU_CYCLE_1)
	s_and_saveexec_b32 s9, s16
	s_cbranch_execz .LBB6_218
.LBB6_243:
	v_cmp_ne_u32_e32 vcc_lo, 1, v105
	v_lshlrev_b64 v[48:49], 2, v[76:77]
	s_cbranch_vccnz .LBB6_245
; %bb.244:
	s_delay_alu instid0(VALU_DEP_1) | instskip(NEXT) | instid1(VALU_DEP_2)
	v_add_co_u32 v54, vcc_lo, v52, v48
	v_add_co_ci_u32_e32 v55, vcc_lo, v53, v49, vcc_lo
	flat_load_b32 v54, v[54:55]
	s_waitcnt vmcnt(0) lgkmcnt(0)
	v_mul_f32_e32 v54, s15, v54
	s_branch .LBB6_246
.LBB6_245:
	v_mov_b32_e32 v54, 0
.LBB6_246:
	v_dual_add_f32 v55, v9, v45 :: v_dual_add_f32 v56, v8, v44
	v_dual_add_f32 v57, v11, v47 :: v_dual_add_f32 v58, v10, v46
	s_delay_alu instid0(VALU_DEP_4) | instskip(NEXT) | instid1(VALU_DEP_3)
	v_add_co_u32 v48, vcc_lo, v50, v48
	v_min3_f32 v55, v56, v55, v108
	v_add_co_ci_u32_e32 v49, vcc_lo, v51, v49, vcc_lo
	s_delay_alu instid0(VALU_DEP_4) | instskip(NEXT) | instid1(VALU_DEP_1)
	v_min_f32_e32 v56, v58, v57
	v_min3_f32 v54, v54, v56, v55
	global_store_b32 v[48:49], v54, off
	s_or_b32 exec_lo, exec_lo, s9
	s_and_b32 s9, s7, s8
	s_delay_alu instid0(SALU_CYCLE_1)
	s_and_saveexec_b32 s8, s9
	s_cbranch_execz .LBB6_251
.LBB6_247:
	v_cmp_ne_u32_e32 vcc_lo, 1, v105
	v_lshlrev_b64 v[48:49], 2, v[78:79]
	s_cbranch_vccnz .LBB6_249
; %bb.248:
	s_delay_alu instid0(VALU_DEP_1) | instskip(NEXT) | instid1(VALU_DEP_2)
	v_add_co_u32 v52, vcc_lo, v52, v48
	v_add_co_ci_u32_e32 v53, vcc_lo, v53, v49, vcc_lo
	flat_load_b32 v52, v[52:53]
	s_waitcnt vmcnt(0) lgkmcnt(0)
	v_mul_f32_e32 v52, s15, v52
	s_branch .LBB6_250
.LBB6_249:
	v_mov_b32_e32 v52, 0
.LBB6_250:
	v_dual_add_f32 v45, v1, v45 :: v_dual_add_f32 v44, v0, v44
	v_dual_add_f32 v47, v3, v47 :: v_dual_add_f32 v46, v2, v46
	s_delay_alu instid0(VALU_DEP_2) | instskip(NEXT) | instid1(VALU_DEP_2)
	v_min3_f32 v44, v44, v45, v107
	v_min_f32_e32 v45, v46, v47
	s_delay_alu instid0(VALU_DEP_1)
	v_min3_f32 v46, v52, v45, v44
	v_add_co_u32 v44, vcc_lo, v50, v48
	v_add_co_ci_u32_e32 v45, vcc_lo, v51, v49, vcc_lo
	global_store_b32 v[44:45], v46, off
.LBB6_251:
	s_or_b32 exec_lo, exec_lo, s8
	v_add_nc_u32_e32 v48, 40, v113
	s_delay_alu instid0(VALU_DEP_1) | instskip(SKIP_2) | instid1(VALU_DEP_3)
	v_mad_i64_i32 v[44:45], null, v48, s18, 0
	v_mad_i64_i32 v[46:47], null, v48, s14, 0
	v_cmp_gt_i32_e64 s8, s17, v48
	v_lshlrev_b64 v[44:45], 2, v[44:45]
	s_delay_alu instid0(VALU_DEP_2) | instskip(NEXT) | instid1(VALU_DEP_3)
	s_and_b32 s16, s0, s8
	v_lshlrev_b64 v[46:47], 2, v[46:47]
	s_delay_alu instid0(VALU_DEP_2) | instskip(NEXT) | instid1(VALU_DEP_3)
	v_add_co_u32 v48, vcc_lo, s10, v44
	v_add_co_ci_u32_e32 v49, vcc_lo, s11, v45, vcc_lo
	s_delay_alu instid0(VALU_DEP_3) | instskip(NEXT) | instid1(VALU_DEP_4)
	v_add_co_u32 v46, vcc_lo, s12, v46
	v_add_co_ci_u32_e32 v47, vcc_lo, s13, v47, vcc_lo
	s_and_saveexec_b32 s9, s16
	s_cbranch_execnz .LBB6_259
; %bb.252:
	s_or_b32 exec_lo, exec_lo, s9
	s_and_b32 s16, s1, s8
	s_delay_alu instid0(SALU_CYCLE_1)
	s_and_saveexec_b32 s9, s16
	s_cbranch_execnz .LBB6_263
.LBB6_253:
	s_or_b32 exec_lo, exec_lo, s9
	s_and_b32 s16, s2, s8
	s_delay_alu instid0(SALU_CYCLE_1)
	s_and_saveexec_b32 s9, s16
	s_cbranch_execnz .LBB6_267
.LBB6_254:
	s_or_b32 exec_lo, exec_lo, s9
	s_and_b32 s16, s3, s8
	s_delay_alu instid0(SALU_CYCLE_1)
	s_and_saveexec_b32 s9, s16
	s_cbranch_execnz .LBB6_271
.LBB6_255:
	s_or_b32 exec_lo, exec_lo, s9
	s_and_b32 s16, s4, s8
	s_delay_alu instid0(SALU_CYCLE_1)
	s_and_saveexec_b32 s9, s16
	s_cbranch_execnz .LBB6_275
.LBB6_256:
	s_or_b32 exec_lo, exec_lo, s9
	s_and_b32 s16, s5, s8
	s_delay_alu instid0(SALU_CYCLE_1)
	s_and_saveexec_b32 s9, s16
	s_cbranch_execnz .LBB6_279
.LBB6_257:
	s_or_b32 exec_lo, exec_lo, s9
	s_and_b32 s16, s6, s8
	s_delay_alu instid0(SALU_CYCLE_1)
	s_and_saveexec_b32 s9, s16
	s_cbranch_execnz .LBB6_283
.LBB6_258:
	s_or_b32 exec_lo, exec_lo, s9
	s_and_b32 s9, s7, s8
	s_delay_alu instid0(SALU_CYCLE_1)
	s_and_saveexec_b32 s8, s9
	s_cbranch_execnz .LBB6_287
	s_branch .LBB6_291
.LBB6_259:
	v_cmp_ne_u32_e32 vcc_lo, 1, v105
	v_lshlrev_b64 v[44:45], 2, v[64:65]
	s_cbranch_vccnz .LBB6_261
; %bb.260:
	s_delay_alu instid0(VALU_DEP_1) | instskip(NEXT) | instid1(VALU_DEP_2)
	v_add_co_u32 v50, vcc_lo, v48, v44
	v_add_co_ci_u32_e32 v51, vcc_lo, v49, v45, vcc_lo
	flat_load_b32 v50, v[50:51]
	s_waitcnt vmcnt(0) lgkmcnt(0)
	v_mul_f32_e32 v50, s15, v50
	s_branch .LBB6_262
.LBB6_261:
	v_mov_b32_e32 v50, 0
.LBB6_262:
	v_dual_add_f32 v51, v33, v41 :: v_dual_add_f32 v52, v32, v40
	v_dual_add_f32 v53, v35, v43 :: v_dual_add_f32 v54, v34, v42
	s_delay_alu instid0(VALU_DEP_4) | instskip(NEXT) | instid1(VALU_DEP_3)
	v_add_co_u32 v44, vcc_lo, v46, v44
	v_min3_f32 v51, v52, v51, v106
	v_add_co_ci_u32_e32 v45, vcc_lo, v47, v45, vcc_lo
	s_delay_alu instid0(VALU_DEP_4) | instskip(NEXT) | instid1(VALU_DEP_1)
	v_min_f32_e32 v52, v54, v53
	v_min3_f32 v50, v50, v52, v51
	global_store_b32 v[44:45], v50, off
	s_or_b32 exec_lo, exec_lo, s9
	s_and_b32 s16, s1, s8
	s_delay_alu instid0(SALU_CYCLE_1)
	s_and_saveexec_b32 s9, s16
	s_cbranch_execz .LBB6_253
.LBB6_263:
	v_cmp_ne_u32_e32 vcc_lo, 1, v105
	v_lshlrev_b64 v[44:45], 2, v[66:67]
	s_cbranch_vccnz .LBB6_265
; %bb.264:
	s_delay_alu instid0(VALU_DEP_1) | instskip(NEXT) | instid1(VALU_DEP_2)
	v_add_co_u32 v50, vcc_lo, v48, v44
	v_add_co_ci_u32_e32 v51, vcc_lo, v49, v45, vcc_lo
	flat_load_b32 v50, v[50:51]
	s_waitcnt vmcnt(0) lgkmcnt(0)
	v_mul_f32_e32 v50, s15, v50
	s_branch .LBB6_266
.LBB6_265:
	v_mov_b32_e32 v50, 0
.LBB6_266:
	v_dual_add_f32 v51, v29, v41 :: v_dual_add_f32 v52, v28, v40
	v_dual_add_f32 v53, v31, v43 :: v_dual_add_f32 v54, v30, v42
	s_delay_alu instid0(VALU_DEP_4) | instskip(NEXT) | instid1(VALU_DEP_3)
	v_add_co_u32 v44, vcc_lo, v46, v44
	v_min3_f32 v51, v52, v51, v104
	v_add_co_ci_u32_e32 v45, vcc_lo, v47, v45, vcc_lo
	s_delay_alu instid0(VALU_DEP_4) | instskip(NEXT) | instid1(VALU_DEP_1)
	v_min_f32_e32 v52, v54, v53
	v_min3_f32 v50, v50, v52, v51
	global_store_b32 v[44:45], v50, off
	s_or_b32 exec_lo, exec_lo, s9
	s_and_b32 s16, s2, s8
	s_delay_alu instid0(SALU_CYCLE_1)
	s_and_saveexec_b32 s9, s16
	s_cbranch_execz .LBB6_254
.LBB6_267:
	v_cmp_ne_u32_e32 vcc_lo, 1, v105
	v_lshlrev_b64 v[44:45], 2, v[68:69]
	s_cbranch_vccnz .LBB6_269
; %bb.268:
	s_delay_alu instid0(VALU_DEP_1) | instskip(NEXT) | instid1(VALU_DEP_2)
	v_add_co_u32 v50, vcc_lo, v48, v44
	v_add_co_ci_u32_e32 v51, vcc_lo, v49, v45, vcc_lo
	flat_load_b32 v50, v[50:51]
	s_waitcnt vmcnt(0) lgkmcnt(0)
	v_mul_f32_e32 v50, s15, v50
	s_branch .LBB6_270
.LBB6_269:
	v_mov_b32_e32 v50, 0
.LBB6_270:
	v_dual_add_f32 v51, v25, v41 :: v_dual_add_f32 v52, v24, v40
	v_dual_add_f32 v53, v27, v43 :: v_dual_add_f32 v54, v26, v42
	s_delay_alu instid0(VALU_DEP_4) | instskip(NEXT) | instid1(VALU_DEP_3)
	v_add_co_u32 v44, vcc_lo, v46, v44
	v_min3_f32 v51, v52, v51, v103
	v_add_co_ci_u32_e32 v45, vcc_lo, v47, v45, vcc_lo
	s_delay_alu instid0(VALU_DEP_4) | instskip(NEXT) | instid1(VALU_DEP_1)
	v_min_f32_e32 v52, v54, v53
	v_min3_f32 v50, v50, v52, v51
	global_store_b32 v[44:45], v50, off
	s_or_b32 exec_lo, exec_lo, s9
	s_and_b32 s16, s3, s8
	s_delay_alu instid0(SALU_CYCLE_1)
	s_and_saveexec_b32 s9, s16
	s_cbranch_execz .LBB6_255
.LBB6_271:
	v_cmp_ne_u32_e32 vcc_lo, 1, v105
	v_lshlrev_b64 v[44:45], 2, v[70:71]
	s_cbranch_vccnz .LBB6_273
; %bb.272:
	s_delay_alu instid0(VALU_DEP_1) | instskip(NEXT) | instid1(VALU_DEP_2)
	v_add_co_u32 v50, vcc_lo, v48, v44
	v_add_co_ci_u32_e32 v51, vcc_lo, v49, v45, vcc_lo
	flat_load_b32 v50, v[50:51]
	s_waitcnt vmcnt(0) lgkmcnt(0)
	v_mul_f32_e32 v50, s15, v50
	s_branch .LBB6_274
.LBB6_273:
	v_mov_b32_e32 v50, 0
.LBB6_274:
	v_dual_add_f32 v51, v21, v41 :: v_dual_add_f32 v52, v20, v40
	v_dual_add_f32 v53, v23, v43 :: v_dual_add_f32 v54, v22, v42
	s_delay_alu instid0(VALU_DEP_4) | instskip(NEXT) | instid1(VALU_DEP_3)
	v_add_co_u32 v44, vcc_lo, v46, v44
	v_min3_f32 v51, v52, v51, v102
	v_add_co_ci_u32_e32 v45, vcc_lo, v47, v45, vcc_lo
	s_delay_alu instid0(VALU_DEP_4) | instskip(NEXT) | instid1(VALU_DEP_1)
	v_min_f32_e32 v52, v54, v53
	v_min3_f32 v50, v50, v52, v51
	global_store_b32 v[44:45], v50, off
	s_or_b32 exec_lo, exec_lo, s9
	s_and_b32 s16, s4, s8
	s_delay_alu instid0(SALU_CYCLE_1)
	s_and_saveexec_b32 s9, s16
	s_cbranch_execz .LBB6_256
.LBB6_275:
	v_cmp_ne_u32_e32 vcc_lo, 1, v105
	v_lshlrev_b64 v[44:45], 2, v[72:73]
	s_cbranch_vccnz .LBB6_277
; %bb.276:
	s_delay_alu instid0(VALU_DEP_1) | instskip(NEXT) | instid1(VALU_DEP_2)
	v_add_co_u32 v50, vcc_lo, v48, v44
	v_add_co_ci_u32_e32 v51, vcc_lo, v49, v45, vcc_lo
	flat_load_b32 v50, v[50:51]
	s_waitcnt vmcnt(0) lgkmcnt(0)
	v_mul_f32_e32 v50, s15, v50
	s_branch .LBB6_278
.LBB6_277:
	v_mov_b32_e32 v50, 0
.LBB6_278:
	v_dual_add_f32 v51, v17, v41 :: v_dual_add_f32 v52, v16, v40
	v_dual_add_f32 v53, v19, v43 :: v_dual_add_f32 v54, v18, v42
	s_delay_alu instid0(VALU_DEP_4) | instskip(NEXT) | instid1(VALU_DEP_3)
	v_add_co_u32 v44, vcc_lo, v46, v44
	v_min3_f32 v51, v52, v51, v101
	v_add_co_ci_u32_e32 v45, vcc_lo, v47, v45, vcc_lo
	s_delay_alu instid0(VALU_DEP_4) | instskip(NEXT) | instid1(VALU_DEP_1)
	v_min_f32_e32 v52, v54, v53
	v_min3_f32 v50, v50, v52, v51
	global_store_b32 v[44:45], v50, off
	s_or_b32 exec_lo, exec_lo, s9
	s_and_b32 s16, s5, s8
	s_delay_alu instid0(SALU_CYCLE_1)
	s_and_saveexec_b32 s9, s16
	s_cbranch_execz .LBB6_257
.LBB6_279:
	v_cmp_ne_u32_e32 vcc_lo, 1, v105
	v_lshlrev_b64 v[44:45], 2, v[74:75]
	s_cbranch_vccnz .LBB6_281
; %bb.280:
	s_delay_alu instid0(VALU_DEP_1) | instskip(NEXT) | instid1(VALU_DEP_2)
	v_add_co_u32 v50, vcc_lo, v48, v44
	v_add_co_ci_u32_e32 v51, vcc_lo, v49, v45, vcc_lo
	flat_load_b32 v50, v[50:51]
	s_waitcnt vmcnt(0) lgkmcnt(0)
	v_mul_f32_e32 v50, s15, v50
	s_branch .LBB6_282
.LBB6_281:
	v_mov_b32_e32 v50, 0
.LBB6_282:
	v_dual_add_f32 v51, v13, v41 :: v_dual_add_f32 v52, v12, v40
	v_dual_add_f32 v53, v15, v43 :: v_dual_add_f32 v54, v14, v42
	s_delay_alu instid0(VALU_DEP_4) | instskip(NEXT) | instid1(VALU_DEP_3)
	v_add_co_u32 v44, vcc_lo, v46, v44
	v_min3_f32 v51, v52, v51, v100
	v_add_co_ci_u32_e32 v45, vcc_lo, v47, v45, vcc_lo
	s_delay_alu instid0(VALU_DEP_4) | instskip(NEXT) | instid1(VALU_DEP_1)
	v_min_f32_e32 v52, v54, v53
	v_min3_f32 v50, v50, v52, v51
	global_store_b32 v[44:45], v50, off
	s_or_b32 exec_lo, exec_lo, s9
	s_and_b32 s16, s6, s8
	s_delay_alu instid0(SALU_CYCLE_1)
	s_and_saveexec_b32 s9, s16
	s_cbranch_execz .LBB6_258
.LBB6_283:
	v_cmp_ne_u32_e32 vcc_lo, 1, v105
	v_lshlrev_b64 v[44:45], 2, v[76:77]
	s_cbranch_vccnz .LBB6_285
; %bb.284:
	s_delay_alu instid0(VALU_DEP_1) | instskip(NEXT) | instid1(VALU_DEP_2)
	v_add_co_u32 v50, vcc_lo, v48, v44
	v_add_co_ci_u32_e32 v51, vcc_lo, v49, v45, vcc_lo
	flat_load_b32 v50, v[50:51]
	s_waitcnt vmcnt(0) lgkmcnt(0)
	v_mul_f32_e32 v50, s15, v50
	s_branch .LBB6_286
.LBB6_285:
	v_mov_b32_e32 v50, 0
.LBB6_286:
	v_dual_add_f32 v51, v9, v41 :: v_dual_add_f32 v52, v8, v40
	v_dual_add_f32 v53, v11, v43 :: v_dual_add_f32 v54, v10, v42
	s_delay_alu instid0(VALU_DEP_4) | instskip(NEXT) | instid1(VALU_DEP_3)
	v_add_co_u32 v44, vcc_lo, v46, v44
	v_min3_f32 v51, v52, v51, v99
	v_add_co_ci_u32_e32 v45, vcc_lo, v47, v45, vcc_lo
	s_delay_alu instid0(VALU_DEP_4) | instskip(NEXT) | instid1(VALU_DEP_1)
	v_min_f32_e32 v52, v54, v53
	v_min3_f32 v50, v50, v52, v51
	global_store_b32 v[44:45], v50, off
	s_or_b32 exec_lo, exec_lo, s9
	s_and_b32 s9, s7, s8
	s_delay_alu instid0(SALU_CYCLE_1)
	s_and_saveexec_b32 s8, s9
	s_cbranch_execz .LBB6_291
.LBB6_287:
	v_cmp_ne_u32_e32 vcc_lo, 1, v105
	v_lshlrev_b64 v[44:45], 2, v[78:79]
	s_cbranch_vccnz .LBB6_289
; %bb.288:
	s_delay_alu instid0(VALU_DEP_1) | instskip(NEXT) | instid1(VALU_DEP_2)
	v_add_co_u32 v48, vcc_lo, v48, v44
	v_add_co_ci_u32_e32 v49, vcc_lo, v49, v45, vcc_lo
	flat_load_b32 v48, v[48:49]
	s_waitcnt vmcnt(0) lgkmcnt(0)
	v_mul_f32_e32 v48, s15, v48
	s_branch .LBB6_290
.LBB6_289:
	v_mov_b32_e32 v48, 0
.LBB6_290:
	v_dual_add_f32 v41, v1, v41 :: v_dual_add_f32 v40, v0, v40
	v_dual_add_f32 v43, v3, v43 :: v_dual_add_f32 v42, v2, v42
	s_delay_alu instid0(VALU_DEP_2) | instskip(NEXT) | instid1(VALU_DEP_2)
	v_min3_f32 v40, v40, v41, v98
	v_min_f32_e32 v41, v42, v43
	s_delay_alu instid0(VALU_DEP_1)
	v_min3_f32 v42, v48, v41, v40
	v_add_co_u32 v40, vcc_lo, v46, v44
	v_add_co_ci_u32_e32 v41, vcc_lo, v47, v45, vcc_lo
	global_store_b32 v[40:41], v42, off
.LBB6_291:
	s_or_b32 exec_lo, exec_lo, s8
	v_add_nc_u32_e32 v44, 48, v113
	s_delay_alu instid0(VALU_DEP_1) | instskip(SKIP_2) | instid1(VALU_DEP_3)
	v_mad_i64_i32 v[40:41], null, v44, s18, 0
	v_mad_i64_i32 v[42:43], null, v44, s14, 0
	v_cmp_gt_i32_e64 s8, s17, v44
	v_lshlrev_b64 v[40:41], 2, v[40:41]
	s_delay_alu instid0(VALU_DEP_2) | instskip(NEXT) | instid1(VALU_DEP_3)
	s_and_b32 s16, s0, s8
	v_lshlrev_b64 v[42:43], 2, v[42:43]
	s_delay_alu instid0(VALU_DEP_2) | instskip(NEXT) | instid1(VALU_DEP_3)
	v_add_co_u32 v44, vcc_lo, s10, v40
	v_add_co_ci_u32_e32 v45, vcc_lo, s11, v41, vcc_lo
	s_delay_alu instid0(VALU_DEP_3) | instskip(NEXT) | instid1(VALU_DEP_4)
	v_add_co_u32 v42, vcc_lo, s12, v42
	v_add_co_ci_u32_e32 v43, vcc_lo, s13, v43, vcc_lo
	s_and_saveexec_b32 s9, s16
	s_cbranch_execnz .LBB6_299
; %bb.292:
	s_or_b32 exec_lo, exec_lo, s9
	s_and_b32 s16, s1, s8
	s_delay_alu instid0(SALU_CYCLE_1)
	s_and_saveexec_b32 s9, s16
	s_cbranch_execnz .LBB6_303
.LBB6_293:
	s_or_b32 exec_lo, exec_lo, s9
	s_and_b32 s16, s2, s8
	s_delay_alu instid0(SALU_CYCLE_1)
	s_and_saveexec_b32 s9, s16
	s_cbranch_execnz .LBB6_307
.LBB6_294:
	s_or_b32 exec_lo, exec_lo, s9
	s_and_b32 s16, s3, s8
	s_delay_alu instid0(SALU_CYCLE_1)
	s_and_saveexec_b32 s9, s16
	s_cbranch_execnz .LBB6_311
.LBB6_295:
	s_or_b32 exec_lo, exec_lo, s9
	s_and_b32 s16, s4, s8
	s_delay_alu instid0(SALU_CYCLE_1)
	s_and_saveexec_b32 s9, s16
	s_cbranch_execnz .LBB6_315
.LBB6_296:
	s_or_b32 exec_lo, exec_lo, s9
	s_and_b32 s16, s5, s8
	s_delay_alu instid0(SALU_CYCLE_1)
	s_and_saveexec_b32 s9, s16
	s_cbranch_execnz .LBB6_319
.LBB6_297:
	s_or_b32 exec_lo, exec_lo, s9
	s_and_b32 s16, s6, s8
	s_delay_alu instid0(SALU_CYCLE_1)
	s_and_saveexec_b32 s9, s16
	s_cbranch_execnz .LBB6_323
.LBB6_298:
	s_or_b32 exec_lo, exec_lo, s9
	s_and_b32 s9, s7, s8
	s_delay_alu instid0(SALU_CYCLE_1)
	s_and_saveexec_b32 s8, s9
	s_cbranch_execnz .LBB6_327
	s_branch .LBB6_331
.LBB6_299:
	v_cmp_ne_u32_e32 vcc_lo, 1, v105
	v_lshlrev_b64 v[40:41], 2, v[64:65]
	s_cbranch_vccnz .LBB6_301
; %bb.300:
	s_delay_alu instid0(VALU_DEP_1) | instskip(NEXT) | instid1(VALU_DEP_2)
	v_add_co_u32 v46, vcc_lo, v44, v40
	v_add_co_ci_u32_e32 v47, vcc_lo, v45, v41, vcc_lo
	flat_load_b32 v46, v[46:47]
	s_waitcnt vmcnt(0) lgkmcnt(0)
	v_mul_f32_e32 v46, s15, v46
	s_branch .LBB6_302
.LBB6_301:
	v_mov_b32_e32 v46, 0
.LBB6_302:
	v_dual_add_f32 v47, v33, v37 :: v_dual_add_f32 v48, v32, v36
	v_dual_add_f32 v49, v35, v39 :: v_dual_add_f32 v50, v34, v38
	s_delay_alu instid0(VALU_DEP_4) | instskip(NEXT) | instid1(VALU_DEP_3)
	v_add_co_u32 v40, vcc_lo, v42, v40
	v_min3_f32 v47, v48, v47, v97
	v_add_co_ci_u32_e32 v41, vcc_lo, v43, v41, vcc_lo
	s_delay_alu instid0(VALU_DEP_4) | instskip(NEXT) | instid1(VALU_DEP_1)
	v_min_f32_e32 v48, v50, v49
	v_min3_f32 v46, v46, v48, v47
	global_store_b32 v[40:41], v46, off
	s_or_b32 exec_lo, exec_lo, s9
	s_and_b32 s16, s1, s8
	s_delay_alu instid0(SALU_CYCLE_1)
	s_and_saveexec_b32 s9, s16
	s_cbranch_execz .LBB6_293
.LBB6_303:
	v_cmp_ne_u32_e32 vcc_lo, 1, v105
	v_lshlrev_b64 v[40:41], 2, v[66:67]
	s_cbranch_vccnz .LBB6_305
; %bb.304:
	s_delay_alu instid0(VALU_DEP_1) | instskip(NEXT) | instid1(VALU_DEP_2)
	v_add_co_u32 v46, vcc_lo, v44, v40
	v_add_co_ci_u32_e32 v47, vcc_lo, v45, v41, vcc_lo
	flat_load_b32 v46, v[46:47]
	s_waitcnt vmcnt(0) lgkmcnt(0)
	v_mul_f32_e32 v46, s15, v46
	s_branch .LBB6_306
.LBB6_305:
	v_mov_b32_e32 v46, 0
.LBB6_306:
	v_dual_add_f32 v47, v29, v37 :: v_dual_add_f32 v48, v28, v36
	v_dual_add_f32 v49, v31, v39 :: v_dual_add_f32 v50, v30, v38
	s_delay_alu instid0(VALU_DEP_4) | instskip(NEXT) | instid1(VALU_DEP_3)
	v_add_co_u32 v40, vcc_lo, v42, v40
	v_min3_f32 v47, v48, v47, v96
	v_add_co_ci_u32_e32 v41, vcc_lo, v43, v41, vcc_lo
	s_delay_alu instid0(VALU_DEP_4) | instskip(NEXT) | instid1(VALU_DEP_1)
	v_min_f32_e32 v48, v50, v49
	v_min3_f32 v46, v46, v48, v47
	global_store_b32 v[40:41], v46, off
	s_or_b32 exec_lo, exec_lo, s9
	s_and_b32 s16, s2, s8
	s_delay_alu instid0(SALU_CYCLE_1)
	s_and_saveexec_b32 s9, s16
	s_cbranch_execz .LBB6_294
.LBB6_307:
	v_cmp_ne_u32_e32 vcc_lo, 1, v105
	v_lshlrev_b64 v[40:41], 2, v[68:69]
	s_cbranch_vccnz .LBB6_309
; %bb.308:
	s_delay_alu instid0(VALU_DEP_1) | instskip(NEXT) | instid1(VALU_DEP_2)
	v_add_co_u32 v46, vcc_lo, v44, v40
	v_add_co_ci_u32_e32 v47, vcc_lo, v45, v41, vcc_lo
	flat_load_b32 v46, v[46:47]
	s_waitcnt vmcnt(0) lgkmcnt(0)
	v_mul_f32_e32 v46, s15, v46
	s_branch .LBB6_310
.LBB6_309:
	v_mov_b32_e32 v46, 0
.LBB6_310:
	v_dual_add_f32 v47, v25, v37 :: v_dual_add_f32 v48, v24, v36
	v_dual_add_f32 v49, v27, v39 :: v_dual_add_f32 v50, v26, v38
	s_delay_alu instid0(VALU_DEP_4) | instskip(NEXT) | instid1(VALU_DEP_3)
	v_add_co_u32 v40, vcc_lo, v42, v40
	v_min3_f32 v47, v48, v47, v95
	v_add_co_ci_u32_e32 v41, vcc_lo, v43, v41, vcc_lo
	s_delay_alu instid0(VALU_DEP_4) | instskip(NEXT) | instid1(VALU_DEP_1)
	v_min_f32_e32 v48, v50, v49
	v_min3_f32 v46, v46, v48, v47
	global_store_b32 v[40:41], v46, off
	s_or_b32 exec_lo, exec_lo, s9
	s_and_b32 s16, s3, s8
	s_delay_alu instid0(SALU_CYCLE_1)
	s_and_saveexec_b32 s9, s16
	s_cbranch_execz .LBB6_295
.LBB6_311:
	v_cmp_ne_u32_e32 vcc_lo, 1, v105
	v_lshlrev_b64 v[40:41], 2, v[70:71]
	s_cbranch_vccnz .LBB6_313
; %bb.312:
	s_delay_alu instid0(VALU_DEP_1) | instskip(NEXT) | instid1(VALU_DEP_2)
	v_add_co_u32 v46, vcc_lo, v44, v40
	v_add_co_ci_u32_e32 v47, vcc_lo, v45, v41, vcc_lo
	flat_load_b32 v46, v[46:47]
	s_waitcnt vmcnt(0) lgkmcnt(0)
	v_mul_f32_e32 v46, s15, v46
	s_branch .LBB6_314
.LBB6_313:
	v_mov_b32_e32 v46, 0
.LBB6_314:
	v_dual_add_f32 v47, v21, v37 :: v_dual_add_f32 v48, v20, v36
	v_dual_add_f32 v49, v23, v39 :: v_dual_add_f32 v50, v22, v38
	s_delay_alu instid0(VALU_DEP_4) | instskip(NEXT) | instid1(VALU_DEP_3)
	v_add_co_u32 v40, vcc_lo, v42, v40
	v_min3_f32 v47, v48, v47, v94
	v_add_co_ci_u32_e32 v41, vcc_lo, v43, v41, vcc_lo
	s_delay_alu instid0(VALU_DEP_4) | instskip(NEXT) | instid1(VALU_DEP_1)
	v_min_f32_e32 v48, v50, v49
	v_min3_f32 v46, v46, v48, v47
	global_store_b32 v[40:41], v46, off
	s_or_b32 exec_lo, exec_lo, s9
	s_and_b32 s16, s4, s8
	s_delay_alu instid0(SALU_CYCLE_1)
	s_and_saveexec_b32 s9, s16
	s_cbranch_execz .LBB6_296
.LBB6_315:
	v_cmp_ne_u32_e32 vcc_lo, 1, v105
	v_lshlrev_b64 v[40:41], 2, v[72:73]
	s_cbranch_vccnz .LBB6_317
; %bb.316:
	s_delay_alu instid0(VALU_DEP_1) | instskip(NEXT) | instid1(VALU_DEP_2)
	v_add_co_u32 v46, vcc_lo, v44, v40
	v_add_co_ci_u32_e32 v47, vcc_lo, v45, v41, vcc_lo
	flat_load_b32 v46, v[46:47]
	s_waitcnt vmcnt(0) lgkmcnt(0)
	v_mul_f32_e32 v46, s15, v46
	s_branch .LBB6_318
.LBB6_317:
	v_mov_b32_e32 v46, 0
.LBB6_318:
	v_dual_add_f32 v47, v17, v37 :: v_dual_add_f32 v48, v16, v36
	v_dual_add_f32 v49, v19, v39 :: v_dual_add_f32 v50, v18, v38
	s_delay_alu instid0(VALU_DEP_4) | instskip(NEXT) | instid1(VALU_DEP_3)
	v_add_co_u32 v40, vcc_lo, v42, v40
	v_min3_f32 v47, v48, v47, v93
	v_add_co_ci_u32_e32 v41, vcc_lo, v43, v41, vcc_lo
	s_delay_alu instid0(VALU_DEP_4) | instskip(NEXT) | instid1(VALU_DEP_1)
	v_min_f32_e32 v48, v50, v49
	v_min3_f32 v46, v46, v48, v47
	global_store_b32 v[40:41], v46, off
	s_or_b32 exec_lo, exec_lo, s9
	s_and_b32 s16, s5, s8
	s_delay_alu instid0(SALU_CYCLE_1)
	s_and_saveexec_b32 s9, s16
	s_cbranch_execz .LBB6_297
.LBB6_319:
	v_cmp_ne_u32_e32 vcc_lo, 1, v105
	v_lshlrev_b64 v[40:41], 2, v[74:75]
	s_cbranch_vccnz .LBB6_321
; %bb.320:
	s_delay_alu instid0(VALU_DEP_1) | instskip(NEXT) | instid1(VALU_DEP_2)
	v_add_co_u32 v46, vcc_lo, v44, v40
	v_add_co_ci_u32_e32 v47, vcc_lo, v45, v41, vcc_lo
	flat_load_b32 v46, v[46:47]
	s_waitcnt vmcnt(0) lgkmcnt(0)
	v_mul_f32_e32 v46, s15, v46
	s_branch .LBB6_322
.LBB6_321:
	v_mov_b32_e32 v46, 0
.LBB6_322:
	v_dual_add_f32 v47, v13, v37 :: v_dual_add_f32 v48, v12, v36
	v_dual_add_f32 v49, v15, v39 :: v_dual_add_f32 v50, v14, v38
	s_delay_alu instid0(VALU_DEP_4) | instskip(NEXT) | instid1(VALU_DEP_3)
	v_add_co_u32 v40, vcc_lo, v42, v40
	v_min3_f32 v47, v48, v47, v92
	v_add_co_ci_u32_e32 v41, vcc_lo, v43, v41, vcc_lo
	s_delay_alu instid0(VALU_DEP_4) | instskip(NEXT) | instid1(VALU_DEP_1)
	v_min_f32_e32 v48, v50, v49
	v_min3_f32 v46, v46, v48, v47
	global_store_b32 v[40:41], v46, off
	s_or_b32 exec_lo, exec_lo, s9
	s_and_b32 s16, s6, s8
	s_delay_alu instid0(SALU_CYCLE_1)
	s_and_saveexec_b32 s9, s16
	s_cbranch_execz .LBB6_298
.LBB6_323:
	v_cmp_ne_u32_e32 vcc_lo, 1, v105
	v_lshlrev_b64 v[40:41], 2, v[76:77]
	s_cbranch_vccnz .LBB6_325
; %bb.324:
	s_delay_alu instid0(VALU_DEP_1) | instskip(NEXT) | instid1(VALU_DEP_2)
	v_add_co_u32 v46, vcc_lo, v44, v40
	v_add_co_ci_u32_e32 v47, vcc_lo, v45, v41, vcc_lo
	flat_load_b32 v46, v[46:47]
	s_waitcnt vmcnt(0) lgkmcnt(0)
	v_mul_f32_e32 v46, s15, v46
	s_branch .LBB6_326
.LBB6_325:
	v_mov_b32_e32 v46, 0
.LBB6_326:
	v_dual_add_f32 v47, v9, v37 :: v_dual_add_f32 v48, v8, v36
	v_dual_add_f32 v49, v11, v39 :: v_dual_add_f32 v50, v10, v38
	s_delay_alu instid0(VALU_DEP_4) | instskip(NEXT) | instid1(VALU_DEP_3)
	v_add_co_u32 v40, vcc_lo, v42, v40
	v_min3_f32 v47, v48, v47, v91
	v_add_co_ci_u32_e32 v41, vcc_lo, v43, v41, vcc_lo
	s_delay_alu instid0(VALU_DEP_4) | instskip(NEXT) | instid1(VALU_DEP_1)
	v_min_f32_e32 v48, v50, v49
	v_min3_f32 v46, v46, v48, v47
	global_store_b32 v[40:41], v46, off
	s_or_b32 exec_lo, exec_lo, s9
	s_and_b32 s9, s7, s8
	s_delay_alu instid0(SALU_CYCLE_1)
	s_and_saveexec_b32 s8, s9
	s_cbranch_execz .LBB6_331
.LBB6_327:
	v_cmp_ne_u32_e32 vcc_lo, 1, v105
	v_lshlrev_b64 v[40:41], 2, v[78:79]
	s_cbranch_vccnz .LBB6_329
; %bb.328:
	s_delay_alu instid0(VALU_DEP_1) | instskip(NEXT) | instid1(VALU_DEP_2)
	v_add_co_u32 v44, vcc_lo, v44, v40
	v_add_co_ci_u32_e32 v45, vcc_lo, v45, v41, vcc_lo
	flat_load_b32 v44, v[44:45]
	s_waitcnt vmcnt(0) lgkmcnt(0)
	v_mul_f32_e32 v44, s15, v44
	s_branch .LBB6_330
.LBB6_329:
	v_mov_b32_e32 v44, 0
.LBB6_330:
	v_dual_add_f32 v37, v1, v37 :: v_dual_add_f32 v36, v0, v36
	v_dual_add_f32 v39, v3, v39 :: v_dual_add_f32 v38, v2, v38
	s_delay_alu instid0(VALU_DEP_2) | instskip(NEXT) | instid1(VALU_DEP_2)
	v_min3_f32 v36, v36, v37, v90
	v_min_f32_e32 v37, v38, v39
	s_delay_alu instid0(VALU_DEP_1)
	v_min3_f32 v38, v44, v37, v36
	v_add_co_u32 v36, vcc_lo, v42, v40
	v_add_co_ci_u32_e32 v37, vcc_lo, v43, v41, vcc_lo
	global_store_b32 v[36:37], v38, off
.LBB6_331:
	s_or_b32 exec_lo, exec_lo, s8
	v_add_nc_u32_e32 v40, 56, v113
	s_delay_alu instid0(VALU_DEP_1) | instskip(SKIP_2) | instid1(VALU_DEP_3)
	v_mad_i64_i32 v[36:37], null, v40, s18, 0
	v_mad_i64_i32 v[38:39], null, v40, s14, 0
	v_cmp_gt_i32_e64 s8, s17, v40
	v_lshlrev_b64 v[36:37], 2, v[36:37]
	s_delay_alu instid0(VALU_DEP_2) | instskip(NEXT) | instid1(VALU_DEP_3)
	s_and_b32 s9, s0, s8
	v_lshlrev_b64 v[38:39], 2, v[38:39]
	s_delay_alu instid0(VALU_DEP_2) | instskip(NEXT) | instid1(VALU_DEP_3)
	v_add_co_u32 v40, vcc_lo, s10, v36
	v_add_co_ci_u32_e32 v41, vcc_lo, s11, v37, vcc_lo
	s_delay_alu instid0(VALU_DEP_3) | instskip(NEXT) | instid1(VALU_DEP_4)
	v_add_co_u32 v38, vcc_lo, s12, v38
	v_add_co_ci_u32_e32 v39, vcc_lo, s13, v39, vcc_lo
	s_and_saveexec_b32 s0, s9
	s_cbranch_execnz .LBB6_340
; %bb.332:
	s_or_b32 exec_lo, exec_lo, s0
	s_and_b32 s1, s1, s8
	s_delay_alu instid0(SALU_CYCLE_1)
	s_and_saveexec_b32 s0, s1
	s_cbranch_execnz .LBB6_344
.LBB6_333:
	s_or_b32 exec_lo, exec_lo, s0
	s_and_b32 s1, s2, s8
	s_delay_alu instid0(SALU_CYCLE_1)
	s_and_saveexec_b32 s0, s1
	s_cbranch_execnz .LBB6_348
.LBB6_334:
	s_or_b32 exec_lo, exec_lo, s0
	s_and_b32 s1, s3, s8
	s_delay_alu instid0(SALU_CYCLE_1)
	s_and_saveexec_b32 s0, s1
	s_cbranch_execnz .LBB6_352
.LBB6_335:
	s_or_b32 exec_lo, exec_lo, s0
	s_and_b32 s1, s4, s8
	s_delay_alu instid0(SALU_CYCLE_1)
	s_and_saveexec_b32 s0, s1
	s_cbranch_execnz .LBB6_356
.LBB6_336:
	s_or_b32 exec_lo, exec_lo, s0
	s_and_b32 s1, s5, s8
	s_delay_alu instid0(SALU_CYCLE_1)
	s_and_saveexec_b32 s0, s1
	s_cbranch_execnz .LBB6_360
.LBB6_337:
	s_or_b32 exec_lo, exec_lo, s0
	s_and_b32 s1, s6, s8
	s_delay_alu instid0(SALU_CYCLE_1)
	s_and_saveexec_b32 s0, s1
	s_cbranch_execnz .LBB6_364
.LBB6_338:
	s_or_b32 exec_lo, exec_lo, s0
	s_and_b32 s0, s7, s8
	s_delay_alu instid0(SALU_CYCLE_1)
	s_and_saveexec_b32 s1, s0
	s_cbranch_execnz .LBB6_368
.LBB6_339:
	s_nop 0
	s_sendmsg sendmsg(MSG_DEALLOC_VGPRS)
	s_endpgm
.LBB6_340:
	v_cmp_ne_u32_e32 vcc_lo, 1, v105
	v_lshlrev_b64 v[36:37], 2, v[64:65]
	s_cbranch_vccnz .LBB6_342
; %bb.341:
	s_delay_alu instid0(VALU_DEP_1) | instskip(NEXT) | instid1(VALU_DEP_2)
	v_add_co_u32 v42, vcc_lo, v40, v36
	v_add_co_ci_u32_e32 v43, vcc_lo, v41, v37, vcc_lo
	flat_load_b32 v42, v[42:43]
	s_waitcnt vmcnt(0) lgkmcnt(0)
	v_mul_f32_e32 v42, s15, v42
	s_branch .LBB6_343
.LBB6_342:
	v_mov_b32_e32 v42, 0
.LBB6_343:
	v_dual_add_f32 v33, v33, v5 :: v_dual_add_f32 v32, v32, v4
	v_dual_add_f32 v35, v35, v7 :: v_dual_add_f32 v34, v34, v6
	s_delay_alu instid0(VALU_DEP_2) | instskip(NEXT) | instid1(VALU_DEP_2)
	v_min3_f32 v32, v32, v33, v89
	v_min_f32_e32 v33, v34, v35
	s_delay_alu instid0(VALU_DEP_1)
	v_min3_f32 v34, v42, v33, v32
	v_add_co_u32 v32, vcc_lo, v38, v36
	v_add_co_ci_u32_e32 v33, vcc_lo, v39, v37, vcc_lo
	global_store_b32 v[32:33], v34, off
	s_or_b32 exec_lo, exec_lo, s0
	s_and_b32 s1, s1, s8
	s_delay_alu instid0(SALU_CYCLE_1)
	s_and_saveexec_b32 s0, s1
	s_cbranch_execz .LBB6_333
.LBB6_344:
	v_cmp_ne_u32_e32 vcc_lo, 1, v105
	v_lshlrev_b64 v[32:33], 2, v[66:67]
	s_cbranch_vccnz .LBB6_346
; %bb.345:
	s_delay_alu instid0(VALU_DEP_1) | instskip(NEXT) | instid1(VALU_DEP_2)
	v_add_co_u32 v34, vcc_lo, v40, v32
	v_add_co_ci_u32_e32 v35, vcc_lo, v41, v33, vcc_lo
	flat_load_b32 v34, v[34:35]
	s_waitcnt vmcnt(0) lgkmcnt(0)
	v_mul_f32_e32 v34, s15, v34
	s_branch .LBB6_347
.LBB6_346:
	v_mov_b32_e32 v34, 0
.LBB6_347:
	v_dual_add_f32 v29, v29, v5 :: v_dual_add_f32 v28, v28, v4
	v_dual_add_f32 v31, v31, v7 :: v_dual_add_f32 v30, v30, v6
	s_delay_alu instid0(VALU_DEP_2) | instskip(NEXT) | instid1(VALU_DEP_2)
	v_min3_f32 v28, v28, v29, v88
	v_min_f32_e32 v29, v30, v31
	s_delay_alu instid0(VALU_DEP_1)
	v_min3_f32 v30, v34, v29, v28
	v_add_co_u32 v28, vcc_lo, v38, v32
	v_add_co_ci_u32_e32 v29, vcc_lo, v39, v33, vcc_lo
	global_store_b32 v[28:29], v30, off
	s_or_b32 exec_lo, exec_lo, s0
	s_and_b32 s1, s2, s8
	s_delay_alu instid0(SALU_CYCLE_1)
	s_and_saveexec_b32 s0, s1
	s_cbranch_execz .LBB6_334
.LBB6_348:
	v_cmp_ne_u32_e32 vcc_lo, 1, v105
	v_lshlrev_b64 v[28:29], 2, v[68:69]
	s_cbranch_vccnz .LBB6_350
; %bb.349:
	s_delay_alu instid0(VALU_DEP_1) | instskip(NEXT) | instid1(VALU_DEP_2)
	v_add_co_u32 v30, vcc_lo, v40, v28
	v_add_co_ci_u32_e32 v31, vcc_lo, v41, v29, vcc_lo
	flat_load_b32 v30, v[30:31]
	s_waitcnt vmcnt(0) lgkmcnt(0)
	v_mul_f32_e32 v30, s15, v30
	s_branch .LBB6_351
.LBB6_350:
	v_mov_b32_e32 v30, 0
.LBB6_351:
	v_dual_add_f32 v25, v25, v5 :: v_dual_add_f32 v24, v24, v4
	v_dual_add_f32 v27, v27, v7 :: v_dual_add_f32 v26, v26, v6
	s_delay_alu instid0(VALU_DEP_2) | instskip(NEXT) | instid1(VALU_DEP_2)
	v_min3_f32 v24, v24, v25, v87
	v_min_f32_e32 v25, v26, v27
	s_delay_alu instid0(VALU_DEP_1)
	v_min3_f32 v26, v30, v25, v24
	v_add_co_u32 v24, vcc_lo, v38, v28
	v_add_co_ci_u32_e32 v25, vcc_lo, v39, v29, vcc_lo
	global_store_b32 v[24:25], v26, off
	s_or_b32 exec_lo, exec_lo, s0
	s_and_b32 s1, s3, s8
	s_delay_alu instid0(SALU_CYCLE_1)
	s_and_saveexec_b32 s0, s1
	s_cbranch_execz .LBB6_335
.LBB6_352:
	v_cmp_ne_u32_e32 vcc_lo, 1, v105
	v_lshlrev_b64 v[24:25], 2, v[70:71]
	s_cbranch_vccnz .LBB6_354
; %bb.353:
	s_delay_alu instid0(VALU_DEP_1) | instskip(NEXT) | instid1(VALU_DEP_2)
	v_add_co_u32 v26, vcc_lo, v40, v24
	v_add_co_ci_u32_e32 v27, vcc_lo, v41, v25, vcc_lo
	flat_load_b32 v26, v[26:27]
	s_waitcnt vmcnt(0) lgkmcnt(0)
	v_mul_f32_e32 v26, s15, v26
	s_branch .LBB6_355
.LBB6_354:
	v_mov_b32_e32 v26, 0
.LBB6_355:
	v_dual_add_f32 v21, v21, v5 :: v_dual_add_f32 v20, v20, v4
	v_dual_add_f32 v23, v23, v7 :: v_dual_add_f32 v22, v22, v6
	s_delay_alu instid0(VALU_DEP_2) | instskip(NEXT) | instid1(VALU_DEP_2)
	v_min3_f32 v20, v20, v21, v86
	v_min_f32_e32 v21, v22, v23
	s_delay_alu instid0(VALU_DEP_1)
	v_min3_f32 v22, v26, v21, v20
	v_add_co_u32 v20, vcc_lo, v38, v24
	v_add_co_ci_u32_e32 v21, vcc_lo, v39, v25, vcc_lo
	global_store_b32 v[20:21], v22, off
	s_or_b32 exec_lo, exec_lo, s0
	s_and_b32 s1, s4, s8
	s_delay_alu instid0(SALU_CYCLE_1)
	s_and_saveexec_b32 s0, s1
	s_cbranch_execz .LBB6_336
.LBB6_356:
	v_cmp_ne_u32_e32 vcc_lo, 1, v105
	v_lshlrev_b64 v[20:21], 2, v[72:73]
	s_cbranch_vccnz .LBB6_358
; %bb.357:
	s_delay_alu instid0(VALU_DEP_1) | instskip(NEXT) | instid1(VALU_DEP_2)
	v_add_co_u32 v22, vcc_lo, v40, v20
	v_add_co_ci_u32_e32 v23, vcc_lo, v41, v21, vcc_lo
	flat_load_b32 v22, v[22:23]
	s_waitcnt vmcnt(0) lgkmcnt(0)
	v_mul_f32_e32 v22, s15, v22
	s_branch .LBB6_359
.LBB6_358:
	v_mov_b32_e32 v22, 0
.LBB6_359:
	v_dual_add_f32 v17, v17, v5 :: v_dual_add_f32 v16, v16, v4
	v_dual_add_f32 v19, v19, v7 :: v_dual_add_f32 v18, v18, v6
	s_delay_alu instid0(VALU_DEP_2) | instskip(NEXT) | instid1(VALU_DEP_2)
	v_min3_f32 v16, v16, v17, v85
	v_min_f32_e32 v17, v18, v19
	s_delay_alu instid0(VALU_DEP_1)
	v_min3_f32 v18, v22, v17, v16
	v_add_co_u32 v16, vcc_lo, v38, v20
	v_add_co_ci_u32_e32 v17, vcc_lo, v39, v21, vcc_lo
	global_store_b32 v[16:17], v18, off
	s_or_b32 exec_lo, exec_lo, s0
	s_and_b32 s1, s5, s8
	s_delay_alu instid0(SALU_CYCLE_1)
	s_and_saveexec_b32 s0, s1
	s_cbranch_execz .LBB6_337
.LBB6_360:
	v_cmp_ne_u32_e32 vcc_lo, 1, v105
	v_lshlrev_b64 v[16:17], 2, v[74:75]
	s_cbranch_vccnz .LBB6_362
; %bb.361:
	s_delay_alu instid0(VALU_DEP_1) | instskip(NEXT) | instid1(VALU_DEP_2)
	v_add_co_u32 v18, vcc_lo, v40, v16
	v_add_co_ci_u32_e32 v19, vcc_lo, v41, v17, vcc_lo
	flat_load_b32 v18, v[18:19]
	s_waitcnt vmcnt(0) lgkmcnt(0)
	v_mul_f32_e32 v18, s15, v18
	s_branch .LBB6_363
.LBB6_362:
	v_mov_b32_e32 v18, 0
.LBB6_363:
	v_dual_add_f32 v13, v13, v5 :: v_dual_add_f32 v12, v12, v4
	v_dual_add_f32 v15, v15, v7 :: v_dual_add_f32 v14, v14, v6
	s_delay_alu instid0(VALU_DEP_2) | instskip(NEXT) | instid1(VALU_DEP_2)
	v_min3_f32 v12, v12, v13, v84
	v_min_f32_e32 v13, v14, v15
	s_delay_alu instid0(VALU_DEP_1)
	v_min3_f32 v14, v18, v13, v12
	v_add_co_u32 v12, vcc_lo, v38, v16
	v_add_co_ci_u32_e32 v13, vcc_lo, v39, v17, vcc_lo
	global_store_b32 v[12:13], v14, off
	s_or_b32 exec_lo, exec_lo, s0
	s_and_b32 s1, s6, s8
	s_delay_alu instid0(SALU_CYCLE_1)
	s_and_saveexec_b32 s0, s1
	s_cbranch_execz .LBB6_338
.LBB6_364:
	v_cmp_ne_u32_e32 vcc_lo, 1, v105
	v_lshlrev_b64 v[12:13], 2, v[76:77]
	s_cbranch_vccnz .LBB6_366
; %bb.365:
	s_delay_alu instid0(VALU_DEP_1) | instskip(NEXT) | instid1(VALU_DEP_2)
	v_add_co_u32 v14, vcc_lo, v40, v12
	v_add_co_ci_u32_e32 v15, vcc_lo, v41, v13, vcc_lo
	flat_load_b32 v14, v[14:15]
	s_waitcnt vmcnt(0) lgkmcnt(0)
	v_mul_f32_e32 v14, s15, v14
	s_branch .LBB6_367
.LBB6_366:
	v_mov_b32_e32 v14, 0
.LBB6_367:
	v_dual_add_f32 v9, v9, v5 :: v_dual_add_f32 v8, v8, v4
	v_dual_add_f32 v11, v11, v7 :: v_dual_add_f32 v10, v10, v6
	s_delay_alu instid0(VALU_DEP_2) | instskip(NEXT) | instid1(VALU_DEP_2)
	v_min3_f32 v8, v8, v9, v83
	v_min_f32_e32 v9, v10, v11
	s_delay_alu instid0(VALU_DEP_1)
	v_min3_f32 v10, v14, v9, v8
	v_add_co_u32 v8, vcc_lo, v38, v12
	v_add_co_ci_u32_e32 v9, vcc_lo, v39, v13, vcc_lo
	global_store_b32 v[8:9], v10, off
	s_or_b32 exec_lo, exec_lo, s0
	s_and_b32 s0, s7, s8
	s_delay_alu instid0(SALU_CYCLE_1)
	s_and_saveexec_b32 s1, s0
	s_cbranch_execz .LBB6_339
.LBB6_368:
	v_cmp_ne_u32_e32 vcc_lo, 1, v105
	v_lshlrev_b64 v[8:9], 2, v[78:79]
	s_cbranch_vccnz .LBB6_370
; %bb.369:
	s_delay_alu instid0(VALU_DEP_1) | instskip(NEXT) | instid1(VALU_DEP_2)
	v_add_co_u32 v10, vcc_lo, v40, v8
	v_add_co_ci_u32_e32 v11, vcc_lo, v41, v9, vcc_lo
	flat_load_b32 v10, v[10:11]
	s_waitcnt vmcnt(0) lgkmcnt(0)
	v_mul_f32_e32 v10, s15, v10
	s_branch .LBB6_371
.LBB6_370:
	v_mov_b32_e32 v10, 0
.LBB6_371:
	v_dual_add_f32 v1, v1, v5 :: v_dual_add_f32 v0, v0, v4
	v_dual_add_f32 v3, v3, v7 :: v_dual_add_f32 v2, v2, v6
	s_delay_alu instid0(VALU_DEP_2) | instskip(NEXT) | instid1(VALU_DEP_2)
	v_min3_f32 v0, v0, v1, v82
	v_min_f32_e32 v1, v2, v3
	s_delay_alu instid0(VALU_DEP_1)
	v_min3_f32 v2, v10, v1, v0
	v_add_co_u32 v0, vcc_lo, v38, v8
	v_add_co_ci_u32_e32 v1, vcc_lo, v39, v9, vcc_lo
	global_store_b32 v[0:1], v2, off
	s_nop 0
	s_sendmsg sendmsg(MSG_DEALLOC_VGPRS)
	s_endpgm
	.section	.rodata,"a",@progbits
	.p2align	6, 0x0
	.amdhsa_kernel _ZN12_GLOBAL__N_120geam_min_plus_kernelIf15HIP_vector_typeIfLj2EEfLi32ELi8ELi256ELi64ELi4ELi64ELi4ELi4ELi64ELc78ELc78ELb0ELb1ELb1EPKfKS4_KPfEEviiiT16_PT17_ilSA_ilS8_SA_ilPT18_ili26rocblas_geam_ex_operation_
		.amdhsa_group_segment_fixed_size 10240
		.amdhsa_private_segment_fixed_size 84
		.amdhsa_kernarg_size 136
		.amdhsa_user_sgpr_count 14
		.amdhsa_user_sgpr_dispatch_ptr 0
		.amdhsa_user_sgpr_queue_ptr 0
		.amdhsa_user_sgpr_kernarg_segment_ptr 1
		.amdhsa_user_sgpr_dispatch_id 0
		.amdhsa_user_sgpr_private_segment_size 0
		.amdhsa_wavefront_size32 1
		.amdhsa_uses_dynamic_stack 0
		.amdhsa_enable_private_segment 1
		.amdhsa_system_sgpr_workgroup_id_x 1
		.amdhsa_system_sgpr_workgroup_id_y 0
		.amdhsa_system_sgpr_workgroup_id_z 1
		.amdhsa_system_sgpr_workgroup_info 0
		.amdhsa_system_vgpr_workitem_id 1
		.amdhsa_next_free_vgpr 256
		.amdhsa_next_free_sgpr 29
		.amdhsa_reserve_vcc 1
		.amdhsa_float_round_mode_32 0
		.amdhsa_float_round_mode_16_64 0
		.amdhsa_float_denorm_mode_32 3
		.amdhsa_float_denorm_mode_16_64 3
		.amdhsa_dx10_clamp 1
		.amdhsa_ieee_mode 1
		.amdhsa_fp16_overflow 0
		.amdhsa_workgroup_processor_mode 1
		.amdhsa_memory_ordered 1
		.amdhsa_forward_progress 0
		.amdhsa_shared_vgpr_count 0
		.amdhsa_exception_fp_ieee_invalid_op 0
		.amdhsa_exception_fp_denorm_src 0
		.amdhsa_exception_fp_ieee_div_zero 0
		.amdhsa_exception_fp_ieee_overflow 0
		.amdhsa_exception_fp_ieee_underflow 0
		.amdhsa_exception_fp_ieee_inexact 0
		.amdhsa_exception_int_div_zero 0
	.end_amdhsa_kernel
	.section	.text._ZN12_GLOBAL__N_120geam_min_plus_kernelIf15HIP_vector_typeIfLj2EEfLi32ELi8ELi256ELi64ELi4ELi64ELi4ELi4ELi64ELc78ELc78ELb0ELb1ELb1EPKfKS4_KPfEEviiiT16_PT17_ilSA_ilS8_SA_ilPT18_ili26rocblas_geam_ex_operation_,"axG",@progbits,_ZN12_GLOBAL__N_120geam_min_plus_kernelIf15HIP_vector_typeIfLj2EEfLi32ELi8ELi256ELi64ELi4ELi64ELi4ELi4ELi64ELc78ELc78ELb0ELb1ELb1EPKfKS4_KPfEEviiiT16_PT17_ilSA_ilS8_SA_ilPT18_ili26rocblas_geam_ex_operation_,comdat
.Lfunc_end6:
	.size	_ZN12_GLOBAL__N_120geam_min_plus_kernelIf15HIP_vector_typeIfLj2EEfLi32ELi8ELi256ELi64ELi4ELi64ELi4ELi4ELi64ELc78ELc78ELb0ELb1ELb1EPKfKS4_KPfEEviiiT16_PT17_ilSA_ilS8_SA_ilPT18_ili26rocblas_geam_ex_operation_, .Lfunc_end6-_ZN12_GLOBAL__N_120geam_min_plus_kernelIf15HIP_vector_typeIfLj2EEfLi32ELi8ELi256ELi64ELi4ELi64ELi4ELi4ELi64ELc78ELc78ELb0ELb1ELb1EPKfKS4_KPfEEviiiT16_PT17_ilSA_ilS8_SA_ilPT18_ili26rocblas_geam_ex_operation_
                                        ; -- End function
	.section	.AMDGPU.csdata,"",@progbits
; Kernel info:
; codeLenInByte = 21612
; NumSgprs: 31
; NumVgprs: 256
; ScratchSize: 84
; MemoryBound: 0
; FloatMode: 240
; IeeeMode: 1
; LDSByteSize: 10240 bytes/workgroup (compile time only)
; SGPRBlocks: 3
; VGPRBlocks: 31
; NumSGPRsForWavesPerEU: 31
; NumVGPRsForWavesPerEU: 256
; Occupancy: 5
; WaveLimiterHint : 1
; COMPUTE_PGM_RSRC2:SCRATCH_EN: 1
; COMPUTE_PGM_RSRC2:USER_SGPR: 14
; COMPUTE_PGM_RSRC2:TRAP_HANDLER: 0
; COMPUTE_PGM_RSRC2:TGID_X_EN: 1
; COMPUTE_PGM_RSRC2:TGID_Y_EN: 0
; COMPUTE_PGM_RSRC2:TGID_Z_EN: 1
; COMPUTE_PGM_RSRC2:TIDIG_COMP_CNT: 1
	.section	.text._ZN12_GLOBAL__N_120geam_min_plus_kernelIf15HIP_vector_typeIfLj2EEfLi32ELi8ELi256ELi64ELi4ELi64ELi4ELi4ELi64ELc78ELc78ELb1ELb1ELb1EfKPKfKPfEEviiiT16_PT17_ilSA_ilS8_SA_ilPT18_ili26rocblas_geam_ex_operation_,"axG",@progbits,_ZN12_GLOBAL__N_120geam_min_plus_kernelIf15HIP_vector_typeIfLj2EEfLi32ELi8ELi256ELi64ELi4ELi64ELi4ELi4ELi64ELc78ELc78ELb1ELb1ELb1EfKPKfKPfEEviiiT16_PT17_ilSA_ilS8_SA_ilPT18_ili26rocblas_geam_ex_operation_,comdat
	.globl	_ZN12_GLOBAL__N_120geam_min_plus_kernelIf15HIP_vector_typeIfLj2EEfLi32ELi8ELi256ELi64ELi4ELi64ELi4ELi4ELi64ELc78ELc78ELb1ELb1ELb1EfKPKfKPfEEviiiT16_PT17_ilSA_ilS8_SA_ilPT18_ili26rocblas_geam_ex_operation_ ; -- Begin function _ZN12_GLOBAL__N_120geam_min_plus_kernelIf15HIP_vector_typeIfLj2EEfLi32ELi8ELi256ELi64ELi4ELi64ELi4ELi4ELi64ELc78ELc78ELb1ELb1ELb1EfKPKfKPfEEviiiT16_PT17_ilSA_ilS8_SA_ilPT18_ili26rocblas_geam_ex_operation_
	.p2align	8
	.type	_ZN12_GLOBAL__N_120geam_min_plus_kernelIf15HIP_vector_typeIfLj2EEfLi32ELi8ELi256ELi64ELi4ELi64ELi4ELi4ELi64ELc78ELc78ELb1ELb1ELb1EfKPKfKPfEEviiiT16_PT17_ilSA_ilS8_SA_ilPT18_ili26rocblas_geam_ex_operation_,@function
_ZN12_GLOBAL__N_120geam_min_plus_kernelIf15HIP_vector_typeIfLj2EEfLi32ELi8ELi256ELi64ELi4ELi64ELi4ELi4ELi64ELc78ELc78ELb1ELb1ELb1EfKPKfKPfEEviiiT16_PT17_ilSA_ilS8_SA_ilPT18_ili26rocblas_geam_ex_operation_: ; @_ZN12_GLOBAL__N_120geam_min_plus_kernelIf15HIP_vector_typeIfLj2EEfLi32ELi8ELi256ELi64ELi4ELi64ELi4ELi4ELi64ELc78ELc78ELb1ELb1ELb1EfKPKfKPfEEviiiT16_PT17_ilSA_ilS8_SA_ilPT18_ili26rocblas_geam_ex_operation_
; %bb.0:
	s_clause 0x1
	s_load_b128 s[16:19], s[0:1], 0x0
	s_load_b128 s[4:7], s[0:1], 0x20
	s_mov_b32 s2, s15
	s_mov_b32 s3, 0
	s_waitcnt lgkmcnt(0)
	v_cmp_eq_f32_e64 s10, s19, 0
	s_delay_alu instid0(VALU_DEP_1)
	s_and_b32 vcc_lo, exec_lo, s10
	s_cbranch_vccnz .LBB7_3
; %bb.1:
	s_load_b64 s[8:9], s[0:1], 0x10
	s_lshl_b64 s[12:13], s[2:3], 3
	s_waitcnt lgkmcnt(0)
	s_add_u32 s8, s8, s12
	s_addc_u32 s9, s9, s13
	s_lshl_b64 s[4:5], s[4:5], 2
	s_load_b64 s[8:9], s[8:9], 0x0
	s_waitcnt lgkmcnt(0)
	s_add_u32 s8, s8, s4
	s_addc_u32 s9, s9, s5
	s_and_not1_b32 vcc_lo, exec_lo, s10
	s_cbranch_vccnz .LBB7_4
.LBB7_2:
	s_mov_b64 s[20:21], 0
	s_and_not1_b32 vcc_lo, exec_lo, s3
	s_cbranch_vccz .LBB7_5
	s_branch .LBB7_6
.LBB7_3:
	s_mov_b64 s[8:9], 0
	s_and_not1_b32 vcc_lo, exec_lo, s10
	s_cbranch_vccz .LBB7_2
.LBB7_4:
	s_mov_b32 s3, -1
                                        ; implicit-def: $sgpr20_sgpr21
.LBB7_5:
	s_mov_b32 s3, 0
	s_load_b64 s[10:11], s[0:1], 0x38
	s_lshl_b64 s[4:5], s[2:3], 3
	s_delay_alu instid0(SALU_CYCLE_1) | instskip(SKIP_4) | instid1(SALU_CYCLE_1)
	s_add_u32 s4, s6, s4
	s_addc_u32 s5, s7, s5
	s_load_b64 s[4:5], s[4:5], 0x0
	s_waitcnt lgkmcnt(0)
	s_lshl_b64 s[6:7], s[10:11], 2
	s_add_u32 s20, s4, s6
	s_addc_u32 s21, s5, s7
.LBB7_6:
	s_clause 0x1
	s_load_b32 s15, s[0:1], 0x40
	s_load_b128 s[4:7], s[0:1], 0x58
	s_waitcnt lgkmcnt(0)
	v_cmp_eq_f32_e64 s10, s15, 0
	v_cmp_neq_f32_e64 s19, s15, 0
	s_delay_alu instid0(VALU_DEP_2)
	s_and_b32 vcc_lo, exec_lo, s10
	s_cbranch_vccnz .LBB7_8
; %bb.7:
	s_load_b64 s[10:11], s[0:1], 0x48
	s_lshl_b64 s[12:13], s[2:3], 3
	s_waitcnt lgkmcnt(0)
	s_add_u32 s10, s10, s12
	s_addc_u32 s11, s11, s13
	s_lshl_b64 s[4:5], s[4:5], 2
	s_load_b64 s[10:11], s[10:11], 0x0
	s_waitcnt lgkmcnt(0)
	s_add_u32 s10, s10, s4
	s_addc_u32 s11, s11, s5
	s_branch .LBB7_9
.LBB7_8:
	s_mov_b64 s[10:11], 0
.LBB7_9:
	s_lshl_b64 s[2:3], s[2:3], 3
	s_load_b32 s22, s[0:1], 0x18
	s_add_u32 s2, s6, s2
	s_addc_u32 s3, s7, s3
	s_add_i32 s4, s16, -1
	v_and_b32_e32 v18, 0x3ff, v0
	s_ashr_i32 s5, s4, 31
	v_bfe_u32 v19, v0, 10, 10
	s_lshr_b32 s5, s5, 24
	s_delay_alu instid0(SALU_CYCLE_1) | instskip(NEXT) | instid1(SALU_CYCLE_1)
	s_add_i32 s4, s4, s5
	s_ashr_i32 s4, s4, 8
	s_delay_alu instid0(VALU_DEP_1) | instskip(SKIP_3) | instid1(VALU_DEP_2)
	v_lshl_add_u32 v5, v19, 5, v18
	s_add_i32 s5, s4, 1
	s_not_b32 s4, s4
	v_cvt_f32_u32_e32 v1, s5
	v_lshrrev_b32_e32 v72, 6, v5
	v_and_b32_e32 v0, 63, v5
	s_delay_alu instid0(VALU_DEP_3) | instskip(SKIP_2) | instid1(VALU_DEP_1)
	v_rcp_iflag_f32_e32 v1, v1
	s_waitcnt_depctr 0xfff
	v_mul_f32_e32 v1, 0x4f7ffffe, v1
	v_cvt_u32_f32_e32 v1, v1
	s_delay_alu instid0(VALU_DEP_1) | instskip(SKIP_2) | instid1(VALU_DEP_2)
	v_readfirstlane_b32 s6, v1
	s_waitcnt lgkmcnt(0)
	v_mad_i64_i32 v[1:2], null, s22, v72, 0
	s_mul_i32 s4, s4, s6
	s_delay_alu instid0(SALU_CYCLE_1) | instskip(NEXT) | instid1(SALU_CYCLE_1)
	s_mul_hi_u32 s4, s6, s4
	s_add_i32 s6, s6, s4
	s_delay_alu instid0(VALU_DEP_1) | instskip(SKIP_1) | instid1(SALU_CYCLE_1)
	v_lshlrev_b64 v[1:2], 2, v[1:2]
	s_mul_hi_u32 s4, s14, s6
	s_mul_i32 s6, s4, s5
	s_add_i32 s7, s4, 1
	s_sub_i32 s6, s14, s6
	s_delay_alu instid0(SALU_CYCLE_1)
	s_sub_i32 s12, s6, s5
	s_cmp_ge_u32 s6, s5
	s_cselect_b32 s4, s7, s4
	s_cselect_b32 s6, s12, s6
	s_add_i32 s7, s4, 1
	s_cmp_ge_u32 s6, s5
	s_load_b64 s[12:13], s[2:3], 0x0
	s_cselect_b32 s6, s7, s4
	v_add_co_u32 v6, s2, s8, v1
	v_mov_b32_e32 v1, 0x7f7fffff
	s_mul_i32 s4, s6, s5
	v_cmp_le_i32_e64 s5, s18, v72
	s_sub_i32 s4, s14, s4
	v_add_co_ci_u32_e64 v7, s2, s9, v2, s2
	s_lshl_b32 s7, s4, 8
	v_mov_b32_e32 v2, 0x7f7fffff
	v_or_b32_e32 v16, s7, v0
	s_delay_alu instid0(VALU_DEP_1) | instskip(SKIP_2) | instid1(SALU_CYCLE_1)
	v_cmp_le_i32_e32 vcc_lo, s16, v16
	v_ashrrev_i32_e32 v17, 31, v16
	s_or_b32 s2, vcc_lo, s5
	s_xor_b32 s2, s2, -1
	s_delay_alu instid0(SALU_CYCLE_1)
	s_and_saveexec_b32 s3, s2
	s_cbranch_execz .LBB7_11
; %bb.10:
	v_lshlrev_b64 v[2:3], 2, v[16:17]
	s_delay_alu instid0(VALU_DEP_1) | instskip(NEXT) | instid1(VALU_DEP_1)
	v_add_co_u32 v2, s2, v6, v2
	v_add_co_ci_u32_e64 v3, s2, v7, v3, s2
	flat_load_b32 v2, v[2:3]
.LBB7_11:
	s_or_b32 exec_lo, exec_lo, s3
	v_or_b32_e32 v3, 64, v16
	s_delay_alu instid0(VALU_DEP_1) | instskip(NEXT) | instid1(VALU_DEP_1)
	v_cmp_le_i32_e64 s2, s16, v3
	s_or_b32 s3, s2, s5
	s_delay_alu instid0(SALU_CYCLE_1) | instskip(NEXT) | instid1(SALU_CYCLE_1)
	s_xor_b32 s3, s3, -1
	s_and_saveexec_b32 s4, s3
	s_cbranch_execz .LBB7_13
; %bb.12:
	v_lshlrev_b64 v[3:4], 2, v[16:17]
	s_delay_alu instid0(VALU_DEP_1) | instskip(NEXT) | instid1(VALU_DEP_1)
	v_add_co_u32 v3, s3, v6, v3
	v_add_co_ci_u32_e64 v4, s3, v7, v4, s3
	flat_load_b32 v1, v[3:4] offset:256
.LBB7_13:
	s_or_b32 exec_lo, exec_lo, s4
	v_or_b32_e32 v3, 0x80, v16
	s_ashr_i32 s23, s22, 31
	v_mov_b32_e32 v4, 0x7f7fffff
	s_delay_alu instid0(VALU_DEP_2) | instskip(SKIP_1) | instid1(VALU_DEP_2)
	v_cmp_le_i32_e64 s3, s16, v3
	v_mov_b32_e32 v3, 0x7f7fffff
	s_or_b32 s4, s3, s5
	s_delay_alu instid0(SALU_CYCLE_1) | instskip(NEXT) | instid1(SALU_CYCLE_1)
	s_xor_b32 s4, s4, -1
	s_and_saveexec_b32 s14, s4
	s_cbranch_execz .LBB7_15
; %bb.14:
	v_lshlrev_b64 v[8:9], 2, v[16:17]
	s_delay_alu instid0(VALU_DEP_1) | instskip(NEXT) | instid1(VALU_DEP_1)
	v_add_co_u32 v8, s4, v6, v8
	v_add_co_ci_u32_e64 v9, s4, v7, v9, s4
	flat_load_b32 v4, v[8:9] offset:512
.LBB7_15:
	s_or_b32 exec_lo, exec_lo, s14
	v_or_b32_e32 v8, 0xc0, v16
	s_delay_alu instid0(VALU_DEP_1) | instskip(NEXT) | instid1(VALU_DEP_1)
	v_cmp_le_i32_e64 s4, s16, v8
	s_or_b32 s5, s4, s5
	s_delay_alu instid0(SALU_CYCLE_1) | instskip(NEXT) | instid1(SALU_CYCLE_1)
	s_xor_b32 s5, s5, -1
	s_and_saveexec_b32 s14, s5
	s_cbranch_execz .LBB7_17
; %bb.16:
	v_lshlrev_b64 v[8:9], 2, v[16:17]
	s_delay_alu instid0(VALU_DEP_1) | instskip(NEXT) | instid1(VALU_DEP_1)
	v_add_co_u32 v6, s5, v6, v8
	v_add_co_ci_u32_e64 v7, s5, v7, v9, s5
	flat_load_b32 v3, v[6:7] offset:768
.LBB7_17:
	s_or_b32 exec_lo, exec_lo, s14
	s_load_b32 s25, s[0:1], 0x30
	v_lshrrev_b32_e32 v5, 2, v5
	s_lshl_b32 s24, s6, 6
	v_dual_mov_b32 v10, 0x7f7fffff :: v_dual_and_b32 v75, 3, v18
	s_delay_alu instid0(VALU_DEP_2) | instskip(NEXT) | instid1(VALU_DEP_2)
	v_add_nc_u32_e32 v6, s24, v5
	v_cmp_gt_i32_e64 s6, s18, v75
	v_lshlrev_b32_e32 v11, 2, v75
	s_delay_alu instid0(VALU_DEP_3) | instskip(SKIP_3) | instid1(SALU_CYCLE_1)
	v_cmp_le_i32_e64 s5, s17, v6
	scratch_store_b32 off, v6, off          ; 4-byte Folded Spill
	v_mov_b32_e32 v6, 0x7f7fffff
	s_xor_b32 s14, s5, -1
	s_and_b32 s5, s6, s14
	s_delay_alu instid0(SALU_CYCLE_1)
	s_and_saveexec_b32 s6, s5
	s_cbranch_execz .LBB7_19
; %bb.18:
	scratch_load_b32 v8, off, off           ; 4-byte Folded Reload
	s_waitcnt vmcnt(0) lgkmcnt(0)
	v_mad_i64_i32 v[6:7], null, v8, s25, 0
	s_delay_alu instid0(VALU_DEP_1) | instskip(NEXT) | instid1(VALU_DEP_1)
	v_lshlrev_b64 v[6:7], 2, v[6:7]
	v_add_co_u32 v6, s5, s20, v6
	s_delay_alu instid0(VALU_DEP_1) | instskip(NEXT) | instid1(VALU_DEP_2)
	v_add_co_ci_u32_e64 v7, s5, s21, v7, s5
	v_add_co_u32 v6, s5, v6, v11
	s_delay_alu instid0(VALU_DEP_1)
	v_add_co_ci_u32_e64 v7, s5, 0, v7, s5
	flat_load_b32 v6, v[6:7]
.LBB7_19:
	s_or_b32 exec_lo, exec_lo, s6
	v_add_nc_u32_e32 v9, 4, v72
	s_delay_alu instid0(VALU_DEP_1) | instskip(SKIP_1) | instid1(VALU_DEP_2)
	v_mad_i64_i32 v[7:8], null, s22, v9, 0
	v_cmp_le_i32_e64 s5, s18, v9
	v_lshlrev_b64 v[7:8], 2, v[7:8]
	s_delay_alu instid0(VALU_DEP_1) | instskip(NEXT) | instid1(VALU_DEP_1)
	v_add_co_u32 v7, s6, s8, v7
	v_add_co_ci_u32_e64 v8, s6, s9, v8, s6
	s_delay_alu instid0(VALU_DEP_4) | instskip(NEXT) | instid1(SALU_CYCLE_1)
	s_or_b32 s6, vcc_lo, s5
	s_xor_b32 s6, s6, -1
	s_delay_alu instid0(SALU_CYCLE_1)
	s_and_saveexec_b32 s26, s6
	s_cbranch_execz .LBB7_21
; %bb.20:
	v_lshlrev_b64 v[9:10], 2, v[16:17]
	s_delay_alu instid0(VALU_DEP_1) | instskip(NEXT) | instid1(VALU_DEP_1)
	v_add_co_u32 v9, s6, v7, v9
	v_add_co_ci_u32_e64 v10, s6, v8, v10, s6
	flat_load_b32 v10, v[9:10]
.LBB7_21:
	s_or_b32 exec_lo, exec_lo, s26
	v_dual_mov_b32 v12, 0x7f7fffff :: v_dual_mov_b32 v9, 0x7f7fffff
	s_or_b32 s6, s2, s5
	s_waitcnt vmcnt(0) lgkmcnt(0)
	scratch_store_b32 off, v10, off offset:4 ; 4-byte Folded Spill
	s_xor_b32 s6, s6, -1
	s_delay_alu instid0(SALU_CYCLE_1)
	s_and_saveexec_b32 s26, s6
	s_cbranch_execz .LBB7_23
; %bb.22:
	v_lshlrev_b64 v[9:10], 2, v[16:17]
	s_delay_alu instid0(VALU_DEP_1) | instskip(NEXT) | instid1(VALU_DEP_1)
	v_add_co_u32 v9, s6, v7, v9
	v_add_co_ci_u32_e64 v10, s6, v8, v10, s6
	flat_load_b32 v9, v[9:10] offset:256
.LBB7_23:
	s_or_b32 exec_lo, exec_lo, s26
	s_or_b32 s6, s3, s5
	s_waitcnt vmcnt(0) lgkmcnt(0)
	scratch_store_b32 off, v9, off offset:12 ; 4-byte Folded Spill
	s_xor_b32 s6, s6, -1
	s_delay_alu instid0(SALU_CYCLE_1)
	s_and_saveexec_b32 s26, s6
	s_cbranch_execz .LBB7_25
; %bb.24:
	v_lshlrev_b64 v[9:10], 2, v[16:17]
	s_delay_alu instid0(VALU_DEP_1) | instskip(NEXT) | instid1(VALU_DEP_1)
	v_add_co_u32 v9, s6, v7, v9
	v_add_co_ci_u32_e64 v10, s6, v8, v10, s6
	flat_load_b32 v12, v[9:10] offset:512
.LBB7_25:
	s_or_b32 exec_lo, exec_lo, s26
	v_mov_b32_e32 v24, 0x7f7fffff
	v_mov_b32_e32 v152, 0x7f7fffff
	s_or_b32 s5, s4, s5
	s_delay_alu instid0(SALU_CYCLE_1) | instskip(NEXT) | instid1(SALU_CYCLE_1)
	s_xor_b32 s5, s5, -1
	s_and_saveexec_b32 s6, s5
	s_cbranch_execz .LBB7_27
; %bb.26:
	v_lshlrev_b64 v[9:10], 2, v[16:17]
	s_delay_alu instid0(VALU_DEP_1) | instskip(NEXT) | instid1(VALU_DEP_1)
	v_add_co_u32 v7, s5, v7, v9
	v_add_co_ci_u32_e64 v8, s5, v8, v10, s5
	flat_load_b32 v152, v[7:8] offset:768
.LBB7_27:
	s_or_b32 exec_lo, exec_lo, s6
	v_or_b32_e32 v7, 4, v75
	s_waitcnt vmcnt(0) lgkmcnt(0)
	scratch_store_b32 off, v12, off offset:8 ; 4-byte Folded Spill
	v_cmp_gt_i32_e64 s5, s18, v7
	s_delay_alu instid0(VALU_DEP_1) | instskip(NEXT) | instid1(SALU_CYCLE_1)
	s_and_b32 s5, s5, s14
	s_and_saveexec_b32 s6, s5
	s_cbranch_execz .LBB7_29
; %bb.28:
	scratch_load_b32 v9, off, off           ; 4-byte Folded Reload
	s_waitcnt vmcnt(0)
	v_mad_i64_i32 v[7:8], null, v9, s25, 0
	s_delay_alu instid0(VALU_DEP_1) | instskip(NEXT) | instid1(VALU_DEP_1)
	v_lshlrev_b64 v[7:8], 2, v[7:8]
	v_add_co_u32 v7, s5, s20, v7
	s_delay_alu instid0(VALU_DEP_1) | instskip(NEXT) | instid1(VALU_DEP_2)
	v_add_co_ci_u32_e64 v8, s5, s21, v8, s5
	v_add_co_u32 v7, s5, v7, v11
	s_delay_alu instid0(VALU_DEP_1)
	v_add_co_ci_u32_e64 v8, s5, 0, v8, s5
	flat_load_b32 v24, v[7:8] offset:16
.LBB7_29:
	s_or_b32 exec_lo, exec_lo, s6
	v_lshlrev_b32_e32 v7, 2, v72
	v_lshl_or_b32 v5, v5, 4, v11
	v_lshlrev_b32_e32 v73, 4, v19
	v_lshlrev_b32_e32 v74, 4, v18
	s_cmp_lt_i32 s18, 9
	v_lshl_add_u32 v76, v0, 4, v7
	scratch_store_b32 off, v5, off offset:16 ; 4-byte Folded Spill
	ds_store_b32 v5, v6 offset:8192
	ds_store_2addr_stride64_b32 v76, v2, v1 offset1:4
	ds_store_2addr_stride64_b32 v76, v4, v3 offset0:8 offset1:12
	s_waitcnt vmcnt(0) lgkmcnt(0)
	s_waitcnt_vscnt null, 0x0
	s_barrier
	buffer_gl0_inv
	ds_load_b128 v[26:29], v73 offset:8192
	ds_load_b128 v[0:3], v74
	ds_load_b128 v[12:15], v74 offset:512
	ds_load_b128 v[8:11], v74 offset:1024
	;; [unrolled: 1-line block ×4, first 2 shown]
	s_waitcnt lgkmcnt(4)
	v_dual_add_f32 v133, v2, v28 :: v_dual_add_f32 v20, v1, v27
	v_add_f32_e32 v147, v0, v26
	s_waitcnt lgkmcnt(3)
	v_add_f32_e32 v146, v12, v26
	s_waitcnt lgkmcnt(0)
	v_dual_add_f32 v148, v3, v29 :: v_dual_add_f32 v93, v9, v31
	scratch_store_b32 off, v20, off offset:28 ; 4-byte Folded Spill
	v_dual_add_f32 v20, v13, v27 :: v_dual_add_f32 v145, v8, v26
	v_dual_add_f32 v138, v15, v29 :: v_dual_add_f32 v95, v5, v31
	v_add_f32_e32 v135, v14, v28
	scratch_store_b32 off, v20, off offset:32 ; 4-byte Folded Spill
	v_add_f32_e32 v20, v9, v27
	v_add_f32_e32 v140, v7, v29
	v_dual_add_f32 v90, v0, v30 :: v_dual_add_f32 v109, v11, v33
	v_add_f32_e32 v139, v11, v29
	scratch_store_b32 off, v20, off offset:36 ; 4-byte Folded Spill
	v_add_f32_e32 v20, v5, v27
	v_dual_add_f32 v92, v12, v30 :: v_dual_add_f32 v111, v7, v33
	v_add_f32_e32 v86, v3, v33
	v_add_f32_e32 v108, v14, v32
	scratch_store_b32 off, v20, off offset:40 ; 4-byte Folded Spill
	v_add_f32_e32 v20, v4, v26
	v_add_f32_e32 v110, v10, v32
	;; [unrolled: 1-line block ×5, first 2 shown]
	scratch_store_b32 off, v20, off offset:44 ; 4-byte Folded Spill
	ds_load_b128 v[34:37], v74 offset:2048
	ds_load_b128 v[38:41], v74 offset:2560
	v_add_f32_e32 v94, v8, v30
	v_add_f32_e32 v96, v4, v30
	v_dual_add_f32 v106, v2, v32 :: v_dual_add_f32 v89, v1, v31
	v_add_f32_e32 v85, v6, v32
	v_add_f32_e32 v91, v13, v31
	s_waitcnt lgkmcnt(0)
	v_dual_add_f32 v20, v35, v27 :: v_dual_add_f32 v143, v41, v29
	v_dual_add_f32 v144, v34, v26 :: v_dual_add_f32 v141, v37, v29
	;; [unrolled: 1-line block ×3, first 2 shown]
	scratch_store_b32 off, v20, off offset:48 ; 4-byte Folded Spill
	v_add_f32_e32 v20, v39, v27
	v_dual_add_f32 v134, v40, v28 :: v_dual_add_f32 v99, v39, v31
	v_dual_add_f32 v113, v37, v33 :: v_dual_add_f32 v114, v36, v32
	scratch_store_b32 off, v20, off offset:52 ; 4-byte Folded Spill
	v_dual_add_f32 v20, v38, v26 :: v_dual_add_f32 v115, v41, v33
	v_add_f32_e32 v116, v40, v32
	scratch_store_b32 off, v20, off offset:56 ; 4-byte Folded Spill
	ds_load_b128 v[42:45], v74 offset:3072
	ds_load_b128 v[46:49], v74 offset:3584
	v_add_f32_e32 v98, v34, v30
	v_add_f32_e32 v100, v38, v30
	s_waitcnt lgkmcnt(0)
	v_dual_add_f32 v20, v43, v27 :: v_dual_add_f32 v137, v49, v29
	v_dual_add_f32 v136, v44, v28 :: v_dual_add_f32 v103, v47, v31
	v_add_f32_e32 v88, v48, v28
	scratch_store_b32 off, v20, off offset:60 ; 4-byte Folded Spill
	v_add_f32_e32 v20, v42, v26
	v_dual_add_f32 v102, v42, v30 :: v_dual_add_f32 v101, v43, v31
	v_dual_add_f32 v104, v46, v30 :: v_dual_add_f32 v117, v45, v33
	scratch_store_b32 off, v20, off offset:68 ; 4-byte Folded Spill
	v_add_f32_e32 v20, v47, v27
	v_dual_add_f32 v118, v44, v32 :: v_dual_add_f32 v119, v49, v33
	v_add_f32_e32 v120, v48, v32
	scratch_store_b32 off, v20, off offset:64 ; 4-byte Folded Spill
	v_add_f32_e32 v20, v46, v26
	scratch_store_b32 off, v20, off offset:72 ; 4-byte Folded Spill
	;; [unrolled: 2-line block ×3, first 2 shown]
	ds_load_b128 v[26:29], v73 offset:8448
	ds_load_b128 v[30:33], v73 offset:8576
	s_waitcnt lgkmcnt(1)
	v_dual_add_f32 v121, v1, v27 :: v_dual_add_f32 v122, v0, v26
	v_add_f32_e32 v157, v14, v28
	v_dual_add_f32 v123, v13, v27 :: v_dual_add_f32 v124, v12, v26
	v_add_f32_e32 v159, v10, v28
	v_dual_add_f32 v125, v9, v27 :: v_dual_add_f32 v126, v8, v26
	v_add_f32_e32 v161, v6, v28
	v_dual_add_f32 v127, v5, v27 :: v_dual_add_f32 v128, v4, v26
	s_waitcnt lgkmcnt(0)
	v_dual_add_f32 v187, v2, v32 :: v_dual_add_f32 v82, v35, v27
	v_add_f32_e32 v163, v36, v28
	v_add_f32_e32 v149, v34, v26
	;; [unrolled: 1-line block ×3, first 2 shown]
	v_dual_add_f32 v151, v38, v26 :: v_dual_add_f32 v84, v43, v27
	v_add_f32_e32 v165, v40, v28
	v_dual_add_f32 v153, v42, v26 :: v_dual_add_f32 v154, v47, v27
	v_add_f32_e32 v167, v44, v28
	v_add_f32_e32 v155, v46, v26
	v_dual_add_f32 v129, v3, v29 :: v_dual_add_f32 v130, v2, v28
	v_dual_add_f32 v173, v12, v30 :: v_dual_add_f32 v156, v15, v29
	;; [unrolled: 1-line block ×9, first 2 shown]
	v_add_f32_e32 v189, v14, v32
	v_dual_add_f32 v171, v0, v30 :: v_dual_add_f32 v172, v13, v31
	v_dual_add_f32 v191, v10, v32 :: v_dual_add_f32 v174, v9, v31
	;; [unrolled: 1-line block ×7, first 2 shown]
	v_add_f32_e32 v186, v3, v33
	v_add_f32_e32 v188, v15, v33
	;; [unrolled: 1-line block ×8, first 2 shown]
	ds_load_b128 v[26:29], v73 offset:8704
	ds_load_b128 v[30:33], v73 offset:8832
	s_clause 0x1
	scratch_store_b32 off, v18, off offset:20
	scratch_store_b32 off, v19, off offset:24
	s_waitcnt lgkmcnt(1)
	v_dual_add_f32 v202, v1, v27 :: v_dual_add_f32 v221, v14, v28
	v_dual_add_f32 v203, v0, v26 :: v_dual_add_f32 v204, v13, v27
	v_add_f32_e32 v223, v10, v28
	v_dual_add_f32 v205, v12, v26 :: v_dual_add_f32 v206, v9, v27
	v_add_f32_e32 v225, v6, v28
	;; [unrolled: 2-line block ×6, first 2 shown]
	v_dual_add_f32 v215, v42, v26 :: v_dual_add_f32 v216, v47, v27
	s_waitcnt lgkmcnt(0)
	v_add_f32_e32 v235, v0, v30
	v_dual_add_f32 v217, v46, v26 :: v_dual_add_f32 v218, v3, v29
	v_add_f32_e32 v237, v12, v30
	v_dual_add_f32 v219, v2, v28 :: v_dual_add_f32 v220, v15, v29
	v_dual_add_f32 v239, v8, v30 :: v_dual_add_f32 v222, v11, v29
	;; [unrolled: 1-line block ×14, first 2 shown]
	v_add_f32_e32 v248, v47, v31
	v_add_f32_e32 v250, v3, v33
	v_add_f32_e32 v252, v15, v33
	v_add_f32_e32 v254, v11, v33
	v_add_f32_e32 v70, v6, v32
	v_add_f32_e32 v18, v37, v33
	v_add_f32_e32 v50, v41, v33
	v_add_f32_e32 v52, v40, v32
	v_add_f32_e32 v54, v45, v33
	v_add_f32_e32 v56, v44, v32
	ds_load_b128 v[26:29], v73 offset:8960
	ds_load_b128 v[30:33], v73 offset:9088
	s_waitcnt lgkmcnt(1)
	v_add_f32_e32 v81, v15, v29
	v_add_f32_e32 v57, v0, v26
	v_dual_add_f32 v60, v12, v26 :: v_dual_add_f32 v69, v11, v29
	v_add_f32_e32 v61, v8, v26
	v_dual_add_f32 v62, v4, v26 :: v_dual_add_f32 v105, v6, v28
	;; [unrolled: 2-line block ×3, first 2 shown]
	v_add_f32_e32 v68, v42, v26
	v_add_f32_e32 v26, v46, v26
	s_waitcnt lgkmcnt(0)
	v_add_f32_e32 v0, v0, v30
	v_add_f32_e32 v12, v12, v30
	;; [unrolled: 1-line block ×8, first 2 shown]
	scratch_load_b32 v46, off, off offset:28 ; 4-byte Folded Reload
	v_add_f32_e32 v55, v1, v27
	v_dual_add_f32 v58, v13, v27 :: v_dual_add_f32 v67, v14, v28
	v_add_f32_e32 v59, v9, v27
	v_add_f32_e32 v25, v5, v27
	v_dual_add_f32 v64, v35, v27 :: v_dual_add_f32 v21, v36, v28
	v_add_f32_e32 v65, v39, v27
	v_add_f32_e32 v20, v43, v27
	v_dual_add_f32 v27, v47, v27 :: v_dual_add_f32 v78, v10, v28
	v_dual_add_f32 v13, v13, v31 :: v_dual_add_f32 v80, v7, v29
	v_add_f32_e32 v9, v9, v31
	v_dual_add_f32 v112, v37, v29 :: v_dual_add_f32 v35, v35, v31
	v_dual_add_f32 v22, v41, v29 :: v_dual_add_f32 v39, v39, v31
	;; [unrolled: 1-line block ×4, first 2 shown]
	v_add_f32_e32 v5, v5, v31
	v_add_f32_e32 v31, v47, v31
	;; [unrolled: 1-line block ×4, first 2 shown]
	v_dual_add_f32 v3, v3, v33 :: v_dual_add_f32 v2, v2, v32
	v_add_f32_e32 v7, v7, v33
	v_min3_f32 v0, v0, v1, 0x7f7fffff
	v_dual_add_f32 v150, v44, v28 :: v_dual_add_f32 v15, v15, v33
	v_dual_add_f32 v14, v14, v32 :: v_dual_add_f32 v41, v41, v33
	;; [unrolled: 1-line block ×3, first 2 shown]
	v_add_f32_e32 v11, v11, v33
	v_dual_add_f32 v45, v45, v33 :: v_dual_add_f32 v6, v6, v32
	v_dual_add_f32 v33, v49, v33 :: v_dual_add_f32 v36, v36, v32
	v_add_f32_e32 v40, v40, v32
	v_add_f32_e32 v44, v44, v32
	v_dual_add_f32 v32, v48, v32 :: v_dual_add_f32 v29, v49, v29
	s_waitcnt vmcnt(0)
	v_min3_f32 v46, v147, v46, 0x7f7fffff
	s_delay_alu instid0(VALU_DEP_1) | instskip(SKIP_3) | instid1(VALU_DEP_1)
	v_min3_f32 v148, v133, v148, v46
	scratch_load_b32 v46, off, off offset:32 ; 4-byte Folded Reload
	s_waitcnt vmcnt(0)
	v_min3_f32 v46, v146, v46, 0x7f7fffff
	v_min3_f32 v147, v135, v138, v46
	scratch_load_b32 v46, off, off offset:36 ; 4-byte Folded Reload
	s_waitcnt vmcnt(0)
	v_min3_f32 v46, v145, v46, 0x7f7fffff
	s_delay_alu instid0(VALU_DEP_1)
	v_min3_f32 v146, v87, v139, v46
	s_clause 0x1
	scratch_load_b32 v46, off, off offset:40
	scratch_load_b32 v47, off, off offset:44
	s_waitcnt vmcnt(0)
	v_min3_f32 v46, v47, v46, 0x7f7fffff
	s_delay_alu instid0(VALU_DEP_1) | instskip(SKIP_3) | instid1(VALU_DEP_1)
	v_min3_f32 v145, v131, v140, v46
	scratch_load_b32 v46, off, off offset:48 ; 4-byte Folded Reload
	s_waitcnt vmcnt(0)
	v_min3_f32 v46, v144, v46, 0x7f7fffff
	v_min3_f32 v144, v132, v141, v46
	s_clause 0x1
	scratch_load_b32 v46, off, off offset:52
	scratch_load_b32 v47, off, off offset:56
	s_waitcnt vmcnt(0)
	v_min3_f32 v46, v47, v46, 0x7f7fffff
	s_delay_alu instid0(VALU_DEP_1)
	v_min3_f32 v143, v134, v143, v46
	s_clause 0x1
	scratch_load_b32 v46, off, off offset:60
	scratch_load_b32 v47, off, off offset:68
	s_waitcnt vmcnt(0)
	v_min3_f32 v46, v47, v46, 0x7f7fffff
	scratch_load_b32 v47, off, off offset:76 ; 4-byte Folded Reload
	s_waitcnt vmcnt(0)
	v_min3_f32 v141, v136, v47, v46
	s_clause 0x1
	scratch_load_b32 v46, off, off offset:64
	scratch_load_b32 v47, off, off offset:72
	s_waitcnt vmcnt(0)
	v_min3_f32 v46, v47, v46, 0x7f7fffff
	s_delay_alu instid0(VALU_DEP_1)
	v_min3_f32 v140, v88, v137, v46
	v_min3_f32 v46, v90, v89, 0x7f7fffff
	;; [unrolled: 1-line block ×4, first 2 shown]
	scratch_load_b32 v3, off, off offset:16 ; 4-byte Folded Reload
	v_min3_f32 v139, v106, v86, v46
	v_min3_f32 v46, v92, v91, 0x7f7fffff
	v_min3_f32 v88, v14, v15, v0
	v_min3_f32 v0, v8, v9, 0x7f7fffff
	s_delay_alu instid0(VALU_DEP_3) | instskip(SKIP_1) | instid1(VALU_DEP_3)
	v_min3_f32 v138, v108, v107, v46
	v_min3_f32 v46, v94, v93, 0x7f7fffff
	v_min3_f32 v87, v10, v11, v0
	v_min3_f32 v0, v4, v5, 0x7f7fffff
	s_delay_alu instid0(VALU_DEP_3) | instskip(SKIP_1) | instid1(VALU_DEP_3)
	;; [unrolled: 5-line block ×3, first 2 shown]
	v_min3_f32 v136, v85, v111, v46
	v_min3_f32 v46, v98, v97, 0x7f7fffff
	;; [unrolled: 1-line block ×4, first 2 shown]
	s_delay_alu instid0(VALU_DEP_3) | instskip(SKIP_1) | instid1(VALU_DEP_1)
	v_min3_f32 v135, v114, v113, v46
	v_min3_f32 v46, v100, v99, 0x7f7fffff
	v_min3_f32 v134, v116, v115, v46
	v_min3_f32 v46, v102, v101, 0x7f7fffff
	s_delay_alu instid0(VALU_DEP_1) | instskip(SKIP_1) | instid1(VALU_DEP_1)
	v_min3_f32 v133, v118, v117, v46
	v_min3_f32 v46, v104, v103, 0x7f7fffff
	v_min3_f32 v132, v120, v119, v46
	v_min3_f32 v46, v122, v121, 0x7f7fffff
	s_delay_alu instid0(VALU_DEP_1) | instskip(SKIP_1) | instid1(VALU_DEP_1)
	;; [unrolled: 5-line block ×4, first 2 shown]
	v_min3_f32 v127, v163, v162, v46
	v_min3_f32 v46, v151, v83, 0x7f7fffff
	;; [unrolled: 1-line block ×6, first 2 shown]
	s_delay_alu instid0(VALU_DEP_3) | instskip(SKIP_1) | instid1(VALU_DEP_3)
	v_min3_f32 v125, v167, v166, v46
	v_min3_f32 v46, v155, v154, 0x7f7fffff
	;; [unrolled: 1-line block ×4, first 2 shown]
	s_delay_alu instid0(VALU_DEP_3) | instskip(SKIP_1) | instid1(VALU_DEP_3)
	v_min3_f32 v124, v169, v168, v46
	v_min3_f32 v46, v171, v170, 0x7f7fffff
	;; [unrolled: 1-line block ×3, first 2 shown]
	s_clause 0x1
	scratch_load_b32 v0, off, off offset:4
	scratch_load_b32 v1, off, off offset:12
	v_min3_f32 v123, v187, v186, v46
	v_min3_f32 v46, v173, v172, 0x7f7fffff
	s_delay_alu instid0(VALU_DEP_1) | instskip(SKIP_1) | instid1(VALU_DEP_1)
	v_min3_f32 v122, v189, v188, v46
	v_min3_f32 v46, v175, v174, 0x7f7fffff
	v_min3_f32 v121, v191, v190, v46
	v_min3_f32 v46, v177, v176, 0x7f7fffff
	s_delay_alu instid0(VALU_DEP_1) | instskip(SKIP_1) | instid1(VALU_DEP_1)
	v_min3_f32 v120, v193, v192, v46
	v_min3_f32 v46, v179, v178, 0x7f7fffff
	;; [unrolled: 5-line block ×15, first 2 shown]
	v_min3_f32 v91, v150, v142, v18
	v_min3_f32 v18, v26, v27, 0x7f7fffff
	s_delay_alu instid0(VALU_DEP_1)
	v_min3_f32 v90, v28, v29, v18
	s_waitcnt vmcnt(0)
	ds_store_2addr_stride64_b32 v76, v0, v1 offset0:16 offset1:20
	scratch_load_b32 v0, off, off offset:8  ; 4-byte Folded Reload
	s_waitcnt vmcnt(0)
	ds_store_2addr_stride64_b32 v76, v0, v152 offset0:24 offset1:28
	ds_store_b32 v3, v24 offset:9216
	s_waitcnt lgkmcnt(0)
	s_waitcnt_vscnt null, 0x0
	s_barrier
	buffer_gl0_inv
	s_cbranch_scc1 .LBB7_52
; %bb.30:
	s_clause 0x2
	scratch_load_b32 v2, off, off
	scratch_load_b32 v202, off, off offset:20
	scratch_load_b32 v203, off, off offset:24
	v_add_nc_u32_e32 v77, 0x2000, v3
	v_add_nc_u32_e32 v80, 0x2400, v3
	v_lshlrev_b32_e32 v3, 2, v75
	v_add_nc_u32_e32 v4, 12, v72
	v_add_nc_u32_e32 v78, 0x2000, v73
	;; [unrolled: 1-line block ×3, first 2 shown]
	s_waitcnt vmcnt(2)
	v_mad_i64_i32 v[0:1], null, s25, v2, 0
	v_add_nc_u32_e32 v2, 8, v72
	s_waitcnt vmcnt(1)
	v_lshl_add_u32 v81, v202, 4, 0x1000
	s_waitcnt vmcnt(0)
	v_lshl_add_u32 v105, v203, 4, 0x2400
	s_delay_alu instid0(VALU_DEP_4) | instskip(NEXT) | instid1(VALU_DEP_1)
	v_lshlrev_b64 v[0:1], 2, v[0:1]
	v_add_co_u32 v5, s5, v0, v3
	s_delay_alu instid0(VALU_DEP_1) | instskip(SKIP_1) | instid1(VALU_DEP_3)
	v_add_co_ci_u32_e64 v6, s5, 0, v1, s5
	v_mad_i64_i32 v[0:1], null, v2, s22, 0
	v_add_co_u32 v7, s5, v5, s20
	v_mad_i64_i32 v[2:3], null, v4, s22, 0
	s_delay_alu instid0(VALU_DEP_4) | instskip(SKIP_1) | instid1(VALU_DEP_4)
	v_add_co_ci_u32_e64 v6, s5, s21, v6, s5
	v_lshlrev_b64 v[4:5], 2, v[16:17]
	v_add_co_u32 v64, s5, v7, 48
	s_delay_alu instid0(VALU_DEP_1) | instskip(SKIP_1) | instid1(VALU_DEP_4)
	v_add_co_ci_u32_e64 v65, s5, 0, v6, s5
	v_lshlrev_b64 v[66:67], 2, v[0:1]
	v_add_co_u32 v112, s5, s8, v4
	v_lshlrev_b64 v[68:69], 2, v[2:3]
	v_add_co_ci_u32_e64 v142, s5, s9, v5, s5
	s_add_i32 s20, s18, -8
	s_lshl_b64 s[8:9], s[22:23], 5
	s_mov_b32 s21, 0
	s_branch .LBB7_32
.LBB7_31:                               ;   in Loop: Header=BB7_32 Depth=1
	s_or_b32 exec_lo, exec_lo, s5
	ds_load_b128 v[93:96], v78
	ds_load_b128 v[154:157], v74
	ds_load_b128 v[158:161], v74 offset:512
	ds_load_b128 v[162:165], v74 offset:1024
	;; [unrolled: 1-line block ×14, first 2 shown]
	v_add_co_u32 v64, s5, v64, 32
	s_delay_alu instid0(VALU_DEP_1)
	v_add_co_ci_u32_e64 v65, s5, 0, v65, s5
	v_add_co_u32 v112, s5, v112, s8
	s_waitcnt lgkmcnt(14)
	v_dual_add_f32 v10, v155, v94 :: v_dual_add_f32 v11, v154, v93
	s_waitcnt lgkmcnt(13)
	v_dual_add_f32 v14, v159, v94 :: v_dual_add_f32 v15, v158, v93
	;; [unrolled: 2-line block ×3, first 2 shown]
	s_waitcnt lgkmcnt(11)
	v_add_f32_e32 v31, v167, v94
	v_min3_f32 v10, v11, v10, v44
	v_min3_f32 v11, v15, v14, v45
	v_add_f32_e32 v15, v166, v93
	v_min3_f32 v14, v19, v18, v48
	s_waitcnt lgkmcnt(10)
	v_dual_add_f32 v18, v171, v94 :: v_dual_add_f32 v19, v170, v93
	s_waitcnt lgkmcnt(9)
	v_dual_add_f32 v34, v175, v94 :: v_dual_add_f32 v35, v174, v93
	;; [unrolled: 2-line block ×4, first 2 shown]
	v_min3_f32 v0, v15, v31, v0
	v_min3_f32 v1, v19, v18, v1
	;; [unrolled: 1-line block ×4, first 2 shown]
	s_waitcnt lgkmcnt(6)
	v_dual_add_f32 v31, v155, v98 :: v_dual_add_f32 v38, v158, v97
	v_dual_add_f32 v35, v159, v98 :: v_dual_add_f32 v34, v154, v97
	;; [unrolled: 1-line block ×4, first 2 shown]
	s_delay_alu instid0(VALU_DEP_3)
	v_min3_f32 v5, v38, v35, v5
	v_add_f32_e32 v38, v175, v98
	v_min3_f32 v19, v45, v44, v53
	v_dual_add_f32 v44, v162, v97 :: v_dual_add_f32 v45, v167, v98
	v_min3_f32 v4, v34, v31, v4
	v_min3_f32 v35, v52, v49, v60
	s_waitcnt lgkmcnt(5)
	v_dual_add_f32 v49, v182, v97 :: v_dual_add_f32 v52, v155, v102
	v_min3_f32 v31, v44, v39, v56
	v_min3_f32 v34, v48, v45, v57
	v_dual_add_f32 v39, v174, v97 :: v_dual_add_f32 v44, v179, v98
	v_dual_add_f32 v45, v178, v97 :: v_dual_add_f32 v48, v183, v98
	v_dual_add_f32 v53, v154, v101 :: v_dual_add_f32 v56, v159, v102
	v_add_f32_e32 v57, v158, v101
	s_delay_alu instid0(VALU_DEP_4) | instskip(NEXT) | instid1(VALU_DEP_4)
	v_min3_f32 v8, v39, v38, v8
	v_min3_f32 v9, v45, v44, v9
	;; [unrolled: 1-line block ×4, first 2 shown]
	v_dual_add_f32 v45, v163, v102 :: v_dual_add_f32 v52, v166, v101
	v_dual_add_f32 v49, v167, v102 :: v_dual_add_f32 v48, v162, v101
	;; [unrolled: 1-line block ×3, first 2 shown]
	v_add_f32_e32 v59, v179, v102
	s_delay_alu instid0(VALU_DEP_3)
	v_min3_f32 v13, v52, v49, v13
	v_add_f32_e32 v52, v183, v102
	v_min3_f32 v44, v57, v56, v61
	v_dual_add_f32 v56, v170, v101 :: v_dual_add_f32 v57, v175, v102
	v_add_f32_e32 v60, v178, v101
	v_min3_f32 v12, v48, v45, v12
	s_waitcnt lgkmcnt(4)
	v_add_f32_e32 v61, v166, v106
	v_min3_f32 v45, v56, v53, v54
	v_min3_f32 v48, v58, v57, v55
	v_dual_add_f32 v53, v182, v101 :: v_dual_add_f32 v54, v155, v107
	v_dual_add_f32 v55, v154, v106 :: v_dual_add_f32 v56, v159, v107
	;; [unrolled: 1-line block ×3, first 2 shown]
	v_min3_f32 v49, v60, v59, v62
	v_dual_add_f32 v59, v162, v106 :: v_dual_add_f32 v60, v167, v107
	v_min3_f32 v16, v53, v52, v16
	v_min3_f32 v17, v55, v54, v17
	;; [unrolled: 1-line block ×3, first 2 shown]
	v_dual_add_f32 v55, v171, v107 :: v_dual_add_f32 v56, v170, v106
	v_min3_f32 v53, v59, v58, v82
	v_dual_add_f32 v57, v175, v107 :: v_dual_add_f32 v58, v174, v106
	v_dual_add_f32 v59, v179, v107 :: v_dual_add_f32 v62, v182, v106
	s_delay_alu instid0(VALU_DEP_4)
	v_min3_f32 v20, v56, v55, v20
	s_waitcnt lgkmcnt(3)
	v_add_f32_e32 v56, v159, v187
	v_min3_f32 v54, v61, v60, v83
	v_dual_add_f32 v60, v178, v106 :: v_dual_add_f32 v61, v183, v107
	v_dual_add_f32 v63, v155, v187 :: v_dual_add_f32 v70, v154, v186
	v_min3_f32 v21, v58, v57, v21
	s_delay_alu instid0(VALU_DEP_3) | instskip(NEXT) | instid1(VALU_DEP_4)
	v_min3_f32 v50, v60, v59, v50
	v_min3_f32 v51, v62, v61, v51
	v_dual_add_f32 v57, v158, v186 :: v_dual_add_f32 v58, v163, v187
	v_dual_add_f32 v59, v162, v186 :: v_dual_add_f32 v60, v167, v187
	;; [unrolled: 1-line block ×3, first 2 shown]
	v_min3_f32 v55, v70, v63, v84
	v_dual_add_f32 v63, v170, v186 :: v_dual_add_f32 v70, v175, v187
	v_add_f32_e32 v71, v174, v186
	v_min3_f32 v25, v59, v58, v25
	v_min3_f32 v46, v61, v60, v46
	v_dual_add_f32 v59, v183, v187 :: v_dual_add_f32 v60, v182, v186
	v_min3_f32 v24, v57, v56, v24
	v_min3_f32 v47, v63, v62, v47
	v_dual_add_f32 v57, v179, v187 :: v_dual_add_f32 v58, v178, v186
	s_waitcnt lgkmcnt(2)
	v_dual_add_f32 v61, v155, v191 :: v_dual_add_f32 v62, v154, v190
	v_dual_add_f32 v63, v159, v191 :: v_dual_add_f32 v82, v162, v190
	v_min3_f32 v29, v60, v59, v29
	v_add_f32_e32 v60, v167, v191
	v_min3_f32 v56, v71, v70, v85
	v_dual_add_f32 v70, v158, v190 :: v_dual_add_f32 v71, v163, v191
	v_min3_f32 v28, v58, v57, v28
	v_min3_f32 v57, v62, v61, v86
	v_dual_add_f32 v61, v166, v190 :: v_dual_add_f32 v62, v171, v191
	s_delay_alu instid0(VALU_DEP_4)
	v_min3_f32 v58, v70, v63, v87
	v_min3_f32 v59, v82, v71, v88
	v_dual_add_f32 v63, v170, v190 :: v_dual_add_f32 v70, v175, v191
	v_dual_add_f32 v71, v174, v190 :: v_dual_add_f32 v82, v179, v191
	;; [unrolled: 1-line block ×3, first 2 shown]
	v_add_f32_e32 v85, v182, v190
	s_delay_alu instid0(VALU_DEP_4) | instskip(NEXT) | instid1(VALU_DEP_4)
	v_min3_f32 v33, v63, v62, v33
	v_min3_f32 v42, v71, v70, v42
	s_waitcnt lgkmcnt(1)
	v_dual_add_f32 v63, v159, v195 :: v_dual_add_f32 v70, v158, v194
	v_min3_f32 v32, v61, v60, v32
	v_min3_f32 v43, v83, v82, v43
	v_dual_add_f32 v61, v155, v195 :: v_dual_add_f32 v62, v154, v194
	v_dual_add_f32 v71, v163, v195 :: v_dual_add_f32 v82, v162, v194
	;; [unrolled: 1-line block ×3, first 2 shown]
	v_min3_f32 v37, v70, v63, v37
	v_add_f32_e32 v70, v175, v195
	v_min3_f32 v60, v85, v84, v89
	v_dual_add_f32 v84, v166, v194 :: v_dual_add_f32 v85, v171, v195
	v_min3_f32 v36, v62, v61, v36
	v_min3_f32 v61, v82, v71, v90
	v_dual_add_f32 v71, v174, v194 :: v_dual_add_f32 v82, v179, v195
	s_delay_alu instid0(VALU_DEP_4)
	v_min3_f32 v62, v84, v83, v91
	v_min3_f32 v63, v86, v85, v92
	v_dual_add_f32 v83, v178, v194 :: v_dual_add_f32 v84, v183, v195
	s_waitcnt lgkmcnt(0)
	v_dual_add_f32 v85, v182, v194 :: v_dual_add_f32 v86, v155, v199
	v_dual_add_f32 v87, v154, v198 :: v_dual_add_f32 v88, v159, v199
	v_add_f32_e32 v89, v158, v198
	v_min3_f32 v40, v71, v70, v40
	v_add_f32_e32 v70, v163, v199
	v_min3_f32 v41, v83, v82, v41
	v_min3_f32 v26, v85, v84, v26
	;; [unrolled: 1-line block ×4, first 2 shown]
	v_dual_add_f32 v71, v162, v198 :: v_dual_add_f32 v82, v167, v199
	v_dual_add_f32 v83, v166, v198 :: v_dual_add_f32 v84, v171, v199
	;; [unrolled: 1-line block ×4, first 2 shown]
	v_add_f32_e32 v89, v178, v198
	v_min3_f32 v22, v71, v70, v22
	v_add_f32_e32 v70, v183, v199
	v_min3_f32 v23, v83, v82, v23
	v_min3_f32 v3, v85, v84, v3
	;; [unrolled: 1-line block ×4, first 2 shown]
	v_dual_add_f32 v71, v182, v198 :: v_dual_add_f32 v84, v161, v96
	v_dual_add_f32 v82, v157, v96 :: v_dual_add_f32 v83, v156, v95
	;; [unrolled: 1-line block ×4, first 2 shown]
	v_add_f32_e32 v89, v168, v95
	v_min3_f32 v2, v71, v70, v2
	v_add_f32_e32 v70, v181, v96
	v_min3_f32 v148, v83, v82, v10
	v_min3_f32 v147, v85, v84, v11
	v_min3_f32 v145, v89, v88, v0
	v_add_f32_e32 v0, v173, v96
	v_min3_f32 v146, v87, v86, v14
	v_dual_add_f32 v10, v172, v95 :: v_dual_add_f32 v11, v177, v96
	v_add_f32_e32 v14, v176, v95
	v_dual_add_f32 v71, v180, v95 :: v_dual_add_f32 v82, v185, v96
	v_dual_add_f32 v83, v184, v95 :: v_dual_add_f32 v84, v157, v100
	v_add_f32_e32 v85, v156, v99
	v_min3_f32 v144, v10, v0, v1
	v_add_f32_e32 v0, v161, v100
	v_min3_f32 v143, v14, v11, v15
	v_min3_f32 v141, v71, v70, v18
	;; [unrolled: 1-line block ×4, first 2 shown]
	v_dual_add_f32 v1, v160, v99 :: v_dual_add_f32 v4, v165, v100
	v_dual_add_f32 v10, v164, v99 :: v_dual_add_f32 v15, v173, v100
	;; [unrolled: 1-line block ×4, first 2 shown]
	v_add_f32_e32 v70, v176, v99
	v_min3_f32 v138, v1, v0, v5
	v_min3_f32 v137, v10, v4, v31
	;; [unrolled: 1-line block ×3, first 2 shown]
	v_dual_add_f32 v0, v181, v100 :: v_dual_add_f32 v1, v180, v99
	v_dual_add_f32 v4, v185, v100 :: v_dual_add_f32 v5, v184, v99
	;; [unrolled: 1-line block ×3, first 2 shown]
	v_min3_f32 v135, v18, v15, v35
	v_dual_add_f32 v14, v160, v103 :: v_dual_add_f32 v15, v165, v104
	v_min3_f32 v134, v70, v19, v8
	v_add_f32_e32 v8, v157, v104
	v_add_f32_e32 v18, v164, v103
	v_min3_f32 v133, v1, v0, v9
	v_add_f32_e32 v1, v168, v103
	v_min3_f32 v132, v5, v4, v38
	v_min3_f32 v131, v10, v8, v39
	;; [unrolled: 1-line block ×4, first 2 shown]
	v_dual_add_f32 v0, v169, v104 :: v_dual_add_f32 v5, v172, v103
	v_dual_add_f32 v4, v173, v104 :: v_dual_add_f32 v9, v176, v103
	;; [unrolled: 1-line block ×3, first 2 shown]
	v_add_f32_e32 v10, v181, v104
	v_add_f32_e32 v12, v185, v104
	;; [unrolled: 1-line block ×3, first 2 shown]
	v_min3_f32 v128, v1, v0, v13
	v_min3_f32 v127, v5, v4, v45
	v_min3_f32 v126, v9, v8, v48
	v_min3_f32 v125, v11, v10, v49
	v_min3_f32 v124, v14, v12, v16
	v_dual_add_f32 v0, v157, v109 :: v_dual_add_f32 v1, v156, v108
	v_dual_add_f32 v4, v161, v109 :: v_dual_add_f32 v5, v160, v108
	v_dual_add_f32 v8, v165, v109 :: v_dual_add_f32 v9, v164, v108
	v_dual_add_f32 v10, v169, v109 :: v_dual_add_f32 v11, v168, v108
	v_dual_add_f32 v12, v173, v109 :: v_dual_add_f32 v13, v172, v108
	v_min3_f32 v123, v1, v0, v17
	v_min3_f32 v122, v5, v4, v52
	v_min3_f32 v121, v9, v8, v53
	v_min3_f32 v120, v11, v10, v54
	v_min3_f32 v119, v13, v12, v20
	v_dual_add_f32 v0, v177, v109 :: v_dual_add_f32 v1, v176, v108
	v_dual_add_f32 v4, v181, v109 :: v_dual_add_f32 v5, v180, v108
	v_dual_add_f32 v8, v185, v109 :: v_dual_add_f32 v9, v184, v108
	v_dual_add_f32 v10, v157, v189 :: v_dual_add_f32 v11, v156, v188
	v_dual_add_f32 v12, v161, v189 :: v_dual_add_f32 v13, v160, v188
	;; [unrolled: 10-line block ×8, first 2 shown]
	v_min3_f32 v86, v1, v0, v23
	v_min3_f32 v85, v5, v4, v3
	;; [unrolled: 1-line block ×5, first 2 shown]
	v_add_co_ci_u32_e64 v142, s5, s9, v142, s5
	s_add_i32 s21, s21, 8
	s_waitcnt vmcnt(0)
	ds_store_2addr_stride64_b32 v79, v149, v151 offset1:4
	ds_store_2addr_stride64_b32 v79, v150, v153 offset0:8 offset1:12
	ds_store_b32 v80, v152
	s_cmp_ge_i32 s21, s20
	s_waitcnt lgkmcnt(0)
	s_barrier
	buffer_gl0_inv
	s_cbranch_scc1 .LBB7_53
.LBB7_32:                               ; =>This Inner Loop Header: Depth=1
	v_dual_mov_b32 v151, 0x7f7fffff :: v_dual_add_nc_u32 v150, s21, v72
	v_mov_b32_e32 v152, 0x7f7fffff
	s_delay_alu instid0(VALU_DEP_2) | instskip(NEXT) | instid1(VALU_DEP_1)
	v_add_nc_u32_e32 v0, 8, v150
	v_cmp_le_i32_e64 s5, s18, v0
	s_delay_alu instid0(VALU_DEP_1) | instskip(NEXT) | instid1(SALU_CYCLE_1)
	s_or_b32 s6, vcc_lo, s5
	s_xor_b32 s6, s6, -1
	s_delay_alu instid0(SALU_CYCLE_1)
	s_and_saveexec_b32 s22, s6
	s_cbranch_execz .LBB7_34
; %bb.33:                               ;   in Loop: Header=BB7_32 Depth=1
	v_add_co_u32 v0, s6, v112, v66
	s_delay_alu instid0(VALU_DEP_1)
	v_add_co_ci_u32_e64 v1, s6, v142, v67, s6
	flat_load_b32 v152, v[0:1]
.LBB7_34:                               ;   in Loop: Header=BB7_32 Depth=1
	s_or_b32 exec_lo, exec_lo, s22
	s_or_b32 s6, s2, s5
	s_delay_alu instid0(SALU_CYCLE_1) | instskip(NEXT) | instid1(SALU_CYCLE_1)
	s_xor_b32 s6, s6, -1
	s_and_saveexec_b32 s22, s6
	s_cbranch_execz .LBB7_36
; %bb.35:                               ;   in Loop: Header=BB7_32 Depth=1
	v_add_co_u32 v0, s6, v112, v66
	s_delay_alu instid0(VALU_DEP_1)
	v_add_co_ci_u32_e64 v1, s6, v142, v67, s6
	flat_load_b32 v151, v[0:1] offset:256
.LBB7_36:                               ;   in Loop: Header=BB7_32 Depth=1
	s_or_b32 exec_lo, exec_lo, s22
	v_mov_b32_e32 v153, 0x7f7fffff
	v_mov_b32_e32 v155, 0x7f7fffff
	s_or_b32 s6, s3, s5
	s_delay_alu instid0(SALU_CYCLE_1) | instskip(NEXT) | instid1(SALU_CYCLE_1)
	s_xor_b32 s6, s6, -1
	s_and_saveexec_b32 s22, s6
	s_cbranch_execz .LBB7_38
; %bb.37:                               ;   in Loop: Header=BB7_32 Depth=1
	v_add_co_u32 v0, s6, v112, v66
	s_delay_alu instid0(VALU_DEP_1)
	v_add_co_ci_u32_e64 v1, s6, v142, v67, s6
	flat_load_b32 v155, v[0:1] offset:512
.LBB7_38:                               ;   in Loop: Header=BB7_32 Depth=1
	s_or_b32 exec_lo, exec_lo, s22
	s_or_b32 s5, s4, s5
	s_delay_alu instid0(SALU_CYCLE_1) | instskip(NEXT) | instid1(SALU_CYCLE_1)
	s_xor_b32 s5, s5, -1
	s_and_saveexec_b32 s6, s5
	s_cbranch_execz .LBB7_40
; %bb.39:                               ;   in Loop: Header=BB7_32 Depth=1
	v_add_co_u32 v0, s5, v112, v66
	s_delay_alu instid0(VALU_DEP_1)
	v_add_co_ci_u32_e64 v1, s5, v142, v67, s5
	flat_load_b32 v153, v[0:1] offset:768
.LBB7_40:                               ;   in Loop: Header=BB7_32 Depth=1
	s_or_b32 exec_lo, exec_lo, s6
	v_dual_mov_b32 v149, 0x7f7fffff :: v_dual_add_nc_u32 v154, s21, v75
	v_mov_b32_e32 v156, 0x7f7fffff
	s_delay_alu instid0(VALU_DEP_2) | instskip(NEXT) | instid1(VALU_DEP_1)
	v_add_nc_u32_e32 v0, 8, v154
	v_cmp_gt_i32_e64 s5, s18, v0
	s_delay_alu instid0(VALU_DEP_1) | instskip(NEXT) | instid1(SALU_CYCLE_1)
	s_and_b32 s5, s5, s14
	s_and_saveexec_b32 s6, s5
	s_cbranch_execz .LBB7_42
; %bb.41:                               ;   in Loop: Header=BB7_32 Depth=1
	v_add_co_u32 v0, s5, -16, v64
	s_delay_alu instid0(VALU_DEP_1)
	v_add_co_ci_u32_e64 v1, s5, -1, v65, s5
	flat_load_b32 v156, v[0:1]
.LBB7_42:                               ;   in Loop: Header=BB7_32 Depth=1
	s_or_b32 exec_lo, exec_lo, s6
	ds_load_b128 v[32:35], v81
	ds_load_b128 v[28:31], v81 offset:512
	ds_load_b128 v[24:27], v81 offset:1024
	;; [unrolled: 1-line block ×7, first 2 shown]
	ds_load_b128 v[60:63], v105
	ds_load_b128 v[56:59], v105 offset:128
	ds_load_b128 v[52:55], v105 offset:256
	;; [unrolled: 1-line block ×7, first 2 shown]
	v_add_nc_u32_e32 v70, 12, v150
	s_waitcnt vmcnt(0) lgkmcnt(16)
	ds_store_2addr_stride64_b32 v76, v152, v151 offset1:4
	ds_store_2addr_stride64_b32 v76, v155, v153 offset0:8 offset1:12
	ds_store_b32 v77, v156
	s_waitcnt lgkmcnt(0)
	s_barrier
	buffer_gl0_inv
	v_cmp_le_i32_e64 s5, s18, v70
	s_delay_alu instid0(VALU_DEP_1) | instskip(NEXT) | instid1(SALU_CYCLE_1)
	s_or_b32 s6, vcc_lo, s5
	s_xor_b32 s6, s6, -1
	s_delay_alu instid0(SALU_CYCLE_1)
	s_and_saveexec_b32 s22, s6
	s_cbranch_execz .LBB7_44
; %bb.43:                               ;   in Loop: Header=BB7_32 Depth=1
	v_add_co_u32 v149, s6, v112, v68
	s_delay_alu instid0(VALU_DEP_1)
	v_add_co_ci_u32_e64 v150, s6, v142, v69, s6
	flat_load_b32 v149, v[149:150]
.LBB7_44:                               ;   in Loop: Header=BB7_32 Depth=1
	s_or_b32 exec_lo, exec_lo, s22
	v_dual_mov_b32 v150, 0x7f7fffff :: v_dual_mov_b32 v151, 0x7f7fffff
	s_or_b32 s6, s2, s5
	s_delay_alu instid0(SALU_CYCLE_1) | instskip(NEXT) | instid1(SALU_CYCLE_1)
	s_xor_b32 s6, s6, -1
	s_and_saveexec_b32 s22, s6
	s_cbranch_execz .LBB7_46
; %bb.45:                               ;   in Loop: Header=BB7_32 Depth=1
	v_add_co_u32 v151, s6, v112, v68
	s_delay_alu instid0(VALU_DEP_1)
	v_add_co_ci_u32_e64 v152, s6, v142, v69, s6
	flat_load_b32 v151, v[151:152] offset:256
.LBB7_46:                               ;   in Loop: Header=BB7_32 Depth=1
	s_or_b32 exec_lo, exec_lo, s22
	s_or_b32 s6, s3, s5
	s_delay_alu instid0(SALU_CYCLE_1) | instskip(NEXT) | instid1(SALU_CYCLE_1)
	s_xor_b32 s6, s6, -1
	s_and_saveexec_b32 s22, s6
	s_cbranch_execz .LBB7_48
; %bb.47:                               ;   in Loop: Header=BB7_32 Depth=1
	v_add_co_u32 v152, s6, v112, v68
	s_delay_alu instid0(VALU_DEP_1)
	v_add_co_ci_u32_e64 v153, s6, v142, v69, s6
	flat_load_b32 v150, v[152:153] offset:512
.LBB7_48:                               ;   in Loop: Header=BB7_32 Depth=1
	s_or_b32 exec_lo, exec_lo, s22
	v_dual_mov_b32 v152, 0x7f7fffff :: v_dual_mov_b32 v153, 0x7f7fffff
	s_or_b32 s5, s4, s5
	s_delay_alu instid0(SALU_CYCLE_1) | instskip(NEXT) | instid1(SALU_CYCLE_1)
	s_xor_b32 s5, s5, -1
	s_and_saveexec_b32 s6, s5
	s_cbranch_execz .LBB7_50
; %bb.49:                               ;   in Loop: Header=BB7_32 Depth=1
	v_add_co_u32 v155, s5, v112, v68
	s_delay_alu instid0(VALU_DEP_1)
	v_add_co_ci_u32_e64 v156, s5, v142, v69, s5
	flat_load_b32 v153, v[155:156] offset:768
.LBB7_50:                               ;   in Loop: Header=BB7_32 Depth=1
	s_or_b32 exec_lo, exec_lo, s6
	v_dual_add_f32 v70, v33, v61 :: v_dual_add_f32 v71, v32, v60
	v_dual_add_f32 v155, v29, v61 :: v_dual_add_f32 v156, v28, v60
	;; [unrolled: 1-line block ×4, first 2 shown]
	s_delay_alu instid0(VALU_DEP_4) | instskip(NEXT) | instid1(VALU_DEP_4)
	v_min3_f32 v70, v71, v70, v148
	v_min3_f32 v71, v156, v155, v147
	s_delay_alu instid0(VALU_DEP_4)
	v_min3_f32 v146, v158, v157, v146
	v_dual_add_f32 v147, v17, v61 :: v_dual_add_f32 v148, v16, v60
	v_min3_f32 v145, v160, v159, v145
	v_dual_add_f32 v155, v9, v61 :: v_dual_add_f32 v156, v8, v60
	v_dual_add_f32 v157, v5, v61 :: v_dual_add_f32 v158, v4, v60
	;; [unrolled: 1-line block ×4, first 2 shown]
	v_min3_f32 v144, v148, v147, v144
	v_min3_f32 v143, v156, v155, v143
	s_delay_alu instid0(VALU_DEP_4)
	v_min3_f32 v60, v60, v61, v140
	v_add_f32_e32 v140, v28, v56
	v_min3_f32 v61, v160, v159, v139
	v_add_f32_e32 v139, v29, v57
	v_dual_add_f32 v147, v25, v57 :: v_dual_add_f32 v148, v24, v56
	v_dual_add_f32 v155, v21, v57 :: v_dual_add_f32 v156, v20, v56
	v_min3_f32 v141, v158, v157, v141
	v_dual_add_f32 v157, v17, v57 :: v_dual_add_f32 v158, v16, v56
	v_dual_add_f32 v159, v9, v57 :: v_dual_add_f32 v160, v8, v56
	v_min3_f32 v138, v140, v139, v138
	v_min3_f32 v137, v148, v147, v137
	;; [unrolled: 1-line block ×3, first 2 shown]
	v_dual_add_f32 v139, v5, v57 :: v_dual_add_f32 v140, v4, v56
	v_dual_add_f32 v57, v1, v57 :: v_dual_add_f32 v56, v0, v56
	;; [unrolled: 1-line block ×4, first 2 shown]
	v_min3_f32 v135, v158, v157, v135
	v_dual_add_f32 v157, v25, v53 :: v_dual_add_f32 v158, v24, v52
	v_min3_f32 v133, v140, v139, v133
	v_min3_f32 v132, v56, v57, v132
	;; [unrolled: 1-line block ×4, first 2 shown]
	v_dual_add_f32 v56, v21, v53 :: v_dual_add_f32 v57, v20, v52
	v_dual_add_f32 v139, v17, v53 :: v_dual_add_f32 v140, v16, v52
	;; [unrolled: 1-line block ×5, first 2 shown]
	v_min3_f32 v128, v57, v56, v128
	v_min3_f32 v127, v140, v139, v127
	;; [unrolled: 1-line block ×3, first 2 shown]
	v_dual_add_f32 v56, v29, v49 :: v_dual_add_f32 v57, v28, v48
	v_min3_f32 v124, v52, v53, v124
	v_dual_add_f32 v52, v33, v49 :: v_dual_add_f32 v53, v32, v48
	v_dual_add_f32 v139, v25, v49 :: v_dual_add_f32 v140, v24, v48
	;; [unrolled: 1-line block ×3, first 2 shown]
	v_min3_f32 v125, v156, v155, v125
	v_dual_add_f32 v155, v17, v49 :: v_dual_add_f32 v156, v16, v48
	v_min3_f32 v123, v53, v52, v123
	v_min3_f32 v122, v57, v56, v122
	;; [unrolled: 1-line block ×4, first 2 shown]
	v_dual_add_f32 v52, v9, v49 :: v_dual_add_f32 v53, v8, v48
	v_dual_add_f32 v56, v5, v49 :: v_dual_add_f32 v57, v4, v48
	;; [unrolled: 1-line block ×5, first 2 shown]
	v_min3_f32 v118, v53, v52, v118
	v_min3_f32 v117, v57, v56, v117
	;; [unrolled: 1-line block ×5, first 2 shown]
	v_dual_add_f32 v48, v25, v45 :: v_dual_add_f32 v49, v24, v44
	v_dual_add_f32 v52, v21, v45 :: v_dual_add_f32 v53, v20, v44
	;; [unrolled: 1-line block ×6, first 2 shown]
	v_min3_f32 v113, v49, v48, v113
	v_min3_f32 v111, v53, v52, v111
	;; [unrolled: 1-line block ×3, first 2 shown]
	v_dual_add_f32 v48, v33, v41 :: v_dual_add_f32 v49, v32, v40
	v_dual_add_f32 v52, v29, v41 :: v_dual_add_f32 v53, v28, v40
	;; [unrolled: 1-line block ×3, first 2 shown]
	v_min3_f32 v107, v44, v45, v107
	v_dual_add_f32 v44, v17, v41 :: v_dual_add_f32 v45, v16, v40
	v_min3_f32 v109, v140, v139, v109
	v_dual_add_f32 v139, v21, v41 :: v_dual_add_f32 v140, v20, v40
	v_min3_f32 v106, v49, v48, v106
	v_min3_f32 v104, v53, v52, v104
	;; [unrolled: 1-line block ×3, first 2 shown]
	v_dual_add_f32 v48, v9, v41 :: v_dual_add_f32 v49, v8, v40
	v_dual_add_f32 v52, v5, v41 :: v_dual_add_f32 v53, v4, v40
	v_dual_add_f32 v41, v1, v41 :: v_dual_add_f32 v40, v0, v40
	v_dual_add_f32 v56, v33, v37 :: v_dual_add_f32 v57, v32, v36
	v_min3_f32 v101, v45, v44, v101
	v_dual_add_f32 v44, v29, v37 :: v_dual_add_f32 v45, v28, v36
	v_min3_f32 v100, v49, v48, v100
	v_min3_f32 v99, v53, v52, v99
	;; [unrolled: 1-line block ×4, first 2 shown]
	v_dual_add_f32 v48, v25, v37 :: v_dual_add_f32 v49, v24, v36
	v_dual_add_f32 v52, v21, v37 :: v_dual_add_f32 v53, v20, v36
	;; [unrolled: 1-line block ×4, first 2 shown]
	v_min3_f32 v96, v45, v44, v96
	v_dual_add_f32 v44, v5, v37 :: v_dual_add_f32 v45, v4, v36
	v_dual_add_f32 v37, v1, v37 :: v_dual_add_f32 v36, v0, v36
	;; [unrolled: 1-line block ×6, first 2 shown]
	v_min3_f32 v134, v160, v159, v134
	v_min3_f32 v129, v158, v157, v129
	;; [unrolled: 1-line block ×3, first 2 shown]
	v_dual_add_f32 v33, v33, v13 :: v_dual_add_f32 v32, v32, v12
	v_dual_add_f32 v29, v29, v13 :: v_dual_add_f32 v28, v28, v12
	;; [unrolled: 1-line block ×4, first 2 shown]
	v_min3_f32 v156, v16, v17, v85
	v_min3_f32 v157, v8, v9, v84
	;; [unrolled: 1-line block ×4, first 2 shown]
	v_dual_add_f32 v0, v35, v63 :: v_dual_add_f32 v1, v34, v62
	v_dual_add_f32 v4, v31, v63 :: v_dual_add_f32 v5, v30, v62
	v_dual_add_f32 v8, v27, v63 :: v_dual_add_f32 v9, v26, v62
	v_dual_add_f32 v12, v23, v63 :: v_dual_add_f32 v13, v22, v62
	v_dual_add_f32 v16, v19, v63 :: v_dual_add_f32 v17, v18, v62
	v_min3_f32 v95, v49, v48, v95
	v_min3_f32 v97, v98, v97, v92
	;; [unrolled: 1-line block ×9, first 2 shown]
	v_dual_add_f32 v4, v11, v63 :: v_dual_add_f32 v5, v10, v62
	v_dual_add_f32 v8, v7, v63 :: v_dual_add_f32 v9, v6, v62
	;; [unrolled: 1-line block ×5, first 2 shown]
	v_min3_f32 v108, v148, v147, v108
	v_min3_f32 v94, v53, v52, v94
	;; [unrolled: 1-line block ×8, first 2 shown]
	v_dual_add_f32 v8, v27, v59 :: v_dual_add_f32 v9, v26, v58
	v_dual_add_f32 v12, v23, v59 :: v_dual_add_f32 v13, v22, v58
	;; [unrolled: 1-line block ×5, first 2 shown]
	v_min3_f32 v93, v57, v56, v93
	v_min3_f32 v147, v28, v29, v88
	v_min3_f32 v56, v9, v8, v137
	v_min3_f32 v57, v13, v12, v136
	v_min3_f32 v60, v17, v16, v135
	v_min3_f32 v8, v21, v20, v134
	v_min3_f32 v9, v25, v24, v133
	v_dual_add_f32 v12, v3, v59 :: v_dual_add_f32 v13, v2, v58
	v_dual_add_f32 v16, v35, v55 :: v_dual_add_f32 v17, v34, v54
	v_dual_add_f32 v20, v31, v55 :: v_dual_add_f32 v21, v30, v54
	v_dual_add_f32 v24, v27, v55 :: v_dual_add_f32 v25, v26, v54
	v_dual_add_f32 v28, v23, v55 :: v_dual_add_f32 v29, v22, v54
	v_min3_f32 v102, v140, v139, v102
	v_min3_f32 v140, v32, v33, v89
	;; [unrolled: 1-line block ×7, first 2 shown]
	v_dual_add_f32 v16, v19, v55 :: v_dual_add_f32 v17, v18, v54
	v_dual_add_f32 v20, v11, v55 :: v_dual_add_f32 v21, v10, v54
	;; [unrolled: 1-line block ×5, first 2 shown]
	v_min3_f32 v139, v36, v37, v90
	v_min3_f32 v54, v17, v16, v127
	;; [unrolled: 1-line block ×6, first 2 shown]
	v_dual_add_f32 v20, v31, v51 :: v_dual_add_f32 v21, v30, v50
	v_dual_add_f32 v24, v27, v51 :: v_dual_add_f32 v25, v26, v50
	v_dual_add_f32 v28, v23, v51 :: v_dual_add_f32 v29, v22, v50
	v_dual_add_f32 v32, v19, v51 :: v_dual_add_f32 v33, v18, v50
	v_dual_add_f32 v36, v11, v51 :: v_dual_add_f32 v37, v10, v50
	v_min3_f32 v63, v21, v20, v122
	v_min3_f32 v82, v25, v24, v121
	;; [unrolled: 1-line block ×5, first 2 shown]
	v_dual_add_f32 v24, v7, v51 :: v_dual_add_f32 v25, v6, v50
	v_dual_add_f32 v28, v3, v51 :: v_dual_add_f32 v29, v2, v50
	;; [unrolled: 1-line block ×5, first 2 shown]
	v_min3_f32 v50, v25, v24, v117
	v_min3_f32 v51, v29, v28, v116
	;; [unrolled: 1-line block ×5, first 2 shown]
	v_dual_add_f32 v28, v23, v47 :: v_dual_add_f32 v29, v22, v46
	v_dual_add_f32 v32, v19, v47 :: v_dual_add_f32 v33, v18, v46
	;; [unrolled: 1-line block ×5, first 2 shown]
	v_min3_f32 v46, v29, v28, v111
	v_min3_f32 v47, v33, v32, v110
	;; [unrolled: 1-line block ×4, first 2 shown]
	v_dual_add_f32 v32, v35, v43 :: v_dual_add_f32 v33, v34, v42
	v_dual_add_f32 v36, v31, v43 :: v_dual_add_f32 v37, v30, v42
	;; [unrolled: 1-line block ×5, first 2 shown]
	v_min3_f32 v29, v87, v86, v107
	v_min3_f32 v86, v33, v32, v106
	;; [unrolled: 1-line block ×6, first 2 shown]
	v_dual_add_f32 v36, v11, v43 :: v_dual_add_f32 v37, v10, v42
	v_dual_add_f32 v70, v7, v43 :: v_dual_add_f32 v71, v6, v42
	;; [unrolled: 1-line block ×5, first 2 shown]
	v_min3_f32 v42, v37, v36, v100
	v_min3_f32 v43, v71, v70, v99
	;; [unrolled: 1-line block ×5, first 2 shown]
	v_dual_add_f32 v40, v27, v39 :: v_dual_add_f32 v41, v26, v38
	v_dual_add_f32 v70, v23, v39 :: v_dual_add_f32 v71, v22, v38
	;; [unrolled: 1-line block ×4, first 2 shown]
	v_add_f32_e32 v102, v6, v38
	v_dual_add_f32 v38, v2, v38 :: v_dual_add_f32 v35, v35, v15
	v_dual_add_f32 v34, v34, v14 :: v_dual_add_f32 v31, v31, v15
	v_add_f32_e32 v92, v19, v39
	v_dual_add_f32 v30, v30, v14 :: v_dual_add_f32 v23, v23, v15
	v_min3_f32 v91, v71, v70, v94
	v_add_f32_e32 v70, v27, v15
	v_min3_f32 v27, v34, v35, v140
	v_dual_add_f32 v7, v7, v15 :: v_dual_add_nc_u32 v34, 12, v154
	v_add_f32_e32 v39, v3, v39
	v_add_f32_e32 v71, v26, v14
	v_min3_f32 v92, v96, v92, v93
	v_add_f32_e32 v93, v22, v14
	v_min3_f32 v30, v30, v31, v147
	v_dual_add_f32 v19, v19, v15 :: v_dual_add_f32 v18, v18, v14
	v_dual_add_f32 v11, v11, v15 :: v_dual_add_f32 v10, v10, v14
	v_add_f32_e32 v31, v6, v14
	v_dual_add_f32 v15, v3, v15 :: v_dual_add_f32 v2, v2, v14
	v_cmp_gt_i32_e64 s5, s18, v34
	v_min3_f32 v90, v41, v40, v95
	v_min3_f32 v40, v100, v99, v97
	;; [unrolled: 1-line block ×10, first 2 shown]
	s_and_b32 s6, s5, s14
	s_delay_alu instid0(SALU_CYCLE_1)
	s_and_saveexec_b32 s5, s6
	s_cbranch_execz .LBB7_31
; %bb.51:                               ;   in Loop: Header=BB7_32 Depth=1
	flat_load_b32 v152, v[64:65]
	s_branch .LBB7_31
.LBB7_52:
	s_clause 0x1
	scratch_load_b32 v202, off, off offset:20
	scratch_load_b32 v203, off, off offset:24
.LBB7_53:
	s_clause 0x2
	s_load_b32 s14, s[0:1], 0x50
	s_load_b32 s9, s[0:1], 0x68
	s_load_b64 s[0:1], s[0:1], 0x70
	s_waitcnt vmcnt(0)
	v_add_nc_u32_e32 v112, s24, v203
	ds_load_b128 v[32:35], v74 offset:4096
	ds_load_b128 v[28:31], v74 offset:4608
	;; [unrolled: 1-line block ×16, first 2 shown]
	v_add_nc_u32_e32 v64, s7, v202
	v_cmp_gt_i32_e64 s8, s17, v112
	v_cndmask_b32_e64 v105, 0, 1, s19
	s_waitcnt lgkmcnt(0)
	v_mad_i64_i32 v[65:66], null, v112, s14, 0
	v_mad_i64_i32 v[67:68], null, v112, s9, 0
	s_lshl_b64 s[0:1], s[0:1], 2
	s_delay_alu instid0(SALU_CYCLE_1) | instskip(SKIP_1) | instid1(VALU_DEP_2)
	s_add_u32 s12, s12, s0
	s_addc_u32 s13, s13, s1
	v_lshlrev_b64 v[65:66], 2, v[65:66]
	v_cmp_gt_i32_e64 s0, s16, v64
	s_delay_alu instid0(VALU_DEP_3) | instskip(NEXT) | instid1(VALU_DEP_2)
	v_lshlrev_b64 v[67:68], 2, v[67:68]
	s_and_b32 s2, s0, s8
	s_delay_alu instid0(VALU_DEP_3) | instskip(NEXT) | instid1(VALU_DEP_4)
	v_add_co_u32 v150, vcc_lo, s10, v65
	v_add_co_ci_u32_e32 v151, vcc_lo, s11, v66, vcc_lo
	s_delay_alu instid0(VALU_DEP_3) | instskip(NEXT) | instid1(VALU_DEP_4)
	v_add_co_u32 v142, vcc_lo, s12, v67
	v_add_co_ci_u32_e32 v149, vcc_lo, s13, v68, vcc_lo
	v_ashrrev_i32_e32 v65, 31, v64
	s_and_saveexec_b32 s1, s2
	s_cbranch_execz .LBB7_58
; %bb.54:
	s_delay_alu instid0(VALU_DEP_1)
	v_lshlrev_b64 v[66:67], 2, v[64:65]
	s_and_not1_b32 vcc_lo, exec_lo, s19
	s_cbranch_vccnz .LBB7_56
; %bb.55:
	s_delay_alu instid0(VALU_DEP_1) | instskip(NEXT) | instid1(VALU_DEP_2)
	v_add_co_u32 v68, vcc_lo, v150, v66
	v_add_co_ci_u32_e32 v69, vcc_lo, v151, v67, vcc_lo
	flat_load_b32 v68, v[68:69]
	s_waitcnt vmcnt(0) lgkmcnt(0)
	v_mul_f32_e32 v68, s15, v68
	s_branch .LBB7_57
.LBB7_56:
	v_mov_b32_e32 v68, 0
.LBB7_57:
	v_dual_add_f32 v69, v33, v61 :: v_dual_add_f32 v70, v32, v60
	v_dual_add_f32 v71, v35, v63 :: v_dual_add_f32 v72, v34, v62
	v_add_co_u32 v66, vcc_lo, v142, v66
	s_delay_alu instid0(VALU_DEP_3) | instskip(SKIP_1) | instid1(VALU_DEP_4)
	v_min3_f32 v69, v70, v69, v148
	v_add_co_ci_u32_e32 v67, vcc_lo, v149, v67, vcc_lo
	v_min_f32_e32 v70, v72, v71
	s_delay_alu instid0(VALU_DEP_1)
	v_min3_f32 v68, v68, v70, v69
	global_store_b32 v[66:67], v68, off
.LBB7_58:
	s_or_b32 exec_lo, exec_lo, s1
	v_add_nc_u32_e32 v66, 32, v64
	s_delay_alu instid0(VALU_DEP_1) | instskip(SKIP_1) | instid1(VALU_DEP_2)
	v_cmp_gt_i32_e64 s1, s16, v66
	v_ashrrev_i32_e32 v67, 31, v66
	s_and_b32 s3, s1, s8
	s_delay_alu instid0(SALU_CYCLE_1)
	s_and_saveexec_b32 s2, s3
	s_cbranch_execz .LBB7_63
; %bb.59:
	v_cmp_ne_u32_e32 vcc_lo, 1, v105
	v_lshlrev_b64 v[68:69], 2, v[66:67]
	s_cbranch_vccnz .LBB7_61
; %bb.60:
	s_delay_alu instid0(VALU_DEP_1) | instskip(NEXT) | instid1(VALU_DEP_2)
	v_add_co_u32 v70, vcc_lo, v150, v68
	v_add_co_ci_u32_e32 v71, vcc_lo, v151, v69, vcc_lo
	flat_load_b32 v70, v[70:71]
	s_waitcnt vmcnt(0) lgkmcnt(0)
	v_mul_f32_e32 v70, s15, v70
	s_branch .LBB7_62
.LBB7_61:
	v_mov_b32_e32 v70, 0
.LBB7_62:
	v_dual_add_f32 v71, v29, v61 :: v_dual_add_f32 v72, v28, v60
	v_dual_add_f32 v73, v31, v63 :: v_dual_add_f32 v74, v30, v62
	s_delay_alu instid0(VALU_DEP_4) | instskip(NEXT) | instid1(VALU_DEP_3)
	v_add_co_u32 v68, vcc_lo, v142, v68
	v_min3_f32 v71, v72, v71, v147
	v_add_co_ci_u32_e32 v69, vcc_lo, v149, v69, vcc_lo
	s_delay_alu instid0(VALU_DEP_4) | instskip(NEXT) | instid1(VALU_DEP_1)
	v_min_f32_e32 v72, v74, v73
	v_min3_f32 v70, v70, v72, v71
	global_store_b32 v[68:69], v70, off
.LBB7_63:
	s_or_b32 exec_lo, exec_lo, s2
	v_add_nc_u32_e32 v68, 64, v64
	s_delay_alu instid0(VALU_DEP_1) | instskip(SKIP_1) | instid1(VALU_DEP_2)
	v_cmp_gt_i32_e64 s2, s16, v68
	v_ashrrev_i32_e32 v69, 31, v68
	s_and_b32 s4, s2, s8
	s_delay_alu instid0(SALU_CYCLE_1)
	s_and_saveexec_b32 s3, s4
	s_cbranch_execz .LBB7_68
; %bb.64:
	v_cmp_ne_u32_e32 vcc_lo, 1, v105
	v_lshlrev_b64 v[70:71], 2, v[68:69]
	s_cbranch_vccnz .LBB7_66
; %bb.65:
	s_delay_alu instid0(VALU_DEP_1) | instskip(NEXT) | instid1(VALU_DEP_2)
	v_add_co_u32 v72, vcc_lo, v150, v70
	v_add_co_ci_u32_e32 v73, vcc_lo, v151, v71, vcc_lo
	flat_load_b32 v72, v[72:73]
	s_waitcnt vmcnt(0) lgkmcnt(0)
	v_mul_f32_e32 v72, s15, v72
	s_branch .LBB7_67
.LBB7_66:
	v_mov_b32_e32 v72, 0
.LBB7_67:
	v_dual_add_f32 v73, v25, v61 :: v_dual_add_f32 v74, v24, v60
	v_dual_add_f32 v75, v27, v63 :: v_dual_add_f32 v76, v26, v62
	s_delay_alu instid0(VALU_DEP_4) | instskip(NEXT) | instid1(VALU_DEP_3)
	v_add_co_u32 v70, vcc_lo, v142, v70
	v_min3_f32 v73, v74, v73, v146
	v_add_co_ci_u32_e32 v71, vcc_lo, v149, v71, vcc_lo
	s_delay_alu instid0(VALU_DEP_4) | instskip(NEXT) | instid1(VALU_DEP_1)
	v_min_f32_e32 v74, v76, v75
	v_min3_f32 v72, v72, v74, v73
	global_store_b32 v[70:71], v72, off
.LBB7_68:
	s_or_b32 exec_lo, exec_lo, s3
	v_add_nc_u32_e32 v70, 0x60, v64
	s_delay_alu instid0(VALU_DEP_1) | instskip(SKIP_1) | instid1(VALU_DEP_2)
	v_cmp_gt_i32_e64 s3, s16, v70
	v_ashrrev_i32_e32 v71, 31, v70
	s_and_b32 s5, s3, s8
	s_delay_alu instid0(SALU_CYCLE_1)
	s_and_saveexec_b32 s4, s5
	s_cbranch_execz .LBB7_73
; %bb.69:
	v_cmp_ne_u32_e32 vcc_lo, 1, v105
	v_lshlrev_b64 v[72:73], 2, v[70:71]
	s_cbranch_vccnz .LBB7_71
; %bb.70:
	s_delay_alu instid0(VALU_DEP_1) | instskip(NEXT) | instid1(VALU_DEP_2)
	v_add_co_u32 v74, vcc_lo, v150, v72
	v_add_co_ci_u32_e32 v75, vcc_lo, v151, v73, vcc_lo
	flat_load_b32 v74, v[74:75]
	s_waitcnt vmcnt(0) lgkmcnt(0)
	v_mul_f32_e32 v74, s15, v74
	s_branch .LBB7_72
.LBB7_71:
	v_mov_b32_e32 v74, 0
.LBB7_72:
	v_dual_add_f32 v75, v21, v61 :: v_dual_add_f32 v76, v20, v60
	v_dual_add_f32 v77, v23, v63 :: v_dual_add_f32 v78, v22, v62
	s_delay_alu instid0(VALU_DEP_4) | instskip(NEXT) | instid1(VALU_DEP_3)
	v_add_co_u32 v72, vcc_lo, v142, v72
	v_min3_f32 v75, v76, v75, v145
	v_add_co_ci_u32_e32 v73, vcc_lo, v149, v73, vcc_lo
	s_delay_alu instid0(VALU_DEP_4) | instskip(NEXT) | instid1(VALU_DEP_1)
	v_min_f32_e32 v76, v78, v77
	v_min3_f32 v74, v74, v76, v75
	global_store_b32 v[72:73], v74, off
.LBB7_73:
	s_or_b32 exec_lo, exec_lo, s4
	v_add_nc_u32_e32 v72, 0x80, v64
	s_delay_alu instid0(VALU_DEP_1) | instskip(SKIP_1) | instid1(VALU_DEP_2)
	v_cmp_gt_i32_e64 s4, s16, v72
	v_ashrrev_i32_e32 v73, 31, v72
	s_and_b32 s6, s4, s8
	s_delay_alu instid0(SALU_CYCLE_1)
	s_and_saveexec_b32 s5, s6
	s_cbranch_execz .LBB7_78
; %bb.74:
	v_cmp_ne_u32_e32 vcc_lo, 1, v105
	v_lshlrev_b64 v[74:75], 2, v[72:73]
	s_cbranch_vccnz .LBB7_76
; %bb.75:
	s_delay_alu instid0(VALU_DEP_1) | instskip(NEXT) | instid1(VALU_DEP_2)
	v_add_co_u32 v76, vcc_lo, v150, v74
	v_add_co_ci_u32_e32 v77, vcc_lo, v151, v75, vcc_lo
	flat_load_b32 v76, v[76:77]
	s_waitcnt vmcnt(0) lgkmcnt(0)
	v_mul_f32_e32 v76, s15, v76
	s_branch .LBB7_77
.LBB7_76:
	v_mov_b32_e32 v76, 0
.LBB7_77:
	v_dual_add_f32 v77, v17, v61 :: v_dual_add_f32 v78, v16, v60
	v_dual_add_f32 v79, v19, v63 :: v_dual_add_f32 v80, v18, v62
	s_delay_alu instid0(VALU_DEP_4) | instskip(NEXT) | instid1(VALU_DEP_3)
	v_add_co_u32 v74, vcc_lo, v142, v74
	v_min3_f32 v77, v78, v77, v144
	v_add_co_ci_u32_e32 v75, vcc_lo, v149, v75, vcc_lo
	s_delay_alu instid0(VALU_DEP_4) | instskip(NEXT) | instid1(VALU_DEP_1)
	v_min_f32_e32 v78, v80, v79
	v_min3_f32 v76, v76, v78, v77
	global_store_b32 v[74:75], v76, off
.LBB7_78:
	s_or_b32 exec_lo, exec_lo, s5
	v_add_nc_u32_e32 v74, 0xa0, v64
	s_delay_alu instid0(VALU_DEP_1) | instskip(SKIP_1) | instid1(VALU_DEP_2)
	v_cmp_gt_i32_e64 s5, s16, v74
	v_ashrrev_i32_e32 v75, 31, v74
	s_and_b32 s7, s5, s8
	s_delay_alu instid0(SALU_CYCLE_1)
	s_and_saveexec_b32 s6, s7
	s_cbranch_execz .LBB7_83
; %bb.79:
	v_cmp_ne_u32_e32 vcc_lo, 1, v105
	v_lshlrev_b64 v[76:77], 2, v[74:75]
	s_cbranch_vccnz .LBB7_81
; %bb.80:
	s_delay_alu instid0(VALU_DEP_1) | instskip(NEXT) | instid1(VALU_DEP_2)
	v_add_co_u32 v78, vcc_lo, v150, v76
	v_add_co_ci_u32_e32 v79, vcc_lo, v151, v77, vcc_lo
	flat_load_b32 v78, v[78:79]
	s_waitcnt vmcnt(0) lgkmcnt(0)
	v_mul_f32_e32 v78, s15, v78
	s_branch .LBB7_82
.LBB7_81:
	v_mov_b32_e32 v78, 0
.LBB7_82:
	v_dual_add_f32 v79, v13, v61 :: v_dual_add_f32 v80, v12, v60
	v_dual_add_f32 v81, v15, v63 :: v_dual_add_f32 v144, v14, v62
	s_delay_alu instid0(VALU_DEP_4) | instskip(NEXT) | instid1(VALU_DEP_3)
	v_add_co_u32 v76, vcc_lo, v142, v76
	v_min3_f32 v79, v80, v79, v143
	v_add_co_ci_u32_e32 v77, vcc_lo, v149, v77, vcc_lo
	s_delay_alu instid0(VALU_DEP_4) | instskip(NEXT) | instid1(VALU_DEP_1)
	v_min_f32_e32 v80, v144, v81
	v_min3_f32 v78, v78, v80, v79
	global_store_b32 v[76:77], v78, off
.LBB7_83:
	s_or_b32 exec_lo, exec_lo, s6
	v_add_nc_u32_e32 v76, 0xc0, v64
	s_delay_alu instid0(VALU_DEP_1) | instskip(SKIP_1) | instid1(VALU_DEP_2)
	v_cmp_gt_i32_e64 s6, s16, v76
	v_ashrrev_i32_e32 v77, 31, v76
	s_and_b32 s18, s6, s8
	s_delay_alu instid0(SALU_CYCLE_1)
	s_and_saveexec_b32 s7, s18
	s_cbranch_execz .LBB7_88
; %bb.84:
	v_cmp_ne_u32_e32 vcc_lo, 1, v105
	v_lshlrev_b64 v[78:79], 2, v[76:77]
	s_cbranch_vccnz .LBB7_86
; %bb.85:
	s_delay_alu instid0(VALU_DEP_1) | instskip(NEXT) | instid1(VALU_DEP_2)
	v_add_co_u32 v80, vcc_lo, v150, v78
	v_add_co_ci_u32_e32 v81, vcc_lo, v151, v79, vcc_lo
	flat_load_b32 v80, v[80:81]
	s_waitcnt vmcnt(0) lgkmcnt(0)
	v_mul_f32_e32 v80, s15, v80
	s_branch .LBB7_87
.LBB7_86:
	v_mov_b32_e32 v80, 0
.LBB7_87:
	v_dual_add_f32 v81, v9, v61 :: v_dual_add_f32 v144, v11, v63
	v_add_f32_e32 v143, v8, v60
	v_add_f32_e32 v145, v10, v62
	v_add_co_u32 v78, vcc_lo, v142, v78
	v_add_co_ci_u32_e32 v79, vcc_lo, v149, v79, vcc_lo
	s_delay_alu instid0(VALU_DEP_4) | instskip(NEXT) | instid1(VALU_DEP_4)
	v_min3_f32 v81, v143, v81, v141
	v_min_f32_e32 v141, v145, v144
	s_delay_alu instid0(VALU_DEP_1)
	v_min3_f32 v80, v80, v141, v81
	global_store_b32 v[78:79], v80, off
.LBB7_88:
	s_or_b32 exec_lo, exec_lo, s7
	v_add_nc_u32_e32 v78, 0xe0, v64
	s_delay_alu instid0(VALU_DEP_1) | instskip(SKIP_1) | instid1(VALU_DEP_2)
	v_cmp_gt_i32_e64 s7, s16, v78
	v_ashrrev_i32_e32 v79, 31, v78
	s_and_b32 s16, s7, s8
	s_delay_alu instid0(SALU_CYCLE_1)
	s_and_saveexec_b32 s8, s16
	s_cbranch_execz .LBB7_93
; %bb.89:
	v_cmp_ne_u32_e32 vcc_lo, 1, v105
	v_lshlrev_b64 v[80:81], 2, v[78:79]
	s_cbranch_vccnz .LBB7_91
; %bb.90:
	s_delay_alu instid0(VALU_DEP_1) | instskip(NEXT) | instid1(VALU_DEP_2)
	v_add_co_u32 v143, vcc_lo, v150, v80
	v_add_co_ci_u32_e32 v144, vcc_lo, v151, v81, vcc_lo
	flat_load_b32 v141, v[143:144]
	s_waitcnt vmcnt(0) lgkmcnt(0)
	v_mul_f32_e32 v141, s15, v141
	s_branch .LBB7_92
.LBB7_91:
	v_mov_b32_e32 v141, 0
.LBB7_92:
	v_dual_add_f32 v61, v1, v61 :: v_dual_add_f32 v60, v0, v60
	v_dual_add_f32 v63, v3, v63 :: v_dual_add_f32 v62, v2, v62
	s_delay_alu instid0(VALU_DEP_2) | instskip(NEXT) | instid1(VALU_DEP_2)
	v_min3_f32 v60, v60, v61, v140
	v_min_f32_e32 v61, v62, v63
	s_delay_alu instid0(VALU_DEP_1)
	v_min3_f32 v62, v141, v61, v60
	v_add_co_u32 v60, vcc_lo, v142, v80
	v_add_co_ci_u32_e32 v61, vcc_lo, v149, v81, vcc_lo
	global_store_b32 v[60:61], v62, off
.LBB7_93:
	s_or_b32 exec_lo, exec_lo, s8
	v_add_nc_u32_e32 v80, 8, v112
	s_delay_alu instid0(VALU_DEP_1) | instskip(SKIP_2) | instid1(VALU_DEP_3)
	v_mad_i64_i32 v[60:61], null, v80, s14, 0
	v_mad_i64_i32 v[62:63], null, v80, s9, 0
	v_cmp_gt_i32_e64 s8, s17, v80
	v_lshlrev_b64 v[60:61], 2, v[60:61]
	s_delay_alu instid0(VALU_DEP_2) | instskip(NEXT) | instid1(VALU_DEP_3)
	s_and_b32 s18, s0, s8
	v_lshlrev_b64 v[62:63], 2, v[62:63]
	s_delay_alu instid0(VALU_DEP_2) | instskip(NEXT) | instid1(VALU_DEP_3)
	v_add_co_u32 v80, vcc_lo, s10, v60
	v_add_co_ci_u32_e32 v81, vcc_lo, s11, v61, vcc_lo
	s_delay_alu instid0(VALU_DEP_3) | instskip(NEXT) | instid1(VALU_DEP_4)
	v_add_co_u32 v62, vcc_lo, s12, v62
	v_add_co_ci_u32_e32 v63, vcc_lo, s13, v63, vcc_lo
	s_and_saveexec_b32 s16, s18
	s_cbranch_execnz .LBB7_101
; %bb.94:
	s_or_b32 exec_lo, exec_lo, s16
	s_and_b32 s18, s1, s8
	s_delay_alu instid0(SALU_CYCLE_1)
	s_and_saveexec_b32 s16, s18
	s_cbranch_execnz .LBB7_105
.LBB7_95:
	s_or_b32 exec_lo, exec_lo, s16
	s_and_b32 s18, s2, s8
	s_delay_alu instid0(SALU_CYCLE_1)
	s_and_saveexec_b32 s16, s18
	s_cbranch_execnz .LBB7_109
.LBB7_96:
	s_or_b32 exec_lo, exec_lo, s16
	s_and_b32 s18, s3, s8
	s_delay_alu instid0(SALU_CYCLE_1)
	s_and_saveexec_b32 s16, s18
	s_cbranch_execnz .LBB7_113
.LBB7_97:
	s_or_b32 exec_lo, exec_lo, s16
	s_and_b32 s18, s4, s8
	s_delay_alu instid0(SALU_CYCLE_1)
	s_and_saveexec_b32 s16, s18
	s_cbranch_execnz .LBB7_117
.LBB7_98:
	s_or_b32 exec_lo, exec_lo, s16
	s_and_b32 s18, s5, s8
	s_delay_alu instid0(SALU_CYCLE_1)
	s_and_saveexec_b32 s16, s18
	s_cbranch_execnz .LBB7_121
.LBB7_99:
	s_or_b32 exec_lo, exec_lo, s16
	s_and_b32 s18, s6, s8
	s_delay_alu instid0(SALU_CYCLE_1)
	s_and_saveexec_b32 s16, s18
	s_cbranch_execnz .LBB7_125
.LBB7_100:
	s_or_b32 exec_lo, exec_lo, s16
	s_and_b32 s16, s7, s8
	s_delay_alu instid0(SALU_CYCLE_1)
	s_and_saveexec_b32 s8, s16
	s_cbranch_execnz .LBB7_129
	s_branch .LBB7_133
.LBB7_101:
	v_cmp_ne_u32_e32 vcc_lo, 1, v105
	v_lshlrev_b64 v[60:61], 2, v[64:65]
	s_cbranch_vccnz .LBB7_103
; %bb.102:
	s_delay_alu instid0(VALU_DEP_1) | instskip(NEXT) | instid1(VALU_DEP_2)
	v_add_co_u32 v140, vcc_lo, v80, v60
	v_add_co_ci_u32_e32 v141, vcc_lo, v81, v61, vcc_lo
	flat_load_b32 v140, v[140:141]
	s_waitcnt vmcnt(0) lgkmcnt(0)
	v_mul_f32_e32 v140, s15, v140
	s_branch .LBB7_104
.LBB7_103:
	v_mov_b32_e32 v140, 0
.LBB7_104:
	v_dual_add_f32 v141, v33, v57 :: v_dual_add_f32 v142, v32, v56
	v_dual_add_f32 v143, v35, v59 :: v_dual_add_f32 v144, v34, v58
	s_delay_alu instid0(VALU_DEP_4) | instskip(NEXT) | instid1(VALU_DEP_3)
	v_add_co_u32 v60, vcc_lo, v62, v60
	v_min3_f32 v139, v142, v141, v139
	v_add_co_ci_u32_e32 v61, vcc_lo, v63, v61, vcc_lo
	s_delay_alu instid0(VALU_DEP_4) | instskip(NEXT) | instid1(VALU_DEP_1)
	v_min_f32_e32 v141, v144, v143
	v_min3_f32 v139, v140, v141, v139
	global_store_b32 v[60:61], v139, off
	s_or_b32 exec_lo, exec_lo, s16
	s_and_b32 s18, s1, s8
	s_delay_alu instid0(SALU_CYCLE_1)
	s_and_saveexec_b32 s16, s18
	s_cbranch_execz .LBB7_95
.LBB7_105:
	v_cmp_ne_u32_e32 vcc_lo, 1, v105
	v_lshlrev_b64 v[60:61], 2, v[66:67]
	s_cbranch_vccnz .LBB7_107
; %bb.106:
	s_delay_alu instid0(VALU_DEP_1) | instskip(NEXT) | instid1(VALU_DEP_2)
	v_add_co_u32 v139, vcc_lo, v80, v60
	v_add_co_ci_u32_e32 v140, vcc_lo, v81, v61, vcc_lo
	flat_load_b32 v139, v[139:140]
	s_waitcnt vmcnt(0) lgkmcnt(0)
	v_mul_f32_e32 v139, s15, v139
	s_branch .LBB7_108
.LBB7_107:
	v_mov_b32_e32 v139, 0
.LBB7_108:
	v_dual_add_f32 v140, v29, v57 :: v_dual_add_f32 v141, v28, v56
	v_dual_add_f32 v142, v31, v59 :: v_dual_add_f32 v143, v30, v58
	s_delay_alu instid0(VALU_DEP_4) | instskip(NEXT) | instid1(VALU_DEP_3)
	v_add_co_u32 v60, vcc_lo, v62, v60
	v_min3_f32 v138, v141, v140, v138
	v_add_co_ci_u32_e32 v61, vcc_lo, v63, v61, vcc_lo
	s_delay_alu instid0(VALU_DEP_4) | instskip(NEXT) | instid1(VALU_DEP_1)
	v_min_f32_e32 v140, v143, v142
	v_min3_f32 v138, v139, v140, v138
	global_store_b32 v[60:61], v138, off
	s_or_b32 exec_lo, exec_lo, s16
	s_and_b32 s18, s2, s8
	s_delay_alu instid0(SALU_CYCLE_1)
	s_and_saveexec_b32 s16, s18
	s_cbranch_execz .LBB7_96
.LBB7_109:
	v_cmp_ne_u32_e32 vcc_lo, 1, v105
	v_lshlrev_b64 v[60:61], 2, v[68:69]
	s_cbranch_vccnz .LBB7_111
; %bb.110:
	s_delay_alu instid0(VALU_DEP_1) | instskip(NEXT) | instid1(VALU_DEP_2)
	v_add_co_u32 v138, vcc_lo, v80, v60
	v_add_co_ci_u32_e32 v139, vcc_lo, v81, v61, vcc_lo
	flat_load_b32 v138, v[138:139]
	s_waitcnt vmcnt(0) lgkmcnt(0)
	v_mul_f32_e32 v138, s15, v138
	s_branch .LBB7_112
.LBB7_111:
	v_mov_b32_e32 v138, 0
.LBB7_112:
	v_dual_add_f32 v139, v25, v57 :: v_dual_add_f32 v140, v24, v56
	v_dual_add_f32 v141, v27, v59 :: v_dual_add_f32 v142, v26, v58
	s_delay_alu instid0(VALU_DEP_4) | instskip(NEXT) | instid1(VALU_DEP_3)
	v_add_co_u32 v60, vcc_lo, v62, v60
	v_min3_f32 v137, v140, v139, v137
	v_add_co_ci_u32_e32 v61, vcc_lo, v63, v61, vcc_lo
	s_delay_alu instid0(VALU_DEP_4) | instskip(NEXT) | instid1(VALU_DEP_1)
	v_min_f32_e32 v139, v142, v141
	v_min3_f32 v137, v138, v139, v137
	global_store_b32 v[60:61], v137, off
	s_or_b32 exec_lo, exec_lo, s16
	s_and_b32 s18, s3, s8
	s_delay_alu instid0(SALU_CYCLE_1)
	s_and_saveexec_b32 s16, s18
	s_cbranch_execz .LBB7_97
.LBB7_113:
	v_cmp_ne_u32_e32 vcc_lo, 1, v105
	v_lshlrev_b64 v[60:61], 2, v[70:71]
	s_cbranch_vccnz .LBB7_115
; %bb.114:
	s_delay_alu instid0(VALU_DEP_1) | instskip(NEXT) | instid1(VALU_DEP_2)
	v_add_co_u32 v137, vcc_lo, v80, v60
	v_add_co_ci_u32_e32 v138, vcc_lo, v81, v61, vcc_lo
	flat_load_b32 v137, v[137:138]
	s_waitcnt vmcnt(0) lgkmcnt(0)
	v_mul_f32_e32 v137, s15, v137
	s_branch .LBB7_116
.LBB7_115:
	v_mov_b32_e32 v137, 0
.LBB7_116:
	v_dual_add_f32 v138, v21, v57 :: v_dual_add_f32 v139, v20, v56
	v_dual_add_f32 v140, v23, v59 :: v_dual_add_f32 v141, v22, v58
	s_delay_alu instid0(VALU_DEP_4) | instskip(NEXT) | instid1(VALU_DEP_3)
	v_add_co_u32 v60, vcc_lo, v62, v60
	v_min3_f32 v136, v139, v138, v136
	v_add_co_ci_u32_e32 v61, vcc_lo, v63, v61, vcc_lo
	s_delay_alu instid0(VALU_DEP_4) | instskip(NEXT) | instid1(VALU_DEP_1)
	v_min_f32_e32 v138, v141, v140
	v_min3_f32 v136, v137, v138, v136
	global_store_b32 v[60:61], v136, off
	s_or_b32 exec_lo, exec_lo, s16
	s_and_b32 s18, s4, s8
	s_delay_alu instid0(SALU_CYCLE_1)
	s_and_saveexec_b32 s16, s18
	s_cbranch_execz .LBB7_98
.LBB7_117:
	v_cmp_ne_u32_e32 vcc_lo, 1, v105
	v_lshlrev_b64 v[60:61], 2, v[72:73]
	s_cbranch_vccnz .LBB7_119
; %bb.118:
	s_delay_alu instid0(VALU_DEP_1) | instskip(NEXT) | instid1(VALU_DEP_2)
	v_add_co_u32 v136, vcc_lo, v80, v60
	v_add_co_ci_u32_e32 v137, vcc_lo, v81, v61, vcc_lo
	flat_load_b32 v136, v[136:137]
	s_waitcnt vmcnt(0) lgkmcnt(0)
	v_mul_f32_e32 v136, s15, v136
	s_branch .LBB7_120
.LBB7_119:
	v_mov_b32_e32 v136, 0
.LBB7_120:
	v_dual_add_f32 v137, v17, v57 :: v_dual_add_f32 v138, v16, v56
	v_dual_add_f32 v139, v19, v59 :: v_dual_add_f32 v140, v18, v58
	s_delay_alu instid0(VALU_DEP_4) | instskip(NEXT) | instid1(VALU_DEP_3)
	v_add_co_u32 v60, vcc_lo, v62, v60
	v_min3_f32 v135, v138, v137, v135
	v_add_co_ci_u32_e32 v61, vcc_lo, v63, v61, vcc_lo
	s_delay_alu instid0(VALU_DEP_4) | instskip(NEXT) | instid1(VALU_DEP_1)
	v_min_f32_e32 v137, v140, v139
	v_min3_f32 v135, v136, v137, v135
	global_store_b32 v[60:61], v135, off
	s_or_b32 exec_lo, exec_lo, s16
	s_and_b32 s18, s5, s8
	s_delay_alu instid0(SALU_CYCLE_1)
	s_and_saveexec_b32 s16, s18
	s_cbranch_execz .LBB7_99
.LBB7_121:
	v_cmp_ne_u32_e32 vcc_lo, 1, v105
	v_lshlrev_b64 v[60:61], 2, v[74:75]
	s_cbranch_vccnz .LBB7_123
; %bb.122:
	s_delay_alu instid0(VALU_DEP_1) | instskip(NEXT) | instid1(VALU_DEP_2)
	v_add_co_u32 v135, vcc_lo, v80, v60
	v_add_co_ci_u32_e32 v136, vcc_lo, v81, v61, vcc_lo
	flat_load_b32 v135, v[135:136]
	s_waitcnt vmcnt(0) lgkmcnt(0)
	v_mul_f32_e32 v135, s15, v135
	s_branch .LBB7_124
.LBB7_123:
	v_mov_b32_e32 v135, 0
.LBB7_124:
	v_dual_add_f32 v136, v13, v57 :: v_dual_add_f32 v137, v12, v56
	v_dual_add_f32 v138, v15, v59 :: v_dual_add_f32 v139, v14, v58
	s_delay_alu instid0(VALU_DEP_4) | instskip(NEXT) | instid1(VALU_DEP_3)
	v_add_co_u32 v60, vcc_lo, v62, v60
	v_min3_f32 v134, v137, v136, v134
	v_add_co_ci_u32_e32 v61, vcc_lo, v63, v61, vcc_lo
	s_delay_alu instid0(VALU_DEP_4) | instskip(NEXT) | instid1(VALU_DEP_1)
	v_min_f32_e32 v136, v139, v138
	v_min3_f32 v134, v135, v136, v134
	global_store_b32 v[60:61], v134, off
	s_or_b32 exec_lo, exec_lo, s16
	s_and_b32 s18, s6, s8
	s_delay_alu instid0(SALU_CYCLE_1)
	s_and_saveexec_b32 s16, s18
	s_cbranch_execz .LBB7_100
.LBB7_125:
	v_cmp_ne_u32_e32 vcc_lo, 1, v105
	v_lshlrev_b64 v[60:61], 2, v[76:77]
	s_cbranch_vccnz .LBB7_127
; %bb.126:
	s_delay_alu instid0(VALU_DEP_1) | instskip(NEXT) | instid1(VALU_DEP_2)
	v_add_co_u32 v134, vcc_lo, v80, v60
	v_add_co_ci_u32_e32 v135, vcc_lo, v81, v61, vcc_lo
	flat_load_b32 v134, v[134:135]
	s_waitcnt vmcnt(0) lgkmcnt(0)
	v_mul_f32_e32 v134, s15, v134
	s_branch .LBB7_128
.LBB7_127:
	v_mov_b32_e32 v134, 0
.LBB7_128:
	v_dual_add_f32 v135, v9, v57 :: v_dual_add_f32 v136, v8, v56
	v_dual_add_f32 v137, v11, v59 :: v_dual_add_f32 v138, v10, v58
	s_delay_alu instid0(VALU_DEP_4) | instskip(NEXT) | instid1(VALU_DEP_3)
	v_add_co_u32 v60, vcc_lo, v62, v60
	v_min3_f32 v133, v136, v135, v133
	v_add_co_ci_u32_e32 v61, vcc_lo, v63, v61, vcc_lo
	s_delay_alu instid0(VALU_DEP_4) | instskip(NEXT) | instid1(VALU_DEP_1)
	v_min_f32_e32 v135, v138, v137
	v_min3_f32 v133, v134, v135, v133
	global_store_b32 v[60:61], v133, off
	s_or_b32 exec_lo, exec_lo, s16
	s_and_b32 s16, s7, s8
	s_delay_alu instid0(SALU_CYCLE_1)
	s_and_saveexec_b32 s8, s16
	s_cbranch_execz .LBB7_133
.LBB7_129:
	v_cmp_ne_u32_e32 vcc_lo, 1, v105
	v_lshlrev_b64 v[60:61], 2, v[78:79]
	s_cbranch_vccnz .LBB7_131
; %bb.130:
	s_delay_alu instid0(VALU_DEP_1) | instskip(NEXT) | instid1(VALU_DEP_2)
	v_add_co_u32 v80, vcc_lo, v80, v60
	v_add_co_ci_u32_e32 v81, vcc_lo, v81, v61, vcc_lo
	flat_load_b32 v80, v[80:81]
	s_waitcnt vmcnt(0) lgkmcnt(0)
	v_mul_f32_e32 v80, s15, v80
	s_branch .LBB7_132
.LBB7_131:
	v_mov_b32_e32 v80, 0
.LBB7_132:
	v_dual_add_f32 v57, v1, v57 :: v_dual_add_f32 v56, v0, v56
	v_dual_add_f32 v59, v3, v59 :: v_dual_add_f32 v58, v2, v58
	s_delay_alu instid0(VALU_DEP_2) | instskip(NEXT) | instid1(VALU_DEP_2)
	v_min3_f32 v56, v56, v57, v132
	v_min_f32_e32 v57, v58, v59
	s_delay_alu instid0(VALU_DEP_1)
	v_min3_f32 v58, v80, v57, v56
	v_add_co_u32 v56, vcc_lo, v62, v60
	v_add_co_ci_u32_e32 v57, vcc_lo, v63, v61, vcc_lo
	global_store_b32 v[56:57], v58, off
.LBB7_133:
	s_or_b32 exec_lo, exec_lo, s8
	v_add_nc_u32_e32 v60, 16, v112
	s_delay_alu instid0(VALU_DEP_1) | instskip(SKIP_2) | instid1(VALU_DEP_3)
	v_mad_i64_i32 v[56:57], null, v60, s14, 0
	v_mad_i64_i32 v[58:59], null, v60, s9, 0
	v_cmp_gt_i32_e64 s8, s17, v60
	v_lshlrev_b64 v[56:57], 2, v[56:57]
	s_delay_alu instid0(VALU_DEP_2) | instskip(NEXT) | instid1(VALU_DEP_3)
	s_and_b32 s18, s0, s8
	v_lshlrev_b64 v[58:59], 2, v[58:59]
	s_delay_alu instid0(VALU_DEP_2) | instskip(NEXT) | instid1(VALU_DEP_3)
	v_add_co_u32 v60, vcc_lo, s10, v56
	v_add_co_ci_u32_e32 v61, vcc_lo, s11, v57, vcc_lo
	s_delay_alu instid0(VALU_DEP_3) | instskip(NEXT) | instid1(VALU_DEP_4)
	v_add_co_u32 v58, vcc_lo, s12, v58
	v_add_co_ci_u32_e32 v59, vcc_lo, s13, v59, vcc_lo
	s_and_saveexec_b32 s16, s18
	s_cbranch_execnz .LBB7_141
; %bb.134:
	s_or_b32 exec_lo, exec_lo, s16
	s_and_b32 s18, s1, s8
	s_delay_alu instid0(SALU_CYCLE_1)
	s_and_saveexec_b32 s16, s18
	s_cbranch_execnz .LBB7_145
.LBB7_135:
	s_or_b32 exec_lo, exec_lo, s16
	s_and_b32 s18, s2, s8
	s_delay_alu instid0(SALU_CYCLE_1)
	s_and_saveexec_b32 s16, s18
	s_cbranch_execnz .LBB7_149
.LBB7_136:
	s_or_b32 exec_lo, exec_lo, s16
	s_and_b32 s18, s3, s8
	s_delay_alu instid0(SALU_CYCLE_1)
	s_and_saveexec_b32 s16, s18
	s_cbranch_execnz .LBB7_153
.LBB7_137:
	s_or_b32 exec_lo, exec_lo, s16
	s_and_b32 s18, s4, s8
	s_delay_alu instid0(SALU_CYCLE_1)
	s_and_saveexec_b32 s16, s18
	s_cbranch_execnz .LBB7_157
.LBB7_138:
	s_or_b32 exec_lo, exec_lo, s16
	s_and_b32 s18, s5, s8
	s_delay_alu instid0(SALU_CYCLE_1)
	s_and_saveexec_b32 s16, s18
	s_cbranch_execnz .LBB7_161
.LBB7_139:
	s_or_b32 exec_lo, exec_lo, s16
	s_and_b32 s18, s6, s8
	s_delay_alu instid0(SALU_CYCLE_1)
	s_and_saveexec_b32 s16, s18
	s_cbranch_execnz .LBB7_165
.LBB7_140:
	s_or_b32 exec_lo, exec_lo, s16
	s_and_b32 s16, s7, s8
	s_delay_alu instid0(SALU_CYCLE_1)
	s_and_saveexec_b32 s8, s16
	s_cbranch_execnz .LBB7_169
	s_branch .LBB7_173
.LBB7_141:
	v_cmp_ne_u32_e32 vcc_lo, 1, v105
	v_lshlrev_b64 v[56:57], 2, v[64:65]
	s_cbranch_vccnz .LBB7_143
; %bb.142:
	s_delay_alu instid0(VALU_DEP_1) | instskip(NEXT) | instid1(VALU_DEP_2)
	v_add_co_u32 v62, vcc_lo, v60, v56
	v_add_co_ci_u32_e32 v63, vcc_lo, v61, v57, vcc_lo
	flat_load_b32 v62, v[62:63]
	s_waitcnt vmcnt(0) lgkmcnt(0)
	v_mul_f32_e32 v62, s15, v62
	s_branch .LBB7_144
.LBB7_143:
	v_mov_b32_e32 v62, 0
.LBB7_144:
	v_dual_add_f32 v63, v33, v53 :: v_dual_add_f32 v80, v32, v52
	v_dual_add_f32 v81, v35, v55 :: v_dual_add_f32 v132, v34, v54
	s_delay_alu instid0(VALU_DEP_4) | instskip(NEXT) | instid1(VALU_DEP_3)
	v_add_co_u32 v56, vcc_lo, v58, v56
	v_min3_f32 v63, v80, v63, v131
	v_add_co_ci_u32_e32 v57, vcc_lo, v59, v57, vcc_lo
	s_delay_alu instid0(VALU_DEP_4) | instskip(NEXT) | instid1(VALU_DEP_1)
	v_min_f32_e32 v80, v132, v81
	v_min3_f32 v62, v62, v80, v63
	global_store_b32 v[56:57], v62, off
	s_or_b32 exec_lo, exec_lo, s16
	s_and_b32 s18, s1, s8
	s_delay_alu instid0(SALU_CYCLE_1)
	s_and_saveexec_b32 s16, s18
	s_cbranch_execz .LBB7_135
.LBB7_145:
	v_cmp_ne_u32_e32 vcc_lo, 1, v105
	v_lshlrev_b64 v[56:57], 2, v[66:67]
	s_cbranch_vccnz .LBB7_147
; %bb.146:
	s_delay_alu instid0(VALU_DEP_1) | instskip(NEXT) | instid1(VALU_DEP_2)
	v_add_co_u32 v62, vcc_lo, v60, v56
	v_add_co_ci_u32_e32 v63, vcc_lo, v61, v57, vcc_lo
	flat_load_b32 v62, v[62:63]
	s_waitcnt vmcnt(0) lgkmcnt(0)
	v_mul_f32_e32 v62, s15, v62
	s_branch .LBB7_148
.LBB7_147:
	v_mov_b32_e32 v62, 0
.LBB7_148:
	v_dual_add_f32 v63, v29, v53 :: v_dual_add_f32 v80, v28, v52
	v_add_f32_e32 v81, v31, v55
	v_add_f32_e32 v131, v30, v54
	v_add_co_u32 v56, vcc_lo, v58, v56
	s_delay_alu instid0(VALU_DEP_4) | instskip(SKIP_1) | instid1(VALU_DEP_4)
	v_min3_f32 v63, v80, v63, v130
	v_add_co_ci_u32_e32 v57, vcc_lo, v59, v57, vcc_lo
	v_min_f32_e32 v80, v131, v81
	s_delay_alu instid0(VALU_DEP_1) | instskip(SKIP_3) | instid1(SALU_CYCLE_1)
	v_min3_f32 v62, v62, v80, v63
	global_store_b32 v[56:57], v62, off
	s_or_b32 exec_lo, exec_lo, s16
	s_and_b32 s18, s2, s8
	s_and_saveexec_b32 s16, s18
	s_cbranch_execz .LBB7_136
.LBB7_149:
	v_cmp_ne_u32_e32 vcc_lo, 1, v105
	v_lshlrev_b64 v[56:57], 2, v[68:69]
	s_cbranch_vccnz .LBB7_151
; %bb.150:
	s_delay_alu instid0(VALU_DEP_1) | instskip(NEXT) | instid1(VALU_DEP_2)
	v_add_co_u32 v62, vcc_lo, v60, v56
	v_add_co_ci_u32_e32 v63, vcc_lo, v61, v57, vcc_lo
	flat_load_b32 v62, v[62:63]
	s_waitcnt vmcnt(0) lgkmcnt(0)
	v_mul_f32_e32 v62, s15, v62
	s_branch .LBB7_152
.LBB7_151:
	v_mov_b32_e32 v62, 0
.LBB7_152:
	v_dual_add_f32 v63, v25, v53 :: v_dual_add_f32 v80, v24, v52
	v_dual_add_f32 v81, v27, v55 :: v_dual_add_f32 v130, v26, v54
	s_delay_alu instid0(VALU_DEP_4) | instskip(NEXT) | instid1(VALU_DEP_3)
	v_add_co_u32 v56, vcc_lo, v58, v56
	v_min3_f32 v63, v80, v63, v129
	v_add_co_ci_u32_e32 v57, vcc_lo, v59, v57, vcc_lo
	s_delay_alu instid0(VALU_DEP_4) | instskip(NEXT) | instid1(VALU_DEP_1)
	v_min_f32_e32 v80, v130, v81
	v_min3_f32 v62, v62, v80, v63
	global_store_b32 v[56:57], v62, off
	s_or_b32 exec_lo, exec_lo, s16
	s_and_b32 s18, s3, s8
	s_delay_alu instid0(SALU_CYCLE_1)
	s_and_saveexec_b32 s16, s18
	s_cbranch_execz .LBB7_137
.LBB7_153:
	v_cmp_ne_u32_e32 vcc_lo, 1, v105
	v_lshlrev_b64 v[56:57], 2, v[70:71]
	s_cbranch_vccnz .LBB7_155
; %bb.154:
	s_delay_alu instid0(VALU_DEP_1) | instskip(NEXT) | instid1(VALU_DEP_2)
	v_add_co_u32 v62, vcc_lo, v60, v56
	v_add_co_ci_u32_e32 v63, vcc_lo, v61, v57, vcc_lo
	flat_load_b32 v62, v[62:63]
	s_waitcnt vmcnt(0) lgkmcnt(0)
	v_mul_f32_e32 v62, s15, v62
	s_branch .LBB7_156
.LBB7_155:
	v_mov_b32_e32 v62, 0
.LBB7_156:
	v_dual_add_f32 v63, v21, v53 :: v_dual_add_f32 v80, v20, v52
	v_add_f32_e32 v81, v23, v55
	v_add_f32_e32 v129, v22, v54
	v_add_co_u32 v56, vcc_lo, v58, v56
	s_delay_alu instid0(VALU_DEP_4) | instskip(SKIP_1) | instid1(VALU_DEP_4)
	v_min3_f32 v63, v80, v63, v128
	v_add_co_ci_u32_e32 v57, vcc_lo, v59, v57, vcc_lo
	v_min_f32_e32 v80, v129, v81
	s_delay_alu instid0(VALU_DEP_1) | instskip(SKIP_3) | instid1(SALU_CYCLE_1)
	v_min3_f32 v62, v62, v80, v63
	global_store_b32 v[56:57], v62, off
	s_or_b32 exec_lo, exec_lo, s16
	s_and_b32 s18, s4, s8
	s_and_saveexec_b32 s16, s18
	s_cbranch_execz .LBB7_138
.LBB7_157:
	v_cmp_ne_u32_e32 vcc_lo, 1, v105
	v_lshlrev_b64 v[56:57], 2, v[72:73]
	s_cbranch_vccnz .LBB7_159
; %bb.158:
	s_delay_alu instid0(VALU_DEP_1) | instskip(NEXT) | instid1(VALU_DEP_2)
	v_add_co_u32 v62, vcc_lo, v60, v56
	v_add_co_ci_u32_e32 v63, vcc_lo, v61, v57, vcc_lo
	flat_load_b32 v62, v[62:63]
	s_waitcnt vmcnt(0) lgkmcnt(0)
	v_mul_f32_e32 v62, s15, v62
	s_branch .LBB7_160
.LBB7_159:
	v_mov_b32_e32 v62, 0
.LBB7_160:
	v_dual_add_f32 v63, v17, v53 :: v_dual_add_f32 v80, v16, v52
	v_dual_add_f32 v81, v19, v55 :: v_dual_add_f32 v128, v18, v54
	s_delay_alu instid0(VALU_DEP_4) | instskip(NEXT) | instid1(VALU_DEP_3)
	v_add_co_u32 v56, vcc_lo, v58, v56
	v_min3_f32 v63, v80, v63, v127
	v_add_co_ci_u32_e32 v57, vcc_lo, v59, v57, vcc_lo
	s_delay_alu instid0(VALU_DEP_4) | instskip(NEXT) | instid1(VALU_DEP_1)
	v_min_f32_e32 v80, v128, v81
	v_min3_f32 v62, v62, v80, v63
	global_store_b32 v[56:57], v62, off
	s_or_b32 exec_lo, exec_lo, s16
	s_and_b32 s18, s5, s8
	s_delay_alu instid0(SALU_CYCLE_1)
	s_and_saveexec_b32 s16, s18
	s_cbranch_execz .LBB7_139
.LBB7_161:
	v_cmp_ne_u32_e32 vcc_lo, 1, v105
	v_lshlrev_b64 v[56:57], 2, v[74:75]
	s_cbranch_vccnz .LBB7_163
; %bb.162:
	s_delay_alu instid0(VALU_DEP_1) | instskip(NEXT) | instid1(VALU_DEP_2)
	v_add_co_u32 v62, vcc_lo, v60, v56
	v_add_co_ci_u32_e32 v63, vcc_lo, v61, v57, vcc_lo
	flat_load_b32 v62, v[62:63]
	s_waitcnt vmcnt(0) lgkmcnt(0)
	v_mul_f32_e32 v62, s15, v62
	s_branch .LBB7_164
.LBB7_163:
	v_mov_b32_e32 v62, 0
.LBB7_164:
	v_dual_add_f32 v63, v13, v53 :: v_dual_add_f32 v80, v12, v52
	v_add_f32_e32 v81, v15, v55
	v_add_f32_e32 v127, v14, v54
	v_add_co_u32 v56, vcc_lo, v58, v56
	s_delay_alu instid0(VALU_DEP_4) | instskip(SKIP_1) | instid1(VALU_DEP_4)
	v_min3_f32 v63, v80, v63, v126
	v_add_co_ci_u32_e32 v57, vcc_lo, v59, v57, vcc_lo
	v_min_f32_e32 v80, v127, v81
	s_delay_alu instid0(VALU_DEP_1) | instskip(SKIP_3) | instid1(SALU_CYCLE_1)
	v_min3_f32 v62, v62, v80, v63
	global_store_b32 v[56:57], v62, off
	s_or_b32 exec_lo, exec_lo, s16
	s_and_b32 s18, s6, s8
	s_and_saveexec_b32 s16, s18
	s_cbranch_execz .LBB7_140
.LBB7_165:
	v_cmp_ne_u32_e32 vcc_lo, 1, v105
	v_lshlrev_b64 v[56:57], 2, v[76:77]
	s_cbranch_vccnz .LBB7_167
; %bb.166:
	s_delay_alu instid0(VALU_DEP_1) | instskip(NEXT) | instid1(VALU_DEP_2)
	v_add_co_u32 v62, vcc_lo, v60, v56
	v_add_co_ci_u32_e32 v63, vcc_lo, v61, v57, vcc_lo
	flat_load_b32 v62, v[62:63]
	s_waitcnt vmcnt(0) lgkmcnt(0)
	v_mul_f32_e32 v62, s15, v62
	s_branch .LBB7_168
.LBB7_167:
	v_mov_b32_e32 v62, 0
.LBB7_168:
	v_dual_add_f32 v63, v9, v53 :: v_dual_add_f32 v80, v8, v52
	v_dual_add_f32 v81, v11, v55 :: v_dual_add_f32 v126, v10, v54
	s_delay_alu instid0(VALU_DEP_4) | instskip(NEXT) | instid1(VALU_DEP_3)
	v_add_co_u32 v56, vcc_lo, v58, v56
	v_min3_f32 v63, v80, v63, v125
	v_add_co_ci_u32_e32 v57, vcc_lo, v59, v57, vcc_lo
	s_delay_alu instid0(VALU_DEP_4) | instskip(NEXT) | instid1(VALU_DEP_1)
	v_min_f32_e32 v80, v126, v81
	v_min3_f32 v62, v62, v80, v63
	global_store_b32 v[56:57], v62, off
	s_or_b32 exec_lo, exec_lo, s16
	s_and_b32 s16, s7, s8
	s_delay_alu instid0(SALU_CYCLE_1)
	s_and_saveexec_b32 s8, s16
	s_cbranch_execz .LBB7_173
.LBB7_169:
	v_cmp_ne_u32_e32 vcc_lo, 1, v105
	v_lshlrev_b64 v[56:57], 2, v[78:79]
	s_cbranch_vccnz .LBB7_171
; %bb.170:
	s_delay_alu instid0(VALU_DEP_1) | instskip(NEXT) | instid1(VALU_DEP_2)
	v_add_co_u32 v60, vcc_lo, v60, v56
	v_add_co_ci_u32_e32 v61, vcc_lo, v61, v57, vcc_lo
	flat_load_b32 v60, v[60:61]
	s_waitcnt vmcnt(0) lgkmcnt(0)
	v_mul_f32_e32 v60, s15, v60
	s_branch .LBB7_172
.LBB7_171:
	v_mov_b32_e32 v60, 0
.LBB7_172:
	v_dual_add_f32 v53, v1, v53 :: v_dual_add_f32 v52, v0, v52
	v_dual_add_f32 v55, v3, v55 :: v_dual_add_f32 v54, v2, v54
	s_delay_alu instid0(VALU_DEP_2) | instskip(NEXT) | instid1(VALU_DEP_2)
	v_min3_f32 v52, v52, v53, v124
	v_min_f32_e32 v53, v54, v55
	s_delay_alu instid0(VALU_DEP_1)
	v_min3_f32 v54, v60, v53, v52
	v_add_co_u32 v52, vcc_lo, v58, v56
	v_add_co_ci_u32_e32 v53, vcc_lo, v59, v57, vcc_lo
	global_store_b32 v[52:53], v54, off
.LBB7_173:
	s_or_b32 exec_lo, exec_lo, s8
	v_add_nc_u32_e32 v56, 24, v112
	s_delay_alu instid0(VALU_DEP_1) | instskip(SKIP_2) | instid1(VALU_DEP_3)
	v_mad_i64_i32 v[52:53], null, v56, s14, 0
	v_mad_i64_i32 v[54:55], null, v56, s9, 0
	v_cmp_gt_i32_e64 s8, s17, v56
	v_lshlrev_b64 v[52:53], 2, v[52:53]
	s_delay_alu instid0(VALU_DEP_2) | instskip(NEXT) | instid1(VALU_DEP_3)
	s_and_b32 s18, s0, s8
	v_lshlrev_b64 v[54:55], 2, v[54:55]
	s_delay_alu instid0(VALU_DEP_2) | instskip(NEXT) | instid1(VALU_DEP_3)
	v_add_co_u32 v56, vcc_lo, s10, v52
	v_add_co_ci_u32_e32 v57, vcc_lo, s11, v53, vcc_lo
	s_delay_alu instid0(VALU_DEP_3) | instskip(NEXT) | instid1(VALU_DEP_4)
	v_add_co_u32 v54, vcc_lo, s12, v54
	v_add_co_ci_u32_e32 v55, vcc_lo, s13, v55, vcc_lo
	s_and_saveexec_b32 s16, s18
	s_cbranch_execnz .LBB7_181
; %bb.174:
	s_or_b32 exec_lo, exec_lo, s16
	s_and_b32 s18, s1, s8
	s_delay_alu instid0(SALU_CYCLE_1)
	s_and_saveexec_b32 s16, s18
	s_cbranch_execnz .LBB7_185
.LBB7_175:
	s_or_b32 exec_lo, exec_lo, s16
	s_and_b32 s18, s2, s8
	s_delay_alu instid0(SALU_CYCLE_1)
	s_and_saveexec_b32 s16, s18
	s_cbranch_execnz .LBB7_189
.LBB7_176:
	s_or_b32 exec_lo, exec_lo, s16
	s_and_b32 s18, s3, s8
	s_delay_alu instid0(SALU_CYCLE_1)
	s_and_saveexec_b32 s16, s18
	s_cbranch_execnz .LBB7_193
.LBB7_177:
	s_or_b32 exec_lo, exec_lo, s16
	s_and_b32 s18, s4, s8
	s_delay_alu instid0(SALU_CYCLE_1)
	s_and_saveexec_b32 s16, s18
	s_cbranch_execnz .LBB7_197
.LBB7_178:
	s_or_b32 exec_lo, exec_lo, s16
	s_and_b32 s18, s5, s8
	s_delay_alu instid0(SALU_CYCLE_1)
	s_and_saveexec_b32 s16, s18
	s_cbranch_execnz .LBB7_201
.LBB7_179:
	s_or_b32 exec_lo, exec_lo, s16
	s_and_b32 s18, s6, s8
	s_delay_alu instid0(SALU_CYCLE_1)
	s_and_saveexec_b32 s16, s18
	s_cbranch_execnz .LBB7_205
.LBB7_180:
	s_or_b32 exec_lo, exec_lo, s16
	s_and_b32 s16, s7, s8
	s_delay_alu instid0(SALU_CYCLE_1)
	s_and_saveexec_b32 s8, s16
	s_cbranch_execnz .LBB7_209
	s_branch .LBB7_213
.LBB7_181:
	v_cmp_ne_u32_e32 vcc_lo, 1, v105
	v_lshlrev_b64 v[52:53], 2, v[64:65]
	s_cbranch_vccnz .LBB7_183
; %bb.182:
	s_delay_alu instid0(VALU_DEP_1) | instskip(NEXT) | instid1(VALU_DEP_2)
	v_add_co_u32 v58, vcc_lo, v56, v52
	v_add_co_ci_u32_e32 v59, vcc_lo, v57, v53, vcc_lo
	flat_load_b32 v58, v[58:59]
	s_waitcnt vmcnt(0) lgkmcnt(0)
	v_mul_f32_e32 v58, s15, v58
	s_branch .LBB7_184
.LBB7_183:
	v_mov_b32_e32 v58, 0
.LBB7_184:
	v_dual_add_f32 v59, v33, v49 :: v_dual_add_f32 v60, v32, v48
	v_dual_add_f32 v61, v35, v51 :: v_dual_add_f32 v62, v34, v50
	s_delay_alu instid0(VALU_DEP_4) | instskip(NEXT) | instid1(VALU_DEP_3)
	v_add_co_u32 v52, vcc_lo, v54, v52
	v_min3_f32 v59, v60, v59, v123
	v_add_co_ci_u32_e32 v53, vcc_lo, v55, v53, vcc_lo
	s_delay_alu instid0(VALU_DEP_4) | instskip(NEXT) | instid1(VALU_DEP_1)
	v_min_f32_e32 v60, v62, v61
	v_min3_f32 v58, v58, v60, v59
	global_store_b32 v[52:53], v58, off
	s_or_b32 exec_lo, exec_lo, s16
	s_and_b32 s18, s1, s8
	s_delay_alu instid0(SALU_CYCLE_1)
	s_and_saveexec_b32 s16, s18
	s_cbranch_execz .LBB7_175
.LBB7_185:
	v_cmp_ne_u32_e32 vcc_lo, 1, v105
	v_lshlrev_b64 v[52:53], 2, v[66:67]
	s_cbranch_vccnz .LBB7_187
; %bb.186:
	s_delay_alu instid0(VALU_DEP_1) | instskip(NEXT) | instid1(VALU_DEP_2)
	v_add_co_u32 v58, vcc_lo, v56, v52
	v_add_co_ci_u32_e32 v59, vcc_lo, v57, v53, vcc_lo
	flat_load_b32 v58, v[58:59]
	s_waitcnt vmcnt(0) lgkmcnt(0)
	v_mul_f32_e32 v58, s15, v58
	s_branch .LBB7_188
.LBB7_187:
	v_mov_b32_e32 v58, 0
.LBB7_188:
	v_dual_add_f32 v59, v29, v49 :: v_dual_add_f32 v60, v28, v48
	v_dual_add_f32 v61, v31, v51 :: v_dual_add_f32 v62, v30, v50
	s_delay_alu instid0(VALU_DEP_4) | instskip(NEXT) | instid1(VALU_DEP_3)
	v_add_co_u32 v52, vcc_lo, v54, v52
	v_min3_f32 v59, v60, v59, v122
	v_add_co_ci_u32_e32 v53, vcc_lo, v55, v53, vcc_lo
	s_delay_alu instid0(VALU_DEP_4) | instskip(NEXT) | instid1(VALU_DEP_1)
	v_min_f32_e32 v60, v62, v61
	v_min3_f32 v58, v58, v60, v59
	global_store_b32 v[52:53], v58, off
	s_or_b32 exec_lo, exec_lo, s16
	s_and_b32 s18, s2, s8
	s_delay_alu instid0(SALU_CYCLE_1)
	s_and_saveexec_b32 s16, s18
	s_cbranch_execz .LBB7_176
.LBB7_189:
	v_cmp_ne_u32_e32 vcc_lo, 1, v105
	v_lshlrev_b64 v[52:53], 2, v[68:69]
	s_cbranch_vccnz .LBB7_191
; %bb.190:
	s_delay_alu instid0(VALU_DEP_1) | instskip(NEXT) | instid1(VALU_DEP_2)
	v_add_co_u32 v58, vcc_lo, v56, v52
	v_add_co_ci_u32_e32 v59, vcc_lo, v57, v53, vcc_lo
	flat_load_b32 v58, v[58:59]
	s_waitcnt vmcnt(0) lgkmcnt(0)
	v_mul_f32_e32 v58, s15, v58
	s_branch .LBB7_192
.LBB7_191:
	v_mov_b32_e32 v58, 0
.LBB7_192:
	v_dual_add_f32 v59, v25, v49 :: v_dual_add_f32 v60, v24, v48
	v_dual_add_f32 v61, v27, v51 :: v_dual_add_f32 v62, v26, v50
	s_delay_alu instid0(VALU_DEP_4) | instskip(NEXT) | instid1(VALU_DEP_3)
	v_add_co_u32 v52, vcc_lo, v54, v52
	v_min3_f32 v59, v60, v59, v121
	v_add_co_ci_u32_e32 v53, vcc_lo, v55, v53, vcc_lo
	s_delay_alu instid0(VALU_DEP_4) | instskip(NEXT) | instid1(VALU_DEP_1)
	v_min_f32_e32 v60, v62, v61
	v_min3_f32 v58, v58, v60, v59
	global_store_b32 v[52:53], v58, off
	s_or_b32 exec_lo, exec_lo, s16
	s_and_b32 s18, s3, s8
	s_delay_alu instid0(SALU_CYCLE_1)
	s_and_saveexec_b32 s16, s18
	s_cbranch_execz .LBB7_177
.LBB7_193:
	v_cmp_ne_u32_e32 vcc_lo, 1, v105
	v_lshlrev_b64 v[52:53], 2, v[70:71]
	s_cbranch_vccnz .LBB7_195
; %bb.194:
	s_delay_alu instid0(VALU_DEP_1) | instskip(NEXT) | instid1(VALU_DEP_2)
	v_add_co_u32 v58, vcc_lo, v56, v52
	v_add_co_ci_u32_e32 v59, vcc_lo, v57, v53, vcc_lo
	flat_load_b32 v58, v[58:59]
	s_waitcnt vmcnt(0) lgkmcnt(0)
	v_mul_f32_e32 v58, s15, v58
	s_branch .LBB7_196
.LBB7_195:
	v_mov_b32_e32 v58, 0
.LBB7_196:
	v_dual_add_f32 v59, v21, v49 :: v_dual_add_f32 v60, v20, v48
	v_dual_add_f32 v61, v23, v51 :: v_dual_add_f32 v62, v22, v50
	s_delay_alu instid0(VALU_DEP_4) | instskip(NEXT) | instid1(VALU_DEP_3)
	v_add_co_u32 v52, vcc_lo, v54, v52
	v_min3_f32 v59, v60, v59, v120
	v_add_co_ci_u32_e32 v53, vcc_lo, v55, v53, vcc_lo
	s_delay_alu instid0(VALU_DEP_4) | instskip(NEXT) | instid1(VALU_DEP_1)
	v_min_f32_e32 v60, v62, v61
	v_min3_f32 v58, v58, v60, v59
	global_store_b32 v[52:53], v58, off
	s_or_b32 exec_lo, exec_lo, s16
	s_and_b32 s18, s4, s8
	s_delay_alu instid0(SALU_CYCLE_1)
	s_and_saveexec_b32 s16, s18
	s_cbranch_execz .LBB7_178
.LBB7_197:
	v_cmp_ne_u32_e32 vcc_lo, 1, v105
	v_lshlrev_b64 v[52:53], 2, v[72:73]
	s_cbranch_vccnz .LBB7_199
; %bb.198:
	s_delay_alu instid0(VALU_DEP_1) | instskip(NEXT) | instid1(VALU_DEP_2)
	v_add_co_u32 v58, vcc_lo, v56, v52
	v_add_co_ci_u32_e32 v59, vcc_lo, v57, v53, vcc_lo
	flat_load_b32 v58, v[58:59]
	s_waitcnt vmcnt(0) lgkmcnt(0)
	v_mul_f32_e32 v58, s15, v58
	s_branch .LBB7_200
.LBB7_199:
	v_mov_b32_e32 v58, 0
.LBB7_200:
	v_dual_add_f32 v59, v17, v49 :: v_dual_add_f32 v60, v16, v48
	v_dual_add_f32 v61, v19, v51 :: v_dual_add_f32 v62, v18, v50
	s_delay_alu instid0(VALU_DEP_4) | instskip(NEXT) | instid1(VALU_DEP_3)
	v_add_co_u32 v52, vcc_lo, v54, v52
	v_min3_f32 v59, v60, v59, v119
	v_add_co_ci_u32_e32 v53, vcc_lo, v55, v53, vcc_lo
	s_delay_alu instid0(VALU_DEP_4) | instskip(NEXT) | instid1(VALU_DEP_1)
	v_min_f32_e32 v60, v62, v61
	v_min3_f32 v58, v58, v60, v59
	global_store_b32 v[52:53], v58, off
	s_or_b32 exec_lo, exec_lo, s16
	s_and_b32 s18, s5, s8
	s_delay_alu instid0(SALU_CYCLE_1)
	s_and_saveexec_b32 s16, s18
	s_cbranch_execz .LBB7_179
.LBB7_201:
	v_cmp_ne_u32_e32 vcc_lo, 1, v105
	v_lshlrev_b64 v[52:53], 2, v[74:75]
	s_cbranch_vccnz .LBB7_203
; %bb.202:
	s_delay_alu instid0(VALU_DEP_1) | instskip(NEXT) | instid1(VALU_DEP_2)
	v_add_co_u32 v58, vcc_lo, v56, v52
	v_add_co_ci_u32_e32 v59, vcc_lo, v57, v53, vcc_lo
	flat_load_b32 v58, v[58:59]
	s_waitcnt vmcnt(0) lgkmcnt(0)
	v_mul_f32_e32 v58, s15, v58
	s_branch .LBB7_204
.LBB7_203:
	v_mov_b32_e32 v58, 0
.LBB7_204:
	v_dual_add_f32 v59, v13, v49 :: v_dual_add_f32 v60, v12, v48
	v_dual_add_f32 v61, v15, v51 :: v_dual_add_f32 v62, v14, v50
	s_delay_alu instid0(VALU_DEP_4) | instskip(NEXT) | instid1(VALU_DEP_3)
	v_add_co_u32 v52, vcc_lo, v54, v52
	v_min3_f32 v59, v60, v59, v118
	v_add_co_ci_u32_e32 v53, vcc_lo, v55, v53, vcc_lo
	s_delay_alu instid0(VALU_DEP_4) | instskip(NEXT) | instid1(VALU_DEP_1)
	v_min_f32_e32 v60, v62, v61
	v_min3_f32 v58, v58, v60, v59
	global_store_b32 v[52:53], v58, off
	s_or_b32 exec_lo, exec_lo, s16
	s_and_b32 s18, s6, s8
	s_delay_alu instid0(SALU_CYCLE_1)
	s_and_saveexec_b32 s16, s18
	s_cbranch_execz .LBB7_180
.LBB7_205:
	v_cmp_ne_u32_e32 vcc_lo, 1, v105
	v_lshlrev_b64 v[52:53], 2, v[76:77]
	s_cbranch_vccnz .LBB7_207
; %bb.206:
	s_delay_alu instid0(VALU_DEP_1) | instskip(NEXT) | instid1(VALU_DEP_2)
	v_add_co_u32 v58, vcc_lo, v56, v52
	v_add_co_ci_u32_e32 v59, vcc_lo, v57, v53, vcc_lo
	flat_load_b32 v58, v[58:59]
	s_waitcnt vmcnt(0) lgkmcnt(0)
	v_mul_f32_e32 v58, s15, v58
	s_branch .LBB7_208
.LBB7_207:
	v_mov_b32_e32 v58, 0
.LBB7_208:
	v_dual_add_f32 v59, v9, v49 :: v_dual_add_f32 v60, v8, v48
	v_dual_add_f32 v61, v11, v51 :: v_dual_add_f32 v62, v10, v50
	s_delay_alu instid0(VALU_DEP_4) | instskip(NEXT) | instid1(VALU_DEP_3)
	v_add_co_u32 v52, vcc_lo, v54, v52
	v_min3_f32 v59, v60, v59, v117
	v_add_co_ci_u32_e32 v53, vcc_lo, v55, v53, vcc_lo
	s_delay_alu instid0(VALU_DEP_4) | instskip(NEXT) | instid1(VALU_DEP_1)
	v_min_f32_e32 v60, v62, v61
	v_min3_f32 v58, v58, v60, v59
	global_store_b32 v[52:53], v58, off
	s_or_b32 exec_lo, exec_lo, s16
	s_and_b32 s16, s7, s8
	s_delay_alu instid0(SALU_CYCLE_1)
	s_and_saveexec_b32 s8, s16
	s_cbranch_execz .LBB7_213
.LBB7_209:
	v_cmp_ne_u32_e32 vcc_lo, 1, v105
	v_lshlrev_b64 v[52:53], 2, v[78:79]
	s_cbranch_vccnz .LBB7_211
; %bb.210:
	s_delay_alu instid0(VALU_DEP_1) | instskip(NEXT) | instid1(VALU_DEP_2)
	v_add_co_u32 v56, vcc_lo, v56, v52
	v_add_co_ci_u32_e32 v57, vcc_lo, v57, v53, vcc_lo
	flat_load_b32 v56, v[56:57]
	s_waitcnt vmcnt(0) lgkmcnt(0)
	v_mul_f32_e32 v56, s15, v56
	s_branch .LBB7_212
.LBB7_211:
	v_mov_b32_e32 v56, 0
.LBB7_212:
	v_dual_add_f32 v49, v1, v49 :: v_dual_add_f32 v48, v0, v48
	v_dual_add_f32 v51, v3, v51 :: v_dual_add_f32 v50, v2, v50
	s_delay_alu instid0(VALU_DEP_2) | instskip(NEXT) | instid1(VALU_DEP_2)
	v_min3_f32 v48, v48, v49, v116
	v_min_f32_e32 v49, v50, v51
	s_delay_alu instid0(VALU_DEP_1)
	v_min3_f32 v50, v56, v49, v48
	v_add_co_u32 v48, vcc_lo, v54, v52
	v_add_co_ci_u32_e32 v49, vcc_lo, v55, v53, vcc_lo
	global_store_b32 v[48:49], v50, off
.LBB7_213:
	s_or_b32 exec_lo, exec_lo, s8
	v_add_nc_u32_e32 v52, 32, v112
	s_delay_alu instid0(VALU_DEP_1) | instskip(SKIP_2) | instid1(VALU_DEP_3)
	v_mad_i64_i32 v[48:49], null, v52, s14, 0
	v_mad_i64_i32 v[50:51], null, v52, s9, 0
	v_cmp_gt_i32_e64 s8, s17, v52
	v_lshlrev_b64 v[48:49], 2, v[48:49]
	s_delay_alu instid0(VALU_DEP_2) | instskip(NEXT) | instid1(VALU_DEP_3)
	s_and_b32 s18, s0, s8
	v_lshlrev_b64 v[50:51], 2, v[50:51]
	s_delay_alu instid0(VALU_DEP_2) | instskip(NEXT) | instid1(VALU_DEP_3)
	v_add_co_u32 v52, vcc_lo, s10, v48
	v_add_co_ci_u32_e32 v53, vcc_lo, s11, v49, vcc_lo
	s_delay_alu instid0(VALU_DEP_3) | instskip(NEXT) | instid1(VALU_DEP_4)
	v_add_co_u32 v50, vcc_lo, s12, v50
	v_add_co_ci_u32_e32 v51, vcc_lo, s13, v51, vcc_lo
	s_and_saveexec_b32 s16, s18
	s_cbranch_execnz .LBB7_221
; %bb.214:
	s_or_b32 exec_lo, exec_lo, s16
	s_and_b32 s18, s1, s8
	s_delay_alu instid0(SALU_CYCLE_1)
	s_and_saveexec_b32 s16, s18
	s_cbranch_execnz .LBB7_225
.LBB7_215:
	s_or_b32 exec_lo, exec_lo, s16
	s_and_b32 s18, s2, s8
	s_delay_alu instid0(SALU_CYCLE_1)
	s_and_saveexec_b32 s16, s18
	s_cbranch_execnz .LBB7_229
.LBB7_216:
	s_or_b32 exec_lo, exec_lo, s16
	s_and_b32 s18, s3, s8
	s_delay_alu instid0(SALU_CYCLE_1)
	s_and_saveexec_b32 s16, s18
	s_cbranch_execnz .LBB7_233
.LBB7_217:
	s_or_b32 exec_lo, exec_lo, s16
	s_and_b32 s18, s4, s8
	s_delay_alu instid0(SALU_CYCLE_1)
	s_and_saveexec_b32 s16, s18
	s_cbranch_execnz .LBB7_237
.LBB7_218:
	s_or_b32 exec_lo, exec_lo, s16
	s_and_b32 s18, s5, s8
	s_delay_alu instid0(SALU_CYCLE_1)
	s_and_saveexec_b32 s16, s18
	s_cbranch_execnz .LBB7_241
.LBB7_219:
	s_or_b32 exec_lo, exec_lo, s16
	s_and_b32 s18, s6, s8
	s_delay_alu instid0(SALU_CYCLE_1)
	s_and_saveexec_b32 s16, s18
	s_cbranch_execnz .LBB7_245
.LBB7_220:
	s_or_b32 exec_lo, exec_lo, s16
	s_and_b32 s16, s7, s8
	s_delay_alu instid0(SALU_CYCLE_1)
	s_and_saveexec_b32 s8, s16
	s_cbranch_execnz .LBB7_249
	s_branch .LBB7_253
.LBB7_221:
	v_cmp_ne_u32_e32 vcc_lo, 1, v105
	v_lshlrev_b64 v[48:49], 2, v[64:65]
	s_cbranch_vccnz .LBB7_223
; %bb.222:
	s_delay_alu instid0(VALU_DEP_1) | instskip(NEXT) | instid1(VALU_DEP_2)
	v_add_co_u32 v54, vcc_lo, v52, v48
	v_add_co_ci_u32_e32 v55, vcc_lo, v53, v49, vcc_lo
	flat_load_b32 v54, v[54:55]
	s_waitcnt vmcnt(0) lgkmcnt(0)
	v_mul_f32_e32 v54, s15, v54
	s_branch .LBB7_224
.LBB7_223:
	v_mov_b32_e32 v54, 0
.LBB7_224:
	v_dual_add_f32 v55, v33, v45 :: v_dual_add_f32 v56, v32, v44
	v_dual_add_f32 v57, v35, v47 :: v_dual_add_f32 v58, v34, v46
	s_delay_alu instid0(VALU_DEP_4) | instskip(NEXT) | instid1(VALU_DEP_3)
	v_add_co_u32 v48, vcc_lo, v50, v48
	v_min3_f32 v55, v56, v55, v115
	v_add_co_ci_u32_e32 v49, vcc_lo, v51, v49, vcc_lo
	s_delay_alu instid0(VALU_DEP_4) | instskip(NEXT) | instid1(VALU_DEP_1)
	v_min_f32_e32 v56, v58, v57
	v_min3_f32 v54, v54, v56, v55
	global_store_b32 v[48:49], v54, off
	s_or_b32 exec_lo, exec_lo, s16
	s_and_b32 s18, s1, s8
	s_delay_alu instid0(SALU_CYCLE_1)
	s_and_saveexec_b32 s16, s18
	s_cbranch_execz .LBB7_215
.LBB7_225:
	v_cmp_ne_u32_e32 vcc_lo, 1, v105
	v_lshlrev_b64 v[48:49], 2, v[66:67]
	s_cbranch_vccnz .LBB7_227
; %bb.226:
	s_delay_alu instid0(VALU_DEP_1) | instskip(NEXT) | instid1(VALU_DEP_2)
	v_add_co_u32 v54, vcc_lo, v52, v48
	v_add_co_ci_u32_e32 v55, vcc_lo, v53, v49, vcc_lo
	flat_load_b32 v54, v[54:55]
	s_waitcnt vmcnt(0) lgkmcnt(0)
	v_mul_f32_e32 v54, s15, v54
	s_branch .LBB7_228
.LBB7_227:
	v_mov_b32_e32 v54, 0
.LBB7_228:
	v_dual_add_f32 v55, v29, v45 :: v_dual_add_f32 v56, v28, v44
	v_dual_add_f32 v57, v31, v47 :: v_dual_add_f32 v58, v30, v46
	s_delay_alu instid0(VALU_DEP_4) | instskip(NEXT) | instid1(VALU_DEP_3)
	v_add_co_u32 v48, vcc_lo, v50, v48
	v_min3_f32 v55, v56, v55, v114
	v_add_co_ci_u32_e32 v49, vcc_lo, v51, v49, vcc_lo
	s_delay_alu instid0(VALU_DEP_4) | instskip(NEXT) | instid1(VALU_DEP_1)
	v_min_f32_e32 v56, v58, v57
	v_min3_f32 v54, v54, v56, v55
	global_store_b32 v[48:49], v54, off
	s_or_b32 exec_lo, exec_lo, s16
	s_and_b32 s18, s2, s8
	s_delay_alu instid0(SALU_CYCLE_1)
	s_and_saveexec_b32 s16, s18
	s_cbranch_execz .LBB7_216
.LBB7_229:
	v_cmp_ne_u32_e32 vcc_lo, 1, v105
	v_lshlrev_b64 v[48:49], 2, v[68:69]
	s_cbranch_vccnz .LBB7_231
; %bb.230:
	s_delay_alu instid0(VALU_DEP_1) | instskip(NEXT) | instid1(VALU_DEP_2)
	v_add_co_u32 v54, vcc_lo, v52, v48
	v_add_co_ci_u32_e32 v55, vcc_lo, v53, v49, vcc_lo
	flat_load_b32 v54, v[54:55]
	s_waitcnt vmcnt(0) lgkmcnt(0)
	v_mul_f32_e32 v54, s15, v54
	s_branch .LBB7_232
.LBB7_231:
	v_mov_b32_e32 v54, 0
.LBB7_232:
	v_dual_add_f32 v55, v25, v45 :: v_dual_add_f32 v56, v24, v44
	v_dual_add_f32 v57, v27, v47 :: v_dual_add_f32 v58, v26, v46
	s_delay_alu instid0(VALU_DEP_4) | instskip(NEXT) | instid1(VALU_DEP_3)
	v_add_co_u32 v48, vcc_lo, v50, v48
	v_min3_f32 v55, v56, v55, v113
	v_add_co_ci_u32_e32 v49, vcc_lo, v51, v49, vcc_lo
	s_delay_alu instid0(VALU_DEP_4) | instskip(NEXT) | instid1(VALU_DEP_1)
	v_min_f32_e32 v56, v58, v57
	v_min3_f32 v54, v54, v56, v55
	global_store_b32 v[48:49], v54, off
	s_or_b32 exec_lo, exec_lo, s16
	s_and_b32 s18, s3, s8
	s_delay_alu instid0(SALU_CYCLE_1)
	s_and_saveexec_b32 s16, s18
	s_cbranch_execz .LBB7_217
.LBB7_233:
	v_cmp_ne_u32_e32 vcc_lo, 1, v105
	v_lshlrev_b64 v[48:49], 2, v[70:71]
	s_cbranch_vccnz .LBB7_235
; %bb.234:
	s_delay_alu instid0(VALU_DEP_1) | instskip(NEXT) | instid1(VALU_DEP_2)
	v_add_co_u32 v54, vcc_lo, v52, v48
	v_add_co_ci_u32_e32 v55, vcc_lo, v53, v49, vcc_lo
	flat_load_b32 v54, v[54:55]
	s_waitcnt vmcnt(0) lgkmcnt(0)
	v_mul_f32_e32 v54, s15, v54
	s_branch .LBB7_236
.LBB7_235:
	v_mov_b32_e32 v54, 0
.LBB7_236:
	v_dual_add_f32 v55, v21, v45 :: v_dual_add_f32 v56, v20, v44
	v_dual_add_f32 v57, v23, v47 :: v_dual_add_f32 v58, v22, v46
	s_delay_alu instid0(VALU_DEP_4) | instskip(NEXT) | instid1(VALU_DEP_3)
	v_add_co_u32 v48, vcc_lo, v50, v48
	v_min3_f32 v55, v56, v55, v111
	v_add_co_ci_u32_e32 v49, vcc_lo, v51, v49, vcc_lo
	s_delay_alu instid0(VALU_DEP_4) | instskip(NEXT) | instid1(VALU_DEP_1)
	v_min_f32_e32 v56, v58, v57
	v_min3_f32 v54, v54, v56, v55
	global_store_b32 v[48:49], v54, off
	s_or_b32 exec_lo, exec_lo, s16
	s_and_b32 s18, s4, s8
	s_delay_alu instid0(SALU_CYCLE_1)
	s_and_saveexec_b32 s16, s18
	s_cbranch_execz .LBB7_218
.LBB7_237:
	v_cmp_ne_u32_e32 vcc_lo, 1, v105
	v_lshlrev_b64 v[48:49], 2, v[72:73]
	s_cbranch_vccnz .LBB7_239
; %bb.238:
	s_delay_alu instid0(VALU_DEP_1) | instskip(NEXT) | instid1(VALU_DEP_2)
	v_add_co_u32 v54, vcc_lo, v52, v48
	v_add_co_ci_u32_e32 v55, vcc_lo, v53, v49, vcc_lo
	flat_load_b32 v54, v[54:55]
	s_waitcnt vmcnt(0) lgkmcnt(0)
	v_mul_f32_e32 v54, s15, v54
	s_branch .LBB7_240
.LBB7_239:
	v_mov_b32_e32 v54, 0
.LBB7_240:
	v_dual_add_f32 v55, v17, v45 :: v_dual_add_f32 v56, v16, v44
	v_dual_add_f32 v57, v19, v47 :: v_dual_add_f32 v58, v18, v46
	s_delay_alu instid0(VALU_DEP_4) | instskip(NEXT) | instid1(VALU_DEP_3)
	v_add_co_u32 v48, vcc_lo, v50, v48
	v_min3_f32 v55, v56, v55, v110
	v_add_co_ci_u32_e32 v49, vcc_lo, v51, v49, vcc_lo
	s_delay_alu instid0(VALU_DEP_4) | instskip(NEXT) | instid1(VALU_DEP_1)
	v_min_f32_e32 v56, v58, v57
	v_min3_f32 v54, v54, v56, v55
	global_store_b32 v[48:49], v54, off
	s_or_b32 exec_lo, exec_lo, s16
	s_and_b32 s18, s5, s8
	s_delay_alu instid0(SALU_CYCLE_1)
	s_and_saveexec_b32 s16, s18
	s_cbranch_execz .LBB7_219
.LBB7_241:
	v_cmp_ne_u32_e32 vcc_lo, 1, v105
	v_lshlrev_b64 v[48:49], 2, v[74:75]
	s_cbranch_vccnz .LBB7_243
; %bb.242:
	s_delay_alu instid0(VALU_DEP_1) | instskip(NEXT) | instid1(VALU_DEP_2)
	v_add_co_u32 v54, vcc_lo, v52, v48
	v_add_co_ci_u32_e32 v55, vcc_lo, v53, v49, vcc_lo
	flat_load_b32 v54, v[54:55]
	s_waitcnt vmcnt(0) lgkmcnt(0)
	v_mul_f32_e32 v54, s15, v54
	s_branch .LBB7_244
.LBB7_243:
	v_mov_b32_e32 v54, 0
.LBB7_244:
	v_dual_add_f32 v55, v13, v45 :: v_dual_add_f32 v56, v12, v44
	v_dual_add_f32 v57, v15, v47 :: v_dual_add_f32 v58, v14, v46
	s_delay_alu instid0(VALU_DEP_4) | instskip(NEXT) | instid1(VALU_DEP_3)
	v_add_co_u32 v48, vcc_lo, v50, v48
	v_min3_f32 v55, v56, v55, v109
	v_add_co_ci_u32_e32 v49, vcc_lo, v51, v49, vcc_lo
	s_delay_alu instid0(VALU_DEP_4) | instskip(NEXT) | instid1(VALU_DEP_1)
	v_min_f32_e32 v56, v58, v57
	v_min3_f32 v54, v54, v56, v55
	global_store_b32 v[48:49], v54, off
	s_or_b32 exec_lo, exec_lo, s16
	s_and_b32 s18, s6, s8
	s_delay_alu instid0(SALU_CYCLE_1)
	s_and_saveexec_b32 s16, s18
	s_cbranch_execz .LBB7_220
.LBB7_245:
	v_cmp_ne_u32_e32 vcc_lo, 1, v105
	v_lshlrev_b64 v[48:49], 2, v[76:77]
	s_cbranch_vccnz .LBB7_247
; %bb.246:
	s_delay_alu instid0(VALU_DEP_1) | instskip(NEXT) | instid1(VALU_DEP_2)
	v_add_co_u32 v54, vcc_lo, v52, v48
	v_add_co_ci_u32_e32 v55, vcc_lo, v53, v49, vcc_lo
	flat_load_b32 v54, v[54:55]
	s_waitcnt vmcnt(0) lgkmcnt(0)
	v_mul_f32_e32 v54, s15, v54
	s_branch .LBB7_248
.LBB7_247:
	v_mov_b32_e32 v54, 0
.LBB7_248:
	v_dual_add_f32 v55, v9, v45 :: v_dual_add_f32 v56, v8, v44
	v_dual_add_f32 v57, v11, v47 :: v_dual_add_f32 v58, v10, v46
	s_delay_alu instid0(VALU_DEP_4) | instskip(NEXT) | instid1(VALU_DEP_3)
	v_add_co_u32 v48, vcc_lo, v50, v48
	v_min3_f32 v55, v56, v55, v108
	v_add_co_ci_u32_e32 v49, vcc_lo, v51, v49, vcc_lo
	s_delay_alu instid0(VALU_DEP_4) | instskip(NEXT) | instid1(VALU_DEP_1)
	v_min_f32_e32 v56, v58, v57
	v_min3_f32 v54, v54, v56, v55
	global_store_b32 v[48:49], v54, off
	s_or_b32 exec_lo, exec_lo, s16
	s_and_b32 s16, s7, s8
	s_delay_alu instid0(SALU_CYCLE_1)
	s_and_saveexec_b32 s8, s16
	s_cbranch_execz .LBB7_253
.LBB7_249:
	v_cmp_ne_u32_e32 vcc_lo, 1, v105
	v_lshlrev_b64 v[48:49], 2, v[78:79]
	s_cbranch_vccnz .LBB7_251
; %bb.250:
	s_delay_alu instid0(VALU_DEP_1) | instskip(NEXT) | instid1(VALU_DEP_2)
	v_add_co_u32 v52, vcc_lo, v52, v48
	v_add_co_ci_u32_e32 v53, vcc_lo, v53, v49, vcc_lo
	flat_load_b32 v52, v[52:53]
	s_waitcnt vmcnt(0) lgkmcnt(0)
	v_mul_f32_e32 v52, s15, v52
	s_branch .LBB7_252
.LBB7_251:
	v_mov_b32_e32 v52, 0
.LBB7_252:
	v_dual_add_f32 v45, v1, v45 :: v_dual_add_f32 v44, v0, v44
	v_dual_add_f32 v47, v3, v47 :: v_dual_add_f32 v46, v2, v46
	s_delay_alu instid0(VALU_DEP_2) | instskip(NEXT) | instid1(VALU_DEP_2)
	v_min3_f32 v44, v44, v45, v107
	v_min_f32_e32 v45, v46, v47
	s_delay_alu instid0(VALU_DEP_1)
	v_min3_f32 v46, v52, v45, v44
	v_add_co_u32 v44, vcc_lo, v50, v48
	v_add_co_ci_u32_e32 v45, vcc_lo, v51, v49, vcc_lo
	global_store_b32 v[44:45], v46, off
.LBB7_253:
	s_or_b32 exec_lo, exec_lo, s8
	v_add_nc_u32_e32 v48, 40, v112
	s_delay_alu instid0(VALU_DEP_1) | instskip(SKIP_2) | instid1(VALU_DEP_3)
	v_mad_i64_i32 v[44:45], null, v48, s14, 0
	v_mad_i64_i32 v[46:47], null, v48, s9, 0
	v_cmp_gt_i32_e64 s8, s17, v48
	v_lshlrev_b64 v[44:45], 2, v[44:45]
	s_delay_alu instid0(VALU_DEP_2) | instskip(NEXT) | instid1(VALU_DEP_3)
	s_and_b32 s18, s0, s8
	v_lshlrev_b64 v[46:47], 2, v[46:47]
	s_delay_alu instid0(VALU_DEP_2) | instskip(NEXT) | instid1(VALU_DEP_3)
	v_add_co_u32 v48, vcc_lo, s10, v44
	v_add_co_ci_u32_e32 v49, vcc_lo, s11, v45, vcc_lo
	s_delay_alu instid0(VALU_DEP_3) | instskip(NEXT) | instid1(VALU_DEP_4)
	v_add_co_u32 v46, vcc_lo, s12, v46
	v_add_co_ci_u32_e32 v47, vcc_lo, s13, v47, vcc_lo
	s_and_saveexec_b32 s16, s18
	s_cbranch_execnz .LBB7_261
; %bb.254:
	s_or_b32 exec_lo, exec_lo, s16
	s_and_b32 s18, s1, s8
	s_delay_alu instid0(SALU_CYCLE_1)
	s_and_saveexec_b32 s16, s18
	s_cbranch_execnz .LBB7_265
.LBB7_255:
	s_or_b32 exec_lo, exec_lo, s16
	s_and_b32 s18, s2, s8
	s_delay_alu instid0(SALU_CYCLE_1)
	s_and_saveexec_b32 s16, s18
	s_cbranch_execnz .LBB7_269
.LBB7_256:
	s_or_b32 exec_lo, exec_lo, s16
	s_and_b32 s18, s3, s8
	s_delay_alu instid0(SALU_CYCLE_1)
	s_and_saveexec_b32 s16, s18
	s_cbranch_execnz .LBB7_273
.LBB7_257:
	s_or_b32 exec_lo, exec_lo, s16
	s_and_b32 s18, s4, s8
	s_delay_alu instid0(SALU_CYCLE_1)
	s_and_saveexec_b32 s16, s18
	s_cbranch_execnz .LBB7_277
.LBB7_258:
	s_or_b32 exec_lo, exec_lo, s16
	s_and_b32 s18, s5, s8
	s_delay_alu instid0(SALU_CYCLE_1)
	s_and_saveexec_b32 s16, s18
	s_cbranch_execnz .LBB7_281
.LBB7_259:
	s_or_b32 exec_lo, exec_lo, s16
	s_and_b32 s18, s6, s8
	s_delay_alu instid0(SALU_CYCLE_1)
	s_and_saveexec_b32 s16, s18
	s_cbranch_execnz .LBB7_285
.LBB7_260:
	s_or_b32 exec_lo, exec_lo, s16
	s_and_b32 s16, s7, s8
	s_delay_alu instid0(SALU_CYCLE_1)
	s_and_saveexec_b32 s8, s16
	s_cbranch_execnz .LBB7_289
	s_branch .LBB7_293
.LBB7_261:
	v_cmp_ne_u32_e32 vcc_lo, 1, v105
	v_lshlrev_b64 v[44:45], 2, v[64:65]
	s_cbranch_vccnz .LBB7_263
; %bb.262:
	s_delay_alu instid0(VALU_DEP_1) | instskip(NEXT) | instid1(VALU_DEP_2)
	v_add_co_u32 v50, vcc_lo, v48, v44
	v_add_co_ci_u32_e32 v51, vcc_lo, v49, v45, vcc_lo
	flat_load_b32 v50, v[50:51]
	s_waitcnt vmcnt(0) lgkmcnt(0)
	v_mul_f32_e32 v50, s15, v50
	s_branch .LBB7_264
.LBB7_263:
	v_mov_b32_e32 v50, 0
.LBB7_264:
	v_dual_add_f32 v51, v33, v41 :: v_dual_add_f32 v52, v32, v40
	v_dual_add_f32 v53, v35, v43 :: v_dual_add_f32 v54, v34, v42
	s_delay_alu instid0(VALU_DEP_4) | instskip(NEXT) | instid1(VALU_DEP_3)
	v_add_co_u32 v44, vcc_lo, v46, v44
	v_min3_f32 v51, v52, v51, v106
	v_add_co_ci_u32_e32 v45, vcc_lo, v47, v45, vcc_lo
	s_delay_alu instid0(VALU_DEP_4) | instskip(NEXT) | instid1(VALU_DEP_1)
	v_min_f32_e32 v52, v54, v53
	v_min3_f32 v50, v50, v52, v51
	global_store_b32 v[44:45], v50, off
	s_or_b32 exec_lo, exec_lo, s16
	s_and_b32 s18, s1, s8
	s_delay_alu instid0(SALU_CYCLE_1)
	s_and_saveexec_b32 s16, s18
	s_cbranch_execz .LBB7_255
.LBB7_265:
	v_cmp_ne_u32_e32 vcc_lo, 1, v105
	v_lshlrev_b64 v[44:45], 2, v[66:67]
	s_cbranch_vccnz .LBB7_267
; %bb.266:
	s_delay_alu instid0(VALU_DEP_1) | instskip(NEXT) | instid1(VALU_DEP_2)
	v_add_co_u32 v50, vcc_lo, v48, v44
	v_add_co_ci_u32_e32 v51, vcc_lo, v49, v45, vcc_lo
	flat_load_b32 v50, v[50:51]
	s_waitcnt vmcnt(0) lgkmcnt(0)
	v_mul_f32_e32 v50, s15, v50
	s_branch .LBB7_268
.LBB7_267:
	v_mov_b32_e32 v50, 0
.LBB7_268:
	v_dual_add_f32 v51, v29, v41 :: v_dual_add_f32 v52, v28, v40
	v_dual_add_f32 v53, v31, v43 :: v_dual_add_f32 v54, v30, v42
	s_delay_alu instid0(VALU_DEP_4) | instskip(NEXT) | instid1(VALU_DEP_3)
	v_add_co_u32 v44, vcc_lo, v46, v44
	v_min3_f32 v51, v52, v51, v104
	v_add_co_ci_u32_e32 v45, vcc_lo, v47, v45, vcc_lo
	s_delay_alu instid0(VALU_DEP_4) | instskip(NEXT) | instid1(VALU_DEP_1)
	v_min_f32_e32 v52, v54, v53
	v_min3_f32 v50, v50, v52, v51
	global_store_b32 v[44:45], v50, off
	s_or_b32 exec_lo, exec_lo, s16
	s_and_b32 s18, s2, s8
	s_delay_alu instid0(SALU_CYCLE_1)
	s_and_saveexec_b32 s16, s18
	s_cbranch_execz .LBB7_256
.LBB7_269:
	v_cmp_ne_u32_e32 vcc_lo, 1, v105
	v_lshlrev_b64 v[44:45], 2, v[68:69]
	s_cbranch_vccnz .LBB7_271
; %bb.270:
	s_delay_alu instid0(VALU_DEP_1) | instskip(NEXT) | instid1(VALU_DEP_2)
	v_add_co_u32 v50, vcc_lo, v48, v44
	v_add_co_ci_u32_e32 v51, vcc_lo, v49, v45, vcc_lo
	flat_load_b32 v50, v[50:51]
	s_waitcnt vmcnt(0) lgkmcnt(0)
	v_mul_f32_e32 v50, s15, v50
	s_branch .LBB7_272
.LBB7_271:
	v_mov_b32_e32 v50, 0
.LBB7_272:
	v_dual_add_f32 v51, v25, v41 :: v_dual_add_f32 v52, v24, v40
	v_dual_add_f32 v53, v27, v43 :: v_dual_add_f32 v54, v26, v42
	s_delay_alu instid0(VALU_DEP_4) | instskip(NEXT) | instid1(VALU_DEP_3)
	v_add_co_u32 v44, vcc_lo, v46, v44
	v_min3_f32 v51, v52, v51, v103
	v_add_co_ci_u32_e32 v45, vcc_lo, v47, v45, vcc_lo
	s_delay_alu instid0(VALU_DEP_4) | instskip(NEXT) | instid1(VALU_DEP_1)
	v_min_f32_e32 v52, v54, v53
	v_min3_f32 v50, v50, v52, v51
	global_store_b32 v[44:45], v50, off
	s_or_b32 exec_lo, exec_lo, s16
	s_and_b32 s18, s3, s8
	s_delay_alu instid0(SALU_CYCLE_1)
	s_and_saveexec_b32 s16, s18
	s_cbranch_execz .LBB7_257
.LBB7_273:
	v_cmp_ne_u32_e32 vcc_lo, 1, v105
	v_lshlrev_b64 v[44:45], 2, v[70:71]
	s_cbranch_vccnz .LBB7_275
; %bb.274:
	s_delay_alu instid0(VALU_DEP_1) | instskip(NEXT) | instid1(VALU_DEP_2)
	v_add_co_u32 v50, vcc_lo, v48, v44
	v_add_co_ci_u32_e32 v51, vcc_lo, v49, v45, vcc_lo
	flat_load_b32 v50, v[50:51]
	s_waitcnt vmcnt(0) lgkmcnt(0)
	v_mul_f32_e32 v50, s15, v50
	s_branch .LBB7_276
.LBB7_275:
	v_mov_b32_e32 v50, 0
.LBB7_276:
	v_dual_add_f32 v51, v21, v41 :: v_dual_add_f32 v52, v20, v40
	v_dual_add_f32 v53, v23, v43 :: v_dual_add_f32 v54, v22, v42
	s_delay_alu instid0(VALU_DEP_4) | instskip(NEXT) | instid1(VALU_DEP_3)
	v_add_co_u32 v44, vcc_lo, v46, v44
	v_min3_f32 v51, v52, v51, v102
	v_add_co_ci_u32_e32 v45, vcc_lo, v47, v45, vcc_lo
	s_delay_alu instid0(VALU_DEP_4) | instskip(NEXT) | instid1(VALU_DEP_1)
	v_min_f32_e32 v52, v54, v53
	v_min3_f32 v50, v50, v52, v51
	global_store_b32 v[44:45], v50, off
	s_or_b32 exec_lo, exec_lo, s16
	s_and_b32 s18, s4, s8
	s_delay_alu instid0(SALU_CYCLE_1)
	s_and_saveexec_b32 s16, s18
	s_cbranch_execz .LBB7_258
.LBB7_277:
	v_cmp_ne_u32_e32 vcc_lo, 1, v105
	v_lshlrev_b64 v[44:45], 2, v[72:73]
	s_cbranch_vccnz .LBB7_279
; %bb.278:
	s_delay_alu instid0(VALU_DEP_1) | instskip(NEXT) | instid1(VALU_DEP_2)
	v_add_co_u32 v50, vcc_lo, v48, v44
	v_add_co_ci_u32_e32 v51, vcc_lo, v49, v45, vcc_lo
	flat_load_b32 v50, v[50:51]
	s_waitcnt vmcnt(0) lgkmcnt(0)
	v_mul_f32_e32 v50, s15, v50
	s_branch .LBB7_280
.LBB7_279:
	v_mov_b32_e32 v50, 0
.LBB7_280:
	v_dual_add_f32 v51, v17, v41 :: v_dual_add_f32 v52, v16, v40
	v_dual_add_f32 v53, v19, v43 :: v_dual_add_f32 v54, v18, v42
	s_delay_alu instid0(VALU_DEP_4) | instskip(NEXT) | instid1(VALU_DEP_3)
	v_add_co_u32 v44, vcc_lo, v46, v44
	v_min3_f32 v51, v52, v51, v101
	v_add_co_ci_u32_e32 v45, vcc_lo, v47, v45, vcc_lo
	s_delay_alu instid0(VALU_DEP_4) | instskip(NEXT) | instid1(VALU_DEP_1)
	v_min_f32_e32 v52, v54, v53
	v_min3_f32 v50, v50, v52, v51
	global_store_b32 v[44:45], v50, off
	s_or_b32 exec_lo, exec_lo, s16
	s_and_b32 s18, s5, s8
	s_delay_alu instid0(SALU_CYCLE_1)
	s_and_saveexec_b32 s16, s18
	s_cbranch_execz .LBB7_259
.LBB7_281:
	v_cmp_ne_u32_e32 vcc_lo, 1, v105
	v_lshlrev_b64 v[44:45], 2, v[74:75]
	s_cbranch_vccnz .LBB7_283
; %bb.282:
	s_delay_alu instid0(VALU_DEP_1) | instskip(NEXT) | instid1(VALU_DEP_2)
	v_add_co_u32 v50, vcc_lo, v48, v44
	v_add_co_ci_u32_e32 v51, vcc_lo, v49, v45, vcc_lo
	flat_load_b32 v50, v[50:51]
	s_waitcnt vmcnt(0) lgkmcnt(0)
	v_mul_f32_e32 v50, s15, v50
	s_branch .LBB7_284
.LBB7_283:
	v_mov_b32_e32 v50, 0
.LBB7_284:
	v_dual_add_f32 v51, v13, v41 :: v_dual_add_f32 v52, v12, v40
	v_dual_add_f32 v53, v15, v43 :: v_dual_add_f32 v54, v14, v42
	s_delay_alu instid0(VALU_DEP_4) | instskip(NEXT) | instid1(VALU_DEP_3)
	v_add_co_u32 v44, vcc_lo, v46, v44
	v_min3_f32 v51, v52, v51, v100
	v_add_co_ci_u32_e32 v45, vcc_lo, v47, v45, vcc_lo
	s_delay_alu instid0(VALU_DEP_4) | instskip(NEXT) | instid1(VALU_DEP_1)
	v_min_f32_e32 v52, v54, v53
	v_min3_f32 v50, v50, v52, v51
	global_store_b32 v[44:45], v50, off
	s_or_b32 exec_lo, exec_lo, s16
	s_and_b32 s18, s6, s8
	s_delay_alu instid0(SALU_CYCLE_1)
	s_and_saveexec_b32 s16, s18
	s_cbranch_execz .LBB7_260
.LBB7_285:
	v_cmp_ne_u32_e32 vcc_lo, 1, v105
	v_lshlrev_b64 v[44:45], 2, v[76:77]
	s_cbranch_vccnz .LBB7_287
; %bb.286:
	s_delay_alu instid0(VALU_DEP_1) | instskip(NEXT) | instid1(VALU_DEP_2)
	v_add_co_u32 v50, vcc_lo, v48, v44
	v_add_co_ci_u32_e32 v51, vcc_lo, v49, v45, vcc_lo
	flat_load_b32 v50, v[50:51]
	s_waitcnt vmcnt(0) lgkmcnt(0)
	v_mul_f32_e32 v50, s15, v50
	s_branch .LBB7_288
.LBB7_287:
	v_mov_b32_e32 v50, 0
.LBB7_288:
	v_dual_add_f32 v51, v9, v41 :: v_dual_add_f32 v52, v8, v40
	v_dual_add_f32 v53, v11, v43 :: v_dual_add_f32 v54, v10, v42
	s_delay_alu instid0(VALU_DEP_4) | instskip(NEXT) | instid1(VALU_DEP_3)
	v_add_co_u32 v44, vcc_lo, v46, v44
	v_min3_f32 v51, v52, v51, v99
	v_add_co_ci_u32_e32 v45, vcc_lo, v47, v45, vcc_lo
	s_delay_alu instid0(VALU_DEP_4) | instskip(NEXT) | instid1(VALU_DEP_1)
	v_min_f32_e32 v52, v54, v53
	v_min3_f32 v50, v50, v52, v51
	global_store_b32 v[44:45], v50, off
	s_or_b32 exec_lo, exec_lo, s16
	s_and_b32 s16, s7, s8
	s_delay_alu instid0(SALU_CYCLE_1)
	s_and_saveexec_b32 s8, s16
	s_cbranch_execz .LBB7_293
.LBB7_289:
	v_cmp_ne_u32_e32 vcc_lo, 1, v105
	v_lshlrev_b64 v[44:45], 2, v[78:79]
	s_cbranch_vccnz .LBB7_291
; %bb.290:
	s_delay_alu instid0(VALU_DEP_1) | instskip(NEXT) | instid1(VALU_DEP_2)
	v_add_co_u32 v48, vcc_lo, v48, v44
	v_add_co_ci_u32_e32 v49, vcc_lo, v49, v45, vcc_lo
	flat_load_b32 v48, v[48:49]
	s_waitcnt vmcnt(0) lgkmcnt(0)
	v_mul_f32_e32 v48, s15, v48
	s_branch .LBB7_292
.LBB7_291:
	v_mov_b32_e32 v48, 0
.LBB7_292:
	v_dual_add_f32 v41, v1, v41 :: v_dual_add_f32 v40, v0, v40
	v_dual_add_f32 v43, v3, v43 :: v_dual_add_f32 v42, v2, v42
	s_delay_alu instid0(VALU_DEP_2) | instskip(NEXT) | instid1(VALU_DEP_2)
	v_min3_f32 v40, v40, v41, v98
	v_min_f32_e32 v41, v42, v43
	s_delay_alu instid0(VALU_DEP_1)
	v_min3_f32 v42, v48, v41, v40
	v_add_co_u32 v40, vcc_lo, v46, v44
	v_add_co_ci_u32_e32 v41, vcc_lo, v47, v45, vcc_lo
	global_store_b32 v[40:41], v42, off
.LBB7_293:
	s_or_b32 exec_lo, exec_lo, s8
	v_add_nc_u32_e32 v44, 48, v112
	s_delay_alu instid0(VALU_DEP_1) | instskip(SKIP_2) | instid1(VALU_DEP_3)
	v_mad_i64_i32 v[40:41], null, v44, s14, 0
	v_mad_i64_i32 v[42:43], null, v44, s9, 0
	v_cmp_gt_i32_e64 s8, s17, v44
	v_lshlrev_b64 v[40:41], 2, v[40:41]
	s_delay_alu instid0(VALU_DEP_2) | instskip(NEXT) | instid1(VALU_DEP_3)
	s_and_b32 s18, s0, s8
	v_lshlrev_b64 v[42:43], 2, v[42:43]
	s_delay_alu instid0(VALU_DEP_2) | instskip(NEXT) | instid1(VALU_DEP_3)
	v_add_co_u32 v44, vcc_lo, s10, v40
	v_add_co_ci_u32_e32 v45, vcc_lo, s11, v41, vcc_lo
	s_delay_alu instid0(VALU_DEP_3) | instskip(NEXT) | instid1(VALU_DEP_4)
	v_add_co_u32 v42, vcc_lo, s12, v42
	v_add_co_ci_u32_e32 v43, vcc_lo, s13, v43, vcc_lo
	s_and_saveexec_b32 s16, s18
	s_cbranch_execnz .LBB7_301
; %bb.294:
	s_or_b32 exec_lo, exec_lo, s16
	s_and_b32 s18, s1, s8
	s_delay_alu instid0(SALU_CYCLE_1)
	s_and_saveexec_b32 s16, s18
	s_cbranch_execnz .LBB7_305
.LBB7_295:
	s_or_b32 exec_lo, exec_lo, s16
	s_and_b32 s18, s2, s8
	s_delay_alu instid0(SALU_CYCLE_1)
	s_and_saveexec_b32 s16, s18
	s_cbranch_execnz .LBB7_309
.LBB7_296:
	s_or_b32 exec_lo, exec_lo, s16
	s_and_b32 s18, s3, s8
	s_delay_alu instid0(SALU_CYCLE_1)
	s_and_saveexec_b32 s16, s18
	s_cbranch_execnz .LBB7_313
.LBB7_297:
	s_or_b32 exec_lo, exec_lo, s16
	s_and_b32 s18, s4, s8
	s_delay_alu instid0(SALU_CYCLE_1)
	s_and_saveexec_b32 s16, s18
	s_cbranch_execnz .LBB7_317
.LBB7_298:
	s_or_b32 exec_lo, exec_lo, s16
	s_and_b32 s18, s5, s8
	s_delay_alu instid0(SALU_CYCLE_1)
	s_and_saveexec_b32 s16, s18
	s_cbranch_execnz .LBB7_321
.LBB7_299:
	s_or_b32 exec_lo, exec_lo, s16
	s_and_b32 s18, s6, s8
	s_delay_alu instid0(SALU_CYCLE_1)
	s_and_saveexec_b32 s16, s18
	s_cbranch_execnz .LBB7_325
.LBB7_300:
	s_or_b32 exec_lo, exec_lo, s16
	s_and_b32 s16, s7, s8
	s_delay_alu instid0(SALU_CYCLE_1)
	s_and_saveexec_b32 s8, s16
	s_cbranch_execnz .LBB7_329
	s_branch .LBB7_333
.LBB7_301:
	v_cmp_ne_u32_e32 vcc_lo, 1, v105
	v_lshlrev_b64 v[40:41], 2, v[64:65]
	s_cbranch_vccnz .LBB7_303
; %bb.302:
	s_delay_alu instid0(VALU_DEP_1) | instskip(NEXT) | instid1(VALU_DEP_2)
	v_add_co_u32 v46, vcc_lo, v44, v40
	v_add_co_ci_u32_e32 v47, vcc_lo, v45, v41, vcc_lo
	flat_load_b32 v46, v[46:47]
	s_waitcnt vmcnt(0) lgkmcnt(0)
	v_mul_f32_e32 v46, s15, v46
	s_branch .LBB7_304
.LBB7_303:
	v_mov_b32_e32 v46, 0
.LBB7_304:
	v_dual_add_f32 v47, v33, v37 :: v_dual_add_f32 v48, v32, v36
	v_dual_add_f32 v49, v35, v39 :: v_dual_add_f32 v50, v34, v38
	s_delay_alu instid0(VALU_DEP_4) | instskip(NEXT) | instid1(VALU_DEP_3)
	v_add_co_u32 v40, vcc_lo, v42, v40
	v_min3_f32 v47, v48, v47, v97
	v_add_co_ci_u32_e32 v41, vcc_lo, v43, v41, vcc_lo
	s_delay_alu instid0(VALU_DEP_4) | instskip(NEXT) | instid1(VALU_DEP_1)
	v_min_f32_e32 v48, v50, v49
	v_min3_f32 v46, v46, v48, v47
	global_store_b32 v[40:41], v46, off
	s_or_b32 exec_lo, exec_lo, s16
	s_and_b32 s18, s1, s8
	s_delay_alu instid0(SALU_CYCLE_1)
	s_and_saveexec_b32 s16, s18
	s_cbranch_execz .LBB7_295
.LBB7_305:
	v_cmp_ne_u32_e32 vcc_lo, 1, v105
	v_lshlrev_b64 v[40:41], 2, v[66:67]
	s_cbranch_vccnz .LBB7_307
; %bb.306:
	s_delay_alu instid0(VALU_DEP_1) | instskip(NEXT) | instid1(VALU_DEP_2)
	v_add_co_u32 v46, vcc_lo, v44, v40
	v_add_co_ci_u32_e32 v47, vcc_lo, v45, v41, vcc_lo
	flat_load_b32 v46, v[46:47]
	s_waitcnt vmcnt(0) lgkmcnt(0)
	v_mul_f32_e32 v46, s15, v46
	s_branch .LBB7_308
.LBB7_307:
	v_mov_b32_e32 v46, 0
.LBB7_308:
	v_dual_add_f32 v47, v29, v37 :: v_dual_add_f32 v48, v28, v36
	v_dual_add_f32 v49, v31, v39 :: v_dual_add_f32 v50, v30, v38
	s_delay_alu instid0(VALU_DEP_4) | instskip(NEXT) | instid1(VALU_DEP_3)
	v_add_co_u32 v40, vcc_lo, v42, v40
	v_min3_f32 v47, v48, v47, v96
	v_add_co_ci_u32_e32 v41, vcc_lo, v43, v41, vcc_lo
	s_delay_alu instid0(VALU_DEP_4) | instskip(NEXT) | instid1(VALU_DEP_1)
	v_min_f32_e32 v48, v50, v49
	v_min3_f32 v46, v46, v48, v47
	global_store_b32 v[40:41], v46, off
	s_or_b32 exec_lo, exec_lo, s16
	s_and_b32 s18, s2, s8
	s_delay_alu instid0(SALU_CYCLE_1)
	s_and_saveexec_b32 s16, s18
	s_cbranch_execz .LBB7_296
.LBB7_309:
	v_cmp_ne_u32_e32 vcc_lo, 1, v105
	v_lshlrev_b64 v[40:41], 2, v[68:69]
	s_cbranch_vccnz .LBB7_311
; %bb.310:
	s_delay_alu instid0(VALU_DEP_1) | instskip(NEXT) | instid1(VALU_DEP_2)
	v_add_co_u32 v46, vcc_lo, v44, v40
	v_add_co_ci_u32_e32 v47, vcc_lo, v45, v41, vcc_lo
	flat_load_b32 v46, v[46:47]
	s_waitcnt vmcnt(0) lgkmcnt(0)
	v_mul_f32_e32 v46, s15, v46
	s_branch .LBB7_312
.LBB7_311:
	v_mov_b32_e32 v46, 0
.LBB7_312:
	v_dual_add_f32 v47, v25, v37 :: v_dual_add_f32 v48, v24, v36
	v_dual_add_f32 v49, v27, v39 :: v_dual_add_f32 v50, v26, v38
	s_delay_alu instid0(VALU_DEP_4) | instskip(NEXT) | instid1(VALU_DEP_3)
	v_add_co_u32 v40, vcc_lo, v42, v40
	v_min3_f32 v47, v48, v47, v95
	v_add_co_ci_u32_e32 v41, vcc_lo, v43, v41, vcc_lo
	s_delay_alu instid0(VALU_DEP_4) | instskip(NEXT) | instid1(VALU_DEP_1)
	v_min_f32_e32 v48, v50, v49
	v_min3_f32 v46, v46, v48, v47
	global_store_b32 v[40:41], v46, off
	s_or_b32 exec_lo, exec_lo, s16
	s_and_b32 s18, s3, s8
	s_delay_alu instid0(SALU_CYCLE_1)
	s_and_saveexec_b32 s16, s18
	s_cbranch_execz .LBB7_297
.LBB7_313:
	v_cmp_ne_u32_e32 vcc_lo, 1, v105
	v_lshlrev_b64 v[40:41], 2, v[70:71]
	s_cbranch_vccnz .LBB7_315
; %bb.314:
	s_delay_alu instid0(VALU_DEP_1) | instskip(NEXT) | instid1(VALU_DEP_2)
	v_add_co_u32 v46, vcc_lo, v44, v40
	v_add_co_ci_u32_e32 v47, vcc_lo, v45, v41, vcc_lo
	flat_load_b32 v46, v[46:47]
	s_waitcnt vmcnt(0) lgkmcnt(0)
	v_mul_f32_e32 v46, s15, v46
	s_branch .LBB7_316
.LBB7_315:
	v_mov_b32_e32 v46, 0
.LBB7_316:
	v_dual_add_f32 v47, v21, v37 :: v_dual_add_f32 v48, v20, v36
	v_dual_add_f32 v49, v23, v39 :: v_dual_add_f32 v50, v22, v38
	s_delay_alu instid0(VALU_DEP_4) | instskip(NEXT) | instid1(VALU_DEP_3)
	v_add_co_u32 v40, vcc_lo, v42, v40
	v_min3_f32 v47, v48, v47, v94
	v_add_co_ci_u32_e32 v41, vcc_lo, v43, v41, vcc_lo
	s_delay_alu instid0(VALU_DEP_4) | instskip(NEXT) | instid1(VALU_DEP_1)
	v_min_f32_e32 v48, v50, v49
	v_min3_f32 v46, v46, v48, v47
	global_store_b32 v[40:41], v46, off
	s_or_b32 exec_lo, exec_lo, s16
	s_and_b32 s18, s4, s8
	s_delay_alu instid0(SALU_CYCLE_1)
	s_and_saveexec_b32 s16, s18
	s_cbranch_execz .LBB7_298
.LBB7_317:
	v_cmp_ne_u32_e32 vcc_lo, 1, v105
	v_lshlrev_b64 v[40:41], 2, v[72:73]
	s_cbranch_vccnz .LBB7_319
; %bb.318:
	s_delay_alu instid0(VALU_DEP_1) | instskip(NEXT) | instid1(VALU_DEP_2)
	v_add_co_u32 v46, vcc_lo, v44, v40
	v_add_co_ci_u32_e32 v47, vcc_lo, v45, v41, vcc_lo
	flat_load_b32 v46, v[46:47]
	s_waitcnt vmcnt(0) lgkmcnt(0)
	v_mul_f32_e32 v46, s15, v46
	s_branch .LBB7_320
.LBB7_319:
	v_mov_b32_e32 v46, 0
.LBB7_320:
	v_dual_add_f32 v47, v17, v37 :: v_dual_add_f32 v48, v16, v36
	v_dual_add_f32 v49, v19, v39 :: v_dual_add_f32 v50, v18, v38
	s_delay_alu instid0(VALU_DEP_4) | instskip(NEXT) | instid1(VALU_DEP_3)
	v_add_co_u32 v40, vcc_lo, v42, v40
	v_min3_f32 v47, v48, v47, v93
	v_add_co_ci_u32_e32 v41, vcc_lo, v43, v41, vcc_lo
	s_delay_alu instid0(VALU_DEP_4) | instskip(NEXT) | instid1(VALU_DEP_1)
	v_min_f32_e32 v48, v50, v49
	v_min3_f32 v46, v46, v48, v47
	global_store_b32 v[40:41], v46, off
	s_or_b32 exec_lo, exec_lo, s16
	s_and_b32 s18, s5, s8
	s_delay_alu instid0(SALU_CYCLE_1)
	s_and_saveexec_b32 s16, s18
	s_cbranch_execz .LBB7_299
.LBB7_321:
	v_cmp_ne_u32_e32 vcc_lo, 1, v105
	v_lshlrev_b64 v[40:41], 2, v[74:75]
	s_cbranch_vccnz .LBB7_323
; %bb.322:
	s_delay_alu instid0(VALU_DEP_1) | instskip(NEXT) | instid1(VALU_DEP_2)
	v_add_co_u32 v46, vcc_lo, v44, v40
	v_add_co_ci_u32_e32 v47, vcc_lo, v45, v41, vcc_lo
	flat_load_b32 v46, v[46:47]
	s_waitcnt vmcnt(0) lgkmcnt(0)
	v_mul_f32_e32 v46, s15, v46
	s_branch .LBB7_324
.LBB7_323:
	v_mov_b32_e32 v46, 0
.LBB7_324:
	v_dual_add_f32 v47, v13, v37 :: v_dual_add_f32 v48, v12, v36
	v_dual_add_f32 v49, v15, v39 :: v_dual_add_f32 v50, v14, v38
	s_delay_alu instid0(VALU_DEP_4) | instskip(NEXT) | instid1(VALU_DEP_3)
	v_add_co_u32 v40, vcc_lo, v42, v40
	v_min3_f32 v47, v48, v47, v92
	v_add_co_ci_u32_e32 v41, vcc_lo, v43, v41, vcc_lo
	s_delay_alu instid0(VALU_DEP_4) | instskip(NEXT) | instid1(VALU_DEP_1)
	v_min_f32_e32 v48, v50, v49
	v_min3_f32 v46, v46, v48, v47
	global_store_b32 v[40:41], v46, off
	s_or_b32 exec_lo, exec_lo, s16
	s_and_b32 s18, s6, s8
	s_delay_alu instid0(SALU_CYCLE_1)
	s_and_saveexec_b32 s16, s18
	s_cbranch_execz .LBB7_300
.LBB7_325:
	v_cmp_ne_u32_e32 vcc_lo, 1, v105
	v_lshlrev_b64 v[40:41], 2, v[76:77]
	s_cbranch_vccnz .LBB7_327
; %bb.326:
	s_delay_alu instid0(VALU_DEP_1) | instskip(NEXT) | instid1(VALU_DEP_2)
	v_add_co_u32 v46, vcc_lo, v44, v40
	v_add_co_ci_u32_e32 v47, vcc_lo, v45, v41, vcc_lo
	flat_load_b32 v46, v[46:47]
	s_waitcnt vmcnt(0) lgkmcnt(0)
	v_mul_f32_e32 v46, s15, v46
	s_branch .LBB7_328
.LBB7_327:
	v_mov_b32_e32 v46, 0
.LBB7_328:
	v_dual_add_f32 v47, v9, v37 :: v_dual_add_f32 v48, v8, v36
	v_dual_add_f32 v49, v11, v39 :: v_dual_add_f32 v50, v10, v38
	s_delay_alu instid0(VALU_DEP_4) | instskip(NEXT) | instid1(VALU_DEP_3)
	v_add_co_u32 v40, vcc_lo, v42, v40
	v_min3_f32 v47, v48, v47, v91
	v_add_co_ci_u32_e32 v41, vcc_lo, v43, v41, vcc_lo
	s_delay_alu instid0(VALU_DEP_4) | instskip(NEXT) | instid1(VALU_DEP_1)
	v_min_f32_e32 v48, v50, v49
	v_min3_f32 v46, v46, v48, v47
	global_store_b32 v[40:41], v46, off
	s_or_b32 exec_lo, exec_lo, s16
	s_and_b32 s16, s7, s8
	s_delay_alu instid0(SALU_CYCLE_1)
	s_and_saveexec_b32 s8, s16
	s_cbranch_execz .LBB7_333
.LBB7_329:
	v_cmp_ne_u32_e32 vcc_lo, 1, v105
	v_lshlrev_b64 v[40:41], 2, v[78:79]
	s_cbranch_vccnz .LBB7_331
; %bb.330:
	s_delay_alu instid0(VALU_DEP_1) | instskip(NEXT) | instid1(VALU_DEP_2)
	v_add_co_u32 v44, vcc_lo, v44, v40
	v_add_co_ci_u32_e32 v45, vcc_lo, v45, v41, vcc_lo
	flat_load_b32 v44, v[44:45]
	s_waitcnt vmcnt(0) lgkmcnt(0)
	v_mul_f32_e32 v44, s15, v44
	s_branch .LBB7_332
.LBB7_331:
	v_mov_b32_e32 v44, 0
.LBB7_332:
	v_dual_add_f32 v37, v1, v37 :: v_dual_add_f32 v36, v0, v36
	v_dual_add_f32 v39, v3, v39 :: v_dual_add_f32 v38, v2, v38
	s_delay_alu instid0(VALU_DEP_2) | instskip(NEXT) | instid1(VALU_DEP_2)
	v_min3_f32 v36, v36, v37, v90
	v_min_f32_e32 v37, v38, v39
	s_delay_alu instid0(VALU_DEP_1)
	v_min3_f32 v38, v44, v37, v36
	v_add_co_u32 v36, vcc_lo, v42, v40
	v_add_co_ci_u32_e32 v37, vcc_lo, v43, v41, vcc_lo
	global_store_b32 v[36:37], v38, off
.LBB7_333:
	s_or_b32 exec_lo, exec_lo, s8
	v_add_nc_u32_e32 v40, 56, v112
	s_delay_alu instid0(VALU_DEP_1) | instskip(SKIP_2) | instid1(VALU_DEP_3)
	v_mad_i64_i32 v[36:37], null, v40, s14, 0
	v_mad_i64_i32 v[38:39], null, v40, s9, 0
	v_cmp_gt_i32_e64 s8, s17, v40
	v_lshlrev_b64 v[36:37], 2, v[36:37]
	s_delay_alu instid0(VALU_DEP_2) | instskip(NEXT) | instid1(VALU_DEP_3)
	s_and_b32 s9, s0, s8
	v_lshlrev_b64 v[38:39], 2, v[38:39]
	s_delay_alu instid0(VALU_DEP_2) | instskip(NEXT) | instid1(VALU_DEP_3)
	v_add_co_u32 v40, vcc_lo, s10, v36
	v_add_co_ci_u32_e32 v41, vcc_lo, s11, v37, vcc_lo
	s_delay_alu instid0(VALU_DEP_3) | instskip(NEXT) | instid1(VALU_DEP_4)
	v_add_co_u32 v38, vcc_lo, s12, v38
	v_add_co_ci_u32_e32 v39, vcc_lo, s13, v39, vcc_lo
	s_and_saveexec_b32 s0, s9
	s_cbranch_execnz .LBB7_342
; %bb.334:
	s_or_b32 exec_lo, exec_lo, s0
	s_and_b32 s1, s1, s8
	s_delay_alu instid0(SALU_CYCLE_1)
	s_and_saveexec_b32 s0, s1
	s_cbranch_execnz .LBB7_346
.LBB7_335:
	s_or_b32 exec_lo, exec_lo, s0
	s_and_b32 s1, s2, s8
	s_delay_alu instid0(SALU_CYCLE_1)
	s_and_saveexec_b32 s0, s1
	s_cbranch_execnz .LBB7_350
.LBB7_336:
	s_or_b32 exec_lo, exec_lo, s0
	s_and_b32 s1, s3, s8
	s_delay_alu instid0(SALU_CYCLE_1)
	s_and_saveexec_b32 s0, s1
	s_cbranch_execnz .LBB7_354
.LBB7_337:
	s_or_b32 exec_lo, exec_lo, s0
	s_and_b32 s1, s4, s8
	s_delay_alu instid0(SALU_CYCLE_1)
	s_and_saveexec_b32 s0, s1
	s_cbranch_execnz .LBB7_358
.LBB7_338:
	s_or_b32 exec_lo, exec_lo, s0
	s_and_b32 s1, s5, s8
	s_delay_alu instid0(SALU_CYCLE_1)
	s_and_saveexec_b32 s0, s1
	s_cbranch_execnz .LBB7_362
.LBB7_339:
	s_or_b32 exec_lo, exec_lo, s0
	s_and_b32 s1, s6, s8
	s_delay_alu instid0(SALU_CYCLE_1)
	s_and_saveexec_b32 s0, s1
	s_cbranch_execnz .LBB7_366
.LBB7_340:
	s_or_b32 exec_lo, exec_lo, s0
	s_and_b32 s0, s7, s8
	s_delay_alu instid0(SALU_CYCLE_1)
	s_and_saveexec_b32 s1, s0
	s_cbranch_execnz .LBB7_370
.LBB7_341:
	s_nop 0
	s_sendmsg sendmsg(MSG_DEALLOC_VGPRS)
	s_endpgm
.LBB7_342:
	v_cmp_ne_u32_e32 vcc_lo, 1, v105
	v_lshlrev_b64 v[36:37], 2, v[64:65]
	s_cbranch_vccnz .LBB7_344
; %bb.343:
	s_delay_alu instid0(VALU_DEP_1) | instskip(NEXT) | instid1(VALU_DEP_2)
	v_add_co_u32 v42, vcc_lo, v40, v36
	v_add_co_ci_u32_e32 v43, vcc_lo, v41, v37, vcc_lo
	flat_load_b32 v42, v[42:43]
	s_waitcnt vmcnt(0) lgkmcnt(0)
	v_mul_f32_e32 v42, s15, v42
	s_branch .LBB7_345
.LBB7_344:
	v_mov_b32_e32 v42, 0
.LBB7_345:
	v_dual_add_f32 v33, v33, v5 :: v_dual_add_f32 v32, v32, v4
	v_dual_add_f32 v35, v35, v7 :: v_dual_add_f32 v34, v34, v6
	s_delay_alu instid0(VALU_DEP_2) | instskip(NEXT) | instid1(VALU_DEP_2)
	v_min3_f32 v32, v32, v33, v89
	v_min_f32_e32 v33, v34, v35
	s_delay_alu instid0(VALU_DEP_1)
	v_min3_f32 v34, v42, v33, v32
	v_add_co_u32 v32, vcc_lo, v38, v36
	v_add_co_ci_u32_e32 v33, vcc_lo, v39, v37, vcc_lo
	global_store_b32 v[32:33], v34, off
	s_or_b32 exec_lo, exec_lo, s0
	s_and_b32 s1, s1, s8
	s_delay_alu instid0(SALU_CYCLE_1)
	s_and_saveexec_b32 s0, s1
	s_cbranch_execz .LBB7_335
.LBB7_346:
	v_cmp_ne_u32_e32 vcc_lo, 1, v105
	v_lshlrev_b64 v[32:33], 2, v[66:67]
	s_cbranch_vccnz .LBB7_348
; %bb.347:
	s_delay_alu instid0(VALU_DEP_1) | instskip(NEXT) | instid1(VALU_DEP_2)
	v_add_co_u32 v34, vcc_lo, v40, v32
	v_add_co_ci_u32_e32 v35, vcc_lo, v41, v33, vcc_lo
	flat_load_b32 v34, v[34:35]
	s_waitcnt vmcnt(0) lgkmcnt(0)
	v_mul_f32_e32 v34, s15, v34
	s_branch .LBB7_349
.LBB7_348:
	v_mov_b32_e32 v34, 0
.LBB7_349:
	v_dual_add_f32 v29, v29, v5 :: v_dual_add_f32 v28, v28, v4
	v_dual_add_f32 v31, v31, v7 :: v_dual_add_f32 v30, v30, v6
	s_delay_alu instid0(VALU_DEP_2) | instskip(NEXT) | instid1(VALU_DEP_2)
	v_min3_f32 v28, v28, v29, v88
	v_min_f32_e32 v29, v30, v31
	s_delay_alu instid0(VALU_DEP_1)
	v_min3_f32 v30, v34, v29, v28
	v_add_co_u32 v28, vcc_lo, v38, v32
	v_add_co_ci_u32_e32 v29, vcc_lo, v39, v33, vcc_lo
	global_store_b32 v[28:29], v30, off
	s_or_b32 exec_lo, exec_lo, s0
	s_and_b32 s1, s2, s8
	s_delay_alu instid0(SALU_CYCLE_1)
	s_and_saveexec_b32 s0, s1
	s_cbranch_execz .LBB7_336
.LBB7_350:
	v_cmp_ne_u32_e32 vcc_lo, 1, v105
	v_lshlrev_b64 v[28:29], 2, v[68:69]
	s_cbranch_vccnz .LBB7_352
; %bb.351:
	s_delay_alu instid0(VALU_DEP_1) | instskip(NEXT) | instid1(VALU_DEP_2)
	v_add_co_u32 v30, vcc_lo, v40, v28
	v_add_co_ci_u32_e32 v31, vcc_lo, v41, v29, vcc_lo
	flat_load_b32 v30, v[30:31]
	s_waitcnt vmcnt(0) lgkmcnt(0)
	v_mul_f32_e32 v30, s15, v30
	s_branch .LBB7_353
.LBB7_352:
	v_mov_b32_e32 v30, 0
.LBB7_353:
	v_dual_add_f32 v25, v25, v5 :: v_dual_add_f32 v24, v24, v4
	v_dual_add_f32 v27, v27, v7 :: v_dual_add_f32 v26, v26, v6
	s_delay_alu instid0(VALU_DEP_2) | instskip(NEXT) | instid1(VALU_DEP_2)
	v_min3_f32 v24, v24, v25, v87
	v_min_f32_e32 v25, v26, v27
	s_delay_alu instid0(VALU_DEP_1)
	v_min3_f32 v26, v30, v25, v24
	v_add_co_u32 v24, vcc_lo, v38, v28
	v_add_co_ci_u32_e32 v25, vcc_lo, v39, v29, vcc_lo
	global_store_b32 v[24:25], v26, off
	s_or_b32 exec_lo, exec_lo, s0
	s_and_b32 s1, s3, s8
	s_delay_alu instid0(SALU_CYCLE_1)
	s_and_saveexec_b32 s0, s1
	s_cbranch_execz .LBB7_337
.LBB7_354:
	v_cmp_ne_u32_e32 vcc_lo, 1, v105
	v_lshlrev_b64 v[24:25], 2, v[70:71]
	s_cbranch_vccnz .LBB7_356
; %bb.355:
	s_delay_alu instid0(VALU_DEP_1) | instskip(NEXT) | instid1(VALU_DEP_2)
	v_add_co_u32 v26, vcc_lo, v40, v24
	v_add_co_ci_u32_e32 v27, vcc_lo, v41, v25, vcc_lo
	flat_load_b32 v26, v[26:27]
	s_waitcnt vmcnt(0) lgkmcnt(0)
	v_mul_f32_e32 v26, s15, v26
	s_branch .LBB7_357
.LBB7_356:
	v_mov_b32_e32 v26, 0
.LBB7_357:
	v_dual_add_f32 v21, v21, v5 :: v_dual_add_f32 v20, v20, v4
	v_dual_add_f32 v23, v23, v7 :: v_dual_add_f32 v22, v22, v6
	s_delay_alu instid0(VALU_DEP_2) | instskip(NEXT) | instid1(VALU_DEP_2)
	v_min3_f32 v20, v20, v21, v86
	v_min_f32_e32 v21, v22, v23
	s_delay_alu instid0(VALU_DEP_1)
	v_min3_f32 v22, v26, v21, v20
	v_add_co_u32 v20, vcc_lo, v38, v24
	v_add_co_ci_u32_e32 v21, vcc_lo, v39, v25, vcc_lo
	global_store_b32 v[20:21], v22, off
	s_or_b32 exec_lo, exec_lo, s0
	s_and_b32 s1, s4, s8
	s_delay_alu instid0(SALU_CYCLE_1)
	s_and_saveexec_b32 s0, s1
	s_cbranch_execz .LBB7_338
.LBB7_358:
	v_cmp_ne_u32_e32 vcc_lo, 1, v105
	v_lshlrev_b64 v[20:21], 2, v[72:73]
	s_cbranch_vccnz .LBB7_360
; %bb.359:
	s_delay_alu instid0(VALU_DEP_1) | instskip(NEXT) | instid1(VALU_DEP_2)
	v_add_co_u32 v22, vcc_lo, v40, v20
	v_add_co_ci_u32_e32 v23, vcc_lo, v41, v21, vcc_lo
	flat_load_b32 v22, v[22:23]
	s_waitcnt vmcnt(0) lgkmcnt(0)
	v_mul_f32_e32 v22, s15, v22
	s_branch .LBB7_361
.LBB7_360:
	v_mov_b32_e32 v22, 0
.LBB7_361:
	v_dual_add_f32 v17, v17, v5 :: v_dual_add_f32 v16, v16, v4
	v_dual_add_f32 v19, v19, v7 :: v_dual_add_f32 v18, v18, v6
	s_delay_alu instid0(VALU_DEP_2) | instskip(NEXT) | instid1(VALU_DEP_2)
	v_min3_f32 v16, v16, v17, v85
	v_min_f32_e32 v17, v18, v19
	s_delay_alu instid0(VALU_DEP_1)
	v_min3_f32 v18, v22, v17, v16
	v_add_co_u32 v16, vcc_lo, v38, v20
	v_add_co_ci_u32_e32 v17, vcc_lo, v39, v21, vcc_lo
	global_store_b32 v[16:17], v18, off
	s_or_b32 exec_lo, exec_lo, s0
	s_and_b32 s1, s5, s8
	s_delay_alu instid0(SALU_CYCLE_1)
	s_and_saveexec_b32 s0, s1
	s_cbranch_execz .LBB7_339
.LBB7_362:
	v_cmp_ne_u32_e32 vcc_lo, 1, v105
	v_lshlrev_b64 v[16:17], 2, v[74:75]
	s_cbranch_vccnz .LBB7_364
; %bb.363:
	s_delay_alu instid0(VALU_DEP_1) | instskip(NEXT) | instid1(VALU_DEP_2)
	v_add_co_u32 v18, vcc_lo, v40, v16
	v_add_co_ci_u32_e32 v19, vcc_lo, v41, v17, vcc_lo
	flat_load_b32 v18, v[18:19]
	s_waitcnt vmcnt(0) lgkmcnt(0)
	v_mul_f32_e32 v18, s15, v18
	s_branch .LBB7_365
.LBB7_364:
	v_mov_b32_e32 v18, 0
.LBB7_365:
	v_dual_add_f32 v13, v13, v5 :: v_dual_add_f32 v12, v12, v4
	v_dual_add_f32 v15, v15, v7 :: v_dual_add_f32 v14, v14, v6
	s_delay_alu instid0(VALU_DEP_2) | instskip(NEXT) | instid1(VALU_DEP_2)
	v_min3_f32 v12, v12, v13, v84
	v_min_f32_e32 v13, v14, v15
	s_delay_alu instid0(VALU_DEP_1)
	v_min3_f32 v14, v18, v13, v12
	v_add_co_u32 v12, vcc_lo, v38, v16
	v_add_co_ci_u32_e32 v13, vcc_lo, v39, v17, vcc_lo
	global_store_b32 v[12:13], v14, off
	s_or_b32 exec_lo, exec_lo, s0
	s_and_b32 s1, s6, s8
	s_delay_alu instid0(SALU_CYCLE_1)
	s_and_saveexec_b32 s0, s1
	s_cbranch_execz .LBB7_340
.LBB7_366:
	v_cmp_ne_u32_e32 vcc_lo, 1, v105
	v_lshlrev_b64 v[12:13], 2, v[76:77]
	s_cbranch_vccnz .LBB7_368
; %bb.367:
	s_delay_alu instid0(VALU_DEP_1) | instskip(NEXT) | instid1(VALU_DEP_2)
	v_add_co_u32 v14, vcc_lo, v40, v12
	v_add_co_ci_u32_e32 v15, vcc_lo, v41, v13, vcc_lo
	flat_load_b32 v14, v[14:15]
	s_waitcnt vmcnt(0) lgkmcnt(0)
	v_mul_f32_e32 v14, s15, v14
	s_branch .LBB7_369
.LBB7_368:
	v_mov_b32_e32 v14, 0
.LBB7_369:
	v_dual_add_f32 v9, v9, v5 :: v_dual_add_f32 v8, v8, v4
	v_dual_add_f32 v11, v11, v7 :: v_dual_add_f32 v10, v10, v6
	s_delay_alu instid0(VALU_DEP_2) | instskip(NEXT) | instid1(VALU_DEP_2)
	v_min3_f32 v8, v8, v9, v83
	v_min_f32_e32 v9, v10, v11
	s_delay_alu instid0(VALU_DEP_1)
	v_min3_f32 v10, v14, v9, v8
	v_add_co_u32 v8, vcc_lo, v38, v12
	v_add_co_ci_u32_e32 v9, vcc_lo, v39, v13, vcc_lo
	global_store_b32 v[8:9], v10, off
	s_or_b32 exec_lo, exec_lo, s0
	s_and_b32 s0, s7, s8
	s_delay_alu instid0(SALU_CYCLE_1)
	s_and_saveexec_b32 s1, s0
	s_cbranch_execz .LBB7_341
.LBB7_370:
	v_cmp_ne_u32_e32 vcc_lo, 1, v105
	v_lshlrev_b64 v[8:9], 2, v[78:79]
	s_cbranch_vccnz .LBB7_372
; %bb.371:
	s_delay_alu instid0(VALU_DEP_1) | instskip(NEXT) | instid1(VALU_DEP_2)
	v_add_co_u32 v10, vcc_lo, v40, v8
	v_add_co_ci_u32_e32 v11, vcc_lo, v41, v9, vcc_lo
	flat_load_b32 v10, v[10:11]
	s_waitcnt vmcnt(0) lgkmcnt(0)
	v_mul_f32_e32 v10, s15, v10
	s_branch .LBB7_373
.LBB7_372:
	v_mov_b32_e32 v10, 0
.LBB7_373:
	v_dual_add_f32 v1, v1, v5 :: v_dual_add_f32 v0, v0, v4
	v_dual_add_f32 v3, v3, v7 :: v_dual_add_f32 v2, v2, v6
	s_delay_alu instid0(VALU_DEP_2) | instskip(NEXT) | instid1(VALU_DEP_2)
	v_min3_f32 v0, v0, v1, v82
	v_min_f32_e32 v1, v2, v3
	s_delay_alu instid0(VALU_DEP_1)
	v_min3_f32 v2, v10, v1, v0
	v_add_co_u32 v0, vcc_lo, v38, v8
	v_add_co_ci_u32_e32 v1, vcc_lo, v39, v9, vcc_lo
	global_store_b32 v[0:1], v2, off
	s_nop 0
	s_sendmsg sendmsg(MSG_DEALLOC_VGPRS)
	s_endpgm
	.section	.rodata,"a",@progbits
	.p2align	6, 0x0
	.amdhsa_kernel _ZN12_GLOBAL__N_120geam_min_plus_kernelIf15HIP_vector_typeIfLj2EEfLi32ELi8ELi256ELi64ELi4ELi64ELi4ELi4ELi64ELc78ELc78ELb1ELb1ELb1EfKPKfKPfEEviiiT16_PT17_ilSA_ilS8_SA_ilPT18_ili26rocblas_geam_ex_operation_
		.amdhsa_group_segment_fixed_size 10240
		.amdhsa_private_segment_fixed_size 84
		.amdhsa_kernarg_size 128
		.amdhsa_user_sgpr_count 14
		.amdhsa_user_sgpr_dispatch_ptr 0
		.amdhsa_user_sgpr_queue_ptr 0
		.amdhsa_user_sgpr_kernarg_segment_ptr 1
		.amdhsa_user_sgpr_dispatch_id 0
		.amdhsa_user_sgpr_private_segment_size 0
		.amdhsa_wavefront_size32 1
		.amdhsa_uses_dynamic_stack 0
		.amdhsa_enable_private_segment 1
		.amdhsa_system_sgpr_workgroup_id_x 1
		.amdhsa_system_sgpr_workgroup_id_y 0
		.amdhsa_system_sgpr_workgroup_id_z 1
		.amdhsa_system_sgpr_workgroup_info 0
		.amdhsa_system_vgpr_workitem_id 1
		.amdhsa_next_free_vgpr 256
		.amdhsa_next_free_sgpr 27
		.amdhsa_reserve_vcc 1
		.amdhsa_float_round_mode_32 0
		.amdhsa_float_round_mode_16_64 0
		.amdhsa_float_denorm_mode_32 3
		.amdhsa_float_denorm_mode_16_64 3
		.amdhsa_dx10_clamp 1
		.amdhsa_ieee_mode 1
		.amdhsa_fp16_overflow 0
		.amdhsa_workgroup_processor_mode 1
		.amdhsa_memory_ordered 1
		.amdhsa_forward_progress 0
		.amdhsa_shared_vgpr_count 0
		.amdhsa_exception_fp_ieee_invalid_op 0
		.amdhsa_exception_fp_denorm_src 0
		.amdhsa_exception_fp_ieee_div_zero 0
		.amdhsa_exception_fp_ieee_overflow 0
		.amdhsa_exception_fp_ieee_underflow 0
		.amdhsa_exception_fp_ieee_inexact 0
		.amdhsa_exception_int_div_zero 0
	.end_amdhsa_kernel
	.section	.text._ZN12_GLOBAL__N_120geam_min_plus_kernelIf15HIP_vector_typeIfLj2EEfLi32ELi8ELi256ELi64ELi4ELi64ELi4ELi4ELi64ELc78ELc78ELb1ELb1ELb1EfKPKfKPfEEviiiT16_PT17_ilSA_ilS8_SA_ilPT18_ili26rocblas_geam_ex_operation_,"axG",@progbits,_ZN12_GLOBAL__N_120geam_min_plus_kernelIf15HIP_vector_typeIfLj2EEfLi32ELi8ELi256ELi64ELi4ELi64ELi4ELi4ELi64ELc78ELc78ELb1ELb1ELb1EfKPKfKPfEEviiiT16_PT17_ilSA_ilS8_SA_ilPT18_ili26rocblas_geam_ex_operation_,comdat
.Lfunc_end7:
	.size	_ZN12_GLOBAL__N_120geam_min_plus_kernelIf15HIP_vector_typeIfLj2EEfLi32ELi8ELi256ELi64ELi4ELi64ELi4ELi4ELi64ELc78ELc78ELb1ELb1ELb1EfKPKfKPfEEviiiT16_PT17_ilSA_ilS8_SA_ilPT18_ili26rocblas_geam_ex_operation_, .Lfunc_end7-_ZN12_GLOBAL__N_120geam_min_plus_kernelIf15HIP_vector_typeIfLj2EEfLi32ELi8ELi256ELi64ELi4ELi64ELi4ELi4ELi64ELc78ELc78ELb1ELb1ELb1EfKPKfKPfEEviiiT16_PT17_ilSA_ilS8_SA_ilPT18_ili26rocblas_geam_ex_operation_
                                        ; -- End function
	.section	.AMDGPU.csdata,"",@progbits
; Kernel info:
; codeLenInByte = 21100
; NumSgprs: 29
; NumVgprs: 256
; ScratchSize: 84
; MemoryBound: 0
; FloatMode: 240
; IeeeMode: 1
; LDSByteSize: 10240 bytes/workgroup (compile time only)
; SGPRBlocks: 3
; VGPRBlocks: 31
; NumSGPRsForWavesPerEU: 29
; NumVGPRsForWavesPerEU: 256
; Occupancy: 5
; WaveLimiterHint : 1
; COMPUTE_PGM_RSRC2:SCRATCH_EN: 1
; COMPUTE_PGM_RSRC2:USER_SGPR: 14
; COMPUTE_PGM_RSRC2:TRAP_HANDLER: 0
; COMPUTE_PGM_RSRC2:TGID_X_EN: 1
; COMPUTE_PGM_RSRC2:TGID_Y_EN: 0
; COMPUTE_PGM_RSRC2:TGID_Z_EN: 1
; COMPUTE_PGM_RSRC2:TIDIG_COMP_CNT: 1
	.section	.text._ZN12_GLOBAL__N_120geam_min_plus_kernelIf15HIP_vector_typeIfLj2EEfLi32ELi8ELi256ELi64ELi4ELi64ELi4ELi4ELi64ELc78ELc78ELb0ELb1ELb1EfKPKfKPfEEviiiT16_PT17_ilSA_ilS8_SA_ilPT18_ili26rocblas_geam_ex_operation_,"axG",@progbits,_ZN12_GLOBAL__N_120geam_min_plus_kernelIf15HIP_vector_typeIfLj2EEfLi32ELi8ELi256ELi64ELi4ELi64ELi4ELi4ELi64ELc78ELc78ELb0ELb1ELb1EfKPKfKPfEEviiiT16_PT17_ilSA_ilS8_SA_ilPT18_ili26rocblas_geam_ex_operation_,comdat
	.globl	_ZN12_GLOBAL__N_120geam_min_plus_kernelIf15HIP_vector_typeIfLj2EEfLi32ELi8ELi256ELi64ELi4ELi64ELi4ELi4ELi64ELc78ELc78ELb0ELb1ELb1EfKPKfKPfEEviiiT16_PT17_ilSA_ilS8_SA_ilPT18_ili26rocblas_geam_ex_operation_ ; -- Begin function _ZN12_GLOBAL__N_120geam_min_plus_kernelIf15HIP_vector_typeIfLj2EEfLi32ELi8ELi256ELi64ELi4ELi64ELi4ELi4ELi64ELc78ELc78ELb0ELb1ELb1EfKPKfKPfEEviiiT16_PT17_ilSA_ilS8_SA_ilPT18_ili26rocblas_geam_ex_operation_
	.p2align	8
	.type	_ZN12_GLOBAL__N_120geam_min_plus_kernelIf15HIP_vector_typeIfLj2EEfLi32ELi8ELi256ELi64ELi4ELi64ELi4ELi4ELi64ELc78ELc78ELb0ELb1ELb1EfKPKfKPfEEviiiT16_PT17_ilSA_ilS8_SA_ilPT18_ili26rocblas_geam_ex_operation_,@function
_ZN12_GLOBAL__N_120geam_min_plus_kernelIf15HIP_vector_typeIfLj2EEfLi32ELi8ELi256ELi64ELi4ELi64ELi4ELi4ELi64ELc78ELc78ELb0ELb1ELb1EfKPKfKPfEEviiiT16_PT17_ilSA_ilS8_SA_ilPT18_ili26rocblas_geam_ex_operation_: ; @_ZN12_GLOBAL__N_120geam_min_plus_kernelIf15HIP_vector_typeIfLj2EEfLi32ELi8ELi256ELi64ELi4ELi64ELi4ELi4ELi64ELc78ELc78ELb0ELb1ELb1EfKPKfKPfEEviiiT16_PT17_ilSA_ilS8_SA_ilPT18_ili26rocblas_geam_ex_operation_
; %bb.0:
	s_clause 0x1
	s_load_b128 s[16:19], s[0:1], 0x0
	s_load_b128 s[4:7], s[0:1], 0x20
	s_mov_b32 s2, s15
	s_mov_b32 s3, 0
	s_waitcnt lgkmcnt(0)
	v_cmp_eq_f32_e64 s10, s19, 0
	s_delay_alu instid0(VALU_DEP_1)
	s_and_b32 vcc_lo, exec_lo, s10
	s_cbranch_vccnz .LBB8_3
; %bb.1:
	s_load_b64 s[8:9], s[0:1], 0x10
	s_lshl_b64 s[12:13], s[2:3], 3
	s_waitcnt lgkmcnt(0)
	s_add_u32 s8, s8, s12
	s_addc_u32 s9, s9, s13
	s_lshl_b64 s[4:5], s[4:5], 2
	s_load_b64 s[8:9], s[8:9], 0x0
	s_waitcnt lgkmcnt(0)
	s_add_u32 s8, s8, s4
	s_addc_u32 s9, s9, s5
	s_and_not1_b32 vcc_lo, exec_lo, s10
	s_cbranch_vccnz .LBB8_4
.LBB8_2:
	s_mov_b64 s[20:21], 0
	s_and_not1_b32 vcc_lo, exec_lo, s3
	s_cbranch_vccz .LBB8_5
	s_branch .LBB8_6
.LBB8_3:
	s_mov_b64 s[8:9], 0
	s_and_not1_b32 vcc_lo, exec_lo, s10
	s_cbranch_vccz .LBB8_2
.LBB8_4:
	s_mov_b32 s3, -1
                                        ; implicit-def: $sgpr20_sgpr21
.LBB8_5:
	s_mov_b32 s3, 0
	s_load_b64 s[10:11], s[0:1], 0x38
	s_lshl_b64 s[4:5], s[2:3], 3
	s_delay_alu instid0(SALU_CYCLE_1) | instskip(SKIP_4) | instid1(SALU_CYCLE_1)
	s_add_u32 s4, s6, s4
	s_addc_u32 s5, s7, s5
	s_load_b64 s[4:5], s[4:5], 0x0
	s_waitcnt lgkmcnt(0)
	s_lshl_b64 s[6:7], s[10:11], 2
	s_add_u32 s20, s4, s6
	s_addc_u32 s21, s5, s7
.LBB8_6:
	s_clause 0x1
	s_load_b32 s15, s[0:1], 0x40
	s_load_b128 s[4:7], s[0:1], 0x58
	s_waitcnt lgkmcnt(0)
	v_cmp_eq_f32_e64 s10, s15, 0
	v_cmp_neq_f32_e64 s22, s15, 0
	s_delay_alu instid0(VALU_DEP_2)
	s_and_b32 vcc_lo, exec_lo, s10
	s_cbranch_vccnz .LBB8_8
; %bb.7:
	s_load_b64 s[10:11], s[0:1], 0x48
	s_lshl_b64 s[12:13], s[2:3], 3
	s_waitcnt lgkmcnt(0)
	s_add_u32 s10, s10, s12
	s_addc_u32 s11, s11, s13
	s_lshl_b64 s[4:5], s[4:5], 2
	s_load_b64 s[10:11], s[10:11], 0x0
	s_waitcnt lgkmcnt(0)
	s_add_u32 s10, s10, s4
	s_addc_u32 s11, s11, s5
	s_branch .LBB8_9
.LBB8_8:
	s_mov_b64 s[10:11], 0
.LBB8_9:
	s_lshl_b64 s[2:3], s[2:3], 3
	v_and_b32_e32 v18, 0x3ff, v0
	s_add_u32 s2, s6, s2
	s_addc_u32 s3, s7, s3
	s_add_i32 s4, s16, -1
	v_bfe_u32 v19, v0, 10, 10
	s_ashr_i32 s5, s4, 31
	s_load_b32 s24, s[0:1], 0x18
	s_lshr_b32 s5, s5, 24
	v_cmp_eq_f32_e64 s26, s19, 0
	s_add_i32 s4, s4, s5
	v_lshl_add_u32 v5, v19, 5, v18
	s_ashr_i32 s4, s4, 8
	s_delay_alu instid0(SALU_CYCLE_1) | instskip(SKIP_4) | instid1(VALU_DEP_3)
	s_add_i32 s5, s4, 1
	s_not_b32 s4, s4
	v_cvt_f32_u32_e32 v1, s5
	v_lshrrev_b32_e32 v70, 6, v5
	v_and_b32_e32 v0, 63, v5
	v_rcp_iflag_f32_e32 v1, v1
	s_waitcnt_depctr 0xfff
	v_mul_f32_e32 v1, 0x4f7ffffe, v1
	s_delay_alu instid0(VALU_DEP_1) | instskip(NEXT) | instid1(VALU_DEP_1)
	v_cvt_u32_f32_e32 v1, v1
	v_readfirstlane_b32 s6, v1
	s_delay_alu instid0(VALU_DEP_1) | instskip(NEXT) | instid1(SALU_CYCLE_1)
	s_mul_i32 s4, s4, s6
	s_mul_hi_u32 s4, s6, s4
	s_delay_alu instid0(SALU_CYCLE_1) | instskip(NEXT) | instid1(SALU_CYCLE_1)
	s_add_i32 s6, s6, s4
	s_mul_hi_u32 s4, s14, s6
	s_delay_alu instid0(SALU_CYCLE_1) | instskip(SKIP_2) | instid1(SALU_CYCLE_1)
	s_mul_i32 s6, s4, s5
	s_add_i32 s7, s4, 1
	s_sub_i32 s6, s14, s6
	s_sub_i32 s12, s6, s5
	s_cmp_ge_u32 s6, s5
	s_cselect_b32 s4, s7, s4
	s_cselect_b32 s6, s12, s6
	s_add_i32 s7, s4, 1
	s_cmp_ge_u32 s6, s5
	s_load_b64 s[12:13], s[2:3], 0x0
	s_cselect_b32 s6, s7, s4
	s_add_i32 s25, s18, -1
	s_mul_i32 s4, s6, s5
	v_min_i32_e32 v3, s25, v70
	s_sub_i32 s4, s14, s4
	v_cmp_le_i32_e64 s5, s18, v70
	s_lshl_b32 s14, s4, 8
	s_waitcnt lgkmcnt(0)
	v_mad_i64_i32 v[1:2], null, s24, v3, 0
	v_or_b32_e32 v16, s14, v0
	s_delay_alu instid0(VALU_DEP_1) | instskip(NEXT) | instid1(VALU_DEP_3)
	v_cmp_le_i32_e32 vcc_lo, s16, v16
	v_lshlrev_b64 v[2:3], 2, v[1:2]
	v_ashrrev_i32_e32 v17, 31, v16
	s_or_b32 s3, vcc_lo, s5
	s_delay_alu instid0(VALU_DEP_2) | instskip(SKIP_1) | instid1(VALU_DEP_4)
	v_add_co_u32 v6, s2, s8, v2
	v_cndmask_b32_e64 v1, 0, 0x7f7fffff, s3
	v_add_co_ci_u32_e64 v7, s2, s9, v3, s2
	s_or_b32 s2, s26, s3
	s_delay_alu instid0(SALU_CYCLE_1) | instskip(NEXT) | instid1(SALU_CYCLE_1)
	s_xor_b32 s2, s2, -1
	s_and_saveexec_b32 s3, s2
	s_cbranch_execz .LBB8_11
; %bb.10:
	v_lshlrev_b64 v[1:2], 2, v[16:17]
	s_delay_alu instid0(VALU_DEP_1) | instskip(NEXT) | instid1(VALU_DEP_1)
	v_add_co_u32 v1, s2, v6, v1
	v_add_co_ci_u32_e64 v2, s2, v7, v2, s2
	flat_load_b32 v1, v[1:2]
	s_waitcnt vmcnt(0) lgkmcnt(0)
	v_mul_f32_e32 v1, s19, v1
.LBB8_11:
	s_or_b32 exec_lo, exec_lo, s3
	v_or_b32_e32 v2, 64, v16
	s_delay_alu instid0(VALU_DEP_1) | instskip(NEXT) | instid1(VALU_DEP_1)
	v_cmp_le_i32_e64 s2, s16, v2
	s_or_b32 s3, s2, s5
	s_delay_alu instid0(SALU_CYCLE_1) | instskip(SKIP_1) | instid1(SALU_CYCLE_1)
	v_cndmask_b32_e64 v2, 0, 0x7f7fffff, s3
	s_or_b32 s3, s26, s3
	s_xor_b32 s3, s3, -1
	s_delay_alu instid0(SALU_CYCLE_1)
	s_and_saveexec_b32 s4, s3
	s_cbranch_execz .LBB8_13
; %bb.12:
	v_lshlrev_b64 v[2:3], 2, v[16:17]
	s_delay_alu instid0(VALU_DEP_1) | instskip(NEXT) | instid1(VALU_DEP_1)
	v_add_co_u32 v2, s3, v6, v2
	v_add_co_ci_u32_e64 v3, s3, v7, v3, s3
	flat_load_b32 v2, v[2:3] offset:256
	s_waitcnt vmcnt(0) lgkmcnt(0)
	v_mul_f32_e32 v2, s19, v2
.LBB8_13:
	s_or_b32 exec_lo, exec_lo, s4
	v_or_b32_e32 v3, 0x80, v16
	s_delay_alu instid0(VALU_DEP_1) | instskip(NEXT) | instid1(VALU_DEP_1)
	v_cmp_le_i32_e64 s3, s16, v3
	s_or_b32 s4, s3, s5
	s_delay_alu instid0(SALU_CYCLE_1) | instskip(SKIP_1) | instid1(SALU_CYCLE_1)
	v_cndmask_b32_e64 v3, 0, 0x7f7fffff, s4
	s_or_b32 s4, s26, s4
	s_xor_b32 s4, s4, -1
	s_delay_alu instid0(SALU_CYCLE_1)
	s_and_saveexec_b32 s7, s4
	s_cbranch_execz .LBB8_15
; %bb.14:
	v_lshlrev_b64 v[3:4], 2, v[16:17]
	s_delay_alu instid0(VALU_DEP_1) | instskip(NEXT) | instid1(VALU_DEP_1)
	v_add_co_u32 v3, s4, v6, v3
	v_add_co_ci_u32_e64 v4, s4, v7, v4, s4
	flat_load_b32 v3, v[3:4] offset:512
	s_waitcnt vmcnt(0) lgkmcnt(0)
	v_mul_f32_e32 v3, s19, v3
.LBB8_15:
	;; [unrolled: 21-line block ×3, first 2 shown]
	s_or_b32 exec_lo, exec_lo, s7
	v_lshrrev_b32_e32 v5, 2, v5
	s_load_b32 s27, s[0:1], 0x30
	s_lshl_b32 s23, s6, 6
	v_and_b32_e32 v72, 3, v18
	s_delay_alu instid0(VALU_DEP_2) | instskip(NEXT) | instid1(VALU_DEP_2)
	v_add_nc_u32_e32 v6, s23, v5
	v_cmp_le_i32_e64 s6, s18, v72
	s_delay_alu instid0(VALU_DEP_2) | instskip(SKIP_2) | instid1(SALU_CYCLE_1)
	v_cmp_le_i32_e64 s5, s17, v6
	scratch_store_b32 off, v6, off          ; 4-byte Folded Spill
	s_or_b32 s6, s6, s5
	v_cndmask_b32_e64 v6, 0, 0x7f7fffff, s6
	s_or_b32 s6, s26, s6
	s_delay_alu instid0(SALU_CYCLE_1) | instskip(NEXT) | instid1(SALU_CYCLE_1)
	s_xor_b32 s6, s6, -1
	s_and_saveexec_b32 s7, s6
	s_cbranch_execz .LBB8_19
; %bb.18:
	scratch_load_b32 v8, off, off           ; 4-byte Folded Reload
	s_waitcnt vmcnt(0) lgkmcnt(0)
	v_mad_i64_i32 v[6:7], null, v8, s27, 0
	v_min_u32_e32 v8, s25, v72
	s_delay_alu instid0(VALU_DEP_1) | instskip(NEXT) | instid1(VALU_DEP_3)
	v_lshlrev_b32_e32 v8, 2, v8
	v_lshlrev_b64 v[6:7], 2, v[6:7]
	s_delay_alu instid0(VALU_DEP_1) | instskip(NEXT) | instid1(VALU_DEP_1)
	v_add_co_u32 v6, s6, s20, v6
	v_add_co_ci_u32_e64 v7, s6, s21, v7, s6
	s_delay_alu instid0(VALU_DEP_2) | instskip(NEXT) | instid1(VALU_DEP_1)
	v_add_co_u32 v6, s6, v6, v8
	v_add_co_ci_u32_e64 v7, s6, 0, v7, s6
	flat_load_b32 v6, v[6:7]
	s_waitcnt vmcnt(0) lgkmcnt(0)
	v_mul_f32_e32 v6, s19, v6
.LBB8_19:
	s_or_b32 exec_lo, exec_lo, s7
	v_add_nc_u32_e32 v9, 4, v70
	s_delay_alu instid0(VALU_DEP_1) | instskip(SKIP_1) | instid1(VALU_DEP_2)
	v_min_i32_e32 v10, s25, v9
	v_cmp_le_i32_e64 s6, s18, v9
	v_mad_i64_i32 v[7:8], null, s24, v10, 0
	s_delay_alu instid0(VALU_DEP_1) | instskip(NEXT) | instid1(VALU_DEP_1)
	v_lshlrev_b64 v[7:8], 2, v[7:8]
	v_add_co_u32 v7, s7, s8, v7
	s_delay_alu instid0(VALU_DEP_1) | instskip(SKIP_1) | instid1(SALU_CYCLE_1)
	v_add_co_ci_u32_e64 v8, s7, s9, v8, s7
	s_or_b32 s7, vcc_lo, s6
	v_cndmask_b32_e64 v9, 0, 0x7f7fffff, s7
	s_or_b32 s7, s26, s7
	s_delay_alu instid0(SALU_CYCLE_1) | instskip(NEXT) | instid1(SALU_CYCLE_1)
	s_xor_b32 s7, s7, -1
	s_and_saveexec_b32 s28, s7
	s_cbranch_execz .LBB8_21
; %bb.20:
	v_lshlrev_b64 v[9:10], 2, v[16:17]
	s_delay_alu instid0(VALU_DEP_1) | instskip(NEXT) | instid1(VALU_DEP_1)
	v_add_co_u32 v9, s7, v7, v9
	v_add_co_ci_u32_e64 v10, s7, v8, v10, s7
	flat_load_b32 v9, v[9:10]
	s_waitcnt vmcnt(0) lgkmcnt(0)
	v_mul_f32_e32 v9, s19, v9
.LBB8_21:
	s_or_b32 exec_lo, exec_lo, s28
	s_or_b32 s7, s2, s6
	scratch_store_b32 off, v9, off offset:4 ; 4-byte Folded Spill
	v_cndmask_b32_e64 v9, 0, 0x7f7fffff, s7
	s_or_b32 s7, s26, s7
	s_delay_alu instid0(SALU_CYCLE_1) | instskip(NEXT) | instid1(SALU_CYCLE_1)
	s_xor_b32 s7, s7, -1
	s_and_saveexec_b32 s28, s7
	s_cbranch_execz .LBB8_23
; %bb.22:
	v_lshlrev_b64 v[9:10], 2, v[16:17]
	s_delay_alu instid0(VALU_DEP_1) | instskip(NEXT) | instid1(VALU_DEP_1)
	v_add_co_u32 v9, s7, v7, v9
	v_add_co_ci_u32_e64 v10, s7, v8, v10, s7
	flat_load_b32 v9, v[9:10] offset:256
	s_waitcnt vmcnt(0) lgkmcnt(0)
	v_mul_f32_e32 v9, s19, v9
.LBB8_23:
	s_or_b32 exec_lo, exec_lo, s28
	s_or_b32 s7, s3, s6
	scratch_store_b32 off, v9, off offset:8 ; 4-byte Folded Spill
	v_cndmask_b32_e64 v9, 0, 0x7f7fffff, s7
	s_or_b32 s7, s26, s7
	s_delay_alu instid0(SALU_CYCLE_1) | instskip(NEXT) | instid1(SALU_CYCLE_1)
	s_xor_b32 s7, s7, -1
	s_and_saveexec_b32 s28, s7
	s_cbranch_execz .LBB8_25
; %bb.24:
	v_lshlrev_b64 v[9:10], 2, v[16:17]
	s_delay_alu instid0(VALU_DEP_1) | instskip(NEXT) | instid1(VALU_DEP_1)
	v_add_co_u32 v9, s7, v7, v9
	v_add_co_ci_u32_e64 v10, s7, v8, v10, s7
	flat_load_b32 v9, v[9:10] offset:512
	s_waitcnt vmcnt(0) lgkmcnt(0)
	v_mul_f32_e32 v9, s19, v9
.LBB8_25:
	;; [unrolled: 18-line block ×3, first 2 shown]
	s_or_b32 exec_lo, exec_lo, s7
	v_or_b32_e32 v7, 4, v72
	scratch_store_b32 off, v9, off offset:16 ; 4-byte Folded Spill
	v_cmp_le_i32_e64 s6, s18, v7
	s_delay_alu instid0(VALU_DEP_1) | instskip(NEXT) | instid1(SALU_CYCLE_1)
	s_or_b32 s6, s6, s5
	v_cndmask_b32_e64 v149, 0, 0x7f7fffff, s6
	s_or_b32 s6, s26, s6
	s_delay_alu instid0(SALU_CYCLE_1) | instskip(NEXT) | instid1(SALU_CYCLE_1)
	s_xor_b32 s6, s6, -1
	s_and_saveexec_b32 s7, s6
	s_cbranch_execz .LBB8_29
; %bb.28:
	scratch_load_b32 v10, off, off          ; 4-byte Folded Reload
	s_waitcnt vmcnt(0) lgkmcnt(0)
	v_mad_i64_i32 v[8:9], null, v10, s27, 0
	v_min_u32_e32 v10, s25, v7
	s_delay_alu instid0(VALU_DEP_2) | instskip(NEXT) | instid1(VALU_DEP_2)
	v_lshlrev_b64 v[7:8], 2, v[8:9]
	v_lshlrev_b32_e32 v9, 2, v10
	s_delay_alu instid0(VALU_DEP_2) | instskip(NEXT) | instid1(VALU_DEP_1)
	v_add_co_u32 v7, s6, s20, v7
	v_add_co_ci_u32_e64 v8, s6, s21, v8, s6
	s_delay_alu instid0(VALU_DEP_2) | instskip(NEXT) | instid1(VALU_DEP_1)
	v_add_co_u32 v7, s6, v7, v9
	v_add_co_ci_u32_e64 v8, s6, 0, v8, s6
	flat_load_b32 v7, v[7:8]
	s_waitcnt vmcnt(0) lgkmcnt(0)
	v_mul_f32_e32 v149, s19, v7
.LBB8_29:
	s_or_b32 exec_lo, exec_lo, s7
	v_lshlrev_b32_e32 v7, 2, v70
	v_lshlrev_b32_e32 v8, 2, v72
	;; [unrolled: 1-line block ×4, first 2 shown]
	s_cmp_lt_i32 s18, 9
	v_lshl_add_u32 v74, v0, 4, v7
	v_lshl_or_b32 v0, v5, 4, v8
	scratch_store_b32 off, v0, off offset:20 ; 4-byte Folded Spill
	ds_store_2addr_stride64_b32 v74, v1, v2 offset1:4
	ds_store_2addr_stride64_b32 v74, v3, v4 offset0:8 offset1:12
	ds_store_b32 v0, v6 offset:8192
	s_waitcnt lgkmcnt(0)
	s_waitcnt_vscnt null, 0x0
	s_barrier
	buffer_gl0_inv
	ds_load_b128 v[26:29], v71 offset:8192
	ds_load_b128 v[0:3], v73
	ds_load_b128 v[12:15], v73 offset:512
	ds_load_b128 v[8:11], v73 offset:1024
	;; [unrolled: 1-line block ×4, first 2 shown]
	s_waitcnt lgkmcnt(4)
	v_dual_add_f32 v20, v1, v27 :: v_dual_add_f32 v145, v0, v26
	s_waitcnt lgkmcnt(3)
	v_add_f32_e32 v144, v12, v26
	s_waitcnt lgkmcnt(0)
	v_dual_add_f32 v146, v3, v29 :: v_dual_add_f32 v91, v13, v31
	scratch_store_b32 off, v20, off offset:32 ; 4-byte Folded Spill
	v_dual_add_f32 v20, v13, v27 :: v_dual_add_f32 v143, v8, v26
	v_dual_add_f32 v138, v15, v29 :: v_dual_add_f32 v93, v9, v31
	v_add_f32_e32 v81, v2, v28
	scratch_store_b32 off, v20, off offset:36 ; 4-byte Folded Spill
	v_add_f32_e32 v20, v9, v27
	v_dual_add_f32 v132, v14, v28 :: v_dual_add_f32 v95, v5, v31
	v_add_f32_e32 v139, v11, v29
	v_add_f32_e32 v140, v7, v29
	scratch_store_b32 off, v20, off offset:40 ; 4-byte Folded Spill
	v_add_f32_e32 v20, v5, v27
	v_dual_add_f32 v90, v0, v30 :: v_dual_add_f32 v85, v3, v33
	v_dual_add_f32 v92, v12, v30 :: v_dual_add_f32 v107, v15, v33
	scratch_store_b32 off, v20, off offset:44 ; 4-byte Folded Spill
	v_add_f32_e32 v20, v4, v26
	v_dual_add_f32 v94, v8, v30 :: v_dual_add_f32 v109, v11, v33
	v_dual_add_f32 v96, v4, v30 :: v_dual_add_f32 v111, v7, v33
	scratch_store_b32 off, v20, off offset:48 ; 4-byte Folded Spill
	ds_load_b128 v[34:37], v73 offset:2048
	ds_load_b128 v[38:41], v73 offset:2560
	v_add_f32_e32 v134, v10, v28
	v_add_f32_e32 v106, v2, v32
	;; [unrolled: 1-line block ×5, first 2 shown]
	s_waitcnt lgkmcnt(1)
	v_dual_add_f32 v20, v35, v27 :: v_dual_add_f32 v131, v36, v28
	s_waitcnt lgkmcnt(0)
	v_add_f32_e32 v135, v41, v29
	v_add_f32_e32 v133, v40, v28
	;; [unrolled: 1-line block ×3, first 2 shown]
	scratch_store_b32 off, v20, off offset:52 ; 4-byte Folded Spill
	v_add_f32_e32 v20, v39, v27
	v_dual_add_f32 v142, v34, v26 :: v_dual_add_f32 v141, v37, v29
	v_add_f32_e32 v97, v35, v31
	v_add_f32_e32 v99, v39, v31
	scratch_store_b32 off, v20, off offset:56 ; 4-byte Folded Spill
	v_add_f32_e32 v20, v38, v26
	v_add_f32_e32 v84, v37, v33
	;; [unrolled: 1-line block ×4, first 2 shown]
	scratch_store_b32 off, v20, off offset:60 ; 4-byte Folded Spill
	ds_load_b128 v[42:45], v73 offset:3072
	ds_load_b128 v[46:49], v73 offset:3584
	v_add_f32_e32 v98, v34, v30
	v_add_f32_e32 v100, v38, v30
	;; [unrolled: 1-line block ×4, first 2 shown]
	s_waitcnt lgkmcnt(0)
	v_dual_add_f32 v20, v43, v27 :: v_dual_add_f32 v137, v49, v29
	v_add_f32_e32 v136, v45, v29
	v_dual_add_f32 v86, v44, v28 :: v_dual_add_f32 v101, v43, v31
	scratch_store_b32 off, v20, off offset:64 ; 4-byte Folded Spill
	v_add_f32_e32 v20, v42, v26
	v_dual_add_f32 v88, v48, v28 :: v_dual_add_f32 v103, v47, v31
	v_add_f32_e32 v102, v42, v30
	v_add_f32_e32 v104, v46, v30
	scratch_store_b32 off, v20, off offset:72 ; 4-byte Folded Spill
	v_dual_add_f32 v20, v47, v27 :: v_dual_add_f32 v117, v45, v33
	v_dual_add_f32 v118, v44, v32 :: v_dual_add_f32 v119, v49, v33
	v_add_f32_e32 v120, v48, v32
	scratch_store_b32 off, v20, off offset:68 ; 4-byte Folded Spill
	v_add_f32_e32 v20, v46, v26
	scratch_store_b32 off, v20, off offset:76 ; 4-byte Folded Spill
	ds_load_b128 v[26:29], v71 offset:8448
	ds_load_b128 v[30:33], v71 offset:8576
	s_clause 0x1
	scratch_store_b32 off, v18, off offset:24
	scratch_store_b32 off, v19, off offset:28
	s_waitcnt lgkmcnt(1)
	v_dual_add_f32 v121, v1, v27 :: v_dual_add_f32 v122, v0, v26
	v_add_f32_e32 v161, v37, v29
	v_dual_add_f32 v123, v13, v27 :: v_dual_add_f32 v124, v12, v26
	v_add_f32_e32 v163, v41, v29
	;; [unrolled: 2-line block ×3, first 2 shown]
	v_dual_add_f32 v127, v5, v27 :: v_dual_add_f32 v128, v4, v26
	v_dual_add_f32 v167, v49, v29 :: v_dual_add_f32 v82, v35, v27
	s_waitcnt lgkmcnt(0)
	v_dual_add_f32 v193, v37, v33 :: v_dual_add_f32 v148, v34, v26
	v_add_f32_e32 v169, v1, v31
	v_dual_add_f32 v83, v39, v27 :: v_dual_add_f32 v150, v38, v26
	v_add_f32_e32 v171, v13, v31
	;; [unrolled: 2-line block ×7, first 2 shown]
	v_dual_add_f32 v159, v7, v29 :: v_dual_add_f32 v160, v6, v28
	v_dual_add_f32 v185, v3, v33 :: v_dual_add_f32 v162, v36, v28
	;; [unrolled: 1-line block ×9, first 2 shown]
	v_add_f32_e32 v178, v34, v30
	v_add_f32_e32 v180, v38, v30
	;; [unrolled: 1-line block ×12, first 2 shown]
	ds_load_b128 v[26:29], v71 offset:8704
	ds_load_b128 v[30:33], v71 offset:8832
	s_waitcnt lgkmcnt(1)
	v_add_f32_e32 v227, v41, v29
	v_dual_add_f32 v201, v1, v27 :: v_dual_add_f32 v202, v0, v26
	v_add_f32_e32 v229, v45, v29
	v_dual_add_f32 v203, v13, v27 :: v_dual_add_f32 v204, v12, v26
	;; [unrolled: 2-line block ×3, first 2 shown]
	s_waitcnt lgkmcnt(0)
	v_add_f32_e32 v233, v1, v31
	v_dual_add_f32 v207, v5, v27 :: v_dual_add_f32 v208, v4, v26
	v_add_f32_e32 v235, v13, v31
	v_dual_add_f32 v209, v35, v27 :: v_dual_add_f32 v210, v34, v26
	;; [unrolled: 2-line block ×10, first 2 shown]
	v_dual_add_f32 v253, v11, v33 :: v_dual_add_f32 v228, v40, v28
	v_dual_add_f32 v255, v7, v33 :: v_dual_add_f32 v230, v44, v28
	v_add_f32_e32 v232, v48, v28
	v_dual_add_f32 v234, v0, v30 :: v_dual_add_f32 v69, v6, v32
	v_add_f32_e32 v236, v12, v30
	v_add_f32_e32 v238, v8, v30
	;; [unrolled: 1-line block ×3, first 2 shown]
	v_dual_add_f32 v242, v34, v30 :: v_dual_add_f32 v51, v48, v32
	v_add_f32_e32 v244, v38, v30
	v_add_f32_e32 v246, v42, v30
	;; [unrolled: 1-line block ×13, first 2 shown]
	ds_load_b128 v[26:29], v71 offset:8960
	ds_load_b128 v[30:33], v71 offset:9088
	s_waitcnt lgkmcnt(1)
	v_add_f32_e32 v105, v6, v28
	v_add_f32_e32 v55, v0, v26
	;; [unrolled: 1-line block ×9, first 2 shown]
	s_waitcnt lgkmcnt(0)
	v_add_f32_e32 v0, v0, v30
	v_add_f32_e32 v12, v12, v30
	;; [unrolled: 1-line block ×8, first 2 shown]
	scratch_load_b32 v46, off, off offset:32 ; 4-byte Folded Reload
	v_add_f32_e32 v53, v1, v27
	v_add_f32_e32 v57, v13, v27
	v_dual_add_f32 v60, v9, v27 :: v_dual_add_f32 v147, v44, v28
	v_add_f32_e32 v25, v5, v27
	v_add_f32_e32 v62, v35, v27
	;; [unrolled: 1-line block ×5, first 2 shown]
	v_dual_add_f32 v77, v2, v28 :: v_dual_add_f32 v76, v11, v29
	v_dual_add_f32 v13, v13, v31 :: v_dual_add_f32 v80, v7, v29
	;; [unrolled: 1-line block ×3, first 2 shown]
	v_add_f32_e32 v5, v5, v31
	v_dual_add_f32 v1, v1, v31 :: v_dual_add_f32 v2, v2, v32
	v_add_f32_e32 v39, v39, v31
	v_add_f32_e32 v35, v35, v31
	;; [unrolled: 1-line block ×6, first 2 shown]
	v_min3_f32 v0, v0, v1, 0x7f7fffff
	v_add_f32_e32 v79, v15, v29
	v_add_f32_e32 v67, v14, v28
	v_dual_add_f32 v78, v10, v28 :: v_dual_add_f32 v15, v15, v33
	v_add_f32_e32 v14, v14, v32
	v_dual_add_f32 v20, v36, v28 :: v_dual_add_f32 v11, v11, v33
	v_dual_add_f32 v23, v45, v29 :: v_dual_add_f32 v10, v10, v32
	v_add_f32_e32 v45, v45, v33
	v_add_f32_e32 v113, v37, v29
	v_dual_add_f32 v21, v41, v29 :: v_dual_add_f32 v28, v48, v28
	v_dual_add_f32 v7, v7, v33 :: v_dual_add_f32 v6, v6, v32
	v_add_f32_e32 v37, v37, v33
	v_add_f32_e32 v41, v41, v33
	v_dual_add_f32 v33, v49, v33 :: v_dual_add_f32 v36, v36, v32
	v_add_f32_e32 v40, v40, v32
	v_add_f32_e32 v44, v44, v32
	v_dual_add_f32 v32, v48, v32 :: v_dual_add_f32 v29, v49, v29
	s_waitcnt vmcnt(0)
	v_min3_f32 v46, v145, v46, 0x7f7fffff
	s_delay_alu instid0(VALU_DEP_1) | instskip(SKIP_3) | instid1(VALU_DEP_1)
	v_min3_f32 v146, v81, v146, v46
	scratch_load_b32 v46, off, off offset:36 ; 4-byte Folded Reload
	s_waitcnt vmcnt(0)
	v_min3_f32 v46, v144, v46, 0x7f7fffff
	v_min3_f32 v145, v132, v138, v46
	scratch_load_b32 v46, off, off offset:40 ; 4-byte Folded Reload
	s_waitcnt vmcnt(0)
	v_min3_f32 v46, v143, v46, 0x7f7fffff
	s_delay_alu instid0(VALU_DEP_1)
	v_min3_f32 v144, v134, v139, v46
	s_clause 0x1
	scratch_load_b32 v46, off, off offset:44
	scratch_load_b32 v47, off, off offset:48
	s_waitcnt vmcnt(0)
	v_min3_f32 v46, v47, v46, 0x7f7fffff
	s_delay_alu instid0(VALU_DEP_1) | instskip(SKIP_3) | instid1(VALU_DEP_1)
	v_min3_f32 v143, v87, v140, v46
	scratch_load_b32 v46, off, off offset:52 ; 4-byte Folded Reload
	s_waitcnt vmcnt(0)
	v_min3_f32 v46, v142, v46, 0x7f7fffff
	v_min3_f32 v142, v131, v141, v46
	s_clause 0x1
	scratch_load_b32 v46, off, off offset:56
	scratch_load_b32 v47, off, off offset:60
	s_waitcnt vmcnt(0)
	v_min3_f32 v46, v47, v46, 0x7f7fffff
	s_delay_alu instid0(VALU_DEP_1)
	v_min3_f32 v141, v133, v135, v46
	s_clause 0x1
	scratch_load_b32 v46, off, off offset:64
	scratch_load_b32 v47, off, off offset:72
	s_waitcnt vmcnt(0)
	v_min3_f32 v46, v47, v46, 0x7f7fffff
	s_delay_alu instid0(VALU_DEP_1)
	;; [unrolled: 7-line block ×3, first 2 shown]
	v_min3_f32 v140, v88, v137, v46
	v_min3_f32 v46, v90, v89, 0x7f7fffff
	;; [unrolled: 1-line block ×4, first 2 shown]
	scratch_load_b32 v3, off, off offset:20 ; 4-byte Folded Reload
	v_min3_f32 v139, v106, v85, v46
	v_min3_f32 v46, v92, v91, 0x7f7fffff
	v_min3_f32 v88, v14, v15, v0
	v_min3_f32 v0, v8, v9, 0x7f7fffff
	s_delay_alu instid0(VALU_DEP_3) | instskip(SKIP_1) | instid1(VALU_DEP_3)
	v_min3_f32 v138, v108, v107, v46
	v_min3_f32 v46, v94, v93, 0x7f7fffff
	v_min3_f32 v87, v10, v11, v0
	v_min3_f32 v0, v4, v5, 0x7f7fffff
	s_delay_alu instid0(VALU_DEP_3) | instskip(SKIP_1) | instid1(VALU_DEP_3)
	;; [unrolled: 5-line block ×4, first 2 shown]
	v_min3_f32 v135, v114, v84, v46
	v_min3_f32 v46, v100, v99, 0x7f7fffff
	;; [unrolled: 1-line block ×4, first 2 shown]
	s_delay_alu instid0(VALU_DEP_3) | instskip(SKIP_1) | instid1(VALU_DEP_1)
	v_min3_f32 v134, v116, v115, v46
	v_min3_f32 v46, v102, v101, 0x7f7fffff
	v_min3_f32 v133, v118, v117, v46
	v_min3_f32 v46, v104, v103, 0x7f7fffff
	s_delay_alu instid0(VALU_DEP_1) | instskip(SKIP_1) | instid1(VALU_DEP_1)
	v_min3_f32 v132, v120, v119, v46
	v_min3_f32 v46, v122, v121, 0x7f7fffff
	v_min3_f32 v131, v130, v129, v46
	v_min3_f32 v46, v124, v123, 0x7f7fffff
	s_delay_alu instid0(VALU_DEP_1) | instskip(SKIP_1) | instid1(VALU_DEP_1)
	;; [unrolled: 5-line block ×3, first 2 shown]
	v_min3_f32 v128, v160, v159, v46
	v_min3_f32 v46, v148, v82, 0x7f7fffff
	;; [unrolled: 1-line block ×6, first 2 shown]
	s_delay_alu instid0(VALU_DEP_3) | instskip(SKIP_1) | instid1(VALU_DEP_3)
	v_min3_f32 v126, v164, v163, v46
	v_min3_f32 v46, v152, v151, 0x7f7fffff
	v_min3_f32 v82, v32, v33, v0
	s_clause 0x1
	scratch_load_b32 v0, off, off offset:4
	scratch_load_b32 v1, off, off offset:8
	v_min3_f32 v125, v166, v165, v46
	v_min3_f32 v46, v154, v153, 0x7f7fffff
	s_delay_alu instid0(VALU_DEP_1) | instskip(SKIP_1) | instid1(VALU_DEP_1)
	v_min3_f32 v124, v168, v167, v46
	v_min3_f32 v46, v170, v169, 0x7f7fffff
	v_min3_f32 v123, v186, v185, v46
	v_min3_f32 v46, v172, v171, 0x7f7fffff
	s_delay_alu instid0(VALU_DEP_1) | instskip(SKIP_1) | instid1(VALU_DEP_1)
	v_min3_f32 v122, v188, v187, v46
	v_min3_f32 v46, v174, v173, 0x7f7fffff
	;; [unrolled: 5-line block ×16, first 2 shown]
	v_min3_f32 v91, v147, v23, v18
	v_min3_f32 v18, v26, v27, 0x7f7fffff
	s_delay_alu instid0(VALU_DEP_1)
	v_min3_f32 v90, v28, v29, v18
	s_waitcnt vmcnt(0)
	ds_store_2addr_stride64_b32 v74, v0, v1 offset0:16 offset1:20
	s_clause 0x1
	scratch_load_b32 v0, off, off offset:12
	scratch_load_b32 v1, off, off offset:16
	s_waitcnt vmcnt(0)
	ds_store_2addr_stride64_b32 v74, v0, v1 offset0:24 offset1:28
	ds_store_b32 v3, v149 offset:9216
	s_waitcnt lgkmcnt(0)
	s_waitcnt_vscnt null, 0x0
	s_barrier
	buffer_gl0_inv
	s_cbranch_scc1 .LBB8_52
; %bb.30:
	s_clause 0x2
	scratch_load_b32 v2, off, off
	scratch_load_b32 v197, off, off offset:24
	scratch_load_b32 v198, off, off offset:28
	v_lshlrev_b64 v[64:65], 2, v[16:17]
	v_add_nc_u32_e32 v75, 0x2000, v3
	v_add_nc_u32_e32 v76, 0x2000, v71
	;; [unrolled: 1-line block ×4, first 2 shown]
	s_waitcnt vmcnt(2)
	v_mad_i64_i32 v[0:1], null, s27, v2, 0
	v_lshlrev_b32_e32 v2, 2, v72
	s_waitcnt vmcnt(1)
	v_lshl_add_u32 v79, v197, 4, 0x1000
	s_waitcnt vmcnt(0)
	v_lshl_add_u32 v80, v198, 4, 0x2400
	s_delay_alu instid0(VALU_DEP_4) | instskip(NEXT) | instid1(VALU_DEP_1)
	v_lshlrev_b64 v[0:1], 2, v[0:1]
	v_add_co_u32 v0, s6, v0, v2
	s_delay_alu instid0(VALU_DEP_1) | instskip(NEXT) | instid1(VALU_DEP_2)
	v_add_co_ci_u32_e64 v1, s6, 0, v1, s6
	v_add_co_u32 v0, s6, v0, s20
	s_delay_alu instid0(VALU_DEP_1) | instskip(SKIP_1) | instid1(VALU_DEP_2)
	v_add_co_ci_u32_e64 v1, s6, s21, v1, s6
	s_add_i32 s20, s18, -8
	v_add_co_u32 v66, s6, v0, 48
	s_delay_alu instid0(VALU_DEP_1)
	v_add_co_ci_u32_e64 v67, s6, 0, v1, s6
	s_mov_b32 s21, 0
	s_branch .LBB8_32
.LBB8_31:                               ;   in Loop: Header=BB8_32 Depth=1
	s_or_b32 exec_lo, exec_lo, s6
	ds_load_b128 v[93:96], v76
	ds_load_b128 v[149:152], v73
	ds_load_b128 v[153:156], v73 offset:512
	ds_load_b128 v[157:160], v73 offset:1024
	;; [unrolled: 1-line block ×14, first 2 shown]
	v_add_co_u32 v66, s6, v66, 32
	s_delay_alu instid0(VALU_DEP_1)
	v_add_co_ci_u32_e64 v67, s6, 0, v67, s6
	s_add_i32 s21, s21, 8
	ds_store_2addr_stride64_b32 v77, v105, v113 offset1:4
	ds_store_2addr_stride64_b32 v77, v147, v148 offset0:8 offset1:12
	ds_store_b32 v78, v0
	s_waitcnt lgkmcnt(17)
	v_dual_add_f32 v19, v150, v94 :: v_dual_add_f32 v22, v149, v93
	s_waitcnt lgkmcnt(16)
	v_dual_add_f32 v23, v154, v94 :: v_dual_add_f32 v26, v153, v93
	;; [unrolled: 2-line block ×3, first 2 shown]
	s_waitcnt lgkmcnt(14)
	v_add_f32_e32 v31, v162, v94
	v_min3_f32 v19, v22, v19, v44
	v_min3_f32 v22, v26, v23, v45
	v_add_f32_e32 v26, v161, v93
	v_min3_f32 v23, v30, v27, v48
	s_waitcnt lgkmcnt(13)
	v_dual_add_f32 v27, v166, v94 :: v_dual_add_f32 v30, v165, v93
	s_waitcnt lgkmcnt(12)
	v_dual_add_f32 v34, v170, v94 :: v_dual_add_f32 v35, v169, v93
	;; [unrolled: 2-line block ×4, first 2 shown]
	v_min3_f32 v1, v26, v31, v1
	v_min3_f32 v4, v30, v27, v4
	;; [unrolled: 1-line block ×5, first 2 shown]
	s_waitcnt lgkmcnt(9)
	v_dual_add_f32 v31, v150, v98 :: v_dual_add_f32 v34, v149, v97
	v_dual_add_f32 v35, v154, v98 :: v_dual_add_f32 v38, v153, v97
	;; [unrolled: 1-line block ×5, first 2 shown]
	v_min3_f32 v5, v34, v31, v5
	v_min3_f32 v8, v38, v35, v8
	;; [unrolled: 1-line block ×5, first 2 shown]
	v_dual_add_f32 v38, v170, v98 :: v_dual_add_f32 v39, v169, v97
	v_dual_add_f32 v44, v174, v98 :: v_dual_add_f32 v45, v173, v97
	;; [unrolled: 1-line block ×3, first 2 shown]
	s_waitcnt lgkmcnt(8)
	v_dual_add_f32 v52, v150, v102 :: v_dual_add_f32 v53, v149, v101
	v_dual_add_f32 v56, v154, v102 :: v_dual_add_f32 v57, v153, v101
	v_min3_f32 v9, v39, v38, v9
	v_min3_f32 v12, v45, v44, v12
	;; [unrolled: 1-line block ×5, first 2 shown]
	v_dual_add_f32 v45, v158, v102 :: v_dual_add_f32 v48, v157, v101
	v_dual_add_f32 v49, v162, v102 :: v_dual_add_f32 v52, v161, v101
	;; [unrolled: 1-line block ×5, first 2 shown]
	v_min3_f32 v13, v48, v45, v13
	v_min3_f32 v16, v52, v49, v16
	;; [unrolled: 1-line block ×5, first 2 shown]
	v_dual_add_f32 v52, v178, v102 :: v_dual_add_f32 v53, v177, v101
	s_waitcnt lgkmcnt(7)
	v_dual_add_f32 v54, v150, v107 :: v_dual_add_f32 v55, v149, v106
	v_dual_add_f32 v56, v154, v107 :: v_dual_add_f32 v57, v153, v106
	;; [unrolled: 1-line block ×4, first 2 shown]
	v_min3_f32 v17, v53, v52, v17
	v_min3_f32 v20, v55, v54, v20
	;; [unrolled: 1-line block ×5, first 2 shown]
	v_dual_add_f32 v55, v166, v107 :: v_dual_add_f32 v56, v165, v106
	v_dual_add_f32 v57, v170, v107 :: v_dual_add_f32 v58, v169, v106
	v_dual_add_f32 v59, v174, v107 :: v_dual_add_f32 v60, v173, v106
	v_dual_add_f32 v61, v178, v107 :: v_dual_add_f32 v62, v177, v106
	s_waitcnt lgkmcnt(6)
	v_dual_add_f32 v63, v150, v182 :: v_dual_add_f32 v68, v149, v181
	v_min3_f32 v21, v56, v55, v21
	v_min3_f32 v24, v58, v57, v24
	;; [unrolled: 1-line block ×5, first 2 shown]
	v_dual_add_f32 v56, v154, v182 :: v_dual_add_f32 v57, v153, v181
	v_dual_add_f32 v58, v158, v182 :: v_dual_add_f32 v59, v157, v181
	;; [unrolled: 1-line block ×5, first 2 shown]
	v_min3_f32 v25, v57, v56, v25
	v_min3_f32 v28, v59, v58, v28
	;; [unrolled: 1-line block ×5, first 2 shown]
	v_dual_add_f32 v57, v174, v182 :: v_dual_add_f32 v58, v173, v181
	v_dual_add_f32 v59, v178, v182 :: v_dual_add_f32 v60, v177, v181
	s_waitcnt lgkmcnt(5)
	v_dual_add_f32 v61, v150, v186 :: v_dual_add_f32 v62, v149, v185
	v_dual_add_f32 v63, v154, v186 :: v_dual_add_f32 v68, v153, v185
	;; [unrolled: 1-line block ×3, first 2 shown]
	v_add_f32_e32 v81, v157, v185
	v_min3_f32 v29, v58, v57, v29
	v_min3_f32 v32, v60, v59, v32
	v_add_f32_e32 v60, v162, v186
	v_min3_f32 v57, v62, v61, v85
	v_min3_f32 v58, v68, v63, v86
	;; [unrolled: 1-line block ×3, first 2 shown]
	v_dual_add_f32 v61, v161, v185 :: v_dual_add_f32 v62, v166, v186
	v_dual_add_f32 v63, v165, v185 :: v_dual_add_f32 v68, v170, v186
	;; [unrolled: 1-line block ×3, first 2 shown]
	v_add_f32_e32 v83, v178, v186
	v_add_f32_e32 v69, v169, v185
	v_min3_f32 v33, v61, v60, v33
	v_min3_f32 v36, v63, v62, v36
	s_waitcnt lgkmcnt(4)
	v_add_f32_e32 v62, v150, v190
	v_min3_f32 v60, v82, v81, v88
	v_add_f32_e32 v63, v149, v189
	v_dual_add_f32 v81, v158, v190 :: v_dual_add_f32 v82, v157, v189
	v_min3_f32 v61, v84, v83, v89
	v_dual_add_f32 v84, v161, v189 :: v_dual_add_f32 v83, v162, v190
	v_add_f32_e32 v86, v165, v189
	v_min3_f32 v43, v69, v68, v43
	v_dual_add_f32 v68, v154, v190 :: v_dual_add_f32 v69, v153, v189
	v_min3_f32 v37, v63, v62, v37
	v_min3_f32 v62, v82, v81, v90
	v_add_f32_e32 v82, v174, v190
	v_min3_f32 v63, v84, v83, v91
	v_add_f32_e32 v83, v173, v189
	v_add_f32_e32 v85, v166, v190
	s_waitcnt lgkmcnt(3)
	v_add_f32_e32 v87, v149, v193
	v_min3_f32 v40, v69, v68, v40
	v_dual_add_f32 v81, v169, v189 :: v_dual_add_f32 v84, v178, v190
	v_min3_f32 v42, v83, v82, v42
	v_dual_add_f32 v82, v162, v194 :: v_dual_add_f32 v83, v161, v193
	v_dual_add_f32 v88, v154, v194 :: v_dual_add_f32 v89, v153, v193
	v_add_f32_e32 v69, v170, v190
	s_cmp_ge_i32 s21, s20
	s_delay_alu instid0(VALU_DEP_3)
	v_min3_f32 v3, v83, v82, v3
	v_add_f32_e32 v82, v152, v96
	v_min3_f32 v68, v86, v85, v92
	v_dual_add_f32 v85, v177, v189 :: v_dual_add_f32 v86, v150, v194
	v_add_f32_e32 v83, v151, v95
	s_waitcnt lgkmcnt(0)
	s_barrier
	s_delay_alu instid0(VALU_DEP_2)
	v_min3_f32 v10, v85, v84, v10
	v_add_f32_e32 v84, v166, v194
	v_min3_f32 v18, v89, v88, v18
	v_dual_add_f32 v85, v165, v193 :: v_dual_add_f32 v88, v174, v194
	v_add_f32_e32 v89, v173, v193
	v_min3_f32 v11, v87, v86, v11
	v_dual_add_f32 v86, v170, v194 :: v_dual_add_f32 v87, v169, v193
	v_min3_f32 v146, v83, v82, v19
	v_add_f32_e32 v82, v180, v96
	v_min3_f32 v15, v89, v88, v15
	v_add_f32_e32 v88, v164, v96
	;; [unrolled: 2-line block ×4, first 2 shown]
	v_add_f32_e32 v85, v155, v95
	v_add_f32_e32 v69, v158, v194
	;; [unrolled: 1-line block ×5, first 2 shown]
	v_min3_f32 v145, v85, v84, v22
	v_add_f32_e32 v22, v172, v96
	v_min3_f32 v14, v87, v86, v14
	v_dual_add_f32 v86, v160, v96 :: v_dual_add_f32 v87, v159, v95
	v_min3_f32 v140, v83, v82, v30
	v_add_f32_e32 v30, v172, v100
	v_min3_f32 v2, v81, v69, v2
	v_add_f32_e32 v81, v177, v193
	;; [unrolled: 2-line block ×3, first 2 shown]
	v_dual_add_f32 v69, v178, v194 :: v_dual_add_f32 v84, v152, v100
	v_add_f32_e32 v85, v151, v99
	buffer_gl0_inv
	v_min3_f32 v141, v23, v22, v26
	v_dual_add_f32 v22, v164, v100 :: v_dual_add_f32 v23, v163, v99
	v_min3_f32 v139, v85, v84, v5
	v_add_f32_e32 v5, v160, v100
	v_add_f32_e32 v26, v168, v100
	s_delay_alu instid0(VALU_DEP_4) | instskip(SKIP_4) | instid1(VALU_DEP_2)
	v_min3_f32 v136, v23, v22, v34
	v_add_f32_e32 v22, v156, v104
	v_min3_f32 v143, v89, v88, v1
	v_add_f32_e32 v1, v168, v96
	v_add_f32_e32 v23, v155, v103
	v_min3_f32 v142, v19, v1, v4
	v_dual_add_f32 v1, v156, v100 :: v_dual_add_f32 v4, v155, v99
	s_delay_alu instid0(VALU_DEP_3) | instskip(SKIP_2) | instid1(VALU_DEP_4)
	v_min3_f32 v130, v23, v22, v44
	v_dual_add_f32 v22, v180, v104 :: v_dual_add_f32 v23, v179, v103
	v_min3_f32 v6, v81, v69, v6
	v_min3_f32 v138, v4, v1, v8
	v_dual_add_f32 v1, v176, v100 :: v_dual_add_f32 v4, v175, v99
	s_delay_alu instid0(VALU_DEP_4) | instskip(SKIP_2) | instid1(VALU_DEP_4)
	v_min3_f32 v124, v23, v22, v17
	v_add_f32_e32 v17, v168, v109
	v_dual_add_f32 v69, v176, v96 :: v_dual_add_f32 v8, v179, v99
	v_min3_f32 v133, v4, v1, v12
	v_dual_add_f32 v1, v164, v104 :: v_dual_add_f32 v4, v163, v103
	v_add_f32_e32 v81, v175, v95
	v_add_f32_e32 v19, v159, v99
	;; [unrolled: 1-line block ×3, first 2 shown]
	s_delay_alu instid0(VALU_DEP_4) | instskip(SKIP_1) | instid1(VALU_DEP_4)
	v_min3_f32 v128, v4, v1, v16
	v_dual_add_f32 v1, v152, v109 :: v_dual_add_f32 v4, v151, v108
	v_min3_f32 v137, v19, v5, v31
	v_add_f32_e32 v19, v151, v103
	v_add_f32_e32 v16, v163, v108
	;; [unrolled: 1-line block ×3, first 2 shown]
	v_min3_f32 v123, v4, v1, v20
	v_dual_add_f32 v1, v172, v109 :: v_dual_add_f32 v4, v171, v108
	s_delay_alu instid0(VALU_DEP_1) | instskip(SKIP_1) | instid1(VALU_DEP_1)
	v_min3_f32 v118, v4, v1, v24
	v_dual_add_f32 v1, v160, v184 :: v_dual_add_f32 v4, v159, v183
	v_min3_f32 v112, v4, v1, v28
	v_dual_add_f32 v4, v179, v183 :: v_dual_add_f32 v1, v180, v184
	s_delay_alu instid0(VALU_DEP_1) | instskip(SKIP_1) | instid1(VALU_DEP_1)
	v_min3_f32 v107, v4, v1, v32
	v_dual_add_f32 v4, v167, v187 :: v_dual_add_f32 v1, v168, v188
	;; [unrolled: 5-line block ×3, first 2 shown]
	v_min3_f32 v91, v4, v1, v42
	v_add_f32_e32 v4, v168, v196
	v_min3_f32 v81, v81, v69, v27
	v_add_f32_e32 v27, v167, v99
	v_add_f32_e32 v69, v171, v99
	;; [unrolled: 1-line block ×3, first 2 shown]
	s_delay_alu instid0(VALU_DEP_3) | instskip(NEXT) | instid1(VALU_DEP_3)
	v_min3_f32 v135, v27, v26, v35
	v_min3_f32 v134, v69, v30, v9
	v_add_f32_e32 v9, v152, v104
	v_dual_add_f32 v26, v160, v104 :: v_dual_add_f32 v27, v159, v103
	s_delay_alu instid0(VALU_DEP_2) | instskip(SKIP_1) | instid1(VALU_DEP_3)
	v_min3_f32 v131, v19, v9, v39
	v_add_f32_e32 v19, v175, v103
	v_min3_f32 v129, v27, v26, v13
	v_add_f32_e32 v13, v176, v104
	v_add_f32_e32 v9, v172, v104
	s_delay_alu instid0(VALU_DEP_2) | instskip(SKIP_2) | instid1(VALU_DEP_2)
	v_min3_f32 v125, v19, v13, v49
	v_add_f32_e32 v13, v164, v109
	v_add_f32_e32 v19, v167, v108
	v_min3_f32 v120, v16, v13, v54
	v_dual_add_f32 v13, v152, v184 :: v_dual_add_f32 v16, v151, v183
	v_min3_f32 v132, v8, v5, v38
	v_dual_add_f32 v5, v168, v104 :: v_dual_add_f32 v8, v167, v103
	v_min3_f32 v119, v19, v17, v21
	s_delay_alu instid0(VALU_DEP_4)
	v_min3_f32 v115, v16, v13, v55
	v_add_f32_e32 v16, v171, v183
	v_min3_f32 v126, v12, v9, v48
	v_dual_add_f32 v9, v160, v109 :: v_dual_add_f32 v12, v159, v108
	v_add_f32_e32 v13, v172, v184
	v_add_f32_e32 v17, v156, v184
	;; [unrolled: 1-line block ×3, first 2 shown]
	s_delay_alu instid0(VALU_DEP_4) | instskip(SKIP_1) | instid1(VALU_DEP_1)
	v_min3_f32 v121, v12, v9, v53
	v_dual_add_f32 v9, v180, v109 :: v_dual_add_f32 v12, v179, v108
	v_min3_f32 v116, v12, v9, v51
	v_add_f32_e32 v12, v167, v183
	v_min3_f32 v127, v8, v5, v45
	v_dual_add_f32 v5, v156, v109 :: v_dual_add_f32 v8, v155, v108
	v_add_f32_e32 v9, v168, v184
	s_delay_alu instid0(VALU_DEP_2) | instskip(SKIP_3) | instid1(VALU_DEP_1)
	v_min3_f32 v122, v8, v5, v52
	v_dual_add_f32 v5, v176, v109 :: v_dual_add_f32 v8, v175, v108
	v_min3_f32 v109, v16, v13, v56
	v_dual_add_f32 v13, v160, v188 :: v_dual_add_f32 v16, v159, v187
	v_min3_f32 v103, v16, v13, v59
	v_add_f32_e32 v16, v179, v187
	v_min3_f32 v110, v12, v9, v47
	v_dual_add_f32 v9, v156, v188 :: v_dual_add_f32 v12, v155, v187
	v_min3_f32 v117, v8, v5, v50
	v_dual_add_f32 v5, v164, v184 :: v_dual_add_f32 v8, v163, v183
	v_add_f32_e32 v13, v180, v188
	s_delay_alu instid0(VALU_DEP_4) | instskip(SKIP_1) | instid1(VALU_DEP_4)
	v_min3_f32 v104, v12, v9, v58
	v_dual_add_f32 v12, v175, v187 :: v_dual_add_f32 v9, v176, v188
	v_min3_f32 v111, v8, v5, v46
	v_dual_add_f32 v5, v152, v188 :: v_dual_add_f32 v8, v151, v187
	v_min3_f32 v98, v16, v13, v61
	v_add_f32_e32 v16, v167, v191
	v_min3_f32 v99, v12, v9, v60
	v_add_f32_e32 v12, v163, v191
	;; [unrolled: 2-line block ×4, first 2 shown]
	v_add_f32_e32 v19, v175, v183
	v_add_f32_e32 v13, v168, v192
	;; [unrolled: 1-line block ×4, first 2 shown]
	s_delay_alu instid0(VALU_DEP_4)
	v_min3_f32 v108, v19, v17, v29
	v_add_f32_e32 v17, v164, v188
	v_add_f32_e32 v19, v163, v187
	v_min3_f32 v93, v16, v13, v68
	v_add_f32_e32 v16, v155, v195
	v_min3_f32 v94, v12, v9, v63
	;; [unrolled: 2-line block ×3, first 2 shown]
	v_add_f32_e32 v17, v152, v192
	v_add_f32_e32 v19, v151, v191
	v_dual_add_f32 v12, v151, v195 :: v_dual_add_f32 v13, v156, v196
	s_delay_alu instid0(VALU_DEP_2) | instskip(SKIP_2) | instid1(VALU_DEP_4)
	v_min3_f32 v97, v19, v17, v37
	v_add_f32_e32 v17, v172, v192
	v_add_f32_e32 v19, v171, v191
	v_min3_f32 v89, v12, v9, v11
	v_min3_f32 v88, v16, v13, v18
	v_add_f32_e32 v9, v171, v195
	v_add_f32_e32 v11, v175, v195
	v_min3_f32 v92, v19, v17, v41
	v_add_f32_e32 v17, v160, v196
	v_dual_add_f32 v19, v159, v195 :: v_dual_add_f32 v12, v180, v196
	v_add_f32_e32 v13, v179, v195
	s_delay_alu instid0(VALU_DEP_2) | instskip(SKIP_4) | instid1(VALU_DEP_4)
	v_min3_f32 v87, v19, v17, v2
	v_add_f32_e32 v2, v163, v195
	v_min3_f32 v100, v8, v5, v43
	v_dual_add_f32 v5, v160, v192 :: v_dual_add_f32 v8, v159, v191
	v_min3_f32 v82, v13, v12, v6
	v_min3_f32 v86, v2, v1, v3
	s_delay_alu instid0(VALU_DEP_3) | instskip(SKIP_1) | instid1(VALU_DEP_1)
	v_min3_f32 v95, v8, v5, v62
	v_dual_add_f32 v5, v180, v192 :: v_dual_add_f32 v8, v179, v191
	v_min3_f32 v90, v8, v5, v10
	v_dual_add_f32 v5, v167, v195 :: v_dual_add_f32 v8, v172, v196
	v_add_f32_e32 v10, v176, v196
	s_delay_alu instid0(VALU_DEP_2) | instskip(NEXT) | instid1(VALU_DEP_3)
	v_min3_f32 v85, v5, v4, v7
	v_min3_f32 v84, v9, v8, v14
	s_delay_alu instid0(VALU_DEP_3)
	v_min3_f32 v83, v11, v10, v15
	s_cbranch_scc1 .LBB8_53
.LBB8_32:                               ; =>This Inner Loop Header: Depth=1
	v_add_nc_u32_e32 v4, s21, v70
	s_delay_alu instid0(VALU_DEP_1) | instskip(NEXT) | instid1(VALU_DEP_1)
	v_add_nc_u32_e32 v2, 8, v4
	v_min_i32_e32 v3, s25, v2
	v_cmp_le_i32_e64 s6, s18, v2
	s_delay_alu instid0(VALU_DEP_2) | instskip(NEXT) | instid1(VALU_DEP_1)
	v_mad_i64_i32 v[0:1], null, v3, s24, 0
	v_lshlrev_b64 v[0:1], 2, v[0:1]
	s_delay_alu instid0(VALU_DEP_1) | instskip(NEXT) | instid1(VALU_DEP_1)
	v_add_co_u32 v0, s7, s8, v0
	v_add_co_ci_u32_e64 v1, s7, s9, v1, s7
	s_or_b32 s7, vcc_lo, s6
	s_delay_alu instid0(SALU_CYCLE_1) | instskip(SKIP_1) | instid1(SALU_CYCLE_1)
	v_cndmask_b32_e64 v105, 0, 0x7f7fffff, s7
	s_or_b32 s7, s26, s7
	s_xor_b32 s7, s7, -1
	s_delay_alu instid0(SALU_CYCLE_1)
	s_and_saveexec_b32 s27, s7
	s_cbranch_execz .LBB8_34
; %bb.33:                               ;   in Loop: Header=BB8_32 Depth=1
	v_add_co_u32 v2, s7, v0, v64
	s_delay_alu instid0(VALU_DEP_1)
	v_add_co_ci_u32_e64 v3, s7, v1, v65, s7
	flat_load_b32 v2, v[2:3]
	s_waitcnt vmcnt(0) lgkmcnt(0)
	v_mul_f32_e32 v105, s19, v2
.LBB8_34:                               ;   in Loop: Header=BB8_32 Depth=1
	s_or_b32 exec_lo, exec_lo, s27
	s_or_b32 s7, s2, s6
	s_delay_alu instid0(SALU_CYCLE_1) | instskip(SKIP_1) | instid1(SALU_CYCLE_1)
	v_cndmask_b32_e64 v113, 0, 0x7f7fffff, s7
	s_or_b32 s7, s26, s7
	s_xor_b32 s7, s7, -1
	s_delay_alu instid0(SALU_CYCLE_1)
	s_and_saveexec_b32 s27, s7
	s_cbranch_execz .LBB8_36
; %bb.35:                               ;   in Loop: Header=BB8_32 Depth=1
	v_add_co_u32 v2, s7, v0, v64
	s_delay_alu instid0(VALU_DEP_1)
	v_add_co_ci_u32_e64 v3, s7, v1, v65, s7
	flat_load_b32 v2, v[2:3] offset:256
	s_waitcnt vmcnt(0) lgkmcnt(0)
	v_mul_f32_e32 v113, s19, v2
.LBB8_36:                               ;   in Loop: Header=BB8_32 Depth=1
	s_or_b32 exec_lo, exec_lo, s27
	s_or_b32 s7, s3, s6
	s_delay_alu instid0(SALU_CYCLE_1) | instskip(SKIP_1) | instid1(SALU_CYCLE_1)
	v_cndmask_b32_e64 v147, 0, 0x7f7fffff, s7
	s_or_b32 s7, s26, s7
	s_xor_b32 s7, s7, -1
	s_delay_alu instid0(SALU_CYCLE_1)
	s_and_saveexec_b32 s27, s7
	s_cbranch_execz .LBB8_38
; %bb.37:                               ;   in Loop: Header=BB8_32 Depth=1
	v_add_co_u32 v2, s7, v0, v64
	s_delay_alu instid0(VALU_DEP_1)
	v_add_co_ci_u32_e64 v3, s7, v1, v65, s7
	flat_load_b32 v2, v[2:3] offset:512
	s_waitcnt vmcnt(0) lgkmcnt(0)
	v_mul_f32_e32 v147, s19, v2
.LBB8_38:                               ;   in Loop: Header=BB8_32 Depth=1
	;; [unrolled: 17-line block ×3, first 2 shown]
	s_or_b32 exec_lo, exec_lo, s7
	v_add_nc_u32_e32 v149, s21, v72
	s_delay_alu instid0(VALU_DEP_1) | instskip(NEXT) | instid1(VALU_DEP_1)
	v_add_nc_u32_e32 v0, 8, v149
	v_cmp_le_i32_e64 s6, s18, v0
	s_delay_alu instid0(VALU_DEP_1) | instskip(NEXT) | instid1(SALU_CYCLE_1)
	s_or_b32 s6, s6, s5
	v_cndmask_b32_e64 v150, 0, 0x7f7fffff, s6
	s_or_b32 s6, s26, s6
	s_delay_alu instid0(SALU_CYCLE_1) | instskip(NEXT) | instid1(SALU_CYCLE_1)
	s_xor_b32 s6, s6, -1
	s_and_saveexec_b32 s7, s6
	s_cbranch_execz .LBB8_42
; %bb.41:                               ;   in Loop: Header=BB8_32 Depth=1
	v_add_co_u32 v0, s6, -16, v66
	s_delay_alu instid0(VALU_DEP_1)
	v_add_co_ci_u32_e64 v1, s6, -1, v67, s6
	flat_load_b32 v0, v[0:1]
	s_waitcnt vmcnt(0) lgkmcnt(0)
	v_mul_f32_e32 v150, s19, v0
.LBB8_42:                               ;   in Loop: Header=BB8_32 Depth=1
	s_or_b32 exec_lo, exec_lo, s7
	v_add_nc_u32_e32 v68, 12, v4
	ds_load_b128 v[20:23], v79
	ds_load_b128 v[16:19], v79 offset:512
	ds_load_b128 v[8:11], v79 offset:1024
	;; [unrolled: 1-line block ×7, first 2 shown]
	ds_load_b128 v[60:63], v80
	ds_load_b128 v[56:59], v80 offset:128
	ds_load_b128 v[52:55], v80 offset:256
	;; [unrolled: 1-line block ×3, first 2 shown]
	v_min_i32_e32 v28, s25, v68
	v_cmp_le_i32_e64 s6, s18, v68
	s_delay_alu instid0(VALU_DEP_2)
	v_mad_i64_i32 v[151:152], null, v28, s24, 0
	ds_load_b128 v[44:47], v80 offset:512
	ds_load_b128 v[40:43], v80 offset:640
	;; [unrolled: 1-line block ×4, first 2 shown]
	ds_store_2addr_stride64_b32 v74, v105, v113 offset1:4
	ds_store_2addr_stride64_b32 v74, v147, v148 offset0:8 offset1:12
	ds_store_b32 v75, v150
	s_waitcnt lgkmcnt(0)
	s_barrier
	buffer_gl0_inv
	v_lshlrev_b64 v[151:152], 2, v[151:152]
	s_delay_alu instid0(VALU_DEP_1) | instskip(NEXT) | instid1(VALU_DEP_1)
	v_add_co_u32 v150, s7, s8, v151
	v_add_co_ci_u32_e64 v151, s7, s9, v152, s7
	s_or_b32 s7, vcc_lo, s6
	s_delay_alu instid0(SALU_CYCLE_1) | instskip(SKIP_1) | instid1(SALU_CYCLE_1)
	v_cndmask_b32_e64 v105, 0, 0x7f7fffff, s7
	s_or_b32 s7, s26, s7
	s_xor_b32 s7, s7, -1
	s_delay_alu instid0(SALU_CYCLE_1)
	s_and_saveexec_b32 s27, s7
	s_cbranch_execz .LBB8_44
; %bb.43:                               ;   in Loop: Header=BB8_32 Depth=1
	v_add_co_u32 v147, s7, v150, v64
	s_delay_alu instid0(VALU_DEP_1)
	v_add_co_ci_u32_e64 v148, s7, v151, v65, s7
	flat_load_b32 v68, v[147:148]
	s_waitcnt vmcnt(0) lgkmcnt(0)
	v_mul_f32_e32 v105, s19, v68
.LBB8_44:                               ;   in Loop: Header=BB8_32 Depth=1
	s_or_b32 exec_lo, exec_lo, s27
	s_or_b32 s7, s2, s6
	s_delay_alu instid0(SALU_CYCLE_1) | instskip(SKIP_1) | instid1(SALU_CYCLE_1)
	v_cndmask_b32_e64 v113, 0, 0x7f7fffff, s7
	s_or_b32 s7, s26, s7
	s_xor_b32 s7, s7, -1
	s_delay_alu instid0(SALU_CYCLE_1)
	s_and_saveexec_b32 s27, s7
	s_cbranch_execz .LBB8_46
; %bb.45:                               ;   in Loop: Header=BB8_32 Depth=1
	v_add_co_u32 v147, s7, v150, v64
	s_delay_alu instid0(VALU_DEP_1)
	v_add_co_ci_u32_e64 v148, s7, v151, v65, s7
	flat_load_b32 v68, v[147:148] offset:256
	s_waitcnt vmcnt(0) lgkmcnt(0)
	v_mul_f32_e32 v113, s19, v68
.LBB8_46:                               ;   in Loop: Header=BB8_32 Depth=1
	s_or_b32 exec_lo, exec_lo, s27
	s_or_b32 s7, s3, s6
	s_delay_alu instid0(SALU_CYCLE_1) | instskip(SKIP_1) | instid1(SALU_CYCLE_1)
	v_cndmask_b32_e64 v147, 0, 0x7f7fffff, s7
	s_or_b32 s7, s26, s7
	s_xor_b32 s7, s7, -1
	s_delay_alu instid0(SALU_CYCLE_1)
	s_and_saveexec_b32 s27, s7
	s_cbranch_execz .LBB8_48
; %bb.47:                               ;   in Loop: Header=BB8_32 Depth=1
	v_add_co_u32 v147, s7, v150, v64
	s_delay_alu instid0(VALU_DEP_1)
	v_add_co_ci_u32_e64 v148, s7, v151, v65, s7
	flat_load_b32 v68, v[147:148] offset:512
	s_waitcnt vmcnt(0) lgkmcnt(0)
	v_mul_f32_e32 v147, s19, v68
.LBB8_48:                               ;   in Loop: Header=BB8_32 Depth=1
	;; [unrolled: 17-line block ×3, first 2 shown]
	s_or_b32 exec_lo, exec_lo, s7
	v_dual_add_f32 v68, v21, v61 :: v_dual_add_f32 v69, v20, v60
	v_dual_add_f32 v150, v17, v61 :: v_dual_add_f32 v151, v16, v60
	;; [unrolled: 1-line block ×4, first 2 shown]
	s_delay_alu instid0(VALU_DEP_4) | instskip(NEXT) | instid1(VALU_DEP_4)
	v_min3_f32 v68, v69, v68, v146
	v_min3_f32 v69, v151, v150, v145
	s_delay_alu instid0(VALU_DEP_4)
	v_min3_f32 v144, v153, v152, v144
	v_dual_add_f32 v145, v33, v61 :: v_dual_add_f32 v146, v32, v60
	v_min3_f32 v143, v155, v154, v143
	v_dual_add_f32 v150, v25, v61 :: v_dual_add_f32 v151, v24, v60
	v_dual_add_f32 v152, v13, v61 :: v_dual_add_f32 v153, v12, v60
	v_dual_add_f32 v61, v5, v61 :: v_dual_add_f32 v60, v4, v60
	v_dual_add_f32 v154, v21, v57 :: v_dual_add_f32 v155, v20, v56
	v_min3_f32 v142, v146, v145, v142
	v_min3_f32 v141, v151, v150, v141
	s_delay_alu instid0(VALU_DEP_4)
	v_min3_f32 v60, v60, v61, v140
	v_add_f32_e32 v140, v16, v56
	v_min3_f32 v61, v155, v154, v139
	v_add_f32_e32 v139, v17, v57
	v_dual_add_f32 v145, v9, v57 :: v_dual_add_f32 v146, v8, v56
	v_dual_add_f32 v150, v1, v57 :: v_dual_add_f32 v151, v0, v56
	v_min3_f32 v81, v153, v152, v81
	v_dual_add_f32 v152, v33, v57 :: v_dual_add_f32 v153, v32, v56
	v_dual_add_f32 v154, v25, v57 :: v_dual_add_f32 v155, v24, v56
	v_min3_f32 v138, v140, v139, v138
	v_min3_f32 v137, v146, v145, v137
	;; [unrolled: 1-line block ×3, first 2 shown]
	v_dual_add_f32 v139, v13, v57 :: v_dual_add_f32 v140, v12, v56
	v_dual_add_f32 v57, v5, v57 :: v_dual_add_f32 v56, v4, v56
	;; [unrolled: 1-line block ×4, first 2 shown]
	v_min3_f32 v135, v153, v152, v135
	v_dual_add_f32 v152, v9, v53 :: v_dual_add_f32 v153, v8, v52
	v_min3_f32 v133, v140, v139, v133
	v_min3_f32 v132, v56, v57, v132
	;; [unrolled: 1-line block ×4, first 2 shown]
	v_dual_add_f32 v56, v1, v53 :: v_dual_add_f32 v57, v0, v52
	v_dual_add_f32 v139, v33, v53 :: v_dual_add_f32 v140, v32, v52
	;; [unrolled: 1-line block ×5, first 2 shown]
	v_min3_f32 v128, v57, v56, v128
	v_dual_add_f32 v56, v17, v49 :: v_dual_add_f32 v57, v16, v48
	v_min3_f32 v127, v140, v139, v127
	s_delay_alu instid0(VALU_DEP_4)
	v_min3_f32 v124, v52, v53, v124
	v_dual_add_f32 v52, v21, v49 :: v_dual_add_f32 v53, v20, v48
	v_min3_f32 v126, v146, v145, v126
	v_min3_f32 v125, v151, v150, v125
	v_dual_add_f32 v139, v9, v49 :: v_dual_add_f32 v140, v8, v48
	v_dual_add_f32 v145, v1, v49 :: v_dual_add_f32 v146, v0, v48
	v_dual_add_f32 v150, v33, v49 :: v_dual_add_f32 v151, v32, v48
	v_min3_f32 v123, v53, v52, v123
	v_min3_f32 v122, v57, v56, v122
	v_dual_add_f32 v52, v25, v49 :: v_dual_add_f32 v53, v24, v48
	v_dual_add_f32 v56, v13, v49 :: v_dual_add_f32 v57, v12, v48
	;; [unrolled: 5-line block ×3, first 2 shown]
	v_min3_f32 v116, v48, v49, v116
	v_dual_add_f32 v48, v9, v45 :: v_dual_add_f32 v49, v8, v44
	v_min3_f32 v118, v53, v52, v118
	v_min3_f32 v117, v57, v56, v117
	;; [unrolled: 1-line block ×4, first 2 shown]
	v_dual_add_f32 v52, v1, v45 :: v_dual_add_f32 v53, v0, v44
	v_dual_add_f32 v56, v33, v45 :: v_dual_add_f32 v57, v32, v44
	;; [unrolled: 1-line block ×4, first 2 shown]
	v_min3_f32 v112, v49, v48, v112
	v_dual_add_f32 v45, v5, v45 :: v_dual_add_f32 v44, v4, v44
	v_dual_add_f32 v48, v21, v41 :: v_dual_add_f32 v49, v20, v40
	v_min3_f32 v111, v53, v52, v111
	v_min3_f32 v110, v57, v56, v110
	v_dual_add_f32 v52, v17, v41 :: v_dual_add_f32 v53, v16, v40
	v_dual_add_f32 v56, v9, v41 :: v_dual_add_f32 v57, v8, v40
	v_min3_f32 v107, v44, v45, v107
	;; [unrolled: 4-line block ×3, first 2 shown]
	v_dual_add_f32 v139, v1, v41 :: v_dual_add_f32 v140, v0, v40
	v_min3_f32 v104, v53, v52, v104
	v_min3_f32 v103, v57, v56, v103
	v_dual_add_f32 v52, v13, v41 :: v_dual_add_f32 v53, v12, v40
	v_dual_add_f32 v41, v5, v41 :: v_dual_add_f32 v40, v4, v40
	v_dual_add_f32 v56, v21, v37 :: v_dual_add_f32 v57, v20, v36
	v_min3_f32 v101, v45, v44, v101
	v_min3_f32 v100, v49, v48, v100
	v_dual_add_f32 v44, v17, v37 :: v_dual_add_f32 v45, v16, v36
	v_dual_add_f32 v48, v9, v37 :: v_dual_add_f32 v49, v8, v36
	;; [unrolled: 1-line block ×4, first 2 shown]
	v_min3_f32 v108, v146, v145, v108
	v_min3_f32 v99, v53, v52, v99
	;; [unrolled: 1-line block ×4, first 2 shown]
	v_dual_add_f32 v52, v1, v37 :: v_dual_add_f32 v53, v0, v36
	v_dual_add_f32 v56, v33, v37 :: v_dual_add_f32 v57, v32, v36
	;; [unrolled: 1-line block ×3, first 2 shown]
	v_min3_f32 v96, v45, v44, v96
	v_dual_add_f32 v44, v13, v37 :: v_dual_add_f32 v45, v12, v36
	v_dual_add_f32 v37, v5, v37 :: v_dual_add_f32 v36, v4, v36
	;; [unrolled: 1-line block ×3, first 2 shown]
	v_min3_f32 v145, v16, v17, v88
	v_min3_f32 v146, v8, v9, v87
	v_dual_add_f32 v1, v1, v29 :: v_dual_add_f32 v0, v0, v28
	v_dual_add_f32 v8, v33, v29 :: v_dual_add_f32 v9, v32, v28
	;; [unrolled: 1-line block ×5, first 2 shown]
	v_min3_f32 v129, v153, v152, v129
	v_min3_f32 v119, v151, v150, v119
	;; [unrolled: 1-line block ×9, first 2 shown]
	v_dual_add_f32 v1, v23, v63 :: v_dual_add_f32 v4, v22, v62
	v_dual_add_f32 v5, v19, v63 :: v_dual_add_f32 v8, v18, v62
	;; [unrolled: 1-line block ×5, first 2 shown]
	v_min3_f32 v95, v49, v48, v95
	v_min3_f32 v97, v98, v97, v92
	;; [unrolled: 1-line block ×8, first 2 shown]
	v_dual_add_f32 v5, v27, v63 :: v_dual_add_f32 v8, v26, v62
	v_dual_add_f32 v9, v15, v63 :: v_dual_add_f32 v12, v14, v62
	;; [unrolled: 1-line block ×5, first 2 shown]
	v_min3_f32 v134, v155, v154, v134
	v_min3_f32 v94, v53, v52, v94
	v_min3_f32 v49, v8, v5, v141
	v_min3_f32 v52, v12, v9, v81
	v_min3_f32 v53, v16, v13, v60
	v_min3_f32 v5, v20, v17, v61
	v_min3_f32 v8, v24, v21, v138
	v_dual_add_f32 v9, v11, v59 :: v_dual_add_f32 v12, v10, v58
	v_dual_add_f32 v13, v3, v59 :: v_dual_add_f32 v16, v2, v58
	;; [unrolled: 1-line block ×5, first 2 shown]
	v_min3_f32 v93, v57, v56, v93
	v_min3_f32 v56, v12, v9, v137
	;; [unrolled: 1-line block ×6, first 2 shown]
	v_dual_add_f32 v13, v7, v59 :: v_dual_add_f32 v16, v6, v58
	v_dual_add_f32 v17, v23, v55 :: v_dual_add_f32 v20, v22, v54
	;; [unrolled: 1-line block ×5, first 2 shown]
	v_min3_f32 v139, v36, v37, v90
	v_min3_f32 v58, v16, v13, v132
	;; [unrolled: 1-line block ×6, first 2 shown]
	v_dual_add_f32 v17, v35, v55 :: v_dual_add_f32 v20, v34, v54
	v_dual_add_f32 v21, v27, v55 :: v_dual_add_f32 v24, v26, v54
	v_dual_add_f32 v25, v15, v55 :: v_dual_add_f32 v28, v14, v54
	v_dual_add_f32 v29, v7, v55 :: v_dual_add_f32 v32, v6, v54
	v_dual_add_f32 v33, v23, v51 :: v_dual_add_f32 v36, v22, v50
	v_min3_f32 v54, v20, v17, v127
	v_min3_f32 v55, v24, v21, v126
	v_min3_f32 v62, v28, v25, v125
	v_min3_f32 v17, v32, v29, v124
	v_min3_f32 v20, v36, v33, v123
	v_dual_add_f32 v21, v19, v51 :: v_dual_add_f32 v24, v18, v50
	v_dual_add_f32 v25, v11, v51 :: v_dual_add_f32 v28, v10, v50
	v_dual_add_f32 v29, v3, v51 :: v_dual_add_f32 v32, v2, v50
	v_dual_add_f32 v33, v35, v51 :: v_dual_add_f32 v36, v34, v50
	v_dual_add_f32 v37, v27, v51 :: v_dual_add_f32 v68, v26, v50
	v_min3_f32 v63, v24, v21, v122
	v_min3_f32 v81, v28, v25, v121
	v_min3_f32 v82, v32, v29, v120
	v_min3_f32 v21, v36, v33, v119
	v_min3_f32 v24, v68, v37, v118
	;; [unrolled: 10-line block ×3, first 2 shown]
	v_dual_add_f32 v29, v3, v47 :: v_dual_add_f32 v32, v2, v46
	v_dual_add_f32 v33, v35, v47 :: v_dual_add_f32 v36, v34, v46
	;; [unrolled: 1-line block ×3, first 2 shown]
	v_add_f32_e32 v69, v15, v47
	v_dual_add_f32 v85, v14, v46 :: v_dual_add_f32 v86, v7, v47
	v_dual_add_f32 v87, v6, v46 :: v_dual_add_f32 v88, v3, v43
	v_min3_f32 v46, v32, v29, v111
	v_min3_f32 v47, v36, v33, v110
	;; [unrolled: 1-line block ×3, first 2 shown]
	s_delay_alu instid0(VALU_DEP_4)
	v_min3_f32 v32, v87, v86, v107
	v_dual_add_f32 v33, v23, v43 :: v_dual_add_f32 v68, v18, v42
	v_add_f32_e32 v36, v22, v42
	v_min3_f32 v29, v85, v69, v108
	v_add_f32_e32 v37, v19, v43
	v_add_f32_e32 v69, v11, v43
	v_dual_add_f32 v87, v10, v42 :: v_dual_add_f32 v90, v35, v43
	v_add_f32_e32 v89, v2, v42
	v_dual_add_f32 v91, v34, v42 :: v_dual_add_f32 v92, v19, v39
	v_min3_f32 v85, v36, v33, v106
	v_min3_f32 v86, v68, v37, v104
	v_add_f32_e32 v37, v27, v43
	s_delay_alu instid0(VALU_DEP_4)
	v_min3_f32 v36, v91, v90, v101
	v_add_f32_e32 v68, v26, v42
	v_add_f32_e32 v90, v23, v39
	v_min3_f32 v33, v89, v88, v102
	v_add_f32_e32 v88, v14, v42
	v_add_f32_e32 v42, v6, v42
	v_min3_f32 v87, v87, v69, v103
	v_add_f32_e32 v69, v15, v43
	v_add_f32_e32 v89, v7, v43
	v_add_f32_e32 v91, v22, v38
	v_add_f32_e32 v101, v18, v38
	v_min3_f32 v43, v68, v37, v100
	v_add_f32_e32 v68, v3, v39
	v_min3_f32 v89, v42, v89, v40
	v_min3_f32 v37, v91, v90, v41
	;; [unrolled: 1-line block ×3, first 2 shown]
	v_add_f32_e32 v92, v35, v39
	v_dual_add_f32 v41, v11, v39 :: v_dual_add_f32 v100, v26, v38
	v_add_f32_e32 v42, v10, v38
	v_min3_f32 v88, v88, v69, v99
	v_add_f32_e32 v69, v2, v38
	v_dual_add_f32 v99, v27, v39 :: v_dual_add_f32 v102, v14, v38
	v_add_f32_e32 v101, v15, v39
	v_dual_add_f32 v39, v7, v39 :: v_dual_add_f32 v22, v22, v30
	v_dual_add_f32 v23, v23, v31 :: v_dual_add_f32 v18, v18, v30
	v_add_f32_e32 v96, v34, v38
	v_min3_f32 v91, v69, v68, v94
	v_add_f32_e32 v19, v19, v31
	v_add_f32_e32 v68, v11, v31
	v_min3_f32 v11, v22, v23, v140
	v_dual_add_f32 v23, v26, v30 :: v_dual_add_nc_u32 v26, 12, v149
	v_min3_f32 v92, v96, v92, v93
	v_add_f32_e32 v3, v3, v31
	v_dual_add_f32 v93, v2, v30 :: v_dual_add_f32 v22, v27, v31
	s_delay_alu instid0(VALU_DEP_4)
	v_cmp_le_i32_e64 s6, s18, v26
	v_add_f32_e32 v38, v6, v38
	v_add_f32_e32 v69, v10, v30
	v_min3_f32 v18, v18, v19, v145
	v_add_f32_e32 v19, v34, v30
	v_add_f32_e32 v15, v15, v31
	;; [unrolled: 1-line block ×4, first 2 shown]
	v_min3_f32 v3, v93, v3, v0
	v_add_f32_e32 v0, v35, v31
	v_add_f32_e32 v31, v7, v31
	s_or_b32 s6, s6, s5
	v_min3_f32 v90, v42, v41, v95
	v_min3_f32 v41, v100, v99, v97
	;; [unrolled: 1-line block ×9, first 2 shown]
	v_cndmask_b32_e64 v0, 0, 0x7f7fffff, s6
	s_or_b32 s6, s26, s6
	s_delay_alu instid0(SALU_CYCLE_1) | instskip(NEXT) | instid1(SALU_CYCLE_1)
	s_xor_b32 s7, s6, -1
	s_and_saveexec_b32 s6, s7
	s_cbranch_execz .LBB8_31
; %bb.51:                               ;   in Loop: Header=BB8_32 Depth=1
	flat_load_b32 v0, v[66:67]
	s_waitcnt vmcnt(0) lgkmcnt(0)
	v_mul_f32_e32 v0, s19, v0
	s_branch .LBB8_31
.LBB8_52:
	s_clause 0x1
	scratch_load_b32 v197, off, off offset:24
	scratch_load_b32 v198, off, off offset:28
.LBB8_53:
	s_clause 0x2
	s_load_b32 s18, s[0:1], 0x50
	s_load_b32 s9, s[0:1], 0x68
	s_load_b64 s[0:1], s[0:1], 0x70
	s_waitcnt vmcnt(0)
	v_add_nc_u32_e32 v113, s23, v198
	ds_load_b128 v[32:35], v73 offset:4096
	ds_load_b128 v[28:31], v73 offset:4608
	;; [unrolled: 1-line block ×16, first 2 shown]
	v_add_nc_u32_e32 v64, s14, v197
	v_cmp_gt_i32_e64 s8, s17, v113
	v_cndmask_b32_e64 v105, 0, 1, s22
	s_waitcnt lgkmcnt(0)
	v_mad_i64_i32 v[65:66], null, v113, s18, 0
	v_mad_i64_i32 v[69:70], null, v113, s9, 0
	s_lshl_b64 s[0:1], s[0:1], 2
	s_delay_alu instid0(SALU_CYCLE_1) | instskip(SKIP_1) | instid1(VALU_DEP_2)
	s_add_u32 s12, s12, s0
	s_addc_u32 s13, s13, s1
	v_lshlrev_b64 v[65:66], 2, v[65:66]
	v_cmp_gt_i32_e64 s0, s16, v64
	s_delay_alu instid0(VALU_DEP_3) | instskip(NEXT) | instid1(VALU_DEP_2)
	v_lshlrev_b64 v[67:68], 2, v[69:70]
	s_and_b32 s2, s0, s8
	s_delay_alu instid0(VALU_DEP_3) | instskip(NEXT) | instid1(VALU_DEP_4)
	v_add_co_u32 v149, vcc_lo, s10, v65
	v_add_co_ci_u32_e32 v150, vcc_lo, s11, v66, vcc_lo
	s_delay_alu instid0(VALU_DEP_3) | instskip(NEXT) | instid1(VALU_DEP_4)
	v_add_co_u32 v147, vcc_lo, s12, v67
	v_add_co_ci_u32_e32 v148, vcc_lo, s13, v68, vcc_lo
	v_ashrrev_i32_e32 v65, 31, v64
	s_and_saveexec_b32 s1, s2
	s_cbranch_execz .LBB8_58
; %bb.54:
	s_delay_alu instid0(VALU_DEP_1)
	v_lshlrev_b64 v[66:67], 2, v[64:65]
	s_and_not1_b32 vcc_lo, exec_lo, s22
	s_cbranch_vccnz .LBB8_56
; %bb.55:
	s_delay_alu instid0(VALU_DEP_1) | instskip(NEXT) | instid1(VALU_DEP_2)
	v_add_co_u32 v68, vcc_lo, v149, v66
	v_add_co_ci_u32_e32 v69, vcc_lo, v150, v67, vcc_lo
	flat_load_b32 v68, v[68:69]
	s_waitcnt vmcnt(0) lgkmcnt(0)
	v_mul_f32_e32 v68, s15, v68
	s_branch .LBB8_57
.LBB8_56:
	v_mov_b32_e32 v68, 0
.LBB8_57:
	v_dual_add_f32 v69, v33, v61 :: v_dual_add_f32 v70, v32, v60
	v_dual_add_f32 v71, v35, v63 :: v_dual_add_f32 v72, v34, v62
	v_add_co_u32 v66, vcc_lo, v147, v66
	s_delay_alu instid0(VALU_DEP_3) | instskip(SKIP_1) | instid1(VALU_DEP_4)
	v_min3_f32 v69, v70, v69, v146
	v_add_co_ci_u32_e32 v67, vcc_lo, v148, v67, vcc_lo
	v_min_f32_e32 v70, v72, v71
	s_delay_alu instid0(VALU_DEP_1)
	v_min3_f32 v68, v68, v70, v69
	global_store_b32 v[66:67], v68, off
.LBB8_58:
	s_or_b32 exec_lo, exec_lo, s1
	v_add_nc_u32_e32 v66, 32, v64
	s_delay_alu instid0(VALU_DEP_1) | instskip(SKIP_1) | instid1(VALU_DEP_2)
	v_cmp_gt_i32_e64 s1, s16, v66
	v_ashrrev_i32_e32 v67, 31, v66
	s_and_b32 s3, s1, s8
	s_delay_alu instid0(SALU_CYCLE_1)
	s_and_saveexec_b32 s2, s3
	s_cbranch_execz .LBB8_63
; %bb.59:
	v_cmp_ne_u32_e32 vcc_lo, 1, v105
	v_lshlrev_b64 v[68:69], 2, v[66:67]
	s_cbranch_vccnz .LBB8_61
; %bb.60:
	s_delay_alu instid0(VALU_DEP_1) | instskip(NEXT) | instid1(VALU_DEP_2)
	v_add_co_u32 v70, vcc_lo, v149, v68
	v_add_co_ci_u32_e32 v71, vcc_lo, v150, v69, vcc_lo
	flat_load_b32 v70, v[70:71]
	s_waitcnt vmcnt(0) lgkmcnt(0)
	v_mul_f32_e32 v70, s15, v70
	s_branch .LBB8_62
.LBB8_61:
	v_mov_b32_e32 v70, 0
.LBB8_62:
	v_dual_add_f32 v71, v29, v61 :: v_dual_add_f32 v72, v28, v60
	v_dual_add_f32 v73, v31, v63 :: v_dual_add_f32 v74, v30, v62
	s_delay_alu instid0(VALU_DEP_4) | instskip(NEXT) | instid1(VALU_DEP_3)
	v_add_co_u32 v68, vcc_lo, v147, v68
	v_min3_f32 v71, v72, v71, v145
	v_add_co_ci_u32_e32 v69, vcc_lo, v148, v69, vcc_lo
	s_delay_alu instid0(VALU_DEP_4) | instskip(NEXT) | instid1(VALU_DEP_1)
	v_min_f32_e32 v72, v74, v73
	v_min3_f32 v70, v70, v72, v71
	global_store_b32 v[68:69], v70, off
.LBB8_63:
	s_or_b32 exec_lo, exec_lo, s2
	v_add_nc_u32_e32 v68, 64, v64
	s_delay_alu instid0(VALU_DEP_1) | instskip(SKIP_1) | instid1(VALU_DEP_2)
	v_cmp_gt_i32_e64 s2, s16, v68
	v_ashrrev_i32_e32 v69, 31, v68
	s_and_b32 s4, s2, s8
	s_delay_alu instid0(SALU_CYCLE_1)
	s_and_saveexec_b32 s3, s4
	s_cbranch_execz .LBB8_68
; %bb.64:
	v_cmp_ne_u32_e32 vcc_lo, 1, v105
	v_lshlrev_b64 v[70:71], 2, v[68:69]
	s_cbranch_vccnz .LBB8_66
; %bb.65:
	s_delay_alu instid0(VALU_DEP_1) | instskip(NEXT) | instid1(VALU_DEP_2)
	v_add_co_u32 v72, vcc_lo, v149, v70
	v_add_co_ci_u32_e32 v73, vcc_lo, v150, v71, vcc_lo
	flat_load_b32 v72, v[72:73]
	s_waitcnt vmcnt(0) lgkmcnt(0)
	v_mul_f32_e32 v72, s15, v72
	s_branch .LBB8_67
.LBB8_66:
	v_mov_b32_e32 v72, 0
.LBB8_67:
	v_dual_add_f32 v73, v25, v61 :: v_dual_add_f32 v74, v24, v60
	v_dual_add_f32 v75, v27, v63 :: v_dual_add_f32 v76, v26, v62
	s_delay_alu instid0(VALU_DEP_4) | instskip(NEXT) | instid1(VALU_DEP_3)
	v_add_co_u32 v70, vcc_lo, v147, v70
	v_min3_f32 v73, v74, v73, v144
	v_add_co_ci_u32_e32 v71, vcc_lo, v148, v71, vcc_lo
	s_delay_alu instid0(VALU_DEP_4) | instskip(NEXT) | instid1(VALU_DEP_1)
	v_min_f32_e32 v74, v76, v75
	v_min3_f32 v72, v72, v74, v73
	global_store_b32 v[70:71], v72, off
.LBB8_68:
	;; [unrolled: 35-line block ×6, first 2 shown]
	s_or_b32 exec_lo, exec_lo, s7
	v_add_nc_u32_e32 v78, 0xe0, v64
	s_delay_alu instid0(VALU_DEP_1) | instskip(SKIP_1) | instid1(VALU_DEP_2)
	v_cmp_gt_i32_e64 s7, s16, v78
	v_ashrrev_i32_e32 v79, 31, v78
	s_and_b32 s14, s7, s8
	s_delay_alu instid0(SALU_CYCLE_1)
	s_and_saveexec_b32 s8, s14
	s_cbranch_execz .LBB8_93
; %bb.89:
	v_cmp_ne_u32_e32 vcc_lo, 1, v105
	v_lshlrev_b64 v[80:81], 2, v[78:79]
	s_cbranch_vccnz .LBB8_91
; %bb.90:
	s_delay_alu instid0(VALU_DEP_1) | instskip(NEXT) | instid1(VALU_DEP_2)
	v_add_co_u32 v141, vcc_lo, v149, v80
	v_add_co_ci_u32_e32 v142, vcc_lo, v150, v81, vcc_lo
	flat_load_b32 v141, v[141:142]
	s_waitcnt vmcnt(0) lgkmcnt(0)
	v_mul_f32_e32 v141, s15, v141
	s_branch .LBB8_92
.LBB8_91:
	v_mov_b32_e32 v141, 0
.LBB8_92:
	v_dual_add_f32 v61, v1, v61 :: v_dual_add_f32 v60, v0, v60
	v_dual_add_f32 v63, v3, v63 :: v_dual_add_f32 v62, v2, v62
	s_delay_alu instid0(VALU_DEP_2) | instskip(NEXT) | instid1(VALU_DEP_2)
	v_min3_f32 v60, v60, v61, v140
	v_min_f32_e32 v61, v62, v63
	s_delay_alu instid0(VALU_DEP_1)
	v_min3_f32 v62, v141, v61, v60
	v_add_co_u32 v60, vcc_lo, v147, v80
	v_add_co_ci_u32_e32 v61, vcc_lo, v148, v81, vcc_lo
	global_store_b32 v[60:61], v62, off
.LBB8_93:
	s_or_b32 exec_lo, exec_lo, s8
	v_add_nc_u32_e32 v80, 8, v113
	s_delay_alu instid0(VALU_DEP_1) | instskip(SKIP_2) | instid1(VALU_DEP_3)
	v_mad_i64_i32 v[60:61], null, v80, s18, 0
	v_mad_i64_i32 v[62:63], null, v80, s9, 0
	v_cmp_gt_i32_e64 s8, s17, v80
	v_lshlrev_b64 v[60:61], 2, v[60:61]
	s_delay_alu instid0(VALU_DEP_2) | instskip(NEXT) | instid1(VALU_DEP_3)
	s_and_b32 s16, s0, s8
	v_lshlrev_b64 v[62:63], 2, v[62:63]
	s_delay_alu instid0(VALU_DEP_2) | instskip(NEXT) | instid1(VALU_DEP_3)
	v_add_co_u32 v80, vcc_lo, s10, v60
	v_add_co_ci_u32_e32 v81, vcc_lo, s11, v61, vcc_lo
	s_delay_alu instid0(VALU_DEP_3) | instskip(NEXT) | instid1(VALU_DEP_4)
	v_add_co_u32 v62, vcc_lo, s12, v62
	v_add_co_ci_u32_e32 v63, vcc_lo, s13, v63, vcc_lo
	s_and_saveexec_b32 s14, s16
	s_cbranch_execnz .LBB8_101
; %bb.94:
	s_or_b32 exec_lo, exec_lo, s14
	s_and_b32 s16, s1, s8
	s_delay_alu instid0(SALU_CYCLE_1)
	s_and_saveexec_b32 s14, s16
	s_cbranch_execnz .LBB8_105
.LBB8_95:
	s_or_b32 exec_lo, exec_lo, s14
	s_and_b32 s16, s2, s8
	s_delay_alu instid0(SALU_CYCLE_1)
	s_and_saveexec_b32 s14, s16
	s_cbranch_execnz .LBB8_109
.LBB8_96:
	s_or_b32 exec_lo, exec_lo, s14
	s_and_b32 s16, s3, s8
	s_delay_alu instid0(SALU_CYCLE_1)
	s_and_saveexec_b32 s14, s16
	s_cbranch_execnz .LBB8_113
.LBB8_97:
	s_or_b32 exec_lo, exec_lo, s14
	s_and_b32 s16, s4, s8
	s_delay_alu instid0(SALU_CYCLE_1)
	s_and_saveexec_b32 s14, s16
	s_cbranch_execnz .LBB8_117
.LBB8_98:
	s_or_b32 exec_lo, exec_lo, s14
	s_and_b32 s16, s5, s8
	s_delay_alu instid0(SALU_CYCLE_1)
	s_and_saveexec_b32 s14, s16
	s_cbranch_execnz .LBB8_121
.LBB8_99:
	s_or_b32 exec_lo, exec_lo, s14
	s_and_b32 s16, s6, s8
	s_delay_alu instid0(SALU_CYCLE_1)
	s_and_saveexec_b32 s14, s16
	s_cbranch_execnz .LBB8_125
.LBB8_100:
	s_or_b32 exec_lo, exec_lo, s14
	s_and_b32 s14, s7, s8
	s_delay_alu instid0(SALU_CYCLE_1)
	s_and_saveexec_b32 s8, s14
	s_cbranch_execnz .LBB8_129
	s_branch .LBB8_133
.LBB8_101:
	v_cmp_ne_u32_e32 vcc_lo, 1, v105
	v_lshlrev_b64 v[60:61], 2, v[64:65]
	s_cbranch_vccnz .LBB8_103
; %bb.102:
	s_delay_alu instid0(VALU_DEP_1) | instskip(NEXT) | instid1(VALU_DEP_2)
	v_add_co_u32 v140, vcc_lo, v80, v60
	v_add_co_ci_u32_e32 v141, vcc_lo, v81, v61, vcc_lo
	flat_load_b32 v140, v[140:141]
	s_waitcnt vmcnt(0) lgkmcnt(0)
	v_mul_f32_e32 v140, s15, v140
	s_branch .LBB8_104
.LBB8_103:
	v_mov_b32_e32 v140, 0
.LBB8_104:
	v_dual_add_f32 v141, v33, v57 :: v_dual_add_f32 v142, v32, v56
	v_dual_add_f32 v143, v35, v59 :: v_dual_add_f32 v144, v34, v58
	s_delay_alu instid0(VALU_DEP_4) | instskip(NEXT) | instid1(VALU_DEP_3)
	v_add_co_u32 v60, vcc_lo, v62, v60
	v_min3_f32 v139, v142, v141, v139
	v_add_co_ci_u32_e32 v61, vcc_lo, v63, v61, vcc_lo
	s_delay_alu instid0(VALU_DEP_4) | instskip(NEXT) | instid1(VALU_DEP_1)
	v_min_f32_e32 v141, v144, v143
	v_min3_f32 v139, v140, v141, v139
	global_store_b32 v[60:61], v139, off
	s_or_b32 exec_lo, exec_lo, s14
	s_and_b32 s16, s1, s8
	s_delay_alu instid0(SALU_CYCLE_1)
	s_and_saveexec_b32 s14, s16
	s_cbranch_execz .LBB8_95
.LBB8_105:
	v_cmp_ne_u32_e32 vcc_lo, 1, v105
	v_lshlrev_b64 v[60:61], 2, v[66:67]
	s_cbranch_vccnz .LBB8_107
; %bb.106:
	s_delay_alu instid0(VALU_DEP_1) | instskip(NEXT) | instid1(VALU_DEP_2)
	v_add_co_u32 v139, vcc_lo, v80, v60
	v_add_co_ci_u32_e32 v140, vcc_lo, v81, v61, vcc_lo
	flat_load_b32 v139, v[139:140]
	s_waitcnt vmcnt(0) lgkmcnt(0)
	v_mul_f32_e32 v139, s15, v139
	s_branch .LBB8_108
.LBB8_107:
	v_mov_b32_e32 v139, 0
.LBB8_108:
	v_dual_add_f32 v140, v29, v57 :: v_dual_add_f32 v141, v28, v56
	v_dual_add_f32 v142, v31, v59 :: v_dual_add_f32 v143, v30, v58
	s_delay_alu instid0(VALU_DEP_4) | instskip(NEXT) | instid1(VALU_DEP_3)
	v_add_co_u32 v60, vcc_lo, v62, v60
	v_min3_f32 v138, v141, v140, v138
	v_add_co_ci_u32_e32 v61, vcc_lo, v63, v61, vcc_lo
	s_delay_alu instid0(VALU_DEP_4) | instskip(NEXT) | instid1(VALU_DEP_1)
	v_min_f32_e32 v140, v143, v142
	v_min3_f32 v138, v139, v140, v138
	global_store_b32 v[60:61], v138, off
	s_or_b32 exec_lo, exec_lo, s14
	s_and_b32 s16, s2, s8
	s_delay_alu instid0(SALU_CYCLE_1)
	s_and_saveexec_b32 s14, s16
	s_cbranch_execz .LBB8_96
.LBB8_109:
	v_cmp_ne_u32_e32 vcc_lo, 1, v105
	v_lshlrev_b64 v[60:61], 2, v[68:69]
	s_cbranch_vccnz .LBB8_111
; %bb.110:
	s_delay_alu instid0(VALU_DEP_1) | instskip(NEXT) | instid1(VALU_DEP_2)
	v_add_co_u32 v138, vcc_lo, v80, v60
	v_add_co_ci_u32_e32 v139, vcc_lo, v81, v61, vcc_lo
	flat_load_b32 v138, v[138:139]
	s_waitcnt vmcnt(0) lgkmcnt(0)
	v_mul_f32_e32 v138, s15, v138
	s_branch .LBB8_112
.LBB8_111:
	v_mov_b32_e32 v138, 0
.LBB8_112:
	v_dual_add_f32 v139, v25, v57 :: v_dual_add_f32 v140, v24, v56
	v_dual_add_f32 v141, v27, v59 :: v_dual_add_f32 v142, v26, v58
	s_delay_alu instid0(VALU_DEP_4) | instskip(NEXT) | instid1(VALU_DEP_3)
	v_add_co_u32 v60, vcc_lo, v62, v60
	v_min3_f32 v137, v140, v139, v137
	v_add_co_ci_u32_e32 v61, vcc_lo, v63, v61, vcc_lo
	s_delay_alu instid0(VALU_DEP_4) | instskip(NEXT) | instid1(VALU_DEP_1)
	v_min_f32_e32 v139, v142, v141
	v_min3_f32 v137, v138, v139, v137
	global_store_b32 v[60:61], v137, off
	s_or_b32 exec_lo, exec_lo, s14
	s_and_b32 s16, s3, s8
	s_delay_alu instid0(SALU_CYCLE_1)
	s_and_saveexec_b32 s14, s16
	s_cbranch_execz .LBB8_97
.LBB8_113:
	v_cmp_ne_u32_e32 vcc_lo, 1, v105
	v_lshlrev_b64 v[60:61], 2, v[70:71]
	s_cbranch_vccnz .LBB8_115
; %bb.114:
	s_delay_alu instid0(VALU_DEP_1) | instskip(NEXT) | instid1(VALU_DEP_2)
	v_add_co_u32 v137, vcc_lo, v80, v60
	v_add_co_ci_u32_e32 v138, vcc_lo, v81, v61, vcc_lo
	flat_load_b32 v137, v[137:138]
	s_waitcnt vmcnt(0) lgkmcnt(0)
	v_mul_f32_e32 v137, s15, v137
	s_branch .LBB8_116
.LBB8_115:
	v_mov_b32_e32 v137, 0
.LBB8_116:
	v_dual_add_f32 v138, v21, v57 :: v_dual_add_f32 v139, v20, v56
	v_dual_add_f32 v140, v23, v59 :: v_dual_add_f32 v141, v22, v58
	s_delay_alu instid0(VALU_DEP_4) | instskip(NEXT) | instid1(VALU_DEP_3)
	v_add_co_u32 v60, vcc_lo, v62, v60
	v_min3_f32 v136, v139, v138, v136
	v_add_co_ci_u32_e32 v61, vcc_lo, v63, v61, vcc_lo
	s_delay_alu instid0(VALU_DEP_4) | instskip(NEXT) | instid1(VALU_DEP_1)
	v_min_f32_e32 v138, v141, v140
	v_min3_f32 v136, v137, v138, v136
	global_store_b32 v[60:61], v136, off
	s_or_b32 exec_lo, exec_lo, s14
	s_and_b32 s16, s4, s8
	s_delay_alu instid0(SALU_CYCLE_1)
	s_and_saveexec_b32 s14, s16
	s_cbranch_execz .LBB8_98
.LBB8_117:
	v_cmp_ne_u32_e32 vcc_lo, 1, v105
	v_lshlrev_b64 v[60:61], 2, v[72:73]
	s_cbranch_vccnz .LBB8_119
; %bb.118:
	s_delay_alu instid0(VALU_DEP_1) | instskip(NEXT) | instid1(VALU_DEP_2)
	v_add_co_u32 v136, vcc_lo, v80, v60
	v_add_co_ci_u32_e32 v137, vcc_lo, v81, v61, vcc_lo
	flat_load_b32 v136, v[136:137]
	s_waitcnt vmcnt(0) lgkmcnt(0)
	v_mul_f32_e32 v136, s15, v136
	s_branch .LBB8_120
.LBB8_119:
	v_mov_b32_e32 v136, 0
.LBB8_120:
	v_dual_add_f32 v137, v17, v57 :: v_dual_add_f32 v138, v16, v56
	v_dual_add_f32 v139, v19, v59 :: v_dual_add_f32 v140, v18, v58
	s_delay_alu instid0(VALU_DEP_4) | instskip(NEXT) | instid1(VALU_DEP_3)
	v_add_co_u32 v60, vcc_lo, v62, v60
	v_min3_f32 v135, v138, v137, v135
	v_add_co_ci_u32_e32 v61, vcc_lo, v63, v61, vcc_lo
	s_delay_alu instid0(VALU_DEP_4) | instskip(NEXT) | instid1(VALU_DEP_1)
	v_min_f32_e32 v137, v140, v139
	v_min3_f32 v135, v136, v137, v135
	global_store_b32 v[60:61], v135, off
	s_or_b32 exec_lo, exec_lo, s14
	s_and_b32 s16, s5, s8
	s_delay_alu instid0(SALU_CYCLE_1)
	s_and_saveexec_b32 s14, s16
	s_cbranch_execz .LBB8_99
.LBB8_121:
	v_cmp_ne_u32_e32 vcc_lo, 1, v105
	v_lshlrev_b64 v[60:61], 2, v[74:75]
	s_cbranch_vccnz .LBB8_123
; %bb.122:
	s_delay_alu instid0(VALU_DEP_1) | instskip(NEXT) | instid1(VALU_DEP_2)
	v_add_co_u32 v135, vcc_lo, v80, v60
	v_add_co_ci_u32_e32 v136, vcc_lo, v81, v61, vcc_lo
	flat_load_b32 v135, v[135:136]
	s_waitcnt vmcnt(0) lgkmcnt(0)
	v_mul_f32_e32 v135, s15, v135
	s_branch .LBB8_124
.LBB8_123:
	v_mov_b32_e32 v135, 0
.LBB8_124:
	v_dual_add_f32 v136, v13, v57 :: v_dual_add_f32 v137, v12, v56
	v_dual_add_f32 v138, v15, v59 :: v_dual_add_f32 v139, v14, v58
	s_delay_alu instid0(VALU_DEP_4) | instskip(NEXT) | instid1(VALU_DEP_3)
	v_add_co_u32 v60, vcc_lo, v62, v60
	v_min3_f32 v134, v137, v136, v134
	v_add_co_ci_u32_e32 v61, vcc_lo, v63, v61, vcc_lo
	s_delay_alu instid0(VALU_DEP_4) | instskip(NEXT) | instid1(VALU_DEP_1)
	v_min_f32_e32 v136, v139, v138
	v_min3_f32 v134, v135, v136, v134
	global_store_b32 v[60:61], v134, off
	s_or_b32 exec_lo, exec_lo, s14
	s_and_b32 s16, s6, s8
	s_delay_alu instid0(SALU_CYCLE_1)
	s_and_saveexec_b32 s14, s16
	s_cbranch_execz .LBB8_100
.LBB8_125:
	v_cmp_ne_u32_e32 vcc_lo, 1, v105
	v_lshlrev_b64 v[60:61], 2, v[76:77]
	s_cbranch_vccnz .LBB8_127
; %bb.126:
	s_delay_alu instid0(VALU_DEP_1) | instskip(NEXT) | instid1(VALU_DEP_2)
	v_add_co_u32 v134, vcc_lo, v80, v60
	v_add_co_ci_u32_e32 v135, vcc_lo, v81, v61, vcc_lo
	flat_load_b32 v134, v[134:135]
	s_waitcnt vmcnt(0) lgkmcnt(0)
	v_mul_f32_e32 v134, s15, v134
	s_branch .LBB8_128
.LBB8_127:
	v_mov_b32_e32 v134, 0
.LBB8_128:
	v_dual_add_f32 v135, v9, v57 :: v_dual_add_f32 v136, v8, v56
	v_dual_add_f32 v137, v11, v59 :: v_dual_add_f32 v138, v10, v58
	s_delay_alu instid0(VALU_DEP_4) | instskip(NEXT) | instid1(VALU_DEP_3)
	v_add_co_u32 v60, vcc_lo, v62, v60
	v_min3_f32 v133, v136, v135, v133
	v_add_co_ci_u32_e32 v61, vcc_lo, v63, v61, vcc_lo
	s_delay_alu instid0(VALU_DEP_4) | instskip(NEXT) | instid1(VALU_DEP_1)
	v_min_f32_e32 v135, v138, v137
	v_min3_f32 v133, v134, v135, v133
	global_store_b32 v[60:61], v133, off
	s_or_b32 exec_lo, exec_lo, s14
	s_and_b32 s14, s7, s8
	s_delay_alu instid0(SALU_CYCLE_1)
	s_and_saveexec_b32 s8, s14
	s_cbranch_execz .LBB8_133
.LBB8_129:
	v_cmp_ne_u32_e32 vcc_lo, 1, v105
	v_lshlrev_b64 v[60:61], 2, v[78:79]
	s_cbranch_vccnz .LBB8_131
; %bb.130:
	s_delay_alu instid0(VALU_DEP_1) | instskip(NEXT) | instid1(VALU_DEP_2)
	v_add_co_u32 v80, vcc_lo, v80, v60
	v_add_co_ci_u32_e32 v81, vcc_lo, v81, v61, vcc_lo
	flat_load_b32 v80, v[80:81]
	s_waitcnt vmcnt(0) lgkmcnt(0)
	v_mul_f32_e32 v80, s15, v80
	s_branch .LBB8_132
.LBB8_131:
	v_mov_b32_e32 v80, 0
.LBB8_132:
	v_dual_add_f32 v57, v1, v57 :: v_dual_add_f32 v56, v0, v56
	v_dual_add_f32 v59, v3, v59 :: v_dual_add_f32 v58, v2, v58
	s_delay_alu instid0(VALU_DEP_2) | instskip(NEXT) | instid1(VALU_DEP_2)
	v_min3_f32 v56, v56, v57, v132
	v_min_f32_e32 v57, v58, v59
	s_delay_alu instid0(VALU_DEP_1)
	v_min3_f32 v58, v80, v57, v56
	v_add_co_u32 v56, vcc_lo, v62, v60
	v_add_co_ci_u32_e32 v57, vcc_lo, v63, v61, vcc_lo
	global_store_b32 v[56:57], v58, off
.LBB8_133:
	s_or_b32 exec_lo, exec_lo, s8
	v_add_nc_u32_e32 v60, 16, v113
	s_delay_alu instid0(VALU_DEP_1) | instskip(SKIP_2) | instid1(VALU_DEP_3)
	v_mad_i64_i32 v[56:57], null, v60, s18, 0
	v_mad_i64_i32 v[58:59], null, v60, s9, 0
	v_cmp_gt_i32_e64 s8, s17, v60
	v_lshlrev_b64 v[56:57], 2, v[56:57]
	s_delay_alu instid0(VALU_DEP_2) | instskip(NEXT) | instid1(VALU_DEP_3)
	s_and_b32 s16, s0, s8
	v_lshlrev_b64 v[58:59], 2, v[58:59]
	s_delay_alu instid0(VALU_DEP_2) | instskip(NEXT) | instid1(VALU_DEP_3)
	v_add_co_u32 v60, vcc_lo, s10, v56
	v_add_co_ci_u32_e32 v61, vcc_lo, s11, v57, vcc_lo
	s_delay_alu instid0(VALU_DEP_3) | instskip(NEXT) | instid1(VALU_DEP_4)
	v_add_co_u32 v58, vcc_lo, s12, v58
	v_add_co_ci_u32_e32 v59, vcc_lo, s13, v59, vcc_lo
	s_and_saveexec_b32 s14, s16
	s_cbranch_execnz .LBB8_141
; %bb.134:
	s_or_b32 exec_lo, exec_lo, s14
	s_and_b32 s16, s1, s8
	s_delay_alu instid0(SALU_CYCLE_1)
	s_and_saveexec_b32 s14, s16
	s_cbranch_execnz .LBB8_145
.LBB8_135:
	s_or_b32 exec_lo, exec_lo, s14
	s_and_b32 s16, s2, s8
	s_delay_alu instid0(SALU_CYCLE_1)
	s_and_saveexec_b32 s14, s16
	s_cbranch_execnz .LBB8_149
.LBB8_136:
	s_or_b32 exec_lo, exec_lo, s14
	s_and_b32 s16, s3, s8
	s_delay_alu instid0(SALU_CYCLE_1)
	s_and_saveexec_b32 s14, s16
	s_cbranch_execnz .LBB8_153
.LBB8_137:
	s_or_b32 exec_lo, exec_lo, s14
	s_and_b32 s16, s4, s8
	s_delay_alu instid0(SALU_CYCLE_1)
	s_and_saveexec_b32 s14, s16
	s_cbranch_execnz .LBB8_157
.LBB8_138:
	s_or_b32 exec_lo, exec_lo, s14
	s_and_b32 s16, s5, s8
	s_delay_alu instid0(SALU_CYCLE_1)
	s_and_saveexec_b32 s14, s16
	s_cbranch_execnz .LBB8_161
.LBB8_139:
	s_or_b32 exec_lo, exec_lo, s14
	s_and_b32 s16, s6, s8
	s_delay_alu instid0(SALU_CYCLE_1)
	s_and_saveexec_b32 s14, s16
	s_cbranch_execnz .LBB8_165
.LBB8_140:
	s_or_b32 exec_lo, exec_lo, s14
	s_and_b32 s14, s7, s8
	s_delay_alu instid0(SALU_CYCLE_1)
	s_and_saveexec_b32 s8, s14
	s_cbranch_execnz .LBB8_169
	s_branch .LBB8_173
.LBB8_141:
	v_cmp_ne_u32_e32 vcc_lo, 1, v105
	v_lshlrev_b64 v[56:57], 2, v[64:65]
	s_cbranch_vccnz .LBB8_143
; %bb.142:
	s_delay_alu instid0(VALU_DEP_1) | instskip(NEXT) | instid1(VALU_DEP_2)
	v_add_co_u32 v62, vcc_lo, v60, v56
	v_add_co_ci_u32_e32 v63, vcc_lo, v61, v57, vcc_lo
	flat_load_b32 v62, v[62:63]
	s_waitcnt vmcnt(0) lgkmcnt(0)
	v_mul_f32_e32 v62, s15, v62
	s_branch .LBB8_144
.LBB8_143:
	v_mov_b32_e32 v62, 0
.LBB8_144:
	v_dual_add_f32 v63, v33, v53 :: v_dual_add_f32 v80, v32, v52
	v_dual_add_f32 v81, v35, v55 :: v_dual_add_f32 v132, v34, v54
	s_delay_alu instid0(VALU_DEP_4) | instskip(NEXT) | instid1(VALU_DEP_3)
	v_add_co_u32 v56, vcc_lo, v58, v56
	v_min3_f32 v63, v80, v63, v131
	v_add_co_ci_u32_e32 v57, vcc_lo, v59, v57, vcc_lo
	s_delay_alu instid0(VALU_DEP_4) | instskip(NEXT) | instid1(VALU_DEP_1)
	v_min_f32_e32 v80, v132, v81
	v_min3_f32 v62, v62, v80, v63
	global_store_b32 v[56:57], v62, off
	s_or_b32 exec_lo, exec_lo, s14
	s_and_b32 s16, s1, s8
	s_delay_alu instid0(SALU_CYCLE_1)
	s_and_saveexec_b32 s14, s16
	s_cbranch_execz .LBB8_135
.LBB8_145:
	v_cmp_ne_u32_e32 vcc_lo, 1, v105
	v_lshlrev_b64 v[56:57], 2, v[66:67]
	s_cbranch_vccnz .LBB8_147
; %bb.146:
	s_delay_alu instid0(VALU_DEP_1) | instskip(NEXT) | instid1(VALU_DEP_2)
	v_add_co_u32 v62, vcc_lo, v60, v56
	v_add_co_ci_u32_e32 v63, vcc_lo, v61, v57, vcc_lo
	flat_load_b32 v62, v[62:63]
	s_waitcnt vmcnt(0) lgkmcnt(0)
	v_mul_f32_e32 v62, s15, v62
	s_branch .LBB8_148
.LBB8_147:
	v_mov_b32_e32 v62, 0
.LBB8_148:
	v_dual_add_f32 v63, v29, v53 :: v_dual_add_f32 v80, v28, v52
	v_add_f32_e32 v81, v31, v55
	v_add_f32_e32 v131, v30, v54
	v_add_co_u32 v56, vcc_lo, v58, v56
	s_delay_alu instid0(VALU_DEP_4) | instskip(SKIP_1) | instid1(VALU_DEP_4)
	v_min3_f32 v63, v80, v63, v130
	v_add_co_ci_u32_e32 v57, vcc_lo, v59, v57, vcc_lo
	v_min_f32_e32 v80, v131, v81
	s_delay_alu instid0(VALU_DEP_1) | instskip(SKIP_3) | instid1(SALU_CYCLE_1)
	v_min3_f32 v62, v62, v80, v63
	global_store_b32 v[56:57], v62, off
	s_or_b32 exec_lo, exec_lo, s14
	s_and_b32 s16, s2, s8
	s_and_saveexec_b32 s14, s16
	s_cbranch_execz .LBB8_136
.LBB8_149:
	v_cmp_ne_u32_e32 vcc_lo, 1, v105
	v_lshlrev_b64 v[56:57], 2, v[68:69]
	s_cbranch_vccnz .LBB8_151
; %bb.150:
	s_delay_alu instid0(VALU_DEP_1) | instskip(NEXT) | instid1(VALU_DEP_2)
	v_add_co_u32 v62, vcc_lo, v60, v56
	v_add_co_ci_u32_e32 v63, vcc_lo, v61, v57, vcc_lo
	flat_load_b32 v62, v[62:63]
	s_waitcnt vmcnt(0) lgkmcnt(0)
	v_mul_f32_e32 v62, s15, v62
	s_branch .LBB8_152
.LBB8_151:
	v_mov_b32_e32 v62, 0
.LBB8_152:
	v_dual_add_f32 v63, v25, v53 :: v_dual_add_f32 v80, v24, v52
	v_dual_add_f32 v81, v27, v55 :: v_dual_add_f32 v130, v26, v54
	s_delay_alu instid0(VALU_DEP_4) | instskip(NEXT) | instid1(VALU_DEP_3)
	v_add_co_u32 v56, vcc_lo, v58, v56
	v_min3_f32 v63, v80, v63, v129
	v_add_co_ci_u32_e32 v57, vcc_lo, v59, v57, vcc_lo
	s_delay_alu instid0(VALU_DEP_4) | instskip(NEXT) | instid1(VALU_DEP_1)
	v_min_f32_e32 v80, v130, v81
	v_min3_f32 v62, v62, v80, v63
	global_store_b32 v[56:57], v62, off
	s_or_b32 exec_lo, exec_lo, s14
	s_and_b32 s16, s3, s8
	s_delay_alu instid0(SALU_CYCLE_1)
	s_and_saveexec_b32 s14, s16
	s_cbranch_execz .LBB8_137
.LBB8_153:
	v_cmp_ne_u32_e32 vcc_lo, 1, v105
	v_lshlrev_b64 v[56:57], 2, v[70:71]
	s_cbranch_vccnz .LBB8_155
; %bb.154:
	s_delay_alu instid0(VALU_DEP_1) | instskip(NEXT) | instid1(VALU_DEP_2)
	v_add_co_u32 v62, vcc_lo, v60, v56
	v_add_co_ci_u32_e32 v63, vcc_lo, v61, v57, vcc_lo
	flat_load_b32 v62, v[62:63]
	s_waitcnt vmcnt(0) lgkmcnt(0)
	v_mul_f32_e32 v62, s15, v62
	s_branch .LBB8_156
.LBB8_155:
	v_mov_b32_e32 v62, 0
.LBB8_156:
	v_dual_add_f32 v63, v21, v53 :: v_dual_add_f32 v80, v20, v52
	v_add_f32_e32 v81, v23, v55
	v_add_f32_e32 v129, v22, v54
	v_add_co_u32 v56, vcc_lo, v58, v56
	s_delay_alu instid0(VALU_DEP_4) | instskip(SKIP_1) | instid1(VALU_DEP_4)
	v_min3_f32 v63, v80, v63, v128
	v_add_co_ci_u32_e32 v57, vcc_lo, v59, v57, vcc_lo
	v_min_f32_e32 v80, v129, v81
	s_delay_alu instid0(VALU_DEP_1) | instskip(SKIP_3) | instid1(SALU_CYCLE_1)
	v_min3_f32 v62, v62, v80, v63
	global_store_b32 v[56:57], v62, off
	s_or_b32 exec_lo, exec_lo, s14
	s_and_b32 s16, s4, s8
	s_and_saveexec_b32 s14, s16
	s_cbranch_execz .LBB8_138
.LBB8_157:
	v_cmp_ne_u32_e32 vcc_lo, 1, v105
	v_lshlrev_b64 v[56:57], 2, v[72:73]
	s_cbranch_vccnz .LBB8_159
; %bb.158:
	s_delay_alu instid0(VALU_DEP_1) | instskip(NEXT) | instid1(VALU_DEP_2)
	v_add_co_u32 v62, vcc_lo, v60, v56
	v_add_co_ci_u32_e32 v63, vcc_lo, v61, v57, vcc_lo
	flat_load_b32 v62, v[62:63]
	s_waitcnt vmcnt(0) lgkmcnt(0)
	v_mul_f32_e32 v62, s15, v62
	s_branch .LBB8_160
.LBB8_159:
	v_mov_b32_e32 v62, 0
.LBB8_160:
	v_dual_add_f32 v63, v17, v53 :: v_dual_add_f32 v80, v16, v52
	v_dual_add_f32 v81, v19, v55 :: v_dual_add_f32 v128, v18, v54
	s_delay_alu instid0(VALU_DEP_4) | instskip(NEXT) | instid1(VALU_DEP_3)
	v_add_co_u32 v56, vcc_lo, v58, v56
	v_min3_f32 v63, v80, v63, v127
	v_add_co_ci_u32_e32 v57, vcc_lo, v59, v57, vcc_lo
	s_delay_alu instid0(VALU_DEP_4) | instskip(NEXT) | instid1(VALU_DEP_1)
	v_min_f32_e32 v80, v128, v81
	v_min3_f32 v62, v62, v80, v63
	global_store_b32 v[56:57], v62, off
	s_or_b32 exec_lo, exec_lo, s14
	s_and_b32 s16, s5, s8
	s_delay_alu instid0(SALU_CYCLE_1)
	s_and_saveexec_b32 s14, s16
	s_cbranch_execz .LBB8_139
.LBB8_161:
	v_cmp_ne_u32_e32 vcc_lo, 1, v105
	v_lshlrev_b64 v[56:57], 2, v[74:75]
	s_cbranch_vccnz .LBB8_163
; %bb.162:
	s_delay_alu instid0(VALU_DEP_1) | instskip(NEXT) | instid1(VALU_DEP_2)
	v_add_co_u32 v62, vcc_lo, v60, v56
	v_add_co_ci_u32_e32 v63, vcc_lo, v61, v57, vcc_lo
	flat_load_b32 v62, v[62:63]
	s_waitcnt vmcnt(0) lgkmcnt(0)
	v_mul_f32_e32 v62, s15, v62
	s_branch .LBB8_164
.LBB8_163:
	v_mov_b32_e32 v62, 0
.LBB8_164:
	v_dual_add_f32 v63, v13, v53 :: v_dual_add_f32 v80, v12, v52
	v_add_f32_e32 v81, v15, v55
	v_add_f32_e32 v127, v14, v54
	v_add_co_u32 v56, vcc_lo, v58, v56
	s_delay_alu instid0(VALU_DEP_4) | instskip(SKIP_1) | instid1(VALU_DEP_4)
	v_min3_f32 v63, v80, v63, v126
	v_add_co_ci_u32_e32 v57, vcc_lo, v59, v57, vcc_lo
	v_min_f32_e32 v80, v127, v81
	s_delay_alu instid0(VALU_DEP_1) | instskip(SKIP_3) | instid1(SALU_CYCLE_1)
	v_min3_f32 v62, v62, v80, v63
	global_store_b32 v[56:57], v62, off
	s_or_b32 exec_lo, exec_lo, s14
	s_and_b32 s16, s6, s8
	s_and_saveexec_b32 s14, s16
	s_cbranch_execz .LBB8_140
.LBB8_165:
	v_cmp_ne_u32_e32 vcc_lo, 1, v105
	v_lshlrev_b64 v[56:57], 2, v[76:77]
	s_cbranch_vccnz .LBB8_167
; %bb.166:
	s_delay_alu instid0(VALU_DEP_1) | instskip(NEXT) | instid1(VALU_DEP_2)
	v_add_co_u32 v62, vcc_lo, v60, v56
	v_add_co_ci_u32_e32 v63, vcc_lo, v61, v57, vcc_lo
	flat_load_b32 v62, v[62:63]
	s_waitcnt vmcnt(0) lgkmcnt(0)
	v_mul_f32_e32 v62, s15, v62
	s_branch .LBB8_168
.LBB8_167:
	v_mov_b32_e32 v62, 0
.LBB8_168:
	v_dual_add_f32 v63, v9, v53 :: v_dual_add_f32 v80, v8, v52
	v_dual_add_f32 v81, v11, v55 :: v_dual_add_f32 v126, v10, v54
	s_delay_alu instid0(VALU_DEP_4) | instskip(NEXT) | instid1(VALU_DEP_3)
	v_add_co_u32 v56, vcc_lo, v58, v56
	v_min3_f32 v63, v80, v63, v125
	v_add_co_ci_u32_e32 v57, vcc_lo, v59, v57, vcc_lo
	s_delay_alu instid0(VALU_DEP_4) | instskip(NEXT) | instid1(VALU_DEP_1)
	v_min_f32_e32 v80, v126, v81
	v_min3_f32 v62, v62, v80, v63
	global_store_b32 v[56:57], v62, off
	s_or_b32 exec_lo, exec_lo, s14
	s_and_b32 s14, s7, s8
	s_delay_alu instid0(SALU_CYCLE_1)
	s_and_saveexec_b32 s8, s14
	s_cbranch_execz .LBB8_173
.LBB8_169:
	v_cmp_ne_u32_e32 vcc_lo, 1, v105
	v_lshlrev_b64 v[56:57], 2, v[78:79]
	s_cbranch_vccnz .LBB8_171
; %bb.170:
	s_delay_alu instid0(VALU_DEP_1) | instskip(NEXT) | instid1(VALU_DEP_2)
	v_add_co_u32 v60, vcc_lo, v60, v56
	v_add_co_ci_u32_e32 v61, vcc_lo, v61, v57, vcc_lo
	flat_load_b32 v60, v[60:61]
	s_waitcnt vmcnt(0) lgkmcnt(0)
	v_mul_f32_e32 v60, s15, v60
	s_branch .LBB8_172
.LBB8_171:
	v_mov_b32_e32 v60, 0
.LBB8_172:
	v_dual_add_f32 v53, v1, v53 :: v_dual_add_f32 v52, v0, v52
	v_dual_add_f32 v55, v3, v55 :: v_dual_add_f32 v54, v2, v54
	s_delay_alu instid0(VALU_DEP_2) | instskip(NEXT) | instid1(VALU_DEP_2)
	v_min3_f32 v52, v52, v53, v124
	v_min_f32_e32 v53, v54, v55
	s_delay_alu instid0(VALU_DEP_1)
	v_min3_f32 v54, v60, v53, v52
	v_add_co_u32 v52, vcc_lo, v58, v56
	v_add_co_ci_u32_e32 v53, vcc_lo, v59, v57, vcc_lo
	global_store_b32 v[52:53], v54, off
.LBB8_173:
	s_or_b32 exec_lo, exec_lo, s8
	v_add_nc_u32_e32 v56, 24, v113
	s_delay_alu instid0(VALU_DEP_1) | instskip(SKIP_2) | instid1(VALU_DEP_3)
	v_mad_i64_i32 v[52:53], null, v56, s18, 0
	v_mad_i64_i32 v[54:55], null, v56, s9, 0
	v_cmp_gt_i32_e64 s8, s17, v56
	v_lshlrev_b64 v[52:53], 2, v[52:53]
	s_delay_alu instid0(VALU_DEP_2) | instskip(NEXT) | instid1(VALU_DEP_3)
	s_and_b32 s16, s0, s8
	v_lshlrev_b64 v[54:55], 2, v[54:55]
	s_delay_alu instid0(VALU_DEP_2) | instskip(NEXT) | instid1(VALU_DEP_3)
	v_add_co_u32 v56, vcc_lo, s10, v52
	v_add_co_ci_u32_e32 v57, vcc_lo, s11, v53, vcc_lo
	s_delay_alu instid0(VALU_DEP_3) | instskip(NEXT) | instid1(VALU_DEP_4)
	v_add_co_u32 v54, vcc_lo, s12, v54
	v_add_co_ci_u32_e32 v55, vcc_lo, s13, v55, vcc_lo
	s_and_saveexec_b32 s14, s16
	s_cbranch_execnz .LBB8_181
; %bb.174:
	s_or_b32 exec_lo, exec_lo, s14
	s_and_b32 s16, s1, s8
	s_delay_alu instid0(SALU_CYCLE_1)
	s_and_saveexec_b32 s14, s16
	s_cbranch_execnz .LBB8_185
.LBB8_175:
	s_or_b32 exec_lo, exec_lo, s14
	s_and_b32 s16, s2, s8
	s_delay_alu instid0(SALU_CYCLE_1)
	s_and_saveexec_b32 s14, s16
	s_cbranch_execnz .LBB8_189
.LBB8_176:
	s_or_b32 exec_lo, exec_lo, s14
	s_and_b32 s16, s3, s8
	s_delay_alu instid0(SALU_CYCLE_1)
	s_and_saveexec_b32 s14, s16
	s_cbranch_execnz .LBB8_193
.LBB8_177:
	s_or_b32 exec_lo, exec_lo, s14
	s_and_b32 s16, s4, s8
	s_delay_alu instid0(SALU_CYCLE_1)
	s_and_saveexec_b32 s14, s16
	s_cbranch_execnz .LBB8_197
.LBB8_178:
	s_or_b32 exec_lo, exec_lo, s14
	s_and_b32 s16, s5, s8
	s_delay_alu instid0(SALU_CYCLE_1)
	s_and_saveexec_b32 s14, s16
	s_cbranch_execnz .LBB8_201
.LBB8_179:
	s_or_b32 exec_lo, exec_lo, s14
	s_and_b32 s16, s6, s8
	s_delay_alu instid0(SALU_CYCLE_1)
	s_and_saveexec_b32 s14, s16
	s_cbranch_execnz .LBB8_205
.LBB8_180:
	s_or_b32 exec_lo, exec_lo, s14
	s_and_b32 s14, s7, s8
	s_delay_alu instid0(SALU_CYCLE_1)
	s_and_saveexec_b32 s8, s14
	s_cbranch_execnz .LBB8_209
	s_branch .LBB8_213
.LBB8_181:
	v_cmp_ne_u32_e32 vcc_lo, 1, v105
	v_lshlrev_b64 v[52:53], 2, v[64:65]
	s_cbranch_vccnz .LBB8_183
; %bb.182:
	s_delay_alu instid0(VALU_DEP_1) | instskip(NEXT) | instid1(VALU_DEP_2)
	v_add_co_u32 v58, vcc_lo, v56, v52
	v_add_co_ci_u32_e32 v59, vcc_lo, v57, v53, vcc_lo
	flat_load_b32 v58, v[58:59]
	s_waitcnt vmcnt(0) lgkmcnt(0)
	v_mul_f32_e32 v58, s15, v58
	s_branch .LBB8_184
.LBB8_183:
	v_mov_b32_e32 v58, 0
.LBB8_184:
	v_dual_add_f32 v59, v33, v49 :: v_dual_add_f32 v60, v32, v48
	v_dual_add_f32 v61, v35, v51 :: v_dual_add_f32 v62, v34, v50
	s_delay_alu instid0(VALU_DEP_4) | instskip(NEXT) | instid1(VALU_DEP_3)
	v_add_co_u32 v52, vcc_lo, v54, v52
	v_min3_f32 v59, v60, v59, v123
	v_add_co_ci_u32_e32 v53, vcc_lo, v55, v53, vcc_lo
	s_delay_alu instid0(VALU_DEP_4) | instskip(NEXT) | instid1(VALU_DEP_1)
	v_min_f32_e32 v60, v62, v61
	v_min3_f32 v58, v58, v60, v59
	global_store_b32 v[52:53], v58, off
	s_or_b32 exec_lo, exec_lo, s14
	s_and_b32 s16, s1, s8
	s_delay_alu instid0(SALU_CYCLE_1)
	s_and_saveexec_b32 s14, s16
	s_cbranch_execz .LBB8_175
.LBB8_185:
	v_cmp_ne_u32_e32 vcc_lo, 1, v105
	v_lshlrev_b64 v[52:53], 2, v[66:67]
	s_cbranch_vccnz .LBB8_187
; %bb.186:
	s_delay_alu instid0(VALU_DEP_1) | instskip(NEXT) | instid1(VALU_DEP_2)
	v_add_co_u32 v58, vcc_lo, v56, v52
	v_add_co_ci_u32_e32 v59, vcc_lo, v57, v53, vcc_lo
	flat_load_b32 v58, v[58:59]
	s_waitcnt vmcnt(0) lgkmcnt(0)
	v_mul_f32_e32 v58, s15, v58
	s_branch .LBB8_188
.LBB8_187:
	v_mov_b32_e32 v58, 0
.LBB8_188:
	v_dual_add_f32 v59, v29, v49 :: v_dual_add_f32 v60, v28, v48
	v_dual_add_f32 v61, v31, v51 :: v_dual_add_f32 v62, v30, v50
	s_delay_alu instid0(VALU_DEP_4) | instskip(NEXT) | instid1(VALU_DEP_3)
	v_add_co_u32 v52, vcc_lo, v54, v52
	v_min3_f32 v59, v60, v59, v122
	v_add_co_ci_u32_e32 v53, vcc_lo, v55, v53, vcc_lo
	s_delay_alu instid0(VALU_DEP_4) | instskip(NEXT) | instid1(VALU_DEP_1)
	v_min_f32_e32 v60, v62, v61
	v_min3_f32 v58, v58, v60, v59
	global_store_b32 v[52:53], v58, off
	s_or_b32 exec_lo, exec_lo, s14
	s_and_b32 s16, s2, s8
	s_delay_alu instid0(SALU_CYCLE_1)
	s_and_saveexec_b32 s14, s16
	s_cbranch_execz .LBB8_176
.LBB8_189:
	v_cmp_ne_u32_e32 vcc_lo, 1, v105
	v_lshlrev_b64 v[52:53], 2, v[68:69]
	s_cbranch_vccnz .LBB8_191
; %bb.190:
	s_delay_alu instid0(VALU_DEP_1) | instskip(NEXT) | instid1(VALU_DEP_2)
	v_add_co_u32 v58, vcc_lo, v56, v52
	v_add_co_ci_u32_e32 v59, vcc_lo, v57, v53, vcc_lo
	flat_load_b32 v58, v[58:59]
	s_waitcnt vmcnt(0) lgkmcnt(0)
	v_mul_f32_e32 v58, s15, v58
	s_branch .LBB8_192
.LBB8_191:
	v_mov_b32_e32 v58, 0
.LBB8_192:
	v_dual_add_f32 v59, v25, v49 :: v_dual_add_f32 v60, v24, v48
	v_dual_add_f32 v61, v27, v51 :: v_dual_add_f32 v62, v26, v50
	s_delay_alu instid0(VALU_DEP_4) | instskip(NEXT) | instid1(VALU_DEP_3)
	v_add_co_u32 v52, vcc_lo, v54, v52
	v_min3_f32 v59, v60, v59, v121
	v_add_co_ci_u32_e32 v53, vcc_lo, v55, v53, vcc_lo
	s_delay_alu instid0(VALU_DEP_4) | instskip(NEXT) | instid1(VALU_DEP_1)
	v_min_f32_e32 v60, v62, v61
	v_min3_f32 v58, v58, v60, v59
	global_store_b32 v[52:53], v58, off
	s_or_b32 exec_lo, exec_lo, s14
	s_and_b32 s16, s3, s8
	s_delay_alu instid0(SALU_CYCLE_1)
	s_and_saveexec_b32 s14, s16
	s_cbranch_execz .LBB8_177
.LBB8_193:
	v_cmp_ne_u32_e32 vcc_lo, 1, v105
	v_lshlrev_b64 v[52:53], 2, v[70:71]
	s_cbranch_vccnz .LBB8_195
; %bb.194:
	s_delay_alu instid0(VALU_DEP_1) | instskip(NEXT) | instid1(VALU_DEP_2)
	v_add_co_u32 v58, vcc_lo, v56, v52
	v_add_co_ci_u32_e32 v59, vcc_lo, v57, v53, vcc_lo
	flat_load_b32 v58, v[58:59]
	s_waitcnt vmcnt(0) lgkmcnt(0)
	v_mul_f32_e32 v58, s15, v58
	s_branch .LBB8_196
.LBB8_195:
	v_mov_b32_e32 v58, 0
.LBB8_196:
	v_dual_add_f32 v59, v21, v49 :: v_dual_add_f32 v60, v20, v48
	v_dual_add_f32 v61, v23, v51 :: v_dual_add_f32 v62, v22, v50
	s_delay_alu instid0(VALU_DEP_4) | instskip(NEXT) | instid1(VALU_DEP_3)
	v_add_co_u32 v52, vcc_lo, v54, v52
	v_min3_f32 v59, v60, v59, v120
	v_add_co_ci_u32_e32 v53, vcc_lo, v55, v53, vcc_lo
	s_delay_alu instid0(VALU_DEP_4) | instskip(NEXT) | instid1(VALU_DEP_1)
	v_min_f32_e32 v60, v62, v61
	v_min3_f32 v58, v58, v60, v59
	global_store_b32 v[52:53], v58, off
	s_or_b32 exec_lo, exec_lo, s14
	s_and_b32 s16, s4, s8
	s_delay_alu instid0(SALU_CYCLE_1)
	s_and_saveexec_b32 s14, s16
	s_cbranch_execz .LBB8_178
.LBB8_197:
	v_cmp_ne_u32_e32 vcc_lo, 1, v105
	v_lshlrev_b64 v[52:53], 2, v[72:73]
	s_cbranch_vccnz .LBB8_199
; %bb.198:
	s_delay_alu instid0(VALU_DEP_1) | instskip(NEXT) | instid1(VALU_DEP_2)
	v_add_co_u32 v58, vcc_lo, v56, v52
	v_add_co_ci_u32_e32 v59, vcc_lo, v57, v53, vcc_lo
	flat_load_b32 v58, v[58:59]
	s_waitcnt vmcnt(0) lgkmcnt(0)
	v_mul_f32_e32 v58, s15, v58
	s_branch .LBB8_200
.LBB8_199:
	v_mov_b32_e32 v58, 0
.LBB8_200:
	v_dual_add_f32 v59, v17, v49 :: v_dual_add_f32 v60, v16, v48
	v_dual_add_f32 v61, v19, v51 :: v_dual_add_f32 v62, v18, v50
	s_delay_alu instid0(VALU_DEP_4) | instskip(NEXT) | instid1(VALU_DEP_3)
	v_add_co_u32 v52, vcc_lo, v54, v52
	v_min3_f32 v59, v60, v59, v119
	v_add_co_ci_u32_e32 v53, vcc_lo, v55, v53, vcc_lo
	s_delay_alu instid0(VALU_DEP_4) | instskip(NEXT) | instid1(VALU_DEP_1)
	v_min_f32_e32 v60, v62, v61
	v_min3_f32 v58, v58, v60, v59
	global_store_b32 v[52:53], v58, off
	s_or_b32 exec_lo, exec_lo, s14
	s_and_b32 s16, s5, s8
	s_delay_alu instid0(SALU_CYCLE_1)
	s_and_saveexec_b32 s14, s16
	s_cbranch_execz .LBB8_179
.LBB8_201:
	v_cmp_ne_u32_e32 vcc_lo, 1, v105
	v_lshlrev_b64 v[52:53], 2, v[74:75]
	s_cbranch_vccnz .LBB8_203
; %bb.202:
	s_delay_alu instid0(VALU_DEP_1) | instskip(NEXT) | instid1(VALU_DEP_2)
	v_add_co_u32 v58, vcc_lo, v56, v52
	v_add_co_ci_u32_e32 v59, vcc_lo, v57, v53, vcc_lo
	flat_load_b32 v58, v[58:59]
	s_waitcnt vmcnt(0) lgkmcnt(0)
	v_mul_f32_e32 v58, s15, v58
	s_branch .LBB8_204
.LBB8_203:
	v_mov_b32_e32 v58, 0
.LBB8_204:
	v_dual_add_f32 v59, v13, v49 :: v_dual_add_f32 v60, v12, v48
	v_dual_add_f32 v61, v15, v51 :: v_dual_add_f32 v62, v14, v50
	s_delay_alu instid0(VALU_DEP_4) | instskip(NEXT) | instid1(VALU_DEP_3)
	v_add_co_u32 v52, vcc_lo, v54, v52
	v_min3_f32 v59, v60, v59, v118
	v_add_co_ci_u32_e32 v53, vcc_lo, v55, v53, vcc_lo
	s_delay_alu instid0(VALU_DEP_4) | instskip(NEXT) | instid1(VALU_DEP_1)
	v_min_f32_e32 v60, v62, v61
	v_min3_f32 v58, v58, v60, v59
	global_store_b32 v[52:53], v58, off
	s_or_b32 exec_lo, exec_lo, s14
	s_and_b32 s16, s6, s8
	s_delay_alu instid0(SALU_CYCLE_1)
	s_and_saveexec_b32 s14, s16
	s_cbranch_execz .LBB8_180
.LBB8_205:
	v_cmp_ne_u32_e32 vcc_lo, 1, v105
	v_lshlrev_b64 v[52:53], 2, v[76:77]
	s_cbranch_vccnz .LBB8_207
; %bb.206:
	s_delay_alu instid0(VALU_DEP_1) | instskip(NEXT) | instid1(VALU_DEP_2)
	v_add_co_u32 v58, vcc_lo, v56, v52
	v_add_co_ci_u32_e32 v59, vcc_lo, v57, v53, vcc_lo
	flat_load_b32 v58, v[58:59]
	s_waitcnt vmcnt(0) lgkmcnt(0)
	v_mul_f32_e32 v58, s15, v58
	s_branch .LBB8_208
.LBB8_207:
	v_mov_b32_e32 v58, 0
.LBB8_208:
	v_dual_add_f32 v59, v9, v49 :: v_dual_add_f32 v60, v8, v48
	v_dual_add_f32 v61, v11, v51 :: v_dual_add_f32 v62, v10, v50
	s_delay_alu instid0(VALU_DEP_4) | instskip(NEXT) | instid1(VALU_DEP_3)
	v_add_co_u32 v52, vcc_lo, v54, v52
	v_min3_f32 v59, v60, v59, v117
	v_add_co_ci_u32_e32 v53, vcc_lo, v55, v53, vcc_lo
	s_delay_alu instid0(VALU_DEP_4) | instskip(NEXT) | instid1(VALU_DEP_1)
	v_min_f32_e32 v60, v62, v61
	v_min3_f32 v58, v58, v60, v59
	global_store_b32 v[52:53], v58, off
	s_or_b32 exec_lo, exec_lo, s14
	s_and_b32 s14, s7, s8
	s_delay_alu instid0(SALU_CYCLE_1)
	s_and_saveexec_b32 s8, s14
	s_cbranch_execz .LBB8_213
.LBB8_209:
	v_cmp_ne_u32_e32 vcc_lo, 1, v105
	v_lshlrev_b64 v[52:53], 2, v[78:79]
	s_cbranch_vccnz .LBB8_211
; %bb.210:
	s_delay_alu instid0(VALU_DEP_1) | instskip(NEXT) | instid1(VALU_DEP_2)
	v_add_co_u32 v56, vcc_lo, v56, v52
	v_add_co_ci_u32_e32 v57, vcc_lo, v57, v53, vcc_lo
	flat_load_b32 v56, v[56:57]
	s_waitcnt vmcnt(0) lgkmcnt(0)
	v_mul_f32_e32 v56, s15, v56
	s_branch .LBB8_212
.LBB8_211:
	v_mov_b32_e32 v56, 0
.LBB8_212:
	v_dual_add_f32 v49, v1, v49 :: v_dual_add_f32 v48, v0, v48
	v_dual_add_f32 v51, v3, v51 :: v_dual_add_f32 v50, v2, v50
	s_delay_alu instid0(VALU_DEP_2) | instskip(NEXT) | instid1(VALU_DEP_2)
	v_min3_f32 v48, v48, v49, v116
	v_min_f32_e32 v49, v50, v51
	s_delay_alu instid0(VALU_DEP_1)
	v_min3_f32 v50, v56, v49, v48
	v_add_co_u32 v48, vcc_lo, v54, v52
	v_add_co_ci_u32_e32 v49, vcc_lo, v55, v53, vcc_lo
	global_store_b32 v[48:49], v50, off
.LBB8_213:
	s_or_b32 exec_lo, exec_lo, s8
	v_add_nc_u32_e32 v52, 32, v113
	s_delay_alu instid0(VALU_DEP_1) | instskip(SKIP_2) | instid1(VALU_DEP_3)
	v_mad_i64_i32 v[48:49], null, v52, s18, 0
	v_mad_i64_i32 v[50:51], null, v52, s9, 0
	v_cmp_gt_i32_e64 s8, s17, v52
	v_lshlrev_b64 v[48:49], 2, v[48:49]
	s_delay_alu instid0(VALU_DEP_2) | instskip(NEXT) | instid1(VALU_DEP_3)
	s_and_b32 s16, s0, s8
	v_lshlrev_b64 v[50:51], 2, v[50:51]
	s_delay_alu instid0(VALU_DEP_2) | instskip(NEXT) | instid1(VALU_DEP_3)
	v_add_co_u32 v52, vcc_lo, s10, v48
	v_add_co_ci_u32_e32 v53, vcc_lo, s11, v49, vcc_lo
	s_delay_alu instid0(VALU_DEP_3) | instskip(NEXT) | instid1(VALU_DEP_4)
	v_add_co_u32 v50, vcc_lo, s12, v50
	v_add_co_ci_u32_e32 v51, vcc_lo, s13, v51, vcc_lo
	s_and_saveexec_b32 s14, s16
	s_cbranch_execnz .LBB8_221
; %bb.214:
	s_or_b32 exec_lo, exec_lo, s14
	s_and_b32 s16, s1, s8
	s_delay_alu instid0(SALU_CYCLE_1)
	s_and_saveexec_b32 s14, s16
	s_cbranch_execnz .LBB8_225
.LBB8_215:
	s_or_b32 exec_lo, exec_lo, s14
	s_and_b32 s16, s2, s8
	s_delay_alu instid0(SALU_CYCLE_1)
	s_and_saveexec_b32 s14, s16
	s_cbranch_execnz .LBB8_229
.LBB8_216:
	s_or_b32 exec_lo, exec_lo, s14
	s_and_b32 s16, s3, s8
	s_delay_alu instid0(SALU_CYCLE_1)
	s_and_saveexec_b32 s14, s16
	s_cbranch_execnz .LBB8_233
.LBB8_217:
	s_or_b32 exec_lo, exec_lo, s14
	s_and_b32 s16, s4, s8
	s_delay_alu instid0(SALU_CYCLE_1)
	s_and_saveexec_b32 s14, s16
	s_cbranch_execnz .LBB8_237
.LBB8_218:
	s_or_b32 exec_lo, exec_lo, s14
	s_and_b32 s16, s5, s8
	s_delay_alu instid0(SALU_CYCLE_1)
	s_and_saveexec_b32 s14, s16
	s_cbranch_execnz .LBB8_241
.LBB8_219:
	s_or_b32 exec_lo, exec_lo, s14
	s_and_b32 s16, s6, s8
	s_delay_alu instid0(SALU_CYCLE_1)
	s_and_saveexec_b32 s14, s16
	s_cbranch_execnz .LBB8_245
.LBB8_220:
	s_or_b32 exec_lo, exec_lo, s14
	s_and_b32 s14, s7, s8
	s_delay_alu instid0(SALU_CYCLE_1)
	s_and_saveexec_b32 s8, s14
	s_cbranch_execnz .LBB8_249
	s_branch .LBB8_253
.LBB8_221:
	v_cmp_ne_u32_e32 vcc_lo, 1, v105
	v_lshlrev_b64 v[48:49], 2, v[64:65]
	s_cbranch_vccnz .LBB8_223
; %bb.222:
	s_delay_alu instid0(VALU_DEP_1) | instskip(NEXT) | instid1(VALU_DEP_2)
	v_add_co_u32 v54, vcc_lo, v52, v48
	v_add_co_ci_u32_e32 v55, vcc_lo, v53, v49, vcc_lo
	flat_load_b32 v54, v[54:55]
	s_waitcnt vmcnt(0) lgkmcnt(0)
	v_mul_f32_e32 v54, s15, v54
	s_branch .LBB8_224
.LBB8_223:
	v_mov_b32_e32 v54, 0
.LBB8_224:
	v_dual_add_f32 v55, v33, v45 :: v_dual_add_f32 v56, v32, v44
	v_dual_add_f32 v57, v35, v47 :: v_dual_add_f32 v58, v34, v46
	s_delay_alu instid0(VALU_DEP_4) | instskip(NEXT) | instid1(VALU_DEP_3)
	v_add_co_u32 v48, vcc_lo, v50, v48
	v_min3_f32 v55, v56, v55, v115
	v_add_co_ci_u32_e32 v49, vcc_lo, v51, v49, vcc_lo
	s_delay_alu instid0(VALU_DEP_4) | instskip(NEXT) | instid1(VALU_DEP_1)
	v_min_f32_e32 v56, v58, v57
	v_min3_f32 v54, v54, v56, v55
	global_store_b32 v[48:49], v54, off
	s_or_b32 exec_lo, exec_lo, s14
	s_and_b32 s16, s1, s8
	s_delay_alu instid0(SALU_CYCLE_1)
	s_and_saveexec_b32 s14, s16
	s_cbranch_execz .LBB8_215
.LBB8_225:
	v_cmp_ne_u32_e32 vcc_lo, 1, v105
	v_lshlrev_b64 v[48:49], 2, v[66:67]
	s_cbranch_vccnz .LBB8_227
; %bb.226:
	s_delay_alu instid0(VALU_DEP_1) | instskip(NEXT) | instid1(VALU_DEP_2)
	v_add_co_u32 v54, vcc_lo, v52, v48
	v_add_co_ci_u32_e32 v55, vcc_lo, v53, v49, vcc_lo
	flat_load_b32 v54, v[54:55]
	s_waitcnt vmcnt(0) lgkmcnt(0)
	v_mul_f32_e32 v54, s15, v54
	s_branch .LBB8_228
.LBB8_227:
	v_mov_b32_e32 v54, 0
.LBB8_228:
	v_dual_add_f32 v55, v29, v45 :: v_dual_add_f32 v56, v28, v44
	v_dual_add_f32 v57, v31, v47 :: v_dual_add_f32 v58, v30, v46
	s_delay_alu instid0(VALU_DEP_4) | instskip(NEXT) | instid1(VALU_DEP_3)
	v_add_co_u32 v48, vcc_lo, v50, v48
	v_min3_f32 v55, v56, v55, v114
	v_add_co_ci_u32_e32 v49, vcc_lo, v51, v49, vcc_lo
	s_delay_alu instid0(VALU_DEP_4) | instskip(NEXT) | instid1(VALU_DEP_1)
	v_min_f32_e32 v56, v58, v57
	v_min3_f32 v54, v54, v56, v55
	global_store_b32 v[48:49], v54, off
	s_or_b32 exec_lo, exec_lo, s14
	s_and_b32 s16, s2, s8
	s_delay_alu instid0(SALU_CYCLE_1)
	s_and_saveexec_b32 s14, s16
	s_cbranch_execz .LBB8_216
.LBB8_229:
	v_cmp_ne_u32_e32 vcc_lo, 1, v105
	v_lshlrev_b64 v[48:49], 2, v[68:69]
	s_cbranch_vccnz .LBB8_231
; %bb.230:
	s_delay_alu instid0(VALU_DEP_1) | instskip(NEXT) | instid1(VALU_DEP_2)
	v_add_co_u32 v54, vcc_lo, v52, v48
	v_add_co_ci_u32_e32 v55, vcc_lo, v53, v49, vcc_lo
	flat_load_b32 v54, v[54:55]
	s_waitcnt vmcnt(0) lgkmcnt(0)
	v_mul_f32_e32 v54, s15, v54
	s_branch .LBB8_232
.LBB8_231:
	v_mov_b32_e32 v54, 0
.LBB8_232:
	v_dual_add_f32 v55, v25, v45 :: v_dual_add_f32 v56, v24, v44
	v_dual_add_f32 v57, v27, v47 :: v_dual_add_f32 v58, v26, v46
	s_delay_alu instid0(VALU_DEP_4) | instskip(NEXT) | instid1(VALU_DEP_3)
	v_add_co_u32 v48, vcc_lo, v50, v48
	v_min3_f32 v55, v56, v55, v112
	v_add_co_ci_u32_e32 v49, vcc_lo, v51, v49, vcc_lo
	s_delay_alu instid0(VALU_DEP_4) | instskip(NEXT) | instid1(VALU_DEP_1)
	v_min_f32_e32 v56, v58, v57
	v_min3_f32 v54, v54, v56, v55
	global_store_b32 v[48:49], v54, off
	s_or_b32 exec_lo, exec_lo, s14
	s_and_b32 s16, s3, s8
	s_delay_alu instid0(SALU_CYCLE_1)
	s_and_saveexec_b32 s14, s16
	s_cbranch_execz .LBB8_217
.LBB8_233:
	v_cmp_ne_u32_e32 vcc_lo, 1, v105
	v_lshlrev_b64 v[48:49], 2, v[70:71]
	s_cbranch_vccnz .LBB8_235
; %bb.234:
	s_delay_alu instid0(VALU_DEP_1) | instskip(NEXT) | instid1(VALU_DEP_2)
	v_add_co_u32 v54, vcc_lo, v52, v48
	v_add_co_ci_u32_e32 v55, vcc_lo, v53, v49, vcc_lo
	flat_load_b32 v54, v[54:55]
	s_waitcnt vmcnt(0) lgkmcnt(0)
	v_mul_f32_e32 v54, s15, v54
	s_branch .LBB8_236
.LBB8_235:
	v_mov_b32_e32 v54, 0
.LBB8_236:
	v_dual_add_f32 v55, v21, v45 :: v_dual_add_f32 v56, v20, v44
	v_dual_add_f32 v57, v23, v47 :: v_dual_add_f32 v58, v22, v46
	s_delay_alu instid0(VALU_DEP_4) | instskip(NEXT) | instid1(VALU_DEP_3)
	v_add_co_u32 v48, vcc_lo, v50, v48
	v_min3_f32 v55, v56, v55, v111
	v_add_co_ci_u32_e32 v49, vcc_lo, v51, v49, vcc_lo
	s_delay_alu instid0(VALU_DEP_4) | instskip(NEXT) | instid1(VALU_DEP_1)
	v_min_f32_e32 v56, v58, v57
	v_min3_f32 v54, v54, v56, v55
	global_store_b32 v[48:49], v54, off
	s_or_b32 exec_lo, exec_lo, s14
	s_and_b32 s16, s4, s8
	s_delay_alu instid0(SALU_CYCLE_1)
	s_and_saveexec_b32 s14, s16
	s_cbranch_execz .LBB8_218
.LBB8_237:
	v_cmp_ne_u32_e32 vcc_lo, 1, v105
	v_lshlrev_b64 v[48:49], 2, v[72:73]
	s_cbranch_vccnz .LBB8_239
; %bb.238:
	s_delay_alu instid0(VALU_DEP_1) | instskip(NEXT) | instid1(VALU_DEP_2)
	v_add_co_u32 v54, vcc_lo, v52, v48
	v_add_co_ci_u32_e32 v55, vcc_lo, v53, v49, vcc_lo
	flat_load_b32 v54, v[54:55]
	s_waitcnt vmcnt(0) lgkmcnt(0)
	v_mul_f32_e32 v54, s15, v54
	s_branch .LBB8_240
.LBB8_239:
	v_mov_b32_e32 v54, 0
.LBB8_240:
	v_dual_add_f32 v55, v17, v45 :: v_dual_add_f32 v56, v16, v44
	v_dual_add_f32 v57, v19, v47 :: v_dual_add_f32 v58, v18, v46
	s_delay_alu instid0(VALU_DEP_4) | instskip(NEXT) | instid1(VALU_DEP_3)
	v_add_co_u32 v48, vcc_lo, v50, v48
	v_min3_f32 v55, v56, v55, v110
	v_add_co_ci_u32_e32 v49, vcc_lo, v51, v49, vcc_lo
	s_delay_alu instid0(VALU_DEP_4) | instskip(NEXT) | instid1(VALU_DEP_1)
	v_min_f32_e32 v56, v58, v57
	v_min3_f32 v54, v54, v56, v55
	global_store_b32 v[48:49], v54, off
	s_or_b32 exec_lo, exec_lo, s14
	s_and_b32 s16, s5, s8
	s_delay_alu instid0(SALU_CYCLE_1)
	s_and_saveexec_b32 s14, s16
	s_cbranch_execz .LBB8_219
.LBB8_241:
	v_cmp_ne_u32_e32 vcc_lo, 1, v105
	v_lshlrev_b64 v[48:49], 2, v[74:75]
	s_cbranch_vccnz .LBB8_243
; %bb.242:
	s_delay_alu instid0(VALU_DEP_1) | instskip(NEXT) | instid1(VALU_DEP_2)
	v_add_co_u32 v54, vcc_lo, v52, v48
	v_add_co_ci_u32_e32 v55, vcc_lo, v53, v49, vcc_lo
	flat_load_b32 v54, v[54:55]
	s_waitcnt vmcnt(0) lgkmcnt(0)
	v_mul_f32_e32 v54, s15, v54
	s_branch .LBB8_244
.LBB8_243:
	v_mov_b32_e32 v54, 0
.LBB8_244:
	v_dual_add_f32 v55, v13, v45 :: v_dual_add_f32 v56, v12, v44
	v_dual_add_f32 v57, v15, v47 :: v_dual_add_f32 v58, v14, v46
	s_delay_alu instid0(VALU_DEP_4) | instskip(NEXT) | instid1(VALU_DEP_3)
	v_add_co_u32 v48, vcc_lo, v50, v48
	v_min3_f32 v55, v56, v55, v109
	v_add_co_ci_u32_e32 v49, vcc_lo, v51, v49, vcc_lo
	s_delay_alu instid0(VALU_DEP_4) | instskip(NEXT) | instid1(VALU_DEP_1)
	v_min_f32_e32 v56, v58, v57
	v_min3_f32 v54, v54, v56, v55
	global_store_b32 v[48:49], v54, off
	s_or_b32 exec_lo, exec_lo, s14
	s_and_b32 s16, s6, s8
	s_delay_alu instid0(SALU_CYCLE_1)
	s_and_saveexec_b32 s14, s16
	s_cbranch_execz .LBB8_220
.LBB8_245:
	v_cmp_ne_u32_e32 vcc_lo, 1, v105
	v_lshlrev_b64 v[48:49], 2, v[76:77]
	s_cbranch_vccnz .LBB8_247
; %bb.246:
	s_delay_alu instid0(VALU_DEP_1) | instskip(NEXT) | instid1(VALU_DEP_2)
	v_add_co_u32 v54, vcc_lo, v52, v48
	v_add_co_ci_u32_e32 v55, vcc_lo, v53, v49, vcc_lo
	flat_load_b32 v54, v[54:55]
	s_waitcnt vmcnt(0) lgkmcnt(0)
	v_mul_f32_e32 v54, s15, v54
	s_branch .LBB8_248
.LBB8_247:
	v_mov_b32_e32 v54, 0
.LBB8_248:
	v_dual_add_f32 v55, v9, v45 :: v_dual_add_f32 v56, v8, v44
	v_dual_add_f32 v57, v11, v47 :: v_dual_add_f32 v58, v10, v46
	s_delay_alu instid0(VALU_DEP_4) | instskip(NEXT) | instid1(VALU_DEP_3)
	v_add_co_u32 v48, vcc_lo, v50, v48
	v_min3_f32 v55, v56, v55, v108
	v_add_co_ci_u32_e32 v49, vcc_lo, v51, v49, vcc_lo
	s_delay_alu instid0(VALU_DEP_4) | instskip(NEXT) | instid1(VALU_DEP_1)
	v_min_f32_e32 v56, v58, v57
	v_min3_f32 v54, v54, v56, v55
	global_store_b32 v[48:49], v54, off
	s_or_b32 exec_lo, exec_lo, s14
	s_and_b32 s14, s7, s8
	s_delay_alu instid0(SALU_CYCLE_1)
	s_and_saveexec_b32 s8, s14
	s_cbranch_execz .LBB8_253
.LBB8_249:
	v_cmp_ne_u32_e32 vcc_lo, 1, v105
	v_lshlrev_b64 v[48:49], 2, v[78:79]
	s_cbranch_vccnz .LBB8_251
; %bb.250:
	s_delay_alu instid0(VALU_DEP_1) | instskip(NEXT) | instid1(VALU_DEP_2)
	v_add_co_u32 v52, vcc_lo, v52, v48
	v_add_co_ci_u32_e32 v53, vcc_lo, v53, v49, vcc_lo
	flat_load_b32 v52, v[52:53]
	s_waitcnt vmcnt(0) lgkmcnt(0)
	v_mul_f32_e32 v52, s15, v52
	s_branch .LBB8_252
.LBB8_251:
	v_mov_b32_e32 v52, 0
.LBB8_252:
	v_dual_add_f32 v45, v1, v45 :: v_dual_add_f32 v44, v0, v44
	v_dual_add_f32 v47, v3, v47 :: v_dual_add_f32 v46, v2, v46
	s_delay_alu instid0(VALU_DEP_2) | instskip(NEXT) | instid1(VALU_DEP_2)
	v_min3_f32 v44, v44, v45, v107
	v_min_f32_e32 v45, v46, v47
	s_delay_alu instid0(VALU_DEP_1)
	v_min3_f32 v46, v52, v45, v44
	v_add_co_u32 v44, vcc_lo, v50, v48
	v_add_co_ci_u32_e32 v45, vcc_lo, v51, v49, vcc_lo
	global_store_b32 v[44:45], v46, off
.LBB8_253:
	s_or_b32 exec_lo, exec_lo, s8
	v_add_nc_u32_e32 v48, 40, v113
	s_delay_alu instid0(VALU_DEP_1) | instskip(SKIP_2) | instid1(VALU_DEP_3)
	v_mad_i64_i32 v[44:45], null, v48, s18, 0
	v_mad_i64_i32 v[46:47], null, v48, s9, 0
	v_cmp_gt_i32_e64 s8, s17, v48
	v_lshlrev_b64 v[44:45], 2, v[44:45]
	s_delay_alu instid0(VALU_DEP_2) | instskip(NEXT) | instid1(VALU_DEP_3)
	s_and_b32 s16, s0, s8
	v_lshlrev_b64 v[46:47], 2, v[46:47]
	s_delay_alu instid0(VALU_DEP_2) | instskip(NEXT) | instid1(VALU_DEP_3)
	v_add_co_u32 v48, vcc_lo, s10, v44
	v_add_co_ci_u32_e32 v49, vcc_lo, s11, v45, vcc_lo
	s_delay_alu instid0(VALU_DEP_3) | instskip(NEXT) | instid1(VALU_DEP_4)
	v_add_co_u32 v46, vcc_lo, s12, v46
	v_add_co_ci_u32_e32 v47, vcc_lo, s13, v47, vcc_lo
	s_and_saveexec_b32 s14, s16
	s_cbranch_execnz .LBB8_261
; %bb.254:
	s_or_b32 exec_lo, exec_lo, s14
	s_and_b32 s16, s1, s8
	s_delay_alu instid0(SALU_CYCLE_1)
	s_and_saveexec_b32 s14, s16
	s_cbranch_execnz .LBB8_265
.LBB8_255:
	s_or_b32 exec_lo, exec_lo, s14
	s_and_b32 s16, s2, s8
	s_delay_alu instid0(SALU_CYCLE_1)
	s_and_saveexec_b32 s14, s16
	s_cbranch_execnz .LBB8_269
.LBB8_256:
	s_or_b32 exec_lo, exec_lo, s14
	s_and_b32 s16, s3, s8
	s_delay_alu instid0(SALU_CYCLE_1)
	s_and_saveexec_b32 s14, s16
	s_cbranch_execnz .LBB8_273
.LBB8_257:
	s_or_b32 exec_lo, exec_lo, s14
	s_and_b32 s16, s4, s8
	s_delay_alu instid0(SALU_CYCLE_1)
	s_and_saveexec_b32 s14, s16
	s_cbranch_execnz .LBB8_277
.LBB8_258:
	s_or_b32 exec_lo, exec_lo, s14
	s_and_b32 s16, s5, s8
	s_delay_alu instid0(SALU_CYCLE_1)
	s_and_saveexec_b32 s14, s16
	s_cbranch_execnz .LBB8_281
.LBB8_259:
	s_or_b32 exec_lo, exec_lo, s14
	s_and_b32 s16, s6, s8
	s_delay_alu instid0(SALU_CYCLE_1)
	s_and_saveexec_b32 s14, s16
	s_cbranch_execnz .LBB8_285
.LBB8_260:
	s_or_b32 exec_lo, exec_lo, s14
	s_and_b32 s14, s7, s8
	s_delay_alu instid0(SALU_CYCLE_1)
	s_and_saveexec_b32 s8, s14
	s_cbranch_execnz .LBB8_289
	s_branch .LBB8_293
.LBB8_261:
	v_cmp_ne_u32_e32 vcc_lo, 1, v105
	v_lshlrev_b64 v[44:45], 2, v[64:65]
	s_cbranch_vccnz .LBB8_263
; %bb.262:
	s_delay_alu instid0(VALU_DEP_1) | instskip(NEXT) | instid1(VALU_DEP_2)
	v_add_co_u32 v50, vcc_lo, v48, v44
	v_add_co_ci_u32_e32 v51, vcc_lo, v49, v45, vcc_lo
	flat_load_b32 v50, v[50:51]
	s_waitcnt vmcnt(0) lgkmcnt(0)
	v_mul_f32_e32 v50, s15, v50
	s_branch .LBB8_264
.LBB8_263:
	v_mov_b32_e32 v50, 0
.LBB8_264:
	v_dual_add_f32 v51, v33, v41 :: v_dual_add_f32 v52, v32, v40
	v_dual_add_f32 v53, v35, v43 :: v_dual_add_f32 v54, v34, v42
	s_delay_alu instid0(VALU_DEP_4) | instskip(NEXT) | instid1(VALU_DEP_3)
	v_add_co_u32 v44, vcc_lo, v46, v44
	v_min3_f32 v51, v52, v51, v106
	v_add_co_ci_u32_e32 v45, vcc_lo, v47, v45, vcc_lo
	s_delay_alu instid0(VALU_DEP_4) | instskip(NEXT) | instid1(VALU_DEP_1)
	v_min_f32_e32 v52, v54, v53
	v_min3_f32 v50, v50, v52, v51
	global_store_b32 v[44:45], v50, off
	s_or_b32 exec_lo, exec_lo, s14
	s_and_b32 s16, s1, s8
	s_delay_alu instid0(SALU_CYCLE_1)
	s_and_saveexec_b32 s14, s16
	s_cbranch_execz .LBB8_255
.LBB8_265:
	v_cmp_ne_u32_e32 vcc_lo, 1, v105
	v_lshlrev_b64 v[44:45], 2, v[66:67]
	s_cbranch_vccnz .LBB8_267
; %bb.266:
	s_delay_alu instid0(VALU_DEP_1) | instskip(NEXT) | instid1(VALU_DEP_2)
	v_add_co_u32 v50, vcc_lo, v48, v44
	v_add_co_ci_u32_e32 v51, vcc_lo, v49, v45, vcc_lo
	flat_load_b32 v50, v[50:51]
	s_waitcnt vmcnt(0) lgkmcnt(0)
	v_mul_f32_e32 v50, s15, v50
	s_branch .LBB8_268
.LBB8_267:
	v_mov_b32_e32 v50, 0
.LBB8_268:
	v_dual_add_f32 v51, v29, v41 :: v_dual_add_f32 v52, v28, v40
	v_dual_add_f32 v53, v31, v43 :: v_dual_add_f32 v54, v30, v42
	s_delay_alu instid0(VALU_DEP_4) | instskip(NEXT) | instid1(VALU_DEP_3)
	v_add_co_u32 v44, vcc_lo, v46, v44
	v_min3_f32 v51, v52, v51, v104
	v_add_co_ci_u32_e32 v45, vcc_lo, v47, v45, vcc_lo
	s_delay_alu instid0(VALU_DEP_4) | instskip(NEXT) | instid1(VALU_DEP_1)
	v_min_f32_e32 v52, v54, v53
	v_min3_f32 v50, v50, v52, v51
	global_store_b32 v[44:45], v50, off
	s_or_b32 exec_lo, exec_lo, s14
	s_and_b32 s16, s2, s8
	s_delay_alu instid0(SALU_CYCLE_1)
	s_and_saveexec_b32 s14, s16
	s_cbranch_execz .LBB8_256
.LBB8_269:
	v_cmp_ne_u32_e32 vcc_lo, 1, v105
	v_lshlrev_b64 v[44:45], 2, v[68:69]
	s_cbranch_vccnz .LBB8_271
; %bb.270:
	s_delay_alu instid0(VALU_DEP_1) | instskip(NEXT) | instid1(VALU_DEP_2)
	v_add_co_u32 v50, vcc_lo, v48, v44
	v_add_co_ci_u32_e32 v51, vcc_lo, v49, v45, vcc_lo
	flat_load_b32 v50, v[50:51]
	s_waitcnt vmcnt(0) lgkmcnt(0)
	v_mul_f32_e32 v50, s15, v50
	s_branch .LBB8_272
.LBB8_271:
	v_mov_b32_e32 v50, 0
.LBB8_272:
	v_dual_add_f32 v51, v25, v41 :: v_dual_add_f32 v52, v24, v40
	v_dual_add_f32 v53, v27, v43 :: v_dual_add_f32 v54, v26, v42
	s_delay_alu instid0(VALU_DEP_4) | instskip(NEXT) | instid1(VALU_DEP_3)
	v_add_co_u32 v44, vcc_lo, v46, v44
	v_min3_f32 v51, v52, v51, v103
	v_add_co_ci_u32_e32 v45, vcc_lo, v47, v45, vcc_lo
	s_delay_alu instid0(VALU_DEP_4) | instskip(NEXT) | instid1(VALU_DEP_1)
	v_min_f32_e32 v52, v54, v53
	v_min3_f32 v50, v50, v52, v51
	global_store_b32 v[44:45], v50, off
	s_or_b32 exec_lo, exec_lo, s14
	s_and_b32 s16, s3, s8
	s_delay_alu instid0(SALU_CYCLE_1)
	s_and_saveexec_b32 s14, s16
	s_cbranch_execz .LBB8_257
.LBB8_273:
	v_cmp_ne_u32_e32 vcc_lo, 1, v105
	v_lshlrev_b64 v[44:45], 2, v[70:71]
	s_cbranch_vccnz .LBB8_275
; %bb.274:
	s_delay_alu instid0(VALU_DEP_1) | instskip(NEXT) | instid1(VALU_DEP_2)
	v_add_co_u32 v50, vcc_lo, v48, v44
	v_add_co_ci_u32_e32 v51, vcc_lo, v49, v45, vcc_lo
	flat_load_b32 v50, v[50:51]
	s_waitcnt vmcnt(0) lgkmcnt(0)
	v_mul_f32_e32 v50, s15, v50
	s_branch .LBB8_276
.LBB8_275:
	v_mov_b32_e32 v50, 0
.LBB8_276:
	v_dual_add_f32 v51, v21, v41 :: v_dual_add_f32 v52, v20, v40
	v_dual_add_f32 v53, v23, v43 :: v_dual_add_f32 v54, v22, v42
	s_delay_alu instid0(VALU_DEP_4) | instskip(NEXT) | instid1(VALU_DEP_3)
	v_add_co_u32 v44, vcc_lo, v46, v44
	v_min3_f32 v51, v52, v51, v102
	v_add_co_ci_u32_e32 v45, vcc_lo, v47, v45, vcc_lo
	s_delay_alu instid0(VALU_DEP_4) | instskip(NEXT) | instid1(VALU_DEP_1)
	v_min_f32_e32 v52, v54, v53
	v_min3_f32 v50, v50, v52, v51
	global_store_b32 v[44:45], v50, off
	s_or_b32 exec_lo, exec_lo, s14
	s_and_b32 s16, s4, s8
	s_delay_alu instid0(SALU_CYCLE_1)
	s_and_saveexec_b32 s14, s16
	s_cbranch_execz .LBB8_258
.LBB8_277:
	v_cmp_ne_u32_e32 vcc_lo, 1, v105
	v_lshlrev_b64 v[44:45], 2, v[72:73]
	s_cbranch_vccnz .LBB8_279
; %bb.278:
	s_delay_alu instid0(VALU_DEP_1) | instskip(NEXT) | instid1(VALU_DEP_2)
	v_add_co_u32 v50, vcc_lo, v48, v44
	v_add_co_ci_u32_e32 v51, vcc_lo, v49, v45, vcc_lo
	flat_load_b32 v50, v[50:51]
	s_waitcnt vmcnt(0) lgkmcnt(0)
	v_mul_f32_e32 v50, s15, v50
	s_branch .LBB8_280
.LBB8_279:
	v_mov_b32_e32 v50, 0
.LBB8_280:
	v_dual_add_f32 v51, v17, v41 :: v_dual_add_f32 v52, v16, v40
	v_dual_add_f32 v53, v19, v43 :: v_dual_add_f32 v54, v18, v42
	s_delay_alu instid0(VALU_DEP_4) | instskip(NEXT) | instid1(VALU_DEP_3)
	v_add_co_u32 v44, vcc_lo, v46, v44
	v_min3_f32 v51, v52, v51, v101
	v_add_co_ci_u32_e32 v45, vcc_lo, v47, v45, vcc_lo
	s_delay_alu instid0(VALU_DEP_4) | instskip(NEXT) | instid1(VALU_DEP_1)
	v_min_f32_e32 v52, v54, v53
	v_min3_f32 v50, v50, v52, v51
	global_store_b32 v[44:45], v50, off
	s_or_b32 exec_lo, exec_lo, s14
	s_and_b32 s16, s5, s8
	s_delay_alu instid0(SALU_CYCLE_1)
	s_and_saveexec_b32 s14, s16
	s_cbranch_execz .LBB8_259
.LBB8_281:
	v_cmp_ne_u32_e32 vcc_lo, 1, v105
	v_lshlrev_b64 v[44:45], 2, v[74:75]
	s_cbranch_vccnz .LBB8_283
; %bb.282:
	s_delay_alu instid0(VALU_DEP_1) | instskip(NEXT) | instid1(VALU_DEP_2)
	v_add_co_u32 v50, vcc_lo, v48, v44
	v_add_co_ci_u32_e32 v51, vcc_lo, v49, v45, vcc_lo
	flat_load_b32 v50, v[50:51]
	s_waitcnt vmcnt(0) lgkmcnt(0)
	v_mul_f32_e32 v50, s15, v50
	s_branch .LBB8_284
.LBB8_283:
	v_mov_b32_e32 v50, 0
.LBB8_284:
	v_dual_add_f32 v51, v13, v41 :: v_dual_add_f32 v52, v12, v40
	v_dual_add_f32 v53, v15, v43 :: v_dual_add_f32 v54, v14, v42
	s_delay_alu instid0(VALU_DEP_4) | instskip(NEXT) | instid1(VALU_DEP_3)
	v_add_co_u32 v44, vcc_lo, v46, v44
	v_min3_f32 v51, v52, v51, v100
	v_add_co_ci_u32_e32 v45, vcc_lo, v47, v45, vcc_lo
	s_delay_alu instid0(VALU_DEP_4) | instskip(NEXT) | instid1(VALU_DEP_1)
	v_min_f32_e32 v52, v54, v53
	v_min3_f32 v50, v50, v52, v51
	global_store_b32 v[44:45], v50, off
	s_or_b32 exec_lo, exec_lo, s14
	s_and_b32 s16, s6, s8
	s_delay_alu instid0(SALU_CYCLE_1)
	s_and_saveexec_b32 s14, s16
	s_cbranch_execz .LBB8_260
.LBB8_285:
	v_cmp_ne_u32_e32 vcc_lo, 1, v105
	v_lshlrev_b64 v[44:45], 2, v[76:77]
	s_cbranch_vccnz .LBB8_287
; %bb.286:
	s_delay_alu instid0(VALU_DEP_1) | instskip(NEXT) | instid1(VALU_DEP_2)
	v_add_co_u32 v50, vcc_lo, v48, v44
	v_add_co_ci_u32_e32 v51, vcc_lo, v49, v45, vcc_lo
	flat_load_b32 v50, v[50:51]
	s_waitcnt vmcnt(0) lgkmcnt(0)
	v_mul_f32_e32 v50, s15, v50
	s_branch .LBB8_288
.LBB8_287:
	v_mov_b32_e32 v50, 0
.LBB8_288:
	v_dual_add_f32 v51, v9, v41 :: v_dual_add_f32 v52, v8, v40
	v_dual_add_f32 v53, v11, v43 :: v_dual_add_f32 v54, v10, v42
	s_delay_alu instid0(VALU_DEP_4) | instskip(NEXT) | instid1(VALU_DEP_3)
	v_add_co_u32 v44, vcc_lo, v46, v44
	v_min3_f32 v51, v52, v51, v99
	v_add_co_ci_u32_e32 v45, vcc_lo, v47, v45, vcc_lo
	s_delay_alu instid0(VALU_DEP_4) | instskip(NEXT) | instid1(VALU_DEP_1)
	v_min_f32_e32 v52, v54, v53
	v_min3_f32 v50, v50, v52, v51
	global_store_b32 v[44:45], v50, off
	s_or_b32 exec_lo, exec_lo, s14
	s_and_b32 s14, s7, s8
	s_delay_alu instid0(SALU_CYCLE_1)
	s_and_saveexec_b32 s8, s14
	s_cbranch_execz .LBB8_293
.LBB8_289:
	v_cmp_ne_u32_e32 vcc_lo, 1, v105
	v_lshlrev_b64 v[44:45], 2, v[78:79]
	s_cbranch_vccnz .LBB8_291
; %bb.290:
	s_delay_alu instid0(VALU_DEP_1) | instskip(NEXT) | instid1(VALU_DEP_2)
	v_add_co_u32 v48, vcc_lo, v48, v44
	v_add_co_ci_u32_e32 v49, vcc_lo, v49, v45, vcc_lo
	flat_load_b32 v48, v[48:49]
	s_waitcnt vmcnt(0) lgkmcnt(0)
	v_mul_f32_e32 v48, s15, v48
	s_branch .LBB8_292
.LBB8_291:
	v_mov_b32_e32 v48, 0
.LBB8_292:
	v_dual_add_f32 v41, v1, v41 :: v_dual_add_f32 v40, v0, v40
	v_dual_add_f32 v43, v3, v43 :: v_dual_add_f32 v42, v2, v42
	s_delay_alu instid0(VALU_DEP_2) | instskip(NEXT) | instid1(VALU_DEP_2)
	v_min3_f32 v40, v40, v41, v98
	v_min_f32_e32 v41, v42, v43
	s_delay_alu instid0(VALU_DEP_1)
	v_min3_f32 v42, v48, v41, v40
	v_add_co_u32 v40, vcc_lo, v46, v44
	v_add_co_ci_u32_e32 v41, vcc_lo, v47, v45, vcc_lo
	global_store_b32 v[40:41], v42, off
.LBB8_293:
	s_or_b32 exec_lo, exec_lo, s8
	v_add_nc_u32_e32 v44, 48, v113
	s_delay_alu instid0(VALU_DEP_1) | instskip(SKIP_2) | instid1(VALU_DEP_3)
	v_mad_i64_i32 v[40:41], null, v44, s18, 0
	v_mad_i64_i32 v[42:43], null, v44, s9, 0
	v_cmp_gt_i32_e64 s8, s17, v44
	v_lshlrev_b64 v[40:41], 2, v[40:41]
	s_delay_alu instid0(VALU_DEP_2) | instskip(NEXT) | instid1(VALU_DEP_3)
	s_and_b32 s16, s0, s8
	v_lshlrev_b64 v[42:43], 2, v[42:43]
	s_delay_alu instid0(VALU_DEP_2) | instskip(NEXT) | instid1(VALU_DEP_3)
	v_add_co_u32 v44, vcc_lo, s10, v40
	v_add_co_ci_u32_e32 v45, vcc_lo, s11, v41, vcc_lo
	s_delay_alu instid0(VALU_DEP_3) | instskip(NEXT) | instid1(VALU_DEP_4)
	v_add_co_u32 v42, vcc_lo, s12, v42
	v_add_co_ci_u32_e32 v43, vcc_lo, s13, v43, vcc_lo
	s_and_saveexec_b32 s14, s16
	s_cbranch_execnz .LBB8_301
; %bb.294:
	s_or_b32 exec_lo, exec_lo, s14
	s_and_b32 s16, s1, s8
	s_delay_alu instid0(SALU_CYCLE_1)
	s_and_saveexec_b32 s14, s16
	s_cbranch_execnz .LBB8_305
.LBB8_295:
	s_or_b32 exec_lo, exec_lo, s14
	s_and_b32 s16, s2, s8
	s_delay_alu instid0(SALU_CYCLE_1)
	s_and_saveexec_b32 s14, s16
	s_cbranch_execnz .LBB8_309
.LBB8_296:
	s_or_b32 exec_lo, exec_lo, s14
	s_and_b32 s16, s3, s8
	s_delay_alu instid0(SALU_CYCLE_1)
	s_and_saveexec_b32 s14, s16
	s_cbranch_execnz .LBB8_313
.LBB8_297:
	s_or_b32 exec_lo, exec_lo, s14
	s_and_b32 s16, s4, s8
	s_delay_alu instid0(SALU_CYCLE_1)
	s_and_saveexec_b32 s14, s16
	s_cbranch_execnz .LBB8_317
.LBB8_298:
	s_or_b32 exec_lo, exec_lo, s14
	s_and_b32 s16, s5, s8
	s_delay_alu instid0(SALU_CYCLE_1)
	s_and_saveexec_b32 s14, s16
	s_cbranch_execnz .LBB8_321
.LBB8_299:
	s_or_b32 exec_lo, exec_lo, s14
	s_and_b32 s16, s6, s8
	s_delay_alu instid0(SALU_CYCLE_1)
	s_and_saveexec_b32 s14, s16
	s_cbranch_execnz .LBB8_325
.LBB8_300:
	s_or_b32 exec_lo, exec_lo, s14
	s_and_b32 s14, s7, s8
	s_delay_alu instid0(SALU_CYCLE_1)
	s_and_saveexec_b32 s8, s14
	s_cbranch_execnz .LBB8_329
	s_branch .LBB8_333
.LBB8_301:
	v_cmp_ne_u32_e32 vcc_lo, 1, v105
	v_lshlrev_b64 v[40:41], 2, v[64:65]
	s_cbranch_vccnz .LBB8_303
; %bb.302:
	s_delay_alu instid0(VALU_DEP_1) | instskip(NEXT) | instid1(VALU_DEP_2)
	v_add_co_u32 v46, vcc_lo, v44, v40
	v_add_co_ci_u32_e32 v47, vcc_lo, v45, v41, vcc_lo
	flat_load_b32 v46, v[46:47]
	s_waitcnt vmcnt(0) lgkmcnt(0)
	v_mul_f32_e32 v46, s15, v46
	s_branch .LBB8_304
.LBB8_303:
	v_mov_b32_e32 v46, 0
.LBB8_304:
	v_dual_add_f32 v47, v33, v37 :: v_dual_add_f32 v48, v32, v36
	v_dual_add_f32 v49, v35, v39 :: v_dual_add_f32 v50, v34, v38
	s_delay_alu instid0(VALU_DEP_4) | instskip(NEXT) | instid1(VALU_DEP_3)
	v_add_co_u32 v40, vcc_lo, v42, v40
	v_min3_f32 v47, v48, v47, v97
	v_add_co_ci_u32_e32 v41, vcc_lo, v43, v41, vcc_lo
	s_delay_alu instid0(VALU_DEP_4) | instskip(NEXT) | instid1(VALU_DEP_1)
	v_min_f32_e32 v48, v50, v49
	v_min3_f32 v46, v46, v48, v47
	global_store_b32 v[40:41], v46, off
	s_or_b32 exec_lo, exec_lo, s14
	s_and_b32 s16, s1, s8
	s_delay_alu instid0(SALU_CYCLE_1)
	s_and_saveexec_b32 s14, s16
	s_cbranch_execz .LBB8_295
.LBB8_305:
	v_cmp_ne_u32_e32 vcc_lo, 1, v105
	v_lshlrev_b64 v[40:41], 2, v[66:67]
	s_cbranch_vccnz .LBB8_307
; %bb.306:
	s_delay_alu instid0(VALU_DEP_1) | instskip(NEXT) | instid1(VALU_DEP_2)
	v_add_co_u32 v46, vcc_lo, v44, v40
	v_add_co_ci_u32_e32 v47, vcc_lo, v45, v41, vcc_lo
	flat_load_b32 v46, v[46:47]
	s_waitcnt vmcnt(0) lgkmcnt(0)
	v_mul_f32_e32 v46, s15, v46
	s_branch .LBB8_308
.LBB8_307:
	v_mov_b32_e32 v46, 0
.LBB8_308:
	v_dual_add_f32 v47, v29, v37 :: v_dual_add_f32 v48, v28, v36
	v_dual_add_f32 v49, v31, v39 :: v_dual_add_f32 v50, v30, v38
	s_delay_alu instid0(VALU_DEP_4) | instskip(NEXT) | instid1(VALU_DEP_3)
	v_add_co_u32 v40, vcc_lo, v42, v40
	v_min3_f32 v47, v48, v47, v96
	v_add_co_ci_u32_e32 v41, vcc_lo, v43, v41, vcc_lo
	s_delay_alu instid0(VALU_DEP_4) | instskip(NEXT) | instid1(VALU_DEP_1)
	v_min_f32_e32 v48, v50, v49
	v_min3_f32 v46, v46, v48, v47
	global_store_b32 v[40:41], v46, off
	s_or_b32 exec_lo, exec_lo, s14
	s_and_b32 s16, s2, s8
	s_delay_alu instid0(SALU_CYCLE_1)
	s_and_saveexec_b32 s14, s16
	s_cbranch_execz .LBB8_296
.LBB8_309:
	v_cmp_ne_u32_e32 vcc_lo, 1, v105
	v_lshlrev_b64 v[40:41], 2, v[68:69]
	s_cbranch_vccnz .LBB8_311
; %bb.310:
	s_delay_alu instid0(VALU_DEP_1) | instskip(NEXT) | instid1(VALU_DEP_2)
	v_add_co_u32 v46, vcc_lo, v44, v40
	v_add_co_ci_u32_e32 v47, vcc_lo, v45, v41, vcc_lo
	flat_load_b32 v46, v[46:47]
	s_waitcnt vmcnt(0) lgkmcnt(0)
	v_mul_f32_e32 v46, s15, v46
	s_branch .LBB8_312
.LBB8_311:
	v_mov_b32_e32 v46, 0
.LBB8_312:
	v_dual_add_f32 v47, v25, v37 :: v_dual_add_f32 v48, v24, v36
	v_dual_add_f32 v49, v27, v39 :: v_dual_add_f32 v50, v26, v38
	s_delay_alu instid0(VALU_DEP_4) | instskip(NEXT) | instid1(VALU_DEP_3)
	v_add_co_u32 v40, vcc_lo, v42, v40
	v_min3_f32 v47, v48, v47, v95
	v_add_co_ci_u32_e32 v41, vcc_lo, v43, v41, vcc_lo
	s_delay_alu instid0(VALU_DEP_4) | instskip(NEXT) | instid1(VALU_DEP_1)
	v_min_f32_e32 v48, v50, v49
	v_min3_f32 v46, v46, v48, v47
	global_store_b32 v[40:41], v46, off
	s_or_b32 exec_lo, exec_lo, s14
	s_and_b32 s16, s3, s8
	s_delay_alu instid0(SALU_CYCLE_1)
	s_and_saveexec_b32 s14, s16
	s_cbranch_execz .LBB8_297
.LBB8_313:
	v_cmp_ne_u32_e32 vcc_lo, 1, v105
	v_lshlrev_b64 v[40:41], 2, v[70:71]
	s_cbranch_vccnz .LBB8_315
; %bb.314:
	s_delay_alu instid0(VALU_DEP_1) | instskip(NEXT) | instid1(VALU_DEP_2)
	v_add_co_u32 v46, vcc_lo, v44, v40
	v_add_co_ci_u32_e32 v47, vcc_lo, v45, v41, vcc_lo
	flat_load_b32 v46, v[46:47]
	s_waitcnt vmcnt(0) lgkmcnt(0)
	v_mul_f32_e32 v46, s15, v46
	s_branch .LBB8_316
.LBB8_315:
	v_mov_b32_e32 v46, 0
.LBB8_316:
	v_dual_add_f32 v47, v21, v37 :: v_dual_add_f32 v48, v20, v36
	v_dual_add_f32 v49, v23, v39 :: v_dual_add_f32 v50, v22, v38
	s_delay_alu instid0(VALU_DEP_4) | instskip(NEXT) | instid1(VALU_DEP_3)
	v_add_co_u32 v40, vcc_lo, v42, v40
	v_min3_f32 v47, v48, v47, v94
	v_add_co_ci_u32_e32 v41, vcc_lo, v43, v41, vcc_lo
	s_delay_alu instid0(VALU_DEP_4) | instskip(NEXT) | instid1(VALU_DEP_1)
	v_min_f32_e32 v48, v50, v49
	v_min3_f32 v46, v46, v48, v47
	global_store_b32 v[40:41], v46, off
	s_or_b32 exec_lo, exec_lo, s14
	s_and_b32 s16, s4, s8
	s_delay_alu instid0(SALU_CYCLE_1)
	s_and_saveexec_b32 s14, s16
	s_cbranch_execz .LBB8_298
.LBB8_317:
	v_cmp_ne_u32_e32 vcc_lo, 1, v105
	v_lshlrev_b64 v[40:41], 2, v[72:73]
	s_cbranch_vccnz .LBB8_319
; %bb.318:
	s_delay_alu instid0(VALU_DEP_1) | instskip(NEXT) | instid1(VALU_DEP_2)
	v_add_co_u32 v46, vcc_lo, v44, v40
	v_add_co_ci_u32_e32 v47, vcc_lo, v45, v41, vcc_lo
	flat_load_b32 v46, v[46:47]
	s_waitcnt vmcnt(0) lgkmcnt(0)
	v_mul_f32_e32 v46, s15, v46
	s_branch .LBB8_320
.LBB8_319:
	v_mov_b32_e32 v46, 0
.LBB8_320:
	v_dual_add_f32 v47, v17, v37 :: v_dual_add_f32 v48, v16, v36
	v_dual_add_f32 v49, v19, v39 :: v_dual_add_f32 v50, v18, v38
	s_delay_alu instid0(VALU_DEP_4) | instskip(NEXT) | instid1(VALU_DEP_3)
	v_add_co_u32 v40, vcc_lo, v42, v40
	v_min3_f32 v47, v48, v47, v93
	v_add_co_ci_u32_e32 v41, vcc_lo, v43, v41, vcc_lo
	s_delay_alu instid0(VALU_DEP_4) | instskip(NEXT) | instid1(VALU_DEP_1)
	v_min_f32_e32 v48, v50, v49
	v_min3_f32 v46, v46, v48, v47
	global_store_b32 v[40:41], v46, off
	s_or_b32 exec_lo, exec_lo, s14
	s_and_b32 s16, s5, s8
	s_delay_alu instid0(SALU_CYCLE_1)
	s_and_saveexec_b32 s14, s16
	s_cbranch_execz .LBB8_299
.LBB8_321:
	v_cmp_ne_u32_e32 vcc_lo, 1, v105
	v_lshlrev_b64 v[40:41], 2, v[74:75]
	s_cbranch_vccnz .LBB8_323
; %bb.322:
	s_delay_alu instid0(VALU_DEP_1) | instskip(NEXT) | instid1(VALU_DEP_2)
	v_add_co_u32 v46, vcc_lo, v44, v40
	v_add_co_ci_u32_e32 v47, vcc_lo, v45, v41, vcc_lo
	flat_load_b32 v46, v[46:47]
	s_waitcnt vmcnt(0) lgkmcnt(0)
	v_mul_f32_e32 v46, s15, v46
	s_branch .LBB8_324
.LBB8_323:
	v_mov_b32_e32 v46, 0
.LBB8_324:
	v_dual_add_f32 v47, v13, v37 :: v_dual_add_f32 v48, v12, v36
	v_dual_add_f32 v49, v15, v39 :: v_dual_add_f32 v50, v14, v38
	s_delay_alu instid0(VALU_DEP_4) | instskip(NEXT) | instid1(VALU_DEP_3)
	v_add_co_u32 v40, vcc_lo, v42, v40
	v_min3_f32 v47, v48, v47, v92
	v_add_co_ci_u32_e32 v41, vcc_lo, v43, v41, vcc_lo
	s_delay_alu instid0(VALU_DEP_4) | instskip(NEXT) | instid1(VALU_DEP_1)
	v_min_f32_e32 v48, v50, v49
	v_min3_f32 v46, v46, v48, v47
	global_store_b32 v[40:41], v46, off
	s_or_b32 exec_lo, exec_lo, s14
	s_and_b32 s16, s6, s8
	s_delay_alu instid0(SALU_CYCLE_1)
	s_and_saveexec_b32 s14, s16
	s_cbranch_execz .LBB8_300
.LBB8_325:
	v_cmp_ne_u32_e32 vcc_lo, 1, v105
	v_lshlrev_b64 v[40:41], 2, v[76:77]
	s_cbranch_vccnz .LBB8_327
; %bb.326:
	s_delay_alu instid0(VALU_DEP_1) | instskip(NEXT) | instid1(VALU_DEP_2)
	v_add_co_u32 v46, vcc_lo, v44, v40
	v_add_co_ci_u32_e32 v47, vcc_lo, v45, v41, vcc_lo
	flat_load_b32 v46, v[46:47]
	s_waitcnt vmcnt(0) lgkmcnt(0)
	v_mul_f32_e32 v46, s15, v46
	s_branch .LBB8_328
.LBB8_327:
	v_mov_b32_e32 v46, 0
.LBB8_328:
	v_dual_add_f32 v47, v9, v37 :: v_dual_add_f32 v48, v8, v36
	v_dual_add_f32 v49, v11, v39 :: v_dual_add_f32 v50, v10, v38
	s_delay_alu instid0(VALU_DEP_4) | instskip(NEXT) | instid1(VALU_DEP_3)
	v_add_co_u32 v40, vcc_lo, v42, v40
	v_min3_f32 v47, v48, v47, v91
	v_add_co_ci_u32_e32 v41, vcc_lo, v43, v41, vcc_lo
	s_delay_alu instid0(VALU_DEP_4) | instskip(NEXT) | instid1(VALU_DEP_1)
	v_min_f32_e32 v48, v50, v49
	v_min3_f32 v46, v46, v48, v47
	global_store_b32 v[40:41], v46, off
	s_or_b32 exec_lo, exec_lo, s14
	s_and_b32 s14, s7, s8
	s_delay_alu instid0(SALU_CYCLE_1)
	s_and_saveexec_b32 s8, s14
	s_cbranch_execz .LBB8_333
.LBB8_329:
	v_cmp_ne_u32_e32 vcc_lo, 1, v105
	v_lshlrev_b64 v[40:41], 2, v[78:79]
	s_cbranch_vccnz .LBB8_331
; %bb.330:
	s_delay_alu instid0(VALU_DEP_1) | instskip(NEXT) | instid1(VALU_DEP_2)
	v_add_co_u32 v44, vcc_lo, v44, v40
	v_add_co_ci_u32_e32 v45, vcc_lo, v45, v41, vcc_lo
	flat_load_b32 v44, v[44:45]
	s_waitcnt vmcnt(0) lgkmcnt(0)
	v_mul_f32_e32 v44, s15, v44
	s_branch .LBB8_332
.LBB8_331:
	v_mov_b32_e32 v44, 0
.LBB8_332:
	v_dual_add_f32 v37, v1, v37 :: v_dual_add_f32 v36, v0, v36
	v_dual_add_f32 v39, v3, v39 :: v_dual_add_f32 v38, v2, v38
	s_delay_alu instid0(VALU_DEP_2) | instskip(NEXT) | instid1(VALU_DEP_2)
	v_min3_f32 v36, v36, v37, v90
	v_min_f32_e32 v37, v38, v39
	s_delay_alu instid0(VALU_DEP_1)
	v_min3_f32 v38, v44, v37, v36
	v_add_co_u32 v36, vcc_lo, v42, v40
	v_add_co_ci_u32_e32 v37, vcc_lo, v43, v41, vcc_lo
	global_store_b32 v[36:37], v38, off
.LBB8_333:
	s_or_b32 exec_lo, exec_lo, s8
	v_add_nc_u32_e32 v40, 56, v113
	s_delay_alu instid0(VALU_DEP_1) | instskip(SKIP_2) | instid1(VALU_DEP_3)
	v_mad_i64_i32 v[36:37], null, v40, s18, 0
	v_mad_i64_i32 v[38:39], null, v40, s9, 0
	v_cmp_gt_i32_e64 s8, s17, v40
	v_lshlrev_b64 v[36:37], 2, v[36:37]
	s_delay_alu instid0(VALU_DEP_2) | instskip(NEXT) | instid1(VALU_DEP_3)
	s_and_b32 s9, s0, s8
	v_lshlrev_b64 v[38:39], 2, v[38:39]
	s_delay_alu instid0(VALU_DEP_2) | instskip(NEXT) | instid1(VALU_DEP_3)
	v_add_co_u32 v40, vcc_lo, s10, v36
	v_add_co_ci_u32_e32 v41, vcc_lo, s11, v37, vcc_lo
	s_delay_alu instid0(VALU_DEP_3) | instskip(NEXT) | instid1(VALU_DEP_4)
	v_add_co_u32 v38, vcc_lo, s12, v38
	v_add_co_ci_u32_e32 v39, vcc_lo, s13, v39, vcc_lo
	s_and_saveexec_b32 s0, s9
	s_cbranch_execnz .LBB8_342
; %bb.334:
	s_or_b32 exec_lo, exec_lo, s0
	s_and_b32 s1, s1, s8
	s_delay_alu instid0(SALU_CYCLE_1)
	s_and_saveexec_b32 s0, s1
	s_cbranch_execnz .LBB8_346
.LBB8_335:
	s_or_b32 exec_lo, exec_lo, s0
	s_and_b32 s1, s2, s8
	s_delay_alu instid0(SALU_CYCLE_1)
	s_and_saveexec_b32 s0, s1
	s_cbranch_execnz .LBB8_350
.LBB8_336:
	s_or_b32 exec_lo, exec_lo, s0
	s_and_b32 s1, s3, s8
	s_delay_alu instid0(SALU_CYCLE_1)
	s_and_saveexec_b32 s0, s1
	s_cbranch_execnz .LBB8_354
.LBB8_337:
	s_or_b32 exec_lo, exec_lo, s0
	s_and_b32 s1, s4, s8
	s_delay_alu instid0(SALU_CYCLE_1)
	s_and_saveexec_b32 s0, s1
	s_cbranch_execnz .LBB8_358
.LBB8_338:
	s_or_b32 exec_lo, exec_lo, s0
	s_and_b32 s1, s5, s8
	s_delay_alu instid0(SALU_CYCLE_1)
	s_and_saveexec_b32 s0, s1
	s_cbranch_execnz .LBB8_362
.LBB8_339:
	s_or_b32 exec_lo, exec_lo, s0
	s_and_b32 s1, s6, s8
	s_delay_alu instid0(SALU_CYCLE_1)
	s_and_saveexec_b32 s0, s1
	s_cbranch_execnz .LBB8_366
.LBB8_340:
	s_or_b32 exec_lo, exec_lo, s0
	s_and_b32 s0, s7, s8
	s_delay_alu instid0(SALU_CYCLE_1)
	s_and_saveexec_b32 s1, s0
	s_cbranch_execnz .LBB8_370
.LBB8_341:
	s_nop 0
	s_sendmsg sendmsg(MSG_DEALLOC_VGPRS)
	s_endpgm
.LBB8_342:
	v_cmp_ne_u32_e32 vcc_lo, 1, v105
	v_lshlrev_b64 v[36:37], 2, v[64:65]
	s_cbranch_vccnz .LBB8_344
; %bb.343:
	s_delay_alu instid0(VALU_DEP_1) | instskip(NEXT) | instid1(VALU_DEP_2)
	v_add_co_u32 v42, vcc_lo, v40, v36
	v_add_co_ci_u32_e32 v43, vcc_lo, v41, v37, vcc_lo
	flat_load_b32 v42, v[42:43]
	s_waitcnt vmcnt(0) lgkmcnt(0)
	v_mul_f32_e32 v42, s15, v42
	s_branch .LBB8_345
.LBB8_344:
	v_mov_b32_e32 v42, 0
.LBB8_345:
	v_dual_add_f32 v33, v33, v5 :: v_dual_add_f32 v32, v32, v4
	v_dual_add_f32 v35, v35, v7 :: v_dual_add_f32 v34, v34, v6
	s_delay_alu instid0(VALU_DEP_2) | instskip(NEXT) | instid1(VALU_DEP_2)
	v_min3_f32 v32, v32, v33, v89
	v_min_f32_e32 v33, v34, v35
	s_delay_alu instid0(VALU_DEP_1)
	v_min3_f32 v34, v42, v33, v32
	v_add_co_u32 v32, vcc_lo, v38, v36
	v_add_co_ci_u32_e32 v33, vcc_lo, v39, v37, vcc_lo
	global_store_b32 v[32:33], v34, off
	s_or_b32 exec_lo, exec_lo, s0
	s_and_b32 s1, s1, s8
	s_delay_alu instid0(SALU_CYCLE_1)
	s_and_saveexec_b32 s0, s1
	s_cbranch_execz .LBB8_335
.LBB8_346:
	v_cmp_ne_u32_e32 vcc_lo, 1, v105
	v_lshlrev_b64 v[32:33], 2, v[66:67]
	s_cbranch_vccnz .LBB8_348
; %bb.347:
	s_delay_alu instid0(VALU_DEP_1) | instskip(NEXT) | instid1(VALU_DEP_2)
	v_add_co_u32 v34, vcc_lo, v40, v32
	v_add_co_ci_u32_e32 v35, vcc_lo, v41, v33, vcc_lo
	flat_load_b32 v34, v[34:35]
	s_waitcnt vmcnt(0) lgkmcnt(0)
	v_mul_f32_e32 v34, s15, v34
	s_branch .LBB8_349
.LBB8_348:
	v_mov_b32_e32 v34, 0
.LBB8_349:
	v_dual_add_f32 v29, v29, v5 :: v_dual_add_f32 v28, v28, v4
	v_dual_add_f32 v31, v31, v7 :: v_dual_add_f32 v30, v30, v6
	s_delay_alu instid0(VALU_DEP_2) | instskip(NEXT) | instid1(VALU_DEP_2)
	v_min3_f32 v28, v28, v29, v88
	v_min_f32_e32 v29, v30, v31
	s_delay_alu instid0(VALU_DEP_1)
	v_min3_f32 v30, v34, v29, v28
	v_add_co_u32 v28, vcc_lo, v38, v32
	v_add_co_ci_u32_e32 v29, vcc_lo, v39, v33, vcc_lo
	global_store_b32 v[28:29], v30, off
	s_or_b32 exec_lo, exec_lo, s0
	s_and_b32 s1, s2, s8
	s_delay_alu instid0(SALU_CYCLE_1)
	s_and_saveexec_b32 s0, s1
	s_cbranch_execz .LBB8_336
.LBB8_350:
	v_cmp_ne_u32_e32 vcc_lo, 1, v105
	v_lshlrev_b64 v[28:29], 2, v[68:69]
	s_cbranch_vccnz .LBB8_352
; %bb.351:
	s_delay_alu instid0(VALU_DEP_1) | instskip(NEXT) | instid1(VALU_DEP_2)
	v_add_co_u32 v30, vcc_lo, v40, v28
	v_add_co_ci_u32_e32 v31, vcc_lo, v41, v29, vcc_lo
	flat_load_b32 v30, v[30:31]
	s_waitcnt vmcnt(0) lgkmcnt(0)
	v_mul_f32_e32 v30, s15, v30
	s_branch .LBB8_353
.LBB8_352:
	v_mov_b32_e32 v30, 0
.LBB8_353:
	v_dual_add_f32 v25, v25, v5 :: v_dual_add_f32 v24, v24, v4
	v_dual_add_f32 v27, v27, v7 :: v_dual_add_f32 v26, v26, v6
	s_delay_alu instid0(VALU_DEP_2) | instskip(NEXT) | instid1(VALU_DEP_2)
	v_min3_f32 v24, v24, v25, v87
	v_min_f32_e32 v25, v26, v27
	s_delay_alu instid0(VALU_DEP_1)
	v_min3_f32 v26, v30, v25, v24
	v_add_co_u32 v24, vcc_lo, v38, v28
	v_add_co_ci_u32_e32 v25, vcc_lo, v39, v29, vcc_lo
	global_store_b32 v[24:25], v26, off
	s_or_b32 exec_lo, exec_lo, s0
	s_and_b32 s1, s3, s8
	s_delay_alu instid0(SALU_CYCLE_1)
	s_and_saveexec_b32 s0, s1
	s_cbranch_execz .LBB8_337
.LBB8_354:
	v_cmp_ne_u32_e32 vcc_lo, 1, v105
	v_lshlrev_b64 v[24:25], 2, v[70:71]
	s_cbranch_vccnz .LBB8_356
; %bb.355:
	s_delay_alu instid0(VALU_DEP_1) | instskip(NEXT) | instid1(VALU_DEP_2)
	v_add_co_u32 v26, vcc_lo, v40, v24
	v_add_co_ci_u32_e32 v27, vcc_lo, v41, v25, vcc_lo
	flat_load_b32 v26, v[26:27]
	s_waitcnt vmcnt(0) lgkmcnt(0)
	v_mul_f32_e32 v26, s15, v26
	s_branch .LBB8_357
.LBB8_356:
	v_mov_b32_e32 v26, 0
.LBB8_357:
	v_dual_add_f32 v21, v21, v5 :: v_dual_add_f32 v20, v20, v4
	v_dual_add_f32 v23, v23, v7 :: v_dual_add_f32 v22, v22, v6
	s_delay_alu instid0(VALU_DEP_2) | instskip(NEXT) | instid1(VALU_DEP_2)
	v_min3_f32 v20, v20, v21, v86
	v_min_f32_e32 v21, v22, v23
	s_delay_alu instid0(VALU_DEP_1)
	v_min3_f32 v22, v26, v21, v20
	v_add_co_u32 v20, vcc_lo, v38, v24
	v_add_co_ci_u32_e32 v21, vcc_lo, v39, v25, vcc_lo
	global_store_b32 v[20:21], v22, off
	s_or_b32 exec_lo, exec_lo, s0
	s_and_b32 s1, s4, s8
	s_delay_alu instid0(SALU_CYCLE_1)
	s_and_saveexec_b32 s0, s1
	s_cbranch_execz .LBB8_338
.LBB8_358:
	v_cmp_ne_u32_e32 vcc_lo, 1, v105
	v_lshlrev_b64 v[20:21], 2, v[72:73]
	s_cbranch_vccnz .LBB8_360
; %bb.359:
	s_delay_alu instid0(VALU_DEP_1) | instskip(NEXT) | instid1(VALU_DEP_2)
	v_add_co_u32 v22, vcc_lo, v40, v20
	v_add_co_ci_u32_e32 v23, vcc_lo, v41, v21, vcc_lo
	flat_load_b32 v22, v[22:23]
	s_waitcnt vmcnt(0) lgkmcnt(0)
	v_mul_f32_e32 v22, s15, v22
	s_branch .LBB8_361
.LBB8_360:
	v_mov_b32_e32 v22, 0
.LBB8_361:
	v_dual_add_f32 v17, v17, v5 :: v_dual_add_f32 v16, v16, v4
	v_dual_add_f32 v19, v19, v7 :: v_dual_add_f32 v18, v18, v6
	s_delay_alu instid0(VALU_DEP_2) | instskip(NEXT) | instid1(VALU_DEP_2)
	v_min3_f32 v16, v16, v17, v85
	v_min_f32_e32 v17, v18, v19
	s_delay_alu instid0(VALU_DEP_1)
	v_min3_f32 v18, v22, v17, v16
	v_add_co_u32 v16, vcc_lo, v38, v20
	v_add_co_ci_u32_e32 v17, vcc_lo, v39, v21, vcc_lo
	global_store_b32 v[16:17], v18, off
	s_or_b32 exec_lo, exec_lo, s0
	s_and_b32 s1, s5, s8
	s_delay_alu instid0(SALU_CYCLE_1)
	s_and_saveexec_b32 s0, s1
	s_cbranch_execz .LBB8_339
.LBB8_362:
	v_cmp_ne_u32_e32 vcc_lo, 1, v105
	v_lshlrev_b64 v[16:17], 2, v[74:75]
	s_cbranch_vccnz .LBB8_364
; %bb.363:
	s_delay_alu instid0(VALU_DEP_1) | instskip(NEXT) | instid1(VALU_DEP_2)
	v_add_co_u32 v18, vcc_lo, v40, v16
	v_add_co_ci_u32_e32 v19, vcc_lo, v41, v17, vcc_lo
	flat_load_b32 v18, v[18:19]
	s_waitcnt vmcnt(0) lgkmcnt(0)
	v_mul_f32_e32 v18, s15, v18
	s_branch .LBB8_365
.LBB8_364:
	v_mov_b32_e32 v18, 0
.LBB8_365:
	v_dual_add_f32 v13, v13, v5 :: v_dual_add_f32 v12, v12, v4
	v_dual_add_f32 v15, v15, v7 :: v_dual_add_f32 v14, v14, v6
	s_delay_alu instid0(VALU_DEP_2) | instskip(NEXT) | instid1(VALU_DEP_2)
	v_min3_f32 v12, v12, v13, v84
	v_min_f32_e32 v13, v14, v15
	s_delay_alu instid0(VALU_DEP_1)
	v_min3_f32 v14, v18, v13, v12
	v_add_co_u32 v12, vcc_lo, v38, v16
	v_add_co_ci_u32_e32 v13, vcc_lo, v39, v17, vcc_lo
	global_store_b32 v[12:13], v14, off
	s_or_b32 exec_lo, exec_lo, s0
	s_and_b32 s1, s6, s8
	s_delay_alu instid0(SALU_CYCLE_1)
	s_and_saveexec_b32 s0, s1
	s_cbranch_execz .LBB8_340
.LBB8_366:
	v_cmp_ne_u32_e32 vcc_lo, 1, v105
	v_lshlrev_b64 v[12:13], 2, v[76:77]
	s_cbranch_vccnz .LBB8_368
; %bb.367:
	s_delay_alu instid0(VALU_DEP_1) | instskip(NEXT) | instid1(VALU_DEP_2)
	v_add_co_u32 v14, vcc_lo, v40, v12
	v_add_co_ci_u32_e32 v15, vcc_lo, v41, v13, vcc_lo
	flat_load_b32 v14, v[14:15]
	s_waitcnt vmcnt(0) lgkmcnt(0)
	v_mul_f32_e32 v14, s15, v14
	s_branch .LBB8_369
.LBB8_368:
	v_mov_b32_e32 v14, 0
.LBB8_369:
	v_dual_add_f32 v9, v9, v5 :: v_dual_add_f32 v8, v8, v4
	v_dual_add_f32 v11, v11, v7 :: v_dual_add_f32 v10, v10, v6
	s_delay_alu instid0(VALU_DEP_2) | instskip(NEXT) | instid1(VALU_DEP_2)
	v_min3_f32 v8, v8, v9, v83
	v_min_f32_e32 v9, v10, v11
	s_delay_alu instid0(VALU_DEP_1)
	v_min3_f32 v10, v14, v9, v8
	v_add_co_u32 v8, vcc_lo, v38, v12
	v_add_co_ci_u32_e32 v9, vcc_lo, v39, v13, vcc_lo
	global_store_b32 v[8:9], v10, off
	s_or_b32 exec_lo, exec_lo, s0
	s_and_b32 s0, s7, s8
	s_delay_alu instid0(SALU_CYCLE_1)
	s_and_saveexec_b32 s1, s0
	s_cbranch_execz .LBB8_341
.LBB8_370:
	v_cmp_ne_u32_e32 vcc_lo, 1, v105
	v_lshlrev_b64 v[8:9], 2, v[78:79]
	s_cbranch_vccnz .LBB8_372
; %bb.371:
	s_delay_alu instid0(VALU_DEP_1) | instskip(NEXT) | instid1(VALU_DEP_2)
	v_add_co_u32 v10, vcc_lo, v40, v8
	v_add_co_ci_u32_e32 v11, vcc_lo, v41, v9, vcc_lo
	flat_load_b32 v10, v[10:11]
	s_waitcnt vmcnt(0) lgkmcnt(0)
	v_mul_f32_e32 v10, s15, v10
	s_branch .LBB8_373
.LBB8_372:
	v_mov_b32_e32 v10, 0
.LBB8_373:
	v_dual_add_f32 v1, v1, v5 :: v_dual_add_f32 v0, v0, v4
	v_dual_add_f32 v3, v3, v7 :: v_dual_add_f32 v2, v2, v6
	s_delay_alu instid0(VALU_DEP_2) | instskip(NEXT) | instid1(VALU_DEP_2)
	v_min3_f32 v0, v0, v1, v82
	v_min_f32_e32 v1, v2, v3
	s_delay_alu instid0(VALU_DEP_1)
	v_min3_f32 v2, v10, v1, v0
	v_add_co_u32 v0, vcc_lo, v38, v8
	v_add_co_ci_u32_e32 v1, vcc_lo, v39, v9, vcc_lo
	global_store_b32 v[0:1], v2, off
	s_nop 0
	s_sendmsg sendmsg(MSG_DEALLOC_VGPRS)
	s_endpgm
	.section	.rodata,"a",@progbits
	.p2align	6, 0x0
	.amdhsa_kernel _ZN12_GLOBAL__N_120geam_min_plus_kernelIf15HIP_vector_typeIfLj2EEfLi32ELi8ELi256ELi64ELi4ELi64ELi4ELi4ELi64ELc78ELc78ELb0ELb1ELb1EfKPKfKPfEEviiiT16_PT17_ilSA_ilS8_SA_ilPT18_ili26rocblas_geam_ex_operation_
		.amdhsa_group_segment_fixed_size 10240
		.amdhsa_private_segment_fixed_size 84
		.amdhsa_kernarg_size 128
		.amdhsa_user_sgpr_count 14
		.amdhsa_user_sgpr_dispatch_ptr 0
		.amdhsa_user_sgpr_queue_ptr 0
		.amdhsa_user_sgpr_kernarg_segment_ptr 1
		.amdhsa_user_sgpr_dispatch_id 0
		.amdhsa_user_sgpr_private_segment_size 0
		.amdhsa_wavefront_size32 1
		.amdhsa_uses_dynamic_stack 0
		.amdhsa_enable_private_segment 1
		.amdhsa_system_sgpr_workgroup_id_x 1
		.amdhsa_system_sgpr_workgroup_id_y 0
		.amdhsa_system_sgpr_workgroup_id_z 1
		.amdhsa_system_sgpr_workgroup_info 0
		.amdhsa_system_vgpr_workitem_id 1
		.amdhsa_next_free_vgpr 256
		.amdhsa_next_free_sgpr 29
		.amdhsa_reserve_vcc 1
		.amdhsa_float_round_mode_32 0
		.amdhsa_float_round_mode_16_64 0
		.amdhsa_float_denorm_mode_32 3
		.amdhsa_float_denorm_mode_16_64 3
		.amdhsa_dx10_clamp 1
		.amdhsa_ieee_mode 1
		.amdhsa_fp16_overflow 0
		.amdhsa_workgroup_processor_mode 1
		.amdhsa_memory_ordered 1
		.amdhsa_forward_progress 0
		.amdhsa_shared_vgpr_count 0
		.amdhsa_exception_fp_ieee_invalid_op 0
		.amdhsa_exception_fp_denorm_src 0
		.amdhsa_exception_fp_ieee_div_zero 0
		.amdhsa_exception_fp_ieee_overflow 0
		.amdhsa_exception_fp_ieee_underflow 0
		.amdhsa_exception_fp_ieee_inexact 0
		.amdhsa_exception_int_div_zero 0
	.end_amdhsa_kernel
	.section	.text._ZN12_GLOBAL__N_120geam_min_plus_kernelIf15HIP_vector_typeIfLj2EEfLi32ELi8ELi256ELi64ELi4ELi64ELi4ELi4ELi64ELc78ELc78ELb0ELb1ELb1EfKPKfKPfEEviiiT16_PT17_ilSA_ilS8_SA_ilPT18_ili26rocblas_geam_ex_operation_,"axG",@progbits,_ZN12_GLOBAL__N_120geam_min_plus_kernelIf15HIP_vector_typeIfLj2EEfLi32ELi8ELi256ELi64ELi4ELi64ELi4ELi4ELi64ELc78ELc78ELb0ELb1ELb1EfKPKfKPfEEviiiT16_PT17_ilSA_ilS8_SA_ilPT18_ili26rocblas_geam_ex_operation_,comdat
.Lfunc_end8:
	.size	_ZN12_GLOBAL__N_120geam_min_plus_kernelIf15HIP_vector_typeIfLj2EEfLi32ELi8ELi256ELi64ELi4ELi64ELi4ELi4ELi64ELc78ELc78ELb0ELb1ELb1EfKPKfKPfEEviiiT16_PT17_ilSA_ilS8_SA_ilPT18_ili26rocblas_geam_ex_operation_, .Lfunc_end8-_ZN12_GLOBAL__N_120geam_min_plus_kernelIf15HIP_vector_typeIfLj2EEfLi32ELi8ELi256ELi64ELi4ELi64ELi4ELi4ELi64ELc78ELc78ELb0ELb1ELb1EfKPKfKPfEEviiiT16_PT17_ilSA_ilS8_SA_ilPT18_ili26rocblas_geam_ex_operation_
                                        ; -- End function
	.section	.AMDGPU.csdata,"",@progbits
; Kernel info:
; codeLenInByte = 21588
; NumSgprs: 31
; NumVgprs: 256
; ScratchSize: 84
; MemoryBound: 0
; FloatMode: 240
; IeeeMode: 1
; LDSByteSize: 10240 bytes/workgroup (compile time only)
; SGPRBlocks: 3
; VGPRBlocks: 31
; NumSGPRsForWavesPerEU: 31
; NumVGPRsForWavesPerEU: 256
; Occupancy: 5
; WaveLimiterHint : 1
; COMPUTE_PGM_RSRC2:SCRATCH_EN: 1
; COMPUTE_PGM_RSRC2:USER_SGPR: 14
; COMPUTE_PGM_RSRC2:TRAP_HANDLER: 0
; COMPUTE_PGM_RSRC2:TGID_X_EN: 1
; COMPUTE_PGM_RSRC2:TGID_Y_EN: 0
; COMPUTE_PGM_RSRC2:TGID_Z_EN: 1
; COMPUTE_PGM_RSRC2:TIDIG_COMP_CNT: 1
	.section	.text._ZN12_GLOBAL__N_120geam_min_plus_kernelIf15HIP_vector_typeIfLj2EEfLi32ELi8ELi128ELi128ELi4ELi4ELi64ELi4ELi64ELc84ELc78ELb0ELb0ELb1EPKfKS4_KPfEEviiiT16_PT17_ilSA_ilS8_SA_ilPT18_ili26rocblas_geam_ex_operation_,"axG",@progbits,_ZN12_GLOBAL__N_120geam_min_plus_kernelIf15HIP_vector_typeIfLj2EEfLi32ELi8ELi128ELi128ELi4ELi4ELi64ELi4ELi64ELc84ELc78ELb0ELb0ELb1EPKfKS4_KPfEEviiiT16_PT17_ilSA_ilS8_SA_ilPT18_ili26rocblas_geam_ex_operation_,comdat
	.globl	_ZN12_GLOBAL__N_120geam_min_plus_kernelIf15HIP_vector_typeIfLj2EEfLi32ELi8ELi128ELi128ELi4ELi4ELi64ELi4ELi64ELc84ELc78ELb0ELb0ELb1EPKfKS4_KPfEEviiiT16_PT17_ilSA_ilS8_SA_ilPT18_ili26rocblas_geam_ex_operation_ ; -- Begin function _ZN12_GLOBAL__N_120geam_min_plus_kernelIf15HIP_vector_typeIfLj2EEfLi32ELi8ELi128ELi128ELi4ELi4ELi64ELi4ELi64ELc84ELc78ELb0ELb0ELb1EPKfKS4_KPfEEviiiT16_PT17_ilSA_ilS8_SA_ilPT18_ili26rocblas_geam_ex_operation_
	.p2align	8
	.type	_ZN12_GLOBAL__N_120geam_min_plus_kernelIf15HIP_vector_typeIfLj2EEfLi32ELi8ELi128ELi128ELi4ELi4ELi64ELi4ELi64ELc84ELc78ELb0ELb0ELb1EPKfKS4_KPfEEviiiT16_PT17_ilSA_ilS8_SA_ilPT18_ili26rocblas_geam_ex_operation_,@function
_ZN12_GLOBAL__N_120geam_min_plus_kernelIf15HIP_vector_typeIfLj2EEfLi32ELi8ELi128ELi128ELi4ELi4ELi64ELi4ELi64ELc84ELc78ELb0ELb0ELb1EPKfKS4_KPfEEviiiT16_PT17_ilSA_ilS8_SA_ilPT18_ili26rocblas_geam_ex_operation_: ; @_ZN12_GLOBAL__N_120geam_min_plus_kernelIf15HIP_vector_typeIfLj2EEfLi32ELi8ELi128ELi128ELi4ELi4ELi64ELi4ELi64ELc84ELc78ELb0ELb0ELb1EPKfKS4_KPfEEviiiT16_PT17_ilSA_ilS8_SA_ilPT18_ili26rocblas_geam_ex_operation_
; %bb.0:
	s_clause 0x1
	s_load_b128 s[16:19], s[0:1], 0x10
	s_load_b128 s[4:7], s[0:1], 0x28
	s_mov_b32 s20, s15
	s_mov_b32 s21, 0
	s_mov_b64 s[12:13], 0
	s_lshl_b64 s[2:3], s[20:21], 2
	s_waitcnt lgkmcnt(0)
	s_add_u32 s8, s16, s2
	s_addc_u32 s9, s17, s3
	s_load_b32 s22, s[8:9], 0x0
	s_clause 0x1
	s_load_b128 s[8:11], s[0:1], 0x40
	s_load_b64 s[16:17], s[0:1], 0x50
	s_waitcnt lgkmcnt(0)
	v_cmp_eq_f32_e64 s15, s22, 0
	v_cmp_neq_f32_e64 s23, s22, 0
	s_add_u32 s2, s10, s2
	s_addc_u32 s3, s11, s3
	s_mov_b64 s[10:11], 0
	s_and_b32 vcc_lo, exec_lo, s15
	s_cbranch_vccnz .LBB9_2
; %bb.1:
	s_lshl_b64 s[10:11], s[20:21], 3
	s_delay_alu instid0(SALU_CYCLE_1)
	s_add_u32 s10, s18, s10
	s_addc_u32 s11, s19, s11
	s_lshl_b64 s[4:5], s[4:5], 2
	s_load_b64 s[10:11], s[10:11], 0x0
	s_waitcnt lgkmcnt(0)
	s_add_u32 s10, s10, s4
	s_addc_u32 s11, s11, s5
.LBB9_2:
	s_load_b32 s15, s[2:3], 0x0
	v_cndmask_b32_e64 v1, 0, 1, s23
	s_and_not1_b32 vcc_lo, exec_lo, s23
	s_delay_alu instid0(VALU_DEP_1)
	v_cmp_ne_u32_e64 s3, 1, v1
	s_cbranch_vccnz .LBB9_4
; %bb.3:
	s_lshl_b64 s[4:5], s[20:21], 3
	s_delay_alu instid0(SALU_CYCLE_1)
	s_add_u32 s4, s6, s4
	s_addc_u32 s5, s7, s5
	s_lshl_b64 s[6:7], s[8:9], 2
	s_load_b64 s[4:5], s[4:5], 0x0
	s_waitcnt lgkmcnt(0)
	s_add_u32 s12, s4, s6
	s_addc_u32 s13, s5, s7
.LBB9_4:
	s_load_b128 s[4:7], s[0:1], 0x60
	s_waitcnt lgkmcnt(0)
	v_cmp_eq_f32_e64 s2, s15, 0
	s_delay_alu instid0(VALU_DEP_1) | instskip(NEXT) | instid1(SALU_CYCLE_1)
	s_and_b32 s2, exec_lo, s2
	s_mov_b32 vcc_lo, s2
	s_cbranch_vccnz .LBB9_6
; %bb.5:
	s_lshl_b64 s[8:9], s[20:21], 3
	s_delay_alu instid0(SALU_CYCLE_1)
	s_add_u32 s8, s16, s8
	s_addc_u32 s9, s17, s9
	s_lshl_b64 s[4:5], s[4:5], 2
	s_load_b64 s[8:9], s[8:9], 0x0
	s_waitcnt lgkmcnt(0)
	s_add_u32 s8, s8, s4
	s_addc_u32 s9, s9, s5
	s_branch .LBB9_7
.LBB9_6:
	s_mov_b64 s[8:9], 0
.LBB9_7:
	s_clause 0x1
	s_load_b32 s5, s[0:1], 0x0
	s_load_b32 s4, s[0:1], 0x20
	s_lshl_b64 s[16:17], s[20:21], 3
	v_and_b32_e32 v17, 0x3ff, v0
	s_add_u32 s6, s6, s16
	s_addc_u32 s7, s7, s17
	v_bfe_u32 v16, v0, 10, 10
	s_load_b64 s[6:7], s[6:7], 0x0
	s_delay_alu instid0(VALU_DEP_1) | instskip(NEXT) | instid1(VALU_DEP_1)
	v_lshl_add_u32 v0, v16, 5, v17
	v_lshrrev_b32_e32 v0, 2, v0
	s_waitcnt lgkmcnt(0)
	s_add_i32 s5, s5, -1
	s_delay_alu instid0(SALU_CYCLE_1) | instskip(NEXT) | instid1(SALU_CYCLE_1)
	s_ashr_i32 s16, s5, 31
	s_lshr_b32 s16, s16, 25
	s_delay_alu instid0(SALU_CYCLE_1) | instskip(NEXT) | instid1(SALU_CYCLE_1)
	s_add_i32 s5, s5, s16
	s_ashr_i32 s5, s5, 7
	s_delay_alu instid0(SALU_CYCLE_1) | instskip(SKIP_2) | instid1(VALU_DEP_1)
	s_add_i32 s16, s5, 1
	s_not_b32 s5, s5
	v_cvt_f32_u32_e32 v1, s16
	v_rcp_iflag_f32_e32 v1, v1
	s_waitcnt_depctr 0xfff
	v_mul_f32_e32 v1, 0x4f7ffffe, v1
	s_delay_alu instid0(VALU_DEP_1) | instskip(NEXT) | instid1(VALU_DEP_1)
	v_cvt_u32_f32_e32 v1, v1
	v_readfirstlane_b32 s17, v1
	v_and_b32_e32 v1, 3, v17
	s_delay_alu instid0(VALU_DEP_2) | instskip(NEXT) | instid1(VALU_DEP_1)
	s_mul_i32 s5, s5, s17
	v_lshlrev_b32_e32 v82, 2, v1
	s_mul_hi_u32 s5, s17, s5
	s_delay_alu instid0(SALU_CYCLE_1) | instskip(NEXT) | instid1(SALU_CYCLE_1)
	s_add_i32 s17, s17, s5
	s_mul_hi_u32 s5, s14, s17
	s_delay_alu instid0(SALU_CYCLE_1) | instskip(SKIP_2) | instid1(SALU_CYCLE_1)
	s_mul_i32 s17, s5, s16
	s_add_i32 s18, s5, 1
	s_sub_i32 s17, s14, s17
	s_sub_i32 s19, s17, s16
	s_cmp_ge_u32 s17, s16
	s_cselect_b32 s5, s18, s5
	s_cselect_b32 s17, s19, s17
	s_add_i32 s18, s5, 1
	s_cmp_ge_u32 s17, s16
	s_cselect_b32 s17, s18, s5
	s_and_b32 vcc_lo, exec_lo, s3
	s_mul_i32 s5, s17, s16
	s_delay_alu instid0(SALU_CYCLE_1) | instskip(NEXT) | instid1(SALU_CYCLE_1)
	s_sub_i32 s5, s14, s5
	s_lshl_b32 s5, s5, 7
	s_delay_alu instid0(SALU_CYCLE_1) | instskip(NEXT) | instid1(VALU_DEP_1)
	v_add_nc_u32_e32 v9, s5, v0
	v_add_nc_u32_e32 v10, 64, v9
	s_cbranch_vccnz .LBB9_9
; %bb.8:
	v_mad_i64_i32 v[1:2], null, v9, s4, 0
	s_delay_alu instid0(VALU_DEP_2) | instskip(SKIP_1) | instid1(VALU_DEP_1)
	v_mad_i64_i32 v[3:4], null, v10, s4, 0
	v_add_co_u32 v5, s14, s10, v82
	v_add_co_ci_u32_e64 v6, null, s11, 0, s14
	s_delay_alu instid0(VALU_DEP_4) | instskip(NEXT) | instid1(VALU_DEP_4)
	v_lshlrev_b64 v[1:2], 2, v[1:2]
	v_lshlrev_b64 v[3:4], 2, v[3:4]
	s_delay_alu instid0(VALU_DEP_2) | instskip(NEXT) | instid1(VALU_DEP_3)
	v_add_co_u32 v1, vcc_lo, v5, v1
	v_add_co_ci_u32_e32 v2, vcc_lo, v6, v2, vcc_lo
	s_delay_alu instid0(VALU_DEP_3) | instskip(NEXT) | instid1(VALU_DEP_4)
	v_add_co_u32 v3, vcc_lo, v5, v3
	v_add_co_ci_u32_e32 v4, vcc_lo, v6, v4, vcc_lo
	s_clause 0x1
	flat_load_b32 v1, v[1:2]
	flat_load_b32 v2, v[3:4]
	s_waitcnt vmcnt(0) lgkmcnt(0)
	v_dual_mul_f32 v1, s22, v1 :: v_dual_mul_f32 v2, s22, v2
	s_branch .LBB9_10
.LBB9_9:
	v_dual_mov_b32 v1, 0 :: v_dual_mov_b32 v2, 0
.LBB9_10:
	s_load_b32 s16, s[0:1], 0x38
	s_lshl_b32 s14, s17, 7
	s_and_b32 vcc_lo, exec_lo, s3
	v_add_nc_u32_e32 v11, s14, v0
	s_delay_alu instid0(VALU_DEP_1)
	v_add_nc_u32_e32 v12, 64, v11
	s_cbranch_vccnz .LBB9_14
; %bb.11:
	s_waitcnt lgkmcnt(0)
	v_mad_i64_i32 v[3:4], null, v11, s16, 0
	s_delay_alu instid0(VALU_DEP_2) | instskip(SKIP_1) | instid1(VALU_DEP_1)
	v_mad_i64_i32 v[5:6], null, v12, s16, 0
	v_add_co_u32 v7, s17, s12, v82
	v_add_co_ci_u32_e64 v8, null, s13, 0, s17
	s_delay_alu instid0(VALU_DEP_4) | instskip(NEXT) | instid1(VALU_DEP_4)
	v_lshlrev_b64 v[3:4], 2, v[3:4]
	v_lshlrev_b64 v[5:6], 2, v[5:6]
	s_delay_alu instid0(VALU_DEP_2) | instskip(NEXT) | instid1(VALU_DEP_3)
	v_add_co_u32 v3, vcc_lo, v7, v3
	v_add_co_ci_u32_e32 v4, vcc_lo, v8, v4, vcc_lo
	s_delay_alu instid0(VALU_DEP_3) | instskip(NEXT) | instid1(VALU_DEP_4)
	v_add_co_u32 v5, vcc_lo, v7, v5
	v_add_co_ci_u32_e32 v6, vcc_lo, v8, v6, vcc_lo
	s_clause 0x1
	flat_load_b32 v3, v[3:4]
	flat_load_b32 v4, v[5:6]
	s_waitcnt vmcnt(0) lgkmcnt(0)
	v_dual_mul_f32 v3, s22, v3 :: v_dual_mul_f32 v4, s22, v4
	s_and_b32 vcc_lo, exec_lo, s3
	s_clause 0x1
	scratch_store_b32 off, v9, off offset:56
	scratch_store_b32 off, v10, off offset:60
	s_cbranch_vccnz .LBB9_15
.LBB9_12:
	v_mad_i64_i32 v[5:6], null, v9, s4, 0
	v_mad_i64_i32 v[7:8], null, v10, s4, 0
	v_add_co_u32 v9, s17, s10, v82
	s_delay_alu instid0(VALU_DEP_1) | instskip(NEXT) | instid1(VALU_DEP_4)
	v_add_co_ci_u32_e64 v10, null, s11, 0, s17
	v_lshlrev_b64 v[5:6], 2, v[5:6]
	s_delay_alu instid0(VALU_DEP_4) | instskip(NEXT) | instid1(VALU_DEP_2)
	v_lshlrev_b64 v[7:8], 2, v[7:8]
	v_add_co_u32 v5, vcc_lo, v9, v5
	s_delay_alu instid0(VALU_DEP_3) | instskip(NEXT) | instid1(VALU_DEP_3)
	v_add_co_ci_u32_e32 v6, vcc_lo, v10, v6, vcc_lo
	v_add_co_u32 v7, vcc_lo, v9, v7
	s_delay_alu instid0(VALU_DEP_4)
	v_add_co_ci_u32_e32 v8, vcc_lo, v10, v8, vcc_lo
	s_clause 0x1
	flat_load_b32 v5, v[5:6] offset:16
	flat_load_b32 v6, v[7:8] offset:16
	s_waitcnt vmcnt(1) lgkmcnt(0)
	v_mul_f32_e32 v61, s22, v5
	s_waitcnt vmcnt(0)
	v_mul_f32_e32 v21, s22, v6
	s_and_b32 vcc_lo, exec_lo, s3
	s_clause 0x1
	scratch_store_b32 off, v11, off offset:64
	scratch_store_b32 off, v12, off offset:68
	s_cbranch_vccnz .LBB9_16
.LBB9_13:
	s_waitcnt lgkmcnt(0)
	v_mad_i64_i32 v[5:6], null, v11, s16, 0
	v_mad_i64_i32 v[7:8], null, v12, s16, 0
	v_add_co_u32 v9, s17, s12, v82
	s_delay_alu instid0(VALU_DEP_1) | instskip(NEXT) | instid1(VALU_DEP_4)
	v_add_co_ci_u32_e64 v10, null, s13, 0, s17
	v_lshlrev_b64 v[5:6], 2, v[5:6]
	s_delay_alu instid0(VALU_DEP_4) | instskip(NEXT) | instid1(VALU_DEP_2)
	v_lshlrev_b64 v[7:8], 2, v[7:8]
	v_add_co_u32 v5, vcc_lo, v9, v5
	s_delay_alu instid0(VALU_DEP_3) | instskip(NEXT) | instid1(VALU_DEP_3)
	v_add_co_ci_u32_e32 v6, vcc_lo, v10, v6, vcc_lo
	v_add_co_u32 v7, vcc_lo, v9, v7
	s_delay_alu instid0(VALU_DEP_4)
	v_add_co_ci_u32_e32 v8, vcc_lo, v10, v8, vcc_lo
	s_clause 0x1
	flat_load_b32 v5, v[5:6] offset:16
	flat_load_b32 v6, v[7:8] offset:16
	s_waitcnt vmcnt(0) lgkmcnt(0)
	v_dual_mul_f32 v22, s22, v5 :: v_dual_mul_f32 v23, s22, v6
	s_branch .LBB9_17
.LBB9_14:
	v_dual_mov_b32 v3, 0 :: v_dual_mov_b32 v4, 0
	s_and_b32 vcc_lo, exec_lo, s3
	s_clause 0x1
	scratch_store_b32 off, v9, off offset:56
	scratch_store_b32 off, v10, off offset:60
	s_cbranch_vccz .LBB9_12
.LBB9_15:
	v_mov_b32_e32 v61, 0
	v_mov_b32_e32 v21, 0
	s_and_b32 vcc_lo, exec_lo, s3
	s_clause 0x1
	scratch_store_b32 off, v11, off offset:64
	scratch_store_b32 off, v12, off offset:68
	s_cbranch_vccz .LBB9_13
.LBB9_16:
	v_dual_mov_b32 v22, 0 :: v_dual_mov_b32 v23, 0
.LBB9_17:
	v_lshl_or_b32 v83, v0, 4, v82
	v_lshlrev_b32_e32 v86, 4, v16
	v_lshlrev_b32_e32 v87, 4, v17
	s_load_b32 s17, s[0:1], 0x8
	ds_store_2addr_stride64_b32 v83, v1, v2 offset1:4
	ds_store_2addr_stride64_b32 v83, v3, v4 offset0:16 offset1:20
	s_waitcnt lgkmcnt(0)
	s_waitcnt_vscnt null, 0x0
	s_barrier
	buffer_gl0_inv
	ds_load_b128 v[34:37], v86 offset:4096
	ds_load_b128 v[4:7], v87
	ds_load_b128 v[12:15], v87 offset:512
	ds_load_b128 v[8:11], v87 offset:1024
	;; [unrolled: 1-line block ×4, first 2 shown]
	s_cmp_lt_i32 s17, 9
	s_waitcnt lgkmcnt(4)
	v_dual_add_f32 v18, v5, v35 :: v_dual_add_f32 v157, v6, v36
	s_waitcnt lgkmcnt(1)
	v_dual_add_f32 v165, v7, v37 :: v_dual_add_f32 v160, v2, v36
	s_waitcnt lgkmcnt(0)
	v_add_f32_e32 v155, v0, v53
	scratch_store_b32 off, v18, off         ; 4-byte Folded Spill
	v_dual_add_f32 v18, v4, v34 :: v_dual_add_f32 v161, v14, v36
	v_dual_add_f32 v162, v15, v37 :: v_dual_add_f32 v137, v10, v55
	v_add_f32_e32 v159, v10, v36
	scratch_store_b32 off, v18, off offset:16 ; 4-byte Folded Spill
	v_dual_add_f32 v18, v13, v35 :: v_dual_add_f32 v147, v4, v53
	v_add_f32_e32 v141, v6, v55
	v_add_f32_e32 v143, v12, v53
	;; [unrolled: 1-line block ×3, first 2 shown]
	scratch_store_b32 off, v18, off offset:4 ; 4-byte Folded Spill
	v_dual_add_f32 v18, v12, v34 :: v_dual_add_f32 v135, v2, v55
	v_mov_b32_e32 v55, v16
	scratch_store_b32 off, v18, off offset:20 ; 4-byte Folded Spill
	v_add_f32_e32 v18, v9, v35
	scratch_store_b32 off, v18, off offset:8 ; 4-byte Folded Spill
	v_add_f32_e32 v18, v8, v34
	;; [unrolled: 2-line block ×10, first 2 shown]
	scratch_store_b32 off, v18, off offset:52 ; 4-byte Folded Spill
	ds_load_b128 v[66:69], v86 offset:4352
	ds_load_b128 v[88:91], v86 offset:4480
	v_add_f32_e32 v158, v8, v53
	v_add_f32_e32 v142, v7, v56
	v_add_f32_e32 v140, v15, v56
	v_add_f32_e32 v138, v11, v56
	v_add_f32_e32 v136, v3, v56
	s_waitcnt lgkmcnt(0)
	v_dual_add_f32 v134, v5, v67 :: v_dual_add_f32 v77, v12, v88
	v_dual_add_f32 v53, v4, v66 :: v_dual_add_f32 v130, v13, v67
	v_add_f32_e32 v79, v0, v88
	v_add_f32_e32 v54, v12, v66
	v_dual_add_f32 v132, v9, v67 :: v_dual_add_f32 v97, v14, v90
	v_dual_add_f32 v62, v8, v66 :: v_dual_add_f32 v133, v1, v67
	;; [unrolled: 1-line block ×3, first 2 shown]
	v_add_f32_e32 v99, v10, v90
	v_dual_add_f32 v72, v6, v68 :: v_dual_add_f32 v65, v15, v69
	v_dual_add_f32 v73, v14, v68 :: v_dual_add_f32 v66, v11, v69
	v_add_f32_e32 v101, v2, v90
	v_dual_add_f32 v74, v10, v68 :: v_dual_add_f32 v67, v3, v69
	v_dual_add_f32 v75, v2, v68 :: v_dual_add_f32 v68, v5, v89
	;; [unrolled: 1-line block ×3, first 2 shown]
	v_add_f32_e32 v70, v9, v89
	v_dual_add_f32 v78, v8, v88 :: v_dual_add_f32 v71, v1, v89
	v_dual_add_f32 v84, v7, v91 :: v_dual_add_f32 v85, v6, v90
	v_add_f32_e32 v88, v15, v91
	v_add_f32_e32 v98, v11, v91
	;; [unrolled: 1-line block ×3, first 2 shown]
	ds_load_b128 v[89:92], v86 offset:4608
	ds_load_b128 v[93:96], v86 offset:4736
	v_min3_f32 v53, v53, v134, 0x7f7fffff
	s_waitcnt lgkmcnt(0)
	v_dual_add_f32 v102, v5, v90 :: v_dual_add_f32 v123, v8, v93
	v_dual_add_f32 v103, v4, v89 :: v_dual_add_f32 v104, v13, v90
	v_add_f32_e32 v125, v0, v93
	v_dual_add_f32 v105, v12, v89 :: v_dual_add_f32 v106, v9, v90
	v_add_f32_e32 v131, v11, v96
	;; [unrolled: 2-line block ×3, first 2 shown]
	v_dual_add_f32 v109, v0, v89 :: v_dual_add_f32 v110, v7, v92
	v_dual_add_f32 v111, v6, v91 :: v_dual_add_f32 v112, v15, v92
	;; [unrolled: 1-line block ×7, first 2 shown]
	v_add_f32_e32 v124, v1, v94
	v_dual_add_f32 v126, v7, v96 :: v_dual_add_f32 v127, v6, v95
	v_dual_add_f32 v128, v15, v96 :: v_dual_add_f32 v129, v14, v95
	v_add_f32_e32 v144, v10, v95
	v_add_f32_e32 v146, v2, v95
	ds_load_b128 v[89:92], v86 offset:4864
	ds_load_b128 v[93:96], v86 offset:4992
	s_waitcnt lgkmcnt(0)
	v_dual_add_f32 v148, v5, v90 :: v_dual_add_f32 v181, v6, v95
	v_dual_add_f32 v149, v4, v89 :: v_dual_add_f32 v150, v13, v90
	v_add_f32_e32 v183, v14, v95
	v_dual_add_f32 v151, v12, v89 :: v_dual_add_f32 v152, v9, v90
	v_add_f32_e32 v185, v10, v95
	v_dual_add_f32 v153, v8, v89 :: v_dual_add_f32 v154, v1, v90
	v_dual_add_f32 v187, v2, v95 :: v_dual_add_f32 v156, v0, v89
	;; [unrolled: 1-line block ×10, first 2 shown]
	v_add_f32_e32 v180, v7, v96
	v_add_f32_e32 v182, v15, v96
	;; [unrolled: 1-line block ×4, first 2 shown]
	ds_load_b128 v[89:92], v86 offset:5120
	ds_load_b128 v[93:96], v86 offset:5248
	s_waitcnt lgkmcnt(0)
	v_dual_add_f32 v188, v5, v90 :: v_dual_add_f32 v215, v14, v95
	v_dual_add_f32 v189, v4, v89 :: v_dual_add_f32 v190, v13, v90
	v_add_f32_e32 v217, v10, v95
	v_dual_add_f32 v191, v12, v89 :: v_dual_add_f32 v192, v9, v90
	v_add_f32_e32 v219, v2, v95
	v_dual_add_f32 v193, v8, v89 :: v_dual_add_f32 v194, v1, v90
	v_dual_add_f32 v195, v0, v89 :: v_dual_add_f32 v196, v7, v92
	;; [unrolled: 1-line block ×11, first 2 shown]
	v_add_f32_e32 v216, v11, v96
	v_add_f32_e32 v218, v3, v96
	ds_load_b128 v[89:92], v86 offset:5376
	ds_load_b128 v[93:96], v86 offset:5504
	v_mov_b32_e32 v56, v17
	s_waitcnt lgkmcnt(0)
	v_dual_add_f32 v220, v5, v90 :: v_dual_add_f32 v249, v10, v95
	v_dual_add_f32 v221, v4, v89 :: v_dual_add_f32 v222, v13, v90
	v_add_f32_e32 v251, v2, v95
	v_dual_add_f32 v223, v12, v89 :: v_dual_add_f32 v224, v9, v90
	v_dual_add_f32 v225, v8, v89 :: v_dual_add_f32 v226, v1, v90
	;; [unrolled: 1-line block ×13, first 2 shown]
	v_add_f32_e32 v250, v3, v96
	ds_load_b128 v[89:92], v86 offset:5632
	ds_load_b128 v[93:96], v86 offset:5760
	s_waitcnt lgkmcnt(0)
	v_dual_add_f32 v252, v5, v90 :: v_dual_add_f32 v41, v15, v96
	v_dual_add_f32 v253, v4, v89 :: v_dual_add_f32 v254, v13, v90
	v_add_f32_e32 v43, v11, v96
	v_dual_add_f32 v255, v12, v89 :: v_dual_add_f32 v80, v9, v90
	v_add_f32_e32 v39, v3, v96
	v_add_f32_e32 v81, v8, v89
	;; [unrolled: 1-line block ×3, first 2 shown]
	v_dual_add_f32 v19, v0, v89 :: v_dual_add_f32 v16, v7, v92
	v_add_f32_e32 v18, v6, v91
	v_dual_add_f32 v24, v15, v92 :: v_dual_add_f32 v25, v14, v91
	v_dual_add_f32 v26, v11, v92 :: v_dual_add_f32 v27, v10, v91
	;; [unrolled: 1-line block ×7, first 2 shown]
	v_add_f32_e32 v38, v7, v96
	v_add_f32_e32 v40, v6, v95
	;; [unrolled: 1-line block ×5, first 2 shown]
	ds_load_b128 v[89:92], v86 offset:5888
	ds_load_b128 v[93:96], v86 offset:6016
	s_waitcnt lgkmcnt(1)
	v_dual_add_f32 v45, v5, v90 :: v_dual_add_f32 v46, v4, v89
	v_dual_add_f32 v47, v13, v90 :: v_dual_add_f32 v48, v12, v89
	v_dual_add_f32 v49, v9, v90 :: v_dual_add_f32 v50, v8, v89
	v_dual_add_f32 v90, v1, v90 :: v_dual_add_f32 v89, v0, v89
	s_waitcnt lgkmcnt(0)
	v_dual_add_f32 v5, v5, v94 :: v_dual_add_f32 v4, v4, v93
	v_dual_add_f32 v13, v13, v94 :: v_dual_add_f32 v12, v12, v93
	;; [unrolled: 1-line block ×4, first 2 shown]
	s_clause 0x1
	scratch_load_b32 v93, off, off
	scratch_load_b32 v94, off, off offset:16
	v_add_f32_e32 v52, v6, v91
	v_add_f32_e32 v58, v14, v91
	;; [unrolled: 1-line block ×11, first 2 shown]
	v_dual_add_f32 v3, v3, v96 :: v_dual_add_f32 v6, v6, v95
	v_add_f32_e32 v14, v14, v95
	v_add_f32_e32 v10, v10, v95
	;; [unrolled: 1-line block ×3, first 2 shown]
	v_min3_f32 v4, v4, v5, 0x7f7fffff
	v_min3_f32 v0, v0, v1, 0x7f7fffff
	s_waitcnt vmcnt(0)
	v_min3_f32 v93, v94, v93, 0x7f7fffff
	s_delay_alu instid0(VALU_DEP_1)
	v_min3_f32 v165, v157, v165, v93
	s_clause 0x1
	scratch_load_b32 v93, off, off offset:4
	scratch_load_b32 v94, off, off offset:20
	s_waitcnt vmcnt(0)
	v_min3_f32 v93, v94, v93, 0x7f7fffff
	s_delay_alu instid0(VALU_DEP_1)
	v_min3_f32 v161, v161, v162, v93
	s_clause 0x1
	scratch_load_b32 v93, off, off offset:8
	scratch_load_b32 v94, off, off offset:24
	s_waitcnt vmcnt(0)
	v_min3_f32 v93, v94, v93, 0x7f7fffff
	scratch_load_b32 v94, off, off offset:32 ; 4-byte Folded Reload
	s_waitcnt vmcnt(0)
	v_min3_f32 v162, v159, v94, v93
	s_clause 0x1
	scratch_load_b32 v93, off, off offset:12
	scratch_load_b32 v94, off, off offset:28
	s_waitcnt vmcnt(0)
	v_min3_f32 v93, v94, v93, 0x7f7fffff
	scratch_load_b32 v94, off, off offset:36 ; 4-byte Folded Reload
	s_waitcnt vmcnt(0)
	v_min3_f32 v159, v160, v94, v93
	scratch_load_b32 v93, off, off offset:40 ; 4-byte Folded Reload
	s_waitcnt vmcnt(0)
	v_min3_f32 v93, v147, v93, 0x7f7fffff
	v_min3_f32 v147, v72, v64, v53
	;; [unrolled: 1-line block ×3, first 2 shown]
	s_delay_alu instid0(VALU_DEP_3)
	v_min3_f32 v160, v141, v142, v93
	scratch_load_b32 v93, off, off offset:44 ; 4-byte Folded Reload
	v_min3_f32 v142, v73, v65, v53
	v_min3_f32 v53, v62, v132, 0x7f7fffff
	s_waitcnt vmcnt(0)
	v_min3_f32 v93, v143, v93, 0x7f7fffff
	s_delay_alu instid0(VALU_DEP_2) | instskip(SKIP_1) | instid1(VALU_DEP_3)
	v_min3_f32 v143, v74, v66, v53
	v_min3_f32 v53, v63, v133, 0x7f7fffff
	;; [unrolled: 1-line block ×3, first 2 shown]
	scratch_load_b32 v93, off, off offset:48 ; 4-byte Folded Reload
	v_min3_f32 v140, v75, v67, v53
	v_min3_f32 v53, v76, v68, 0x7f7fffff
	s_delay_alu instid0(VALU_DEP_1) | instskip(SKIP_3) | instid1(VALU_DEP_1)
	v_min3_f32 v141, v85, v84, v53
	v_min3_f32 v53, v77, v69, 0x7f7fffff
	s_waitcnt vmcnt(0)
	v_min3_f32 v93, v158, v93, 0x7f7fffff
	v_min3_f32 v158, v137, v138, v93
	scratch_load_b32 v93, off, off offset:52 ; 4-byte Folded Reload
	v_min3_f32 v138, v97, v88, v53
	v_min3_f32 v53, v78, v70, 0x7f7fffff
	;; [unrolled: 1-line block ×3, first 2 shown]
	ds_store_2addr_stride64_b32 v83, v61, v21 offset0:8 offset1:12
	ds_store_2addr_stride64_b32 v83, v22, v23 offset0:24 offset1:28
	s_waitcnt vmcnt(0) lgkmcnt(0)
	s_waitcnt_vscnt null, 0x0
	s_barrier
	v_min3_f32 v139, v99, v98, v53
	v_min3_f32 v53, v79, v71, 0x7f7fffff
	buffer_gl0_inv
	v_min3_f32 v93, v155, v93, 0x7f7fffff
	s_delay_alu instid0(VALU_DEP_1) | instskip(SKIP_2) | instid1(VALU_DEP_1)
	v_min3_f32 v155, v135, v136, v93
	v_min3_f32 v136, v101, v100, v53
	v_min3_f32 v53, v103, v102, 0x7f7fffff
	v_min3_f32 v137, v111, v110, v53
	v_min3_f32 v53, v105, v104, 0x7f7fffff
	s_delay_alu instid0(VALU_DEP_1) | instskip(SKIP_1) | instid1(VALU_DEP_1)
	v_min3_f32 v135, v113, v112, v53
	v_min3_f32 v53, v107, v106, 0x7f7fffff
	v_min3_f32 v134, v115, v114, v53
	v_min3_f32 v53, v109, v108, 0x7f7fffff
	s_delay_alu instid0(VALU_DEP_1) | instskip(SKIP_1) | instid1(VALU_DEP_1)
	v_min3_f32 v132, v117, v116, v53
	v_min3_f32 v53, v119, v118, 0x7f7fffff
	v_min3_f32 v133, v127, v126, v53
	v_min3_f32 v53, v121, v120, 0x7f7fffff
	;; [unrolled: 5-line block ×21, first 2 shown]
	s_delay_alu instid0(VALU_DEP_1) | instskip(SKIP_2) | instid1(VALU_DEP_1)
	v_min3_f32 v91, v91, v92, v16
	v_min3_f32 v92, v6, v7, v4
	;; [unrolled: 1-line block ×5, first 2 shown]
	s_delay_alu instid0(VALU_DEP_1)
	v_min3_f32 v90, v10, v11, v4
	s_cbranch_scc1 .LBB9_31
; %bb.18:
	s_clause 0x3
	scratch_load_b32 v2, off, off offset:68
	scratch_load_b32 v4, off, off offset:64
	scratch_load_b32 v6, off, off offset:60
	scratch_load_b32 v8, off, off offset:56
	v_dual_mov_b32 v209, v55 :: v_dual_add_nc_u32 v84, 0x1000, v83
	v_dual_mov_b32 v210, v56 :: v_dual_add_nc_u32 v85, 0x1000, v86
	v_add_nc_u32_e32 v113, 0x800, v83
	v_add_nc_u32_e32 v144, 0x1800, v83
	v_lshl_add_u32 v145, v56, 4, 0x800
	v_lshl_add_u32 v146, v55, 4, 0x1800
	s_waitcnt vmcnt(3)
	v_mad_i64_i32 v[0:1], null, s16, v2, 0
	s_waitcnt vmcnt(2)
	v_mad_i64_i32 v[2:3], null, s16, v4, 0
	;; [unrolled: 2-line block ×4, first 2 shown]
	s_delay_alu instid0(VALU_DEP_4) | instskip(SKIP_1) | instid1(VALU_DEP_4)
	v_lshlrev_b64 v[0:1], 2, v[0:1]
	s_and_b32 s4, exec_lo, s23
	v_lshlrev_b64 v[2:3], 2, v[2:3]
	s_delay_alu instid0(VALU_DEP_2) | instskip(NEXT) | instid1(VALU_DEP_3)
	v_add_co_u32 v148, vcc_lo, s12, v0
	v_add_co_ci_u32_e32 v149, vcc_lo, s13, v1, vcc_lo
	v_lshlrev_b64 v[0:1], 2, v[4:5]
	s_delay_alu instid0(VALU_DEP_4) | instskip(SKIP_2) | instid1(VALU_DEP_4)
	v_add_co_u32 v150, vcc_lo, s12, v2
	v_add_co_ci_u32_e32 v151, vcc_lo, s13, v3, vcc_lo
	v_lshlrev_b64 v[2:3], 2, v[6:7]
	v_add_co_u32 v152, vcc_lo, s10, v0
	v_add_co_ci_u32_e32 v153, vcc_lo, s11, v1, vcc_lo
	s_delay_alu instid0(VALU_DEP_3) | instskip(NEXT) | instid1(VALU_DEP_4)
	v_add_co_u32 v154, vcc_lo, s10, v2
	v_add_co_ci_u32_e32 v156, vcc_lo, s11, v3, vcc_lo
	s_add_i32 s10, s17, -8
	s_mov_b32 s11, 0
	s_branch .LBB9_21
.LBB9_19:                               ;   in Loop: Header=BB9_21 Depth=1
	v_add_co_u32 v0, vcc_lo, v150, v82
	v_add_co_ci_u32_e32 v1, vcc_lo, 0, v151, vcc_lo
	v_add_co_u32 v14, vcc_lo, v148, v82
	v_add_co_ci_u32_e32 v15, vcc_lo, 0, v149, vcc_lo
	flat_load_b32 v0, v[0:1] offset:48
	flat_load_b32 v1, v[14:15] offset:48
	s_waitcnt vmcnt(0) lgkmcnt(0)
	v_dual_mul_f32 v0, s22, v0 :: v_dual_mul_f32 v1, s22, v1
.LBB9_20:                               ;   in Loop: Header=BB9_21 Depth=1
	ds_load_b128 v[73:76], v85
	ds_load_b128 v[88:91], v87
	ds_load_b128 v[165:168], v87 offset:512
	ds_load_b128 v[169:172], v87 offset:1024
	;; [unrolled: 1-line block ×18, first 2 shown]
	v_add_co_u32 v148, vcc_lo, v148, 32
	s_waitcnt lgkmcnt(18)
	v_dual_add_f32 v11, v89, v74 :: v_dual_add_f32 v14, v88, v73
	s_waitcnt lgkmcnt(17)
	v_dual_add_f32 v15, v166, v74 :: v_dual_add_f32 v18, v165, v73
	;; [unrolled: 2-line block ×3, first 2 shown]
	v_min3_f32 v11, v14, v11, v28
	s_waitcnt lgkmcnt(14)
	v_add_f32_e32 v23, v88, v92
	v_min3_f32 v14, v18, v15, v29
	v_add_f32_e32 v18, v174, v74
	v_min3_f32 v15, v22, v19, v32
	v_add_f32_e32 v19, v173, v73
	v_add_f32_e32 v22, v89, v93
	v_dual_add_f32 v28, v166, v93 :: v_dual_add_f32 v29, v165, v92
	v_dual_add_f32 v32, v170, v93 :: v_dual_add_f32 v73, v169, v92
	;; [unrolled: 1-line block ×3, first 2 shown]
	v_min3_f32 v4, v19, v18, v4
	v_min3_f32 v18, v23, v22, v33
	;; [unrolled: 1-line block ×5, first 2 shown]
	s_waitcnt lgkmcnt(13)
	v_dual_add_f32 v28, v89, v97 :: v_dual_add_f32 v29, v88, v96
	v_dual_add_f32 v32, v166, v97 :: v_dual_add_f32 v33, v165, v96
	;; [unrolled: 1-line block ×4, first 2 shown]
	s_waitcnt lgkmcnt(12)
	v_dual_add_f32 v74, v89, v101 :: v_dual_add_f32 v77, v88, v100
	v_min3_f32 v5, v29, v28, v5
	v_min3_f32 v28, v33, v32, v41
	;; [unrolled: 1-line block ×5, first 2 shown]
	v_dual_add_f32 v36, v166, v101 :: v_dual_add_f32 v37, v165, v100
	v_dual_add_f32 v40, v170, v101 :: v_dual_add_f32 v41, v169, v100
	v_dual_add_f32 v44, v174, v101 :: v_dual_add_f32 v45, v173, v100
	s_waitcnt lgkmcnt(11)
	v_dual_add_f32 v48, v89, v105 :: v_dual_add_f32 v73, v88, v104
	v_dual_add_f32 v74, v166, v105 :: v_dual_add_f32 v77, v165, v104
	v_min3_f32 v8, v37, v36, v8
	v_min3_f32 v36, v41, v40, v49
	;; [unrolled: 1-line block ×5, first 2 shown]
	v_dual_add_f32 v44, v170, v105 :: v_dual_add_f32 v45, v169, v104
	v_dual_add_f32 v48, v174, v105 :: v_dual_add_f32 v49, v173, v104
	s_waitcnt lgkmcnt(10)
	v_dual_add_f32 v52, v89, v109 :: v_dual_add_f32 v53, v88, v108
	v_dual_add_f32 v56, v166, v109 :: v_dual_add_f32 v73, v165, v108
	;; [unrolled: 1-line block ×3, first 2 shown]
	v_min3_f32 v9, v45, v44, v9
	v_min3_f32 v44, v49, v48, v57
	;; [unrolled: 1-line block ×5, first 2 shown]
	v_dual_add_f32 v52, v174, v109 :: v_dual_add_f32 v53, v173, v108
	s_waitcnt lgkmcnt(9)
	v_dual_add_f32 v56, v89, v115 :: v_dual_add_f32 v57, v88, v114
	v_dual_add_f32 v58, v166, v115 :: v_dual_add_f32 v59, v165, v114
	;; [unrolled: 1-line block ×4, first 2 shown]
	v_min3_f32 v12, v53, v52, v12
	v_min3_f32 v52, v57, v56, v54
	;; [unrolled: 1-line block ×5, first 2 shown]
	s_waitcnt lgkmcnt(8)
	v_dual_add_f32 v56, v89, v119 :: v_dual_add_f32 v57, v88, v118
	v_dual_add_f32 v58, v166, v119 :: v_dual_add_f32 v59, v165, v118
	;; [unrolled: 1-line block ×4, first 2 shown]
	s_waitcnt lgkmcnt(7)
	v_dual_add_f32 v74, v89, v178 :: v_dual_add_f32 v77, v88, v177
	v_min3_f32 v13, v57, v56, v13
	v_min3_f32 v50, v59, v58, v50
	;; [unrolled: 1-line block ×5, first 2 shown]
	v_dual_add_f32 v58, v166, v178 :: v_dual_add_f32 v59, v165, v177
	v_dual_add_f32 v60, v170, v178 :: v_dual_add_f32 v61, v169, v177
	;; [unrolled: 1-line block ×3, first 2 shown]
	s_waitcnt lgkmcnt(6)
	v_dual_add_f32 v64, v89, v182 :: v_dual_add_f32 v73, v88, v181
	v_dual_add_f32 v74, v166, v182 :: v_dual_add_f32 v77, v165, v181
	v_min3_f32 v16, v59, v58, v16
	v_min3_f32 v46, v61, v60, v46
	;; [unrolled: 1-line block ×5, first 2 shown]
	v_dual_add_f32 v60, v170, v182 :: v_dual_add_f32 v61, v169, v181
	v_dual_add_f32 v62, v174, v182 :: v_dual_add_f32 v63, v173, v181
	s_waitcnt lgkmcnt(5)
	v_dual_add_f32 v64, v89, v186 :: v_dual_add_f32 v65, v88, v185
	v_dual_add_f32 v66, v166, v186 :: v_dual_add_f32 v73, v165, v185
	;; [unrolled: 1-line block ×3, first 2 shown]
	v_min3_f32 v17, v61, v60, v17
	v_min3_f32 v38, v63, v62, v38
	;; [unrolled: 1-line block ×5, first 2 shown]
	v_dual_add_f32 v60, v174, v186 :: v_dual_add_f32 v61, v173, v185
	s_waitcnt lgkmcnt(4)
	v_dual_add_f32 v62, v89, v190 :: v_dual_add_f32 v63, v88, v189
	v_dual_add_f32 v64, v166, v190 :: v_dual_add_f32 v65, v165, v189
	;; [unrolled: 1-line block ×4, first 2 shown]
	v_min3_f32 v20, v61, v60, v20
	v_min3_f32 v34, v63, v62, v34
	;; [unrolled: 1-line block ×5, first 2 shown]
	s_waitcnt lgkmcnt(3)
	v_dual_add_f32 v62, v89, v194 :: v_dual_add_f32 v63, v88, v193
	v_dual_add_f32 v64, v166, v194 :: v_dual_add_f32 v65, v165, v193
	;; [unrolled: 1-line block ×4, first 2 shown]
	s_waitcnt lgkmcnt(2)
	v_dual_add_f32 v74, v89, v198 :: v_dual_add_f32 v77, v88, v197
	v_min3_f32 v21, v63, v62, v21
	v_min3_f32 v30, v65, v64, v30
	;; [unrolled: 1-line block ×5, first 2 shown]
	v_dual_add_f32 v64, v166, v198 :: v_dual_add_f32 v65, v165, v197
	v_dual_add_f32 v66, v170, v198 :: v_dual_add_f32 v67, v169, v197
	;; [unrolled: 1-line block ×3, first 2 shown]
	s_waitcnt lgkmcnt(1)
	v_dual_add_f32 v70, v89, v202 :: v_dual_add_f32 v73, v88, v201
	v_dual_add_f32 v74, v166, v202 :: v_dual_add_f32 v77, v165, v201
	v_min3_f32 v24, v65, v64, v24
	v_min3_f32 v26, v67, v66, v26
	;; [unrolled: 1-line block ×5, first 2 shown]
	v_dual_add_f32 v66, v170, v202 :: v_dual_add_f32 v67, v169, v201
	v_dual_add_f32 v68, v174, v202 :: v_dual_add_f32 v69, v173, v201
	s_waitcnt lgkmcnt(0)
	v_dual_add_f32 v70, v89, v206 :: v_dual_add_f32 v71, v88, v205
	v_dual_add_f32 v72, v166, v206 :: v_dual_add_f32 v73, v165, v205
	v_dual_add_f32 v74, v170, v206 :: v_dual_add_f32 v77, v169, v205
	v_min3_f32 v25, v67, v66, v25
	v_min3_f32 v3, v69, v68, v3
	v_min3_f32 v6, v71, v70, v6
	v_min3_f32 v7, v73, v72, v7
	v_min3_f32 v10, v77, v74, v10
	v_dual_add_f32 v66, v174, v206 :: v_dual_add_f32 v67, v173, v205
	v_dual_add_f32 v68, v91, v76 :: v_dual_add_f32 v69, v90, v75
	v_dual_add_f32 v70, v168, v76 :: v_dual_add_f32 v71, v167, v75
	v_dual_add_f32 v72, v172, v76 :: v_dual_add_f32 v73, v171, v75
	v_dual_add_f32 v74, v176, v76 :: v_dual_add_f32 v75, v175, v75
	v_min3_f32 v2, v67, v66, v2
	v_min3_f32 v165, v69, v68, v11
	v_min3_f32 v161, v71, v70, v14
	v_min3_f32 v162, v73, v72, v15
	v_min3_f32 v159, v75, v74, v4
	v_dual_add_f32 v4, v91, v95 :: v_dual_add_f32 v11, v90, v94
	v_dual_add_f32 v14, v168, v95 :: v_dual_add_f32 v15, v167, v94
	;; [unrolled: 10-line block ×12, first 2 shown]
	v_dual_add_f32 v11, v91, v204 :: v_dual_add_f32 v12, v90, v203
	v_dual_add_f32 v13, v168, v204 :: v_dual_add_f32 v14, v167, v203
	;; [unrolled: 1-line block ×3, first 2 shown]
	v_add_co_ci_u32_e32 v149, vcc_lo, 0, v149, vcc_lo
	v_add_co_u32 v150, vcc_lo, v150, 32
	v_add_co_ci_u32_e32 v151, vcc_lo, 0, v151, vcc_lo
	v_min3_f32 v98, v5, v4, v26
	v_min3_f32 v95, v9, v8, v27
	;; [unrolled: 1-line block ×5, first 2 shown]
	v_dual_add_f32 v4, v176, v204 :: v_dual_add_f32 v5, v175, v203
	v_dual_add_f32 v8, v91, v208 :: v_dual_add_f32 v9, v90, v207
	v_dual_add_f32 v11, v168, v208 :: v_dual_add_f32 v12, v167, v207
	v_dual_add_f32 v13, v172, v208 :: v_dual_add_f32 v14, v171, v207
	v_dual_add_f32 v15, v176, v208 :: v_dual_add_f32 v16, v175, v207
	v_add_co_u32 v152, vcc_lo, v152, 32
	v_add_co_ci_u32_e32 v153, vcc_lo, 0, v153, vcc_lo
	v_add_co_u32 v154, vcc_lo, v154, 32
	v_min3_f32 v91, v5, v4, v3
	v_min3_f32 v92, v9, v8, v6
	;; [unrolled: 1-line block ×5, first 2 shown]
	v_add_co_ci_u32_e32 v156, vcc_lo, 0, v156, vcc_lo
	s_add_i32 s11, s11, 8
	ds_store_2addr_stride64_b32 v113, v163, v164 offset1:4
	ds_store_2addr_stride64_b32 v144, v0, v1 offset1:4
	s_cmp_ge_i32 s11, s10
	s_waitcnt lgkmcnt(0)
	s_barrier
	buffer_gl0_inv
	s_cbranch_scc1 .LBB9_32
.LBB9_21:                               ; =>This Inner Loop Header: Depth=1
	s_and_b32 vcc_lo, exec_lo, s3
	s_cbranch_vccnz .LBB9_24
; %bb.22:                               ;   in Loop: Header=BB9_21 Depth=1
	v_add_co_u32 v0, vcc_lo, v154, v82
	v_add_co_ci_u32_e32 v1, vcc_lo, 0, v156, vcc_lo
	v_add_co_u32 v2, vcc_lo, v152, v82
	v_add_co_ci_u32_e32 v3, vcc_lo, 0, v153, vcc_lo
	flat_load_b32 v0, v[0:1] offset:32
	flat_load_b32 v1, v[2:3] offset:32
	s_waitcnt vmcnt(0) lgkmcnt(0)
	v_dual_mul_f32 v163, s22, v0 :: v_dual_mul_f32 v164, s22, v1
	s_and_b32 vcc_lo, exec_lo, s3
	s_cbranch_vccnz .LBB9_25
.LBB9_23:                               ;   in Loop: Header=BB9_21 Depth=1
	v_add_co_u32 v0, vcc_lo, v150, v82
	v_add_co_ci_u32_e32 v1, vcc_lo, 0, v151, vcc_lo
	v_add_co_u32 v2, vcc_lo, v148, v82
	v_add_co_ci_u32_e32 v3, vcc_lo, 0, v149, vcc_lo
	flat_load_b32 v0, v[0:1] offset:32
	flat_load_b32 v1, v[2:3] offset:32
	s_waitcnt vmcnt(0) lgkmcnt(0)
	v_dual_mul_f32 v166, s22, v0 :: v_dual_mul_f32 v167, s22, v1
	s_branch .LBB9_26
.LBB9_24:                               ;   in Loop: Header=BB9_21 Depth=1
	v_dual_mov_b32 v163, 0 :: v_dual_mov_b32 v164, 0
	s_and_b32 vcc_lo, exec_lo, s3
	s_cbranch_vccz .LBB9_23
.LBB9_25:                               ;   in Loop: Header=BB9_21 Depth=1
	v_dual_mov_b32 v166, 0 :: v_dual_mov_b32 v167, 0
.LBB9_26:                               ;   in Loop: Header=BB9_21 Depth=1
	ds_load_b128 v[12:15], v145
	ds_load_b128 v[8:11], v145 offset:512
	ds_load_b128 v[4:7], v145 offset:1024
	;; [unrolled: 1-line block ×3, first 2 shown]
	ds_load_b128 v[76:79], v146
	ds_load_b128 v[72:75], v146 offset:128
	ds_load_b128 v[68:71], v146 offset:256
	;; [unrolled: 1-line block ×15, first 2 shown]
	s_mov_b32 vcc_lo, s4
	ds_store_2addr_stride64_b32 v83, v163, v164 offset1:4
	ds_store_2addr_stride64_b32 v84, v166, v167 offset1:4
	s_waitcnt lgkmcnt(0)
	s_barrier
	buffer_gl0_inv
	s_cbranch_vccz .LBB9_28
; %bb.27:                               ;   in Loop: Header=BB9_21 Depth=1
	v_add_co_u32 v163, vcc_lo, v154, v82
	v_add_co_ci_u32_e32 v164, vcc_lo, 0, v156, vcc_lo
	v_add_co_u32 v166, vcc_lo, v152, v82
	v_add_co_ci_u32_e32 v167, vcc_lo, 0, v153, vcc_lo
	flat_load_b32 v80, v[163:164] offset:48
	flat_load_b32 v81, v[166:167] offset:48
	s_waitcnt vmcnt(0) lgkmcnt(0)
	v_dual_mul_f32 v163, s22, v80 :: v_dual_mul_f32 v164, s22, v81
	s_branch .LBB9_29
.LBB9_28:                               ;   in Loop: Header=BB9_21 Depth=1
	v_dual_mov_b32 v163, 0 :: v_dual_mov_b32 v164, 0
.LBB9_29:                               ;   in Loop: Header=BB9_21 Depth=1
	v_dual_add_f32 v80, v13, v77 :: v_dual_add_f32 v81, v12, v76
	v_dual_add_f32 v166, v9, v77 :: v_dual_add_f32 v167, v8, v76
	v_dual_add_f32 v168, v5, v77 :: v_dual_add_f32 v169, v4, v76
	s_delay_alu instid0(VALU_DEP_3) | instskip(SKIP_1) | instid1(VALU_DEP_4)
	v_min3_f32 v80, v81, v80, v165
	v_dual_add_f32 v77, v1, v77 :: v_dual_add_f32 v76, v0, v76
	v_min3_f32 v81, v167, v166, v161
	s_delay_alu instid0(VALU_DEP_4)
	v_min3_f32 v161, v169, v168, v162
	v_dual_add_f32 v162, v13, v73 :: v_dual_add_f32 v165, v12, v72
	v_dual_add_f32 v166, v9, v73 :: v_dual_add_f32 v167, v8, v72
	;; [unrolled: 1-line block ×4, first 2 shown]
	v_min3_f32 v76, v76, v77, v159
	v_min3_f32 v77, v165, v162, v160
	;; [unrolled: 1-line block ×3, first 2 shown]
	v_add_f32_e32 v159, v9, v69
	v_min3_f32 v72, v72, v73, v155
	v_dual_add_f32 v73, v13, v69 :: v_dual_add_f32 v160, v8, v68
	v_dual_add_f32 v155, v12, v68 :: v_dual_add_f32 v162, v5, v69
	;; [unrolled: 1-line block ×4, first 2 shown]
	v_add_f32_e32 v167, v12, v64
	s_delay_alu instid0(VALU_DEP_4)
	v_min3_f32 v73, v155, v73, v147
	v_min3_f32 v142, v160, v159, v142
	v_dual_add_f32 v147, v5, v65 :: v_dual_add_f32 v160, v12, v60
	v_min3_f32 v68, v68, v69, v140
	v_add_f32_e32 v140, v9, v65
	v_min3_f32 v69, v167, v166, v141
	v_add_f32_e32 v141, v8, v64
	v_add_f32_e32 v155, v4, v64
	v_dual_add_f32 v65, v1, v65 :: v_dual_add_f32 v64, v0, v64
	v_add_f32_e32 v159, v13, v61
	v_min3_f32 v143, v165, v162, v143
	v_dual_add_f32 v162, v9, v61 :: v_dual_add_f32 v165, v8, v60
	v_min3_f32 v138, v141, v140, v138
	v_add_f32_e32 v140, v13, v57
	v_min3_f32 v64, v64, v65, v136
	v_min3_f32 v65, v160, v159, v137
	v_dual_add_f32 v136, v5, v61 :: v_dual_add_f32 v137, v4, v60
	v_dual_add_f32 v61, v1, v61 :: v_dual_add_f32 v60, v0, v60
	v_add_f32_e32 v141, v12, v56
	v_min3_f32 v139, v155, v147, v139
	v_add_f32_e32 v147, v9, v57
	v_add_f32_e32 v155, v8, v56
	v_dual_add_f32 v159, v5, v57 :: v_dual_add_f32 v160, v4, v56
	v_dual_add_f32 v57, v1, v57 :: v_dual_add_f32 v56, v0, v56
	v_min3_f32 v60, v60, v61, v132
	v_add_f32_e32 v132, v13, v53
	v_min3_f32 v134, v137, v136, v134
	v_add_f32_e32 v136, v9, v53
	;; [unrolled: 2-line block ×3, first 2 shown]
	v_dual_add_f32 v137, v8, v52 :: v_dual_add_f32 v140, v5, v53
	v_add_f32_e32 v141, v4, v52
	v_dual_add_f32 v53, v1, v53 :: v_dual_add_f32 v52, v0, v52
	v_min3_f32 v128, v56, v57, v128
	v_dual_add_f32 v56, v9, v49 :: v_dual_add_f32 v57, v8, v48
	v_min3_f32 v126, v137, v136, v126
	s_delay_alu instid0(VALU_DEP_4)
	v_min3_f32 v125, v52, v53, v125
	v_add_f32_e32 v52, v13, v49
	v_min3_f32 v129, v133, v132, v129
	v_dual_add_f32 v53, v12, v48 :: v_dual_add_f32 v136, v13, v45
	v_dual_add_f32 v132, v5, v49 :: v_dual_add_f32 v133, v4, v48
	;; [unrolled: 1-line block ×3, first 2 shown]
	v_add_f32_e32 v137, v12, v44
	s_delay_alu instid0(VALU_DEP_4) | instskip(SKIP_1) | instid1(VALU_DEP_4)
	v_min3_f32 v124, v53, v52, v124
	v_dual_add_f32 v52, v5, v45 :: v_dual_add_f32 v53, v4, v44
	v_min3_f32 v120, v48, v49, v120
	v_dual_add_f32 v48, v9, v45 :: v_dual_add_f32 v49, v8, v44
	v_dual_add_f32 v45, v1, v45 :: v_dual_add_f32 v44, v0, v44
	v_min3_f32 v122, v57, v56, v122
	v_min3_f32 v123, v133, v132, v123
	v_dual_add_f32 v56, v13, v41 :: v_dual_add_f32 v57, v12, v40
	v_dual_add_f32 v132, v9, v41 :: v_dual_add_f32 v133, v8, v40
	v_min3_f32 v118, v49, v48, v118
	v_min3_f32 v116, v44, v45, v116
	v_dual_add_f32 v44, v5, v41 :: v_dual_add_f32 v45, v4, v40
	v_dual_add_f32 v41, v1, v41 :: v_dual_add_f32 v40, v0, v40
	;; [unrolled: 1-line block ×3, first 2 shown]
	v_min3_f32 v119, v53, v52, v119
	v_min3_f32 v117, v57, v56, v117
	v_dual_add_f32 v52, v9, v37 :: v_dual_add_f32 v53, v8, v36
	v_dual_add_f32 v56, v5, v37 :: v_dual_add_f32 v57, v4, v36
	v_min3_f32 v114, v45, v44, v114
	v_min3_f32 v111, v40, v41, v111
	v_dual_add_f32 v37, v1, v37 :: v_dual_add_f32 v36, v0, v36
	v_add_f32_e32 v40, v13, v33
	v_min3_f32 v112, v49, v48, v112
	v_dual_add_f32 v41, v12, v32 :: v_dual_add_f32 v44, v9, v33
	v_dual_add_f32 v45, v8, v32 :: v_dual_add_f32 v48, v5, v33
	v_add_f32_e32 v49, v4, v32
	v_dual_add_f32 v33, v1, v33 :: v_dual_add_f32 v32, v0, v32
	v_min3_f32 v107, v36, v37, v107
	v_dual_add_f32 v36, v9, v29 :: v_dual_add_f32 v37, v8, v28
	v_min3_f32 v105, v45, v44, v105
	s_delay_alu instid0(VALU_DEP_4)
	v_min3_f32 v104, v32, v33, v104
	v_add_f32_e32 v32, v13, v29
	v_min3_f32 v108, v41, v40, v108
	v_dual_add_f32 v33, v12, v28 :: v_dual_add_f32 v44, v13, v25
	v_dual_add_f32 v40, v5, v29 :: v_dual_add_f32 v41, v4, v28
	v_dual_add_f32 v29, v1, v29 :: v_dual_add_f32 v28, v0, v28
	v_add_f32_e32 v45, v12, v24
	s_delay_alu instid0(VALU_DEP_4) | instskip(SKIP_1) | instid1(VALU_DEP_4)
	v_min3_f32 v103, v33, v32, v103
	v_dual_add_f32 v32, v5, v25 :: v_dual_add_f32 v33, v4, v24
	v_min3_f32 v99, v28, v29, v99
	v_dual_add_f32 v28, v9, v25 :: v_dual_add_f32 v29, v8, v24
	v_dual_add_f32 v25, v1, v25 :: v_dual_add_f32 v24, v0, v24
	v_min3_f32 v101, v37, v36, v101
	v_min3_f32 v102, v41, v40, v102
	v_dual_add_f32 v36, v13, v21 :: v_dual_add_f32 v37, v12, v20
	v_dual_add_f32 v40, v9, v21 :: v_dual_add_f32 v41, v8, v20
	v_min3_f32 v97, v29, v28, v97
	v_dual_add_f32 v28, v4, v20 :: v_dual_add_f32 v13, v13, v17
	v_add_f32_e32 v4, v4, v16
	v_add_f32_e32 v12, v12, v16
	v_min3_f32 v25, v24, v25, v95
	v_add_f32_e32 v24, v5, v21
	v_dual_add_f32 v21, v1, v21 :: v_dual_add_f32 v8, v8, v16
	v_add_f32_e32 v9, v9, v17
	v_dual_add_f32 v5, v5, v17 :: v_dual_add_f32 v20, v0, v20
	v_min3_f32 v92, v12, v13, v92
	v_dual_add_f32 v12, v7, v79 :: v_dual_add_f32 v1, v1, v17
	s_delay_alu instid0(VALU_DEP_3)
	v_min3_f32 v90, v4, v5, v90
	v_add_f32_e32 v0, v0, v16
	v_add_f32_e32 v16, v3, v79
	v_min3_f32 v89, v8, v9, v89
	v_dual_add_f32 v4, v15, v79 :: v_dual_add_f32 v5, v14, v78
	v_dual_add_f32 v8, v11, v79 :: v_dual_add_f32 v9, v10, v78
	v_add_f32_e32 v13, v6, v78
	v_add_f32_e32 v17, v2, v78
	v_min3_f32 v158, v169, v168, v158
	v_min3_f32 v98, v33, v32, v98
	;; [unrolled: 1-line block ×4, first 2 shown]
	v_add_f32_e32 v20, v15, v71
	v_min3_f32 v32, v13, v12, v161
	v_add_f32_e32 v12, v7, v75
	v_min3_f32 v29, v9, v8, v81
	;; [unrolled: 2-line block ×3, first 2 shown]
	v_min3_f32 v4, v17, v16, v76
	v_dual_add_f32 v13, v6, v74 :: v_dual_add_f32 v16, v3, v75
	v_add_f32_e32 v17, v2, v74
	v_min3_f32 v95, v37, v36, v96
	v_min3_f32 v94, v41, v40, v94
	v_add_f32_e32 v9, v10, v74
	v_min3_f32 v37, v13, v12, v158
	v_min3_f32 v40, v17, v16, v72
	v_dual_add_f32 v13, v3, v71 :: v_dual_add_f32 v16, v2, v70
	v_min3_f32 v100, v45, v44, v100
	v_min3_f32 v0, v0, v1, v88
	v_add_f32_e32 v1, v15, v75
	v_add_f32_e32 v5, v14, v74
	;; [unrolled: 1-line block ×4, first 2 shown]
	v_min3_f32 v45, v16, v13, v68
	v_add_f32_e32 v16, v15, v63
	v_min3_f32 v36, v9, v8, v157
	v_dual_add_f32 v9, v7, v71 :: v_dual_add_f32 v8, v10, v70
	v_dual_add_f32 v17, v15, v67 :: v_dual_add_f32 v24, v10, v66
	v_add_f32_e32 v13, v2, v66
	s_delay_alu instid0(VALU_DEP_3)
	v_min3_f32 v44, v12, v9, v143
	v_add_f32_e32 v12, v3, v67
	v_min3_f32 v33, v5, v1, v77
	v_min3_f32 v5, v21, v20, v73
	v_dual_add_f32 v1, v11, v71 :: v_dual_add_f32 v20, v14, v66
	v_add_f32_e32 v21, v11, v67
	v_min3_f32 v135, v165, v162, v135
	v_min3_f32 v109, v53, v52, v109
	;; [unrolled: 1-line block ×6, first 2 shown]
	v_add_f32_e32 v1, v7, v67
	v_add_f32_e32 v9, v6, v66
	v_dual_add_f32 v17, v14, v62 :: v_dual_add_f32 v20, v11, v63
	v_dual_add_f32 v57, v6, v62 :: v_dual_add_f32 v66, v11, v47
	v_min3_f32 v52, v13, v12, v64
	v_add_f32_e32 v12, v2, v62
	v_min3_f32 v8, v24, v21, v138
	v_dual_add_f32 v21, v10, v62 :: v_dual_add_f32 v24, v7, v63
	v_min3_f32 v130, v155, v147, v130
	v_min3_f32 v131, v160, v159, v131
	;; [unrolled: 1-line block ×3, first 2 shown]
	s_delay_alu instid0(VALU_DEP_4)
	v_min3_f32 v56, v21, v20, v135
	v_dual_add_f32 v13, v15, v59 :: v_dual_add_f32 v16, v14, v58
	v_min3_f32 v49, v9, v1, v139
	v_min3_f32 v9, v57, v24, v134
	v_dual_add_f32 v24, v6, v58 :: v_dual_add_f32 v1, v3, v63
	v_dual_add_f32 v20, v10, v58 :: v_dual_add_f32 v17, v11, v59
	;; [unrolled: 1-line block ×4, first 2 shown]
	v_min3_f32 v127, v141, v140, v127
	v_min3_f32 v57, v12, v1, v60
	;; [unrolled: 1-line block ×5, first 2 shown]
	v_add_f32_e32 v1, v15, v55
	v_dual_add_f32 v13, v14, v54 :: v_dual_add_f32 v16, v11, v55
	v_dual_add_f32 v21, v6, v54 :: v_dual_add_f32 v68, v7, v43
	v_add_f32_e32 v24, v3, v55
	v_add_f32_e32 v62, v2, v54
	v_min3_f32 v59, v20, v17, v130
	v_dual_add_f32 v17, v10, v54 :: v_dual_add_f32 v20, v7, v55
	v_add_f32_e32 v63, v15, v51
	v_min3_f32 v121, v137, v136, v121
	v_min3_f32 v62, v62, v24, v125
	s_delay_alu instid0(VALU_DEP_4)
	v_min3_f32 v55, v17, v16, v126
	v_min3_f32 v61, v21, v20, v127
	v_add_f32_e32 v20, v6, v50
	v_add_f32_e32 v16, v10, v50
	v_min3_f32 v54, v13, v1, v129
	v_min3_f32 v13, v64, v63, v124
	v_dual_add_f32 v1, v11, v51 :: v_dual_add_f32 v24, v2, v50
	v_add_f32_e32 v17, v7, v51
	v_add_f32_e32 v21, v3, v51
	v_dual_add_f32 v64, v15, v47 :: v_dual_add_f32 v65, v14, v46
	v_add_f32_e32 v67, v10, v46
	v_min3_f32 v115, v133, v132, v115
	v_min3_f32 v50, v16, v1, v122
	v_min3_f32 v51, v20, v17, v123
	v_min3_f32 v63, v24, v21, v120
	v_min3_f32 v64, v65, v64, v121
	v_min3_f32 v16, v67, v66, v118
	v_add_f32_e32 v1, v7, v47
	v_dual_add_f32 v17, v6, v46 :: v_dual_add_f32 v20, v3, v47
	v_dual_add_f32 v21, v2, v46 :: v_dual_add_f32 v24, v15, v43
	;; [unrolled: 1-line block ×4, first 2 shown]
	v_add_f32_e32 v69, v6, v42
	v_min3_f32 v46, v17, v1, v119
	v_min3_f32 v47, v21, v20, v116
	;; [unrolled: 1-line block ×5, first 2 shown]
	v_dual_add_f32 v1, v3, v43 :: v_dual_add_f32 v70, v2, v38
	v_dual_add_f32 v20, v2, v42 :: v_dual_add_f32 v21, v15, v39
	v_add_f32_e32 v24, v14, v38
	v_dual_add_f32 v42, v11, v39 :: v_dual_add_f32 v43, v10, v38
	v_dual_add_f32 v67, v7, v39 :: v_dual_add_f32 v68, v6, v38
	v_add_f32_e32 v69, v3, v39
	v_min3_f32 v38, v20, v1, v111
	v_min3_f32 v39, v24, v21, v112
	;; [unrolled: 1-line block ×5, first 2 shown]
	v_dual_add_f32 v1, v15, v35 :: v_dual_add_f32 v74, v14, v26
	v_dual_add_f32 v21, v14, v34 :: v_dual_add_f32 v24, v11, v35
	;; [unrolled: 1-line block ×4, first 2 shown]
	v_add_f32_e32 v71, v2, v34
	v_add_f32_e32 v73, v14, v30
	v_min3_f32 v34, v21, v1, v108
	v_min3_f32 v35, v67, v24, v105
	;; [unrolled: 1-line block ×5, first 2 shown]
	v_dual_add_f32 v1, v11, v31 :: v_dual_add_f32 v76, v10, v26
	v_dual_add_f32 v24, v10, v30 :: v_dual_add_f32 v69, v7, v31
	;; [unrolled: 1-line block ×5, first 2 shown]
	s_delay_alu instid0(VALU_DEP_4) | instskip(NEXT) | instid1(VALU_DEP_4)
	v_min3_f32 v30, v24, v1, v101
	v_min3_f32 v31, v70, v69, v102
	v_add_f32_e32 v1, v7, v27
	s_delay_alu instid0(VALU_DEP_4)
	v_min3_f32 v24, v76, v75, v97
	v_add_f32_e32 v76, v10, v22
	v_min3_f32 v70, v74, v73, v100
	v_dual_add_f32 v73, v15, v23 :: v_dual_add_f32 v10, v10, v18
	v_add_f32_e32 v74, v14, v22
	v_min3_f32 v69, v72, v71, v99
	v_add_f32_e32 v71, v6, v26
	v_dual_add_f32 v27, v3, v27 :: v_dual_add_f32 v14, v14, v18
	v_dual_add_f32 v72, v2, v26 :: v_dual_add_f32 v75, v11, v23
	v_dual_add_f32 v77, v7, v23 :: v_dual_add_f32 v22, v2, v22
	v_add_f32_e32 v2, v2, v18
	v_min3_f32 v26, v71, v1, v98
	v_min3_f32 v71, v74, v73, v95
	v_add_f32_e32 v1, v3, v23
	v_add_f32_e32 v15, v15, v19
	;; [unrolled: 1-line block ×6, first 2 shown]
	v_min3_f32 v27, v72, v27, v25
	v_min3_f32 v72, v76, v75, v94
	;; [unrolled: 1-line block ×8, first 2 shown]
	s_and_b32 vcc_lo, exec_lo, s3
	s_cbranch_vccz .LBB9_19
; %bb.30:                               ;   in Loop: Header=BB9_21 Depth=1
	v_dual_mov_b32 v0, 0 :: v_dual_mov_b32 v1, 0
	s_branch .LBB9_20
.LBB9_31:
	v_dual_mov_b32 v209, v55 :: v_dual_mov_b32 v210, v56
.LBB9_32:
	ds_load_b128 v[16:19], v87 offset:2048
	ds_load_b128 v[76:79], v86 offset:6144
	s_clause 0x2
	s_load_b32 s4, s[0:1], 0x70
	s_load_b32 s3, s[0:1], 0x58
	s_load_b64 s[0:1], s[0:1], 0x78
	v_add_nc_u32_e32 v113, s14, v209
	s_waitcnt lgkmcnt(0)
	v_dual_add_f32 v5, v16, v76 :: v_dual_add_nc_u32 v84, s5, v210
	v_add_f32_e32 v6, v19, v79
	s_delay_alu instid0(VALU_DEP_3) | instskip(SKIP_4) | instid1(VALU_DEP_4)
	v_mad_i64_i32 v[0:1], null, v113, s4, 0
	v_mad_i64_i32 v[2:3], null, v113, s3, 0
	v_add_f32_e32 v4, v17, v77
	v_dual_add_f32 v7, v18, v78 :: v_dual_add_nc_u32 v82, 32, v84
	s_lshl_b64 s[0:1], s[0:1], 2
	v_lshlrev_b64 v[0:1], 2, v[0:1]
	s_delay_alu instid0(VALU_DEP_3)
	v_min3_f32 v4, v5, v4, v165
	v_lshlrev_b64 v[2:3], 2, v[2:3]
	s_add_u32 s0, s6, s0
	v_ashrrev_i32_e32 v85, 31, v84
	s_addc_u32 s1, s7, s1
	v_min3_f32 v4, v7, v6, v4
	v_add_co_u32 v144, vcc_lo, s0, v0
	v_add_co_ci_u32_e32 v145, vcc_lo, s1, v1, vcc_lo
	v_add_co_u32 v146, vcc_lo, s8, v2
	v_lshlrev_b64 v[80:81], 2, v[84:85]
	v_ashrrev_i32_e32 v83, 31, v82
	v_add_co_ci_u32_e32 v148, vcc_lo, s9, v3, vcc_lo
	v_max_f32_e32 v85, v4, v4
	s_mov_b32 vcc_lo, s2
	s_cbranch_vccz .LBB9_34
; %bb.33:
	v_add_co_u32 v0, vcc_lo, v144, v80
	s_delay_alu instid0(VALU_DEP_2)
	v_min_f32_e32 v2, 0, v85
	v_add_co_ci_u32_e32 v1, vcc_lo, v145, v81, vcc_lo
	s_mov_b32 s5, 0
	global_store_b32 v[0:1], v2, off
	s_branch .LBB9_35
.LBB9_34:
	s_mov_b32 s5, -1
.LBB9_35:
	ds_load_b128 v[12:15], v87 offset:2560
	ds_load_b128 v[8:11], v87 offset:3072
	;; [unrolled: 1-line block ×18, first 2 shown]
	v_lshlrev_b64 v[82:83], 2, v[82:83]
	s_and_not1_b32 vcc_lo, exec_lo, s5
	s_cbranch_vccnz .LBB9_37
; %bb.36:
	v_add_co_u32 v86, vcc_lo, v146, v80
	v_add_co_ci_u32_e32 v87, vcc_lo, v148, v81, vcc_lo
	flat_load_b32 v86, v[86:87]
	s_waitcnt vmcnt(0) lgkmcnt(0)
	v_mul_f32_e32 v149, s15, v86
	v_add_co_u32 v86, vcc_lo, v144, v80
	v_add_co_ci_u32_e32 v87, vcc_lo, v145, v81, vcc_lo
	s_delay_alu instid0(VALU_DEP_3)
	v_min_f32_e32 v85, v149, v85
	v_add_co_u32 v149, vcc_lo, v146, v82
	v_add_co_ci_u32_e32 v150, vcc_lo, v148, v83, vcc_lo
	global_store_b32 v[86:87], v85, off
	flat_load_b32 v85, v[149:150]
	s_waitcnt vmcnt(0) lgkmcnt(0)
	v_mul_f32_e32 v85, s15, v85
	s_branch .LBB9_38
.LBB9_37:
	v_mov_b32_e32 v85, s5
.LBB9_38:
	s_waitcnt lgkmcnt(16)
	v_dual_add_f32 v86, v9, v77 :: v_dual_add_f32 v87, v8, v76
	v_dual_add_f32 v149, v13, v77 :: v_dual_add_f32 v150, v12, v76
	;; [unrolled: 1-line block ×3, first 2 shown]
	s_delay_alu instid0(VALU_DEP_3)
	v_min3_f32 v87, v87, v86, v162
	v_dual_add_f32 v153, v11, v79 :: v_dual_add_f32 v154, v10, v78
	v_add_nc_u32_e32 v86, 64, v84
	v_min3_f32 v149, v150, v149, v161
	v_min_f32_e32 v150, v152, v151
	v_add_nc_u32_e32 v84, 0x60, v84
	v_min3_f32 v152, v154, v153, v87
	v_ashrrev_i32_e32 v87, 31, v86
	s_delay_alu instid0(VALU_DEP_4) | instskip(SKIP_1) | instid1(VALU_DEP_3)
	v_min3_f32 v153, v85, v150, v149
	v_add_co_u32 v150, vcc_lo, v144, v82
	v_lshlrev_b64 v[86:87], 2, v[86:87]
	v_add_co_ci_u32_e32 v151, vcc_lo, v145, v83, vcc_lo
	v_ashrrev_i32_e32 v85, 31, v84
	v_max_f32_e32 v149, v152, v152
	s_mov_b32 vcc_lo, s2
	global_store_b32 v[150:151], v153, off
	s_cbranch_vccz .LBB9_41
; %bb.39:
	v_add_co_u32 v150, vcc_lo, v144, v86
	v_min_f32_e32 v152, 0, v149
	v_add_co_ci_u32_e32 v151, vcc_lo, v145, v87, vcc_lo
	s_mov_b32 s5, 0
	global_store_b32 v[150:151], v152, off
	v_lshlrev_b64 v[84:85], 2, v[84:85]
	s_cbranch_execz .LBB9_42
; %bb.40:
	v_mov_b32_e32 v146, s5
	s_branch .LBB9_43
.LBB9_41:
	s_mov_b32 s5, -1
	v_lshlrev_b64 v[84:85], 2, v[84:85]
.LBB9_42:
	v_add_co_u32 v150, vcc_lo, v146, v86
	v_add_co_ci_u32_e32 v151, vcc_lo, v148, v87, vcc_lo
	flat_load_b32 v150, v[150:151]
	s_waitcnt vmcnt(0) lgkmcnt(0)
	v_mul_f32_e32 v152, s15, v150
	v_add_co_u32 v150, vcc_lo, v144, v86
	v_add_co_ci_u32_e32 v151, vcc_lo, v145, v87, vcc_lo
	s_delay_alu instid0(VALU_DEP_3)
	v_min_f32_e32 v149, v152, v149
	v_add_co_u32 v152, vcc_lo, v146, v84
	v_add_co_ci_u32_e32 v153, vcc_lo, v148, v85, vcc_lo
	global_store_b32 v[150:151], v149, off
	flat_load_b32 v146, v[152:153]
	s_waitcnt vmcnt(0) lgkmcnt(0)
	v_mul_f32_e32 v146, s15, v146
.LBB9_43:
	s_waitcnt lgkmcnt(14)
	v_dual_add_f32 v148, v17, v73 :: v_dual_add_f32 v149, v16, v72
	v_dual_add_f32 v77, v1, v77 :: v_dual_add_f32 v76, v0, v76
	;; [unrolled: 1-line block ×3, first 2 shown]
	s_delay_alu instid0(VALU_DEP_3) | instskip(SKIP_1) | instid1(VALU_DEP_4)
	v_min3_f32 v148, v149, v148, v160
	v_dual_add_f32 v78, v2, v78 :: v_dual_add_nc_u32 v149, 8, v113
	v_min3_f32 v150, v76, v77, v159
	v_add_f32_e32 v151, v19, v75
	s_delay_alu instid0(VALU_DEP_3) | instskip(NEXT) | instid1(VALU_DEP_4)
	v_mad_i64_i32 v[76:77], null, v149, s4, 0
	v_min_f32_e32 v153, v78, v79
	v_mad_i64_i32 v[78:79], null, v149, s3, 0
	s_delay_alu instid0(VALU_DEP_4)
	v_min3_f32 v151, v152, v151, v148
	v_add_co_u32 v148, vcc_lo, v144, v84
	v_lshlrev_b64 v[76:77], 2, v[76:77]
	v_add_co_ci_u32_e32 v149, vcc_lo, v145, v85, vcc_lo
	v_lshlrev_b64 v[78:79], 2, v[78:79]
	v_min3_f32 v146, v146, v153, v150
	v_max_f32_e32 v144, v151, v151
	v_add_co_u32 v76, vcc_lo, s0, v76
	v_add_co_ci_u32_e32 v77, vcc_lo, s1, v77, vcc_lo
	v_add_co_u32 v78, vcc_lo, s8, v78
	v_add_co_ci_u32_e32 v79, vcc_lo, s9, v79, vcc_lo
	s_mov_b32 vcc_lo, s2
	global_store_b32 v[148:149], v146, off
	s_cbranch_vccz .LBB9_46
; %bb.44:
	v_add_co_u32 v145, vcc_lo, v76, v80
	v_min_f32_e32 v148, 0, v144
	v_add_co_ci_u32_e32 v146, vcc_lo, v77, v81, vcc_lo
	s_mov_b32 s5, 0
	global_store_b32 v[145:146], v148, off
	s_cbranch_execz .LBB9_47
; %bb.45:
	v_mov_b32_e32 v144, s5
	s_branch .LBB9_48
.LBB9_46:
	s_mov_b32 s5, -1
.LBB9_47:
	v_add_co_u32 v145, vcc_lo, v78, v80
	v_add_co_ci_u32_e32 v146, vcc_lo, v79, v81, vcc_lo
	flat_load_b32 v145, v[145:146]
	s_waitcnt vmcnt(0) lgkmcnt(0)
	v_mul_f32_e32 v148, s15, v145
	v_add_co_u32 v145, vcc_lo, v76, v80
	v_add_co_ci_u32_e32 v146, vcc_lo, v77, v81, vcc_lo
	s_delay_alu instid0(VALU_DEP_3)
	v_min_f32_e32 v144, v148, v144
	v_add_co_u32 v148, vcc_lo, v78, v82
	v_add_co_ci_u32_e32 v149, vcc_lo, v79, v83, vcc_lo
	global_store_b32 v[145:146], v144, off
	flat_load_b32 v144, v[148:149]
	s_waitcnt vmcnt(0) lgkmcnt(0)
	v_mul_f32_e32 v144, s15, v144
.LBB9_48:
	v_dual_add_f32 v145, v13, v73 :: v_dual_add_f32 v146, v12, v72
	v_dual_add_f32 v148, v9, v73 :: v_dual_add_f32 v149, v8, v72
	;; [unrolled: 1-line block ×3, first 2 shown]
	s_delay_alu instid0(VALU_DEP_3) | instskip(NEXT) | instid1(VALU_DEP_3)
	v_min3_f32 v145, v146, v145, v157
	v_min3_f32 v146, v149, v148, v158
	v_dual_add_f32 v148, v11, v75 :: v_dual_add_f32 v149, v10, v74
	s_delay_alu instid0(VALU_DEP_4) | instskip(NEXT) | instid1(VALU_DEP_2)
	v_min_f32_e32 v150, v151, v150
	v_min3_f32 v148, v149, v148, v146
	s_delay_alu instid0(VALU_DEP_2) | instskip(SKIP_2) | instid1(VALU_DEP_4)
	v_min3_f32 v149, v144, v150, v145
	v_add_co_u32 v145, vcc_lo, v76, v82
	v_add_co_ci_u32_e32 v146, vcc_lo, v77, v83, vcc_lo
	v_max_f32_e32 v144, v148, v148
	s_mov_b32 vcc_lo, s2
	global_store_b32 v[145:146], v149, off
	s_cbranch_vccz .LBB9_51
; %bb.49:
	v_add_co_u32 v145, vcc_lo, v76, v86
	v_min_f32_e32 v148, 0, v144
	v_add_co_ci_u32_e32 v146, vcc_lo, v77, v87, vcc_lo
	s_mov_b32 s5, 0
	global_store_b32 v[145:146], v148, off
	s_cbranch_execz .LBB9_52
; %bb.50:
	v_mov_b32_e32 v78, s5
	s_branch .LBB9_53
.LBB9_51:
	s_mov_b32 s5, -1
.LBB9_52:
	v_add_co_u32 v145, vcc_lo, v78, v86
	v_add_co_ci_u32_e32 v146, vcc_lo, v79, v87, vcc_lo
	flat_load_b32 v145, v[145:146]
	s_waitcnt vmcnt(0) lgkmcnt(0)
	v_mul_f32_e32 v148, s15, v145
	v_add_co_u32 v145, vcc_lo, v76, v86
	v_add_co_ci_u32_e32 v146, vcc_lo, v77, v87, vcc_lo
	v_add_co_u32 v78, vcc_lo, v78, v84
	s_delay_alu instid0(VALU_DEP_4)
	v_min_f32_e32 v144, v148, v144
	v_add_co_ci_u32_e32 v79, vcc_lo, v79, v85, vcc_lo
	global_store_b32 v[145:146], v144, off
	flat_load_b32 v78, v[78:79]
	s_waitcnt vmcnt(0) lgkmcnt(0)
	v_mul_f32_e32 v78, s15, v78
.LBB9_53:
	s_waitcnt lgkmcnt(13)
	v_dual_add_f32 v79, v17, v69 :: v_dual_add_f32 v144, v16, v68
	v_dual_add_f32 v73, v1, v73 :: v_dual_add_f32 v72, v0, v72
	;; [unrolled: 1-line block ×3, first 2 shown]
	s_delay_alu instid0(VALU_DEP_3) | instskip(SKIP_1) | instid1(VALU_DEP_4)
	v_min3_f32 v79, v144, v79, v147
	v_add_nc_u32_e32 v144, 16, v113
	v_min3_f32 v145, v72, v73, v155
	v_dual_add_f32 v146, v19, v71 :: v_dual_add_f32 v147, v18, v70
	v_min_f32_e32 v148, v74, v75
	s_delay_alu instid0(VALU_DEP_4) | instskip(SKIP_1) | instid1(VALU_DEP_3)
	v_mad_i64_i32 v[72:73], null, v144, s4, 0
	v_mad_i64_i32 v[74:75], null, v144, s3, 0
	v_min3_f32 v145, v78, v148, v145
	v_add_co_u32 v78, vcc_lo, v76, v84
	v_min3_f32 v144, v147, v146, v79
	v_lshlrev_b64 v[72:73], 2, v[72:73]
	v_add_co_ci_u32_e32 v79, vcc_lo, v77, v85, vcc_lo
	v_lshlrev_b64 v[74:75], 2, v[74:75]
	s_delay_alu instid0(VALU_DEP_4) | instskip(NEXT) | instid1(VALU_DEP_4)
	v_max_f32_e32 v76, v144, v144
	v_add_co_u32 v72, vcc_lo, s0, v72
	v_add_co_ci_u32_e32 v73, vcc_lo, s1, v73, vcc_lo
	s_delay_alu instid0(VALU_DEP_4)
	v_add_co_u32 v74, vcc_lo, s8, v74
	v_add_co_ci_u32_e32 v75, vcc_lo, s9, v75, vcc_lo
	s_mov_b32 vcc_lo, s2
	global_store_b32 v[78:79], v145, off
	s_cbranch_vccz .LBB9_56
; %bb.54:
	v_add_co_u32 v77, vcc_lo, v72, v80
	v_min_f32_e32 v79, 0, v76
	v_add_co_ci_u32_e32 v78, vcc_lo, v73, v81, vcc_lo
	s_mov_b32 s5, 0
	global_store_b32 v[77:78], v79, off
	s_cbranch_execz .LBB9_57
; %bb.55:
	v_mov_b32_e32 v76, s5
	s_branch .LBB9_58
.LBB9_56:
	s_mov_b32 s5, -1
.LBB9_57:
	v_add_co_u32 v77, vcc_lo, v74, v80
	v_add_co_ci_u32_e32 v78, vcc_lo, v75, v81, vcc_lo
	flat_load_b32 v77, v[77:78]
	s_waitcnt vmcnt(0) lgkmcnt(0)
	v_mul_f32_e32 v79, s15, v77
	v_add_co_u32 v77, vcc_lo, v72, v80
	v_add_co_ci_u32_e32 v78, vcc_lo, v73, v81, vcc_lo
	v_add_co_u32 v144, vcc_lo, v74, v82
	s_delay_alu instid0(VALU_DEP_4)
	v_min_f32_e32 v76, v79, v76
	v_add_co_ci_u32_e32 v145, vcc_lo, v75, v83, vcc_lo
	global_store_b32 v[77:78], v76, off
	flat_load_b32 v76, v[144:145]
	s_waitcnt vmcnt(0) lgkmcnt(0)
	v_mul_f32_e32 v76, s15, v76
.LBB9_58:
	v_dual_add_f32 v77, v13, v69 :: v_dual_add_f32 v78, v12, v68
	v_dual_add_f32 v79, v9, v69 :: v_dual_add_f32 v144, v8, v68
	v_dual_add_f32 v145, v15, v71 :: v_dual_add_f32 v146, v14, v70
	s_delay_alu instid0(VALU_DEP_3) | instskip(SKIP_1) | instid1(VALU_DEP_4)
	v_min3_f32 v77, v78, v77, v142
	v_add_f32_e32 v142, v10, v70
	v_min3_f32 v78, v144, v79, v143
	v_add_f32_e32 v79, v11, v71
	s_delay_alu instid0(VALU_DEP_1) | instskip(SKIP_1) | instid1(VALU_DEP_1)
	v_min3_f32 v79, v142, v79, v78
	v_min_f32_e32 v143, v146, v145
	v_min3_f32 v142, v76, v143, v77
	s_delay_alu instid0(VALU_DEP_3)
	v_max_f32_e32 v76, v79, v79
	v_add_co_u32 v77, vcc_lo, v72, v82
	v_add_co_ci_u32_e32 v78, vcc_lo, v73, v83, vcc_lo
	s_mov_b32 vcc_lo, s2
	global_store_b32 v[77:78], v142, off
	s_cbranch_vccz .LBB9_61
; %bb.59:
	v_add_co_u32 v77, vcc_lo, v72, v86
	v_min_f32_e32 v79, 0, v76
	v_add_co_ci_u32_e32 v78, vcc_lo, v73, v87, vcc_lo
	s_mov_b32 s5, 0
	global_store_b32 v[77:78], v79, off
	s_cbranch_execz .LBB9_62
; %bb.60:
	v_mov_b32_e32 v74, s5
	s_branch .LBB9_63
.LBB9_61:
	s_mov_b32 s5, -1
.LBB9_62:
	v_add_co_u32 v77, vcc_lo, v74, v86
	v_add_co_ci_u32_e32 v78, vcc_lo, v75, v87, vcc_lo
	flat_load_b32 v77, v[77:78]
	s_waitcnt vmcnt(0) lgkmcnt(0)
	v_mul_f32_e32 v79, s15, v77
	v_add_co_u32 v77, vcc_lo, v72, v86
	v_add_co_ci_u32_e32 v78, vcc_lo, v73, v87, vcc_lo
	v_add_co_u32 v74, vcc_lo, v74, v84
	s_delay_alu instid0(VALU_DEP_4)
	v_min_f32_e32 v76, v79, v76
	v_add_co_ci_u32_e32 v75, vcc_lo, v75, v85, vcc_lo
	global_store_b32 v[77:78], v76, off
	flat_load_b32 v74, v[74:75]
	s_waitcnt vmcnt(0) lgkmcnt(0)
	v_mul_f32_e32 v74, s15, v74
.LBB9_63:
	s_waitcnt lgkmcnt(12)
	v_dual_add_f32 v75, v17, v65 :: v_dual_add_f32 v76, v16, v64
	v_dual_add_f32 v69, v1, v69 :: v_dual_add_f32 v68, v0, v68
	;; [unrolled: 1-line block ×3, first 2 shown]
	s_delay_alu instid0(VALU_DEP_3) | instskip(SKIP_1) | instid1(VALU_DEP_4)
	v_min3_f32 v75, v76, v75, v141
	v_add_nc_u32_e32 v76, 24, v113
	v_min3_f32 v77, v68, v69, v140
	v_dual_add_f32 v78, v19, v67 :: v_dual_add_f32 v79, v18, v66
	v_min_f32_e32 v140, v70, v71
	s_delay_alu instid0(VALU_DEP_4) | instskip(SKIP_1) | instid1(VALU_DEP_3)
	v_mad_i64_i32 v[68:69], null, v76, s4, 0
	v_mad_i64_i32 v[70:71], null, v76, s3, 0
	v_min3_f32 v77, v74, v140, v77
	v_add_co_u32 v74, vcc_lo, v72, v84
	v_min3_f32 v76, v79, v78, v75
	v_lshlrev_b64 v[68:69], 2, v[68:69]
	v_add_co_ci_u32_e32 v75, vcc_lo, v73, v85, vcc_lo
	v_lshlrev_b64 v[70:71], 2, v[70:71]
	s_delay_alu instid0(VALU_DEP_4) | instskip(NEXT) | instid1(VALU_DEP_4)
	v_max_f32_e32 v72, v76, v76
	v_add_co_u32 v68, vcc_lo, s0, v68
	v_add_co_ci_u32_e32 v69, vcc_lo, s1, v69, vcc_lo
	s_delay_alu instid0(VALU_DEP_4)
	v_add_co_u32 v70, vcc_lo, s8, v70
	v_add_co_ci_u32_e32 v71, vcc_lo, s9, v71, vcc_lo
	s_mov_b32 vcc_lo, s2
	global_store_b32 v[74:75], v77, off
	s_cbranch_vccz .LBB9_66
; %bb.64:
	v_add_co_u32 v73, vcc_lo, v68, v80
	v_min_f32_e32 v75, 0, v72
	v_add_co_ci_u32_e32 v74, vcc_lo, v69, v81, vcc_lo
	s_mov_b32 s5, 0
	global_store_b32 v[73:74], v75, off
	s_cbranch_execz .LBB9_67
; %bb.65:
	v_mov_b32_e32 v72, s5
	s_branch .LBB9_68
.LBB9_66:
	s_mov_b32 s5, -1
.LBB9_67:
	v_add_co_u32 v73, vcc_lo, v70, v80
	v_add_co_ci_u32_e32 v74, vcc_lo, v71, v81, vcc_lo
	flat_load_b32 v73, v[73:74]
	s_waitcnt vmcnt(0) lgkmcnt(0)
	v_mul_f32_e32 v75, s15, v73
	v_add_co_u32 v73, vcc_lo, v68, v80
	v_add_co_ci_u32_e32 v74, vcc_lo, v69, v81, vcc_lo
	s_delay_alu instid0(VALU_DEP_3)
	v_min_f32_e32 v72, v75, v72
	v_add_co_u32 v75, vcc_lo, v70, v82
	v_add_co_ci_u32_e32 v76, vcc_lo, v71, v83, vcc_lo
	global_store_b32 v[73:74], v72, off
	flat_load_b32 v72, v[75:76]
	s_waitcnt vmcnt(0) lgkmcnt(0)
	v_mul_f32_e32 v72, s15, v72
.LBB9_68:
	v_dual_add_f32 v73, v13, v65 :: v_dual_add_f32 v74, v12, v64
	v_dual_add_f32 v75, v9, v65 :: v_dual_add_f32 v76, v8, v64
	;; [unrolled: 1-line block ×3, first 2 shown]
	s_delay_alu instid0(VALU_DEP_3) | instskip(NEXT) | instid1(VALU_DEP_3)
	v_min3_f32 v73, v74, v73, v138
	v_min3_f32 v74, v76, v75, v139
	v_dual_add_f32 v75, v11, v67 :: v_dual_add_f32 v76, v10, v66
	s_delay_alu instid0(VALU_DEP_1) | instskip(SKIP_1) | instid1(VALU_DEP_1)
	v_min3_f32 v75, v76, v75, v74
	v_min_f32_e32 v77, v78, v77
	v_min3_f32 v76, v72, v77, v73
	s_delay_alu instid0(VALU_DEP_3)
	v_max_f32_e32 v72, v75, v75
	v_add_co_u32 v73, vcc_lo, v68, v82
	v_add_co_ci_u32_e32 v74, vcc_lo, v69, v83, vcc_lo
	s_mov_b32 vcc_lo, s2
	global_store_b32 v[73:74], v76, off
	s_cbranch_vccz .LBB9_71
; %bb.69:
	v_add_co_u32 v73, vcc_lo, v68, v86
	v_min_f32_e32 v75, 0, v72
	v_add_co_ci_u32_e32 v74, vcc_lo, v69, v87, vcc_lo
	s_mov_b32 s5, 0
	global_store_b32 v[73:74], v75, off
	s_cbranch_execz .LBB9_72
; %bb.70:
	v_mov_b32_e32 v70, s5
	s_branch .LBB9_73
.LBB9_71:
	s_mov_b32 s5, -1
.LBB9_72:
	v_add_co_u32 v73, vcc_lo, v70, v86
	v_add_co_ci_u32_e32 v74, vcc_lo, v71, v87, vcc_lo
	flat_load_b32 v73, v[73:74]
	s_waitcnt vmcnt(0) lgkmcnt(0)
	v_mul_f32_e32 v75, s15, v73
	v_add_co_u32 v73, vcc_lo, v68, v86
	v_add_co_ci_u32_e32 v74, vcc_lo, v69, v87, vcc_lo
	v_add_co_u32 v70, vcc_lo, v70, v84
	s_delay_alu instid0(VALU_DEP_4)
	v_min_f32_e32 v72, v75, v72
	v_add_co_ci_u32_e32 v71, vcc_lo, v71, v85, vcc_lo
	global_store_b32 v[73:74], v72, off
	flat_load_b32 v70, v[70:71]
	s_waitcnt vmcnt(0) lgkmcnt(0)
	v_mul_f32_e32 v70, s15, v70
.LBB9_73:
	s_waitcnt lgkmcnt(11)
	v_dual_add_f32 v71, v17, v61 :: v_dual_add_f32 v72, v16, v60
	v_dual_add_f32 v65, v1, v65 :: v_dual_add_f32 v64, v0, v64
	;; [unrolled: 1-line block ×3, first 2 shown]
	s_delay_alu instid0(VALU_DEP_3) | instskip(SKIP_1) | instid1(VALU_DEP_4)
	v_min3_f32 v71, v72, v71, v137
	v_add_nc_u32_e32 v72, 32, v113
	v_min3_f32 v73, v64, v65, v136
	v_dual_add_f32 v74, v19, v63 :: v_dual_add_f32 v75, v18, v62
	v_min_f32_e32 v76, v66, v67
	s_delay_alu instid0(VALU_DEP_4) | instskip(SKIP_1) | instid1(VALU_DEP_3)
	v_mad_i64_i32 v[64:65], null, v72, s4, 0
	v_mad_i64_i32 v[66:67], null, v72, s3, 0
	v_min3_f32 v73, v70, v76, v73
	v_add_co_u32 v70, vcc_lo, v68, v84
	v_min3_f32 v72, v75, v74, v71
	v_lshlrev_b64 v[64:65], 2, v[64:65]
	v_add_co_ci_u32_e32 v71, vcc_lo, v69, v85, vcc_lo
	v_lshlrev_b64 v[66:67], 2, v[66:67]
	s_delay_alu instid0(VALU_DEP_4) | instskip(NEXT) | instid1(VALU_DEP_4)
	v_max_f32_e32 v68, v72, v72
	v_add_co_u32 v64, vcc_lo, s0, v64
	v_add_co_ci_u32_e32 v65, vcc_lo, s1, v65, vcc_lo
	s_delay_alu instid0(VALU_DEP_4)
	v_add_co_u32 v66, vcc_lo, s8, v66
	v_add_co_ci_u32_e32 v67, vcc_lo, s9, v67, vcc_lo
	s_mov_b32 vcc_lo, s2
	global_store_b32 v[70:71], v73, off
	s_cbranch_vccz .LBB9_76
; %bb.74:
	v_add_co_u32 v69, vcc_lo, v64, v80
	v_min_f32_e32 v71, 0, v68
	v_add_co_ci_u32_e32 v70, vcc_lo, v65, v81, vcc_lo
	s_mov_b32 s5, 0
	global_store_b32 v[69:70], v71, off
	s_cbranch_execz .LBB9_77
; %bb.75:
	v_mov_b32_e32 v68, s5
	s_branch .LBB9_78
.LBB9_76:
	s_mov_b32 s5, -1
.LBB9_77:
	v_add_co_u32 v69, vcc_lo, v66, v80
	v_add_co_ci_u32_e32 v70, vcc_lo, v67, v81, vcc_lo
	flat_load_b32 v69, v[69:70]
	s_waitcnt vmcnt(0) lgkmcnt(0)
	v_mul_f32_e32 v71, s15, v69
	v_add_co_u32 v69, vcc_lo, v64, v80
	v_add_co_ci_u32_e32 v70, vcc_lo, v65, v81, vcc_lo
	s_delay_alu instid0(VALU_DEP_3)
	v_min_f32_e32 v68, v71, v68
	v_add_co_u32 v71, vcc_lo, v66, v82
	v_add_co_ci_u32_e32 v72, vcc_lo, v67, v83, vcc_lo
	global_store_b32 v[69:70], v68, off
	flat_load_b32 v68, v[71:72]
	s_waitcnt vmcnt(0) lgkmcnt(0)
	v_mul_f32_e32 v68, s15, v68
.LBB9_78:
	v_dual_add_f32 v69, v13, v61 :: v_dual_add_f32 v70, v12, v60
	v_dual_add_f32 v71, v9, v61 :: v_dual_add_f32 v72, v8, v60
	;; [unrolled: 1-line block ×3, first 2 shown]
	s_delay_alu instid0(VALU_DEP_3) | instskip(NEXT) | instid1(VALU_DEP_3)
	v_min3_f32 v69, v70, v69, v135
	v_min3_f32 v70, v72, v71, v134
	v_dual_add_f32 v71, v11, v63 :: v_dual_add_f32 v72, v10, v62
	s_delay_alu instid0(VALU_DEP_1) | instskip(SKIP_1) | instid1(VALU_DEP_1)
	v_min3_f32 v71, v72, v71, v70
	v_min_f32_e32 v73, v74, v73
	v_min3_f32 v72, v68, v73, v69
	s_delay_alu instid0(VALU_DEP_3)
	v_max_f32_e32 v68, v71, v71
	v_add_co_u32 v69, vcc_lo, v64, v82
	v_add_co_ci_u32_e32 v70, vcc_lo, v65, v83, vcc_lo
	s_mov_b32 vcc_lo, s2
	global_store_b32 v[69:70], v72, off
	s_cbranch_vccz .LBB9_81
; %bb.79:
	v_add_co_u32 v69, vcc_lo, v64, v86
	v_min_f32_e32 v71, 0, v68
	v_add_co_ci_u32_e32 v70, vcc_lo, v65, v87, vcc_lo
	s_mov_b32 s5, 0
	global_store_b32 v[69:70], v71, off
	s_cbranch_execz .LBB9_82
; %bb.80:
	v_mov_b32_e32 v66, s5
	s_branch .LBB9_83
.LBB9_81:
	s_mov_b32 s5, -1
.LBB9_82:
	v_add_co_u32 v69, vcc_lo, v66, v86
	v_add_co_ci_u32_e32 v70, vcc_lo, v67, v87, vcc_lo
	flat_load_b32 v69, v[69:70]
	s_waitcnt vmcnt(0) lgkmcnt(0)
	v_mul_f32_e32 v71, s15, v69
	v_add_co_u32 v69, vcc_lo, v64, v86
	v_add_co_ci_u32_e32 v70, vcc_lo, v65, v87, vcc_lo
	v_add_co_u32 v66, vcc_lo, v66, v84
	s_delay_alu instid0(VALU_DEP_4)
	v_min_f32_e32 v68, v71, v68
	v_add_co_ci_u32_e32 v67, vcc_lo, v67, v85, vcc_lo
	global_store_b32 v[69:70], v68, off
	flat_load_b32 v66, v[66:67]
	s_waitcnt vmcnt(0) lgkmcnt(0)
	v_mul_f32_e32 v66, s15, v66
.LBB9_83:
	s_waitcnt lgkmcnt(10)
	v_dual_add_f32 v67, v17, v57 :: v_dual_add_f32 v68, v16, v56
	v_dual_add_f32 v61, v1, v61 :: v_dual_add_f32 v60, v0, v60
	;; [unrolled: 1-line block ×3, first 2 shown]
	s_delay_alu instid0(VALU_DEP_3) | instskip(SKIP_1) | instid1(VALU_DEP_4)
	v_min3_f32 v67, v68, v67, v133
	v_add_nc_u32_e32 v68, 40, v113
	v_min3_f32 v69, v60, v61, v132
	v_dual_add_f32 v70, v19, v59 :: v_dual_add_f32 v71, v18, v58
	v_min_f32_e32 v72, v62, v63
	s_delay_alu instid0(VALU_DEP_4) | instskip(SKIP_1) | instid1(VALU_DEP_3)
	v_mad_i64_i32 v[60:61], null, v68, s4, 0
	v_mad_i64_i32 v[62:63], null, v68, s3, 0
	v_min3_f32 v69, v66, v72, v69
	v_add_co_u32 v66, vcc_lo, v64, v84
	v_min3_f32 v68, v71, v70, v67
	v_lshlrev_b64 v[60:61], 2, v[60:61]
	v_add_co_ci_u32_e32 v67, vcc_lo, v65, v85, vcc_lo
	v_lshlrev_b64 v[62:63], 2, v[62:63]
	s_delay_alu instid0(VALU_DEP_4) | instskip(NEXT) | instid1(VALU_DEP_4)
	v_max_f32_e32 v64, v68, v68
	v_add_co_u32 v60, vcc_lo, s0, v60
	v_add_co_ci_u32_e32 v61, vcc_lo, s1, v61, vcc_lo
	s_delay_alu instid0(VALU_DEP_4)
	v_add_co_u32 v62, vcc_lo, s8, v62
	v_add_co_ci_u32_e32 v63, vcc_lo, s9, v63, vcc_lo
	s_mov_b32 vcc_lo, s2
	global_store_b32 v[66:67], v69, off
	s_cbranch_vccz .LBB9_86
; %bb.84:
	v_add_co_u32 v65, vcc_lo, v60, v80
	v_min_f32_e32 v67, 0, v64
	v_add_co_ci_u32_e32 v66, vcc_lo, v61, v81, vcc_lo
	s_mov_b32 s5, 0
	global_store_b32 v[65:66], v67, off
	s_cbranch_execz .LBB9_87
; %bb.85:
	v_mov_b32_e32 v64, s5
	s_branch .LBB9_88
.LBB9_86:
	s_mov_b32 s5, -1
.LBB9_87:
	v_add_co_u32 v65, vcc_lo, v62, v80
	v_add_co_ci_u32_e32 v66, vcc_lo, v63, v81, vcc_lo
	flat_load_b32 v65, v[65:66]
	s_waitcnt vmcnt(0) lgkmcnt(0)
	v_mul_f32_e32 v67, s15, v65
	v_add_co_u32 v65, vcc_lo, v60, v80
	v_add_co_ci_u32_e32 v66, vcc_lo, v61, v81, vcc_lo
	s_delay_alu instid0(VALU_DEP_3)
	v_min_f32_e32 v64, v67, v64
	v_add_co_u32 v67, vcc_lo, v62, v82
	v_add_co_ci_u32_e32 v68, vcc_lo, v63, v83, vcc_lo
	global_store_b32 v[65:66], v64, off
	flat_load_b32 v64, v[67:68]
	s_waitcnt vmcnt(0) lgkmcnt(0)
	v_mul_f32_e32 v64, s15, v64
.LBB9_88:
	v_dual_add_f32 v65, v13, v57 :: v_dual_add_f32 v66, v12, v56
	v_dual_add_f32 v67, v9, v57 :: v_dual_add_f32 v68, v8, v56
	;; [unrolled: 1-line block ×3, first 2 shown]
	s_delay_alu instid0(VALU_DEP_3) | instskip(NEXT) | instid1(VALU_DEP_3)
	v_min3_f32 v65, v66, v65, v130
	v_min3_f32 v66, v68, v67, v131
	v_dual_add_f32 v67, v11, v59 :: v_dual_add_f32 v68, v10, v58
	s_delay_alu instid0(VALU_DEP_1) | instskip(SKIP_1) | instid1(VALU_DEP_1)
	v_min3_f32 v67, v68, v67, v66
	v_min_f32_e32 v69, v70, v69
	v_min3_f32 v68, v64, v69, v65
	s_delay_alu instid0(VALU_DEP_3)
	v_max_f32_e32 v64, v67, v67
	v_add_co_u32 v65, vcc_lo, v60, v82
	v_add_co_ci_u32_e32 v66, vcc_lo, v61, v83, vcc_lo
	s_mov_b32 vcc_lo, s2
	global_store_b32 v[65:66], v68, off
	s_cbranch_vccz .LBB9_91
; %bb.89:
	v_add_co_u32 v65, vcc_lo, v60, v86
	v_min_f32_e32 v67, 0, v64
	v_add_co_ci_u32_e32 v66, vcc_lo, v61, v87, vcc_lo
	s_mov_b32 s5, 0
	global_store_b32 v[65:66], v67, off
	s_cbranch_execz .LBB9_92
; %bb.90:
	v_mov_b32_e32 v62, s5
	s_branch .LBB9_93
.LBB9_91:
	s_mov_b32 s5, -1
.LBB9_92:
	v_add_co_u32 v65, vcc_lo, v62, v86
	v_add_co_ci_u32_e32 v66, vcc_lo, v63, v87, vcc_lo
	flat_load_b32 v65, v[65:66]
	s_waitcnt vmcnt(0) lgkmcnt(0)
	v_mul_f32_e32 v67, s15, v65
	v_add_co_u32 v65, vcc_lo, v60, v86
	v_add_co_ci_u32_e32 v66, vcc_lo, v61, v87, vcc_lo
	v_add_co_u32 v62, vcc_lo, v62, v84
	s_delay_alu instid0(VALU_DEP_4)
	v_min_f32_e32 v64, v67, v64
	v_add_co_ci_u32_e32 v63, vcc_lo, v63, v85, vcc_lo
	global_store_b32 v[65:66], v64, off
	flat_load_b32 v62, v[62:63]
	s_waitcnt vmcnt(0) lgkmcnt(0)
	v_mul_f32_e32 v62, s15, v62
.LBB9_93:
	s_waitcnt lgkmcnt(9)
	v_dual_add_f32 v63, v17, v53 :: v_dual_add_f32 v64, v16, v52
	v_dual_add_f32 v57, v1, v57 :: v_dual_add_f32 v56, v0, v56
	;; [unrolled: 1-line block ×3, first 2 shown]
	s_delay_alu instid0(VALU_DEP_3) | instskip(SKIP_1) | instid1(VALU_DEP_4)
	v_min3_f32 v63, v64, v63, v129
	v_add_nc_u32_e32 v64, 48, v113
	v_min3_f32 v65, v56, v57, v128
	v_dual_add_f32 v66, v19, v55 :: v_dual_add_f32 v67, v18, v54
	v_min_f32_e32 v68, v58, v59
	s_delay_alu instid0(VALU_DEP_4) | instskip(SKIP_1) | instid1(VALU_DEP_3)
	v_mad_i64_i32 v[56:57], null, v64, s4, 0
	v_mad_i64_i32 v[58:59], null, v64, s3, 0
	v_min3_f32 v65, v62, v68, v65
	v_add_co_u32 v62, vcc_lo, v60, v84
	v_min3_f32 v64, v67, v66, v63
	v_lshlrev_b64 v[56:57], 2, v[56:57]
	v_add_co_ci_u32_e32 v63, vcc_lo, v61, v85, vcc_lo
	v_lshlrev_b64 v[58:59], 2, v[58:59]
	s_delay_alu instid0(VALU_DEP_4) | instskip(NEXT) | instid1(VALU_DEP_4)
	v_max_f32_e32 v60, v64, v64
	v_add_co_u32 v56, vcc_lo, s0, v56
	v_add_co_ci_u32_e32 v57, vcc_lo, s1, v57, vcc_lo
	s_delay_alu instid0(VALU_DEP_4)
	v_add_co_u32 v58, vcc_lo, s8, v58
	v_add_co_ci_u32_e32 v59, vcc_lo, s9, v59, vcc_lo
	s_mov_b32 vcc_lo, s2
	global_store_b32 v[62:63], v65, off
	s_cbranch_vccz .LBB9_96
; %bb.94:
	v_add_co_u32 v61, vcc_lo, v56, v80
	v_min_f32_e32 v63, 0, v60
	v_add_co_ci_u32_e32 v62, vcc_lo, v57, v81, vcc_lo
	s_mov_b32 s5, 0
	global_store_b32 v[61:62], v63, off
	s_cbranch_execz .LBB9_97
; %bb.95:
	v_mov_b32_e32 v60, s5
	s_branch .LBB9_98
.LBB9_96:
	s_mov_b32 s5, -1
.LBB9_97:
	v_add_co_u32 v61, vcc_lo, v58, v80
	v_add_co_ci_u32_e32 v62, vcc_lo, v59, v81, vcc_lo
	flat_load_b32 v61, v[61:62]
	s_waitcnt vmcnt(0) lgkmcnt(0)
	v_mul_f32_e32 v63, s15, v61
	v_add_co_u32 v61, vcc_lo, v56, v80
	v_add_co_ci_u32_e32 v62, vcc_lo, v57, v81, vcc_lo
	s_delay_alu instid0(VALU_DEP_3)
	v_min_f32_e32 v60, v63, v60
	v_add_co_u32 v63, vcc_lo, v58, v82
	v_add_co_ci_u32_e32 v64, vcc_lo, v59, v83, vcc_lo
	global_store_b32 v[61:62], v60, off
	flat_load_b32 v60, v[63:64]
	s_waitcnt vmcnt(0) lgkmcnt(0)
	v_mul_f32_e32 v60, s15, v60
.LBB9_98:
	v_dual_add_f32 v61, v13, v53 :: v_dual_add_f32 v62, v12, v52
	v_dual_add_f32 v63, v9, v53 :: v_dual_add_f32 v64, v8, v52
	;; [unrolled: 1-line block ×3, first 2 shown]
	s_delay_alu instid0(VALU_DEP_3) | instskip(NEXT) | instid1(VALU_DEP_3)
	v_min3_f32 v61, v62, v61, v126
	v_min3_f32 v62, v64, v63, v127
	v_dual_add_f32 v63, v11, v55 :: v_dual_add_f32 v64, v10, v54
	s_delay_alu instid0(VALU_DEP_1) | instskip(SKIP_1) | instid1(VALU_DEP_1)
	v_min3_f32 v63, v64, v63, v62
	v_min_f32_e32 v65, v66, v65
	v_min3_f32 v64, v60, v65, v61
	s_delay_alu instid0(VALU_DEP_3)
	v_max_f32_e32 v60, v63, v63
	v_add_co_u32 v61, vcc_lo, v56, v82
	v_add_co_ci_u32_e32 v62, vcc_lo, v57, v83, vcc_lo
	s_mov_b32 vcc_lo, s2
	global_store_b32 v[61:62], v64, off
	s_cbranch_vccz .LBB9_101
; %bb.99:
	v_add_co_u32 v61, vcc_lo, v56, v86
	v_min_f32_e32 v63, 0, v60
	v_add_co_ci_u32_e32 v62, vcc_lo, v57, v87, vcc_lo
	s_mov_b32 s5, 0
	global_store_b32 v[61:62], v63, off
	s_cbranch_execz .LBB9_102
; %bb.100:
	v_mov_b32_e32 v58, s5
	s_branch .LBB9_103
.LBB9_101:
	s_mov_b32 s5, -1
.LBB9_102:
	v_add_co_u32 v61, vcc_lo, v58, v86
	v_add_co_ci_u32_e32 v62, vcc_lo, v59, v87, vcc_lo
	flat_load_b32 v61, v[61:62]
	s_waitcnt vmcnt(0) lgkmcnt(0)
	v_mul_f32_e32 v63, s15, v61
	v_add_co_u32 v61, vcc_lo, v56, v86
	v_add_co_ci_u32_e32 v62, vcc_lo, v57, v87, vcc_lo
	v_add_co_u32 v58, vcc_lo, v58, v84
	s_delay_alu instid0(VALU_DEP_4)
	v_min_f32_e32 v60, v63, v60
	v_add_co_ci_u32_e32 v59, vcc_lo, v59, v85, vcc_lo
	global_store_b32 v[61:62], v60, off
	flat_load_b32 v58, v[58:59]
	s_waitcnt vmcnt(0) lgkmcnt(0)
	v_mul_f32_e32 v58, s15, v58
.LBB9_103:
	s_waitcnt lgkmcnt(8)
	v_dual_add_f32 v59, v17, v49 :: v_dual_add_f32 v60, v16, v48
	v_dual_add_f32 v53, v1, v53 :: v_dual_add_f32 v52, v0, v52
	;; [unrolled: 1-line block ×3, first 2 shown]
	s_delay_alu instid0(VALU_DEP_3) | instskip(SKIP_1) | instid1(VALU_DEP_4)
	v_min3_f32 v59, v60, v59, v124
	v_add_nc_u32_e32 v60, 56, v113
	v_min3_f32 v61, v52, v53, v125
	v_dual_add_f32 v62, v19, v51 :: v_dual_add_f32 v63, v18, v50
	v_min_f32_e32 v64, v54, v55
	s_delay_alu instid0(VALU_DEP_4) | instskip(SKIP_1) | instid1(VALU_DEP_3)
	v_mad_i64_i32 v[52:53], null, v60, s4, 0
	v_mad_i64_i32 v[54:55], null, v60, s3, 0
	v_min3_f32 v61, v58, v64, v61
	v_add_co_u32 v58, vcc_lo, v56, v84
	v_min3_f32 v60, v63, v62, v59
	v_lshlrev_b64 v[52:53], 2, v[52:53]
	v_add_co_ci_u32_e32 v59, vcc_lo, v57, v85, vcc_lo
	v_lshlrev_b64 v[54:55], 2, v[54:55]
	s_delay_alu instid0(VALU_DEP_4) | instskip(NEXT) | instid1(VALU_DEP_4)
	v_max_f32_e32 v56, v60, v60
	v_add_co_u32 v52, vcc_lo, s0, v52
	v_add_co_ci_u32_e32 v53, vcc_lo, s1, v53, vcc_lo
	s_delay_alu instid0(VALU_DEP_4)
	v_add_co_u32 v54, vcc_lo, s8, v54
	v_add_co_ci_u32_e32 v55, vcc_lo, s9, v55, vcc_lo
	s_mov_b32 vcc_lo, s2
	global_store_b32 v[58:59], v61, off
	s_cbranch_vccz .LBB9_106
; %bb.104:
	v_add_co_u32 v57, vcc_lo, v52, v80
	v_min_f32_e32 v59, 0, v56
	v_add_co_ci_u32_e32 v58, vcc_lo, v53, v81, vcc_lo
	s_mov_b32 s5, 0
	global_store_b32 v[57:58], v59, off
	s_cbranch_execz .LBB9_107
; %bb.105:
	v_mov_b32_e32 v56, s5
	s_branch .LBB9_108
.LBB9_106:
	s_mov_b32 s5, -1
.LBB9_107:
	v_add_co_u32 v57, vcc_lo, v54, v80
	v_add_co_ci_u32_e32 v58, vcc_lo, v55, v81, vcc_lo
	flat_load_b32 v57, v[57:58]
	s_waitcnt vmcnt(0) lgkmcnt(0)
	v_mul_f32_e32 v59, s15, v57
	v_add_co_u32 v57, vcc_lo, v52, v80
	v_add_co_ci_u32_e32 v58, vcc_lo, v53, v81, vcc_lo
	s_delay_alu instid0(VALU_DEP_3)
	v_min_f32_e32 v56, v59, v56
	v_add_co_u32 v59, vcc_lo, v54, v82
	v_add_co_ci_u32_e32 v60, vcc_lo, v55, v83, vcc_lo
	global_store_b32 v[57:58], v56, off
	flat_load_b32 v56, v[59:60]
	s_waitcnt vmcnt(0) lgkmcnt(0)
	v_mul_f32_e32 v56, s15, v56
.LBB9_108:
	v_dual_add_f32 v57, v13, v49 :: v_dual_add_f32 v58, v12, v48
	v_dual_add_f32 v59, v9, v49 :: v_dual_add_f32 v60, v8, v48
	;; [unrolled: 1-line block ×3, first 2 shown]
	s_delay_alu instid0(VALU_DEP_3) | instskip(NEXT) | instid1(VALU_DEP_3)
	v_min3_f32 v57, v58, v57, v122
	v_min3_f32 v58, v60, v59, v123
	v_dual_add_f32 v59, v11, v51 :: v_dual_add_f32 v60, v10, v50
	s_delay_alu instid0(VALU_DEP_1) | instskip(SKIP_1) | instid1(VALU_DEP_1)
	v_min3_f32 v59, v60, v59, v58
	v_min_f32_e32 v61, v62, v61
	v_min3_f32 v60, v56, v61, v57
	s_delay_alu instid0(VALU_DEP_3)
	v_max_f32_e32 v56, v59, v59
	v_add_co_u32 v57, vcc_lo, v52, v82
	v_add_co_ci_u32_e32 v58, vcc_lo, v53, v83, vcc_lo
	s_mov_b32 vcc_lo, s2
	global_store_b32 v[57:58], v60, off
	s_cbranch_vccz .LBB9_111
; %bb.109:
	v_add_co_u32 v57, vcc_lo, v52, v86
	v_min_f32_e32 v59, 0, v56
	v_add_co_ci_u32_e32 v58, vcc_lo, v53, v87, vcc_lo
	s_mov_b32 s5, 0
	global_store_b32 v[57:58], v59, off
	s_cbranch_execz .LBB9_112
; %bb.110:
	v_mov_b32_e32 v54, s5
	s_branch .LBB9_113
.LBB9_111:
	s_mov_b32 s5, -1
.LBB9_112:
	v_add_co_u32 v57, vcc_lo, v54, v86
	v_add_co_ci_u32_e32 v58, vcc_lo, v55, v87, vcc_lo
	flat_load_b32 v57, v[57:58]
	s_waitcnt vmcnt(0) lgkmcnt(0)
	v_mul_f32_e32 v59, s15, v57
	v_add_co_u32 v57, vcc_lo, v52, v86
	v_add_co_ci_u32_e32 v58, vcc_lo, v53, v87, vcc_lo
	v_add_co_u32 v54, vcc_lo, v54, v84
	s_delay_alu instid0(VALU_DEP_4)
	v_min_f32_e32 v56, v59, v56
	v_add_co_ci_u32_e32 v55, vcc_lo, v55, v85, vcc_lo
	global_store_b32 v[57:58], v56, off
	flat_load_b32 v54, v[54:55]
	s_waitcnt vmcnt(0) lgkmcnt(0)
	v_mul_f32_e32 v54, s15, v54
.LBB9_113:
	s_waitcnt lgkmcnt(7)
	v_dual_add_f32 v55, v17, v45 :: v_dual_add_f32 v56, v16, v44
	v_dual_add_f32 v49, v1, v49 :: v_dual_add_f32 v48, v0, v48
	;; [unrolled: 1-line block ×3, first 2 shown]
	s_delay_alu instid0(VALU_DEP_3) | instskip(SKIP_1) | instid1(VALU_DEP_4)
	v_min3_f32 v55, v56, v55, v121
	v_add_nc_u32_e32 v56, 64, v113
	v_min3_f32 v57, v48, v49, v120
	v_dual_add_f32 v58, v19, v47 :: v_dual_add_f32 v59, v18, v46
	v_min_f32_e32 v60, v50, v51
	s_delay_alu instid0(VALU_DEP_4) | instskip(SKIP_1) | instid1(VALU_DEP_3)
	v_mad_i64_i32 v[48:49], null, v56, s4, 0
	v_mad_i64_i32 v[50:51], null, v56, s3, 0
	v_min3_f32 v57, v54, v60, v57
	v_add_co_u32 v54, vcc_lo, v52, v84
	v_min3_f32 v56, v59, v58, v55
	v_lshlrev_b64 v[48:49], 2, v[48:49]
	v_add_co_ci_u32_e32 v55, vcc_lo, v53, v85, vcc_lo
	v_lshlrev_b64 v[50:51], 2, v[50:51]
	s_delay_alu instid0(VALU_DEP_4) | instskip(NEXT) | instid1(VALU_DEP_4)
	v_max_f32_e32 v52, v56, v56
	v_add_co_u32 v48, vcc_lo, s0, v48
	v_add_co_ci_u32_e32 v49, vcc_lo, s1, v49, vcc_lo
	s_delay_alu instid0(VALU_DEP_4)
	v_add_co_u32 v50, vcc_lo, s8, v50
	v_add_co_ci_u32_e32 v51, vcc_lo, s9, v51, vcc_lo
	s_mov_b32 vcc_lo, s2
	global_store_b32 v[54:55], v57, off
	s_cbranch_vccz .LBB9_116
; %bb.114:
	v_add_co_u32 v53, vcc_lo, v48, v80
	v_min_f32_e32 v55, 0, v52
	v_add_co_ci_u32_e32 v54, vcc_lo, v49, v81, vcc_lo
	s_mov_b32 s5, 0
	global_store_b32 v[53:54], v55, off
	s_cbranch_execz .LBB9_117
; %bb.115:
	v_mov_b32_e32 v52, s5
	s_branch .LBB9_118
.LBB9_116:
	s_mov_b32 s5, -1
.LBB9_117:
	v_add_co_u32 v53, vcc_lo, v50, v80
	v_add_co_ci_u32_e32 v54, vcc_lo, v51, v81, vcc_lo
	flat_load_b32 v53, v[53:54]
	s_waitcnt vmcnt(0) lgkmcnt(0)
	v_mul_f32_e32 v55, s15, v53
	v_add_co_u32 v53, vcc_lo, v48, v80
	v_add_co_ci_u32_e32 v54, vcc_lo, v49, v81, vcc_lo
	s_delay_alu instid0(VALU_DEP_3)
	v_min_f32_e32 v52, v55, v52
	v_add_co_u32 v55, vcc_lo, v50, v82
	v_add_co_ci_u32_e32 v56, vcc_lo, v51, v83, vcc_lo
	global_store_b32 v[53:54], v52, off
	flat_load_b32 v52, v[55:56]
	s_waitcnt vmcnt(0) lgkmcnt(0)
	v_mul_f32_e32 v52, s15, v52
.LBB9_118:
	v_dual_add_f32 v53, v13, v45 :: v_dual_add_f32 v54, v12, v44
	v_dual_add_f32 v55, v9, v45 :: v_dual_add_f32 v56, v8, v44
	;; [unrolled: 1-line block ×3, first 2 shown]
	s_delay_alu instid0(VALU_DEP_3) | instskip(NEXT) | instid1(VALU_DEP_3)
	v_min3_f32 v53, v54, v53, v118
	v_min3_f32 v54, v56, v55, v119
	v_dual_add_f32 v55, v11, v47 :: v_dual_add_f32 v56, v10, v46
	s_delay_alu instid0(VALU_DEP_1) | instskip(SKIP_1) | instid1(VALU_DEP_1)
	v_min3_f32 v55, v56, v55, v54
	v_min_f32_e32 v57, v58, v57
	v_min3_f32 v56, v52, v57, v53
	s_delay_alu instid0(VALU_DEP_3)
	v_max_f32_e32 v52, v55, v55
	v_add_co_u32 v53, vcc_lo, v48, v82
	v_add_co_ci_u32_e32 v54, vcc_lo, v49, v83, vcc_lo
	s_mov_b32 vcc_lo, s2
	global_store_b32 v[53:54], v56, off
	s_cbranch_vccz .LBB9_121
; %bb.119:
	v_add_co_u32 v53, vcc_lo, v48, v86
	v_min_f32_e32 v55, 0, v52
	v_add_co_ci_u32_e32 v54, vcc_lo, v49, v87, vcc_lo
	s_mov_b32 s5, 0
	global_store_b32 v[53:54], v55, off
	s_cbranch_execz .LBB9_122
; %bb.120:
	v_mov_b32_e32 v50, s5
	s_branch .LBB9_123
.LBB9_121:
	s_mov_b32 s5, -1
.LBB9_122:
	v_add_co_u32 v53, vcc_lo, v50, v86
	v_add_co_ci_u32_e32 v54, vcc_lo, v51, v87, vcc_lo
	flat_load_b32 v53, v[53:54]
	s_waitcnt vmcnt(0) lgkmcnt(0)
	v_mul_f32_e32 v55, s15, v53
	v_add_co_u32 v53, vcc_lo, v48, v86
	v_add_co_ci_u32_e32 v54, vcc_lo, v49, v87, vcc_lo
	v_add_co_u32 v50, vcc_lo, v50, v84
	s_delay_alu instid0(VALU_DEP_4)
	v_min_f32_e32 v52, v55, v52
	v_add_co_ci_u32_e32 v51, vcc_lo, v51, v85, vcc_lo
	global_store_b32 v[53:54], v52, off
	flat_load_b32 v50, v[50:51]
	s_waitcnt vmcnt(0) lgkmcnt(0)
	v_mul_f32_e32 v50, s15, v50
.LBB9_123:
	s_waitcnt lgkmcnt(6)
	v_dual_add_f32 v51, v17, v41 :: v_dual_add_f32 v52, v16, v40
	v_dual_add_f32 v45, v1, v45 :: v_dual_add_f32 v44, v0, v44
	;; [unrolled: 1-line block ×3, first 2 shown]
	s_delay_alu instid0(VALU_DEP_3) | instskip(SKIP_1) | instid1(VALU_DEP_4)
	v_min3_f32 v51, v52, v51, v117
	v_add_nc_u32_e32 v52, 0x48, v113
	v_min3_f32 v53, v44, v45, v116
	v_dual_add_f32 v54, v19, v43 :: v_dual_add_f32 v55, v18, v42
	v_min_f32_e32 v56, v46, v47
	s_delay_alu instid0(VALU_DEP_4) | instskip(SKIP_1) | instid1(VALU_DEP_3)
	v_mad_i64_i32 v[44:45], null, v52, s4, 0
	v_mad_i64_i32 v[46:47], null, v52, s3, 0
	v_min3_f32 v53, v50, v56, v53
	v_add_co_u32 v50, vcc_lo, v48, v84
	v_min3_f32 v52, v55, v54, v51
	v_lshlrev_b64 v[44:45], 2, v[44:45]
	v_add_co_ci_u32_e32 v51, vcc_lo, v49, v85, vcc_lo
	v_lshlrev_b64 v[46:47], 2, v[46:47]
	s_delay_alu instid0(VALU_DEP_4) | instskip(NEXT) | instid1(VALU_DEP_4)
	v_max_f32_e32 v48, v52, v52
	v_add_co_u32 v44, vcc_lo, s0, v44
	v_add_co_ci_u32_e32 v45, vcc_lo, s1, v45, vcc_lo
	s_delay_alu instid0(VALU_DEP_4)
	v_add_co_u32 v46, vcc_lo, s8, v46
	v_add_co_ci_u32_e32 v47, vcc_lo, s9, v47, vcc_lo
	s_mov_b32 vcc_lo, s2
	global_store_b32 v[50:51], v53, off
	s_cbranch_vccz .LBB9_126
; %bb.124:
	v_add_co_u32 v49, vcc_lo, v44, v80
	v_min_f32_e32 v51, 0, v48
	v_add_co_ci_u32_e32 v50, vcc_lo, v45, v81, vcc_lo
	s_mov_b32 s5, 0
	global_store_b32 v[49:50], v51, off
	s_cbranch_execz .LBB9_127
; %bb.125:
	v_mov_b32_e32 v48, s5
	s_branch .LBB9_128
.LBB9_126:
	s_mov_b32 s5, -1
.LBB9_127:
	v_add_co_u32 v49, vcc_lo, v46, v80
	v_add_co_ci_u32_e32 v50, vcc_lo, v47, v81, vcc_lo
	flat_load_b32 v49, v[49:50]
	s_waitcnt vmcnt(0) lgkmcnt(0)
	v_mul_f32_e32 v51, s15, v49
	v_add_co_u32 v49, vcc_lo, v44, v80
	v_add_co_ci_u32_e32 v50, vcc_lo, v45, v81, vcc_lo
	s_delay_alu instid0(VALU_DEP_3)
	v_min_f32_e32 v48, v51, v48
	v_add_co_u32 v51, vcc_lo, v46, v82
	v_add_co_ci_u32_e32 v52, vcc_lo, v47, v83, vcc_lo
	global_store_b32 v[49:50], v48, off
	flat_load_b32 v48, v[51:52]
	s_waitcnt vmcnt(0) lgkmcnt(0)
	v_mul_f32_e32 v48, s15, v48
.LBB9_128:
	v_dual_add_f32 v49, v13, v41 :: v_dual_add_f32 v50, v12, v40
	v_dual_add_f32 v51, v9, v41 :: v_dual_add_f32 v52, v8, v40
	v_dual_add_f32 v53, v15, v43 :: v_dual_add_f32 v54, v14, v42
	s_delay_alu instid0(VALU_DEP_3) | instskip(NEXT) | instid1(VALU_DEP_3)
	v_min3_f32 v49, v50, v49, v115
	v_min3_f32 v50, v52, v51, v114
	v_dual_add_f32 v51, v11, v43 :: v_dual_add_f32 v52, v10, v42
	s_delay_alu instid0(VALU_DEP_1) | instskip(SKIP_1) | instid1(VALU_DEP_1)
	v_min3_f32 v51, v52, v51, v50
	v_min_f32_e32 v53, v54, v53
	v_min3_f32 v52, v48, v53, v49
	s_delay_alu instid0(VALU_DEP_3)
	v_max_f32_e32 v48, v51, v51
	v_add_co_u32 v49, vcc_lo, v44, v82
	v_add_co_ci_u32_e32 v50, vcc_lo, v45, v83, vcc_lo
	s_mov_b32 vcc_lo, s2
	global_store_b32 v[49:50], v52, off
	s_cbranch_vccz .LBB9_131
; %bb.129:
	v_add_co_u32 v49, vcc_lo, v44, v86
	v_min_f32_e32 v51, 0, v48
	v_add_co_ci_u32_e32 v50, vcc_lo, v45, v87, vcc_lo
	s_mov_b32 s5, 0
	global_store_b32 v[49:50], v51, off
	s_cbranch_execz .LBB9_132
; %bb.130:
	v_mov_b32_e32 v46, s5
	s_branch .LBB9_133
.LBB9_131:
	s_mov_b32 s5, -1
.LBB9_132:
	v_add_co_u32 v49, vcc_lo, v46, v86
	v_add_co_ci_u32_e32 v50, vcc_lo, v47, v87, vcc_lo
	flat_load_b32 v49, v[49:50]
	s_waitcnt vmcnt(0) lgkmcnt(0)
	v_mul_f32_e32 v51, s15, v49
	v_add_co_u32 v49, vcc_lo, v44, v86
	v_add_co_ci_u32_e32 v50, vcc_lo, v45, v87, vcc_lo
	v_add_co_u32 v46, vcc_lo, v46, v84
	s_delay_alu instid0(VALU_DEP_4)
	v_min_f32_e32 v48, v51, v48
	v_add_co_ci_u32_e32 v47, vcc_lo, v47, v85, vcc_lo
	global_store_b32 v[49:50], v48, off
	flat_load_b32 v46, v[46:47]
	s_waitcnt vmcnt(0) lgkmcnt(0)
	v_mul_f32_e32 v46, s15, v46
.LBB9_133:
	s_waitcnt lgkmcnt(5)
	v_dual_add_f32 v47, v17, v37 :: v_dual_add_f32 v48, v16, v36
	v_dual_add_f32 v41, v1, v41 :: v_dual_add_f32 v40, v0, v40
	;; [unrolled: 1-line block ×3, first 2 shown]
	s_delay_alu instid0(VALU_DEP_3) | instskip(SKIP_1) | instid1(VALU_DEP_4)
	v_min3_f32 v47, v48, v47, v112
	v_add_nc_u32_e32 v48, 0x50, v113
	v_min3_f32 v49, v40, v41, v111
	v_dual_add_f32 v50, v19, v39 :: v_dual_add_f32 v51, v18, v38
	v_min_f32_e32 v52, v42, v43
	s_delay_alu instid0(VALU_DEP_4) | instskip(SKIP_1) | instid1(VALU_DEP_3)
	v_mad_i64_i32 v[40:41], null, v48, s4, 0
	v_mad_i64_i32 v[42:43], null, v48, s3, 0
	v_min3_f32 v49, v46, v52, v49
	v_add_co_u32 v46, vcc_lo, v44, v84
	v_min3_f32 v48, v51, v50, v47
	v_lshlrev_b64 v[40:41], 2, v[40:41]
	v_add_co_ci_u32_e32 v47, vcc_lo, v45, v85, vcc_lo
	v_lshlrev_b64 v[42:43], 2, v[42:43]
	s_delay_alu instid0(VALU_DEP_4) | instskip(NEXT) | instid1(VALU_DEP_4)
	v_max_f32_e32 v44, v48, v48
	v_add_co_u32 v40, vcc_lo, s0, v40
	v_add_co_ci_u32_e32 v41, vcc_lo, s1, v41, vcc_lo
	s_delay_alu instid0(VALU_DEP_4)
	v_add_co_u32 v42, vcc_lo, s8, v42
	v_add_co_ci_u32_e32 v43, vcc_lo, s9, v43, vcc_lo
	s_mov_b32 vcc_lo, s2
	global_store_b32 v[46:47], v49, off
	s_cbranch_vccz .LBB9_136
; %bb.134:
	v_add_co_u32 v45, vcc_lo, v40, v80
	v_min_f32_e32 v47, 0, v44
	v_add_co_ci_u32_e32 v46, vcc_lo, v41, v81, vcc_lo
	s_mov_b32 s5, 0
	global_store_b32 v[45:46], v47, off
	s_cbranch_execz .LBB9_137
; %bb.135:
	v_mov_b32_e32 v44, s5
	s_branch .LBB9_138
.LBB9_136:
	s_mov_b32 s5, -1
.LBB9_137:
	v_add_co_u32 v45, vcc_lo, v42, v80
	v_add_co_ci_u32_e32 v46, vcc_lo, v43, v81, vcc_lo
	flat_load_b32 v45, v[45:46]
	s_waitcnt vmcnt(0) lgkmcnt(0)
	v_mul_f32_e32 v47, s15, v45
	v_add_co_u32 v45, vcc_lo, v40, v80
	v_add_co_ci_u32_e32 v46, vcc_lo, v41, v81, vcc_lo
	s_delay_alu instid0(VALU_DEP_3)
	v_min_f32_e32 v44, v47, v44
	v_add_co_u32 v47, vcc_lo, v42, v82
	v_add_co_ci_u32_e32 v48, vcc_lo, v43, v83, vcc_lo
	global_store_b32 v[45:46], v44, off
	flat_load_b32 v44, v[47:48]
	s_waitcnt vmcnt(0) lgkmcnt(0)
	v_mul_f32_e32 v44, s15, v44
.LBB9_138:
	v_dual_add_f32 v45, v13, v37 :: v_dual_add_f32 v46, v12, v36
	v_dual_add_f32 v47, v9, v37 :: v_dual_add_f32 v48, v8, v36
	;; [unrolled: 1-line block ×3, first 2 shown]
	s_delay_alu instid0(VALU_DEP_3) | instskip(NEXT) | instid1(VALU_DEP_3)
	v_min3_f32 v45, v46, v45, v109
	v_min3_f32 v46, v48, v47, v110
	v_dual_add_f32 v47, v11, v39 :: v_dual_add_f32 v48, v10, v38
	s_delay_alu instid0(VALU_DEP_1) | instskip(SKIP_1) | instid1(VALU_DEP_1)
	v_min3_f32 v47, v48, v47, v46
	v_min_f32_e32 v49, v50, v49
	v_min3_f32 v48, v44, v49, v45
	s_delay_alu instid0(VALU_DEP_3)
	v_max_f32_e32 v44, v47, v47
	v_add_co_u32 v45, vcc_lo, v40, v82
	v_add_co_ci_u32_e32 v46, vcc_lo, v41, v83, vcc_lo
	s_mov_b32 vcc_lo, s2
	global_store_b32 v[45:46], v48, off
	s_cbranch_vccz .LBB9_141
; %bb.139:
	v_add_co_u32 v45, vcc_lo, v40, v86
	v_min_f32_e32 v47, 0, v44
	v_add_co_ci_u32_e32 v46, vcc_lo, v41, v87, vcc_lo
	s_mov_b32 s5, 0
	global_store_b32 v[45:46], v47, off
	s_cbranch_execz .LBB9_142
; %bb.140:
	v_mov_b32_e32 v42, s5
	s_branch .LBB9_143
.LBB9_141:
	s_mov_b32 s5, -1
.LBB9_142:
	v_add_co_u32 v45, vcc_lo, v42, v86
	v_add_co_ci_u32_e32 v46, vcc_lo, v43, v87, vcc_lo
	flat_load_b32 v45, v[45:46]
	s_waitcnt vmcnt(0) lgkmcnt(0)
	v_mul_f32_e32 v47, s15, v45
	v_add_co_u32 v45, vcc_lo, v40, v86
	v_add_co_ci_u32_e32 v46, vcc_lo, v41, v87, vcc_lo
	v_add_co_u32 v42, vcc_lo, v42, v84
	s_delay_alu instid0(VALU_DEP_4)
	v_min_f32_e32 v44, v47, v44
	v_add_co_ci_u32_e32 v43, vcc_lo, v43, v85, vcc_lo
	global_store_b32 v[45:46], v44, off
	flat_load_b32 v42, v[42:43]
	s_waitcnt vmcnt(0) lgkmcnt(0)
	v_mul_f32_e32 v42, s15, v42
.LBB9_143:
	s_waitcnt lgkmcnt(4)
	v_dual_add_f32 v43, v17, v33 :: v_dual_add_f32 v44, v16, v32
	v_dual_add_f32 v37, v1, v37 :: v_dual_add_f32 v36, v0, v36
	;; [unrolled: 1-line block ×3, first 2 shown]
	s_delay_alu instid0(VALU_DEP_3) | instskip(SKIP_1) | instid1(VALU_DEP_4)
	v_min3_f32 v43, v44, v43, v108
	v_add_nc_u32_e32 v44, 0x58, v113
	v_min3_f32 v45, v36, v37, v107
	v_dual_add_f32 v46, v19, v35 :: v_dual_add_f32 v47, v18, v34
	v_min_f32_e32 v48, v38, v39
	s_delay_alu instid0(VALU_DEP_4) | instskip(SKIP_1) | instid1(VALU_DEP_3)
	v_mad_i64_i32 v[36:37], null, v44, s4, 0
	v_mad_i64_i32 v[38:39], null, v44, s3, 0
	v_min3_f32 v45, v42, v48, v45
	v_add_co_u32 v42, vcc_lo, v40, v84
	v_min3_f32 v44, v47, v46, v43
	v_lshlrev_b64 v[36:37], 2, v[36:37]
	v_add_co_ci_u32_e32 v43, vcc_lo, v41, v85, vcc_lo
	v_lshlrev_b64 v[38:39], 2, v[38:39]
	s_delay_alu instid0(VALU_DEP_4) | instskip(NEXT) | instid1(VALU_DEP_4)
	v_max_f32_e32 v40, v44, v44
	v_add_co_u32 v36, vcc_lo, s0, v36
	v_add_co_ci_u32_e32 v37, vcc_lo, s1, v37, vcc_lo
	s_delay_alu instid0(VALU_DEP_4)
	v_add_co_u32 v38, vcc_lo, s8, v38
	v_add_co_ci_u32_e32 v39, vcc_lo, s9, v39, vcc_lo
	s_mov_b32 vcc_lo, s2
	global_store_b32 v[42:43], v45, off
	s_cbranch_vccz .LBB9_146
; %bb.144:
	v_add_co_u32 v41, vcc_lo, v36, v80
	v_min_f32_e32 v43, 0, v40
	v_add_co_ci_u32_e32 v42, vcc_lo, v37, v81, vcc_lo
	s_mov_b32 s5, 0
	global_store_b32 v[41:42], v43, off
	s_cbranch_execz .LBB9_147
; %bb.145:
	v_mov_b32_e32 v40, s5
	s_branch .LBB9_148
.LBB9_146:
	s_mov_b32 s5, -1
.LBB9_147:
	v_add_co_u32 v41, vcc_lo, v38, v80
	v_add_co_ci_u32_e32 v42, vcc_lo, v39, v81, vcc_lo
	flat_load_b32 v41, v[41:42]
	s_waitcnt vmcnt(0) lgkmcnt(0)
	v_mul_f32_e32 v43, s15, v41
	v_add_co_u32 v41, vcc_lo, v36, v80
	v_add_co_ci_u32_e32 v42, vcc_lo, v37, v81, vcc_lo
	s_delay_alu instid0(VALU_DEP_3)
	v_min_f32_e32 v40, v43, v40
	v_add_co_u32 v43, vcc_lo, v38, v82
	v_add_co_ci_u32_e32 v44, vcc_lo, v39, v83, vcc_lo
	global_store_b32 v[41:42], v40, off
	flat_load_b32 v40, v[43:44]
	s_waitcnt vmcnt(0) lgkmcnt(0)
	v_mul_f32_e32 v40, s15, v40
.LBB9_148:
	v_dual_add_f32 v41, v13, v33 :: v_dual_add_f32 v42, v12, v32
	v_dual_add_f32 v43, v9, v33 :: v_dual_add_f32 v44, v8, v32
	;; [unrolled: 1-line block ×3, first 2 shown]
	s_delay_alu instid0(VALU_DEP_3) | instskip(NEXT) | instid1(VALU_DEP_3)
	v_min3_f32 v41, v42, v41, v105
	v_min3_f32 v42, v44, v43, v106
	v_dual_add_f32 v43, v11, v35 :: v_dual_add_f32 v44, v10, v34
	s_delay_alu instid0(VALU_DEP_1) | instskip(SKIP_1) | instid1(VALU_DEP_1)
	v_min3_f32 v43, v44, v43, v42
	v_min_f32_e32 v45, v46, v45
	v_min3_f32 v44, v40, v45, v41
	s_delay_alu instid0(VALU_DEP_3)
	v_max_f32_e32 v40, v43, v43
	v_add_co_u32 v41, vcc_lo, v36, v82
	v_add_co_ci_u32_e32 v42, vcc_lo, v37, v83, vcc_lo
	s_mov_b32 vcc_lo, s2
	global_store_b32 v[41:42], v44, off
	s_cbranch_vccz .LBB9_151
; %bb.149:
	v_add_co_u32 v41, vcc_lo, v36, v86
	v_min_f32_e32 v43, 0, v40
	v_add_co_ci_u32_e32 v42, vcc_lo, v37, v87, vcc_lo
	s_mov_b32 s5, 0
	global_store_b32 v[41:42], v43, off
	s_cbranch_execz .LBB9_152
; %bb.150:
	v_mov_b32_e32 v38, s5
	s_branch .LBB9_153
.LBB9_151:
	s_mov_b32 s5, -1
.LBB9_152:
	v_add_co_u32 v41, vcc_lo, v38, v86
	v_add_co_ci_u32_e32 v42, vcc_lo, v39, v87, vcc_lo
	flat_load_b32 v41, v[41:42]
	s_waitcnt vmcnt(0) lgkmcnt(0)
	v_mul_f32_e32 v43, s15, v41
	v_add_co_u32 v41, vcc_lo, v36, v86
	v_add_co_ci_u32_e32 v42, vcc_lo, v37, v87, vcc_lo
	v_add_co_u32 v38, vcc_lo, v38, v84
	s_delay_alu instid0(VALU_DEP_4)
	v_min_f32_e32 v40, v43, v40
	v_add_co_ci_u32_e32 v39, vcc_lo, v39, v85, vcc_lo
	global_store_b32 v[41:42], v40, off
	flat_load_b32 v38, v[38:39]
	s_waitcnt vmcnt(0) lgkmcnt(0)
	v_mul_f32_e32 v38, s15, v38
.LBB9_153:
	s_waitcnt lgkmcnt(3)
	v_dual_add_f32 v39, v17, v29 :: v_dual_add_f32 v40, v16, v28
	v_dual_add_f32 v33, v1, v33 :: v_dual_add_f32 v32, v0, v32
	;; [unrolled: 1-line block ×3, first 2 shown]
	s_delay_alu instid0(VALU_DEP_3) | instskip(SKIP_1) | instid1(VALU_DEP_4)
	v_min3_f32 v39, v40, v39, v103
	v_add_nc_u32_e32 v40, 0x60, v113
	v_min3_f32 v41, v32, v33, v104
	v_dual_add_f32 v42, v19, v31 :: v_dual_add_f32 v43, v18, v30
	v_min_f32_e32 v44, v34, v35
	s_delay_alu instid0(VALU_DEP_4) | instskip(SKIP_1) | instid1(VALU_DEP_3)
	v_mad_i64_i32 v[32:33], null, v40, s4, 0
	v_mad_i64_i32 v[34:35], null, v40, s3, 0
	v_min3_f32 v41, v38, v44, v41
	v_add_co_u32 v38, vcc_lo, v36, v84
	v_min3_f32 v40, v43, v42, v39
	v_lshlrev_b64 v[32:33], 2, v[32:33]
	v_add_co_ci_u32_e32 v39, vcc_lo, v37, v85, vcc_lo
	v_lshlrev_b64 v[34:35], 2, v[34:35]
	s_delay_alu instid0(VALU_DEP_4) | instskip(NEXT) | instid1(VALU_DEP_4)
	v_max_f32_e32 v36, v40, v40
	v_add_co_u32 v32, vcc_lo, s0, v32
	v_add_co_ci_u32_e32 v33, vcc_lo, s1, v33, vcc_lo
	s_delay_alu instid0(VALU_DEP_4)
	v_add_co_u32 v34, vcc_lo, s8, v34
	v_add_co_ci_u32_e32 v35, vcc_lo, s9, v35, vcc_lo
	s_mov_b32 vcc_lo, s2
	global_store_b32 v[38:39], v41, off
	s_cbranch_vccz .LBB9_156
; %bb.154:
	v_add_co_u32 v37, vcc_lo, v32, v80
	v_min_f32_e32 v39, 0, v36
	v_add_co_ci_u32_e32 v38, vcc_lo, v33, v81, vcc_lo
	s_mov_b32 s5, 0
	global_store_b32 v[37:38], v39, off
	s_cbranch_execz .LBB9_157
; %bb.155:
	v_mov_b32_e32 v36, s5
	s_branch .LBB9_158
.LBB9_156:
	s_mov_b32 s5, -1
.LBB9_157:
	v_add_co_u32 v37, vcc_lo, v34, v80
	v_add_co_ci_u32_e32 v38, vcc_lo, v35, v81, vcc_lo
	flat_load_b32 v37, v[37:38]
	s_waitcnt vmcnt(0) lgkmcnt(0)
	v_mul_f32_e32 v39, s15, v37
	v_add_co_u32 v37, vcc_lo, v32, v80
	v_add_co_ci_u32_e32 v38, vcc_lo, v33, v81, vcc_lo
	s_delay_alu instid0(VALU_DEP_3)
	v_min_f32_e32 v36, v39, v36
	v_add_co_u32 v39, vcc_lo, v34, v82
	v_add_co_ci_u32_e32 v40, vcc_lo, v35, v83, vcc_lo
	global_store_b32 v[37:38], v36, off
	flat_load_b32 v36, v[39:40]
	s_waitcnt vmcnt(0) lgkmcnt(0)
	v_mul_f32_e32 v36, s15, v36
.LBB9_158:
	v_dual_add_f32 v37, v13, v29 :: v_dual_add_f32 v38, v12, v28
	v_dual_add_f32 v39, v9, v29 :: v_dual_add_f32 v40, v8, v28
	;; [unrolled: 1-line block ×3, first 2 shown]
	s_delay_alu instid0(VALU_DEP_3) | instskip(NEXT) | instid1(VALU_DEP_3)
	v_min3_f32 v37, v38, v37, v101
	v_min3_f32 v38, v40, v39, v102
	v_dual_add_f32 v39, v11, v31 :: v_dual_add_f32 v40, v10, v30
	s_delay_alu instid0(VALU_DEP_1) | instskip(SKIP_1) | instid1(VALU_DEP_1)
	v_min3_f32 v39, v40, v39, v38
	v_min_f32_e32 v41, v42, v41
	v_min3_f32 v40, v36, v41, v37
	s_delay_alu instid0(VALU_DEP_3)
	v_max_f32_e32 v36, v39, v39
	v_add_co_u32 v37, vcc_lo, v32, v82
	v_add_co_ci_u32_e32 v38, vcc_lo, v33, v83, vcc_lo
	s_mov_b32 vcc_lo, s2
	global_store_b32 v[37:38], v40, off
	s_cbranch_vccz .LBB9_161
; %bb.159:
	v_add_co_u32 v37, vcc_lo, v32, v86
	v_min_f32_e32 v39, 0, v36
	v_add_co_ci_u32_e32 v38, vcc_lo, v33, v87, vcc_lo
	s_mov_b32 s5, 0
	global_store_b32 v[37:38], v39, off
	s_cbranch_execz .LBB9_162
; %bb.160:
	v_mov_b32_e32 v34, s5
	s_branch .LBB9_163
.LBB9_161:
	s_mov_b32 s5, -1
.LBB9_162:
	v_add_co_u32 v37, vcc_lo, v34, v86
	v_add_co_ci_u32_e32 v38, vcc_lo, v35, v87, vcc_lo
	flat_load_b32 v37, v[37:38]
	s_waitcnt vmcnt(0) lgkmcnt(0)
	v_mul_f32_e32 v39, s15, v37
	v_add_co_u32 v37, vcc_lo, v32, v86
	v_add_co_ci_u32_e32 v38, vcc_lo, v33, v87, vcc_lo
	v_add_co_u32 v34, vcc_lo, v34, v84
	s_delay_alu instid0(VALU_DEP_4)
	v_min_f32_e32 v36, v39, v36
	v_add_co_ci_u32_e32 v35, vcc_lo, v35, v85, vcc_lo
	global_store_b32 v[37:38], v36, off
	flat_load_b32 v34, v[34:35]
	s_waitcnt vmcnt(0) lgkmcnt(0)
	v_mul_f32_e32 v34, s15, v34
.LBB9_163:
	s_waitcnt lgkmcnt(2)
	v_dual_add_f32 v35, v17, v25 :: v_dual_add_f32 v36, v16, v24
	v_dual_add_f32 v29, v1, v29 :: v_dual_add_f32 v28, v0, v28
	v_dual_add_f32 v30, v2, v30 :: v_dual_add_f32 v31, v3, v31
	s_delay_alu instid0(VALU_DEP_3) | instskip(SKIP_1) | instid1(VALU_DEP_4)
	v_min3_f32 v35, v36, v35, v100
	v_add_nc_u32_e32 v36, 0x68, v113
	v_min3_f32 v37, v28, v29, v99
	v_dual_add_f32 v38, v19, v27 :: v_dual_add_f32 v39, v18, v26
	v_min_f32_e32 v40, v30, v31
	s_delay_alu instid0(VALU_DEP_4) | instskip(SKIP_1) | instid1(VALU_DEP_3)
	v_mad_i64_i32 v[28:29], null, v36, s4, 0
	v_mad_i64_i32 v[30:31], null, v36, s3, 0
	v_min3_f32 v37, v34, v40, v37
	v_add_co_u32 v34, vcc_lo, v32, v84
	v_min3_f32 v36, v39, v38, v35
	v_lshlrev_b64 v[28:29], 2, v[28:29]
	v_add_co_ci_u32_e32 v35, vcc_lo, v33, v85, vcc_lo
	v_lshlrev_b64 v[30:31], 2, v[30:31]
	s_delay_alu instid0(VALU_DEP_4) | instskip(NEXT) | instid1(VALU_DEP_4)
	v_max_f32_e32 v32, v36, v36
	v_add_co_u32 v28, vcc_lo, s0, v28
	v_add_co_ci_u32_e32 v29, vcc_lo, s1, v29, vcc_lo
	s_delay_alu instid0(VALU_DEP_4)
	v_add_co_u32 v30, vcc_lo, s8, v30
	v_add_co_ci_u32_e32 v31, vcc_lo, s9, v31, vcc_lo
	s_mov_b32 vcc_lo, s2
	global_store_b32 v[34:35], v37, off
	s_cbranch_vccz .LBB9_166
; %bb.164:
	v_add_co_u32 v33, vcc_lo, v28, v80
	v_min_f32_e32 v35, 0, v32
	v_add_co_ci_u32_e32 v34, vcc_lo, v29, v81, vcc_lo
	s_mov_b32 s5, 0
	global_store_b32 v[33:34], v35, off
	s_cbranch_execz .LBB9_167
; %bb.165:
	v_mov_b32_e32 v32, s5
	s_branch .LBB9_168
.LBB9_166:
	s_mov_b32 s5, -1
.LBB9_167:
	v_add_co_u32 v33, vcc_lo, v30, v80
	v_add_co_ci_u32_e32 v34, vcc_lo, v31, v81, vcc_lo
	flat_load_b32 v33, v[33:34]
	s_waitcnt vmcnt(0) lgkmcnt(0)
	v_mul_f32_e32 v35, s15, v33
	v_add_co_u32 v33, vcc_lo, v28, v80
	v_add_co_ci_u32_e32 v34, vcc_lo, v29, v81, vcc_lo
	s_delay_alu instid0(VALU_DEP_3)
	v_min_f32_e32 v32, v35, v32
	v_add_co_u32 v35, vcc_lo, v30, v82
	v_add_co_ci_u32_e32 v36, vcc_lo, v31, v83, vcc_lo
	global_store_b32 v[33:34], v32, off
	flat_load_b32 v32, v[35:36]
	s_waitcnt vmcnt(0) lgkmcnt(0)
	v_mul_f32_e32 v32, s15, v32
.LBB9_168:
	v_dual_add_f32 v33, v13, v25 :: v_dual_add_f32 v34, v12, v24
	v_dual_add_f32 v35, v9, v25 :: v_dual_add_f32 v36, v8, v24
	;; [unrolled: 1-line block ×3, first 2 shown]
	s_delay_alu instid0(VALU_DEP_3) | instskip(NEXT) | instid1(VALU_DEP_3)
	v_min3_f32 v33, v34, v33, v97
	v_min3_f32 v34, v36, v35, v98
	v_dual_add_f32 v35, v11, v27 :: v_dual_add_f32 v36, v10, v26
	s_delay_alu instid0(VALU_DEP_1) | instskip(SKIP_1) | instid1(VALU_DEP_1)
	v_min3_f32 v35, v36, v35, v34
	v_min_f32_e32 v37, v38, v37
	v_min3_f32 v36, v32, v37, v33
	s_delay_alu instid0(VALU_DEP_3)
	v_max_f32_e32 v32, v35, v35
	v_add_co_u32 v33, vcc_lo, v28, v82
	v_add_co_ci_u32_e32 v34, vcc_lo, v29, v83, vcc_lo
	s_mov_b32 vcc_lo, s2
	global_store_b32 v[33:34], v36, off
	s_cbranch_vccz .LBB9_171
; %bb.169:
	v_add_co_u32 v33, vcc_lo, v28, v86
	v_min_f32_e32 v35, 0, v32
	v_add_co_ci_u32_e32 v34, vcc_lo, v29, v87, vcc_lo
	s_mov_b32 s5, 0
	global_store_b32 v[33:34], v35, off
	s_cbranch_execz .LBB9_172
; %bb.170:
	v_mov_b32_e32 v30, s5
	s_branch .LBB9_173
.LBB9_171:
	s_mov_b32 s5, -1
.LBB9_172:
	v_add_co_u32 v33, vcc_lo, v30, v86
	v_add_co_ci_u32_e32 v34, vcc_lo, v31, v87, vcc_lo
	flat_load_b32 v33, v[33:34]
	s_waitcnt vmcnt(0) lgkmcnt(0)
	v_mul_f32_e32 v35, s15, v33
	v_add_co_u32 v33, vcc_lo, v28, v86
	v_add_co_ci_u32_e32 v34, vcc_lo, v29, v87, vcc_lo
	v_add_co_u32 v30, vcc_lo, v30, v84
	s_delay_alu instid0(VALU_DEP_4)
	v_min_f32_e32 v32, v35, v32
	v_add_co_ci_u32_e32 v31, vcc_lo, v31, v85, vcc_lo
	global_store_b32 v[33:34], v32, off
	flat_load_b32 v30, v[30:31]
	s_waitcnt vmcnt(0) lgkmcnt(0)
	v_mul_f32_e32 v30, s15, v30
.LBB9_173:
	s_waitcnt lgkmcnt(1)
	v_dual_add_f32 v31, v17, v21 :: v_dual_add_f32 v32, v16, v20
	v_dual_add_f32 v25, v1, v25 :: v_dual_add_f32 v24, v0, v24
	;; [unrolled: 1-line block ×3, first 2 shown]
	s_delay_alu instid0(VALU_DEP_3) | instskip(SKIP_1) | instid1(VALU_DEP_4)
	v_min3_f32 v31, v32, v31, v96
	v_add_nc_u32_e32 v32, 0x70, v113
	v_min3_f32 v33, v24, v25, v95
	v_dual_add_f32 v34, v19, v23 :: v_dual_add_f32 v35, v18, v22
	v_min_f32_e32 v36, v26, v27
	s_delay_alu instid0(VALU_DEP_4) | instskip(SKIP_1) | instid1(VALU_DEP_3)
	v_mad_i64_i32 v[24:25], null, v32, s4, 0
	v_mad_i64_i32 v[26:27], null, v32, s3, 0
	v_min3_f32 v33, v30, v36, v33
	v_add_co_u32 v30, vcc_lo, v28, v84
	v_min3_f32 v32, v35, v34, v31
	v_lshlrev_b64 v[24:25], 2, v[24:25]
	v_add_co_ci_u32_e32 v31, vcc_lo, v29, v85, vcc_lo
	v_lshlrev_b64 v[26:27], 2, v[26:27]
	s_delay_alu instid0(VALU_DEP_4) | instskip(NEXT) | instid1(VALU_DEP_4)
	v_max_f32_e32 v28, v32, v32
	v_add_co_u32 v24, vcc_lo, s0, v24
	v_add_co_ci_u32_e32 v25, vcc_lo, s1, v25, vcc_lo
	s_delay_alu instid0(VALU_DEP_4)
	v_add_co_u32 v26, vcc_lo, s8, v26
	v_add_co_ci_u32_e32 v27, vcc_lo, s9, v27, vcc_lo
	s_mov_b32 vcc_lo, s2
	global_store_b32 v[30:31], v33, off
	s_cbranch_vccz .LBB9_176
; %bb.174:
	v_add_co_u32 v29, vcc_lo, v24, v80
	v_min_f32_e32 v31, 0, v28
	v_add_co_ci_u32_e32 v30, vcc_lo, v25, v81, vcc_lo
	s_mov_b32 s5, 0
	global_store_b32 v[29:30], v31, off
	s_cbranch_execz .LBB9_177
; %bb.175:
	v_mov_b32_e32 v28, s5
	s_branch .LBB9_178
.LBB9_176:
	s_mov_b32 s5, -1
.LBB9_177:
	v_add_co_u32 v29, vcc_lo, v26, v80
	v_add_co_ci_u32_e32 v30, vcc_lo, v27, v81, vcc_lo
	flat_load_b32 v29, v[29:30]
	s_waitcnt vmcnt(0) lgkmcnt(0)
	v_mul_f32_e32 v31, s15, v29
	v_add_co_u32 v29, vcc_lo, v24, v80
	v_add_co_ci_u32_e32 v30, vcc_lo, v25, v81, vcc_lo
	s_delay_alu instid0(VALU_DEP_3)
	v_min_f32_e32 v28, v31, v28
	v_add_co_u32 v31, vcc_lo, v26, v82
	v_add_co_ci_u32_e32 v32, vcc_lo, v27, v83, vcc_lo
	global_store_b32 v[29:30], v28, off
	flat_load_b32 v28, v[31:32]
	s_waitcnt vmcnt(0) lgkmcnt(0)
	v_mul_f32_e32 v28, s15, v28
.LBB9_178:
	v_dual_add_f32 v29, v13, v21 :: v_dual_add_f32 v30, v12, v20
	v_dual_add_f32 v31, v9, v21 :: v_dual_add_f32 v32, v8, v20
	;; [unrolled: 1-line block ×3, first 2 shown]
	s_delay_alu instid0(VALU_DEP_3) | instskip(NEXT) | instid1(VALU_DEP_3)
	v_min3_f32 v29, v30, v29, v94
	v_min3_f32 v30, v32, v31, v93
	v_dual_add_f32 v31, v11, v23 :: v_dual_add_f32 v32, v10, v22
	s_delay_alu instid0(VALU_DEP_1) | instskip(SKIP_1) | instid1(VALU_DEP_1)
	v_min3_f32 v31, v32, v31, v30
	v_min_f32_e32 v33, v34, v33
	v_min3_f32 v32, v28, v33, v29
	s_delay_alu instid0(VALU_DEP_3)
	v_max_f32_e32 v28, v31, v31
	v_add_co_u32 v29, vcc_lo, v24, v82
	v_add_co_ci_u32_e32 v30, vcc_lo, v25, v83, vcc_lo
	s_mov_b32 vcc_lo, s2
	global_store_b32 v[29:30], v32, off
	s_cbranch_vccz .LBB9_181
; %bb.179:
	v_add_co_u32 v29, vcc_lo, v24, v86
	v_min_f32_e32 v31, 0, v28
	v_add_co_ci_u32_e32 v30, vcc_lo, v25, v87, vcc_lo
	s_mov_b32 s5, 0
	global_store_b32 v[29:30], v31, off
	s_cbranch_execz .LBB9_182
; %bb.180:
	v_mov_b32_e32 v26, s5
	s_branch .LBB9_183
.LBB9_181:
	s_mov_b32 s5, -1
.LBB9_182:
	v_add_co_u32 v29, vcc_lo, v26, v86
	v_add_co_ci_u32_e32 v30, vcc_lo, v27, v87, vcc_lo
	flat_load_b32 v29, v[29:30]
	s_waitcnt vmcnt(0) lgkmcnt(0)
	v_mul_f32_e32 v31, s15, v29
	v_add_co_u32 v29, vcc_lo, v24, v86
	v_add_co_ci_u32_e32 v30, vcc_lo, v25, v87, vcc_lo
	v_add_co_u32 v26, vcc_lo, v26, v84
	s_delay_alu instid0(VALU_DEP_4)
	v_min_f32_e32 v28, v31, v28
	v_add_co_ci_u32_e32 v27, vcc_lo, v27, v85, vcc_lo
	global_store_b32 v[29:30], v28, off
	flat_load_b32 v26, v[26:27]
	s_waitcnt vmcnt(0) lgkmcnt(0)
	v_mul_f32_e32 v26, s15, v26
.LBB9_183:
	v_dual_add_f32 v21, v1, v21 :: v_dual_add_f32 v20, v0, v20
	s_waitcnt lgkmcnt(0)
	v_dual_add_f32 v17, v17, v5 :: v_dual_add_f32 v16, v16, v4
	v_dual_add_f32 v22, v2, v22 :: v_dual_add_nc_u32 v27, 0x78, v113
	s_delay_alu instid0(VALU_DEP_3) | instskip(SKIP_1) | instid1(VALU_DEP_4)
	v_min3_f32 v20, v20, v21, v91
	v_add_f32_e32 v23, v3, v23
	v_min3_f32 v21, v16, v17, v92
	s_delay_alu instid0(VALU_DEP_4) | instskip(SKIP_3) | instid1(VALU_DEP_4)
	v_mad_i64_i32 v[16:17], null, v27, s4, 0
	v_dual_add_f32 v28, v19, v7 :: v_dual_add_f32 v29, v18, v6
	v_mad_i64_i32 v[18:19], null, v27, s3, 0
	v_min_f32_e32 v22, v22, v23
	v_lshlrev_b64 v[16:17], 2, v[16:17]
	s_delay_alu instid0(VALU_DEP_4)
	v_min3_f32 v23, v29, v28, v21
	v_add_co_u32 v21, vcc_lo, v24, v84
	v_lshlrev_b64 v[18:19], 2, v[18:19]
	v_min3_f32 v26, v26, v22, v20
	v_add_co_ci_u32_e32 v22, vcc_lo, v25, v85, vcc_lo
	v_add_co_u32 v16, vcc_lo, s0, v16
	v_add_co_ci_u32_e32 v17, vcc_lo, s1, v17, vcc_lo
	v_add_co_u32 v18, vcc_lo, s8, v18
	v_add_co_ci_u32_e32 v19, vcc_lo, s9, v19, vcc_lo
	v_max_f32_e32 v20, v23, v23
	s_mov_b32 vcc_lo, s2
	global_store_b32 v[21:22], v26, off
	s_cbranch_vccz .LBB9_186
; %bb.184:
	v_add_co_u32 v21, vcc_lo, v16, v80
	v_min_f32_e32 v23, 0, v20
	v_add_co_ci_u32_e32 v22, vcc_lo, v17, v81, vcc_lo
	s_mov_b32 s0, 0
	global_store_b32 v[21:22], v23, off
	s_cbranch_execz .LBB9_187
; %bb.185:
	v_mov_b32_e32 v20, s0
	s_branch .LBB9_188
.LBB9_186:
	s_mov_b32 s0, -1
.LBB9_187:
	v_add_co_u32 v21, vcc_lo, v18, v80
	v_add_co_ci_u32_e32 v22, vcc_lo, v19, v81, vcc_lo
	flat_load_b32 v21, v[21:22]
	s_waitcnt vmcnt(0) lgkmcnt(0)
	v_mul_f32_e32 v23, s15, v21
	v_add_co_u32 v21, vcc_lo, v16, v80
	v_add_co_ci_u32_e32 v22, vcc_lo, v17, v81, vcc_lo
	s_delay_alu instid0(VALU_DEP_3)
	v_min_f32_e32 v20, v23, v20
	v_add_co_u32 v23, vcc_lo, v18, v82
	v_add_co_ci_u32_e32 v24, vcc_lo, v19, v83, vcc_lo
	global_store_b32 v[21:22], v20, off
	flat_load_b32 v20, v[23:24]
	s_waitcnt vmcnt(0) lgkmcnt(0)
	v_mul_f32_e32 v20, s15, v20
.LBB9_188:
	v_dual_add_f32 v9, v9, v5 :: v_dual_add_f32 v8, v8, v4
	v_dual_add_f32 v13, v13, v5 :: v_dual_add_f32 v12, v12, v4
	;; [unrolled: 1-line block ×3, first 2 shown]
	s_delay_alu instid0(VALU_DEP_3) | instskip(SKIP_1) | instid1(VALU_DEP_4)
	v_min3_f32 v8, v8, v9, v90
	v_dual_add_f32 v9, v11, v7 :: v_dual_add_f32 v10, v10, v6
	v_min3_f32 v12, v12, v13, v89
	s_delay_alu instid0(VALU_DEP_2) | instskip(SKIP_3) | instid1(VALU_DEP_4)
	v_min3_f32 v8, v10, v9, v8
	v_min_f32_e32 v11, v14, v15
	v_add_co_u32 v9, vcc_lo, v16, v82
	v_add_co_ci_u32_e32 v10, vcc_lo, v17, v83, vcc_lo
	v_max_f32_e32 v8, v8, v8
	s_delay_alu instid0(VALU_DEP_4)
	v_min3_f32 v11, v20, v11, v12
	s_mov_b32 vcc_lo, s2
	global_store_b32 v[9:10], v11, off
	s_cbranch_vccz .LBB9_191
; %bb.189:
	v_add_co_u32 v9, vcc_lo, v16, v86
	v_min_f32_e32 v11, 0, v8
	v_add_co_ci_u32_e32 v10, vcc_lo, v17, v87, vcc_lo
	s_mov_b32 s0, 0
	global_store_b32 v[9:10], v11, off
	s_cbranch_execz .LBB9_192
; %bb.190:
	v_mov_b32_e32 v8, s0
	s_branch .LBB9_193
.LBB9_191:
	s_mov_b32 s0, -1
.LBB9_192:
	v_add_co_u32 v9, vcc_lo, v18, v86
	v_add_co_ci_u32_e32 v10, vcc_lo, v19, v87, vcc_lo
	flat_load_b32 v9, v[9:10]
	s_waitcnt vmcnt(0) lgkmcnt(0)
	v_mul_f32_e32 v11, s15, v9
	v_add_co_u32 v9, vcc_lo, v16, v86
	v_add_co_ci_u32_e32 v10, vcc_lo, v17, v87, vcc_lo
	s_delay_alu instid0(VALU_DEP_3)
	v_min_f32_e32 v8, v11, v8
	v_add_co_u32 v11, vcc_lo, v18, v84
	v_add_co_ci_u32_e32 v12, vcc_lo, v19, v85, vcc_lo
	global_store_b32 v[9:10], v8, off
	flat_load_b32 v8, v[11:12]
	s_waitcnt vmcnt(0) lgkmcnt(0)
	v_mul_f32_e32 v8, s15, v8
.LBB9_193:
	v_dual_add_f32 v3, v3, v7 :: v_dual_add_f32 v2, v2, v6
	v_dual_add_f32 v1, v1, v5 :: v_dual_add_f32 v0, v0, v4
	s_delay_alu instid0(VALU_DEP_2) | instskip(NEXT) | instid1(VALU_DEP_2)
	v_min_f32_e32 v2, v2, v3
	v_min3_f32 v0, v0, v1, v88
	s_delay_alu instid0(VALU_DEP_1)
	v_min3_f32 v2, v8, v2, v0
	v_add_co_u32 v0, vcc_lo, v16, v84
	v_add_co_ci_u32_e32 v1, vcc_lo, v17, v85, vcc_lo
	global_store_b32 v[0:1], v2, off
	s_nop 0
	s_sendmsg sendmsg(MSG_DEALLOC_VGPRS)
	s_endpgm
	.section	.rodata,"a",@progbits
	.p2align	6, 0x0
	.amdhsa_kernel _ZN12_GLOBAL__N_120geam_min_plus_kernelIf15HIP_vector_typeIfLj2EEfLi32ELi8ELi128ELi128ELi4ELi4ELi64ELi4ELi64ELc84ELc78ELb0ELb0ELb1EPKfKS4_KPfEEviiiT16_PT17_ilSA_ilS8_SA_ilPT18_ili26rocblas_geam_ex_operation_
		.amdhsa_group_segment_fixed_size 8192
		.amdhsa_private_segment_fixed_size 76
		.amdhsa_kernarg_size 136
		.amdhsa_user_sgpr_count 14
		.amdhsa_user_sgpr_dispatch_ptr 0
		.amdhsa_user_sgpr_queue_ptr 0
		.amdhsa_user_sgpr_kernarg_segment_ptr 1
		.amdhsa_user_sgpr_dispatch_id 0
		.amdhsa_user_sgpr_private_segment_size 0
		.amdhsa_wavefront_size32 1
		.amdhsa_uses_dynamic_stack 0
		.amdhsa_enable_private_segment 1
		.amdhsa_system_sgpr_workgroup_id_x 1
		.amdhsa_system_sgpr_workgroup_id_y 0
		.amdhsa_system_sgpr_workgroup_id_z 1
		.amdhsa_system_sgpr_workgroup_info 0
		.amdhsa_system_vgpr_workitem_id 1
		.amdhsa_next_free_vgpr 256
		.amdhsa_next_free_sgpr 24
		.amdhsa_reserve_vcc 1
		.amdhsa_float_round_mode_32 0
		.amdhsa_float_round_mode_16_64 0
		.amdhsa_float_denorm_mode_32 3
		.amdhsa_float_denorm_mode_16_64 3
		.amdhsa_dx10_clamp 1
		.amdhsa_ieee_mode 1
		.amdhsa_fp16_overflow 0
		.amdhsa_workgroup_processor_mode 1
		.amdhsa_memory_ordered 1
		.amdhsa_forward_progress 0
		.amdhsa_shared_vgpr_count 0
		.amdhsa_exception_fp_ieee_invalid_op 0
		.amdhsa_exception_fp_denorm_src 0
		.amdhsa_exception_fp_ieee_div_zero 0
		.amdhsa_exception_fp_ieee_overflow 0
		.amdhsa_exception_fp_ieee_underflow 0
		.amdhsa_exception_fp_ieee_inexact 0
		.amdhsa_exception_int_div_zero 0
	.end_amdhsa_kernel
	.section	.text._ZN12_GLOBAL__N_120geam_min_plus_kernelIf15HIP_vector_typeIfLj2EEfLi32ELi8ELi128ELi128ELi4ELi4ELi64ELi4ELi64ELc84ELc78ELb0ELb0ELb1EPKfKS4_KPfEEviiiT16_PT17_ilSA_ilS8_SA_ilPT18_ili26rocblas_geam_ex_operation_,"axG",@progbits,_ZN12_GLOBAL__N_120geam_min_plus_kernelIf15HIP_vector_typeIfLj2EEfLi32ELi8ELi128ELi128ELi4ELi4ELi64ELi4ELi64ELc84ELc78ELb0ELb0ELb1EPKfKS4_KPfEEviiiT16_PT17_ilSA_ilS8_SA_ilPT18_ili26rocblas_geam_ex_operation_,comdat
.Lfunc_end9:
	.size	_ZN12_GLOBAL__N_120geam_min_plus_kernelIf15HIP_vector_typeIfLj2EEfLi32ELi8ELi128ELi128ELi4ELi4ELi64ELi4ELi64ELc84ELc78ELb0ELb0ELb1EPKfKS4_KPfEEviiiT16_PT17_ilSA_ilS8_SA_ilPT18_ili26rocblas_geam_ex_operation_, .Lfunc_end9-_ZN12_GLOBAL__N_120geam_min_plus_kernelIf15HIP_vector_typeIfLj2EEfLi32ELi8ELi128ELi128ELi4ELi4ELi64ELi4ELi64ELc84ELc78ELb0ELb0ELb1EPKfKS4_KPfEEviiiT16_PT17_ilSA_ilS8_SA_ilPT18_ili26rocblas_geam_ex_operation_
                                        ; -- End function
	.section	.AMDGPU.csdata,"",@progbits
; Kernel info:
; codeLenInByte = 18576
; NumSgprs: 26
; NumVgprs: 256
; ScratchSize: 76
; MemoryBound: 0
; FloatMode: 240
; IeeeMode: 1
; LDSByteSize: 8192 bytes/workgroup (compile time only)
; SGPRBlocks: 3
; VGPRBlocks: 31
; NumSGPRsForWavesPerEU: 26
; NumVGPRsForWavesPerEU: 256
; Occupancy: 5
; WaveLimiterHint : 1
; COMPUTE_PGM_RSRC2:SCRATCH_EN: 1
; COMPUTE_PGM_RSRC2:USER_SGPR: 14
; COMPUTE_PGM_RSRC2:TRAP_HANDLER: 0
; COMPUTE_PGM_RSRC2:TGID_X_EN: 1
; COMPUTE_PGM_RSRC2:TGID_Y_EN: 0
; COMPUTE_PGM_RSRC2:TGID_Z_EN: 1
; COMPUTE_PGM_RSRC2:TIDIG_COMP_CNT: 1
	.section	.text._ZN12_GLOBAL__N_120geam_min_plus_kernelIf15HIP_vector_typeIfLj2EEfLi32ELi8ELi128ELi128ELi4ELi4ELi64ELi4ELi64ELc84ELc78ELb1ELb0ELb1EfKPKfKPfEEviiiT16_PT17_ilSA_ilS8_SA_ilPT18_ili26rocblas_geam_ex_operation_,"axG",@progbits,_ZN12_GLOBAL__N_120geam_min_plus_kernelIf15HIP_vector_typeIfLj2EEfLi32ELi8ELi128ELi128ELi4ELi4ELi64ELi4ELi64ELc84ELc78ELb1ELb0ELb1EfKPKfKPfEEviiiT16_PT17_ilSA_ilS8_SA_ilPT18_ili26rocblas_geam_ex_operation_,comdat
	.globl	_ZN12_GLOBAL__N_120geam_min_plus_kernelIf15HIP_vector_typeIfLj2EEfLi32ELi8ELi128ELi128ELi4ELi4ELi64ELi4ELi64ELc84ELc78ELb1ELb0ELb1EfKPKfKPfEEviiiT16_PT17_ilSA_ilS8_SA_ilPT18_ili26rocblas_geam_ex_operation_ ; -- Begin function _ZN12_GLOBAL__N_120geam_min_plus_kernelIf15HIP_vector_typeIfLj2EEfLi32ELi8ELi128ELi128ELi4ELi4ELi64ELi4ELi64ELc84ELc78ELb1ELb0ELb1EfKPKfKPfEEviiiT16_PT17_ilSA_ilS8_SA_ilPT18_ili26rocblas_geam_ex_operation_
	.p2align	8
	.type	_ZN12_GLOBAL__N_120geam_min_plus_kernelIf15HIP_vector_typeIfLj2EEfLi32ELi8ELi128ELi128ELi4ELi4ELi64ELi4ELi64ELc84ELc78ELb1ELb0ELb1EfKPKfKPfEEviiiT16_PT17_ilSA_ilS8_SA_ilPT18_ili26rocblas_geam_ex_operation_,@function
_ZN12_GLOBAL__N_120geam_min_plus_kernelIf15HIP_vector_typeIfLj2EEfLi32ELi8ELi128ELi128ELi4ELi4ELi64ELi4ELi64ELc84ELc78ELb1ELb0ELb1EfKPKfKPfEEviiiT16_PT17_ilSA_ilS8_SA_ilPT18_ili26rocblas_geam_ex_operation_: ; @_ZN12_GLOBAL__N_120geam_min_plus_kernelIf15HIP_vector_typeIfLj2EEfLi32ELi8ELi128ELi128ELi4ELi4ELi64ELi4ELi64ELc84ELc78ELb1ELb0ELb1EfKPKfKPfEEviiiT16_PT17_ilSA_ilS8_SA_ilPT18_ili26rocblas_geam_ex_operation_
; %bb.0:
	s_clause 0x1
	s_load_b64 s[8:9], s[0:1], 0x8
	s_load_b128 s[4:7], s[0:1], 0x20
	s_mov_b32 s16, s15
	s_mov_b32 s17, 0
	s_waitcnt lgkmcnt(0)
	v_cmp_eq_f32_e64 s2, s9, 0
	s_delay_alu instid0(VALU_DEP_1)
	s_and_b32 vcc_lo, exec_lo, s2
	s_cbranch_vccnz .LBB10_3
; %bb.1:
	s_load_b64 s[10:11], s[0:1], 0x10
	s_lshl_b64 s[12:13], s[16:17], 3
	s_waitcnt lgkmcnt(0)
	s_add_u32 s10, s10, s12
	s_addc_u32 s11, s11, s13
	s_lshl_b64 s[4:5], s[4:5], 2
	s_load_b64 s[10:11], s[10:11], 0x0
	s_waitcnt lgkmcnt(0)
	s_add_u32 s10, s10, s4
	s_addc_u32 s11, s11, s5
	s_and_not1_b32 vcc_lo, exec_lo, s2
	s_cbranch_vccnz .LBB10_4
.LBB10_2:
	s_mov_b64 s[12:13], 0
	s_and_not1_b32 vcc_lo, exec_lo, s17
	s_cbranch_vccz .LBB10_5
	s_branch .LBB10_6
.LBB10_3:
	s_mov_b64 s[10:11], 0
	s_and_not1_b32 vcc_lo, exec_lo, s2
	s_cbranch_vccz .LBB10_2
.LBB10_4:
	s_mov_b32 s17, -1
                                        ; implicit-def: $sgpr12_sgpr13
.LBB10_5:
	s_mov_b32 s17, 0
	s_load_b64 s[4:5], s[0:1], 0x38
	s_lshl_b64 s[2:3], s[16:17], 3
	s_delay_alu instid0(SALU_CYCLE_1) | instskip(SKIP_4) | instid1(SALU_CYCLE_1)
	s_add_u32 s2, s6, s2
	s_addc_u32 s3, s7, s3
	s_load_b64 s[2:3], s[2:3], 0x0
	s_waitcnt lgkmcnt(0)
	s_lshl_b64 s[4:5], s[4:5], 2
	s_add_u32 s12, s2, s4
	s_addc_u32 s13, s3, s5
.LBB10_6:
	s_clause 0x1
	s_load_b32 s3, s[0:1], 0x40
	s_load_b128 s[4:7], s[0:1], 0x58
	s_waitcnt lgkmcnt(0)
	v_cmp_eq_f32_e64 s2, s3, 0
	s_delay_alu instid0(VALU_DEP_1) | instskip(NEXT) | instid1(SALU_CYCLE_1)
	s_and_b32 s2, exec_lo, s2
	s_mov_b32 vcc_lo, s2
	s_cbranch_vccnz .LBB10_8
; %bb.7:
	s_load_b64 s[18:19], s[0:1], 0x48
	s_lshl_b64 s[20:21], s[16:17], 3
	s_waitcnt lgkmcnt(0)
	s_add_u32 s18, s18, s20
	s_addc_u32 s19, s19, s21
	s_lshl_b64 s[4:5], s[4:5], 2
	s_load_b64 s[18:19], s[18:19], 0x0
	s_waitcnt lgkmcnt(0)
	s_add_u32 s4, s18, s4
	s_addc_u32 s5, s19, s5
	s_branch .LBB10_9
.LBB10_8:
	s_mov_b64 s[4:5], 0
.LBB10_9:
	s_clause 0x2
	s_load_b32 s9, s[0:1], 0x0
	s_load_b32 s15, s[0:1], 0x18
	;; [unrolled: 1-line block ×3, first 2 shown]
	s_lshl_b64 s[16:17], s[16:17], 3
	v_and_b32_e32 v75, 0x3ff, v0
	s_add_u32 s6, s6, s16
	s_addc_u32 s7, s7, s17
	v_bfe_u32 v10, v0, 10, 10
	s_delay_alu instid0(VALU_DEP_2) | instskip(NEXT) | instid1(VALU_DEP_2)
	v_lshlrev_b32_e32 v87, 4, v75
	v_lshl_add_u32 v0, v10, 5, v75
	v_lshlrev_b32_e32 v186, 4, v10
	s_delay_alu instid0(VALU_DEP_2) | instskip(SKIP_3) | instid1(SALU_CYCLE_1)
	v_lshrrev_b32_e32 v18, 2, v0
	v_and_b32_e32 v0, 3, v75
	s_waitcnt lgkmcnt(0)
	s_add_i32 s9, s9, -1
	s_ashr_i32 s16, s9, 31
	s_delay_alu instid0(VALU_DEP_1) | instskip(SKIP_1) | instid1(SALU_CYCLE_1)
	v_lshlrev_b32_e32 v82, 2, v0
	s_lshr_b32 s16, s16, 25
	s_add_i32 s9, s9, s16
	s_delay_alu instid0(SALU_CYCLE_1) | instskip(NEXT) | instid1(VALU_DEP_1)
	s_ashr_i32 s9, s9, 7
	v_lshl_or_b32 v56, v18, 4, v82
	s_add_i32 s16, s9, 1
	s_not_b32 s9, s9
	v_cvt_f32_u32_e32 v1, s16
	s_delay_alu instid0(VALU_DEP_1) | instskip(SKIP_2) | instid1(VALU_DEP_1)
	v_rcp_iflag_f32_e32 v1, v1
	s_waitcnt_depctr 0xfff
	v_mul_f32_e32 v1, 0x4f7ffffe, v1
	v_cvt_u32_f32_e32 v1, v1
	s_delay_alu instid0(VALU_DEP_1) | instskip(NEXT) | instid1(VALU_DEP_1)
	v_readfirstlane_b32 s17, v1
	s_mul_i32 s9, s9, s17
	s_delay_alu instid0(SALU_CYCLE_1) | instskip(NEXT) | instid1(SALU_CYCLE_1)
	s_mul_hi_u32 s9, s17, s9
	s_add_i32 s17, s17, s9
	s_delay_alu instid0(SALU_CYCLE_1) | instskip(NEXT) | instid1(SALU_CYCLE_1)
	s_mul_hi_u32 s9, s14, s17
	s_mul_i32 s17, s9, s16
	s_add_i32 s19, s9, 1
	s_sub_i32 s17, s14, s17
	s_delay_alu instid0(SALU_CYCLE_1)
	s_sub_i32 s20, s17, s16
	s_cmp_ge_u32 s17, s16
	s_cselect_b32 s9, s19, s9
	s_cselect_b32 s17, s20, s17
	s_add_i32 s19, s9, 1
	s_cmp_ge_u32 s17, s16
	s_cselect_b32 s9, s19, s9
	s_delay_alu instid0(SALU_CYCLE_1)
	s_mul_i32 s16, s9, s16
	s_lshl_b32 s9, s9, 7
	s_sub_i32 s14, s14, s16
	v_add_nc_u32_e32 v2, s9, v18
	s_lshl_b32 s14, s14, 7
	v_add_co_u32 v6, s16, s12, v82
	v_add_nc_u32_e32 v4, s14, v18
	s_delay_alu instid0(VALU_DEP_3) | instskip(SKIP_2) | instid1(VALU_DEP_4)
	v_mad_i64_i32 v[0:1], null, v2, s18, 0
	v_add_nc_u32_e32 v8, 64, v2
	v_add_co_ci_u32_e64 v7, null, s13, 0, s16
	v_mad_i64_i32 v[2:3], null, v4, s15, 0
	v_add_nc_u32_e32 v9, 64, v4
	s_delay_alu instid0(VALU_DEP_4) | instskip(SKIP_2) | instid1(VALU_DEP_3)
	v_mad_i64_i32 v[4:5], null, v8, s18, 0
	v_lshlrev_b64 v[11:12], 2, v[0:1]
	s_cmp_lt_i32 s8, 9
	v_mad_i64_i32 v[0:1], null, v9, s15, 0
	v_lshlrev_b64 v[8:9], 2, v[2:3]
	v_add_co_u32 v16, s15, s10, v82
	s_delay_alu instid0(VALU_DEP_1)
	v_add_co_ci_u32_e64 v17, null, s11, 0, s15
	v_lshlrev_b64 v[13:14], 2, v[4:5]
	v_add_co_u32 v2, vcc_lo, v6, v11
	v_add_co_ci_u32_e32 v3, vcc_lo, v7, v12, vcc_lo
	s_clause 0x1
	scratch_store_b64 off, v[11:12], off offset:64
	scratch_store_b64 off, v[13:14], off offset:80
	v_lshlrev_b64 v[11:12], 2, v[0:1]
	v_add_co_u32 v0, vcc_lo, v16, v8
	v_add_co_ci_u32_e32 v1, vcc_lo, v17, v9, vcc_lo
	v_add_co_u32 v4, vcc_lo, v6, v13
	v_add_co_ci_u32_e32 v5, vcc_lo, v7, v14, vcc_lo
	;; [unrolled: 2-line block ×3, first 2 shown]
	s_clause 0x1
	scratch_store_b64 off, v[8:9], off offset:56
	scratch_store_b64 off, v[11:12], off offset:72
	flat_load_b32 v20, v[2:3]
	flat_load_b32 v21, v[0:1]
	;; [unrolled: 1-line block ×4, first 2 shown]
	flat_load_b32 v72, v[2:3] offset:16
	flat_load_b32 v71, v[0:1] offset:16
	scratch_store_b32 off, v10, off         ; 4-byte Folded Spill
	s_load_b64 s[6:7], s[6:7], 0x0
	flat_load_b32 v69, v[4:5] offset:16
	flat_load_b32 v58, v[6:7] offset:16
	s_waitcnt vmcnt(5) lgkmcnt(0)
	ds_store_2addr_stride64_b32 v56, v20, v22 offset0:16 offset1:20
	s_waitcnt vmcnt(4)
	ds_store_2addr_stride64_b32 v56, v21, v23 offset1:4
	s_waitcnt vmcnt(0) lgkmcnt(0)
	s_waitcnt_vscnt null, 0x0
	s_barrier
	buffer_gl0_inv
	ds_load_b128 v[20:23], v186 offset:4096
	ds_load_b128 v[0:3], v87
	ds_load_b128 v[4:7], v87 offset:512
	ds_load_b128 v[24:27], v186 offset:4224
	s_waitcnt lgkmcnt(2)
	v_dual_add_f32 v8, v1, v21 :: v_dual_add_f32 v159, v3, v23
	v_add_f32_e32 v48, v2, v22
	s_waitcnt lgkmcnt(1)
	v_add_f32_e32 v155, v6, v22
	s_waitcnt lgkmcnt(0)
	v_add_f32_e32 v157, v5, v25
	scratch_store_b32 off, v8, off offset:4 ; 4-byte Folded Spill
	v_add_f32_e32 v8, v0, v20
	ds_load_b128 v[28:31], v87 offset:1024
	ds_load_b128 v[32:35], v87 offset:1536
	v_add_f32_e32 v162, v0, v24
	v_add_f32_e32 v156, v4, v24
	scratch_store_b32 off, v8, off offset:12 ; 4-byte Folded Spill
	v_add_f32_e32 v8, v5, v21
	v_add_f32_e32 v152, v3, v27
	v_dual_add_f32 v150, v2, v26 :: v_dual_add_f32 v151, v7, v27
	v_add_f32_e32 v148, v6, v26
	scratch_store_b32 off, v8, off offset:8 ; 4-byte Folded Spill
	s_waitcnt lgkmcnt(1)
	v_dual_add_f32 v8, v4, v20 :: v_dual_add_f32 v161, v30, v22
	scratch_store_b32 off, v8, off offset:16 ; 4-byte Folded Spill
	v_dual_add_f32 v8, v29, v21 :: v_dual_add_f32 v149, v31, v27
	s_waitcnt lgkmcnt(0)
	v_add_f32_e32 v147, v35, v27
	v_dual_add_f32 v145, v34, v26 :: v_dual_add_f32 v158, v29, v25
	scratch_store_b32 off, v8, off offset:20 ; 4-byte Folded Spill
	v_add_f32_e32 v8, v28, v20
	v_dual_add_f32 v153, v28, v24 :: v_dual_add_f32 v160, v33, v25
	v_add_f32_e32 v154, v32, v24
	v_add_f32_e32 v146, v30, v26
	scratch_store_b32 off, v8, off offset:28 ; 4-byte Folded Spill
	v_add_f32_e32 v8, v33, v21
	scratch_store_b32 off, v8, off offset:24 ; 4-byte Folded Spill
	v_add_f32_e32 v8, v32, v20
	scratch_store_b32 off, v8, off offset:32 ; 4-byte Folded Spill
	v_add_f32_e32 v8, v7, v23
	scratch_store_b32 off, v8, off offset:36 ; 4-byte Folded Spill
	v_add_f32_e32 v8, v31, v23
	scratch_store_b32 off, v8, off offset:40 ; 4-byte Folded Spill
	v_add_f32_e32 v8, v35, v23
	scratch_store_b32 off, v8, off offset:44 ; 4-byte Folded Spill
	v_add_f32_e32 v8, v34, v22
	scratch_store_b32 off, v8, off offset:52 ; 4-byte Folded Spill
	v_add_f32_e32 v8, v1, v25
	scratch_store_b32 off, v8, off offset:48 ; 4-byte Folded Spill
	ds_load_b128 v[20:23], v186 offset:4352
	ds_load_b128 v[24:27], v186 offset:4480
	s_waitcnt lgkmcnt(1)
	v_dual_add_f32 v79, v7, v23 :: v_dual_add_f32 v144, v1, v21
	v_dual_add_f32 v73, v0, v20 :: v_dual_add_f32 v140, v5, v21
	;; [unrolled: 1-line block ×5, first 2 shown]
	v_add_f32_e32 v78, v2, v22
	v_dual_add_f32 v70, v6, v22 :: v_dual_add_f32 v85, v31, v23
	v_dual_add_f32 v88, v30, v22 :: v_dual_add_f32 v89, v35, v23
	s_waitcnt lgkmcnt(0)
	v_dual_add_f32 v90, v34, v22 :: v_dual_add_f32 v91, v1, v25
	v_dual_add_f32 v92, v0, v24 :: v_dual_add_f32 v93, v5, v25
	;; [unrolled: 1-line block ×8, first 2 shown]
	v_add_f32_e32 v106, v34, v26
	ds_load_b128 v[20:23], v186 offset:4608
	ds_load_b128 v[24:27], v186 offset:4736
	s_waitcnt lgkmcnt(1)
	v_dual_add_f32 v107, v1, v21 :: v_dual_add_f32 v108, v0, v20
	v_dual_add_f32 v109, v5, v21 :: v_dual_add_f32 v110, v4, v20
	;; [unrolled: 1-line block ×8, first 2 shown]
	s_waitcnt lgkmcnt(0)
	v_dual_add_f32 v123, v1, v25 :: v_dual_add_f32 v124, v0, v24
	v_dual_add_f32 v125, v5, v25 :: v_dual_add_f32 v126, v4, v24
	;; [unrolled: 1-line block ×8, first 2 shown]
	ds_load_b128 v[20:23], v186 offset:4864
	ds_load_b128 v[24:27], v186 offset:4992
	s_waitcnt lgkmcnt(1)
	v_add_f32_e32 v141, v1, v21
	v_dual_add_f32 v163, v0, v20 :: v_dual_add_f32 v164, v5, v21
	s_waitcnt lgkmcnt(0)
	v_add_f32_e32 v193, v34, v26
	v_dual_add_f32 v165, v4, v20 :: v_dual_add_f32 v166, v29, v21
	v_dual_add_f32 v167, v28, v20 :: v_dual_add_f32 v168, v33, v21
	;; [unrolled: 1-line block ×14, first 2 shown]
	ds_load_b128 v[20:23], v186 offset:5120
	ds_load_b128 v[24:27], v186 offset:5248
	s_waitcnt lgkmcnt(1)
	v_dual_add_f32 v194, v1, v21 :: v_dual_add_f32 v195, v0, v20
	v_dual_add_f32 v196, v5, v21 :: v_dual_add_f32 v197, v4, v20
	;; [unrolled: 1-line block ×8, first 2 shown]
	s_waitcnt lgkmcnt(0)
	v_dual_add_f32 v210, v1, v25 :: v_dual_add_f32 v211, v0, v24
	v_dual_add_f32 v212, v5, v25 :: v_dual_add_f32 v213, v4, v24
	;; [unrolled: 1-line block ×8, first 2 shown]
	ds_load_b128 v[20:23], v186 offset:5376
	ds_load_b128 v[24:27], v186 offset:5504
	s_waitcnt lgkmcnt(1)
	v_dual_add_f32 v226, v1, v21 :: v_dual_add_f32 v227, v0, v20
	v_dual_add_f32 v228, v5, v21 :: v_dual_add_f32 v229, v4, v20
	;; [unrolled: 1-line block ×8, first 2 shown]
	s_waitcnt lgkmcnt(0)
	v_dual_add_f32 v242, v1, v25 :: v_dual_add_f32 v243, v0, v24
	v_dual_add_f32 v244, v5, v25 :: v_dual_add_f32 v245, v4, v24
	;; [unrolled: 1-line block ×8, first 2 shown]
	ds_load_b128 v[20:23], v186 offset:5632
	ds_load_b128 v[24:27], v186 offset:5760
	s_waitcnt lgkmcnt(0)
	v_dual_add_f32 v36, v1, v21 :: v_dual_add_f32 v63, v7, v27
	v_dual_add_f32 v38, v0, v20 :: v_dual_add_f32 v65, v31, v27
	v_add_f32_e32 v37, v5, v21
	v_dual_add_f32 v39, v4, v20 :: v_dual_add_f32 v40, v29, v21
	v_dual_add_f32 v67, v35, v27 :: v_dual_add_f32 v42, v28, v20
	v_add_f32_e32 v41, v33, v21
	;; [unrolled: 3-line block ×3, first 2 shown]
	v_add_f32_e32 v45, v31, v23
	v_dual_add_f32 v47, v30, v22 :: v_dual_add_f32 v50, v35, v23
	v_dual_add_f32 v52, v34, v22 :: v_dual_add_f32 v53, v1, v25
	v_add_f32_e32 v55, v0, v24
	v_add_f32_e32 v57, v5, v25
	v_dual_add_f32 v59, v4, v24 :: v_dual_add_f32 v54, v29, v25
	v_dual_add_f32 v8, v28, v24 :: v_dual_add_f32 v9, v33, v25
	;; [unrolled: 1-line block ×3, first 2 shown]
	v_add_f32_e32 v62, v2, v26
	v_add_f32_e32 v64, v6, v26
	;; [unrolled: 1-line block ×4, first 2 shown]
	ds_load_b128 v[20:23], v186 offset:5888
	ds_load_b128 v[24:27], v186 offset:6016
	s_waitcnt lgkmcnt(1)
	v_dual_add_f32 v10, v1, v21 :: v_dual_add_f32 v11, v0, v20
	v_dual_add_f32 v12, v5, v21 :: v_dual_add_f32 v13, v4, v20
	;; [unrolled: 1-line block ×4, first 2 shown]
	s_waitcnt lgkmcnt(0)
	v_dual_add_f32 v1, v1, v25 :: v_dual_add_f32 v0, v0, v24
	v_dual_add_f32 v5, v5, v25 :: v_dual_add_f32 v4, v4, v24
	v_add_f32_e32 v29, v29, v25
	v_dual_add_f32 v25, v33, v25 :: v_dual_add_f32 v28, v28, v24
	v_add_f32_e32 v24, v32, v24
	s_clause 0x1
	scratch_load_b32 v32, off, off offset:4
	scratch_load_b32 v33, off, off offset:12
	v_add_f32_e32 v84, v2, v22
	v_add_f32_e32 v184, v6, v22
	;; [unrolled: 1-line block ×7, first 2 shown]
	v_dual_add_f32 v26, v34, v26 :: v_dual_add_f32 v83, v3, v23
	v_add_f32_e32 v86, v7, v23
	v_add_f32_e32 v183, v31, v23
	;; [unrolled: 1-line block ×3, first 2 shown]
	v_min3_f32 v8, v8, v54, 0x7f7fffff
	v_add_f32_e32 v3, v3, v27
	v_add_f32_e32 v7, v7, v27
	;; [unrolled: 1-line block ×4, first 2 shown]
	v_min3_f32 v0, v0, v1, 0x7f7fffff
	s_waitcnt vmcnt(0)
	v_min3_f32 v32, v33, v32, 0x7f7fffff
	s_delay_alu instid0(VALU_DEP_1)
	v_min3_f32 v48, v48, v159, v32
	s_clause 0x1
	scratch_load_b32 v32, off, off offset:8
	scratch_load_b32 v33, off, off offset:16
	s_waitcnt vmcnt(0)
	v_min3_f32 v32, v33, v32, 0x7f7fffff
	scratch_load_b32 v33, off, off offset:36 ; 4-byte Folded Reload
	s_waitcnt vmcnt(0)
	v_min3_f32 v159, v155, v33, v32
	s_clause 0x1
	scratch_load_b32 v32, off, off offset:20
	scratch_load_b32 v33, off, off offset:28
	s_waitcnt vmcnt(0)
	v_min3_f32 v32, v33, v32, 0x7f7fffff
	scratch_load_b32 v33, off, off offset:40 ; 4-byte Folded Reload
	s_waitcnt vmcnt(0)
	v_min3_f32 v161, v161, v33, v32
	s_clause 0x1
	scratch_load_b32 v32, off, off offset:24
	scratch_load_b32 v33, off, off offset:32
	s_waitcnt vmcnt(0)
	v_min3_f32 v32, v33, v32, 0x7f7fffff
	s_clause 0x1
	scratch_load_b32 v33, off, off offset:44
	scratch_load_b32 v34, off, off offset:52
	s_waitcnt vmcnt(0)
	v_min3_f32 v155, v34, v33, v32
	scratch_load_b32 v32, off, off offset:48 ; 4-byte Folded Reload
	ds_store_2addr_stride64_b32 v56, v71, v58 offset0:8 offset1:12
	ds_store_2addr_stride64_b32 v56, v72, v69 offset0:24 offset1:28
	s_waitcnt vmcnt(0) lgkmcnt(0)
	s_waitcnt_vscnt null, 0x0
	s_barrier
	buffer_gl0_inv
	v_min3_f32 v32, v162, v32, 0x7f7fffff
	s_delay_alu instid0(VALU_DEP_1) | instskip(SKIP_1) | instid1(VALU_DEP_1)
	v_min3_f32 v162, v150, v152, v32
	v_min3_f32 v32, v156, v157, 0x7f7fffff
	v_min3_f32 v156, v148, v151, v32
	v_min3_f32 v32, v153, v158, 0x7f7fffff
	s_delay_alu instid0(VALU_DEP_1) | instskip(SKIP_1) | instid1(VALU_DEP_1)
	v_min3_f32 v157, v146, v149, v32
	v_min3_f32 v32, v154, v160, 0x7f7fffff
	v_min3_f32 v151, v145, v147, v32
	;; [unrolled: 5-line block ×4, first 2 shown]
	v_min3_f32 v32, v92, v91, 0x7f7fffff
	v_min3_f32 v91, v2, v3, v0
	;; [unrolled: 1-line block ×3, first 2 shown]
	s_delay_alu instid0(VALU_DEP_3) | instskip(SKIP_1) | instid1(VALU_DEP_3)
	v_min3_f32 v158, v100, v99, v32
	v_min3_f32 v32, v94, v93, 0x7f7fffff
	;; [unrolled: 1-line block ×4, first 2 shown]
	s_delay_alu instid0(VALU_DEP_3) | instskip(SKIP_1) | instid1(VALU_DEP_3)
	v_min3_f32 v149, v102, v101, v32
	v_min3_f32 v32, v96, v95, 0x7f7fffff
	v_min3_f32 v89, v30, v31, v0
	v_min3_f32 v0, v24, v25, 0x7f7fffff
	s_delay_alu instid0(VALU_DEP_3) | instskip(SKIP_3) | instid1(VALU_DEP_3)
	v_min3_f32 v150, v104, v103, v32
	v_min3_f32 v32, v98, v97, 0x7f7fffff
	;; [unrolled: 1-line block ×6, first 2 shown]
	s_delay_alu instid0(VALU_DEP_3) | instskip(SKIP_2) | instid1(VALU_DEP_4)
	v_min3_f32 v94, v68, v67, v8
	v_min3_f32 v8, v11, v10, 0x7f7fffff
	;; [unrolled: 1-line block ×5, first 2 shown]
	s_delay_alu instid0(VALU_DEP_4) | instskip(SKIP_1) | instid1(VALU_DEP_3)
	v_min3_f32 v96, v84, v83, v8
	v_min3_f32 v8, v13, v12, 0x7f7fffff
	v_min3_f32 v144, v118, v117, v32
	v_min3_f32 v32, v112, v111, 0x7f7fffff
	s_delay_alu instid0(VALU_DEP_3) | instskip(SKIP_1) | instid1(VALU_DEP_3)
	v_min3_f32 v92, v184, v86, v8
	v_min3_f32 v8, v15, v14, 0x7f7fffff
	;; [unrolled: 1-line block ×4, first 2 shown]
	s_delay_alu instid0(VALU_DEP_3) | instskip(SKIP_1) | instid1(VALU_DEP_3)
	v_min3_f32 v93, v185, v183, v8
	v_min3_f32 v8, v20, v21, 0x7f7fffff
	;; [unrolled: 1-line block ×4, first 2 shown]
	s_delay_alu instid0(VALU_DEP_3) | instskip(NEXT) | instid1(VALU_DEP_2)
	v_min3_f32 v90, v22, v23, v8
	v_min3_f32 v145, v132, v131, v32
	v_min3_f32 v32, v126, v125, 0x7f7fffff
	s_delay_alu instid0(VALU_DEP_1) | instskip(SKIP_1) | instid1(VALU_DEP_1)
	v_min3_f32 v140, v134, v133, v32
	v_min3_f32 v32, v128, v127, 0x7f7fffff
	v_min3_f32 v142, v136, v135, v32
	v_min3_f32 v32, v130, v129, 0x7f7fffff
	s_delay_alu instid0(VALU_DEP_1) | instskip(SKIP_1) | instid1(VALU_DEP_1)
	v_min3_f32 v139, v138, v137, v32
	v_min3_f32 v32, v163, v141, 0x7f7fffff
	v_min3_f32 v141, v171, v170, v32
	v_min3_f32 v32, v165, v164, 0x7f7fffff
	s_delay_alu instid0(VALU_DEP_1) | instskip(SKIP_1) | instid1(VALU_DEP_1)
	v_min3_f32 v136, v173, v172, v32
	v_min3_f32 v32, v167, v166, 0x7f7fffff
	v_min3_f32 v138, v175, v174, v32
	v_min3_f32 v32, v169, v168, 0x7f7fffff
	s_delay_alu instid0(VALU_DEP_1) | instskip(SKIP_1) | instid1(VALU_DEP_1)
	v_min3_f32 v135, v177, v176, v32
	v_min3_f32 v32, v179, v178, 0x7f7fffff
	v_min3_f32 v137, v187, v16, v32
	v_min3_f32 v16, v181, v180, 0x7f7fffff
	s_delay_alu instid0(VALU_DEP_1) | instskip(SKIP_1) | instid1(VALU_DEP_1)
	v_min3_f32 v132, v189, v188, v16
	v_min3_f32 v16, v18, v182, 0x7f7fffff
	v_min3_f32 v134, v191, v190, v16
	v_min3_f32 v16, v17, v19, 0x7f7fffff
	s_delay_alu instid0(VALU_DEP_1) | instskip(SKIP_1) | instid1(VALU_DEP_1)
	v_min3_f32 v130, v193, v192, v16
	v_min3_f32 v16, v195, v194, 0x7f7fffff
	v_min3_f32 v133, v203, v202, v16
	v_min3_f32 v16, v197, v196, 0x7f7fffff
	s_delay_alu instid0(VALU_DEP_1) | instskip(SKIP_1) | instid1(VALU_DEP_1)
	v_min3_f32 v116, v205, v204, v16
	v_min3_f32 v16, v199, v198, 0x7f7fffff
	v_min3_f32 v125, v207, v206, v16
	v_min3_f32 v16, v201, v200, 0x7f7fffff
	s_delay_alu instid0(VALU_DEP_1) | instskip(SKIP_1) | instid1(VALU_DEP_1)
	v_min3_f32 v112, v209, v208, v16
	v_min3_f32 v16, v211, v210, 0x7f7fffff
	v_min3_f32 v131, v219, v218, v16
	v_min3_f32 v16, v213, v212, 0x7f7fffff
	s_delay_alu instid0(VALU_DEP_1) | instskip(SKIP_1) | instid1(VALU_DEP_1)
	v_min3_f32 v113, v221, v220, v16
	v_min3_f32 v16, v215, v214, 0x7f7fffff
	v_min3_f32 v115, v223, v222, v16
	v_min3_f32 v16, v217, v216, 0x7f7fffff
	s_delay_alu instid0(VALU_DEP_1) | instskip(SKIP_1) | instid1(VALU_DEP_1)
	v_min3_f32 v111, v225, v224, v16
	v_min3_f32 v16, v227, v226, 0x7f7fffff
	v_min3_f32 v114, v235, v234, v16
	v_min3_f32 v16, v229, v228, 0x7f7fffff
	s_delay_alu instid0(VALU_DEP_1) | instskip(SKIP_1) | instid1(VALU_DEP_1)
	v_min3_f32 v107, v237, v236, v16
	v_min3_f32 v16, v231, v230, 0x7f7fffff
	v_min3_f32 v110, v239, v238, v16
	v_min3_f32 v16, v233, v232, 0x7f7fffff
	s_delay_alu instid0(VALU_DEP_1) | instskip(SKIP_1) | instid1(VALU_DEP_1)
	v_min3_f32 v106, v241, v240, v16
	v_min3_f32 v16, v243, v242, 0x7f7fffff
	v_min3_f32 v109, v251, v250, v16
	v_min3_f32 v16, v245, v244, 0x7f7fffff
	s_delay_alu instid0(VALU_DEP_1) | instskip(SKIP_1) | instid1(VALU_DEP_1)
	v_min3_f32 v103, v253, v252, v16
	v_min3_f32 v16, v247, v246, 0x7f7fffff
	v_min3_f32 v105, v255, v254, v16
	v_min3_f32 v16, v249, v248, 0x7f7fffff
	s_delay_alu instid0(VALU_DEP_1) | instskip(SKIP_1) | instid1(VALU_DEP_1)
	v_min3_f32 v102, v81, v80, v16
	v_min3_f32 v16, v38, v36, 0x7f7fffff
	v_min3_f32 v104, v46, v44, v16
	v_min3_f32 v16, v39, v37, 0x7f7fffff
	s_delay_alu instid0(VALU_DEP_1) | instskip(SKIP_1) | instid1(VALU_DEP_1)
	v_min3_f32 v99, v51, v49, v16
	v_min3_f32 v16, v42, v40, 0x7f7fffff
	v_min3_f32 v101, v47, v45, v16
	v_min3_f32 v16, v43, v41, 0x7f7fffff
	s_delay_alu instid0(VALU_DEP_1) | instskip(SKIP_1) | instid1(VALU_DEP_1)
	v_min3_f32 v98, v52, v50, v16
	v_min3_f32 v16, v55, v53, 0x7f7fffff
	v_min3_f32 v100, v62, v61, v16
	;; [unrolled: 1-line block ×3, first 2 shown]
	s_delay_alu instid0(VALU_DEP_1)
	v_min3_f32 v95, v64, v63, v16
	s_cbranch_scc1 .LBB10_12
; %bb.10:
	s_clause 0x1
	scratch_load_b64 v[0:1], off, off offset:80
	scratch_load_b32 v183, off, off
	v_dual_mov_b32 v185, v56 :: v_dual_mov_b32 v184, v75
	v_add_nc_u32_e32 v85, 0x1000, v186
	v_lshl_add_u32 v119, v75, 4, 0x800
	s_add_i32 s8, s8, -8
	s_delay_alu instid0(VALU_DEP_3)
	v_add_nc_u32_e32 v80, 0x1000, v185
	v_add_nc_u32_e32 v117, 0x800, v185
	;; [unrolled: 1-line block ×3, first 2 shown]
	s_waitcnt vmcnt(1)
	v_add_co_u32 v121, vcc_lo, s12, v0
	v_add_co_ci_u32_e32 v122, vcc_lo, s13, v1, vcc_lo
	scratch_load_b64 v[0:1], off, off offset:64 ; 8-byte Folded Reload
	s_waitcnt vmcnt(0)
	v_add_co_u32 v123, vcc_lo, s12, v0
	v_add_co_ci_u32_e32 v124, vcc_lo, s13, v1, vcc_lo
	scratch_load_b64 v[0:1], off, off offset:72 ; 8-byte Folded Reload
	;; [unrolled: 4-line block ×3, first 2 shown]
	v_lshl_add_u32 v120, v183, 4, 0x1800
	s_waitcnt vmcnt(0)
	v_add_co_u32 v128, vcc_lo, s10, v0
	v_add_co_ci_u32_e32 v129, vcc_lo, s11, v1, vcc_lo
	s_mov_b32 s10, 0
.LBB10_11:                              ; =>This Inner Loop Header: Depth=1
	v_add_co_u32 v77, vcc_lo, v121, v82
	v_add_co_ci_u32_e32 v78, vcc_lo, 0, v122, vcc_lo
	v_add_co_u32 v164, vcc_lo, v123, v82
	v_add_co_ci_u32_e32 v165, vcc_lo, 0, v124, vcc_lo
	v_add_co_u32 v171, vcc_lo, v126, v82
	v_add_co_ci_u32_e32 v172, vcc_lo, 0, v127, vcc_lo
	v_add_co_u32 v173, vcc_lo, v128, v82
	v_add_co_ci_u32_e32 v174, vcc_lo, 0, v129, vcc_lo
	flat_load_b32 v83, v[171:172] offset:32
	flat_load_b32 v79, v[77:78] offset:32
	;; [unrolled: 1-line block ×4, first 2 shown]
	ds_load_b128 v[0:3], v119
	ds_load_b128 v[4:7], v119 offset:512
	ds_load_b128 v[8:11], v119 offset:1024
	;; [unrolled: 1-line block ×3, first 2 shown]
	ds_load_b128 v[12:15], v120
	ds_load_b128 v[20:23], v120 offset:128
	ds_load_b128 v[24:27], v120 offset:256
	;; [unrolled: 1-line block ×15, first 2 shown]
	v_add_co_u32 v121, vcc_lo, v121, 32
	v_add_co_ci_u32_e32 v122, vcc_lo, 0, v122, vcc_lo
	v_add_co_u32 v123, vcc_lo, v123, 32
	v_add_co_ci_u32_e32 v124, vcc_lo, 0, v124, vcc_lo
	;; [unrolled: 2-line block ×4, first 2 shown]
	s_add_i32 s10, s10, 8
	s_waitcnt vmcnt(0) lgkmcnt(20)
	ds_store_2addr_stride64_b32 v185, v84, v83 offset1:4
	ds_store_2addr_stride64_b32 v80, v81, v79 offset1:4
	s_waitcnt lgkmcnt(2)
	v_add_f32_e32 v79, v17, v168
	v_add_f32_e32 v81, v16, v167
	s_waitcnt lgkmcnt(0)
	s_barrier
	buffer_gl0_inv
	flat_load_b32 v163, v[77:78] offset:48
	flat_load_b32 v164, v[164:165] offset:48
	;; [unrolled: 1-line block ×4, first 2 shown]
	v_dual_add_f32 v77, v19, v170 :: v_dual_add_f32 v78, v18, v169
	v_min3_f32 v79, v81, v79, v108
	v_add_f32_e32 v81, v8, v167
	s_cmp_ge_i32 s10, s8
	s_delay_alu instid0(VALU_DEP_2) | instskip(SKIP_2) | instid1(VALU_DEP_2)
	v_min3_f32 v108, v78, v77, v79
	v_add_f32_e32 v79, v9, v168
	v_dual_add_f32 v77, v11, v170 :: v_dual_add_f32 v78, v10, v169
	v_min3_f32 v79, v81, v79, v89
	v_add_f32_e32 v81, v4, v167
	s_delay_alu instid0(VALU_DEP_2) | instskip(SKIP_2) | instid1(VALU_DEP_2)
	v_min3_f32 v89, v78, v77, v79
	v_add_f32_e32 v79, v5, v168
	v_dual_add_f32 v77, v7, v170 :: v_dual_add_f32 v78, v6, v169
	v_min3_f32 v79, v81, v79, v88
	v_add_f32_e32 v81, v0, v167
	s_delay_alu instid0(VALU_DEP_2) | instskip(SKIP_2) | instid1(VALU_DEP_2)
	v_min3_f32 v88, v78, v77, v79
	v_add_f32_e32 v79, v1, v168
	v_dual_add_f32 v77, v3, v170 :: v_dual_add_f32 v78, v2, v169
	v_min3_f32 v79, v81, v79, v91
	v_add_f32_e32 v81, v16, v73
	s_delay_alu instid0(VALU_DEP_2) | instskip(SKIP_2) | instid1(VALU_DEP_2)
	v_min3_f32 v91, v78, v77, v79
	v_add_f32_e32 v79, v17, v74
	v_dual_add_f32 v77, v19, v76 :: v_dual_add_f32 v78, v18, v75
	v_min3_f32 v79, v81, v79, v90
	v_add_f32_e32 v81, v8, v73
	s_delay_alu instid0(VALU_DEP_2) | instskip(SKIP_2) | instid1(VALU_DEP_2)
	v_min3_f32 v90, v78, v77, v79
	v_add_f32_e32 v79, v9, v74
	v_dual_add_f32 v77, v11, v76 :: v_dual_add_f32 v78, v10, v75
	v_min3_f32 v79, v81, v79, v93
	v_add_f32_e32 v81, v4, v73
	v_add_f32_e32 v73, v0, v73
	s_delay_alu instid0(VALU_DEP_3) | instskip(SKIP_4) | instid1(VALU_DEP_3)
	v_min3_f32 v93, v78, v77, v79
	v_add_f32_e32 v79, v5, v74
	v_dual_add_f32 v74, v1, v74 :: v_dual_add_f32 v77, v7, v76
	v_add_f32_e32 v78, v6, v75
	v_dual_add_f32 v76, v3, v76 :: v_dual_add_f32 v75, v2, v75
	v_min3_f32 v73, v73, v74, v96
	v_add_f32_e32 v74, v18, v71
	s_delay_alu instid0(VALU_DEP_2) | instskip(SKIP_2) | instid1(VALU_DEP_2)
	v_min3_f32 v96, v75, v76, v73
	v_dual_add_f32 v75, v17, v70 :: v_dual_add_f32 v76, v16, v69
	v_add_f32_e32 v73, v19, v72
	v_min3_f32 v75, v76, v75, v94
	v_add_f32_e32 v76, v8, v69
	s_delay_alu instid0(VALU_DEP_2) | instskip(SKIP_2) | instid1(VALU_DEP_2)
	v_min3_f32 v94, v74, v73, v75
	v_add_f32_e32 v75, v9, v70
	v_dual_add_f32 v73, v11, v72 :: v_dual_add_f32 v74, v10, v71
	v_min3_f32 v75, v76, v75, v97
	v_add_f32_e32 v76, v4, v69
	v_add_f32_e32 v69, v0, v69
	s_delay_alu instid0(VALU_DEP_3) | instskip(SKIP_4) | instid1(VALU_DEP_3)
	v_min3_f32 v97, v74, v73, v75
	v_add_f32_e32 v75, v5, v70
	v_dual_add_f32 v70, v1, v70 :: v_dual_add_f32 v73, v7, v72
	v_add_f32_e32 v74, v6, v71
	v_dual_add_f32 v72, v3, v72 :: v_dual_add_f32 v71, v2, v71
	v_min3_f32 v69, v69, v70, v100
	v_add_f32_e32 v70, v18, v67
	s_delay_alu instid0(VALU_DEP_2) | instskip(SKIP_2) | instid1(VALU_DEP_2)
	v_min3_f32 v100, v71, v72, v69
	v_dual_add_f32 v71, v17, v66 :: v_dual_add_f32 v72, v16, v65
	v_add_f32_e32 v69, v19, v68
	v_min3_f32 v71, v72, v71, v98
	v_add_f32_e32 v72, v8, v65
	s_delay_alu instid0(VALU_DEP_2) | instskip(SKIP_2) | instid1(VALU_DEP_2)
	v_min3_f32 v98, v70, v69, v71
	v_add_f32_e32 v71, v9, v66
	v_dual_add_f32 v69, v11, v68 :: v_dual_add_f32 v70, v10, v67
	v_min3_f32 v71, v72, v71, v101
	v_add_f32_e32 v72, v4, v65
	v_add_f32_e32 v65, v0, v65
	s_delay_alu instid0(VALU_DEP_3) | instskip(SKIP_4) | instid1(VALU_DEP_3)
	v_min3_f32 v101, v70, v69, v71
	v_add_f32_e32 v71, v5, v66
	v_dual_add_f32 v66, v1, v66 :: v_dual_add_f32 v69, v7, v68
	v_add_f32_e32 v70, v6, v67
	v_dual_add_f32 v68, v3, v68 :: v_dual_add_f32 v67, v2, v67
	v_min3_f32 v65, v65, v66, v104
	v_add_f32_e32 v66, v18, v63
	v_min3_f32 v79, v81, v79, v92
	s_delay_alu instid0(VALU_DEP_3) | instskip(SKIP_2) | instid1(VALU_DEP_4)
	v_min3_f32 v104, v67, v68, v65
	v_dual_add_f32 v67, v17, v62 :: v_dual_add_f32 v68, v16, v61
	v_add_f32_e32 v65, v19, v64
	v_min3_f32 v92, v78, v77, v79
	s_delay_alu instid0(VALU_DEP_3) | instskip(SKIP_2) | instid1(VALU_DEP_3)
	v_min3_f32 v67, v68, v67, v102
	v_add_f32_e32 v68, v8, v61
	v_min3_f32 v75, v76, v75, v95
	v_min3_f32 v102, v66, v65, v67
	v_add_f32_e32 v67, v9, v62
	v_dual_add_f32 v65, v11, v64 :: v_dual_add_f32 v66, v10, v63
	s_delay_alu instid0(VALU_DEP_4) | instskip(NEXT) | instid1(VALU_DEP_3)
	v_min3_f32 v95, v74, v73, v75
	v_min3_f32 v67, v68, v67, v105
	v_add_f32_e32 v68, v4, v61
	v_add_f32_e32 v61, v0, v61
	s_delay_alu instid0(VALU_DEP_3) | instskip(SKIP_4) | instid1(VALU_DEP_3)
	v_min3_f32 v105, v66, v65, v67
	v_add_f32_e32 v67, v5, v62
	v_dual_add_f32 v62, v1, v62 :: v_dual_add_f32 v65, v7, v64
	v_add_f32_e32 v66, v6, v63
	v_dual_add_f32 v64, v3, v64 :: v_dual_add_f32 v63, v2, v63
	v_min3_f32 v61, v61, v62, v109
	v_add_f32_e32 v62, v18, v59
	s_delay_alu instid0(VALU_DEP_2) | instskip(SKIP_2) | instid1(VALU_DEP_2)
	v_min3_f32 v109, v63, v64, v61
	v_dual_add_f32 v63, v17, v58 :: v_dual_add_f32 v64, v16, v57
	v_add_f32_e32 v61, v19, v60
	v_min3_f32 v63, v64, v63, v106
	v_add_f32_e32 v64, v8, v57
	v_min3_f32 v71, v72, v71, v99
	s_delay_alu instid0(VALU_DEP_3) | instskip(SKIP_2) | instid1(VALU_DEP_4)
	v_min3_f32 v106, v62, v61, v63
	v_add_f32_e32 v63, v9, v58
	v_dual_add_f32 v61, v11, v60 :: v_dual_add_f32 v62, v10, v59
	v_min3_f32 v99, v70, v69, v71
	s_delay_alu instid0(VALU_DEP_3) | instskip(SKIP_2) | instid1(VALU_DEP_3)
	v_min3_f32 v63, v64, v63, v110
	v_add_f32_e32 v64, v4, v57
	v_add_f32_e32 v57, v0, v57
	v_min3_f32 v167, v62, v61, v63
	v_add_f32_e32 v63, v5, v58
	v_dual_add_f32 v58, v1, v58 :: v_dual_add_f32 v61, v7, v60
	v_add_f32_e32 v62, v6, v59
	v_dual_add_f32 v60, v3, v60 :: v_dual_add_f32 v59, v2, v59
	s_delay_alu instid0(VALU_DEP_3) | instskip(SKIP_1) | instid1(VALU_DEP_2)
	v_min3_f32 v57, v57, v58, v114
	v_add_f32_e32 v58, v18, v55
	v_min3_f32 v169, v59, v60, v57
	v_dual_add_f32 v59, v17, v54 :: v_dual_add_f32 v60, v16, v53
	v_add_f32_e32 v57, v19, v56
	s_delay_alu instid0(VALU_DEP_2) | instskip(SKIP_2) | instid1(VALU_DEP_3)
	v_min3_f32 v59, v60, v59, v111
	v_add_f32_e32 v60, v8, v53
	v_min3_f32 v67, v68, v67, v103
	v_min3_f32 v111, v58, v57, v59
	v_add_f32_e32 v59, v9, v54
	v_dual_add_f32 v57, v11, v56 :: v_dual_add_f32 v58, v10, v55
	s_delay_alu instid0(VALU_DEP_4) | instskip(NEXT) | instid1(VALU_DEP_3)
	v_min3_f32 v103, v66, v65, v67
	v_min3_f32 v59, v60, v59, v115
	v_add_f32_e32 v60, v4, v53
	v_add_f32_e32 v53, v0, v53
	s_delay_alu instid0(VALU_DEP_3) | instskip(SKIP_4) | instid1(VALU_DEP_3)
	v_min3_f32 v114, v58, v57, v59
	v_add_f32_e32 v59, v5, v54
	v_dual_add_f32 v54, v1, v54 :: v_dual_add_f32 v57, v7, v56
	v_add_f32_e32 v58, v6, v55
	v_dual_add_f32 v56, v3, v56 :: v_dual_add_f32 v55, v2, v55
	v_min3_f32 v53, v53, v54, v131
	v_add_f32_e32 v54, v18, v51
	s_delay_alu instid0(VALU_DEP_2) | instskip(SKIP_2) | instid1(VALU_DEP_2)
	v_min3_f32 v131, v55, v56, v53
	v_dual_add_f32 v55, v17, v50 :: v_dual_add_f32 v56, v16, v49
	v_add_f32_e32 v53, v19, v52
	v_min3_f32 v55, v56, v55, v112
	v_add_f32_e32 v56, v8, v49
	v_min3_f32 v63, v64, v63, v107
	s_delay_alu instid0(VALU_DEP_3) | instskip(SKIP_2) | instid1(VALU_DEP_4)
	v_min3_f32 v170, v54, v53, v55
	v_add_f32_e32 v55, v9, v50
	v_dual_add_f32 v53, v11, v52 :: v_dual_add_f32 v54, v10, v51
	v_min3_f32 v168, v62, v61, v63
	s_delay_alu instid0(VALU_DEP_3) | instskip(SKIP_2) | instid1(VALU_DEP_3)
	v_min3_f32 v55, v56, v55, v125
	v_add_f32_e32 v56, v4, v49
	v_add_f32_e32 v49, v0, v49
	v_min3_f32 v171, v54, v53, v55
	v_add_f32_e32 v55, v5, v50
	v_dual_add_f32 v50, v1, v50 :: v_dual_add_f32 v53, v7, v52
	v_add_f32_e32 v54, v6, v51
	v_dual_add_f32 v52, v3, v52 :: v_dual_add_f32 v51, v2, v51
	s_delay_alu instid0(VALU_DEP_3) | instskip(SKIP_1) | instid1(VALU_DEP_2)
	v_min3_f32 v49, v49, v50, v133
	v_add_f32_e32 v50, v18, v46
	v_min3_f32 v173, v51, v52, v49
	v_dual_add_f32 v51, v17, v45 :: v_dual_add_f32 v52, v16, v44
	v_add_f32_e32 v49, v19, v47
	s_delay_alu instid0(VALU_DEP_2) | instskip(SKIP_2) | instid1(VALU_DEP_3)
	v_min3_f32 v51, v52, v51, v130
	v_add_f32_e32 v52, v8, v44
	v_min3_f32 v59, v60, v59, v113
	v_min3_f32 v174, v50, v49, v51
	v_add_f32_e32 v51, v9, v45
	v_dual_add_f32 v49, v11, v47 :: v_dual_add_f32 v50, v10, v46
	s_delay_alu instid0(VALU_DEP_4) | instskip(NEXT) | instid1(VALU_DEP_3)
	v_min3_f32 v115, v58, v57, v59
	v_min3_f32 v51, v52, v51, v134
	v_add_f32_e32 v52, v4, v44
	v_add_f32_e32 v44, v0, v44
	s_delay_alu instid0(VALU_DEP_3) | instskip(SKIP_4) | instid1(VALU_DEP_3)
	v_min3_f32 v175, v50, v49, v51
	v_add_f32_e32 v51, v5, v45
	v_add_f32_e32 v45, v1, v45
	v_dual_add_f32 v49, v7, v47 :: v_dual_add_f32 v50, v6, v46
	v_dual_add_f32 v47, v3, v47 :: v_dual_add_f32 v46, v2, v46
	v_min3_f32 v44, v44, v45, v137
	v_add_f32_e32 v45, v18, v42
	s_delay_alu instid0(VALU_DEP_2) | instskip(SKIP_2) | instid1(VALU_DEP_2)
	v_min3_f32 v177, v46, v47, v44
	v_dual_add_f32 v46, v17, v41 :: v_dual_add_f32 v47, v16, v40
	v_add_f32_e32 v44, v19, v43
	v_min3_f32 v46, v47, v46, v135
	v_add_f32_e32 v47, v8, v40
	s_delay_alu instid0(VALU_DEP_2) | instskip(SKIP_3) | instid1(VALU_DEP_3)
	v_min3_f32 v178, v45, v44, v46
	v_add_f32_e32 v46, v9, v41
	v_dual_add_f32 v44, v11, v43 :: v_dual_add_f32 v45, v10, v42
	v_min3_f32 v55, v56, v55, v116
	v_min3_f32 v46, v47, v46, v138
	v_add_f32_e32 v47, v4, v40
	v_add_f32_e32 v40, v0, v40
	s_delay_alu instid0(VALU_DEP_4) | instskip(NEXT) | instid1(VALU_DEP_4)
	v_min3_f32 v172, v54, v53, v55
	v_min3_f32 v179, v45, v44, v46
	v_add_f32_e32 v46, v5, v41
	v_dual_add_f32 v41, v1, v41 :: v_dual_add_f32 v44, v7, v43
	v_add_f32_e32 v45, v6, v42
	v_dual_add_f32 v43, v3, v43 :: v_dual_add_f32 v42, v2, v42
	s_delay_alu instid0(VALU_DEP_3) | instskip(SKIP_1) | instid1(VALU_DEP_2)
	v_min3_f32 v40, v40, v41, v141
	v_add_f32_e32 v41, v18, v38
	v_min3_f32 v181, v42, v43, v40
	v_dual_add_f32 v42, v17, v37 :: v_dual_add_f32 v43, v16, v36
	v_add_f32_e32 v40, v19, v39
	s_delay_alu instid0(VALU_DEP_2) | instskip(SKIP_1) | instid1(VALU_DEP_2)
	v_min3_f32 v42, v43, v42, v139
	v_add_f32_e32 v43, v8, v36
	v_min3_f32 v182, v41, v40, v42
	v_add_f32_e32 v42, v9, v37
	v_dual_add_f32 v40, v11, v39 :: v_dual_add_f32 v41, v10, v38
	v_min3_f32 v51, v52, v51, v132
	s_delay_alu instid0(VALU_DEP_3) | instskip(SKIP_2) | instid1(VALU_DEP_4)
	v_min3_f32 v42, v43, v42, v142
	v_add_f32_e32 v43, v4, v36
	v_add_f32_e32 v36, v0, v36
	v_min3_f32 v176, v50, v49, v51
	s_delay_alu instid0(VALU_DEP_4) | instskip(SKIP_4) | instid1(VALU_DEP_3)
	v_min3_f32 v81, v41, v40, v42
	v_add_f32_e32 v42, v5, v37
	v_dual_add_f32 v37, v1, v37 :: v_dual_add_f32 v40, v7, v39
	v_add_f32_e32 v41, v6, v38
	v_dual_add_f32 v39, v3, v39 :: v_dual_add_f32 v38, v2, v38
	v_min3_f32 v36, v36, v37, v145
	v_add_f32_e32 v37, v18, v34
	s_delay_alu instid0(VALU_DEP_2) | instskip(SKIP_2) | instid1(VALU_DEP_2)
	v_min3_f32 v84, v38, v39, v36
	v_dual_add_f32 v38, v17, v33 :: v_dual_add_f32 v39, v16, v32
	v_add_f32_e32 v36, v19, v35
	v_min3_f32 v38, v39, v38, v143
	v_add_f32_e32 v39, v8, v32
	s_delay_alu instid0(VALU_DEP_2) | instskip(SKIP_3) | instid1(VALU_DEP_3)
	v_min3_f32 v86, v37, v36, v38
	v_add_f32_e32 v38, v9, v33
	v_dual_add_f32 v36, v11, v35 :: v_dual_add_f32 v37, v10, v34
	v_min3_f32 v46, v47, v46, v136
	v_min3_f32 v38, v39, v38, v147
	v_add_f32_e32 v39, v4, v32
	v_add_f32_e32 v32, v0, v32
	s_delay_alu instid0(VALU_DEP_4) | instskip(NEXT) | instid1(VALU_DEP_4)
	v_min3_f32 v180, v45, v44, v46
	v_min3_f32 v107, v37, v36, v38
	v_add_f32_e32 v38, v5, v33
	v_dual_add_f32 v33, v1, v33 :: v_dual_add_f32 v36, v7, v35
	v_add_f32_e32 v37, v6, v34
	v_dual_add_f32 v35, v3, v35 :: v_dual_add_f32 v34, v2, v34
	s_delay_alu instid0(VALU_DEP_3) | instskip(SKIP_1) | instid1(VALU_DEP_2)
	v_min3_f32 v32, v32, v33, v152
	v_add_f32_e32 v33, v18, v30
	v_min3_f32 v112, v34, v35, v32
	v_dual_add_f32 v34, v17, v29 :: v_dual_add_f32 v35, v16, v28
	v_add_f32_e32 v32, v19, v31
	s_delay_alu instid0(VALU_DEP_2) | instskip(SKIP_1) | instid1(VALU_DEP_2)
	v_min3_f32 v34, v35, v34, v146
	v_add_f32_e32 v35, v8, v28
	v_min3_f32 v113, v33, v32, v34
	v_add_f32_e32 v34, v9, v29
	v_dual_add_f32 v32, v11, v31 :: v_dual_add_f32 v33, v10, v30
	v_min3_f32 v42, v43, v42, v140
	s_delay_alu instid0(VALU_DEP_3) | instskip(SKIP_2) | instid1(VALU_DEP_4)
	v_min3_f32 v34, v35, v34, v150
	v_add_f32_e32 v35, v4, v28
	v_add_f32_e32 v28, v0, v28
	v_min3_f32 v83, v41, v40, v42
	s_delay_alu instid0(VALU_DEP_4) | instskip(SKIP_4) | instid1(VALU_DEP_3)
	v_min3_f32 v116, v33, v32, v34
	v_add_f32_e32 v34, v5, v29
	v_dual_add_f32 v29, v1, v29 :: v_dual_add_f32 v32, v7, v31
	v_add_f32_e32 v33, v6, v30
	v_dual_add_f32 v31, v3, v31 :: v_dual_add_f32 v30, v2, v30
	v_min3_f32 v28, v28, v29, v158
	v_add_f32_e32 v29, v18, v26
	s_delay_alu instid0(VALU_DEP_2) | instskip(SKIP_2) | instid1(VALU_DEP_2)
	v_min3_f32 v130, v30, v31, v28
	v_dual_add_f32 v30, v17, v25 :: v_dual_add_f32 v31, v16, v24
	v_add_f32_e32 v28, v19, v27
	v_min3_f32 v30, v31, v30, v148
	v_add_f32_e32 v31, v8, v24
	s_delay_alu instid0(VALU_DEP_2) | instskip(SKIP_3) | instid1(VALU_DEP_3)
	v_min3_f32 v132, v29, v28, v30
	v_add_f32_e32 v30, v9, v25
	v_dual_add_f32 v28, v11, v27 :: v_dual_add_f32 v29, v10, v26
	v_min3_f32 v38, v39, v38, v144
	v_min3_f32 v30, v31, v30, v154
	v_add_f32_e32 v31, v4, v24
	v_add_f32_e32 v24, v0, v24
	s_delay_alu instid0(VALU_DEP_4) | instskip(NEXT) | instid1(VALU_DEP_4)
	v_min3_f32 v110, v37, v36, v38
	v_min3_f32 v133, v29, v28, v30
	v_add_f32_e32 v30, v5, v25
	v_dual_add_f32 v25, v1, v25 :: v_dual_add_f32 v28, v7, v27
	v_add_f32_e32 v29, v6, v26
	v_dual_add_f32 v27, v3, v27 :: v_dual_add_f32 v26, v2, v26
	s_delay_alu instid0(VALU_DEP_3) | instskip(SKIP_2) | instid1(VALU_DEP_3)
	v_min3_f32 v24, v24, v25, v160
	v_add_f32_e32 v25, v18, v22
	v_add_f32_e32 v18, v18, v14
	v_min3_f32 v135, v26, v27, v24
	v_dual_add_f32 v26, v17, v21 :: v_dual_add_f32 v27, v16, v20
	v_dual_add_f32 v24, v19, v23 :: v_dual_add_f32 v17, v17, v13
	;; [unrolled: 1-line block ×3, first 2 shown]
	s_delay_alu instid0(VALU_DEP_3) | instskip(SKIP_2) | instid1(VALU_DEP_4)
	v_min3_f32 v26, v27, v26, v151
	v_add_f32_e32 v27, v8, v20
	v_add_f32_e32 v8, v8, v12
	v_min3_f32 v16, v16, v17, v155
	s_delay_alu instid0(VALU_DEP_4) | instskip(SKIP_4) | instid1(VALU_DEP_4)
	v_min3_f32 v136, v25, v24, v26
	v_add_f32_e32 v26, v9, v21
	v_dual_add_f32 v24, v11, v23 :: v_dual_add_f32 v25, v10, v22
	v_add_f32_e32 v9, v9, v13
	v_min3_f32 v34, v35, v34, v149
	v_min3_f32 v26, v27, v26, v157
	v_add_f32_e32 v27, v4, v20
	v_add_f32_e32 v20, v0, v20
	;; [unrolled: 1-line block ×4, first 2 shown]
	v_min3_f32 v137, v25, v24, v26
	v_add_f32_e32 v26, v5, v21
	v_add_f32_e32 v21, v1, v21
	;; [unrolled: 1-line block ×3, first 2 shown]
	v_dual_add_f32 v1, v1, v13 :: v_dual_add_f32 v24, v7, v23
	v_add_f32_e32 v25, v6, v22
	v_min3_f32 v26, v27, v26, v156
	v_dual_add_f32 v23, v3, v23 :: v_dual_add_f32 v22, v2, v22
	v_min3_f32 v20, v20, v21, v162
	v_dual_add_f32 v11, v11, v15 :: v_dual_add_f32 v10, v10, v14
	v_min3_f32 v30, v31, v30, v153
	v_min3_f32 v8, v8, v9, v161
	v_dual_add_f32 v7, v7, v15 :: v_dual_add_f32 v6, v6, v14
	v_min3_f32 v4, v4, v5, v159
	v_dual_add_f32 v3, v3, v15 :: v_dual_add_f32 v2, v2, v14
	v_min3_f32 v0, v0, v1, v48
	v_min3_f32 v125, v33, v32, v34
	;; [unrolled: 1-line block ×9, first 2 shown]
	ds_load_b128 v[16:19], v87
	ds_load_b128 v[8:11], v87 offset:512
	ds_load_b128 v[4:7], v87 offset:1024
	;; [unrolled: 1-line block ×3, first 2 shown]
	ds_load_b128 v[76:79], v85
	ds_load_b128 v[72:75], v85 offset:128
	ds_load_b128 v[68:71], v85 offset:256
	;; [unrolled: 1-line block ×15, first 2 shown]
	s_waitcnt vmcnt(0) lgkmcnt(20)
	ds_store_2addr_stride64_b32 v117, v166, v165 offset1:4
	ds_store_2addr_stride64_b32 v118, v164, v163 offset1:4
	s_waitcnt lgkmcnt(0)
	s_barrier
	buffer_gl0_inv
	v_dual_add_f32 v144, v17, v77 :: v_dual_add_f32 v145, v16, v76
	s_delay_alu instid0(VALU_DEP_1) | instskip(SKIP_1) | instid1(VALU_DEP_1)
	v_min3_f32 v143, v145, v144, v143
	v_dual_add_f32 v144, v9, v77 :: v_dual_add_f32 v145, v8, v76
	v_min3_f32 v144, v145, v144, v142
	v_dual_add_f32 v142, v5, v77 :: v_dual_add_f32 v145, v4, v76
	v_dual_add_f32 v77, v1, v77 :: v_dual_add_f32 v76, v0, v76
	s_delay_alu instid0(VALU_DEP_2) | instskip(NEXT) | instid1(VALU_DEP_2)
	v_min3_f32 v145, v145, v142, v141
	v_min3_f32 v146, v76, v77, v140
	v_dual_add_f32 v76, v17, v73 :: v_dual_add_f32 v77, v16, v72
	s_delay_alu instid0(VALU_DEP_1) | instskip(SKIP_1) | instid1(VALU_DEP_1)
	v_min3_f32 v142, v77, v76, v139
	v_dual_add_f32 v76, v9, v73 :: v_dual_add_f32 v77, v8, v72
	v_min3_f32 v141, v77, v76, v138
	v_dual_add_f32 v76, v5, v73 :: v_dual_add_f32 v77, v4, v72
	v_dual_add_f32 v73, v1, v73 :: v_dual_add_f32 v72, v0, v72
	s_delay_alu instid0(VALU_DEP_2) | instskip(NEXT) | instid1(VALU_DEP_2)
	v_min3_f32 v140, v77, v76, v137
	v_min3_f32 v139, v72, v73, v136
	;; [unrolled: 10-line block ×4, first 2 shown]
	v_dual_add_f32 v64, v17, v61 :: v_dual_add_f32 v65, v16, v60
	s_delay_alu instid0(VALU_DEP_1) | instskip(SKIP_1) | instid1(VALU_DEP_1)
	v_min3_f32 v125, v65, v64, v112
	v_dual_add_f32 v64, v9, v61 :: v_dual_add_f32 v65, v8, v60
	v_min3_f32 v116, v65, v64, v110
	v_dual_add_f32 v64, v5, v61 :: v_dual_add_f32 v65, v4, v60
	v_dual_add_f32 v61, v1, v61 :: v_dual_add_f32 v60, v0, v60
	s_delay_alu instid0(VALU_DEP_2) | instskip(SKIP_1) | instid1(VALU_DEP_3)
	v_min3_f32 v113, v65, v64, v107
	v_add_f32_e32 v64, v4, v48
	v_min3_f32 v112, v60, v61, v86
	v_dual_add_f32 v60, v17, v57 :: v_dual_add_f32 v61, v16, v56
	s_delay_alu instid0(VALU_DEP_1) | instskip(SKIP_1) | instid1(VALU_DEP_1)
	v_min3_f32 v110, v61, v60, v84
	v_dual_add_f32 v60, v9, v57 :: v_dual_add_f32 v61, v8, v56
	v_min3_f32 v107, v61, v60, v83
	v_dual_add_f32 v60, v5, v57 :: v_dual_add_f32 v61, v4, v56
	v_dual_add_f32 v57, v1, v57 :: v_dual_add_f32 v56, v0, v56
	s_delay_alu instid0(VALU_DEP_2) | instskip(SKIP_1) | instid1(VALU_DEP_3)
	v_min3_f32 v77, v61, v60, v81
	v_add_f32_e32 v60, v8, v48
	v_min3_f32 v73, v56, v57, v182
	v_dual_add_f32 v56, v17, v53 :: v_dual_add_f32 v57, v16, v52
	s_delay_alu instid0(VALU_DEP_1) | instskip(SKIP_1) | instid1(VALU_DEP_1)
	v_min3_f32 v65, v57, v56, v181
	v_dual_add_f32 v56, v9, v53 :: v_dual_add_f32 v57, v8, v52
	v_min3_f32 v61, v57, v56, v180
	v_dual_add_f32 v56, v5, v53 :: v_dual_add_f32 v57, v4, v52
	v_dual_add_f32 v53, v1, v53 :: v_dual_add_f32 v52, v0, v52
	s_delay_alu instid0(VALU_DEP_2) | instskip(NEXT) | instid1(VALU_DEP_2)
	v_min3_f32 v57, v57, v56, v179
	v_min3_f32 v56, v52, v53, v178
	v_dual_add_f32 v52, v17, v49 :: v_dual_add_f32 v53, v16, v48
	v_add_f32_e32 v48, v0, v48
	s_delay_alu instid0(VALU_DEP_2) | instskip(SKIP_1) | instid1(VALU_DEP_1)
	v_min3_f32 v53, v53, v52, v177
	v_add_f32_e32 v52, v9, v49
	v_min3_f32 v52, v60, v52, v176
	v_add_f32_e32 v60, v5, v49
	v_add_f32_e32 v49, v1, v49
	s_delay_alu instid0(VALU_DEP_2) | instskip(NEXT) | instid1(VALU_DEP_2)
	v_min3_f32 v175, v64, v60, v175
	v_min3_f32 v174, v48, v49, v174
	v_dual_add_f32 v48, v17, v45 :: v_dual_add_f32 v49, v16, v44
	s_delay_alu instid0(VALU_DEP_1) | instskip(SKIP_1) | instid1(VALU_DEP_1)
	v_min3_f32 v173, v49, v48, v173
	v_dual_add_f32 v48, v9, v45 :: v_dual_add_f32 v49, v8, v44
	v_min3_f32 v172, v49, v48, v172
	v_dual_add_f32 v48, v5, v45 :: v_dual_add_f32 v49, v4, v44
	v_dual_add_f32 v45, v1, v45 :: v_dual_add_f32 v44, v0, v44
	s_delay_alu instid0(VALU_DEP_1) | instskip(SKIP_1) | instid1(VALU_DEP_1)
	v_min3_f32 v170, v44, v45, v170
	v_dual_add_f32 v44, v17, v41 :: v_dual_add_f32 v45, v16, v40
	v_min3_f32 v131, v45, v44, v131
	v_dual_add_f32 v44, v9, v41 :: v_dual_add_f32 v45, v8, v40
	s_delay_alu instid0(VALU_DEP_1) | instskip(SKIP_2) | instid1(VALU_DEP_1)
	v_min3_f32 v115, v45, v44, v115
	v_dual_add_f32 v44, v5, v41 :: v_dual_add_f32 v45, v4, v40
	v_dual_add_f32 v41, v1, v41 :: v_dual_add_f32 v40, v0, v40
	v_min3_f32 v111, v40, v41, v111
	v_dual_add_f32 v40, v17, v37 :: v_dual_add_f32 v41, v16, v36
	s_delay_alu instid0(VALU_DEP_1) | instskip(SKIP_1) | instid1(VALU_DEP_1)
	v_min3_f32 v76, v41, v40, v169
	v_dual_add_f32 v40, v9, v37 :: v_dual_add_f32 v41, v8, v36
	v_min3_f32 v72, v41, v40, v168
	v_dual_add_f32 v40, v5, v37 :: v_dual_add_f32 v41, v4, v36
	v_dual_add_f32 v37, v1, v37 :: v_dual_add_f32 v36, v0, v36
	v_min3_f32 v171, v49, v48, v171
	v_add_f32_e32 v48, v4, v20
	s_delay_alu instid0(VALU_DEP_4) | instskip(NEXT) | instid1(VALU_DEP_4)
	v_min3_f32 v69, v41, v40, v167
	v_min3_f32 v68, v36, v37, v106
	v_dual_add_f32 v36, v17, v33 :: v_dual_add_f32 v37, v16, v32
	s_delay_alu instid0(VALU_DEP_1) | instskip(SKIP_1) | instid1(VALU_DEP_1)
	v_min3_f32 v64, v37, v36, v109
	v_dual_add_f32 v36, v9, v33 :: v_dual_add_f32 v37, v8, v32
	v_min3_f32 v60, v37, v36, v103
	v_dual_add_f32 v36, v5, v33 :: v_dual_add_f32 v37, v4, v32
	v_dual_add_f32 v33, v1, v33 :: v_dual_add_f32 v32, v0, v32
	v_min3_f32 v114, v45, v44, v114
	s_delay_alu instid0(VALU_DEP_3) | instskip(NEXT) | instid1(VALU_DEP_3)
	v_min3_f32 v49, v37, v36, v105
	v_min3_f32 v45, v32, v33, v102
	v_dual_add_f32 v32, v17, v29 :: v_dual_add_f32 v33, v16, v28
	s_delay_alu instid0(VALU_DEP_1) | instskip(SKIP_1) | instid1(VALU_DEP_1)
	v_min3_f32 v44, v33, v32, v104
	v_dual_add_f32 v32, v9, v29 :: v_dual_add_f32 v33, v8, v28
	v_min3_f32 v41, v33, v32, v99
	v_dual_add_f32 v32, v5, v29 :: v_dual_add_f32 v33, v4, v28
	v_dual_add_f32 v29, v1, v29 :: v_dual_add_f32 v28, v0, v28
	s_delay_alu instid0(VALU_DEP_2) | instskip(NEXT) | instid1(VALU_DEP_2)
	v_min3_f32 v40, v33, v32, v101
	v_min3_f32 v37, v28, v29, v98
	v_dual_add_f32 v28, v17, v25 :: v_dual_add_f32 v29, v16, v24
	s_delay_alu instid0(VALU_DEP_1) | instskip(SKIP_1) | instid1(VALU_DEP_1)
	v_min3_f32 v36, v29, v28, v100
	v_dual_add_f32 v28, v9, v25 :: v_dual_add_f32 v29, v8, v24
	v_min3_f32 v33, v29, v28, v95
	v_dual_add_f32 v28, v5, v25 :: v_dual_add_f32 v29, v4, v24
	v_dual_add_f32 v25, v1, v25 :: v_dual_add_f32 v24, v0, v24
	v_add_f32_e32 v4, v4, v12
	s_delay_alu instid0(VALU_DEP_3) | instskip(NEXT) | instid1(VALU_DEP_3)
	v_min3_f32 v32, v29, v28, v97
	v_min3_f32 v29, v24, v25, v94
	v_dual_add_f32 v24, v17, v21 :: v_dual_add_f32 v25, v16, v20
	v_dual_add_f32 v17, v17, v13 :: v_dual_add_f32 v16, v16, v12
	s_delay_alu instid0(VALU_DEP_2)
	v_min3_f32 v28, v25, v24, v96
	v_dual_add_f32 v24, v9, v21 :: v_dual_add_f32 v25, v8, v20
	v_add_f32_e32 v20, v0, v20
	v_add_f32_e32 v0, v0, v12
	v_min3_f32 v16, v16, v17, v91
	v_add_f32_e32 v9, v9, v13
	v_min3_f32 v25, v25, v24, v92
	v_add_f32_e32 v24, v5, v21
	v_add_f32_e32 v21, v1, v21
	;; [unrolled: 1-line block ×3, first 2 shown]
	v_dual_add_f32 v1, v1, v13 :: v_dual_add_f32 v8, v8, v12
	s_delay_alu instid0(VALU_DEP_4) | instskip(NEXT) | instid1(VALU_DEP_4)
	v_min3_f32 v24, v48, v24, v93
	v_min3_f32 v20, v20, v21, v90
	s_delay_alu instid0(VALU_DEP_4) | instskip(NEXT) | instid1(VALU_DEP_4)
	v_min3_f32 v4, v4, v5, v89
	v_min3_f32 v0, v0, v1, v108
	v_add_f32_e32 v1, v19, v79
	v_add_f32_e32 v5, v18, v78
	v_min3_f32 v8, v8, v9, v88
	s_delay_alu instid0(VALU_DEP_2) | instskip(SKIP_2) | instid1(VALU_DEP_1)
	v_min3_f32 v48, v5, v1, v143
	v_add_f32_e32 v1, v11, v79
	v_add_f32_e32 v5, v10, v78
	v_min3_f32 v159, v5, v1, v144
	v_add_f32_e32 v1, v7, v79
	v_add_f32_e32 v5, v6, v78
	s_delay_alu instid0(VALU_DEP_1) | instskip(SKIP_2) | instid1(VALU_DEP_1)
	v_min3_f32 v161, v5, v1, v145
	v_add_f32_e32 v1, v3, v79
	v_add_f32_e32 v5, v2, v78
	v_min3_f32 v155, v5, v1, v146
	v_add_f32_e32 v1, v19, v75
	v_add_f32_e32 v5, v18, v74
	s_delay_alu instid0(VALU_DEP_1) | instskip(SKIP_2) | instid1(VALU_DEP_1)
	v_min3_f32 v162, v5, v1, v142
	v_add_f32_e32 v1, v11, v75
	v_add_f32_e32 v5, v10, v74
	v_min3_f32 v156, v5, v1, v141
	v_add_f32_e32 v1, v7, v75
	v_add_f32_e32 v5, v6, v74
	s_delay_alu instid0(VALU_DEP_1) | instskip(SKIP_2) | instid1(VALU_DEP_1)
	v_min3_f32 v157, v5, v1, v140
	v_add_f32_e32 v1, v3, v75
	v_add_f32_e32 v5, v2, v74
	v_min3_f32 v151, v5, v1, v139
	v_add_f32_e32 v1, v19, v71
	v_add_f32_e32 v5, v18, v70
	s_delay_alu instid0(VALU_DEP_1) | instskip(SKIP_2) | instid1(VALU_DEP_1)
	v_min3_f32 v160, v5, v1, v138
	v_add_f32_e32 v1, v11, v71
	v_add_f32_e32 v5, v10, v70
	v_min3_f32 v153, v5, v1, v137
	v_add_f32_e32 v1, v7, v71
	v_add_f32_e32 v5, v6, v70
	s_delay_alu instid0(VALU_DEP_1) | instskip(SKIP_2) | instid1(VALU_DEP_1)
	v_min3_f32 v154, v5, v1, v136
	v_add_f32_e32 v1, v3, v71
	v_add_f32_e32 v5, v2, v70
	v_min3_f32 v148, v5, v1, v135
	v_add_f32_e32 v1, v19, v67
	v_add_f32_e32 v5, v18, v66
	s_delay_alu instid0(VALU_DEP_1) | instskip(SKIP_2) | instid1(VALU_DEP_1)
	v_min3_f32 v158, v5, v1, v134
	v_add_f32_e32 v1, v11, v67
	v_add_f32_e32 v5, v10, v66
	v_min3_f32 v149, v5, v1, v133
	v_add_f32_e32 v1, v7, v67
	v_add_f32_e32 v5, v6, v66
	s_delay_alu instid0(VALU_DEP_1) | instskip(SKIP_2) | instid1(VALU_DEP_1)
	v_min3_f32 v150, v5, v1, v132
	v_add_f32_e32 v1, v3, v67
	v_add_f32_e32 v5, v2, v66
	v_min3_f32 v146, v5, v1, v130
	v_add_f32_e32 v1, v19, v63
	v_add_f32_e32 v5, v18, v62
	s_delay_alu instid0(VALU_DEP_1) | instskip(SKIP_2) | instid1(VALU_DEP_1)
	v_min3_f32 v152, v5, v1, v125
	v_add_f32_e32 v1, v11, v63
	v_add_f32_e32 v5, v10, v62
	v_min3_f32 v144, v5, v1, v116
	v_add_f32_e32 v1, v7, v63
	v_add_f32_e32 v5, v6, v62
	s_delay_alu instid0(VALU_DEP_1) | instskip(SKIP_2) | instid1(VALU_DEP_1)
	v_min3_f32 v147, v5, v1, v113
	v_add_f32_e32 v1, v3, v63
	v_add_f32_e32 v5, v2, v62
	v_min3_f32 v143, v5, v1, v112
	v_add_f32_e32 v1, v19, v59
	v_add_f32_e32 v5, v18, v58
	s_delay_alu instid0(VALU_DEP_1) | instskip(SKIP_2) | instid1(VALU_DEP_1)
	v_min3_f32 v145, v5, v1, v110
	v_add_f32_e32 v1, v11, v59
	v_add_f32_e32 v5, v10, v58
	v_min3_f32 v140, v5, v1, v107
	v_add_f32_e32 v1, v7, v59
	v_add_f32_e32 v5, v6, v58
	s_delay_alu instid0(VALU_DEP_1) | instskip(SKIP_2) | instid1(VALU_DEP_1)
	v_min3_f32 v142, v5, v1, v77
	v_add_f32_e32 v1, v3, v59
	v_add_f32_e32 v5, v2, v58
	v_min3_f32 v139, v5, v1, v73
	v_add_f32_e32 v1, v19, v55
	v_add_f32_e32 v5, v18, v54
	s_delay_alu instid0(VALU_DEP_1) | instskip(SKIP_2) | instid1(VALU_DEP_1)
	v_min3_f32 v141, v5, v1, v65
	v_add_f32_e32 v1, v11, v55
	v_add_f32_e32 v5, v10, v54
	v_min3_f32 v136, v5, v1, v61
	v_add_f32_e32 v1, v7, v55
	v_add_f32_e32 v5, v6, v54
	s_delay_alu instid0(VALU_DEP_1) | instskip(SKIP_2) | instid1(VALU_DEP_1)
	v_min3_f32 v138, v5, v1, v57
	v_add_f32_e32 v1, v3, v55
	v_add_f32_e32 v5, v2, v54
	v_min3_f32 v135, v5, v1, v56
	v_add_f32_e32 v1, v19, v51
	v_add_f32_e32 v5, v18, v50
	s_delay_alu instid0(VALU_DEP_1) | instskip(SKIP_2) | instid1(VALU_DEP_1)
	v_min3_f32 v137, v5, v1, v53
	v_add_f32_e32 v1, v11, v51
	v_add_f32_e32 v5, v10, v50
	v_min3_f32 v132, v5, v1, v52
	v_add_f32_e32 v1, v7, v51
	v_add_f32_e32 v5, v6, v50
	s_delay_alu instid0(VALU_DEP_1) | instskip(SKIP_2) | instid1(VALU_DEP_1)
	v_min3_f32 v134, v5, v1, v175
	v_add_f32_e32 v1, v3, v51
	v_add_f32_e32 v5, v2, v50
	v_min3_f32 v130, v5, v1, v174
	v_add_f32_e32 v1, v19, v47
	v_add_f32_e32 v5, v18, v46
	s_delay_alu instid0(VALU_DEP_1) | instskip(SKIP_2) | instid1(VALU_DEP_1)
	v_min3_f32 v133, v5, v1, v173
	v_add_f32_e32 v1, v11, v47
	v_add_f32_e32 v5, v10, v46
	v_min3_f32 v116, v5, v1, v172
	v_add_f32_e32 v1, v7, v47
	v_add_f32_e32 v5, v6, v46
	s_delay_alu instid0(VALU_DEP_1) | instskip(SKIP_2) | instid1(VALU_DEP_1)
	v_min3_f32 v125, v5, v1, v171
	v_add_f32_e32 v1, v3, v47
	v_add_f32_e32 v5, v2, v46
	v_min3_f32 v112, v5, v1, v170
	v_add_f32_e32 v1, v19, v43
	v_add_f32_e32 v5, v18, v42
	s_delay_alu instid0(VALU_DEP_1) | instskip(SKIP_2) | instid1(VALU_DEP_1)
	v_min3_f32 v131, v5, v1, v131
	v_add_f32_e32 v1, v11, v43
	v_add_f32_e32 v5, v10, v42
	v_min3_f32 v113, v5, v1, v115
	v_add_f32_e32 v1, v7, v43
	v_add_f32_e32 v5, v6, v42
	s_delay_alu instid0(VALU_DEP_1) | instskip(SKIP_2) | instid1(VALU_DEP_1)
	v_min3_f32 v115, v5, v1, v114
	v_add_f32_e32 v1, v3, v43
	v_add_f32_e32 v5, v2, v42
	v_min3_f32 v111, v5, v1, v111
	v_add_f32_e32 v1, v19, v39
	v_add_f32_e32 v5, v18, v38
	s_delay_alu instid0(VALU_DEP_1) | instskip(SKIP_2) | instid1(VALU_DEP_1)
	v_min3_f32 v114, v5, v1, v76
	v_add_f32_e32 v1, v11, v39
	v_add_f32_e32 v5, v10, v38
	v_min3_f32 v107, v5, v1, v72
	v_add_f32_e32 v1, v7, v39
	v_add_f32_e32 v5, v6, v38
	s_delay_alu instid0(VALU_DEP_1) | instskip(SKIP_2) | instid1(VALU_DEP_1)
	v_min3_f32 v110, v5, v1, v69
	v_add_f32_e32 v1, v3, v39
	v_add_f32_e32 v5, v2, v38
	v_min3_f32 v106, v5, v1, v68
	v_add_f32_e32 v1, v19, v35
	v_add_f32_e32 v5, v18, v34
	s_delay_alu instid0(VALU_DEP_1) | instskip(SKIP_2) | instid1(VALU_DEP_1)
	v_min3_f32 v109, v5, v1, v64
	v_add_f32_e32 v1, v11, v35
	v_add_f32_e32 v5, v10, v34
	v_min3_f32 v103, v5, v1, v60
	v_add_f32_e32 v1, v7, v35
	v_add_f32_e32 v5, v6, v34
	s_delay_alu instid0(VALU_DEP_1) | instskip(SKIP_2) | instid1(VALU_DEP_1)
	v_min3_f32 v105, v5, v1, v49
	v_add_f32_e32 v1, v3, v35
	v_add_f32_e32 v5, v2, v34
	v_min3_f32 v102, v5, v1, v45
	v_add_f32_e32 v1, v19, v31
	v_add_f32_e32 v5, v18, v30
	s_delay_alu instid0(VALU_DEP_1) | instskip(SKIP_2) | instid1(VALU_DEP_1)
	v_min3_f32 v104, v5, v1, v44
	v_add_f32_e32 v1, v11, v31
	v_add_f32_e32 v5, v10, v30
	v_min3_f32 v99, v5, v1, v41
	v_add_f32_e32 v1, v7, v31
	v_add_f32_e32 v5, v6, v30
	s_delay_alu instid0(VALU_DEP_1) | instskip(SKIP_2) | instid1(VALU_DEP_1)
	v_min3_f32 v101, v5, v1, v40
	v_add_f32_e32 v1, v3, v31
	v_add_f32_e32 v5, v2, v30
	v_min3_f32 v98, v5, v1, v37
	v_add_f32_e32 v1, v19, v27
	v_add_f32_e32 v5, v18, v26
	s_delay_alu instid0(VALU_DEP_1) | instskip(SKIP_2) | instid1(VALU_DEP_1)
	v_min3_f32 v100, v5, v1, v36
	v_add_f32_e32 v1, v11, v27
	v_add_f32_e32 v5, v10, v26
	v_min3_f32 v95, v5, v1, v33
	v_add_f32_e32 v1, v7, v27
	v_add_f32_e32 v5, v6, v26
	s_delay_alu instid0(VALU_DEP_1) | instskip(SKIP_2) | instid1(VALU_DEP_1)
	v_min3_f32 v97, v5, v1, v32
	v_add_f32_e32 v1, v3, v27
	v_add_f32_e32 v5, v2, v26
	v_min3_f32 v94, v5, v1, v29
	v_add_f32_e32 v1, v19, v23
	v_add_f32_e32 v5, v18, v22
	s_delay_alu instid0(VALU_DEP_1) | instskip(SKIP_2) | instid1(VALU_DEP_1)
	v_min3_f32 v96, v5, v1, v28
	v_add_f32_e32 v1, v11, v23
	v_add_f32_e32 v5, v10, v22
	v_min3_f32 v92, v5, v1, v25
	v_add_f32_e32 v1, v7, v23
	v_add_f32_e32 v5, v6, v22
	s_delay_alu instid0(VALU_DEP_1) | instskip(SKIP_3) | instid1(VALU_DEP_2)
	v_min3_f32 v93, v5, v1, v24
	v_add_f32_e32 v1, v3, v23
	v_add_f32_e32 v5, v2, v22
	;; [unrolled: 1-line block ×3, first 2 shown]
	v_min3_f32 v90, v5, v1, v20
	v_add_f32_e32 v1, v19, v15
	v_add_f32_e32 v5, v18, v14
	s_delay_alu instid0(VALU_DEP_1) | instskip(SKIP_2) | instid1(VALU_DEP_1)
	v_min3_f32 v91, v5, v1, v16
	v_add_f32_e32 v1, v11, v15
	v_add_f32_e32 v5, v10, v14
	v_min3_f32 v88, v5, v1, v8
	v_add_f32_e32 v1, v7, v15
	v_add_f32_e32 v5, v6, v14
	s_delay_alu instid0(VALU_DEP_1) | instskip(SKIP_1) | instid1(VALU_DEP_1)
	v_min3_f32 v89, v5, v1, v4
	v_add_f32_e32 v1, v3, v15
	v_min3_f32 v108, v2, v1, v0
	s_cbranch_scc0 .LBB10_11
	s_branch .LBB10_13
.LBB10_12:
	scratch_load_b32 v183, off, off         ; 4-byte Folded Reload
	v_mov_b32_e32 v184, v75
.LBB10_13:
	ds_load_b128 v[16:19], v87 offset:2048
	ds_load_b128 v[76:79], v186 offset:6144
	s_clause 0x2
	s_load_b32 s10, s[0:1], 0x68
	s_load_b32 s8, s[0:1], 0x50
	s_load_b64 s[0:1], s[0:1], 0x70
	s_waitcnt vmcnt(0)
	v_add_nc_u32_e32 v117, s9, v183
	s_waitcnt lgkmcnt(0)
	v_dual_add_f32 v7, v18, v78 :: v_dual_add_nc_u32 v84, s14, v184
	v_add_f32_e32 v4, v17, v77
	s_delay_alu instid0(VALU_DEP_3) | instskip(SKIP_4) | instid1(VALU_DEP_4)
	v_mad_i64_i32 v[0:1], null, v117, s10, 0
	v_mad_i64_i32 v[2:3], null, v117, s8, 0
	v_dual_add_f32 v5, v16, v76 :: v_dual_add_f32 v6, v19, v79
	s_lshl_b64 s[0:1], s[0:1], 2
	v_ashrrev_i32_e32 v85, 31, v84
	v_lshlrev_b64 v[0:1], 2, v[0:1]
	s_delay_alu instid0(VALU_DEP_3)
	v_min3_f32 v4, v5, v4, v48
	v_lshlrev_b64 v[2:3], 2, v[2:3]
	s_add_u32 s0, s6, s0
	v_add_nc_u32_e32 v82, 32, v84
	s_addc_u32 s1, s7, s1
	v_min3_f32 v4, v7, v6, v4
	v_add_co_u32 v118, vcc_lo, s0, v0
	v_add_co_ci_u32_e32 v119, vcc_lo, s1, v1, vcc_lo
	v_add_co_u32 v120, vcc_lo, s4, v2
	v_lshlrev_b64 v[80:81], 2, v[84:85]
	v_ashrrev_i32_e32 v83, 31, v82
	v_add_co_ci_u32_e32 v121, vcc_lo, s5, v3, vcc_lo
	v_max_f32_e32 v85, v4, v4
	s_mov_b32 vcc_lo, s2
	s_cbranch_vccz .LBB10_15
; %bb.14:
	v_add_co_u32 v0, vcc_lo, v118, v80
	s_delay_alu instid0(VALU_DEP_2)
	v_min_f32_e32 v2, 0, v85
	v_add_co_ci_u32_e32 v1, vcc_lo, v119, v81, vcc_lo
	s_mov_b32 s6, 0
	global_store_b32 v[0:1], v2, off
	s_branch .LBB10_16
.LBB10_15:
	s_mov_b32 s6, -1
.LBB10_16:
	ds_load_b128 v[12:15], v87 offset:2560
	ds_load_b128 v[8:11], v87 offset:3072
	;; [unrolled: 1-line block ×18, first 2 shown]
	v_lshlrev_b64 v[82:83], 2, v[82:83]
	s_and_not1_b32 vcc_lo, exec_lo, s6
	s_cbranch_vccnz .LBB10_18
; %bb.17:
	v_add_co_u32 v86, vcc_lo, v120, v80
	v_add_co_ci_u32_e32 v87, vcc_lo, v121, v81, vcc_lo
	flat_load_b32 v86, v[86:87]
	s_waitcnt vmcnt(0) lgkmcnt(0)
	v_mul_f32_e32 v122, s3, v86
	v_add_co_u32 v86, vcc_lo, v118, v80
	v_add_co_ci_u32_e32 v87, vcc_lo, v119, v81, vcc_lo
	s_delay_alu instid0(VALU_DEP_3)
	v_min_f32_e32 v85, v122, v85
	v_add_co_u32 v122, vcc_lo, v120, v82
	v_add_co_ci_u32_e32 v123, vcc_lo, v121, v83, vcc_lo
	global_store_b32 v[86:87], v85, off
	flat_load_b32 v85, v[122:123]
	s_waitcnt vmcnt(0) lgkmcnt(0)
	v_mul_f32_e32 v85, s3, v85
	s_branch .LBB10_19
.LBB10_18:
	v_mov_b32_e32 v85, s6
.LBB10_19:
	s_waitcnt lgkmcnt(16)
	v_dual_add_f32 v86, v9, v77 :: v_dual_add_f32 v87, v8, v76
	v_dual_add_f32 v122, v13, v77 :: v_dual_add_f32 v123, v12, v76
	v_add_f32_e32 v124, v15, v79
	v_dual_add_f32 v126, v14, v78 :: v_dual_add_f32 v127, v11, v79
	s_delay_alu instid0(VALU_DEP_4)
	v_min3_f32 v87, v87, v86, v161
	v_add_f32_e32 v128, v10, v78
	v_add_nc_u32_e32 v86, 64, v84
	v_min3_f32 v122, v123, v122, v159
	v_min_f32_e32 v123, v126, v124
	v_add_nc_u32_e32 v84, 0x60, v84
	v_min3_f32 v126, v128, v127, v87
	v_ashrrev_i32_e32 v87, 31, v86
	s_delay_alu instid0(VALU_DEP_4) | instskip(SKIP_1) | instid1(VALU_DEP_3)
	v_min3_f32 v127, v85, v123, v122
	v_add_co_u32 v123, vcc_lo, v118, v82
	v_lshlrev_b64 v[86:87], 2, v[86:87]
	v_add_co_ci_u32_e32 v124, vcc_lo, v119, v83, vcc_lo
	v_ashrrev_i32_e32 v85, 31, v84
	v_max_f32_e32 v122, v126, v126
	s_mov_b32 vcc_lo, s2
	global_store_b32 v[123:124], v127, off
	s_cbranch_vccz .LBB10_22
; %bb.20:
	v_add_co_u32 v123, vcc_lo, v118, v86
	v_min_f32_e32 v126, 0, v122
	v_add_co_ci_u32_e32 v124, vcc_lo, v119, v87, vcc_lo
	s_mov_b32 s6, 0
	global_store_b32 v[123:124], v126, off
	v_lshlrev_b64 v[84:85], 2, v[84:85]
	s_cbranch_execz .LBB10_23
; %bb.21:
	v_mov_b32_e32 v120, s6
	s_branch .LBB10_24
.LBB10_22:
	s_mov_b32 s6, -1
	v_lshlrev_b64 v[84:85], 2, v[84:85]
.LBB10_23:
	v_add_co_u32 v123, vcc_lo, v120, v86
	v_add_co_ci_u32_e32 v124, vcc_lo, v121, v87, vcc_lo
	flat_load_b32 v123, v[123:124]
	s_waitcnt vmcnt(0) lgkmcnt(0)
	v_mul_f32_e32 v126, s3, v123
	v_add_co_u32 v123, vcc_lo, v118, v86
	v_add_co_ci_u32_e32 v124, vcc_lo, v119, v87, vcc_lo
	v_add_co_u32 v120, vcc_lo, v120, v84
	s_delay_alu instid0(VALU_DEP_4)
	v_min_f32_e32 v122, v126, v122
	v_add_co_ci_u32_e32 v121, vcc_lo, v121, v85, vcc_lo
	global_store_b32 v[123:124], v122, off
	flat_load_b32 v120, v[120:121]
	s_waitcnt vmcnt(0) lgkmcnt(0)
	v_mul_f32_e32 v120, s3, v120
.LBB10_24:
	s_waitcnt lgkmcnt(14)
	v_dual_add_f32 v121, v17, v73 :: v_dual_add_f32 v122, v16, v72
	v_dual_add_f32 v77, v1, v77 :: v_dual_add_f32 v76, v0, v76
	;; [unrolled: 1-line block ×3, first 2 shown]
	s_delay_alu instid0(VALU_DEP_3) | instskip(SKIP_1) | instid1(VALU_DEP_4)
	v_min3_f32 v121, v122, v121, v162
	v_add_nc_u32_e32 v122, 8, v117
	v_min3_f32 v123, v76, v77, v155
	v_add_f32_e32 v124, v19, v75
	v_min_f32_e32 v127, v78, v79
	v_add_f32_e32 v126, v18, v74
	v_mad_i64_i32 v[76:77], null, v122, s10, 0
	v_mad_i64_i32 v[78:79], null, v122, s8, 0
	s_delay_alu instid0(VALU_DEP_4)
	v_min3_f32 v123, v120, v127, v123
	v_add_co_u32 v120, vcc_lo, v118, v84
	v_min3_f32 v122, v126, v124, v121
	v_lshlrev_b64 v[76:77], 2, v[76:77]
	v_add_co_ci_u32_e32 v121, vcc_lo, v119, v85, vcc_lo
	v_lshlrev_b64 v[78:79], 2, v[78:79]
	s_delay_alu instid0(VALU_DEP_4) | instskip(NEXT) | instid1(VALU_DEP_4)
	v_max_f32_e32 v118, v122, v122
	v_add_co_u32 v76, vcc_lo, s0, v76
	v_add_co_ci_u32_e32 v77, vcc_lo, s1, v77, vcc_lo
	s_delay_alu instid0(VALU_DEP_4)
	v_add_co_u32 v78, vcc_lo, s4, v78
	v_add_co_ci_u32_e32 v79, vcc_lo, s5, v79, vcc_lo
	s_mov_b32 vcc_lo, s2
	global_store_b32 v[120:121], v123, off
	s_cbranch_vccz .LBB10_27
; %bb.25:
	v_add_co_u32 v119, vcc_lo, v76, v80
	v_min_f32_e32 v121, 0, v118
	v_add_co_ci_u32_e32 v120, vcc_lo, v77, v81, vcc_lo
	s_mov_b32 s6, 0
	global_store_b32 v[119:120], v121, off
	s_cbranch_execz .LBB10_28
; %bb.26:
	v_mov_b32_e32 v118, s6
	s_branch .LBB10_29
.LBB10_27:
	s_mov_b32 s6, -1
.LBB10_28:
	v_add_co_u32 v119, vcc_lo, v78, v80
	v_add_co_ci_u32_e32 v120, vcc_lo, v79, v81, vcc_lo
	flat_load_b32 v119, v[119:120]
	s_waitcnt vmcnt(0) lgkmcnt(0)
	v_mul_f32_e32 v121, s3, v119
	v_add_co_u32 v119, vcc_lo, v76, v80
	v_add_co_ci_u32_e32 v120, vcc_lo, v77, v81, vcc_lo
	s_delay_alu instid0(VALU_DEP_3)
	v_min_f32_e32 v118, v121, v118
	v_add_co_u32 v121, vcc_lo, v78, v82
	v_add_co_ci_u32_e32 v122, vcc_lo, v79, v83, vcc_lo
	global_store_b32 v[119:120], v118, off
	flat_load_b32 v118, v[121:122]
	s_waitcnt vmcnt(0) lgkmcnt(0)
	v_mul_f32_e32 v118, s3, v118
.LBB10_29:
	v_dual_add_f32 v119, v13, v73 :: v_dual_add_f32 v120, v12, v72
	v_dual_add_f32 v121, v9, v73 :: v_dual_add_f32 v122, v8, v72
	;; [unrolled: 1-line block ×3, first 2 shown]
	s_delay_alu instid0(VALU_DEP_3) | instskip(NEXT) | instid1(VALU_DEP_3)
	v_min3_f32 v119, v120, v119, v156
	v_min3_f32 v120, v122, v121, v157
	v_dual_add_f32 v121, v11, v75 :: v_dual_add_f32 v122, v10, v74
	s_delay_alu instid0(VALU_DEP_1) | instskip(SKIP_1) | instid1(VALU_DEP_1)
	v_min3_f32 v121, v122, v121, v120
	v_min_f32_e32 v123, v124, v123
	v_min3_f32 v122, v118, v123, v119
	s_delay_alu instid0(VALU_DEP_3)
	v_max_f32_e32 v118, v121, v121
	v_add_co_u32 v119, vcc_lo, v76, v82
	v_add_co_ci_u32_e32 v120, vcc_lo, v77, v83, vcc_lo
	s_mov_b32 vcc_lo, s2
	global_store_b32 v[119:120], v122, off
	s_cbranch_vccz .LBB10_32
; %bb.30:
	v_add_co_u32 v119, vcc_lo, v76, v86
	v_min_f32_e32 v121, 0, v118
	v_add_co_ci_u32_e32 v120, vcc_lo, v77, v87, vcc_lo
	s_mov_b32 s6, 0
	global_store_b32 v[119:120], v121, off
	s_cbranch_execz .LBB10_33
; %bb.31:
	v_mov_b32_e32 v78, s6
	s_branch .LBB10_34
.LBB10_32:
	s_mov_b32 s6, -1
.LBB10_33:
	v_add_co_u32 v119, vcc_lo, v78, v86
	v_add_co_ci_u32_e32 v120, vcc_lo, v79, v87, vcc_lo
	flat_load_b32 v119, v[119:120]
	s_waitcnt vmcnt(0) lgkmcnt(0)
	v_mul_f32_e32 v121, s3, v119
	v_add_co_u32 v119, vcc_lo, v76, v86
	v_add_co_ci_u32_e32 v120, vcc_lo, v77, v87, vcc_lo
	v_add_co_u32 v78, vcc_lo, v78, v84
	s_delay_alu instid0(VALU_DEP_4)
	v_min_f32_e32 v118, v121, v118
	v_add_co_ci_u32_e32 v79, vcc_lo, v79, v85, vcc_lo
	global_store_b32 v[119:120], v118, off
	flat_load_b32 v78, v[78:79]
	s_waitcnt vmcnt(0) lgkmcnt(0)
	v_mul_f32_e32 v78, s3, v78
.LBB10_34:
	s_waitcnt lgkmcnt(13)
	v_dual_add_f32 v79, v17, v69 :: v_dual_add_f32 v118, v16, v68
	v_dual_add_f32 v73, v1, v73 :: v_dual_add_f32 v72, v0, v72
	;; [unrolled: 1-line block ×3, first 2 shown]
	s_delay_alu instid0(VALU_DEP_3) | instskip(SKIP_1) | instid1(VALU_DEP_4)
	v_min3_f32 v79, v118, v79, v160
	v_add_nc_u32_e32 v118, 16, v117
	v_min3_f32 v119, v72, v73, v151
	v_dual_add_f32 v120, v19, v71 :: v_dual_add_f32 v121, v18, v70
	v_min_f32_e32 v122, v74, v75
	s_delay_alu instid0(VALU_DEP_4) | instskip(SKIP_1) | instid1(VALU_DEP_3)
	v_mad_i64_i32 v[72:73], null, v118, s10, 0
	v_mad_i64_i32 v[74:75], null, v118, s8, 0
	v_min3_f32 v119, v78, v122, v119
	v_add_co_u32 v78, vcc_lo, v76, v84
	v_min3_f32 v118, v121, v120, v79
	v_lshlrev_b64 v[72:73], 2, v[72:73]
	v_add_co_ci_u32_e32 v79, vcc_lo, v77, v85, vcc_lo
	v_lshlrev_b64 v[74:75], 2, v[74:75]
	s_delay_alu instid0(VALU_DEP_4) | instskip(NEXT) | instid1(VALU_DEP_4)
	v_max_f32_e32 v76, v118, v118
	v_add_co_u32 v72, vcc_lo, s0, v72
	v_add_co_ci_u32_e32 v73, vcc_lo, s1, v73, vcc_lo
	s_delay_alu instid0(VALU_DEP_4)
	v_add_co_u32 v74, vcc_lo, s4, v74
	v_add_co_ci_u32_e32 v75, vcc_lo, s5, v75, vcc_lo
	s_mov_b32 vcc_lo, s2
	global_store_b32 v[78:79], v119, off
	s_cbranch_vccz .LBB10_37
; %bb.35:
	v_add_co_u32 v77, vcc_lo, v72, v80
	v_min_f32_e32 v79, 0, v76
	v_add_co_ci_u32_e32 v78, vcc_lo, v73, v81, vcc_lo
	s_mov_b32 s6, 0
	global_store_b32 v[77:78], v79, off
	s_cbranch_execz .LBB10_38
; %bb.36:
	v_mov_b32_e32 v76, s6
	s_branch .LBB10_39
.LBB10_37:
	s_mov_b32 s6, -1
.LBB10_38:
	v_add_co_u32 v77, vcc_lo, v74, v80
	v_add_co_ci_u32_e32 v78, vcc_lo, v75, v81, vcc_lo
	flat_load_b32 v77, v[77:78]
	s_waitcnt vmcnt(0) lgkmcnt(0)
	v_mul_f32_e32 v79, s3, v77
	v_add_co_u32 v77, vcc_lo, v72, v80
	v_add_co_ci_u32_e32 v78, vcc_lo, v73, v81, vcc_lo
	v_add_co_u32 v118, vcc_lo, v74, v82
	s_delay_alu instid0(VALU_DEP_4)
	v_min_f32_e32 v76, v79, v76
	v_add_co_ci_u32_e32 v119, vcc_lo, v75, v83, vcc_lo
	global_store_b32 v[77:78], v76, off
	flat_load_b32 v76, v[118:119]
	s_waitcnt vmcnt(0) lgkmcnt(0)
	v_mul_f32_e32 v76, s3, v76
.LBB10_39:
	v_dual_add_f32 v77, v13, v69 :: v_dual_add_f32 v78, v12, v68
	v_dual_add_f32 v79, v9, v69 :: v_dual_add_f32 v118, v8, v68
	;; [unrolled: 1-line block ×3, first 2 shown]
	s_delay_alu instid0(VALU_DEP_3) | instskip(NEXT) | instid1(VALU_DEP_3)
	v_min3_f32 v77, v78, v77, v153
	v_min3_f32 v78, v118, v79, v154
	v_dual_add_f32 v79, v11, v71 :: v_dual_add_f32 v118, v10, v70
	s_delay_alu instid0(VALU_DEP_4) | instskip(NEXT) | instid1(VALU_DEP_2)
	v_min_f32_e32 v119, v120, v119
	v_min3_f32 v79, v118, v79, v78
	s_delay_alu instid0(VALU_DEP_2) | instskip(SKIP_2) | instid1(VALU_DEP_4)
	v_min3_f32 v118, v76, v119, v77
	v_add_co_u32 v77, vcc_lo, v72, v82
	v_add_co_ci_u32_e32 v78, vcc_lo, v73, v83, vcc_lo
	v_max_f32_e32 v76, v79, v79
	s_mov_b32 vcc_lo, s2
	global_store_b32 v[77:78], v118, off
	s_cbranch_vccz .LBB10_42
; %bb.40:
	v_add_co_u32 v77, vcc_lo, v72, v86
	v_min_f32_e32 v79, 0, v76
	v_add_co_ci_u32_e32 v78, vcc_lo, v73, v87, vcc_lo
	s_mov_b32 s6, 0
	global_store_b32 v[77:78], v79, off
	s_cbranch_execz .LBB10_43
; %bb.41:
	v_mov_b32_e32 v74, s6
	s_branch .LBB10_44
.LBB10_42:
	s_mov_b32 s6, -1
.LBB10_43:
	v_add_co_u32 v77, vcc_lo, v74, v86
	v_add_co_ci_u32_e32 v78, vcc_lo, v75, v87, vcc_lo
	flat_load_b32 v77, v[77:78]
	s_waitcnt vmcnt(0) lgkmcnt(0)
	v_mul_f32_e32 v79, s3, v77
	v_add_co_u32 v77, vcc_lo, v72, v86
	v_add_co_ci_u32_e32 v78, vcc_lo, v73, v87, vcc_lo
	v_add_co_u32 v74, vcc_lo, v74, v84
	s_delay_alu instid0(VALU_DEP_4)
	v_min_f32_e32 v76, v79, v76
	v_add_co_ci_u32_e32 v75, vcc_lo, v75, v85, vcc_lo
	global_store_b32 v[77:78], v76, off
	flat_load_b32 v74, v[74:75]
	s_waitcnt vmcnt(0) lgkmcnt(0)
	v_mul_f32_e32 v74, s3, v74
.LBB10_44:
	s_waitcnt lgkmcnt(12)
	v_dual_add_f32 v75, v17, v65 :: v_dual_add_f32 v76, v16, v64
	v_dual_add_f32 v69, v1, v69 :: v_dual_add_f32 v68, v0, v68
	;; [unrolled: 1-line block ×3, first 2 shown]
	s_delay_alu instid0(VALU_DEP_3) | instskip(SKIP_1) | instid1(VALU_DEP_4)
	v_min3_f32 v75, v76, v75, v158
	v_add_nc_u32_e32 v76, 24, v117
	v_min3_f32 v77, v68, v69, v148
	v_dual_add_f32 v78, v19, v67 :: v_dual_add_f32 v79, v18, v66
	v_min_f32_e32 v118, v70, v71
	s_delay_alu instid0(VALU_DEP_4) | instskip(SKIP_1) | instid1(VALU_DEP_3)
	v_mad_i64_i32 v[68:69], null, v76, s10, 0
	v_mad_i64_i32 v[70:71], null, v76, s8, 0
	v_min3_f32 v77, v74, v118, v77
	v_add_co_u32 v74, vcc_lo, v72, v84
	v_min3_f32 v76, v79, v78, v75
	v_lshlrev_b64 v[68:69], 2, v[68:69]
	v_add_co_ci_u32_e32 v75, vcc_lo, v73, v85, vcc_lo
	v_lshlrev_b64 v[70:71], 2, v[70:71]
	s_delay_alu instid0(VALU_DEP_4) | instskip(NEXT) | instid1(VALU_DEP_4)
	v_max_f32_e32 v72, v76, v76
	v_add_co_u32 v68, vcc_lo, s0, v68
	v_add_co_ci_u32_e32 v69, vcc_lo, s1, v69, vcc_lo
	s_delay_alu instid0(VALU_DEP_4)
	v_add_co_u32 v70, vcc_lo, s4, v70
	v_add_co_ci_u32_e32 v71, vcc_lo, s5, v71, vcc_lo
	s_mov_b32 vcc_lo, s2
	global_store_b32 v[74:75], v77, off
	s_cbranch_vccz .LBB10_47
; %bb.45:
	v_add_co_u32 v73, vcc_lo, v68, v80
	v_min_f32_e32 v75, 0, v72
	v_add_co_ci_u32_e32 v74, vcc_lo, v69, v81, vcc_lo
	s_mov_b32 s6, 0
	global_store_b32 v[73:74], v75, off
	s_cbranch_execz .LBB10_48
; %bb.46:
	v_mov_b32_e32 v72, s6
	s_branch .LBB10_49
.LBB10_47:
	s_mov_b32 s6, -1
.LBB10_48:
	v_add_co_u32 v73, vcc_lo, v70, v80
	v_add_co_ci_u32_e32 v74, vcc_lo, v71, v81, vcc_lo
	flat_load_b32 v73, v[73:74]
	s_waitcnt vmcnt(0) lgkmcnt(0)
	v_mul_f32_e32 v75, s3, v73
	v_add_co_u32 v73, vcc_lo, v68, v80
	v_add_co_ci_u32_e32 v74, vcc_lo, v69, v81, vcc_lo
	s_delay_alu instid0(VALU_DEP_3)
	v_min_f32_e32 v72, v75, v72
	v_add_co_u32 v75, vcc_lo, v70, v82
	v_add_co_ci_u32_e32 v76, vcc_lo, v71, v83, vcc_lo
	global_store_b32 v[73:74], v72, off
	flat_load_b32 v72, v[75:76]
	s_waitcnt vmcnt(0) lgkmcnt(0)
	v_mul_f32_e32 v72, s3, v72
.LBB10_49:
	v_dual_add_f32 v73, v13, v65 :: v_dual_add_f32 v74, v12, v64
	v_dual_add_f32 v75, v9, v65 :: v_dual_add_f32 v76, v8, v64
	;; [unrolled: 1-line block ×3, first 2 shown]
	s_delay_alu instid0(VALU_DEP_3) | instskip(NEXT) | instid1(VALU_DEP_3)
	v_min3_f32 v73, v74, v73, v149
	v_min3_f32 v74, v76, v75, v150
	v_dual_add_f32 v75, v11, v67 :: v_dual_add_f32 v76, v10, v66
	s_delay_alu instid0(VALU_DEP_1) | instskip(SKIP_1) | instid1(VALU_DEP_1)
	v_min3_f32 v75, v76, v75, v74
	v_min_f32_e32 v77, v78, v77
	v_min3_f32 v76, v72, v77, v73
	s_delay_alu instid0(VALU_DEP_3)
	v_max_f32_e32 v72, v75, v75
	v_add_co_u32 v73, vcc_lo, v68, v82
	v_add_co_ci_u32_e32 v74, vcc_lo, v69, v83, vcc_lo
	s_mov_b32 vcc_lo, s2
	global_store_b32 v[73:74], v76, off
	s_cbranch_vccz .LBB10_52
; %bb.50:
	v_add_co_u32 v73, vcc_lo, v68, v86
	v_min_f32_e32 v75, 0, v72
	v_add_co_ci_u32_e32 v74, vcc_lo, v69, v87, vcc_lo
	s_mov_b32 s6, 0
	global_store_b32 v[73:74], v75, off
	s_cbranch_execz .LBB10_53
; %bb.51:
	v_mov_b32_e32 v70, s6
	s_branch .LBB10_54
.LBB10_52:
	s_mov_b32 s6, -1
.LBB10_53:
	v_add_co_u32 v73, vcc_lo, v70, v86
	v_add_co_ci_u32_e32 v74, vcc_lo, v71, v87, vcc_lo
	flat_load_b32 v73, v[73:74]
	s_waitcnt vmcnt(0) lgkmcnt(0)
	v_mul_f32_e32 v75, s3, v73
	v_add_co_u32 v73, vcc_lo, v68, v86
	v_add_co_ci_u32_e32 v74, vcc_lo, v69, v87, vcc_lo
	v_add_co_u32 v70, vcc_lo, v70, v84
	s_delay_alu instid0(VALU_DEP_4)
	v_min_f32_e32 v72, v75, v72
	v_add_co_ci_u32_e32 v71, vcc_lo, v71, v85, vcc_lo
	global_store_b32 v[73:74], v72, off
	flat_load_b32 v70, v[70:71]
	s_waitcnt vmcnt(0) lgkmcnt(0)
	v_mul_f32_e32 v70, s3, v70
.LBB10_54:
	s_waitcnt lgkmcnt(11)
	v_dual_add_f32 v71, v17, v61 :: v_dual_add_f32 v72, v16, v60
	v_dual_add_f32 v65, v1, v65 :: v_dual_add_f32 v64, v0, v64
	;; [unrolled: 1-line block ×3, first 2 shown]
	s_delay_alu instid0(VALU_DEP_3) | instskip(SKIP_1) | instid1(VALU_DEP_4)
	v_min3_f32 v71, v72, v71, v152
	v_add_nc_u32_e32 v72, 32, v117
	v_min3_f32 v73, v64, v65, v146
	v_dual_add_f32 v74, v19, v63 :: v_dual_add_f32 v75, v18, v62
	v_min_f32_e32 v76, v66, v67
	s_delay_alu instid0(VALU_DEP_4) | instskip(SKIP_1) | instid1(VALU_DEP_3)
	v_mad_i64_i32 v[64:65], null, v72, s10, 0
	v_mad_i64_i32 v[66:67], null, v72, s8, 0
	v_min3_f32 v73, v70, v76, v73
	v_add_co_u32 v70, vcc_lo, v68, v84
	v_min3_f32 v72, v75, v74, v71
	v_lshlrev_b64 v[64:65], 2, v[64:65]
	v_add_co_ci_u32_e32 v71, vcc_lo, v69, v85, vcc_lo
	v_lshlrev_b64 v[66:67], 2, v[66:67]
	s_delay_alu instid0(VALU_DEP_4) | instskip(NEXT) | instid1(VALU_DEP_4)
	v_max_f32_e32 v68, v72, v72
	v_add_co_u32 v64, vcc_lo, s0, v64
	v_add_co_ci_u32_e32 v65, vcc_lo, s1, v65, vcc_lo
	s_delay_alu instid0(VALU_DEP_4)
	v_add_co_u32 v66, vcc_lo, s4, v66
	v_add_co_ci_u32_e32 v67, vcc_lo, s5, v67, vcc_lo
	s_mov_b32 vcc_lo, s2
	global_store_b32 v[70:71], v73, off
	s_cbranch_vccz .LBB10_57
; %bb.55:
	v_add_co_u32 v69, vcc_lo, v64, v80
	v_min_f32_e32 v71, 0, v68
	v_add_co_ci_u32_e32 v70, vcc_lo, v65, v81, vcc_lo
	s_mov_b32 s6, 0
	global_store_b32 v[69:70], v71, off
	s_cbranch_execz .LBB10_58
; %bb.56:
	v_mov_b32_e32 v68, s6
	s_branch .LBB10_59
.LBB10_57:
	s_mov_b32 s6, -1
.LBB10_58:
	v_add_co_u32 v69, vcc_lo, v66, v80
	v_add_co_ci_u32_e32 v70, vcc_lo, v67, v81, vcc_lo
	flat_load_b32 v69, v[69:70]
	s_waitcnt vmcnt(0) lgkmcnt(0)
	v_mul_f32_e32 v71, s3, v69
	v_add_co_u32 v69, vcc_lo, v64, v80
	v_add_co_ci_u32_e32 v70, vcc_lo, v65, v81, vcc_lo
	s_delay_alu instid0(VALU_DEP_3)
	v_min_f32_e32 v68, v71, v68
	v_add_co_u32 v71, vcc_lo, v66, v82
	v_add_co_ci_u32_e32 v72, vcc_lo, v67, v83, vcc_lo
	global_store_b32 v[69:70], v68, off
	flat_load_b32 v68, v[71:72]
	s_waitcnt vmcnt(0) lgkmcnt(0)
	v_mul_f32_e32 v68, s3, v68
.LBB10_59:
	v_dual_add_f32 v69, v13, v61 :: v_dual_add_f32 v70, v12, v60
	v_dual_add_f32 v71, v9, v61 :: v_dual_add_f32 v72, v8, v60
	;; [unrolled: 1-line block ×3, first 2 shown]
	s_delay_alu instid0(VALU_DEP_3) | instskip(NEXT) | instid1(VALU_DEP_3)
	v_min3_f32 v69, v70, v69, v144
	v_min3_f32 v70, v72, v71, v147
	v_dual_add_f32 v71, v11, v63 :: v_dual_add_f32 v72, v10, v62
	s_delay_alu instid0(VALU_DEP_1) | instskip(SKIP_1) | instid1(VALU_DEP_1)
	v_min3_f32 v71, v72, v71, v70
	v_min_f32_e32 v73, v74, v73
	v_min3_f32 v72, v68, v73, v69
	s_delay_alu instid0(VALU_DEP_3)
	v_max_f32_e32 v68, v71, v71
	v_add_co_u32 v69, vcc_lo, v64, v82
	v_add_co_ci_u32_e32 v70, vcc_lo, v65, v83, vcc_lo
	s_mov_b32 vcc_lo, s2
	global_store_b32 v[69:70], v72, off
	s_cbranch_vccz .LBB10_62
; %bb.60:
	v_add_co_u32 v69, vcc_lo, v64, v86
	v_min_f32_e32 v71, 0, v68
	v_add_co_ci_u32_e32 v70, vcc_lo, v65, v87, vcc_lo
	s_mov_b32 s6, 0
	global_store_b32 v[69:70], v71, off
	s_cbranch_execz .LBB10_63
; %bb.61:
	v_mov_b32_e32 v66, s6
	s_branch .LBB10_64
.LBB10_62:
	s_mov_b32 s6, -1
.LBB10_63:
	v_add_co_u32 v69, vcc_lo, v66, v86
	v_add_co_ci_u32_e32 v70, vcc_lo, v67, v87, vcc_lo
	flat_load_b32 v69, v[69:70]
	s_waitcnt vmcnt(0) lgkmcnt(0)
	v_mul_f32_e32 v71, s3, v69
	v_add_co_u32 v69, vcc_lo, v64, v86
	v_add_co_ci_u32_e32 v70, vcc_lo, v65, v87, vcc_lo
	v_add_co_u32 v66, vcc_lo, v66, v84
	s_delay_alu instid0(VALU_DEP_4)
	v_min_f32_e32 v68, v71, v68
	v_add_co_ci_u32_e32 v67, vcc_lo, v67, v85, vcc_lo
	global_store_b32 v[69:70], v68, off
	flat_load_b32 v66, v[66:67]
	s_waitcnt vmcnt(0) lgkmcnt(0)
	v_mul_f32_e32 v66, s3, v66
.LBB10_64:
	s_waitcnt lgkmcnt(10)
	v_dual_add_f32 v67, v17, v57 :: v_dual_add_f32 v68, v16, v56
	v_dual_add_f32 v61, v1, v61 :: v_dual_add_f32 v60, v0, v60
	;; [unrolled: 1-line block ×3, first 2 shown]
	s_delay_alu instid0(VALU_DEP_3) | instskip(SKIP_1) | instid1(VALU_DEP_4)
	v_min3_f32 v67, v68, v67, v145
	v_add_nc_u32_e32 v68, 40, v117
	v_min3_f32 v69, v60, v61, v143
	v_dual_add_f32 v70, v19, v59 :: v_dual_add_f32 v71, v18, v58
	v_min_f32_e32 v72, v62, v63
	s_delay_alu instid0(VALU_DEP_4) | instskip(SKIP_1) | instid1(VALU_DEP_3)
	v_mad_i64_i32 v[60:61], null, v68, s10, 0
	v_mad_i64_i32 v[62:63], null, v68, s8, 0
	v_min3_f32 v69, v66, v72, v69
	v_add_co_u32 v66, vcc_lo, v64, v84
	v_min3_f32 v68, v71, v70, v67
	v_lshlrev_b64 v[60:61], 2, v[60:61]
	v_add_co_ci_u32_e32 v67, vcc_lo, v65, v85, vcc_lo
	v_lshlrev_b64 v[62:63], 2, v[62:63]
	s_delay_alu instid0(VALU_DEP_4) | instskip(NEXT) | instid1(VALU_DEP_4)
	v_max_f32_e32 v64, v68, v68
	v_add_co_u32 v60, vcc_lo, s0, v60
	v_add_co_ci_u32_e32 v61, vcc_lo, s1, v61, vcc_lo
	s_delay_alu instid0(VALU_DEP_4)
	v_add_co_u32 v62, vcc_lo, s4, v62
	v_add_co_ci_u32_e32 v63, vcc_lo, s5, v63, vcc_lo
	s_mov_b32 vcc_lo, s2
	global_store_b32 v[66:67], v69, off
	s_cbranch_vccz .LBB10_67
; %bb.65:
	v_add_co_u32 v65, vcc_lo, v60, v80
	v_min_f32_e32 v67, 0, v64
	v_add_co_ci_u32_e32 v66, vcc_lo, v61, v81, vcc_lo
	s_mov_b32 s6, 0
	global_store_b32 v[65:66], v67, off
	s_cbranch_execz .LBB10_68
; %bb.66:
	v_mov_b32_e32 v64, s6
	s_branch .LBB10_69
.LBB10_67:
	s_mov_b32 s6, -1
.LBB10_68:
	v_add_co_u32 v65, vcc_lo, v62, v80
	v_add_co_ci_u32_e32 v66, vcc_lo, v63, v81, vcc_lo
	flat_load_b32 v65, v[65:66]
	s_waitcnt vmcnt(0) lgkmcnt(0)
	v_mul_f32_e32 v67, s3, v65
	v_add_co_u32 v65, vcc_lo, v60, v80
	v_add_co_ci_u32_e32 v66, vcc_lo, v61, v81, vcc_lo
	s_delay_alu instid0(VALU_DEP_3)
	v_min_f32_e32 v64, v67, v64
	v_add_co_u32 v67, vcc_lo, v62, v82
	v_add_co_ci_u32_e32 v68, vcc_lo, v63, v83, vcc_lo
	global_store_b32 v[65:66], v64, off
	flat_load_b32 v64, v[67:68]
	s_waitcnt vmcnt(0) lgkmcnt(0)
	v_mul_f32_e32 v64, s3, v64
.LBB10_69:
	v_dual_add_f32 v65, v13, v57 :: v_dual_add_f32 v66, v12, v56
	v_dual_add_f32 v67, v9, v57 :: v_dual_add_f32 v68, v8, v56
	v_dual_add_f32 v69, v15, v59 :: v_dual_add_f32 v70, v14, v58
	s_delay_alu instid0(VALU_DEP_3) | instskip(NEXT) | instid1(VALU_DEP_3)
	v_min3_f32 v65, v66, v65, v140
	v_min3_f32 v66, v68, v67, v142
	v_dual_add_f32 v67, v11, v59 :: v_dual_add_f32 v68, v10, v58
	s_delay_alu instid0(VALU_DEP_1) | instskip(SKIP_1) | instid1(VALU_DEP_1)
	v_min3_f32 v67, v68, v67, v66
	v_min_f32_e32 v69, v70, v69
	v_min3_f32 v68, v64, v69, v65
	s_delay_alu instid0(VALU_DEP_3)
	v_max_f32_e32 v64, v67, v67
	v_add_co_u32 v65, vcc_lo, v60, v82
	v_add_co_ci_u32_e32 v66, vcc_lo, v61, v83, vcc_lo
	s_mov_b32 vcc_lo, s2
	global_store_b32 v[65:66], v68, off
	s_cbranch_vccz .LBB10_72
; %bb.70:
	v_add_co_u32 v65, vcc_lo, v60, v86
	v_min_f32_e32 v67, 0, v64
	v_add_co_ci_u32_e32 v66, vcc_lo, v61, v87, vcc_lo
	s_mov_b32 s6, 0
	global_store_b32 v[65:66], v67, off
	s_cbranch_execz .LBB10_73
; %bb.71:
	v_mov_b32_e32 v62, s6
	s_branch .LBB10_74
.LBB10_72:
	s_mov_b32 s6, -1
.LBB10_73:
	v_add_co_u32 v65, vcc_lo, v62, v86
	v_add_co_ci_u32_e32 v66, vcc_lo, v63, v87, vcc_lo
	flat_load_b32 v65, v[65:66]
	s_waitcnt vmcnt(0) lgkmcnt(0)
	v_mul_f32_e32 v67, s3, v65
	v_add_co_u32 v65, vcc_lo, v60, v86
	v_add_co_ci_u32_e32 v66, vcc_lo, v61, v87, vcc_lo
	v_add_co_u32 v62, vcc_lo, v62, v84
	s_delay_alu instid0(VALU_DEP_4)
	v_min_f32_e32 v64, v67, v64
	v_add_co_ci_u32_e32 v63, vcc_lo, v63, v85, vcc_lo
	global_store_b32 v[65:66], v64, off
	flat_load_b32 v62, v[62:63]
	s_waitcnt vmcnt(0) lgkmcnt(0)
	v_mul_f32_e32 v62, s3, v62
.LBB10_74:
	s_waitcnt lgkmcnt(9)
	v_dual_add_f32 v63, v17, v53 :: v_dual_add_f32 v64, v16, v52
	v_dual_add_f32 v57, v1, v57 :: v_dual_add_f32 v56, v0, v56
	;; [unrolled: 1-line block ×3, first 2 shown]
	s_delay_alu instid0(VALU_DEP_3) | instskip(SKIP_1) | instid1(VALU_DEP_4)
	v_min3_f32 v63, v64, v63, v141
	v_add_nc_u32_e32 v64, 48, v117
	v_min3_f32 v65, v56, v57, v139
	v_dual_add_f32 v66, v19, v55 :: v_dual_add_f32 v67, v18, v54
	v_min_f32_e32 v68, v58, v59
	s_delay_alu instid0(VALU_DEP_4) | instskip(SKIP_1) | instid1(VALU_DEP_3)
	v_mad_i64_i32 v[56:57], null, v64, s10, 0
	v_mad_i64_i32 v[58:59], null, v64, s8, 0
	v_min3_f32 v65, v62, v68, v65
	v_add_co_u32 v62, vcc_lo, v60, v84
	v_min3_f32 v64, v67, v66, v63
	v_lshlrev_b64 v[56:57], 2, v[56:57]
	v_add_co_ci_u32_e32 v63, vcc_lo, v61, v85, vcc_lo
	v_lshlrev_b64 v[58:59], 2, v[58:59]
	s_delay_alu instid0(VALU_DEP_4) | instskip(NEXT) | instid1(VALU_DEP_4)
	v_max_f32_e32 v60, v64, v64
	v_add_co_u32 v56, vcc_lo, s0, v56
	v_add_co_ci_u32_e32 v57, vcc_lo, s1, v57, vcc_lo
	s_delay_alu instid0(VALU_DEP_4)
	v_add_co_u32 v58, vcc_lo, s4, v58
	v_add_co_ci_u32_e32 v59, vcc_lo, s5, v59, vcc_lo
	s_mov_b32 vcc_lo, s2
	global_store_b32 v[62:63], v65, off
	s_cbranch_vccz .LBB10_77
; %bb.75:
	v_add_co_u32 v61, vcc_lo, v56, v80
	v_min_f32_e32 v63, 0, v60
	v_add_co_ci_u32_e32 v62, vcc_lo, v57, v81, vcc_lo
	s_mov_b32 s6, 0
	global_store_b32 v[61:62], v63, off
	s_cbranch_execz .LBB10_78
; %bb.76:
	v_mov_b32_e32 v60, s6
	s_branch .LBB10_79
.LBB10_77:
	s_mov_b32 s6, -1
.LBB10_78:
	v_add_co_u32 v61, vcc_lo, v58, v80
	v_add_co_ci_u32_e32 v62, vcc_lo, v59, v81, vcc_lo
	flat_load_b32 v61, v[61:62]
	s_waitcnt vmcnt(0) lgkmcnt(0)
	v_mul_f32_e32 v63, s3, v61
	v_add_co_u32 v61, vcc_lo, v56, v80
	v_add_co_ci_u32_e32 v62, vcc_lo, v57, v81, vcc_lo
	s_delay_alu instid0(VALU_DEP_3)
	v_min_f32_e32 v60, v63, v60
	v_add_co_u32 v63, vcc_lo, v58, v82
	v_add_co_ci_u32_e32 v64, vcc_lo, v59, v83, vcc_lo
	global_store_b32 v[61:62], v60, off
	flat_load_b32 v60, v[63:64]
	s_waitcnt vmcnt(0) lgkmcnt(0)
	v_mul_f32_e32 v60, s3, v60
.LBB10_79:
	v_dual_add_f32 v61, v13, v53 :: v_dual_add_f32 v62, v12, v52
	v_dual_add_f32 v63, v9, v53 :: v_dual_add_f32 v64, v8, v52
	;; [unrolled: 1-line block ×3, first 2 shown]
	s_delay_alu instid0(VALU_DEP_3) | instskip(NEXT) | instid1(VALU_DEP_3)
	v_min3_f32 v61, v62, v61, v136
	v_min3_f32 v62, v64, v63, v138
	v_dual_add_f32 v63, v11, v55 :: v_dual_add_f32 v64, v10, v54
	s_delay_alu instid0(VALU_DEP_1) | instskip(SKIP_1) | instid1(VALU_DEP_1)
	v_min3_f32 v63, v64, v63, v62
	v_min_f32_e32 v65, v66, v65
	v_min3_f32 v64, v60, v65, v61
	s_delay_alu instid0(VALU_DEP_3)
	v_max_f32_e32 v60, v63, v63
	v_add_co_u32 v61, vcc_lo, v56, v82
	v_add_co_ci_u32_e32 v62, vcc_lo, v57, v83, vcc_lo
	s_mov_b32 vcc_lo, s2
	global_store_b32 v[61:62], v64, off
	s_cbranch_vccz .LBB10_82
; %bb.80:
	v_add_co_u32 v61, vcc_lo, v56, v86
	v_min_f32_e32 v63, 0, v60
	v_add_co_ci_u32_e32 v62, vcc_lo, v57, v87, vcc_lo
	s_mov_b32 s6, 0
	global_store_b32 v[61:62], v63, off
	s_cbranch_execz .LBB10_83
; %bb.81:
	v_mov_b32_e32 v58, s6
	s_branch .LBB10_84
.LBB10_82:
	s_mov_b32 s6, -1
.LBB10_83:
	v_add_co_u32 v61, vcc_lo, v58, v86
	v_add_co_ci_u32_e32 v62, vcc_lo, v59, v87, vcc_lo
	flat_load_b32 v61, v[61:62]
	s_waitcnt vmcnt(0) lgkmcnt(0)
	v_mul_f32_e32 v63, s3, v61
	v_add_co_u32 v61, vcc_lo, v56, v86
	v_add_co_ci_u32_e32 v62, vcc_lo, v57, v87, vcc_lo
	v_add_co_u32 v58, vcc_lo, v58, v84
	s_delay_alu instid0(VALU_DEP_4)
	v_min_f32_e32 v60, v63, v60
	v_add_co_ci_u32_e32 v59, vcc_lo, v59, v85, vcc_lo
	global_store_b32 v[61:62], v60, off
	flat_load_b32 v58, v[58:59]
	s_waitcnt vmcnt(0) lgkmcnt(0)
	v_mul_f32_e32 v58, s3, v58
.LBB10_84:
	s_waitcnt lgkmcnt(8)
	v_dual_add_f32 v59, v17, v49 :: v_dual_add_f32 v60, v16, v48
	v_dual_add_f32 v53, v1, v53 :: v_dual_add_f32 v52, v0, v52
	;; [unrolled: 1-line block ×3, first 2 shown]
	s_delay_alu instid0(VALU_DEP_3) | instskip(SKIP_1) | instid1(VALU_DEP_4)
	v_min3_f32 v59, v60, v59, v137
	v_add_nc_u32_e32 v60, 56, v117
	v_min3_f32 v61, v52, v53, v135
	v_dual_add_f32 v62, v19, v51 :: v_dual_add_f32 v63, v18, v50
	v_min_f32_e32 v64, v54, v55
	s_delay_alu instid0(VALU_DEP_4) | instskip(SKIP_1) | instid1(VALU_DEP_3)
	v_mad_i64_i32 v[52:53], null, v60, s10, 0
	v_mad_i64_i32 v[54:55], null, v60, s8, 0
	v_min3_f32 v61, v58, v64, v61
	v_add_co_u32 v58, vcc_lo, v56, v84
	v_min3_f32 v60, v63, v62, v59
	v_lshlrev_b64 v[52:53], 2, v[52:53]
	v_add_co_ci_u32_e32 v59, vcc_lo, v57, v85, vcc_lo
	v_lshlrev_b64 v[54:55], 2, v[54:55]
	s_delay_alu instid0(VALU_DEP_4) | instskip(NEXT) | instid1(VALU_DEP_4)
	v_max_f32_e32 v56, v60, v60
	v_add_co_u32 v52, vcc_lo, s0, v52
	v_add_co_ci_u32_e32 v53, vcc_lo, s1, v53, vcc_lo
	s_delay_alu instid0(VALU_DEP_4)
	v_add_co_u32 v54, vcc_lo, s4, v54
	v_add_co_ci_u32_e32 v55, vcc_lo, s5, v55, vcc_lo
	s_mov_b32 vcc_lo, s2
	global_store_b32 v[58:59], v61, off
	s_cbranch_vccz .LBB10_87
; %bb.85:
	v_add_co_u32 v57, vcc_lo, v52, v80
	v_min_f32_e32 v59, 0, v56
	v_add_co_ci_u32_e32 v58, vcc_lo, v53, v81, vcc_lo
	s_mov_b32 s6, 0
	global_store_b32 v[57:58], v59, off
	s_cbranch_execz .LBB10_88
; %bb.86:
	v_mov_b32_e32 v56, s6
	s_branch .LBB10_89
.LBB10_87:
	s_mov_b32 s6, -1
.LBB10_88:
	v_add_co_u32 v57, vcc_lo, v54, v80
	v_add_co_ci_u32_e32 v58, vcc_lo, v55, v81, vcc_lo
	flat_load_b32 v57, v[57:58]
	s_waitcnt vmcnt(0) lgkmcnt(0)
	v_mul_f32_e32 v59, s3, v57
	v_add_co_u32 v57, vcc_lo, v52, v80
	v_add_co_ci_u32_e32 v58, vcc_lo, v53, v81, vcc_lo
	s_delay_alu instid0(VALU_DEP_3)
	v_min_f32_e32 v56, v59, v56
	v_add_co_u32 v59, vcc_lo, v54, v82
	v_add_co_ci_u32_e32 v60, vcc_lo, v55, v83, vcc_lo
	global_store_b32 v[57:58], v56, off
	flat_load_b32 v56, v[59:60]
	s_waitcnt vmcnt(0) lgkmcnt(0)
	v_mul_f32_e32 v56, s3, v56
.LBB10_89:
	v_dual_add_f32 v57, v13, v49 :: v_dual_add_f32 v58, v12, v48
	v_dual_add_f32 v59, v9, v49 :: v_dual_add_f32 v60, v8, v48
	;; [unrolled: 1-line block ×3, first 2 shown]
	s_delay_alu instid0(VALU_DEP_3) | instskip(NEXT) | instid1(VALU_DEP_3)
	v_min3_f32 v57, v58, v57, v132
	v_min3_f32 v58, v60, v59, v134
	v_dual_add_f32 v59, v11, v51 :: v_dual_add_f32 v60, v10, v50
	s_delay_alu instid0(VALU_DEP_1) | instskip(SKIP_1) | instid1(VALU_DEP_1)
	v_min3_f32 v59, v60, v59, v58
	v_min_f32_e32 v61, v62, v61
	v_min3_f32 v60, v56, v61, v57
	s_delay_alu instid0(VALU_DEP_3)
	v_max_f32_e32 v56, v59, v59
	v_add_co_u32 v57, vcc_lo, v52, v82
	v_add_co_ci_u32_e32 v58, vcc_lo, v53, v83, vcc_lo
	s_mov_b32 vcc_lo, s2
	global_store_b32 v[57:58], v60, off
	s_cbranch_vccz .LBB10_92
; %bb.90:
	v_add_co_u32 v57, vcc_lo, v52, v86
	v_min_f32_e32 v59, 0, v56
	v_add_co_ci_u32_e32 v58, vcc_lo, v53, v87, vcc_lo
	s_mov_b32 s6, 0
	global_store_b32 v[57:58], v59, off
	s_cbranch_execz .LBB10_93
; %bb.91:
	v_mov_b32_e32 v54, s6
	s_branch .LBB10_94
.LBB10_92:
	s_mov_b32 s6, -1
.LBB10_93:
	v_add_co_u32 v57, vcc_lo, v54, v86
	v_add_co_ci_u32_e32 v58, vcc_lo, v55, v87, vcc_lo
	flat_load_b32 v57, v[57:58]
	s_waitcnt vmcnt(0) lgkmcnt(0)
	v_mul_f32_e32 v59, s3, v57
	v_add_co_u32 v57, vcc_lo, v52, v86
	v_add_co_ci_u32_e32 v58, vcc_lo, v53, v87, vcc_lo
	v_add_co_u32 v54, vcc_lo, v54, v84
	s_delay_alu instid0(VALU_DEP_4)
	v_min_f32_e32 v56, v59, v56
	v_add_co_ci_u32_e32 v55, vcc_lo, v55, v85, vcc_lo
	global_store_b32 v[57:58], v56, off
	flat_load_b32 v54, v[54:55]
	s_waitcnt vmcnt(0) lgkmcnt(0)
	v_mul_f32_e32 v54, s3, v54
.LBB10_94:
	s_waitcnt lgkmcnt(7)
	v_dual_add_f32 v55, v17, v45 :: v_dual_add_f32 v56, v16, v44
	v_dual_add_f32 v49, v1, v49 :: v_dual_add_f32 v48, v0, v48
	;; [unrolled: 1-line block ×3, first 2 shown]
	s_delay_alu instid0(VALU_DEP_3) | instskip(SKIP_1) | instid1(VALU_DEP_4)
	v_min3_f32 v55, v56, v55, v133
	v_add_nc_u32_e32 v56, 64, v117
	v_min3_f32 v57, v48, v49, v130
	v_dual_add_f32 v58, v19, v47 :: v_dual_add_f32 v59, v18, v46
	v_min_f32_e32 v60, v50, v51
	s_delay_alu instid0(VALU_DEP_4) | instskip(SKIP_1) | instid1(VALU_DEP_3)
	v_mad_i64_i32 v[48:49], null, v56, s10, 0
	v_mad_i64_i32 v[50:51], null, v56, s8, 0
	v_min3_f32 v57, v54, v60, v57
	v_add_co_u32 v54, vcc_lo, v52, v84
	v_min3_f32 v56, v59, v58, v55
	v_lshlrev_b64 v[48:49], 2, v[48:49]
	v_add_co_ci_u32_e32 v55, vcc_lo, v53, v85, vcc_lo
	v_lshlrev_b64 v[50:51], 2, v[50:51]
	s_delay_alu instid0(VALU_DEP_4) | instskip(NEXT) | instid1(VALU_DEP_4)
	v_max_f32_e32 v52, v56, v56
	v_add_co_u32 v48, vcc_lo, s0, v48
	v_add_co_ci_u32_e32 v49, vcc_lo, s1, v49, vcc_lo
	s_delay_alu instid0(VALU_DEP_4)
	v_add_co_u32 v50, vcc_lo, s4, v50
	v_add_co_ci_u32_e32 v51, vcc_lo, s5, v51, vcc_lo
	s_mov_b32 vcc_lo, s2
	global_store_b32 v[54:55], v57, off
	s_cbranch_vccz .LBB10_97
; %bb.95:
	v_add_co_u32 v53, vcc_lo, v48, v80
	v_min_f32_e32 v55, 0, v52
	v_add_co_ci_u32_e32 v54, vcc_lo, v49, v81, vcc_lo
	s_mov_b32 s6, 0
	global_store_b32 v[53:54], v55, off
	s_cbranch_execz .LBB10_98
; %bb.96:
	v_mov_b32_e32 v52, s6
	s_branch .LBB10_99
.LBB10_97:
	s_mov_b32 s6, -1
.LBB10_98:
	v_add_co_u32 v53, vcc_lo, v50, v80
	v_add_co_ci_u32_e32 v54, vcc_lo, v51, v81, vcc_lo
	flat_load_b32 v53, v[53:54]
	s_waitcnt vmcnt(0) lgkmcnt(0)
	v_mul_f32_e32 v55, s3, v53
	v_add_co_u32 v53, vcc_lo, v48, v80
	v_add_co_ci_u32_e32 v54, vcc_lo, v49, v81, vcc_lo
	s_delay_alu instid0(VALU_DEP_3)
	v_min_f32_e32 v52, v55, v52
	v_add_co_u32 v55, vcc_lo, v50, v82
	v_add_co_ci_u32_e32 v56, vcc_lo, v51, v83, vcc_lo
	global_store_b32 v[53:54], v52, off
	flat_load_b32 v52, v[55:56]
	s_waitcnt vmcnt(0) lgkmcnt(0)
	v_mul_f32_e32 v52, s3, v52
.LBB10_99:
	v_dual_add_f32 v53, v13, v45 :: v_dual_add_f32 v54, v12, v44
	v_dual_add_f32 v55, v9, v45 :: v_dual_add_f32 v56, v8, v44
	;; [unrolled: 1-line block ×3, first 2 shown]
	s_delay_alu instid0(VALU_DEP_3) | instskip(NEXT) | instid1(VALU_DEP_3)
	v_min3_f32 v53, v54, v53, v116
	v_min3_f32 v54, v56, v55, v125
	v_dual_add_f32 v55, v11, v47 :: v_dual_add_f32 v56, v10, v46
	s_delay_alu instid0(VALU_DEP_1) | instskip(SKIP_1) | instid1(VALU_DEP_1)
	v_min3_f32 v55, v56, v55, v54
	v_min_f32_e32 v57, v58, v57
	v_min3_f32 v56, v52, v57, v53
	s_delay_alu instid0(VALU_DEP_3)
	v_max_f32_e32 v52, v55, v55
	v_add_co_u32 v53, vcc_lo, v48, v82
	v_add_co_ci_u32_e32 v54, vcc_lo, v49, v83, vcc_lo
	s_mov_b32 vcc_lo, s2
	global_store_b32 v[53:54], v56, off
	s_cbranch_vccz .LBB10_102
; %bb.100:
	v_add_co_u32 v53, vcc_lo, v48, v86
	v_min_f32_e32 v55, 0, v52
	v_add_co_ci_u32_e32 v54, vcc_lo, v49, v87, vcc_lo
	s_mov_b32 s6, 0
	global_store_b32 v[53:54], v55, off
	s_cbranch_execz .LBB10_103
; %bb.101:
	v_mov_b32_e32 v50, s6
	s_branch .LBB10_104
.LBB10_102:
	s_mov_b32 s6, -1
.LBB10_103:
	v_add_co_u32 v53, vcc_lo, v50, v86
	v_add_co_ci_u32_e32 v54, vcc_lo, v51, v87, vcc_lo
	flat_load_b32 v53, v[53:54]
	s_waitcnt vmcnt(0) lgkmcnt(0)
	v_mul_f32_e32 v55, s3, v53
	v_add_co_u32 v53, vcc_lo, v48, v86
	v_add_co_ci_u32_e32 v54, vcc_lo, v49, v87, vcc_lo
	v_add_co_u32 v50, vcc_lo, v50, v84
	s_delay_alu instid0(VALU_DEP_4)
	v_min_f32_e32 v52, v55, v52
	v_add_co_ci_u32_e32 v51, vcc_lo, v51, v85, vcc_lo
	global_store_b32 v[53:54], v52, off
	flat_load_b32 v50, v[50:51]
	s_waitcnt vmcnt(0) lgkmcnt(0)
	v_mul_f32_e32 v50, s3, v50
.LBB10_104:
	s_waitcnt lgkmcnt(6)
	v_dual_add_f32 v51, v17, v41 :: v_dual_add_f32 v52, v16, v40
	v_dual_add_f32 v45, v1, v45 :: v_dual_add_f32 v44, v0, v44
	;; [unrolled: 1-line block ×3, first 2 shown]
	s_delay_alu instid0(VALU_DEP_3) | instskip(SKIP_1) | instid1(VALU_DEP_4)
	v_min3_f32 v51, v52, v51, v131
	v_add_nc_u32_e32 v52, 0x48, v117
	v_min3_f32 v53, v44, v45, v112
	v_dual_add_f32 v54, v19, v43 :: v_dual_add_f32 v55, v18, v42
	v_min_f32_e32 v56, v46, v47
	s_delay_alu instid0(VALU_DEP_4) | instskip(SKIP_1) | instid1(VALU_DEP_3)
	v_mad_i64_i32 v[44:45], null, v52, s10, 0
	v_mad_i64_i32 v[46:47], null, v52, s8, 0
	v_min3_f32 v53, v50, v56, v53
	v_add_co_u32 v50, vcc_lo, v48, v84
	v_min3_f32 v52, v55, v54, v51
	v_lshlrev_b64 v[44:45], 2, v[44:45]
	v_add_co_ci_u32_e32 v51, vcc_lo, v49, v85, vcc_lo
	v_lshlrev_b64 v[46:47], 2, v[46:47]
	s_delay_alu instid0(VALU_DEP_4) | instskip(NEXT) | instid1(VALU_DEP_4)
	v_max_f32_e32 v48, v52, v52
	v_add_co_u32 v44, vcc_lo, s0, v44
	v_add_co_ci_u32_e32 v45, vcc_lo, s1, v45, vcc_lo
	s_delay_alu instid0(VALU_DEP_4)
	v_add_co_u32 v46, vcc_lo, s4, v46
	v_add_co_ci_u32_e32 v47, vcc_lo, s5, v47, vcc_lo
	s_mov_b32 vcc_lo, s2
	global_store_b32 v[50:51], v53, off
	s_cbranch_vccz .LBB10_107
; %bb.105:
	v_add_co_u32 v49, vcc_lo, v44, v80
	v_min_f32_e32 v51, 0, v48
	v_add_co_ci_u32_e32 v50, vcc_lo, v45, v81, vcc_lo
	s_mov_b32 s6, 0
	global_store_b32 v[49:50], v51, off
	s_cbranch_execz .LBB10_108
; %bb.106:
	v_mov_b32_e32 v48, s6
	s_branch .LBB10_109
.LBB10_107:
	s_mov_b32 s6, -1
.LBB10_108:
	v_add_co_u32 v49, vcc_lo, v46, v80
	v_add_co_ci_u32_e32 v50, vcc_lo, v47, v81, vcc_lo
	flat_load_b32 v49, v[49:50]
	s_waitcnt vmcnt(0) lgkmcnt(0)
	v_mul_f32_e32 v51, s3, v49
	v_add_co_u32 v49, vcc_lo, v44, v80
	v_add_co_ci_u32_e32 v50, vcc_lo, v45, v81, vcc_lo
	s_delay_alu instid0(VALU_DEP_3)
	v_min_f32_e32 v48, v51, v48
	v_add_co_u32 v51, vcc_lo, v46, v82
	v_add_co_ci_u32_e32 v52, vcc_lo, v47, v83, vcc_lo
	global_store_b32 v[49:50], v48, off
	flat_load_b32 v48, v[51:52]
	s_waitcnt vmcnt(0) lgkmcnt(0)
	v_mul_f32_e32 v48, s3, v48
.LBB10_109:
	v_dual_add_f32 v49, v13, v41 :: v_dual_add_f32 v50, v12, v40
	v_dual_add_f32 v51, v9, v41 :: v_dual_add_f32 v52, v8, v40
	;; [unrolled: 1-line block ×3, first 2 shown]
	s_delay_alu instid0(VALU_DEP_3) | instskip(NEXT) | instid1(VALU_DEP_3)
	v_min3_f32 v49, v50, v49, v113
	v_min3_f32 v50, v52, v51, v115
	v_dual_add_f32 v51, v11, v43 :: v_dual_add_f32 v52, v10, v42
	s_delay_alu instid0(VALU_DEP_1) | instskip(SKIP_1) | instid1(VALU_DEP_1)
	v_min3_f32 v51, v52, v51, v50
	v_min_f32_e32 v53, v54, v53
	v_min3_f32 v52, v48, v53, v49
	s_delay_alu instid0(VALU_DEP_3)
	v_max_f32_e32 v48, v51, v51
	v_add_co_u32 v49, vcc_lo, v44, v82
	v_add_co_ci_u32_e32 v50, vcc_lo, v45, v83, vcc_lo
	s_mov_b32 vcc_lo, s2
	global_store_b32 v[49:50], v52, off
	s_cbranch_vccz .LBB10_112
; %bb.110:
	v_add_co_u32 v49, vcc_lo, v44, v86
	v_min_f32_e32 v51, 0, v48
	v_add_co_ci_u32_e32 v50, vcc_lo, v45, v87, vcc_lo
	s_mov_b32 s6, 0
	global_store_b32 v[49:50], v51, off
	s_cbranch_execz .LBB10_113
; %bb.111:
	v_mov_b32_e32 v46, s6
	s_branch .LBB10_114
.LBB10_112:
	s_mov_b32 s6, -1
.LBB10_113:
	v_add_co_u32 v49, vcc_lo, v46, v86
	v_add_co_ci_u32_e32 v50, vcc_lo, v47, v87, vcc_lo
	flat_load_b32 v49, v[49:50]
	s_waitcnt vmcnt(0) lgkmcnt(0)
	v_mul_f32_e32 v51, s3, v49
	v_add_co_u32 v49, vcc_lo, v44, v86
	v_add_co_ci_u32_e32 v50, vcc_lo, v45, v87, vcc_lo
	v_add_co_u32 v46, vcc_lo, v46, v84
	s_delay_alu instid0(VALU_DEP_4)
	v_min_f32_e32 v48, v51, v48
	v_add_co_ci_u32_e32 v47, vcc_lo, v47, v85, vcc_lo
	global_store_b32 v[49:50], v48, off
	flat_load_b32 v46, v[46:47]
	s_waitcnt vmcnt(0) lgkmcnt(0)
	v_mul_f32_e32 v46, s3, v46
.LBB10_114:
	s_waitcnt lgkmcnt(5)
	v_dual_add_f32 v47, v17, v37 :: v_dual_add_f32 v48, v16, v36
	v_dual_add_f32 v41, v1, v41 :: v_dual_add_f32 v40, v0, v40
	;; [unrolled: 1-line block ×3, first 2 shown]
	s_delay_alu instid0(VALU_DEP_3) | instskip(SKIP_1) | instid1(VALU_DEP_4)
	v_min3_f32 v47, v48, v47, v114
	v_add_nc_u32_e32 v48, 0x50, v117
	v_min3_f32 v49, v40, v41, v111
	v_dual_add_f32 v50, v19, v39 :: v_dual_add_f32 v51, v18, v38
	v_min_f32_e32 v52, v42, v43
	s_delay_alu instid0(VALU_DEP_4) | instskip(SKIP_1) | instid1(VALU_DEP_3)
	v_mad_i64_i32 v[40:41], null, v48, s10, 0
	v_mad_i64_i32 v[42:43], null, v48, s8, 0
	v_min3_f32 v49, v46, v52, v49
	v_add_co_u32 v46, vcc_lo, v44, v84
	v_min3_f32 v48, v51, v50, v47
	v_lshlrev_b64 v[40:41], 2, v[40:41]
	v_add_co_ci_u32_e32 v47, vcc_lo, v45, v85, vcc_lo
	v_lshlrev_b64 v[42:43], 2, v[42:43]
	s_delay_alu instid0(VALU_DEP_4) | instskip(NEXT) | instid1(VALU_DEP_4)
	v_max_f32_e32 v44, v48, v48
	v_add_co_u32 v40, vcc_lo, s0, v40
	v_add_co_ci_u32_e32 v41, vcc_lo, s1, v41, vcc_lo
	s_delay_alu instid0(VALU_DEP_4)
	v_add_co_u32 v42, vcc_lo, s4, v42
	v_add_co_ci_u32_e32 v43, vcc_lo, s5, v43, vcc_lo
	s_mov_b32 vcc_lo, s2
	global_store_b32 v[46:47], v49, off
	s_cbranch_vccz .LBB10_117
; %bb.115:
	v_add_co_u32 v45, vcc_lo, v40, v80
	v_min_f32_e32 v47, 0, v44
	v_add_co_ci_u32_e32 v46, vcc_lo, v41, v81, vcc_lo
	s_mov_b32 s6, 0
	global_store_b32 v[45:46], v47, off
	s_cbranch_execz .LBB10_118
; %bb.116:
	v_mov_b32_e32 v44, s6
	s_branch .LBB10_119
.LBB10_117:
	s_mov_b32 s6, -1
.LBB10_118:
	v_add_co_u32 v45, vcc_lo, v42, v80
	v_add_co_ci_u32_e32 v46, vcc_lo, v43, v81, vcc_lo
	flat_load_b32 v45, v[45:46]
	s_waitcnt vmcnt(0) lgkmcnt(0)
	v_mul_f32_e32 v47, s3, v45
	v_add_co_u32 v45, vcc_lo, v40, v80
	v_add_co_ci_u32_e32 v46, vcc_lo, v41, v81, vcc_lo
	s_delay_alu instid0(VALU_DEP_3)
	v_min_f32_e32 v44, v47, v44
	v_add_co_u32 v47, vcc_lo, v42, v82
	v_add_co_ci_u32_e32 v48, vcc_lo, v43, v83, vcc_lo
	global_store_b32 v[45:46], v44, off
	flat_load_b32 v44, v[47:48]
	s_waitcnt vmcnt(0) lgkmcnt(0)
	v_mul_f32_e32 v44, s3, v44
.LBB10_119:
	v_dual_add_f32 v45, v13, v37 :: v_dual_add_f32 v46, v12, v36
	v_dual_add_f32 v47, v9, v37 :: v_dual_add_f32 v48, v8, v36
	;; [unrolled: 1-line block ×3, first 2 shown]
	s_delay_alu instid0(VALU_DEP_3) | instskip(NEXT) | instid1(VALU_DEP_3)
	v_min3_f32 v45, v46, v45, v107
	v_min3_f32 v46, v48, v47, v110
	v_dual_add_f32 v47, v11, v39 :: v_dual_add_f32 v48, v10, v38
	s_delay_alu instid0(VALU_DEP_1) | instskip(SKIP_1) | instid1(VALU_DEP_1)
	v_min3_f32 v47, v48, v47, v46
	v_min_f32_e32 v49, v50, v49
	v_min3_f32 v48, v44, v49, v45
	s_delay_alu instid0(VALU_DEP_3)
	v_max_f32_e32 v44, v47, v47
	v_add_co_u32 v45, vcc_lo, v40, v82
	v_add_co_ci_u32_e32 v46, vcc_lo, v41, v83, vcc_lo
	s_mov_b32 vcc_lo, s2
	global_store_b32 v[45:46], v48, off
	s_cbranch_vccz .LBB10_122
; %bb.120:
	v_add_co_u32 v45, vcc_lo, v40, v86
	v_min_f32_e32 v47, 0, v44
	v_add_co_ci_u32_e32 v46, vcc_lo, v41, v87, vcc_lo
	s_mov_b32 s6, 0
	global_store_b32 v[45:46], v47, off
	s_cbranch_execz .LBB10_123
; %bb.121:
	v_mov_b32_e32 v42, s6
	s_branch .LBB10_124
.LBB10_122:
	s_mov_b32 s6, -1
.LBB10_123:
	v_add_co_u32 v45, vcc_lo, v42, v86
	v_add_co_ci_u32_e32 v46, vcc_lo, v43, v87, vcc_lo
	flat_load_b32 v45, v[45:46]
	s_waitcnt vmcnt(0) lgkmcnt(0)
	v_mul_f32_e32 v47, s3, v45
	v_add_co_u32 v45, vcc_lo, v40, v86
	v_add_co_ci_u32_e32 v46, vcc_lo, v41, v87, vcc_lo
	v_add_co_u32 v42, vcc_lo, v42, v84
	s_delay_alu instid0(VALU_DEP_4)
	v_min_f32_e32 v44, v47, v44
	v_add_co_ci_u32_e32 v43, vcc_lo, v43, v85, vcc_lo
	global_store_b32 v[45:46], v44, off
	flat_load_b32 v42, v[42:43]
	s_waitcnt vmcnt(0) lgkmcnt(0)
	v_mul_f32_e32 v42, s3, v42
.LBB10_124:
	s_waitcnt lgkmcnt(4)
	v_dual_add_f32 v43, v17, v33 :: v_dual_add_f32 v44, v16, v32
	v_dual_add_f32 v37, v1, v37 :: v_dual_add_f32 v36, v0, v36
	;; [unrolled: 1-line block ×3, first 2 shown]
	s_delay_alu instid0(VALU_DEP_3) | instskip(SKIP_1) | instid1(VALU_DEP_4)
	v_min3_f32 v43, v44, v43, v109
	v_add_nc_u32_e32 v44, 0x58, v117
	v_min3_f32 v45, v36, v37, v106
	v_dual_add_f32 v46, v19, v35 :: v_dual_add_f32 v47, v18, v34
	v_min_f32_e32 v48, v38, v39
	s_delay_alu instid0(VALU_DEP_4) | instskip(SKIP_1) | instid1(VALU_DEP_3)
	v_mad_i64_i32 v[36:37], null, v44, s10, 0
	v_mad_i64_i32 v[38:39], null, v44, s8, 0
	v_min3_f32 v45, v42, v48, v45
	v_add_co_u32 v42, vcc_lo, v40, v84
	v_min3_f32 v44, v47, v46, v43
	v_lshlrev_b64 v[36:37], 2, v[36:37]
	v_add_co_ci_u32_e32 v43, vcc_lo, v41, v85, vcc_lo
	v_lshlrev_b64 v[38:39], 2, v[38:39]
	s_delay_alu instid0(VALU_DEP_4) | instskip(NEXT) | instid1(VALU_DEP_4)
	v_max_f32_e32 v40, v44, v44
	v_add_co_u32 v36, vcc_lo, s0, v36
	v_add_co_ci_u32_e32 v37, vcc_lo, s1, v37, vcc_lo
	s_delay_alu instid0(VALU_DEP_4)
	v_add_co_u32 v38, vcc_lo, s4, v38
	v_add_co_ci_u32_e32 v39, vcc_lo, s5, v39, vcc_lo
	s_mov_b32 vcc_lo, s2
	global_store_b32 v[42:43], v45, off
	s_cbranch_vccz .LBB10_127
; %bb.125:
	v_add_co_u32 v41, vcc_lo, v36, v80
	v_min_f32_e32 v43, 0, v40
	v_add_co_ci_u32_e32 v42, vcc_lo, v37, v81, vcc_lo
	s_mov_b32 s6, 0
	global_store_b32 v[41:42], v43, off
	s_cbranch_execz .LBB10_128
; %bb.126:
	v_mov_b32_e32 v40, s6
	s_branch .LBB10_129
.LBB10_127:
	s_mov_b32 s6, -1
.LBB10_128:
	v_add_co_u32 v41, vcc_lo, v38, v80
	v_add_co_ci_u32_e32 v42, vcc_lo, v39, v81, vcc_lo
	flat_load_b32 v41, v[41:42]
	s_waitcnt vmcnt(0) lgkmcnt(0)
	v_mul_f32_e32 v43, s3, v41
	v_add_co_u32 v41, vcc_lo, v36, v80
	v_add_co_ci_u32_e32 v42, vcc_lo, v37, v81, vcc_lo
	s_delay_alu instid0(VALU_DEP_3)
	v_min_f32_e32 v40, v43, v40
	v_add_co_u32 v43, vcc_lo, v38, v82
	v_add_co_ci_u32_e32 v44, vcc_lo, v39, v83, vcc_lo
	global_store_b32 v[41:42], v40, off
	flat_load_b32 v40, v[43:44]
	s_waitcnt vmcnt(0) lgkmcnt(0)
	v_mul_f32_e32 v40, s3, v40
.LBB10_129:
	v_dual_add_f32 v41, v13, v33 :: v_dual_add_f32 v42, v12, v32
	v_dual_add_f32 v43, v9, v33 :: v_dual_add_f32 v44, v8, v32
	;; [unrolled: 1-line block ×3, first 2 shown]
	s_delay_alu instid0(VALU_DEP_3) | instskip(NEXT) | instid1(VALU_DEP_3)
	v_min3_f32 v41, v42, v41, v103
	v_min3_f32 v42, v44, v43, v105
	v_dual_add_f32 v43, v11, v35 :: v_dual_add_f32 v44, v10, v34
	s_delay_alu instid0(VALU_DEP_1) | instskip(SKIP_1) | instid1(VALU_DEP_1)
	v_min3_f32 v43, v44, v43, v42
	v_min_f32_e32 v45, v46, v45
	v_min3_f32 v44, v40, v45, v41
	s_delay_alu instid0(VALU_DEP_3)
	v_max_f32_e32 v40, v43, v43
	v_add_co_u32 v41, vcc_lo, v36, v82
	v_add_co_ci_u32_e32 v42, vcc_lo, v37, v83, vcc_lo
	s_mov_b32 vcc_lo, s2
	global_store_b32 v[41:42], v44, off
	s_cbranch_vccz .LBB10_132
; %bb.130:
	v_add_co_u32 v41, vcc_lo, v36, v86
	v_min_f32_e32 v43, 0, v40
	v_add_co_ci_u32_e32 v42, vcc_lo, v37, v87, vcc_lo
	s_mov_b32 s6, 0
	global_store_b32 v[41:42], v43, off
	s_cbranch_execz .LBB10_133
; %bb.131:
	v_mov_b32_e32 v38, s6
	s_branch .LBB10_134
.LBB10_132:
	s_mov_b32 s6, -1
.LBB10_133:
	v_add_co_u32 v41, vcc_lo, v38, v86
	v_add_co_ci_u32_e32 v42, vcc_lo, v39, v87, vcc_lo
	flat_load_b32 v41, v[41:42]
	s_waitcnt vmcnt(0) lgkmcnt(0)
	v_mul_f32_e32 v43, s3, v41
	v_add_co_u32 v41, vcc_lo, v36, v86
	v_add_co_ci_u32_e32 v42, vcc_lo, v37, v87, vcc_lo
	v_add_co_u32 v38, vcc_lo, v38, v84
	s_delay_alu instid0(VALU_DEP_4)
	v_min_f32_e32 v40, v43, v40
	v_add_co_ci_u32_e32 v39, vcc_lo, v39, v85, vcc_lo
	global_store_b32 v[41:42], v40, off
	flat_load_b32 v38, v[38:39]
	s_waitcnt vmcnt(0) lgkmcnt(0)
	v_mul_f32_e32 v38, s3, v38
.LBB10_134:
	s_waitcnt lgkmcnt(3)
	v_dual_add_f32 v39, v17, v29 :: v_dual_add_f32 v40, v16, v28
	v_dual_add_f32 v33, v1, v33 :: v_dual_add_f32 v32, v0, v32
	;; [unrolled: 1-line block ×3, first 2 shown]
	s_delay_alu instid0(VALU_DEP_3) | instskip(SKIP_1) | instid1(VALU_DEP_4)
	v_min3_f32 v39, v40, v39, v104
	v_add_nc_u32_e32 v40, 0x60, v117
	v_min3_f32 v41, v32, v33, v102
	v_dual_add_f32 v42, v19, v31 :: v_dual_add_f32 v43, v18, v30
	v_min_f32_e32 v44, v34, v35
	s_delay_alu instid0(VALU_DEP_4) | instskip(SKIP_1) | instid1(VALU_DEP_3)
	v_mad_i64_i32 v[32:33], null, v40, s10, 0
	v_mad_i64_i32 v[34:35], null, v40, s8, 0
	v_min3_f32 v41, v38, v44, v41
	v_add_co_u32 v38, vcc_lo, v36, v84
	v_min3_f32 v40, v43, v42, v39
	v_lshlrev_b64 v[32:33], 2, v[32:33]
	v_add_co_ci_u32_e32 v39, vcc_lo, v37, v85, vcc_lo
	v_lshlrev_b64 v[34:35], 2, v[34:35]
	s_delay_alu instid0(VALU_DEP_4) | instskip(NEXT) | instid1(VALU_DEP_4)
	v_max_f32_e32 v36, v40, v40
	v_add_co_u32 v32, vcc_lo, s0, v32
	v_add_co_ci_u32_e32 v33, vcc_lo, s1, v33, vcc_lo
	s_delay_alu instid0(VALU_DEP_4)
	v_add_co_u32 v34, vcc_lo, s4, v34
	v_add_co_ci_u32_e32 v35, vcc_lo, s5, v35, vcc_lo
	s_mov_b32 vcc_lo, s2
	global_store_b32 v[38:39], v41, off
	s_cbranch_vccz .LBB10_137
; %bb.135:
	v_add_co_u32 v37, vcc_lo, v32, v80
	v_min_f32_e32 v39, 0, v36
	v_add_co_ci_u32_e32 v38, vcc_lo, v33, v81, vcc_lo
	s_mov_b32 s6, 0
	global_store_b32 v[37:38], v39, off
	s_cbranch_execz .LBB10_138
; %bb.136:
	v_mov_b32_e32 v36, s6
	s_branch .LBB10_139
.LBB10_137:
	s_mov_b32 s6, -1
.LBB10_138:
	v_add_co_u32 v37, vcc_lo, v34, v80
	v_add_co_ci_u32_e32 v38, vcc_lo, v35, v81, vcc_lo
	flat_load_b32 v37, v[37:38]
	s_waitcnt vmcnt(0) lgkmcnt(0)
	v_mul_f32_e32 v39, s3, v37
	v_add_co_u32 v37, vcc_lo, v32, v80
	v_add_co_ci_u32_e32 v38, vcc_lo, v33, v81, vcc_lo
	s_delay_alu instid0(VALU_DEP_3)
	v_min_f32_e32 v36, v39, v36
	v_add_co_u32 v39, vcc_lo, v34, v82
	v_add_co_ci_u32_e32 v40, vcc_lo, v35, v83, vcc_lo
	global_store_b32 v[37:38], v36, off
	flat_load_b32 v36, v[39:40]
	s_waitcnt vmcnt(0) lgkmcnt(0)
	v_mul_f32_e32 v36, s3, v36
.LBB10_139:
	v_dual_add_f32 v37, v13, v29 :: v_dual_add_f32 v38, v12, v28
	v_dual_add_f32 v39, v9, v29 :: v_dual_add_f32 v40, v8, v28
	;; [unrolled: 1-line block ×3, first 2 shown]
	s_delay_alu instid0(VALU_DEP_3) | instskip(NEXT) | instid1(VALU_DEP_3)
	v_min3_f32 v37, v38, v37, v99
	v_min3_f32 v38, v40, v39, v101
	v_dual_add_f32 v39, v11, v31 :: v_dual_add_f32 v40, v10, v30
	s_delay_alu instid0(VALU_DEP_1) | instskip(SKIP_1) | instid1(VALU_DEP_1)
	v_min3_f32 v39, v40, v39, v38
	v_min_f32_e32 v41, v42, v41
	v_min3_f32 v40, v36, v41, v37
	s_delay_alu instid0(VALU_DEP_3)
	v_max_f32_e32 v36, v39, v39
	v_add_co_u32 v37, vcc_lo, v32, v82
	v_add_co_ci_u32_e32 v38, vcc_lo, v33, v83, vcc_lo
	s_mov_b32 vcc_lo, s2
	global_store_b32 v[37:38], v40, off
	s_cbranch_vccz .LBB10_142
; %bb.140:
	v_add_co_u32 v37, vcc_lo, v32, v86
	v_min_f32_e32 v39, 0, v36
	v_add_co_ci_u32_e32 v38, vcc_lo, v33, v87, vcc_lo
	s_mov_b32 s6, 0
	global_store_b32 v[37:38], v39, off
	s_cbranch_execz .LBB10_143
; %bb.141:
	v_mov_b32_e32 v34, s6
	s_branch .LBB10_144
.LBB10_142:
	s_mov_b32 s6, -1
.LBB10_143:
	v_add_co_u32 v37, vcc_lo, v34, v86
	v_add_co_ci_u32_e32 v38, vcc_lo, v35, v87, vcc_lo
	flat_load_b32 v37, v[37:38]
	s_waitcnt vmcnt(0) lgkmcnt(0)
	v_mul_f32_e32 v39, s3, v37
	v_add_co_u32 v37, vcc_lo, v32, v86
	v_add_co_ci_u32_e32 v38, vcc_lo, v33, v87, vcc_lo
	v_add_co_u32 v34, vcc_lo, v34, v84
	s_delay_alu instid0(VALU_DEP_4)
	v_min_f32_e32 v36, v39, v36
	v_add_co_ci_u32_e32 v35, vcc_lo, v35, v85, vcc_lo
	global_store_b32 v[37:38], v36, off
	flat_load_b32 v34, v[34:35]
	s_waitcnt vmcnt(0) lgkmcnt(0)
	v_mul_f32_e32 v34, s3, v34
.LBB10_144:
	s_waitcnt lgkmcnt(2)
	v_dual_add_f32 v35, v17, v25 :: v_dual_add_f32 v36, v16, v24
	v_dual_add_f32 v29, v1, v29 :: v_dual_add_f32 v28, v0, v28
	;; [unrolled: 1-line block ×3, first 2 shown]
	s_delay_alu instid0(VALU_DEP_3) | instskip(SKIP_1) | instid1(VALU_DEP_4)
	v_min3_f32 v35, v36, v35, v100
	v_add_nc_u32_e32 v36, 0x68, v117
	v_min3_f32 v37, v28, v29, v98
	v_dual_add_f32 v38, v19, v27 :: v_dual_add_f32 v39, v18, v26
	v_min_f32_e32 v40, v30, v31
	s_delay_alu instid0(VALU_DEP_4) | instskip(SKIP_1) | instid1(VALU_DEP_3)
	v_mad_i64_i32 v[28:29], null, v36, s10, 0
	v_mad_i64_i32 v[30:31], null, v36, s8, 0
	v_min3_f32 v37, v34, v40, v37
	v_add_co_u32 v34, vcc_lo, v32, v84
	v_min3_f32 v36, v39, v38, v35
	v_lshlrev_b64 v[28:29], 2, v[28:29]
	v_add_co_ci_u32_e32 v35, vcc_lo, v33, v85, vcc_lo
	v_lshlrev_b64 v[30:31], 2, v[30:31]
	s_delay_alu instid0(VALU_DEP_4) | instskip(NEXT) | instid1(VALU_DEP_4)
	v_max_f32_e32 v32, v36, v36
	v_add_co_u32 v28, vcc_lo, s0, v28
	v_add_co_ci_u32_e32 v29, vcc_lo, s1, v29, vcc_lo
	s_delay_alu instid0(VALU_DEP_4)
	v_add_co_u32 v30, vcc_lo, s4, v30
	v_add_co_ci_u32_e32 v31, vcc_lo, s5, v31, vcc_lo
	s_mov_b32 vcc_lo, s2
	global_store_b32 v[34:35], v37, off
	s_cbranch_vccz .LBB10_147
; %bb.145:
	v_add_co_u32 v33, vcc_lo, v28, v80
	v_min_f32_e32 v35, 0, v32
	v_add_co_ci_u32_e32 v34, vcc_lo, v29, v81, vcc_lo
	s_mov_b32 s6, 0
	global_store_b32 v[33:34], v35, off
	s_cbranch_execz .LBB10_148
; %bb.146:
	v_mov_b32_e32 v32, s6
	s_branch .LBB10_149
.LBB10_147:
	s_mov_b32 s6, -1
.LBB10_148:
	v_add_co_u32 v33, vcc_lo, v30, v80
	v_add_co_ci_u32_e32 v34, vcc_lo, v31, v81, vcc_lo
	flat_load_b32 v33, v[33:34]
	s_waitcnt vmcnt(0) lgkmcnt(0)
	v_mul_f32_e32 v35, s3, v33
	v_add_co_u32 v33, vcc_lo, v28, v80
	v_add_co_ci_u32_e32 v34, vcc_lo, v29, v81, vcc_lo
	s_delay_alu instid0(VALU_DEP_3)
	v_min_f32_e32 v32, v35, v32
	v_add_co_u32 v35, vcc_lo, v30, v82
	v_add_co_ci_u32_e32 v36, vcc_lo, v31, v83, vcc_lo
	global_store_b32 v[33:34], v32, off
	flat_load_b32 v32, v[35:36]
	s_waitcnt vmcnt(0) lgkmcnt(0)
	v_mul_f32_e32 v32, s3, v32
.LBB10_149:
	v_dual_add_f32 v33, v13, v25 :: v_dual_add_f32 v34, v12, v24
	v_dual_add_f32 v35, v9, v25 :: v_dual_add_f32 v36, v8, v24
	;; [unrolled: 1-line block ×3, first 2 shown]
	s_delay_alu instid0(VALU_DEP_3) | instskip(NEXT) | instid1(VALU_DEP_3)
	v_min3_f32 v33, v34, v33, v95
	v_min3_f32 v34, v36, v35, v97
	v_dual_add_f32 v35, v11, v27 :: v_dual_add_f32 v36, v10, v26
	s_delay_alu instid0(VALU_DEP_1) | instskip(SKIP_1) | instid1(VALU_DEP_1)
	v_min3_f32 v35, v36, v35, v34
	v_min_f32_e32 v37, v38, v37
	v_min3_f32 v36, v32, v37, v33
	s_delay_alu instid0(VALU_DEP_3)
	v_max_f32_e32 v32, v35, v35
	v_add_co_u32 v33, vcc_lo, v28, v82
	v_add_co_ci_u32_e32 v34, vcc_lo, v29, v83, vcc_lo
	s_mov_b32 vcc_lo, s2
	global_store_b32 v[33:34], v36, off
	s_cbranch_vccz .LBB10_152
; %bb.150:
	v_add_co_u32 v33, vcc_lo, v28, v86
	v_min_f32_e32 v35, 0, v32
	v_add_co_ci_u32_e32 v34, vcc_lo, v29, v87, vcc_lo
	s_mov_b32 s6, 0
	global_store_b32 v[33:34], v35, off
	s_cbranch_execz .LBB10_153
; %bb.151:
	v_mov_b32_e32 v30, s6
	s_branch .LBB10_154
.LBB10_152:
	s_mov_b32 s6, -1
.LBB10_153:
	v_add_co_u32 v33, vcc_lo, v30, v86
	v_add_co_ci_u32_e32 v34, vcc_lo, v31, v87, vcc_lo
	flat_load_b32 v33, v[33:34]
	s_waitcnt vmcnt(0) lgkmcnt(0)
	v_mul_f32_e32 v35, s3, v33
	v_add_co_u32 v33, vcc_lo, v28, v86
	v_add_co_ci_u32_e32 v34, vcc_lo, v29, v87, vcc_lo
	v_add_co_u32 v30, vcc_lo, v30, v84
	s_delay_alu instid0(VALU_DEP_4)
	v_min_f32_e32 v32, v35, v32
	v_add_co_ci_u32_e32 v31, vcc_lo, v31, v85, vcc_lo
	global_store_b32 v[33:34], v32, off
	flat_load_b32 v30, v[30:31]
	s_waitcnt vmcnt(0) lgkmcnt(0)
	v_mul_f32_e32 v30, s3, v30
.LBB10_154:
	s_waitcnt lgkmcnt(1)
	v_dual_add_f32 v31, v17, v21 :: v_dual_add_f32 v32, v16, v20
	v_dual_add_f32 v25, v1, v25 :: v_dual_add_f32 v24, v0, v24
	;; [unrolled: 1-line block ×3, first 2 shown]
	s_delay_alu instid0(VALU_DEP_3) | instskip(SKIP_1) | instid1(VALU_DEP_4)
	v_min3_f32 v31, v32, v31, v96
	v_add_nc_u32_e32 v32, 0x70, v117
	v_min3_f32 v33, v24, v25, v94
	v_dual_add_f32 v34, v19, v23 :: v_dual_add_f32 v35, v18, v22
	v_min_f32_e32 v36, v26, v27
	s_delay_alu instid0(VALU_DEP_4) | instskip(SKIP_1) | instid1(VALU_DEP_3)
	v_mad_i64_i32 v[24:25], null, v32, s10, 0
	v_mad_i64_i32 v[26:27], null, v32, s8, 0
	v_min3_f32 v33, v30, v36, v33
	v_add_co_u32 v30, vcc_lo, v28, v84
	v_min3_f32 v32, v35, v34, v31
	v_lshlrev_b64 v[24:25], 2, v[24:25]
	v_add_co_ci_u32_e32 v31, vcc_lo, v29, v85, vcc_lo
	v_lshlrev_b64 v[26:27], 2, v[26:27]
	s_delay_alu instid0(VALU_DEP_4) | instskip(NEXT) | instid1(VALU_DEP_4)
	v_max_f32_e32 v28, v32, v32
	v_add_co_u32 v24, vcc_lo, s0, v24
	v_add_co_ci_u32_e32 v25, vcc_lo, s1, v25, vcc_lo
	s_delay_alu instid0(VALU_DEP_4)
	v_add_co_u32 v26, vcc_lo, s4, v26
	v_add_co_ci_u32_e32 v27, vcc_lo, s5, v27, vcc_lo
	s_mov_b32 vcc_lo, s2
	global_store_b32 v[30:31], v33, off
	s_cbranch_vccz .LBB10_157
; %bb.155:
	v_add_co_u32 v29, vcc_lo, v24, v80
	v_min_f32_e32 v31, 0, v28
	v_add_co_ci_u32_e32 v30, vcc_lo, v25, v81, vcc_lo
	s_mov_b32 s6, 0
	global_store_b32 v[29:30], v31, off
	s_cbranch_execz .LBB10_158
; %bb.156:
	v_mov_b32_e32 v28, s6
	s_branch .LBB10_159
.LBB10_157:
	s_mov_b32 s6, -1
.LBB10_158:
	v_add_co_u32 v29, vcc_lo, v26, v80
	v_add_co_ci_u32_e32 v30, vcc_lo, v27, v81, vcc_lo
	flat_load_b32 v29, v[29:30]
	s_waitcnt vmcnt(0) lgkmcnt(0)
	v_mul_f32_e32 v31, s3, v29
	v_add_co_u32 v29, vcc_lo, v24, v80
	v_add_co_ci_u32_e32 v30, vcc_lo, v25, v81, vcc_lo
	s_delay_alu instid0(VALU_DEP_3)
	v_min_f32_e32 v28, v31, v28
	v_add_co_u32 v31, vcc_lo, v26, v82
	v_add_co_ci_u32_e32 v32, vcc_lo, v27, v83, vcc_lo
	global_store_b32 v[29:30], v28, off
	flat_load_b32 v28, v[31:32]
	s_waitcnt vmcnt(0) lgkmcnt(0)
	v_mul_f32_e32 v28, s3, v28
.LBB10_159:
	v_dual_add_f32 v29, v13, v21 :: v_dual_add_f32 v30, v12, v20
	v_dual_add_f32 v31, v9, v21 :: v_dual_add_f32 v32, v8, v20
	;; [unrolled: 1-line block ×3, first 2 shown]
	s_delay_alu instid0(VALU_DEP_3) | instskip(NEXT) | instid1(VALU_DEP_3)
	v_min3_f32 v29, v30, v29, v92
	v_min3_f32 v30, v32, v31, v93
	v_dual_add_f32 v31, v11, v23 :: v_dual_add_f32 v32, v10, v22
	s_delay_alu instid0(VALU_DEP_1) | instskip(SKIP_1) | instid1(VALU_DEP_1)
	v_min3_f32 v31, v32, v31, v30
	v_min_f32_e32 v33, v34, v33
	v_min3_f32 v32, v28, v33, v29
	s_delay_alu instid0(VALU_DEP_3)
	v_max_f32_e32 v28, v31, v31
	v_add_co_u32 v29, vcc_lo, v24, v82
	v_add_co_ci_u32_e32 v30, vcc_lo, v25, v83, vcc_lo
	s_mov_b32 vcc_lo, s2
	global_store_b32 v[29:30], v32, off
	s_cbranch_vccz .LBB10_162
; %bb.160:
	v_add_co_u32 v29, vcc_lo, v24, v86
	v_min_f32_e32 v31, 0, v28
	v_add_co_ci_u32_e32 v30, vcc_lo, v25, v87, vcc_lo
	s_mov_b32 s6, 0
	global_store_b32 v[29:30], v31, off
	s_cbranch_execz .LBB10_163
; %bb.161:
	v_mov_b32_e32 v26, s6
	s_branch .LBB10_164
.LBB10_162:
	s_mov_b32 s6, -1
.LBB10_163:
	v_add_co_u32 v29, vcc_lo, v26, v86
	v_add_co_ci_u32_e32 v30, vcc_lo, v27, v87, vcc_lo
	flat_load_b32 v29, v[29:30]
	s_waitcnt vmcnt(0) lgkmcnt(0)
	v_mul_f32_e32 v31, s3, v29
	v_add_co_u32 v29, vcc_lo, v24, v86
	v_add_co_ci_u32_e32 v30, vcc_lo, v25, v87, vcc_lo
	v_add_co_u32 v26, vcc_lo, v26, v84
	s_delay_alu instid0(VALU_DEP_4)
	v_min_f32_e32 v28, v31, v28
	v_add_co_ci_u32_e32 v27, vcc_lo, v27, v85, vcc_lo
	global_store_b32 v[29:30], v28, off
	flat_load_b32 v26, v[26:27]
	s_waitcnt vmcnt(0) lgkmcnt(0)
	v_mul_f32_e32 v26, s3, v26
.LBB10_164:
	v_dual_add_f32 v21, v1, v21 :: v_dual_add_f32 v20, v0, v20
	s_waitcnt lgkmcnt(0)
	v_dual_add_f32 v17, v17, v5 :: v_dual_add_f32 v16, v16, v4
	v_dual_add_f32 v22, v2, v22 :: v_dual_add_nc_u32 v27, 0x78, v117
	s_delay_alu instid0(VALU_DEP_3) | instskip(SKIP_1) | instid1(VALU_DEP_4)
	v_min3_f32 v20, v20, v21, v90
	v_add_f32_e32 v23, v3, v23
	v_min3_f32 v21, v16, v17, v91
	s_delay_alu instid0(VALU_DEP_4) | instskip(SKIP_3) | instid1(VALU_DEP_4)
	v_mad_i64_i32 v[16:17], null, v27, s10, 0
	v_dual_add_f32 v28, v19, v7 :: v_dual_add_f32 v29, v18, v6
	v_mad_i64_i32 v[18:19], null, v27, s8, 0
	v_min_f32_e32 v22, v22, v23
	v_lshlrev_b64 v[16:17], 2, v[16:17]
	s_delay_alu instid0(VALU_DEP_4)
	v_min3_f32 v23, v29, v28, v21
	v_add_co_u32 v21, vcc_lo, v24, v84
	v_lshlrev_b64 v[18:19], 2, v[18:19]
	v_min3_f32 v26, v26, v22, v20
	v_add_co_ci_u32_e32 v22, vcc_lo, v25, v85, vcc_lo
	v_add_co_u32 v16, vcc_lo, s0, v16
	v_add_co_ci_u32_e32 v17, vcc_lo, s1, v17, vcc_lo
	v_add_co_u32 v18, vcc_lo, s4, v18
	v_add_co_ci_u32_e32 v19, vcc_lo, s5, v19, vcc_lo
	v_max_f32_e32 v20, v23, v23
	s_mov_b32 vcc_lo, s2
	global_store_b32 v[21:22], v26, off
	s_cbranch_vccz .LBB10_167
; %bb.165:
	v_add_co_u32 v21, vcc_lo, v16, v80
	v_min_f32_e32 v23, 0, v20
	v_add_co_ci_u32_e32 v22, vcc_lo, v17, v81, vcc_lo
	s_mov_b32 s0, 0
	global_store_b32 v[21:22], v23, off
	s_cbranch_execz .LBB10_168
; %bb.166:
	v_mov_b32_e32 v20, s0
	s_branch .LBB10_169
.LBB10_167:
	s_mov_b32 s0, -1
.LBB10_168:
	v_add_co_u32 v21, vcc_lo, v18, v80
	v_add_co_ci_u32_e32 v22, vcc_lo, v19, v81, vcc_lo
	flat_load_b32 v21, v[21:22]
	s_waitcnt vmcnt(0) lgkmcnt(0)
	v_mul_f32_e32 v23, s3, v21
	v_add_co_u32 v21, vcc_lo, v16, v80
	v_add_co_ci_u32_e32 v22, vcc_lo, v17, v81, vcc_lo
	s_delay_alu instid0(VALU_DEP_3)
	v_min_f32_e32 v20, v23, v20
	v_add_co_u32 v23, vcc_lo, v18, v82
	v_add_co_ci_u32_e32 v24, vcc_lo, v19, v83, vcc_lo
	global_store_b32 v[21:22], v20, off
	flat_load_b32 v20, v[23:24]
	s_waitcnt vmcnt(0) lgkmcnt(0)
	v_mul_f32_e32 v20, s3, v20
.LBB10_169:
	v_dual_add_f32 v9, v9, v5 :: v_dual_add_f32 v8, v8, v4
	v_dual_add_f32 v13, v13, v5 :: v_dual_add_f32 v12, v12, v4
	;; [unrolled: 1-line block ×3, first 2 shown]
	s_delay_alu instid0(VALU_DEP_3) | instskip(SKIP_1) | instid1(VALU_DEP_4)
	v_min3_f32 v8, v8, v9, v89
	v_dual_add_f32 v9, v11, v7 :: v_dual_add_f32 v10, v10, v6
	v_min3_f32 v12, v12, v13, v88
	s_delay_alu instid0(VALU_DEP_2) | instskip(SKIP_3) | instid1(VALU_DEP_4)
	v_min3_f32 v8, v10, v9, v8
	v_min_f32_e32 v11, v14, v15
	v_add_co_u32 v9, vcc_lo, v16, v82
	v_add_co_ci_u32_e32 v10, vcc_lo, v17, v83, vcc_lo
	v_max_f32_e32 v8, v8, v8
	s_delay_alu instid0(VALU_DEP_4)
	v_min3_f32 v11, v20, v11, v12
	s_mov_b32 vcc_lo, s2
	global_store_b32 v[9:10], v11, off
	s_cbranch_vccz .LBB10_172
; %bb.170:
	v_add_co_u32 v9, vcc_lo, v16, v86
	v_min_f32_e32 v11, 0, v8
	v_add_co_ci_u32_e32 v10, vcc_lo, v17, v87, vcc_lo
	s_mov_b32 s0, 0
	global_store_b32 v[9:10], v11, off
	s_cbranch_execz .LBB10_173
; %bb.171:
	v_mov_b32_e32 v8, s0
	s_branch .LBB10_174
.LBB10_172:
	s_mov_b32 s0, -1
.LBB10_173:
	v_add_co_u32 v9, vcc_lo, v18, v86
	v_add_co_ci_u32_e32 v10, vcc_lo, v19, v87, vcc_lo
	flat_load_b32 v9, v[9:10]
	s_waitcnt vmcnt(0) lgkmcnt(0)
	v_mul_f32_e32 v11, s3, v9
	v_add_co_u32 v9, vcc_lo, v16, v86
	v_add_co_ci_u32_e32 v10, vcc_lo, v17, v87, vcc_lo
	s_delay_alu instid0(VALU_DEP_3)
	v_min_f32_e32 v8, v11, v8
	v_add_co_u32 v11, vcc_lo, v18, v84
	v_add_co_ci_u32_e32 v12, vcc_lo, v19, v85, vcc_lo
	global_store_b32 v[9:10], v8, off
	flat_load_b32 v8, v[11:12]
	s_waitcnt vmcnt(0) lgkmcnt(0)
	v_mul_f32_e32 v8, s3, v8
.LBB10_174:
	v_dual_add_f32 v3, v3, v7 :: v_dual_add_f32 v2, v2, v6
	v_dual_add_f32 v1, v1, v5 :: v_dual_add_f32 v0, v0, v4
	s_delay_alu instid0(VALU_DEP_2) | instskip(NEXT) | instid1(VALU_DEP_2)
	v_min_f32_e32 v2, v2, v3
	v_min3_f32 v0, v0, v1, v108
	s_delay_alu instid0(VALU_DEP_1)
	v_min3_f32 v2, v8, v2, v0
	v_add_co_u32 v0, vcc_lo, v16, v84
	v_add_co_ci_u32_e32 v1, vcc_lo, v17, v85, vcc_lo
	global_store_b32 v[0:1], v2, off
	s_nop 0
	s_sendmsg sendmsg(MSG_DEALLOC_VGPRS)
	s_endpgm
	.section	.rodata,"a",@progbits
	.p2align	6, 0x0
	.amdhsa_kernel _ZN12_GLOBAL__N_120geam_min_plus_kernelIf15HIP_vector_typeIfLj2EEfLi32ELi8ELi128ELi128ELi4ELi4ELi64ELi4ELi64ELc84ELc78ELb1ELb0ELb1EfKPKfKPfEEviiiT16_PT17_ilSA_ilS8_SA_ilPT18_ili26rocblas_geam_ex_operation_
		.amdhsa_group_segment_fixed_size 8192
		.amdhsa_private_segment_fixed_size 92
		.amdhsa_kernarg_size 128
		.amdhsa_user_sgpr_count 14
		.amdhsa_user_sgpr_dispatch_ptr 0
		.amdhsa_user_sgpr_queue_ptr 0
		.amdhsa_user_sgpr_kernarg_segment_ptr 1
		.amdhsa_user_sgpr_dispatch_id 0
		.amdhsa_user_sgpr_private_segment_size 0
		.amdhsa_wavefront_size32 1
		.amdhsa_uses_dynamic_stack 0
		.amdhsa_enable_private_segment 1
		.amdhsa_system_sgpr_workgroup_id_x 1
		.amdhsa_system_sgpr_workgroup_id_y 0
		.amdhsa_system_sgpr_workgroup_id_z 1
		.amdhsa_system_sgpr_workgroup_info 0
		.amdhsa_system_vgpr_workitem_id 1
		.amdhsa_next_free_vgpr 256
		.amdhsa_next_free_sgpr 22
		.amdhsa_reserve_vcc 1
		.amdhsa_float_round_mode_32 0
		.amdhsa_float_round_mode_16_64 0
		.amdhsa_float_denorm_mode_32 3
		.amdhsa_float_denorm_mode_16_64 3
		.amdhsa_dx10_clamp 1
		.amdhsa_ieee_mode 1
		.amdhsa_fp16_overflow 0
		.amdhsa_workgroup_processor_mode 1
		.amdhsa_memory_ordered 1
		.amdhsa_forward_progress 0
		.amdhsa_shared_vgpr_count 0
		.amdhsa_exception_fp_ieee_invalid_op 0
		.amdhsa_exception_fp_denorm_src 0
		.amdhsa_exception_fp_ieee_div_zero 0
		.amdhsa_exception_fp_ieee_overflow 0
		.amdhsa_exception_fp_ieee_underflow 0
		.amdhsa_exception_fp_ieee_inexact 0
		.amdhsa_exception_int_div_zero 0
	.end_amdhsa_kernel
	.section	.text._ZN12_GLOBAL__N_120geam_min_plus_kernelIf15HIP_vector_typeIfLj2EEfLi32ELi8ELi128ELi128ELi4ELi4ELi64ELi4ELi64ELc84ELc78ELb1ELb0ELb1EfKPKfKPfEEviiiT16_PT17_ilSA_ilS8_SA_ilPT18_ili26rocblas_geam_ex_operation_,"axG",@progbits,_ZN12_GLOBAL__N_120geam_min_plus_kernelIf15HIP_vector_typeIfLj2EEfLi32ELi8ELi128ELi128ELi4ELi4ELi64ELi4ELi64ELc84ELc78ELb1ELb0ELb1EfKPKfKPfEEviiiT16_PT17_ilSA_ilS8_SA_ilPT18_ili26rocblas_geam_ex_operation_,comdat
.Lfunc_end10:
	.size	_ZN12_GLOBAL__N_120geam_min_plus_kernelIf15HIP_vector_typeIfLj2EEfLi32ELi8ELi128ELi128ELi4ELi4ELi64ELi4ELi64ELc84ELc78ELb1ELb0ELb1EfKPKfKPfEEviiiT16_PT17_ilSA_ilS8_SA_ilPT18_ili26rocblas_geam_ex_operation_, .Lfunc_end10-_ZN12_GLOBAL__N_120geam_min_plus_kernelIf15HIP_vector_typeIfLj2EEfLi32ELi8ELi128ELi128ELi4ELi4ELi64ELi4ELi64ELc84ELc78ELb1ELb0ELb1EfKPKfKPfEEviiiT16_PT17_ilSA_ilS8_SA_ilPT18_ili26rocblas_geam_ex_operation_
                                        ; -- End function
	.section	.AMDGPU.csdata,"",@progbits
; Kernel info:
; codeLenInByte = 18260
; NumSgprs: 24
; NumVgprs: 256
; ScratchSize: 92
; MemoryBound: 0
; FloatMode: 240
; IeeeMode: 1
; LDSByteSize: 8192 bytes/workgroup (compile time only)
; SGPRBlocks: 2
; VGPRBlocks: 31
; NumSGPRsForWavesPerEU: 24
; NumVGPRsForWavesPerEU: 256
; Occupancy: 5
; WaveLimiterHint : 1
; COMPUTE_PGM_RSRC2:SCRATCH_EN: 1
; COMPUTE_PGM_RSRC2:USER_SGPR: 14
; COMPUTE_PGM_RSRC2:TRAP_HANDLER: 0
; COMPUTE_PGM_RSRC2:TGID_X_EN: 1
; COMPUTE_PGM_RSRC2:TGID_Y_EN: 0
; COMPUTE_PGM_RSRC2:TGID_Z_EN: 1
; COMPUTE_PGM_RSRC2:TIDIG_COMP_CNT: 1
	.section	.text._ZN12_GLOBAL__N_120geam_min_plus_kernelIf15HIP_vector_typeIfLj2EEfLi32ELi8ELi128ELi128ELi4ELi4ELi64ELi4ELi64ELc84ELc78ELb0ELb0ELb1EfKPKfKPfEEviiiT16_PT17_ilSA_ilS8_SA_ilPT18_ili26rocblas_geam_ex_operation_,"axG",@progbits,_ZN12_GLOBAL__N_120geam_min_plus_kernelIf15HIP_vector_typeIfLj2EEfLi32ELi8ELi128ELi128ELi4ELi4ELi64ELi4ELi64ELc84ELc78ELb0ELb0ELb1EfKPKfKPfEEviiiT16_PT17_ilSA_ilS8_SA_ilPT18_ili26rocblas_geam_ex_operation_,comdat
	.globl	_ZN12_GLOBAL__N_120geam_min_plus_kernelIf15HIP_vector_typeIfLj2EEfLi32ELi8ELi128ELi128ELi4ELi4ELi64ELi4ELi64ELc84ELc78ELb0ELb0ELb1EfKPKfKPfEEviiiT16_PT17_ilSA_ilS8_SA_ilPT18_ili26rocblas_geam_ex_operation_ ; -- Begin function _ZN12_GLOBAL__N_120geam_min_plus_kernelIf15HIP_vector_typeIfLj2EEfLi32ELi8ELi128ELi128ELi4ELi4ELi64ELi4ELi64ELc84ELc78ELb0ELb0ELb1EfKPKfKPfEEviiiT16_PT17_ilSA_ilS8_SA_ilPT18_ili26rocblas_geam_ex_operation_
	.p2align	8
	.type	_ZN12_GLOBAL__N_120geam_min_plus_kernelIf15HIP_vector_typeIfLj2EEfLi32ELi8ELi128ELi128ELi4ELi4ELi64ELi4ELi64ELc84ELc78ELb0ELb0ELb1EfKPKfKPfEEviiiT16_PT17_ilSA_ilS8_SA_ilPT18_ili26rocblas_geam_ex_operation_,@function
_ZN12_GLOBAL__N_120geam_min_plus_kernelIf15HIP_vector_typeIfLj2EEfLi32ELi8ELi128ELi128ELi4ELi4ELi64ELi4ELi64ELc84ELc78ELb0ELb0ELb1EfKPKfKPfEEviiiT16_PT17_ilSA_ilS8_SA_ilPT18_ili26rocblas_geam_ex_operation_: ; @_ZN12_GLOBAL__N_120geam_min_plus_kernelIf15HIP_vector_typeIfLj2EEfLi32ELi8ELi128ELi128ELi4ELi4ELi64ELi4ELi64ELc84ELc78ELb0ELb0ELb1EfKPKfKPfEEviiiT16_PT17_ilSA_ilS8_SA_ilPT18_ili26rocblas_geam_ex_operation_
; %bb.0:
	s_clause 0x1
	s_load_b64 s[10:11], s[0:1], 0x8
	s_load_b128 s[4:7], s[0:1], 0x20
	s_mov_b32 s18, s15
	s_mov_b32 s19, 0
	s_waitcnt lgkmcnt(0)
	v_cmp_eq_f32_e64 s2, s11, 0
	s_delay_alu instid0(VALU_DEP_1)
	s_and_b32 vcc_lo, exec_lo, s2
	s_cbranch_vccnz .LBB11_3
; %bb.1:
	s_load_b64 s[8:9], s[0:1], 0x10
	s_lshl_b64 s[12:13], s[18:19], 3
	s_waitcnt lgkmcnt(0)
	s_add_u32 s8, s8, s12
	s_addc_u32 s9, s9, s13
	s_lshl_b64 s[4:5], s[4:5], 2
	s_load_b64 s[8:9], s[8:9], 0x0
	s_waitcnt lgkmcnt(0)
	s_add_u32 s12, s8, s4
	s_addc_u32 s13, s9, s5
	s_and_not1_b32 vcc_lo, exec_lo, s2
	s_cbranch_vccnz .LBB11_4
.LBB11_2:
	s_mov_b64 s[16:17], 0
	s_and_not1_b32 vcc_lo, exec_lo, s19
	s_cbranch_vccz .LBB11_5
	s_branch .LBB11_6
.LBB11_3:
	s_mov_b64 s[12:13], 0
	s_and_not1_b32 vcc_lo, exec_lo, s2
	s_cbranch_vccz .LBB11_2
.LBB11_4:
	s_mov_b32 s19, -1
                                        ; implicit-def: $sgpr16_sgpr17
.LBB11_5:
	s_mov_b32 s19, 0
	s_load_b64 s[4:5], s[0:1], 0x38
	s_lshl_b64 s[2:3], s[18:19], 3
	s_delay_alu instid0(SALU_CYCLE_1) | instskip(SKIP_4) | instid1(SALU_CYCLE_1)
	s_add_u32 s2, s6, s2
	s_addc_u32 s3, s7, s3
	s_load_b64 s[2:3], s[2:3], 0x0
	s_waitcnt lgkmcnt(0)
	s_lshl_b64 s[4:5], s[4:5], 2
	s_add_u32 s16, s2, s4
	s_addc_u32 s17, s3, s5
.LBB11_6:
	s_clause 0x1
	s_load_b32 s15, s[0:1], 0x40
	s_load_b128 s[4:7], s[0:1], 0x58
	v_cmp_neq_f32_e64 s20, s11, 0
	s_waitcnt lgkmcnt(0)
	v_cmp_eq_f32_e64 s2, s15, 0
	s_delay_alu instid0(VALU_DEP_1) | instskip(NEXT) | instid1(SALU_CYCLE_1)
	s_and_b32 s2, exec_lo, s2
	s_mov_b32 vcc_lo, s2
	s_cbranch_vccnz .LBB11_8
; %bb.7:
	s_load_b64 s[8:9], s[0:1], 0x48
	s_lshl_b64 s[22:23], s[18:19], 3
	s_waitcnt lgkmcnt(0)
	s_add_u32 s8, s8, s22
	s_addc_u32 s9, s9, s23
	s_lshl_b64 s[4:5], s[4:5], 2
	s_load_b64 s[8:9], s[8:9], 0x0
	s_waitcnt lgkmcnt(0)
	s_add_u32 s8, s8, s4
	s_addc_u32 s9, s9, s5
	s_branch .LBB11_9
.LBB11_8:
	s_mov_b64 s[8:9], 0
.LBB11_9:
	s_clause 0x1
	s_load_b32 s3, s[0:1], 0x0
	s_load_b32 s4, s[0:1], 0x18
	s_lshl_b64 s[18:19], s[18:19], 3
	v_and_b32_e32 v17, 0x3ff, v0
	s_add_u32 s6, s6, s18
	s_addc_u32 s7, s7, s19
	v_bfe_u32 v16, v0, 10, 10
	s_load_b64 s[6:7], s[6:7], 0x0
	v_and_b32_e32 v2, 3, v17
	s_delay_alu instid0(VALU_DEP_2) | instskip(NEXT) | instid1(VALU_DEP_2)
	v_lshl_add_u32 v0, v16, 5, v17
	v_lshlrev_b32_e32 v82, 2, v2
	s_delay_alu instid0(VALU_DEP_2) | instskip(SKIP_2) | instid1(SALU_CYCLE_1)
	v_lshrrev_b32_e32 v0, 2, v0
	s_waitcnt lgkmcnt(0)
	s_add_i32 s3, s3, -1
	s_ashr_i32 s5, s3, 31
	s_delay_alu instid0(SALU_CYCLE_1) | instskip(NEXT) | instid1(SALU_CYCLE_1)
	s_lshr_b32 s5, s5, 25
	s_add_i32 s3, s3, s5
	s_delay_alu instid0(SALU_CYCLE_1) | instskip(NEXT) | instid1(SALU_CYCLE_1)
	s_ashr_i32 s3, s3, 7
	s_add_i32 s5, s3, 1
	s_not_b32 s3, s3
	v_cvt_f32_u32_e32 v1, s5
	s_delay_alu instid0(VALU_DEP_1) | instskip(SKIP_2) | instid1(VALU_DEP_1)
	v_rcp_iflag_f32_e32 v1, v1
	s_waitcnt_depctr 0xfff
	v_mul_f32_e32 v1, 0x4f7ffffe, v1
	v_cvt_u32_f32_e32 v1, v1
	s_delay_alu instid0(VALU_DEP_1) | instskip(SKIP_1) | instid1(VALU_DEP_2)
	v_readfirstlane_b32 s18, v1
	v_cndmask_b32_e64 v1, 0, 1, s20
	s_mul_i32 s3, s3, s18
	s_delay_alu instid0(SALU_CYCLE_1) | instskip(NEXT) | instid1(SALU_CYCLE_1)
	s_mul_hi_u32 s3, s18, s3
	s_add_i32 s18, s18, s3
	s_delay_alu instid0(SALU_CYCLE_1) | instskip(NEXT) | instid1(SALU_CYCLE_1)
	s_mul_hi_u32 s3, s14, s18
	s_mul_i32 s18, s3, s5
	s_add_i32 s19, s3, 1
	s_sub_i32 s18, s14, s18
	s_delay_alu instid0(SALU_CYCLE_1)
	s_sub_i32 s21, s18, s5
	s_cmp_ge_u32 s18, s5
	s_cselect_b32 s3, s19, s3
	s_cselect_b32 s18, s21, s18
	s_add_i32 s19, s3, 1
	s_cmp_ge_u32 s18, s5
	s_cselect_b32 s19, s19, s3
	s_and_not1_b32 vcc_lo, exec_lo, s20
	s_mul_i32 s3, s19, s5
	s_delay_alu instid0(SALU_CYCLE_1) | instskip(NEXT) | instid1(SALU_CYCLE_1)
	s_sub_i32 s3, s14, s3
	s_lshl_b32 s5, s3, 7
	v_cmp_ne_u32_e64 s3, 1, v1
	v_add_nc_u32_e32 v9, s5, v0
	s_delay_alu instid0(VALU_DEP_1)
	v_add_nc_u32_e32 v10, 64, v9
	s_cbranch_vccnz .LBB11_11
; %bb.10:
	v_mad_i64_i32 v[1:2], null, v9, s4, 0
	s_delay_alu instid0(VALU_DEP_2) | instskip(SKIP_1) | instid1(VALU_DEP_1)
	v_mad_i64_i32 v[3:4], null, v10, s4, 0
	v_add_co_u32 v5, s14, s12, v82
	v_add_co_ci_u32_e64 v6, null, s13, 0, s14
	s_delay_alu instid0(VALU_DEP_4) | instskip(NEXT) | instid1(VALU_DEP_4)
	v_lshlrev_b64 v[1:2], 2, v[1:2]
	v_lshlrev_b64 v[3:4], 2, v[3:4]
	s_delay_alu instid0(VALU_DEP_2) | instskip(NEXT) | instid1(VALU_DEP_3)
	v_add_co_u32 v1, vcc_lo, v5, v1
	v_add_co_ci_u32_e32 v2, vcc_lo, v6, v2, vcc_lo
	s_delay_alu instid0(VALU_DEP_3) | instskip(NEXT) | instid1(VALU_DEP_4)
	v_add_co_u32 v3, vcc_lo, v5, v3
	v_add_co_ci_u32_e32 v4, vcc_lo, v6, v4, vcc_lo
	s_clause 0x1
	flat_load_b32 v1, v[1:2]
	flat_load_b32 v2, v[3:4]
	s_waitcnt vmcnt(0) lgkmcnt(0)
	v_dual_mul_f32 v1, s11, v1 :: v_dual_mul_f32 v2, s11, v2
	s_branch .LBB11_12
.LBB11_11:
	v_dual_mov_b32 v1, 0 :: v_dual_mov_b32 v2, 0
.LBB11_12:
	s_load_b32 s18, s[0:1], 0x30
	s_lshl_b32 s14, s19, 7
	s_and_b32 vcc_lo, exec_lo, s3
	v_add_nc_u32_e32 v11, s14, v0
	s_delay_alu instid0(VALU_DEP_1)
	v_add_nc_u32_e32 v12, 64, v11
	s_cbranch_vccnz .LBB11_16
; %bb.13:
	s_waitcnt lgkmcnt(0)
	v_mad_i64_i32 v[3:4], null, v11, s18, 0
	s_delay_alu instid0(VALU_DEP_2) | instskip(SKIP_1) | instid1(VALU_DEP_1)
	v_mad_i64_i32 v[5:6], null, v12, s18, 0
	v_add_co_u32 v7, s19, s16, v82
	v_add_co_ci_u32_e64 v8, null, s17, 0, s19
	s_delay_alu instid0(VALU_DEP_4) | instskip(NEXT) | instid1(VALU_DEP_4)
	v_lshlrev_b64 v[3:4], 2, v[3:4]
	v_lshlrev_b64 v[5:6], 2, v[5:6]
	s_delay_alu instid0(VALU_DEP_2) | instskip(NEXT) | instid1(VALU_DEP_3)
	v_add_co_u32 v3, vcc_lo, v7, v3
	v_add_co_ci_u32_e32 v4, vcc_lo, v8, v4, vcc_lo
	s_delay_alu instid0(VALU_DEP_3) | instskip(NEXT) | instid1(VALU_DEP_4)
	v_add_co_u32 v5, vcc_lo, v7, v5
	v_add_co_ci_u32_e32 v6, vcc_lo, v8, v6, vcc_lo
	s_clause 0x1
	flat_load_b32 v3, v[3:4]
	flat_load_b32 v4, v[5:6]
	s_waitcnt vmcnt(0) lgkmcnt(0)
	v_dual_mul_f32 v3, s11, v3 :: v_dual_mul_f32 v4, s11, v4
	s_and_b32 vcc_lo, exec_lo, s3
	s_clause 0x1
	scratch_store_b32 off, v9, off offset:56
	scratch_store_b32 off, v10, off offset:60
	s_cbranch_vccnz .LBB11_17
.LBB11_14:
	v_mad_i64_i32 v[5:6], null, v9, s4, 0
	v_mad_i64_i32 v[7:8], null, v10, s4, 0
	v_add_co_u32 v9, s19, s12, v82
	s_delay_alu instid0(VALU_DEP_1) | instskip(NEXT) | instid1(VALU_DEP_4)
	v_add_co_ci_u32_e64 v10, null, s13, 0, s19
	v_lshlrev_b64 v[5:6], 2, v[5:6]
	s_delay_alu instid0(VALU_DEP_4) | instskip(NEXT) | instid1(VALU_DEP_2)
	v_lshlrev_b64 v[7:8], 2, v[7:8]
	v_add_co_u32 v5, vcc_lo, v9, v5
	s_delay_alu instid0(VALU_DEP_3) | instskip(NEXT) | instid1(VALU_DEP_3)
	v_add_co_ci_u32_e32 v6, vcc_lo, v10, v6, vcc_lo
	v_add_co_u32 v7, vcc_lo, v9, v7
	s_delay_alu instid0(VALU_DEP_4)
	v_add_co_ci_u32_e32 v8, vcc_lo, v10, v8, vcc_lo
	s_clause 0x1
	flat_load_b32 v5, v[5:6] offset:16
	flat_load_b32 v6, v[7:8] offset:16
	s_waitcnt vmcnt(1) lgkmcnt(0)
	v_mul_f32_e32 v61, s11, v5
	s_waitcnt vmcnt(0)
	v_mul_f32_e32 v21, s11, v6
	s_and_b32 vcc_lo, exec_lo, s3
	s_clause 0x1
	scratch_store_b32 off, v11, off offset:64
	scratch_store_b32 off, v12, off offset:68
	s_cbranch_vccnz .LBB11_18
.LBB11_15:
	s_waitcnt lgkmcnt(0)
	v_mad_i64_i32 v[5:6], null, v11, s18, 0
	v_mad_i64_i32 v[7:8], null, v12, s18, 0
	v_add_co_u32 v9, s19, s16, v82
	s_delay_alu instid0(VALU_DEP_1) | instskip(NEXT) | instid1(VALU_DEP_4)
	v_add_co_ci_u32_e64 v10, null, s17, 0, s19
	v_lshlrev_b64 v[5:6], 2, v[5:6]
	s_delay_alu instid0(VALU_DEP_4) | instskip(NEXT) | instid1(VALU_DEP_2)
	v_lshlrev_b64 v[7:8], 2, v[7:8]
	v_add_co_u32 v5, vcc_lo, v9, v5
	s_delay_alu instid0(VALU_DEP_3) | instskip(NEXT) | instid1(VALU_DEP_3)
	v_add_co_ci_u32_e32 v6, vcc_lo, v10, v6, vcc_lo
	v_add_co_u32 v7, vcc_lo, v9, v7
	s_delay_alu instid0(VALU_DEP_4)
	v_add_co_ci_u32_e32 v8, vcc_lo, v10, v8, vcc_lo
	s_clause 0x1
	flat_load_b32 v5, v[5:6] offset:16
	flat_load_b32 v6, v[7:8] offset:16
	s_waitcnt vmcnt(0) lgkmcnt(0)
	v_dual_mul_f32 v22, s11, v5 :: v_dual_mul_f32 v23, s11, v6
	s_branch .LBB11_19
.LBB11_16:
	v_dual_mov_b32 v3, 0 :: v_dual_mov_b32 v4, 0
	s_and_b32 vcc_lo, exec_lo, s3
	s_clause 0x1
	scratch_store_b32 off, v9, off offset:56
	scratch_store_b32 off, v10, off offset:60
	s_cbranch_vccz .LBB11_14
.LBB11_17:
	v_mov_b32_e32 v61, 0
	v_mov_b32_e32 v21, 0
	s_and_b32 vcc_lo, exec_lo, s3
	s_clause 0x1
	scratch_store_b32 off, v11, off offset:64
	scratch_store_b32 off, v12, off offset:68
	s_cbranch_vccz .LBB11_15
.LBB11_18:
	v_dual_mov_b32 v22, 0 :: v_dual_mov_b32 v23, 0
.LBB11_19:
	v_lshl_or_b32 v83, v0, 4, v82
	v_lshlrev_b32_e32 v86, 4, v16
	v_lshlrev_b32_e32 v87, 4, v17
	s_cmp_lt_i32 s10, 9
	ds_store_2addr_stride64_b32 v83, v1, v2 offset1:4
	ds_store_2addr_stride64_b32 v83, v3, v4 offset0:16 offset1:20
	s_waitcnt lgkmcnt(0)
	s_waitcnt_vscnt null, 0x0
	s_barrier
	buffer_gl0_inv
	ds_load_b128 v[34:37], v86 offset:4096
	ds_load_b128 v[4:7], v87
	ds_load_b128 v[12:15], v87 offset:512
	ds_load_b128 v[8:11], v87 offset:1024
	;; [unrolled: 1-line block ×4, first 2 shown]
	s_waitcnt lgkmcnt(4)
	v_dual_add_f32 v18, v5, v35 :: v_dual_add_f32 v157, v6, v36
	v_add_f32_e32 v165, v7, v37
	s_waitcnt lgkmcnt(0)
	v_dual_add_f32 v162, v15, v37 :: v_dual_add_f32 v137, v10, v55
	scratch_store_b32 off, v18, off         ; 4-byte Folded Spill
	v_dual_add_f32 v18, v4, v34 :: v_dual_add_f32 v161, v14, v36
	v_add_f32_e32 v159, v10, v36
	v_add_f32_e32 v147, v4, v53
	v_add_f32_e32 v141, v6, v55
	scratch_store_b32 off, v18, off offset:16 ; 4-byte Folded Spill
	v_dual_add_f32 v18, v13, v35 :: v_dual_add_f32 v143, v12, v53
	v_add_f32_e32 v139, v14, v55
	v_add_f32_e32 v135, v2, v55
	v_mov_b32_e32 v55, v16
	scratch_store_b32 off, v18, off offset:4 ; 4-byte Folded Spill
	v_add_f32_e32 v18, v12, v34
	scratch_store_b32 off, v18, off offset:20 ; 4-byte Folded Spill
	v_add_f32_e32 v18, v9, v35
	;; [unrolled: 2-line block ×11, first 2 shown]
	scratch_store_b32 off, v18, off offset:52 ; 4-byte Folded Spill
	ds_load_b128 v[66:69], v86 offset:4352
	ds_load_b128 v[88:91], v86 offset:4480
	v_add_f32_e32 v160, v2, v36
	v_add_f32_e32 v158, v8, v53
	;; [unrolled: 1-line block ×7, first 2 shown]
	s_waitcnt lgkmcnt(0)
	v_dual_add_f32 v134, v5, v67 :: v_dual_add_f32 v79, v0, v88
	v_dual_add_f32 v53, v4, v66 :: v_dual_add_f32 v130, v13, v67
	v_add_f32_e32 v99, v10, v90
	v_add_f32_e32 v54, v12, v66
	v_dual_add_f32 v132, v9, v67 :: v_dual_add_f32 v101, v2, v90
	v_dual_add_f32 v62, v8, v66 :: v_dual_add_f32 v133, v1, v67
	;; [unrolled: 1-line block ×12, first 2 shown]
	v_add_f32_e32 v98, v11, v91
	v_add_f32_e32 v100, v3, v91
	ds_load_b128 v[88:91], v86 offset:4608
	ds_load_b128 v[92:95], v86 offset:4736
	v_min3_f32 v53, v53, v134, 0x7f7fffff
	s_waitcnt lgkmcnt(0)
	v_dual_add_f32 v102, v5, v89 :: v_dual_add_f32 v123, v8, v92
	v_dual_add_f32 v103, v4, v88 :: v_dual_add_f32 v104, v13, v89
	v_add_f32_e32 v125, v0, v92
	v_dual_add_f32 v105, v12, v88 :: v_dual_add_f32 v106, v9, v89
	v_add_f32_e32 v127, v6, v94
	;; [unrolled: 2-line block ×3, first 2 shown]
	v_dual_add_f32 v109, v0, v88 :: v_dual_add_f32 v110, v7, v91
	v_dual_add_f32 v111, v6, v90 :: v_dual_add_f32 v112, v15, v91
	;; [unrolled: 1-line block ×7, first 2 shown]
	v_add_f32_e32 v124, v1, v93
	v_add_f32_e32 v126, v7, v95
	;; [unrolled: 1-line block ×3, first 2 shown]
	v_dual_add_f32 v131, v11, v95 :: v_dual_add_f32 v144, v10, v94
	v_dual_add_f32 v145, v3, v95 :: v_dual_add_f32 v146, v2, v94
	ds_load_b128 v[88:91], v86 offset:4864
	ds_load_b128 v[92:95], v86 offset:4992
	s_waitcnt lgkmcnt(0)
	v_dual_add_f32 v148, v5, v89 :: v_dual_add_f32 v181, v6, v94
	v_dual_add_f32 v149, v4, v88 :: v_dual_add_f32 v150, v13, v89
	v_add_f32_e32 v183, v14, v94
	v_dual_add_f32 v151, v12, v88 :: v_dual_add_f32 v152, v9, v89
	v_add_f32_e32 v185, v10, v94
	;; [unrolled: 2-line block ×3, first 2 shown]
	v_add_f32_e32 v155, v0, v88
	v_dual_add_f32 v163, v7, v91 :: v_dual_add_f32 v164, v6, v90
	v_dual_add_f32 v166, v15, v91 :: v_dual_add_f32 v167, v14, v90
	;; [unrolled: 1-line block ×8, first 2 shown]
	v_add_f32_e32 v180, v7, v95
	v_add_f32_e32 v182, v15, v95
	;; [unrolled: 1-line block ×4, first 2 shown]
	ds_load_b128 v[88:91], v86 offset:5120
	ds_load_b128 v[92:95], v86 offset:5248
	s_waitcnt lgkmcnt(0)
	v_dual_add_f32 v188, v5, v89 :: v_dual_add_f32 v215, v14, v94
	v_dual_add_f32 v189, v4, v88 :: v_dual_add_f32 v190, v13, v89
	v_add_f32_e32 v217, v10, v94
	v_dual_add_f32 v191, v12, v88 :: v_dual_add_f32 v192, v9, v89
	v_add_f32_e32 v219, v2, v94
	v_dual_add_f32 v193, v8, v88 :: v_dual_add_f32 v194, v1, v89
	v_dual_add_f32 v195, v0, v88 :: v_dual_add_f32 v196, v7, v91
	;; [unrolled: 1-line block ×11, first 2 shown]
	v_add_f32_e32 v216, v11, v95
	v_add_f32_e32 v218, v3, v95
	ds_load_b128 v[88:91], v86 offset:5376
	ds_load_b128 v[92:95], v86 offset:5504
	v_mov_b32_e32 v56, v17
	s_waitcnt lgkmcnt(0)
	v_dual_add_f32 v220, v5, v89 :: v_dual_add_f32 v249, v10, v94
	v_dual_add_f32 v221, v4, v88 :: v_dual_add_f32 v222, v13, v89
	v_add_f32_e32 v251, v2, v94
	v_dual_add_f32 v223, v12, v88 :: v_dual_add_f32 v224, v9, v89
	v_dual_add_f32 v225, v8, v88 :: v_dual_add_f32 v226, v1, v89
	;; [unrolled: 1-line block ×13, first 2 shown]
	v_add_f32_e32 v250, v3, v95
	ds_load_b128 v[88:91], v86 offset:5632
	ds_load_b128 v[92:95], v86 offset:5760
	s_waitcnt lgkmcnt(0)
	v_dual_add_f32 v252, v5, v89 :: v_dual_add_f32 v41, v15, v95
	v_dual_add_f32 v253, v4, v88 :: v_dual_add_f32 v254, v13, v89
	v_add_f32_e32 v43, v11, v95
	v_dual_add_f32 v255, v12, v88 :: v_dual_add_f32 v80, v9, v89
	v_add_f32_e32 v39, v3, v95
	v_add_f32_e32 v81, v8, v88
	;; [unrolled: 1-line block ×3, first 2 shown]
	v_dual_add_f32 v19, v0, v88 :: v_dual_add_f32 v16, v7, v91
	v_add_f32_e32 v18, v6, v90
	v_dual_add_f32 v24, v15, v91 :: v_dual_add_f32 v25, v14, v90
	v_dual_add_f32 v26, v11, v91 :: v_dual_add_f32 v27, v10, v90
	;; [unrolled: 1-line block ×7, first 2 shown]
	v_add_f32_e32 v38, v7, v95
	v_add_f32_e32 v40, v6, v94
	;; [unrolled: 1-line block ×5, first 2 shown]
	ds_load_b128 v[88:91], v86 offset:5888
	ds_load_b128 v[92:95], v86 offset:6016
	s_waitcnt lgkmcnt(1)
	v_dual_add_f32 v45, v5, v89 :: v_dual_add_f32 v46, v4, v88
	v_dual_add_f32 v47, v13, v89 :: v_dual_add_f32 v48, v12, v88
	;; [unrolled: 1-line block ×4, first 2 shown]
	s_waitcnt lgkmcnt(0)
	v_dual_add_f32 v5, v5, v93 :: v_dual_add_f32 v4, v4, v92
	v_dual_add_f32 v13, v13, v93 :: v_dual_add_f32 v12, v12, v92
	;; [unrolled: 1-line block ×4, first 2 shown]
	s_clause 0x1
	scratch_load_b32 v92, off, off
	scratch_load_b32 v93, off, off offset:16
	v_add_f32_e32 v51, v7, v91
	v_add_f32_e32 v57, v15, v91
	;; [unrolled: 1-line block ×7, first 2 shown]
	v_dual_add_f32 v11, v11, v95 :: v_dual_add_f32 v52, v6, v90
	v_add_f32_e32 v58, v14, v90
	v_add_f32_e32 v6, v6, v94
	v_min3_f32 v4, v4, v5, 0x7f7fffff
	v_add_f32_e32 v60, v10, v90
	v_add_f32_e32 v90, v2, v90
	;; [unrolled: 1-line block ×5, first 2 shown]
	v_min3_f32 v0, v0, v1, 0x7f7fffff
	s_waitcnt vmcnt(0)
	v_min3_f32 v92, v93, v92, 0x7f7fffff
	s_delay_alu instid0(VALU_DEP_1)
	v_min3_f32 v165, v157, v165, v92
	s_clause 0x1
	scratch_load_b32 v92, off, off offset:4
	scratch_load_b32 v93, off, off offset:20
	s_waitcnt vmcnt(0)
	v_min3_f32 v92, v93, v92, 0x7f7fffff
	s_delay_alu instid0(VALU_DEP_1)
	v_min3_f32 v161, v161, v162, v92
	s_clause 0x1
	scratch_load_b32 v92, off, off offset:8
	scratch_load_b32 v93, off, off offset:24
	s_waitcnt vmcnt(0)
	v_min3_f32 v92, v93, v92, 0x7f7fffff
	scratch_load_b32 v93, off, off offset:32 ; 4-byte Folded Reload
	s_waitcnt vmcnt(0)
	v_min3_f32 v162, v159, v93, v92
	s_clause 0x1
	scratch_load_b32 v92, off, off offset:12
	scratch_load_b32 v93, off, off offset:28
	s_waitcnt vmcnt(0)
	v_min3_f32 v92, v93, v92, 0x7f7fffff
	scratch_load_b32 v93, off, off offset:36 ; 4-byte Folded Reload
	s_waitcnt vmcnt(0)
	v_min3_f32 v159, v160, v93, v92
	scratch_load_b32 v92, off, off offset:40 ; 4-byte Folded Reload
	s_waitcnt vmcnt(0)
	v_min3_f32 v92, v147, v92, 0x7f7fffff
	v_min3_f32 v147, v72, v64, v53
	;; [unrolled: 1-line block ×3, first 2 shown]
	s_delay_alu instid0(VALU_DEP_3)
	v_min3_f32 v160, v141, v142, v92
	scratch_load_b32 v92, off, off offset:44 ; 4-byte Folded Reload
	v_min3_f32 v142, v73, v65, v53
	v_min3_f32 v53, v62, v132, 0x7f7fffff
	s_waitcnt vmcnt(0)
	v_min3_f32 v92, v143, v92, 0x7f7fffff
	s_delay_alu instid0(VALU_DEP_2) | instskip(SKIP_1) | instid1(VALU_DEP_3)
	v_min3_f32 v143, v74, v66, v53
	v_min3_f32 v53, v63, v133, 0x7f7fffff
	v_min3_f32 v157, v139, v140, v92
	scratch_load_b32 v92, off, off offset:48 ; 4-byte Folded Reload
	v_min3_f32 v140, v75, v67, v53
	v_min3_f32 v53, v76, v68, 0x7f7fffff
	s_delay_alu instid0(VALU_DEP_1) | instskip(SKIP_3) | instid1(VALU_DEP_1)
	v_min3_f32 v141, v85, v84, v53
	v_min3_f32 v53, v77, v69, 0x7f7fffff
	s_waitcnt vmcnt(0)
	v_min3_f32 v92, v158, v92, 0x7f7fffff
	v_min3_f32 v158, v137, v138, v92
	scratch_load_b32 v92, off, off offset:52 ; 4-byte Folded Reload
	v_min3_f32 v138, v97, v96, v53
	v_min3_f32 v53, v78, v70, 0x7f7fffff
	ds_store_2addr_stride64_b32 v83, v61, v21 offset0:8 offset1:12
	ds_store_2addr_stride64_b32 v83, v22, v23 offset0:24 offset1:28
	s_waitcnt vmcnt(0) lgkmcnt(0)
	s_waitcnt_vscnt null, 0x0
	s_barrier
	buffer_gl0_inv
	v_min3_f32 v139, v99, v98, v53
	v_min3_f32 v53, v79, v71, 0x7f7fffff
	;; [unrolled: 1-line block ×3, first 2 shown]
	s_delay_alu instid0(VALU_DEP_1) | instskip(NEXT) | instid1(VALU_DEP_3)
	v_min3_f32 v156, v135, v136, v92
	v_min3_f32 v136, v101, v100, v53
	;; [unrolled: 1-line block ×5, first 2 shown]
	s_delay_alu instid0(VALU_DEP_3) | instskip(SKIP_1) | instid1(VALU_DEP_1)
	v_min3_f32 v137, v111, v110, v53
	v_min3_f32 v53, v105, v104, 0x7f7fffff
	v_min3_f32 v135, v113, v112, v53
	v_min3_f32 v53, v107, v106, 0x7f7fffff
	s_delay_alu instid0(VALU_DEP_1) | instskip(SKIP_1) | instid1(VALU_DEP_1)
	v_min3_f32 v134, v115, v114, v53
	v_min3_f32 v53, v109, v108, 0x7f7fffff
	v_min3_f32 v132, v117, v116, v53
	v_min3_f32 v53, v119, v118, 0x7f7fffff
	s_delay_alu instid0(VALU_DEP_1) | instskip(SKIP_1) | instid1(VALU_DEP_1)
	;; [unrolled: 5-line block ×20, first 2 shown]
	v_min3_f32 v96, v52, v51, v16
	v_min3_f32 v16, v48, v47, 0x7f7fffff
	;; [unrolled: 1-line block ×4, first 2 shown]
	s_delay_alu instid0(VALU_DEP_1) | instskip(SKIP_4) | instid1(VALU_DEP_4)
	v_min3_f32 v93, v60, v59, v16
	v_min3_f32 v16, v88, v89, 0x7f7fffff
	v_min3_f32 v89, v14, v15, v4
	v_min3_f32 v4, v8, v9, 0x7f7fffff
	v_min3_f32 v88, v2, v3, v0
	v_min3_f32 v91, v90, v91, v16
	s_delay_alu instid0(VALU_DEP_3)
	v_min3_f32 v90, v10, v11, v4
	s_cbranch_scc1 .LBB11_33
; %bb.20:
	s_clause 0x3
	scratch_load_b32 v2, off, off offset:68
	scratch_load_b32 v4, off, off offset:64
	scratch_load_b32 v6, off, off offset:60
	scratch_load_b32 v8, off, off offset:56
	v_dual_mov_b32 v209, v55 :: v_dual_add_nc_u32 v84, 0x1000, v83
	v_dual_mov_b32 v210, v56 :: v_dual_add_nc_u32 v85, 0x1000, v86
	v_add_nc_u32_e32 v113, 0x800, v83
	v_add_nc_u32_e32 v144, 0x1800, v83
	v_lshl_add_u32 v145, v56, 4, 0x800
	v_lshl_add_u32 v146, v55, 4, 0x1800
	s_add_i32 s10, s10, -8
	s_waitcnt vmcnt(3)
	v_mad_i64_i32 v[0:1], null, s18, v2, 0
	s_waitcnt vmcnt(2)
	v_mad_i64_i32 v[2:3], null, s18, v4, 0
	;; [unrolled: 2-line block ×4, first 2 shown]
	s_delay_alu instid0(VALU_DEP_4) | instskip(SKIP_1) | instid1(VALU_DEP_4)
	v_lshlrev_b64 v[0:1], 2, v[0:1]
	s_and_b32 s4, exec_lo, s20
	v_lshlrev_b64 v[2:3], 2, v[2:3]
	s_delay_alu instid0(VALU_DEP_2) | instskip(NEXT) | instid1(VALU_DEP_3)
	v_add_co_u32 v148, vcc_lo, s16, v0
	v_add_co_ci_u32_e32 v149, vcc_lo, s17, v1, vcc_lo
	v_lshlrev_b64 v[0:1], 2, v[4:5]
	s_delay_alu instid0(VALU_DEP_4) | instskip(SKIP_2) | instid1(VALU_DEP_4)
	v_add_co_u32 v150, vcc_lo, s16, v2
	v_add_co_ci_u32_e32 v151, vcc_lo, s17, v3, vcc_lo
	v_lshlrev_b64 v[2:3], 2, v[6:7]
	v_add_co_u32 v152, vcc_lo, s12, v0
	v_add_co_ci_u32_e32 v153, vcc_lo, s13, v1, vcc_lo
	s_delay_alu instid0(VALU_DEP_3) | instskip(NEXT) | instid1(VALU_DEP_4)
	v_add_co_u32 v154, vcc_lo, s12, v2
	v_add_co_ci_u32_e32 v155, vcc_lo, s13, v3, vcc_lo
	s_mov_b32 s12, 0
	s_branch .LBB11_23
.LBB11_21:                              ;   in Loop: Header=BB11_23 Depth=1
	v_add_co_u32 v0, vcc_lo, v150, v82
	v_add_co_ci_u32_e32 v1, vcc_lo, 0, v151, vcc_lo
	v_add_co_u32 v14, vcc_lo, v148, v82
	v_add_co_ci_u32_e32 v15, vcc_lo, 0, v149, vcc_lo
	flat_load_b32 v0, v[0:1] offset:48
	flat_load_b32 v1, v[14:15] offset:48
	s_waitcnt vmcnt(0) lgkmcnt(0)
	v_dual_mul_f32 v0, s11, v0 :: v_dual_mul_f32 v1, s11, v1
.LBB11_22:                              ;   in Loop: Header=BB11_23 Depth=1
	ds_load_b128 v[73:76], v85
	ds_load_b128 v[88:91], v87
	ds_load_b128 v[165:168], v87 offset:512
	ds_load_b128 v[169:172], v87 offset:1024
	;; [unrolled: 1-line block ×18, first 2 shown]
	v_add_co_u32 v148, vcc_lo, v148, 32
	s_waitcnt lgkmcnt(18)
	v_dual_add_f32 v11, v89, v74 :: v_dual_add_f32 v14, v88, v73
	s_waitcnt lgkmcnt(17)
	v_dual_add_f32 v15, v166, v74 :: v_dual_add_f32 v18, v165, v73
	s_waitcnt lgkmcnt(16)
	v_dual_add_f32 v19, v170, v74 :: v_dual_add_f32 v22, v169, v73
	v_min3_f32 v11, v14, v11, v28
	s_waitcnt lgkmcnt(14)
	v_add_f32_e32 v23, v88, v92
	v_min3_f32 v14, v18, v15, v29
	v_add_f32_e32 v18, v174, v74
	v_min3_f32 v15, v22, v19, v32
	v_add_f32_e32 v19, v173, v73
	v_add_f32_e32 v22, v89, v93
	v_dual_add_f32 v28, v166, v93 :: v_dual_add_f32 v29, v165, v92
	v_dual_add_f32 v32, v170, v93 :: v_dual_add_f32 v73, v169, v92
	;; [unrolled: 1-line block ×3, first 2 shown]
	v_min3_f32 v4, v19, v18, v4
	v_min3_f32 v18, v23, v22, v33
	;; [unrolled: 1-line block ×5, first 2 shown]
	s_waitcnt lgkmcnt(13)
	v_dual_add_f32 v28, v89, v97 :: v_dual_add_f32 v29, v88, v96
	v_dual_add_f32 v32, v166, v97 :: v_dual_add_f32 v33, v165, v96
	;; [unrolled: 1-line block ×4, first 2 shown]
	s_waitcnt lgkmcnt(12)
	v_dual_add_f32 v74, v89, v101 :: v_dual_add_f32 v77, v88, v100
	v_min3_f32 v5, v29, v28, v5
	v_min3_f32 v28, v33, v32, v41
	;; [unrolled: 1-line block ×5, first 2 shown]
	v_dual_add_f32 v36, v166, v101 :: v_dual_add_f32 v37, v165, v100
	v_dual_add_f32 v40, v170, v101 :: v_dual_add_f32 v41, v169, v100
	;; [unrolled: 1-line block ×3, first 2 shown]
	s_waitcnt lgkmcnt(11)
	v_dual_add_f32 v48, v89, v105 :: v_dual_add_f32 v73, v88, v104
	v_dual_add_f32 v74, v166, v105 :: v_dual_add_f32 v77, v165, v104
	v_min3_f32 v8, v37, v36, v8
	v_min3_f32 v36, v41, v40, v49
	;; [unrolled: 1-line block ×5, first 2 shown]
	v_dual_add_f32 v44, v170, v105 :: v_dual_add_f32 v45, v169, v104
	v_dual_add_f32 v48, v174, v105 :: v_dual_add_f32 v49, v173, v104
	s_waitcnt lgkmcnt(10)
	v_dual_add_f32 v52, v89, v109 :: v_dual_add_f32 v53, v88, v108
	v_dual_add_f32 v56, v166, v109 :: v_dual_add_f32 v73, v165, v108
	;; [unrolled: 1-line block ×3, first 2 shown]
	v_min3_f32 v9, v45, v44, v9
	v_min3_f32 v44, v49, v48, v57
	;; [unrolled: 1-line block ×5, first 2 shown]
	v_dual_add_f32 v52, v174, v109 :: v_dual_add_f32 v53, v173, v108
	s_waitcnt lgkmcnt(9)
	v_dual_add_f32 v56, v89, v115 :: v_dual_add_f32 v57, v88, v114
	v_dual_add_f32 v58, v166, v115 :: v_dual_add_f32 v59, v165, v114
	;; [unrolled: 1-line block ×4, first 2 shown]
	v_min3_f32 v12, v53, v52, v12
	v_min3_f32 v52, v57, v56, v54
	v_min3_f32 v53, v59, v58, v55
	v_min3_f32 v54, v73, v60, v61
	v_min3_f32 v55, v77, v74, v62
	s_waitcnt lgkmcnt(8)
	v_dual_add_f32 v56, v89, v119 :: v_dual_add_f32 v57, v88, v118
	v_dual_add_f32 v58, v166, v119 :: v_dual_add_f32 v59, v165, v118
	;; [unrolled: 1-line block ×4, first 2 shown]
	s_waitcnt lgkmcnt(7)
	v_dual_add_f32 v74, v89, v178 :: v_dual_add_f32 v77, v88, v177
	v_min3_f32 v13, v57, v56, v13
	v_min3_f32 v50, v59, v58, v50
	;; [unrolled: 1-line block ×5, first 2 shown]
	v_dual_add_f32 v58, v166, v178 :: v_dual_add_f32 v59, v165, v177
	v_dual_add_f32 v60, v170, v178 :: v_dual_add_f32 v61, v169, v177
	;; [unrolled: 1-line block ×3, first 2 shown]
	s_waitcnt lgkmcnt(6)
	v_dual_add_f32 v64, v89, v182 :: v_dual_add_f32 v73, v88, v181
	v_dual_add_f32 v74, v166, v182 :: v_dual_add_f32 v77, v165, v181
	v_min3_f32 v16, v59, v58, v16
	v_min3_f32 v46, v61, v60, v46
	;; [unrolled: 1-line block ×5, first 2 shown]
	v_dual_add_f32 v60, v170, v182 :: v_dual_add_f32 v61, v169, v181
	v_dual_add_f32 v62, v174, v182 :: v_dual_add_f32 v63, v173, v181
	s_waitcnt lgkmcnt(5)
	v_dual_add_f32 v64, v89, v186 :: v_dual_add_f32 v65, v88, v185
	v_dual_add_f32 v66, v166, v186 :: v_dual_add_f32 v73, v165, v185
	;; [unrolled: 1-line block ×3, first 2 shown]
	v_min3_f32 v17, v61, v60, v17
	v_min3_f32 v38, v63, v62, v38
	;; [unrolled: 1-line block ×5, first 2 shown]
	v_dual_add_f32 v60, v174, v186 :: v_dual_add_f32 v61, v173, v185
	s_waitcnt lgkmcnt(4)
	v_dual_add_f32 v62, v89, v190 :: v_dual_add_f32 v63, v88, v189
	v_dual_add_f32 v64, v166, v190 :: v_dual_add_f32 v65, v165, v189
	;; [unrolled: 1-line block ×4, first 2 shown]
	v_min3_f32 v20, v61, v60, v20
	v_min3_f32 v34, v63, v62, v34
	;; [unrolled: 1-line block ×5, first 2 shown]
	s_waitcnt lgkmcnt(3)
	v_dual_add_f32 v62, v89, v194 :: v_dual_add_f32 v63, v88, v193
	v_dual_add_f32 v64, v166, v194 :: v_dual_add_f32 v65, v165, v193
	;; [unrolled: 1-line block ×4, first 2 shown]
	s_waitcnt lgkmcnt(2)
	v_dual_add_f32 v74, v89, v198 :: v_dual_add_f32 v77, v88, v197
	v_min3_f32 v21, v63, v62, v21
	v_min3_f32 v30, v65, v64, v30
	;; [unrolled: 1-line block ×5, first 2 shown]
	v_dual_add_f32 v64, v166, v198 :: v_dual_add_f32 v65, v165, v197
	v_dual_add_f32 v66, v170, v198 :: v_dual_add_f32 v67, v169, v197
	;; [unrolled: 1-line block ×3, first 2 shown]
	s_waitcnt lgkmcnt(1)
	v_dual_add_f32 v70, v89, v202 :: v_dual_add_f32 v73, v88, v201
	v_dual_add_f32 v74, v166, v202 :: v_dual_add_f32 v77, v165, v201
	v_min3_f32 v24, v65, v64, v24
	v_min3_f32 v26, v67, v66, v26
	;; [unrolled: 1-line block ×5, first 2 shown]
	v_dual_add_f32 v66, v170, v202 :: v_dual_add_f32 v67, v169, v201
	v_dual_add_f32 v68, v174, v202 :: v_dual_add_f32 v69, v173, v201
	s_waitcnt lgkmcnt(0)
	v_dual_add_f32 v70, v89, v206 :: v_dual_add_f32 v71, v88, v205
	v_dual_add_f32 v72, v166, v206 :: v_dual_add_f32 v73, v165, v205
	v_dual_add_f32 v74, v170, v206 :: v_dual_add_f32 v77, v169, v205
	v_min3_f32 v25, v67, v66, v25
	v_min3_f32 v3, v69, v68, v3
	v_min3_f32 v6, v71, v70, v6
	v_min3_f32 v7, v73, v72, v7
	v_min3_f32 v10, v77, v74, v10
	v_dual_add_f32 v66, v174, v206 :: v_dual_add_f32 v67, v173, v205
	v_dual_add_f32 v68, v91, v76 :: v_dual_add_f32 v69, v90, v75
	v_dual_add_f32 v70, v168, v76 :: v_dual_add_f32 v71, v167, v75
	v_dual_add_f32 v72, v172, v76 :: v_dual_add_f32 v73, v171, v75
	v_dual_add_f32 v74, v176, v76 :: v_dual_add_f32 v75, v175, v75
	v_min3_f32 v2, v67, v66, v2
	v_min3_f32 v165, v69, v68, v11
	v_min3_f32 v161, v71, v70, v14
	v_min3_f32 v162, v73, v72, v15
	v_min3_f32 v159, v75, v74, v4
	v_dual_add_f32 v4, v91, v95 :: v_dual_add_f32 v11, v90, v94
	v_dual_add_f32 v14, v168, v95 :: v_dual_add_f32 v15, v167, v94
	;; [unrolled: 10-line block ×12, first 2 shown]
	v_dual_add_f32 v11, v91, v204 :: v_dual_add_f32 v12, v90, v203
	v_dual_add_f32 v13, v168, v204 :: v_dual_add_f32 v14, v167, v203
	;; [unrolled: 1-line block ×3, first 2 shown]
	v_add_co_ci_u32_e32 v149, vcc_lo, 0, v149, vcc_lo
	v_add_co_u32 v150, vcc_lo, v150, 32
	v_add_co_ci_u32_e32 v151, vcc_lo, 0, v151, vcc_lo
	v_min3_f32 v98, v5, v4, v26
	v_min3_f32 v95, v9, v8, v27
	;; [unrolled: 1-line block ×5, first 2 shown]
	v_dual_add_f32 v4, v176, v204 :: v_dual_add_f32 v5, v175, v203
	v_dual_add_f32 v8, v91, v208 :: v_dual_add_f32 v9, v90, v207
	;; [unrolled: 1-line block ×5, first 2 shown]
	v_add_co_u32 v152, vcc_lo, v152, 32
	v_add_co_ci_u32_e32 v153, vcc_lo, 0, v153, vcc_lo
	v_add_co_u32 v154, vcc_lo, v154, 32
	v_min3_f32 v91, v5, v4, v3
	v_min3_f32 v92, v9, v8, v6
	;; [unrolled: 1-line block ×5, first 2 shown]
	v_add_co_ci_u32_e32 v155, vcc_lo, 0, v155, vcc_lo
	s_add_i32 s12, s12, 8
	ds_store_2addr_stride64_b32 v113, v163, v164 offset1:4
	ds_store_2addr_stride64_b32 v144, v0, v1 offset1:4
	s_cmp_ge_i32 s12, s10
	s_waitcnt lgkmcnt(0)
	s_barrier
	buffer_gl0_inv
	s_cbranch_scc1 .LBB11_34
.LBB11_23:                              ; =>This Inner Loop Header: Depth=1
	s_and_b32 vcc_lo, exec_lo, s3
	s_cbranch_vccnz .LBB11_26
; %bb.24:                               ;   in Loop: Header=BB11_23 Depth=1
	v_add_co_u32 v0, vcc_lo, v154, v82
	v_add_co_ci_u32_e32 v1, vcc_lo, 0, v155, vcc_lo
	v_add_co_u32 v2, vcc_lo, v152, v82
	v_add_co_ci_u32_e32 v3, vcc_lo, 0, v153, vcc_lo
	flat_load_b32 v0, v[0:1] offset:32
	flat_load_b32 v1, v[2:3] offset:32
	s_waitcnt vmcnt(0) lgkmcnt(0)
	v_dual_mul_f32 v163, s11, v0 :: v_dual_mul_f32 v164, s11, v1
	s_and_b32 vcc_lo, exec_lo, s3
	s_cbranch_vccnz .LBB11_27
.LBB11_25:                              ;   in Loop: Header=BB11_23 Depth=1
	v_add_co_u32 v0, vcc_lo, v150, v82
	v_add_co_ci_u32_e32 v1, vcc_lo, 0, v151, vcc_lo
	v_add_co_u32 v2, vcc_lo, v148, v82
	v_add_co_ci_u32_e32 v3, vcc_lo, 0, v149, vcc_lo
	flat_load_b32 v0, v[0:1] offset:32
	flat_load_b32 v1, v[2:3] offset:32
	s_waitcnt vmcnt(0) lgkmcnt(0)
	v_dual_mul_f32 v166, s11, v0 :: v_dual_mul_f32 v167, s11, v1
	s_branch .LBB11_28
.LBB11_26:                              ;   in Loop: Header=BB11_23 Depth=1
	v_dual_mov_b32 v163, 0 :: v_dual_mov_b32 v164, 0
	s_and_b32 vcc_lo, exec_lo, s3
	s_cbranch_vccz .LBB11_25
.LBB11_27:                              ;   in Loop: Header=BB11_23 Depth=1
	v_dual_mov_b32 v166, 0 :: v_dual_mov_b32 v167, 0
.LBB11_28:                              ;   in Loop: Header=BB11_23 Depth=1
	ds_load_b128 v[12:15], v145
	ds_load_b128 v[8:11], v145 offset:512
	ds_load_b128 v[4:7], v145 offset:1024
	;; [unrolled: 1-line block ×3, first 2 shown]
	ds_load_b128 v[76:79], v146
	ds_load_b128 v[72:75], v146 offset:128
	ds_load_b128 v[68:71], v146 offset:256
	;; [unrolled: 1-line block ×15, first 2 shown]
	s_mov_b32 vcc_lo, s4
	ds_store_2addr_stride64_b32 v83, v163, v164 offset1:4
	ds_store_2addr_stride64_b32 v84, v166, v167 offset1:4
	s_waitcnt lgkmcnt(0)
	s_barrier
	buffer_gl0_inv
	s_cbranch_vccz .LBB11_30
; %bb.29:                               ;   in Loop: Header=BB11_23 Depth=1
	v_add_co_u32 v163, vcc_lo, v154, v82
	v_add_co_ci_u32_e32 v164, vcc_lo, 0, v155, vcc_lo
	v_add_co_u32 v166, vcc_lo, v152, v82
	v_add_co_ci_u32_e32 v167, vcc_lo, 0, v153, vcc_lo
	flat_load_b32 v80, v[163:164] offset:48
	flat_load_b32 v81, v[166:167] offset:48
	s_waitcnt vmcnt(0) lgkmcnt(0)
	v_dual_mul_f32 v163, s11, v80 :: v_dual_mul_f32 v164, s11, v81
	s_branch .LBB11_31
.LBB11_30:                              ;   in Loop: Header=BB11_23 Depth=1
	v_dual_mov_b32 v163, 0 :: v_dual_mov_b32 v164, 0
.LBB11_31:                              ;   in Loop: Header=BB11_23 Depth=1
	v_dual_add_f32 v80, v13, v77 :: v_dual_add_f32 v81, v12, v76
	v_dual_add_f32 v166, v9, v77 :: v_dual_add_f32 v167, v8, v76
	;; [unrolled: 1-line block ×3, first 2 shown]
	s_delay_alu instid0(VALU_DEP_3) | instskip(SKIP_1) | instid1(VALU_DEP_4)
	v_min3_f32 v80, v81, v80, v165
	v_dual_add_f32 v77, v1, v77 :: v_dual_add_f32 v76, v0, v76
	v_min3_f32 v81, v167, v166, v161
	s_delay_alu instid0(VALU_DEP_4)
	v_min3_f32 v161, v169, v168, v162
	v_dual_add_f32 v162, v13, v73 :: v_dual_add_f32 v165, v12, v72
	v_dual_add_f32 v166, v9, v73 :: v_dual_add_f32 v167, v8, v72
	v_dual_add_f32 v168, v5, v73 :: v_dual_add_f32 v169, v4, v72
	v_dual_add_f32 v73, v1, v73 :: v_dual_add_f32 v72, v0, v72
	v_min3_f32 v76, v76, v77, v159
	v_min3_f32 v77, v165, v162, v160
	;; [unrolled: 1-line block ×3, first 2 shown]
	v_dual_add_f32 v159, v9, v69 :: v_dual_add_f32 v160, v8, v68
	v_min3_f32 v72, v72, v73, v156
	v_dual_add_f32 v73, v13, v69 :: v_dual_add_f32 v156, v12, v68
	v_dual_add_f32 v162, v5, v69 :: v_dual_add_f32 v165, v4, v68
	;; [unrolled: 1-line block ×4, first 2 shown]
	s_delay_alu instid0(VALU_DEP_4) | instskip(SKIP_1) | instid1(VALU_DEP_4)
	v_min3_f32 v73, v156, v73, v147
	v_min3_f32 v142, v160, v159, v142
	;; [unrolled: 1-line block ×3, first 2 shown]
	v_add_f32_e32 v140, v9, v65
	v_min3_f32 v69, v167, v166, v141
	v_add_f32_e32 v141, v8, v64
	v_dual_add_f32 v147, v5, v65 :: v_dual_add_f32 v156, v4, v64
	v_dual_add_f32 v65, v1, v65 :: v_dual_add_f32 v64, v0, v64
	;; [unrolled: 1-line block ×3, first 2 shown]
	v_min3_f32 v143, v165, v162, v143
	v_dual_add_f32 v162, v9, v61 :: v_dual_add_f32 v165, v8, v60
	v_min3_f32 v138, v141, v140, v138
	v_min3_f32 v64, v64, v65, v136
	;; [unrolled: 1-line block ×3, first 2 shown]
	v_dual_add_f32 v136, v5, v61 :: v_dual_add_f32 v137, v4, v60
	v_dual_add_f32 v61, v1, v61 :: v_dual_add_f32 v60, v0, v60
	v_dual_add_f32 v140, v13, v57 :: v_dual_add_f32 v141, v12, v56
	v_min3_f32 v139, v156, v147, v139
	v_dual_add_f32 v147, v9, v57 :: v_dual_add_f32 v156, v8, v56
	v_dual_add_f32 v159, v5, v57 :: v_dual_add_f32 v160, v4, v56
	v_min3_f32 v134, v137, v136, v134
	v_min3_f32 v60, v60, v61, v132
	v_min3_f32 v61, v141, v140, v133
	v_dual_add_f32 v57, v1, v57 :: v_dual_add_f32 v56, v0, v56
	v_dual_add_f32 v132, v13, v53 :: v_dual_add_f32 v133, v12, v52
	;; [unrolled: 1-line block ×5, first 2 shown]
	v_min3_f32 v128, v56, v57, v128
	v_min3_f32 v129, v133, v132, v129
	v_dual_add_f32 v56, v9, v49 :: v_dual_add_f32 v57, v8, v48
	s_delay_alu instid0(VALU_DEP_4)
	v_min3_f32 v125, v52, v53, v125
	v_dual_add_f32 v52, v13, v49 :: v_dual_add_f32 v53, v12, v48
	v_dual_add_f32 v132, v5, v49 :: v_dual_add_f32 v133, v4, v48
	;; [unrolled: 1-line block ×3, first 2 shown]
	v_min3_f32 v126, v137, v136, v126
	v_dual_add_f32 v136, v13, v45 :: v_dual_add_f32 v137, v12, v44
	v_min3_f32 v124, v53, v52, v124
	s_delay_alu instid0(VALU_DEP_4)
	v_min3_f32 v120, v48, v49, v120
	v_dual_add_f32 v48, v9, v45 :: v_dual_add_f32 v49, v8, v44
	v_dual_add_f32 v52, v5, v45 :: v_dual_add_f32 v53, v4, v44
	;; [unrolled: 1-line block ×3, first 2 shown]
	v_min3_f32 v122, v57, v56, v122
	v_min3_f32 v123, v133, v132, v123
	v_dual_add_f32 v56, v13, v41 :: v_dual_add_f32 v57, v12, v40
	v_dual_add_f32 v132, v9, v41 :: v_dual_add_f32 v133, v8, v40
	v_min3_f32 v118, v49, v48, v118
	v_min3_f32 v116, v44, v45, v116
	v_dual_add_f32 v44, v5, v41 :: v_dual_add_f32 v45, v4, v40
	v_dual_add_f32 v41, v1, v41 :: v_dual_add_f32 v40, v0, v40
	;; [unrolled: 1-line block ×3, first 2 shown]
	v_min3_f32 v119, v53, v52, v119
	v_min3_f32 v117, v57, v56, v117
	v_dual_add_f32 v52, v9, v37 :: v_dual_add_f32 v53, v8, v36
	v_dual_add_f32 v56, v5, v37 :: v_dual_add_f32 v57, v4, v36
	v_min3_f32 v114, v45, v44, v114
	v_min3_f32 v111, v40, v41, v111
	;; [unrolled: 1-line block ×3, first 2 shown]
	v_dual_add_f32 v37, v1, v37 :: v_dual_add_f32 v36, v0, v36
	v_dual_add_f32 v40, v13, v33 :: v_dual_add_f32 v41, v12, v32
	;; [unrolled: 1-line block ×5, first 2 shown]
	v_min3_f32 v107, v36, v37, v107
	v_min3_f32 v108, v41, v40, v108
	v_dual_add_f32 v36, v9, v29 :: v_dual_add_f32 v37, v8, v28
	s_delay_alu instid0(VALU_DEP_4)
	v_min3_f32 v104, v32, v33, v104
	v_dual_add_f32 v32, v13, v29 :: v_dual_add_f32 v33, v12, v28
	v_dual_add_f32 v40, v5, v29 :: v_dual_add_f32 v41, v4, v28
	;; [unrolled: 1-line block ×3, first 2 shown]
	v_min3_f32 v105, v45, v44, v105
	v_dual_add_f32 v44, v13, v25 :: v_dual_add_f32 v45, v12, v24
	v_min3_f32 v103, v33, v32, v103
	s_delay_alu instid0(VALU_DEP_4)
	v_min3_f32 v99, v28, v29, v99
	v_dual_add_f32 v28, v9, v25 :: v_dual_add_f32 v29, v8, v24
	v_dual_add_f32 v32, v5, v25 :: v_dual_add_f32 v33, v4, v24
	;; [unrolled: 1-line block ×3, first 2 shown]
	v_min3_f32 v101, v37, v36, v101
	v_min3_f32 v102, v41, v40, v102
	v_dual_add_f32 v36, v13, v21 :: v_dual_add_f32 v37, v12, v20
	v_dual_add_f32 v40, v9, v21 :: v_dual_add_f32 v41, v8, v20
	v_min3_f32 v97, v29, v28, v97
	v_min3_f32 v25, v24, v25, v95
	v_add_f32_e32 v24, v5, v21
	v_dual_add_f32 v28, v4, v20 :: v_dual_add_f32 v21, v1, v21
	v_dual_add_f32 v20, v0, v20 :: v_dual_add_f32 v13, v13, v17
	;; [unrolled: 1-line block ×5, first 2 shown]
	s_delay_alu instid0(VALU_DEP_3) | instskip(NEXT) | instid1(VALU_DEP_3)
	v_min3_f32 v92, v12, v13, v92
	v_min3_f32 v89, v8, v9, v89
	v_dual_add_f32 v0, v0, v16 :: v_dual_add_f32 v9, v10, v78
	s_delay_alu instid0(VALU_DEP_4)
	v_min3_f32 v90, v4, v5, v90
	v_dual_add_f32 v4, v15, v79 :: v_dual_add_f32 v13, v6, v78
	v_dual_add_f32 v5, v14, v78 :: v_dual_add_f32 v8, v11, v79
	;; [unrolled: 1-line block ×3, first 2 shown]
	v_add_f32_e32 v16, v3, v79
	v_min3_f32 v158, v169, v168, v158
	v_min3_f32 v98, v33, v32, v98
	;; [unrolled: 1-line block ×6, first 2 shown]
	v_add_f32_e32 v9, v10, v74
	v_min3_f32 v4, v17, v16, v76
	v_add_f32_e32 v1, v15, v75
	v_add_f32_e32 v5, v14, v74
	v_min3_f32 v32, v13, v12, v161
	v_dual_add_f32 v8, v11, v75 :: v_dual_add_f32 v13, v6, v74
	v_dual_add_f32 v12, v7, v75 :: v_dual_add_f32 v17, v2, v74
	v_add_f32_e32 v16, v3, v75
	v_min3_f32 v95, v37, v36, v96
	v_min3_f32 v94, v41, v40, v94
	;; [unrolled: 1-line block ×3, first 2 shown]
	v_dual_add_f32 v21, v14, v70 :: v_dual_add_f32 v20, v15, v71
	v_min3_f32 v36, v9, v8, v157
	v_min3_f32 v37, v13, v12, v158
	;; [unrolled: 1-line block ×3, first 2 shown]
	v_add_f32_e32 v8, v10, v70
	v_min3_f32 v33, v5, v1, v77
	v_dual_add_f32 v1, v11, v71 :: v_dual_add_f32 v12, v6, v70
	v_dual_add_f32 v9, v7, v71 :: v_dual_add_f32 v16, v2, v70
	v_add_f32_e32 v13, v3, v71
	v_min3_f32 v100, v45, v44, v100
	v_dual_add_f32 v17, v15, v67 :: v_dual_add_f32 v24, v10, v66
	s_delay_alu instid0(VALU_DEP_4)
	v_min3_f32 v44, v12, v9, v143
	v_add_f32_e32 v9, v6, v66
	v_min3_f32 v5, v21, v20, v73
	v_dual_add_f32 v20, v14, v66 :: v_dual_add_f32 v21, v11, v67
	v_min3_f32 v45, v16, v13, v68
	v_dual_add_f32 v12, v3, v67 :: v_dual_add_f32 v13, v2, v66
	v_min3_f32 v135, v165, v162, v135
	v_min3_f32 v109, v53, v52, v109
	;; [unrolled: 1-line block ×6, first 2 shown]
	v_add_f32_e32 v1, v7, v67
	v_dual_add_f32 v16, v15, v63 :: v_dual_add_f32 v17, v14, v62
	v_dual_add_f32 v20, v11, v63 :: v_dual_add_f32 v57, v6, v62
	v_min3_f32 v52, v13, v12, v64
	v_add_f32_e32 v12, v2, v62
	v_min3_f32 v8, v24, v21, v138
	v_dual_add_f32 v21, v10, v62 :: v_dual_add_f32 v24, v7, v63
	v_min3_f32 v130, v156, v147, v130
	v_min3_f32 v131, v160, v159, v131
	;; [unrolled: 1-line block ×3, first 2 shown]
	s_delay_alu instid0(VALU_DEP_4)
	v_min3_f32 v56, v21, v20, v135
	v_dual_add_f32 v13, v15, v59 :: v_dual_add_f32 v16, v14, v58
	v_min3_f32 v49, v9, v1, v139
	v_min3_f32 v9, v57, v24, v134
	v_dual_add_f32 v24, v6, v58 :: v_dual_add_f32 v1, v3, v63
	v_dual_add_f32 v20, v10, v58 :: v_dual_add_f32 v17, v11, v59
	;; [unrolled: 1-line block ×4, first 2 shown]
	v_min3_f32 v127, v141, v140, v127
	v_min3_f32 v57, v12, v1, v60
	;; [unrolled: 1-line block ×5, first 2 shown]
	v_add_f32_e32 v1, v15, v55
	v_dual_add_f32 v13, v14, v54 :: v_dual_add_f32 v16, v11, v55
	v_dual_add_f32 v21, v6, v54 :: v_dual_add_f32 v24, v3, v55
	v_add_f32_e32 v62, v2, v54
	v_min3_f32 v59, v20, v17, v130
	v_dual_add_f32 v17, v10, v54 :: v_dual_add_f32 v20, v7, v55
	v_add_f32_e32 v63, v15, v51
	v_min3_f32 v121, v137, v136, v121
	v_min3_f32 v62, v62, v24, v125
	s_delay_alu instid0(VALU_DEP_4)
	v_min3_f32 v55, v17, v16, v126
	v_min3_f32 v61, v21, v20, v127
	v_add_f32_e32 v20, v6, v50
	v_add_f32_e32 v16, v10, v50
	v_min3_f32 v54, v13, v1, v129
	v_min3_f32 v13, v64, v63, v124
	v_dual_add_f32 v1, v11, v51 :: v_dual_add_f32 v24, v2, v50
	v_add_f32_e32 v17, v7, v51
	v_add_f32_e32 v21, v3, v51
	v_dual_add_f32 v64, v15, v47 :: v_dual_add_f32 v65, v14, v46
	v_dual_add_f32 v66, v11, v47 :: v_dual_add_f32 v67, v10, v46
	v_min3_f32 v115, v133, v132, v115
	v_min3_f32 v50, v16, v1, v122
	;; [unrolled: 1-line block ×6, first 2 shown]
	v_add_f32_e32 v1, v7, v47
	v_dual_add_f32 v17, v6, v46 :: v_dual_add_f32 v20, v3, v47
	v_dual_add_f32 v21, v2, v46 :: v_dual_add_f32 v24, v15, v43
	;; [unrolled: 1-line block ×4, first 2 shown]
	v_add_f32_e32 v69, v6, v42
	v_min3_f32 v46, v17, v1, v119
	v_min3_f32 v47, v21, v20, v116
	;; [unrolled: 1-line block ×4, first 2 shown]
	v_dual_add_f32 v1, v3, v43 :: v_dual_add_f32 v70, v2, v38
	v_dual_add_f32 v20, v2, v42 :: v_dual_add_f32 v21, v15, v39
	v_add_f32_e32 v24, v14, v38
	v_add_f32_e32 v42, v11, v39
	v_min3_f32 v17, v69, v68, v114
	v_add_f32_e32 v43, v10, v38
	v_dual_add_f32 v67, v7, v39 :: v_dual_add_f32 v68, v6, v38
	v_add_f32_e32 v69, v3, v39
	v_min3_f32 v38, v20, v1, v111
	v_min3_f32 v39, v24, v21, v112
	v_dual_add_f32 v1, v15, v35 :: v_dual_add_f32 v74, v14, v26
	s_delay_alu instid0(VALU_DEP_4)
	v_min3_f32 v20, v70, v69, v107
	v_dual_add_f32 v21, v14, v34 :: v_dual_add_f32 v24, v11, v35
	v_min3_f32 v42, v43, v42, v109
	v_min3_f32 v43, v68, v67, v110
	v_dual_add_f32 v68, v7, v35 :: v_dual_add_f32 v67, v10, v34
	v_dual_add_f32 v70, v3, v35 :: v_dual_add_f32 v69, v6, v34
	;; [unrolled: 1-line block ×3, first 2 shown]
	v_add_f32_e32 v73, v14, v30
	v_min3_f32 v34, v21, v1, v108
	v_min3_f32 v35, v67, v24, v105
	;; [unrolled: 1-line block ×5, first 2 shown]
	v_dual_add_f32 v1, v11, v31 :: v_dual_add_f32 v76, v10, v26
	v_dual_add_f32 v24, v10, v30 :: v_dual_add_f32 v69, v7, v31
	;; [unrolled: 1-line block ×5, first 2 shown]
	s_delay_alu instid0(VALU_DEP_4) | instskip(NEXT) | instid1(VALU_DEP_4)
	v_min3_f32 v30, v24, v1, v101
	v_min3_f32 v31, v70, v69, v102
	v_add_f32_e32 v1, v7, v27
	s_delay_alu instid0(VALU_DEP_4)
	v_min3_f32 v24, v76, v75, v97
	v_add_f32_e32 v76, v10, v22
	v_min3_f32 v70, v74, v73, v100
	v_dual_add_f32 v73, v15, v23 :: v_dual_add_f32 v10, v10, v18
	v_add_f32_e32 v74, v14, v22
	v_min3_f32 v69, v72, v71, v99
	v_add_f32_e32 v71, v6, v26
	v_dual_add_f32 v27, v3, v27 :: v_dual_add_f32 v14, v14, v18
	v_dual_add_f32 v72, v2, v26 :: v_dual_add_f32 v75, v11, v23
	;; [unrolled: 1-line block ×3, first 2 shown]
	v_add_f32_e32 v2, v2, v18
	v_min3_f32 v26, v71, v1, v98
	v_min3_f32 v71, v74, v73, v95
	v_add_f32_e32 v1, v3, v23
	v_add_f32_e32 v15, v15, v19
	;; [unrolled: 1-line block ×6, first 2 shown]
	v_min3_f32 v27, v72, v27, v25
	v_min3_f32 v72, v76, v75, v94
	;; [unrolled: 1-line block ×8, first 2 shown]
	s_and_b32 vcc_lo, exec_lo, s3
	s_cbranch_vccz .LBB11_21
; %bb.32:                               ;   in Loop: Header=BB11_23 Depth=1
	v_dual_mov_b32 v0, 0 :: v_dual_mov_b32 v1, 0
	s_branch .LBB11_22
.LBB11_33:
	v_dual_mov_b32 v209, v55 :: v_dual_mov_b32 v210, v56
.LBB11_34:
	ds_load_b128 v[16:19], v87 offset:2048
	ds_load_b128 v[76:79], v86 offset:6144
	s_clause 0x2
	s_load_b32 s4, s[0:1], 0x68
	s_load_b32 s3, s[0:1], 0x50
	s_load_b64 s[0:1], s[0:1], 0x70
	v_add_nc_u32_e32 v113, s14, v209
	s_waitcnt lgkmcnt(0)
	v_dual_add_f32 v5, v16, v76 :: v_dual_add_nc_u32 v84, s5, v210
	v_add_f32_e32 v6, v19, v79
	s_delay_alu instid0(VALU_DEP_3) | instskip(SKIP_4) | instid1(VALU_DEP_4)
	v_mad_i64_i32 v[0:1], null, v113, s4, 0
	v_mad_i64_i32 v[2:3], null, v113, s3, 0
	v_add_f32_e32 v4, v17, v77
	v_dual_add_f32 v7, v18, v78 :: v_dual_add_nc_u32 v82, 32, v84
	s_lshl_b64 s[0:1], s[0:1], 2
	v_lshlrev_b64 v[0:1], 2, v[0:1]
	s_delay_alu instid0(VALU_DEP_3)
	v_min3_f32 v4, v5, v4, v165
	v_lshlrev_b64 v[2:3], 2, v[2:3]
	s_add_u32 s0, s6, s0
	v_ashrrev_i32_e32 v85, 31, v84
	s_addc_u32 s1, s7, s1
	v_min3_f32 v4, v7, v6, v4
	v_add_co_u32 v144, vcc_lo, s0, v0
	v_add_co_ci_u32_e32 v145, vcc_lo, s1, v1, vcc_lo
	v_add_co_u32 v146, vcc_lo, s8, v2
	v_lshlrev_b64 v[80:81], 2, v[84:85]
	v_ashrrev_i32_e32 v83, 31, v82
	v_add_co_ci_u32_e32 v148, vcc_lo, s9, v3, vcc_lo
	v_max_f32_e32 v85, v4, v4
	s_mov_b32 vcc_lo, s2
	s_cbranch_vccz .LBB11_36
; %bb.35:
	v_add_co_u32 v0, vcc_lo, v144, v80
	s_delay_alu instid0(VALU_DEP_2)
	v_min_f32_e32 v2, 0, v85
	v_add_co_ci_u32_e32 v1, vcc_lo, v145, v81, vcc_lo
	s_mov_b32 s5, 0
	global_store_b32 v[0:1], v2, off
	s_branch .LBB11_37
.LBB11_36:
	s_mov_b32 s5, -1
.LBB11_37:
	ds_load_b128 v[12:15], v87 offset:2560
	ds_load_b128 v[8:11], v87 offset:3072
	ds_load_b128 v[0:3], v87 offset:3584
	ds_load_b128 v[72:75], v86 offset:6272
	ds_load_b128 v[68:71], v86 offset:6400
	ds_load_b128 v[64:67], v86 offset:6528
	ds_load_b128 v[60:63], v86 offset:6656
	ds_load_b128 v[56:59], v86 offset:6784
	ds_load_b128 v[52:55], v86 offset:6912
	ds_load_b128 v[48:51], v86 offset:7040
	ds_load_b128 v[44:47], v86 offset:7168
	ds_load_b128 v[40:43], v86 offset:7296
	ds_load_b128 v[36:39], v86 offset:7424
	ds_load_b128 v[32:35], v86 offset:7552
	ds_load_b128 v[28:31], v86 offset:7680
	ds_load_b128 v[24:27], v86 offset:7808
	ds_load_b128 v[20:23], v86 offset:7936
	ds_load_b128 v[4:7], v86 offset:8064
	v_lshlrev_b64 v[82:83], 2, v[82:83]
	s_and_not1_b32 vcc_lo, exec_lo, s5
	s_cbranch_vccnz .LBB11_39
; %bb.38:
	v_add_co_u32 v86, vcc_lo, v146, v80
	v_add_co_ci_u32_e32 v87, vcc_lo, v148, v81, vcc_lo
	flat_load_b32 v86, v[86:87]
	s_waitcnt vmcnt(0) lgkmcnt(0)
	v_mul_f32_e32 v149, s15, v86
	v_add_co_u32 v86, vcc_lo, v144, v80
	v_add_co_ci_u32_e32 v87, vcc_lo, v145, v81, vcc_lo
	s_delay_alu instid0(VALU_DEP_3)
	v_min_f32_e32 v85, v149, v85
	v_add_co_u32 v149, vcc_lo, v146, v82
	v_add_co_ci_u32_e32 v150, vcc_lo, v148, v83, vcc_lo
	global_store_b32 v[86:87], v85, off
	flat_load_b32 v85, v[149:150]
	s_waitcnt vmcnt(0) lgkmcnt(0)
	v_mul_f32_e32 v85, s15, v85
	s_branch .LBB11_40
.LBB11_39:
	v_mov_b32_e32 v85, s5
.LBB11_40:
	s_waitcnt lgkmcnt(16)
	v_dual_add_f32 v86, v9, v77 :: v_dual_add_f32 v87, v8, v76
	v_dual_add_f32 v149, v13, v77 :: v_dual_add_f32 v150, v12, v76
	;; [unrolled: 1-line block ×3, first 2 shown]
	s_delay_alu instid0(VALU_DEP_3)
	v_min3_f32 v87, v87, v86, v162
	v_dual_add_f32 v153, v11, v79 :: v_dual_add_f32 v154, v10, v78
	v_add_nc_u32_e32 v86, 64, v84
	v_min3_f32 v149, v150, v149, v161
	v_min_f32_e32 v150, v152, v151
	v_add_nc_u32_e32 v84, 0x60, v84
	v_min3_f32 v152, v154, v153, v87
	v_ashrrev_i32_e32 v87, 31, v86
	s_delay_alu instid0(VALU_DEP_4) | instskip(SKIP_1) | instid1(VALU_DEP_3)
	v_min3_f32 v153, v85, v150, v149
	v_add_co_u32 v150, vcc_lo, v144, v82
	v_lshlrev_b64 v[86:87], 2, v[86:87]
	v_add_co_ci_u32_e32 v151, vcc_lo, v145, v83, vcc_lo
	v_ashrrev_i32_e32 v85, 31, v84
	v_max_f32_e32 v149, v152, v152
	s_mov_b32 vcc_lo, s2
	global_store_b32 v[150:151], v153, off
	s_cbranch_vccz .LBB11_43
; %bb.41:
	v_add_co_u32 v150, vcc_lo, v144, v86
	v_min_f32_e32 v152, 0, v149
	v_add_co_ci_u32_e32 v151, vcc_lo, v145, v87, vcc_lo
	s_mov_b32 s5, 0
	global_store_b32 v[150:151], v152, off
	v_lshlrev_b64 v[84:85], 2, v[84:85]
	s_cbranch_execz .LBB11_44
; %bb.42:
	v_mov_b32_e32 v146, s5
	s_branch .LBB11_45
.LBB11_43:
	s_mov_b32 s5, -1
	v_lshlrev_b64 v[84:85], 2, v[84:85]
.LBB11_44:
	v_add_co_u32 v150, vcc_lo, v146, v86
	v_add_co_ci_u32_e32 v151, vcc_lo, v148, v87, vcc_lo
	flat_load_b32 v150, v[150:151]
	s_waitcnt vmcnt(0) lgkmcnt(0)
	v_mul_f32_e32 v152, s15, v150
	v_add_co_u32 v150, vcc_lo, v144, v86
	v_add_co_ci_u32_e32 v151, vcc_lo, v145, v87, vcc_lo
	s_delay_alu instid0(VALU_DEP_3)
	v_min_f32_e32 v149, v152, v149
	v_add_co_u32 v152, vcc_lo, v146, v84
	v_add_co_ci_u32_e32 v153, vcc_lo, v148, v85, vcc_lo
	global_store_b32 v[150:151], v149, off
	flat_load_b32 v146, v[152:153]
	s_waitcnt vmcnt(0) lgkmcnt(0)
	v_mul_f32_e32 v146, s15, v146
.LBB11_45:
	s_waitcnt lgkmcnt(14)
	v_dual_add_f32 v148, v17, v73 :: v_dual_add_f32 v149, v16, v72
	v_dual_add_f32 v77, v1, v77 :: v_dual_add_f32 v76, v0, v76
	;; [unrolled: 1-line block ×3, first 2 shown]
	s_delay_alu instid0(VALU_DEP_3) | instskip(SKIP_1) | instid1(VALU_DEP_4)
	v_min3_f32 v148, v149, v148, v160
	v_dual_add_f32 v78, v2, v78 :: v_dual_add_nc_u32 v149, 8, v113
	v_min3_f32 v150, v76, v77, v159
	v_add_f32_e32 v151, v19, v75
	s_delay_alu instid0(VALU_DEP_3) | instskip(NEXT) | instid1(VALU_DEP_4)
	v_mad_i64_i32 v[76:77], null, v149, s4, 0
	v_min_f32_e32 v153, v78, v79
	v_mad_i64_i32 v[78:79], null, v149, s3, 0
	s_delay_alu instid0(VALU_DEP_4)
	v_min3_f32 v151, v152, v151, v148
	v_add_co_u32 v148, vcc_lo, v144, v84
	v_lshlrev_b64 v[76:77], 2, v[76:77]
	v_add_co_ci_u32_e32 v149, vcc_lo, v145, v85, vcc_lo
	v_lshlrev_b64 v[78:79], 2, v[78:79]
	v_min3_f32 v146, v146, v153, v150
	v_max_f32_e32 v144, v151, v151
	v_add_co_u32 v76, vcc_lo, s0, v76
	v_add_co_ci_u32_e32 v77, vcc_lo, s1, v77, vcc_lo
	v_add_co_u32 v78, vcc_lo, s8, v78
	v_add_co_ci_u32_e32 v79, vcc_lo, s9, v79, vcc_lo
	s_mov_b32 vcc_lo, s2
	global_store_b32 v[148:149], v146, off
	s_cbranch_vccz .LBB11_48
; %bb.46:
	v_add_co_u32 v145, vcc_lo, v76, v80
	v_min_f32_e32 v148, 0, v144
	v_add_co_ci_u32_e32 v146, vcc_lo, v77, v81, vcc_lo
	s_mov_b32 s5, 0
	global_store_b32 v[145:146], v148, off
	s_cbranch_execz .LBB11_49
; %bb.47:
	v_mov_b32_e32 v144, s5
	s_branch .LBB11_50
.LBB11_48:
	s_mov_b32 s5, -1
.LBB11_49:
	v_add_co_u32 v145, vcc_lo, v78, v80
	v_add_co_ci_u32_e32 v146, vcc_lo, v79, v81, vcc_lo
	flat_load_b32 v145, v[145:146]
	s_waitcnt vmcnt(0) lgkmcnt(0)
	v_mul_f32_e32 v148, s15, v145
	v_add_co_u32 v145, vcc_lo, v76, v80
	v_add_co_ci_u32_e32 v146, vcc_lo, v77, v81, vcc_lo
	s_delay_alu instid0(VALU_DEP_3)
	v_min_f32_e32 v144, v148, v144
	v_add_co_u32 v148, vcc_lo, v78, v82
	v_add_co_ci_u32_e32 v149, vcc_lo, v79, v83, vcc_lo
	global_store_b32 v[145:146], v144, off
	flat_load_b32 v144, v[148:149]
	s_waitcnt vmcnt(0) lgkmcnt(0)
	v_mul_f32_e32 v144, s15, v144
.LBB11_50:
	v_dual_add_f32 v145, v13, v73 :: v_dual_add_f32 v146, v12, v72
	v_dual_add_f32 v148, v9, v73 :: v_dual_add_f32 v149, v8, v72
	;; [unrolled: 1-line block ×3, first 2 shown]
	s_delay_alu instid0(VALU_DEP_3) | instskip(NEXT) | instid1(VALU_DEP_3)
	v_min3_f32 v145, v146, v145, v157
	v_min3_f32 v146, v149, v148, v158
	v_dual_add_f32 v148, v11, v75 :: v_dual_add_f32 v149, v10, v74
	s_delay_alu instid0(VALU_DEP_4) | instskip(NEXT) | instid1(VALU_DEP_2)
	v_min_f32_e32 v150, v151, v150
	v_min3_f32 v148, v149, v148, v146
	s_delay_alu instid0(VALU_DEP_2) | instskip(SKIP_2) | instid1(VALU_DEP_4)
	v_min3_f32 v149, v144, v150, v145
	v_add_co_u32 v145, vcc_lo, v76, v82
	v_add_co_ci_u32_e32 v146, vcc_lo, v77, v83, vcc_lo
	v_max_f32_e32 v144, v148, v148
	s_mov_b32 vcc_lo, s2
	global_store_b32 v[145:146], v149, off
	s_cbranch_vccz .LBB11_53
; %bb.51:
	v_add_co_u32 v145, vcc_lo, v76, v86
	v_min_f32_e32 v148, 0, v144
	v_add_co_ci_u32_e32 v146, vcc_lo, v77, v87, vcc_lo
	s_mov_b32 s5, 0
	global_store_b32 v[145:146], v148, off
	s_cbranch_execz .LBB11_54
; %bb.52:
	v_mov_b32_e32 v78, s5
	s_branch .LBB11_55
.LBB11_53:
	s_mov_b32 s5, -1
.LBB11_54:
	v_add_co_u32 v145, vcc_lo, v78, v86
	v_add_co_ci_u32_e32 v146, vcc_lo, v79, v87, vcc_lo
	flat_load_b32 v145, v[145:146]
	s_waitcnt vmcnt(0) lgkmcnt(0)
	v_mul_f32_e32 v148, s15, v145
	v_add_co_u32 v145, vcc_lo, v76, v86
	v_add_co_ci_u32_e32 v146, vcc_lo, v77, v87, vcc_lo
	v_add_co_u32 v78, vcc_lo, v78, v84
	s_delay_alu instid0(VALU_DEP_4)
	v_min_f32_e32 v144, v148, v144
	v_add_co_ci_u32_e32 v79, vcc_lo, v79, v85, vcc_lo
	global_store_b32 v[145:146], v144, off
	flat_load_b32 v78, v[78:79]
	s_waitcnt vmcnt(0) lgkmcnt(0)
	v_mul_f32_e32 v78, s15, v78
.LBB11_55:
	s_waitcnt lgkmcnt(13)
	v_dual_add_f32 v79, v17, v69 :: v_dual_add_f32 v144, v16, v68
	v_dual_add_f32 v73, v1, v73 :: v_dual_add_f32 v72, v0, v72
	;; [unrolled: 1-line block ×3, first 2 shown]
	s_delay_alu instid0(VALU_DEP_3) | instskip(SKIP_1) | instid1(VALU_DEP_4)
	v_min3_f32 v79, v144, v79, v147
	v_add_nc_u32_e32 v144, 16, v113
	v_min3_f32 v145, v72, v73, v156
	v_dual_add_f32 v146, v19, v71 :: v_dual_add_f32 v147, v18, v70
	v_min_f32_e32 v148, v74, v75
	s_delay_alu instid0(VALU_DEP_4) | instskip(SKIP_1) | instid1(VALU_DEP_3)
	v_mad_i64_i32 v[72:73], null, v144, s4, 0
	v_mad_i64_i32 v[74:75], null, v144, s3, 0
	v_min3_f32 v145, v78, v148, v145
	v_add_co_u32 v78, vcc_lo, v76, v84
	v_min3_f32 v144, v147, v146, v79
	v_lshlrev_b64 v[72:73], 2, v[72:73]
	v_add_co_ci_u32_e32 v79, vcc_lo, v77, v85, vcc_lo
	v_lshlrev_b64 v[74:75], 2, v[74:75]
	s_delay_alu instid0(VALU_DEP_4) | instskip(NEXT) | instid1(VALU_DEP_4)
	v_max_f32_e32 v76, v144, v144
	v_add_co_u32 v72, vcc_lo, s0, v72
	v_add_co_ci_u32_e32 v73, vcc_lo, s1, v73, vcc_lo
	s_delay_alu instid0(VALU_DEP_4)
	v_add_co_u32 v74, vcc_lo, s8, v74
	v_add_co_ci_u32_e32 v75, vcc_lo, s9, v75, vcc_lo
	s_mov_b32 vcc_lo, s2
	global_store_b32 v[78:79], v145, off
	s_cbranch_vccz .LBB11_58
; %bb.56:
	v_add_co_u32 v77, vcc_lo, v72, v80
	v_min_f32_e32 v79, 0, v76
	v_add_co_ci_u32_e32 v78, vcc_lo, v73, v81, vcc_lo
	s_mov_b32 s5, 0
	global_store_b32 v[77:78], v79, off
	s_cbranch_execz .LBB11_59
; %bb.57:
	v_mov_b32_e32 v76, s5
	s_branch .LBB11_60
.LBB11_58:
	s_mov_b32 s5, -1
.LBB11_59:
	v_add_co_u32 v77, vcc_lo, v74, v80
	v_add_co_ci_u32_e32 v78, vcc_lo, v75, v81, vcc_lo
	flat_load_b32 v77, v[77:78]
	s_waitcnt vmcnt(0) lgkmcnt(0)
	v_mul_f32_e32 v79, s15, v77
	v_add_co_u32 v77, vcc_lo, v72, v80
	v_add_co_ci_u32_e32 v78, vcc_lo, v73, v81, vcc_lo
	v_add_co_u32 v144, vcc_lo, v74, v82
	s_delay_alu instid0(VALU_DEP_4)
	v_min_f32_e32 v76, v79, v76
	v_add_co_ci_u32_e32 v145, vcc_lo, v75, v83, vcc_lo
	global_store_b32 v[77:78], v76, off
	flat_load_b32 v76, v[144:145]
	s_waitcnt vmcnt(0) lgkmcnt(0)
	v_mul_f32_e32 v76, s15, v76
.LBB11_60:
	v_dual_add_f32 v77, v13, v69 :: v_dual_add_f32 v78, v12, v68
	v_dual_add_f32 v79, v9, v69 :: v_dual_add_f32 v144, v8, v68
	;; [unrolled: 1-line block ×3, first 2 shown]
	s_delay_alu instid0(VALU_DEP_3) | instskip(SKIP_1) | instid1(VALU_DEP_4)
	v_min3_f32 v77, v78, v77, v142
	v_add_f32_e32 v142, v10, v70
	v_min3_f32 v78, v144, v79, v143
	v_add_f32_e32 v79, v11, v71
	s_delay_alu instid0(VALU_DEP_1) | instskip(SKIP_1) | instid1(VALU_DEP_1)
	v_min3_f32 v79, v142, v79, v78
	v_min_f32_e32 v143, v146, v145
	v_min3_f32 v142, v76, v143, v77
	s_delay_alu instid0(VALU_DEP_3)
	v_max_f32_e32 v76, v79, v79
	v_add_co_u32 v77, vcc_lo, v72, v82
	v_add_co_ci_u32_e32 v78, vcc_lo, v73, v83, vcc_lo
	s_mov_b32 vcc_lo, s2
	global_store_b32 v[77:78], v142, off
	s_cbranch_vccz .LBB11_63
; %bb.61:
	v_add_co_u32 v77, vcc_lo, v72, v86
	v_min_f32_e32 v79, 0, v76
	v_add_co_ci_u32_e32 v78, vcc_lo, v73, v87, vcc_lo
	s_mov_b32 s5, 0
	global_store_b32 v[77:78], v79, off
	s_cbranch_execz .LBB11_64
; %bb.62:
	v_mov_b32_e32 v74, s5
	s_branch .LBB11_65
.LBB11_63:
	s_mov_b32 s5, -1
.LBB11_64:
	v_add_co_u32 v77, vcc_lo, v74, v86
	v_add_co_ci_u32_e32 v78, vcc_lo, v75, v87, vcc_lo
	flat_load_b32 v77, v[77:78]
	s_waitcnt vmcnt(0) lgkmcnt(0)
	v_mul_f32_e32 v79, s15, v77
	v_add_co_u32 v77, vcc_lo, v72, v86
	v_add_co_ci_u32_e32 v78, vcc_lo, v73, v87, vcc_lo
	v_add_co_u32 v74, vcc_lo, v74, v84
	s_delay_alu instid0(VALU_DEP_4)
	v_min_f32_e32 v76, v79, v76
	v_add_co_ci_u32_e32 v75, vcc_lo, v75, v85, vcc_lo
	global_store_b32 v[77:78], v76, off
	flat_load_b32 v74, v[74:75]
	s_waitcnt vmcnt(0) lgkmcnt(0)
	v_mul_f32_e32 v74, s15, v74
.LBB11_65:
	s_waitcnt lgkmcnt(12)
	v_dual_add_f32 v75, v17, v65 :: v_dual_add_f32 v76, v16, v64
	v_dual_add_f32 v69, v1, v69 :: v_dual_add_f32 v68, v0, v68
	;; [unrolled: 1-line block ×3, first 2 shown]
	s_delay_alu instid0(VALU_DEP_3) | instskip(SKIP_1) | instid1(VALU_DEP_4)
	v_min3_f32 v75, v76, v75, v141
	v_add_nc_u32_e32 v76, 24, v113
	v_min3_f32 v77, v68, v69, v140
	v_dual_add_f32 v78, v19, v67 :: v_dual_add_f32 v79, v18, v66
	v_min_f32_e32 v140, v70, v71
	s_delay_alu instid0(VALU_DEP_4) | instskip(SKIP_1) | instid1(VALU_DEP_3)
	v_mad_i64_i32 v[68:69], null, v76, s4, 0
	v_mad_i64_i32 v[70:71], null, v76, s3, 0
	v_min3_f32 v77, v74, v140, v77
	v_add_co_u32 v74, vcc_lo, v72, v84
	v_min3_f32 v76, v79, v78, v75
	v_lshlrev_b64 v[68:69], 2, v[68:69]
	v_add_co_ci_u32_e32 v75, vcc_lo, v73, v85, vcc_lo
	v_lshlrev_b64 v[70:71], 2, v[70:71]
	s_delay_alu instid0(VALU_DEP_4) | instskip(NEXT) | instid1(VALU_DEP_4)
	v_max_f32_e32 v72, v76, v76
	v_add_co_u32 v68, vcc_lo, s0, v68
	v_add_co_ci_u32_e32 v69, vcc_lo, s1, v69, vcc_lo
	s_delay_alu instid0(VALU_DEP_4)
	v_add_co_u32 v70, vcc_lo, s8, v70
	v_add_co_ci_u32_e32 v71, vcc_lo, s9, v71, vcc_lo
	s_mov_b32 vcc_lo, s2
	global_store_b32 v[74:75], v77, off
	s_cbranch_vccz .LBB11_68
; %bb.66:
	v_add_co_u32 v73, vcc_lo, v68, v80
	v_min_f32_e32 v75, 0, v72
	v_add_co_ci_u32_e32 v74, vcc_lo, v69, v81, vcc_lo
	s_mov_b32 s5, 0
	global_store_b32 v[73:74], v75, off
	s_cbranch_execz .LBB11_69
; %bb.67:
	v_mov_b32_e32 v72, s5
	s_branch .LBB11_70
.LBB11_68:
	s_mov_b32 s5, -1
.LBB11_69:
	v_add_co_u32 v73, vcc_lo, v70, v80
	v_add_co_ci_u32_e32 v74, vcc_lo, v71, v81, vcc_lo
	flat_load_b32 v73, v[73:74]
	s_waitcnt vmcnt(0) lgkmcnt(0)
	v_mul_f32_e32 v75, s15, v73
	v_add_co_u32 v73, vcc_lo, v68, v80
	v_add_co_ci_u32_e32 v74, vcc_lo, v69, v81, vcc_lo
	s_delay_alu instid0(VALU_DEP_3)
	v_min_f32_e32 v72, v75, v72
	v_add_co_u32 v75, vcc_lo, v70, v82
	v_add_co_ci_u32_e32 v76, vcc_lo, v71, v83, vcc_lo
	global_store_b32 v[73:74], v72, off
	flat_load_b32 v72, v[75:76]
	s_waitcnt vmcnt(0) lgkmcnt(0)
	v_mul_f32_e32 v72, s15, v72
.LBB11_70:
	v_dual_add_f32 v73, v13, v65 :: v_dual_add_f32 v74, v12, v64
	v_dual_add_f32 v75, v9, v65 :: v_dual_add_f32 v76, v8, v64
	;; [unrolled: 1-line block ×3, first 2 shown]
	s_delay_alu instid0(VALU_DEP_3) | instskip(NEXT) | instid1(VALU_DEP_3)
	v_min3_f32 v73, v74, v73, v138
	v_min3_f32 v74, v76, v75, v139
	v_dual_add_f32 v75, v11, v67 :: v_dual_add_f32 v76, v10, v66
	s_delay_alu instid0(VALU_DEP_1) | instskip(SKIP_1) | instid1(VALU_DEP_1)
	v_min3_f32 v75, v76, v75, v74
	v_min_f32_e32 v77, v78, v77
	v_min3_f32 v76, v72, v77, v73
	s_delay_alu instid0(VALU_DEP_3)
	v_max_f32_e32 v72, v75, v75
	v_add_co_u32 v73, vcc_lo, v68, v82
	v_add_co_ci_u32_e32 v74, vcc_lo, v69, v83, vcc_lo
	s_mov_b32 vcc_lo, s2
	global_store_b32 v[73:74], v76, off
	s_cbranch_vccz .LBB11_73
; %bb.71:
	v_add_co_u32 v73, vcc_lo, v68, v86
	v_min_f32_e32 v75, 0, v72
	v_add_co_ci_u32_e32 v74, vcc_lo, v69, v87, vcc_lo
	s_mov_b32 s5, 0
	global_store_b32 v[73:74], v75, off
	s_cbranch_execz .LBB11_74
; %bb.72:
	v_mov_b32_e32 v70, s5
	s_branch .LBB11_75
.LBB11_73:
	s_mov_b32 s5, -1
.LBB11_74:
	v_add_co_u32 v73, vcc_lo, v70, v86
	v_add_co_ci_u32_e32 v74, vcc_lo, v71, v87, vcc_lo
	flat_load_b32 v73, v[73:74]
	s_waitcnt vmcnt(0) lgkmcnt(0)
	v_mul_f32_e32 v75, s15, v73
	v_add_co_u32 v73, vcc_lo, v68, v86
	v_add_co_ci_u32_e32 v74, vcc_lo, v69, v87, vcc_lo
	v_add_co_u32 v70, vcc_lo, v70, v84
	s_delay_alu instid0(VALU_DEP_4)
	v_min_f32_e32 v72, v75, v72
	v_add_co_ci_u32_e32 v71, vcc_lo, v71, v85, vcc_lo
	global_store_b32 v[73:74], v72, off
	flat_load_b32 v70, v[70:71]
	s_waitcnt vmcnt(0) lgkmcnt(0)
	v_mul_f32_e32 v70, s15, v70
.LBB11_75:
	s_waitcnt lgkmcnt(11)
	v_dual_add_f32 v71, v17, v61 :: v_dual_add_f32 v72, v16, v60
	v_dual_add_f32 v65, v1, v65 :: v_dual_add_f32 v64, v0, v64
	;; [unrolled: 1-line block ×3, first 2 shown]
	s_delay_alu instid0(VALU_DEP_3) | instskip(SKIP_1) | instid1(VALU_DEP_4)
	v_min3_f32 v71, v72, v71, v137
	v_add_nc_u32_e32 v72, 32, v113
	v_min3_f32 v73, v64, v65, v136
	v_dual_add_f32 v74, v19, v63 :: v_dual_add_f32 v75, v18, v62
	v_min_f32_e32 v76, v66, v67
	s_delay_alu instid0(VALU_DEP_4) | instskip(SKIP_1) | instid1(VALU_DEP_3)
	v_mad_i64_i32 v[64:65], null, v72, s4, 0
	v_mad_i64_i32 v[66:67], null, v72, s3, 0
	v_min3_f32 v73, v70, v76, v73
	v_add_co_u32 v70, vcc_lo, v68, v84
	v_min3_f32 v72, v75, v74, v71
	v_lshlrev_b64 v[64:65], 2, v[64:65]
	v_add_co_ci_u32_e32 v71, vcc_lo, v69, v85, vcc_lo
	v_lshlrev_b64 v[66:67], 2, v[66:67]
	s_delay_alu instid0(VALU_DEP_4) | instskip(NEXT) | instid1(VALU_DEP_4)
	v_max_f32_e32 v68, v72, v72
	v_add_co_u32 v64, vcc_lo, s0, v64
	v_add_co_ci_u32_e32 v65, vcc_lo, s1, v65, vcc_lo
	s_delay_alu instid0(VALU_DEP_4)
	v_add_co_u32 v66, vcc_lo, s8, v66
	v_add_co_ci_u32_e32 v67, vcc_lo, s9, v67, vcc_lo
	s_mov_b32 vcc_lo, s2
	global_store_b32 v[70:71], v73, off
	s_cbranch_vccz .LBB11_78
; %bb.76:
	v_add_co_u32 v69, vcc_lo, v64, v80
	v_min_f32_e32 v71, 0, v68
	v_add_co_ci_u32_e32 v70, vcc_lo, v65, v81, vcc_lo
	s_mov_b32 s5, 0
	global_store_b32 v[69:70], v71, off
	s_cbranch_execz .LBB11_79
; %bb.77:
	v_mov_b32_e32 v68, s5
	s_branch .LBB11_80
.LBB11_78:
	s_mov_b32 s5, -1
.LBB11_79:
	v_add_co_u32 v69, vcc_lo, v66, v80
	v_add_co_ci_u32_e32 v70, vcc_lo, v67, v81, vcc_lo
	flat_load_b32 v69, v[69:70]
	s_waitcnt vmcnt(0) lgkmcnt(0)
	v_mul_f32_e32 v71, s15, v69
	v_add_co_u32 v69, vcc_lo, v64, v80
	v_add_co_ci_u32_e32 v70, vcc_lo, v65, v81, vcc_lo
	s_delay_alu instid0(VALU_DEP_3)
	v_min_f32_e32 v68, v71, v68
	v_add_co_u32 v71, vcc_lo, v66, v82
	v_add_co_ci_u32_e32 v72, vcc_lo, v67, v83, vcc_lo
	global_store_b32 v[69:70], v68, off
	flat_load_b32 v68, v[71:72]
	s_waitcnt vmcnt(0) lgkmcnt(0)
	v_mul_f32_e32 v68, s15, v68
.LBB11_80:
	v_dual_add_f32 v69, v13, v61 :: v_dual_add_f32 v70, v12, v60
	v_dual_add_f32 v71, v9, v61 :: v_dual_add_f32 v72, v8, v60
	;; [unrolled: 1-line block ×3, first 2 shown]
	s_delay_alu instid0(VALU_DEP_3) | instskip(NEXT) | instid1(VALU_DEP_3)
	v_min3_f32 v69, v70, v69, v135
	v_min3_f32 v70, v72, v71, v134
	v_dual_add_f32 v71, v11, v63 :: v_dual_add_f32 v72, v10, v62
	s_delay_alu instid0(VALU_DEP_1) | instskip(SKIP_1) | instid1(VALU_DEP_1)
	v_min3_f32 v71, v72, v71, v70
	v_min_f32_e32 v73, v74, v73
	v_min3_f32 v72, v68, v73, v69
	s_delay_alu instid0(VALU_DEP_3)
	v_max_f32_e32 v68, v71, v71
	v_add_co_u32 v69, vcc_lo, v64, v82
	v_add_co_ci_u32_e32 v70, vcc_lo, v65, v83, vcc_lo
	s_mov_b32 vcc_lo, s2
	global_store_b32 v[69:70], v72, off
	s_cbranch_vccz .LBB11_83
; %bb.81:
	v_add_co_u32 v69, vcc_lo, v64, v86
	v_min_f32_e32 v71, 0, v68
	v_add_co_ci_u32_e32 v70, vcc_lo, v65, v87, vcc_lo
	s_mov_b32 s5, 0
	global_store_b32 v[69:70], v71, off
	s_cbranch_execz .LBB11_84
; %bb.82:
	v_mov_b32_e32 v66, s5
	s_branch .LBB11_85
.LBB11_83:
	s_mov_b32 s5, -1
.LBB11_84:
	v_add_co_u32 v69, vcc_lo, v66, v86
	v_add_co_ci_u32_e32 v70, vcc_lo, v67, v87, vcc_lo
	flat_load_b32 v69, v[69:70]
	s_waitcnt vmcnt(0) lgkmcnt(0)
	v_mul_f32_e32 v71, s15, v69
	v_add_co_u32 v69, vcc_lo, v64, v86
	v_add_co_ci_u32_e32 v70, vcc_lo, v65, v87, vcc_lo
	v_add_co_u32 v66, vcc_lo, v66, v84
	s_delay_alu instid0(VALU_DEP_4)
	v_min_f32_e32 v68, v71, v68
	v_add_co_ci_u32_e32 v67, vcc_lo, v67, v85, vcc_lo
	global_store_b32 v[69:70], v68, off
	flat_load_b32 v66, v[66:67]
	s_waitcnt vmcnt(0) lgkmcnt(0)
	v_mul_f32_e32 v66, s15, v66
.LBB11_85:
	s_waitcnt lgkmcnt(10)
	v_dual_add_f32 v67, v17, v57 :: v_dual_add_f32 v68, v16, v56
	v_dual_add_f32 v61, v1, v61 :: v_dual_add_f32 v60, v0, v60
	;; [unrolled: 1-line block ×3, first 2 shown]
	s_delay_alu instid0(VALU_DEP_3) | instskip(SKIP_1) | instid1(VALU_DEP_4)
	v_min3_f32 v67, v68, v67, v133
	v_add_nc_u32_e32 v68, 40, v113
	v_min3_f32 v69, v60, v61, v132
	v_dual_add_f32 v70, v19, v59 :: v_dual_add_f32 v71, v18, v58
	v_min_f32_e32 v72, v62, v63
	s_delay_alu instid0(VALU_DEP_4) | instskip(SKIP_1) | instid1(VALU_DEP_3)
	v_mad_i64_i32 v[60:61], null, v68, s4, 0
	v_mad_i64_i32 v[62:63], null, v68, s3, 0
	v_min3_f32 v69, v66, v72, v69
	v_add_co_u32 v66, vcc_lo, v64, v84
	v_min3_f32 v68, v71, v70, v67
	v_lshlrev_b64 v[60:61], 2, v[60:61]
	v_add_co_ci_u32_e32 v67, vcc_lo, v65, v85, vcc_lo
	v_lshlrev_b64 v[62:63], 2, v[62:63]
	s_delay_alu instid0(VALU_DEP_4) | instskip(NEXT) | instid1(VALU_DEP_4)
	v_max_f32_e32 v64, v68, v68
	v_add_co_u32 v60, vcc_lo, s0, v60
	v_add_co_ci_u32_e32 v61, vcc_lo, s1, v61, vcc_lo
	s_delay_alu instid0(VALU_DEP_4)
	v_add_co_u32 v62, vcc_lo, s8, v62
	v_add_co_ci_u32_e32 v63, vcc_lo, s9, v63, vcc_lo
	s_mov_b32 vcc_lo, s2
	global_store_b32 v[66:67], v69, off
	s_cbranch_vccz .LBB11_88
; %bb.86:
	v_add_co_u32 v65, vcc_lo, v60, v80
	v_min_f32_e32 v67, 0, v64
	v_add_co_ci_u32_e32 v66, vcc_lo, v61, v81, vcc_lo
	s_mov_b32 s5, 0
	global_store_b32 v[65:66], v67, off
	s_cbranch_execz .LBB11_89
; %bb.87:
	v_mov_b32_e32 v64, s5
	s_branch .LBB11_90
.LBB11_88:
	s_mov_b32 s5, -1
.LBB11_89:
	v_add_co_u32 v65, vcc_lo, v62, v80
	v_add_co_ci_u32_e32 v66, vcc_lo, v63, v81, vcc_lo
	flat_load_b32 v65, v[65:66]
	s_waitcnt vmcnt(0) lgkmcnt(0)
	v_mul_f32_e32 v67, s15, v65
	v_add_co_u32 v65, vcc_lo, v60, v80
	v_add_co_ci_u32_e32 v66, vcc_lo, v61, v81, vcc_lo
	s_delay_alu instid0(VALU_DEP_3)
	v_min_f32_e32 v64, v67, v64
	v_add_co_u32 v67, vcc_lo, v62, v82
	v_add_co_ci_u32_e32 v68, vcc_lo, v63, v83, vcc_lo
	global_store_b32 v[65:66], v64, off
	flat_load_b32 v64, v[67:68]
	s_waitcnt vmcnt(0) lgkmcnt(0)
	v_mul_f32_e32 v64, s15, v64
.LBB11_90:
	v_dual_add_f32 v65, v13, v57 :: v_dual_add_f32 v66, v12, v56
	v_dual_add_f32 v67, v9, v57 :: v_dual_add_f32 v68, v8, v56
	;; [unrolled: 1-line block ×3, first 2 shown]
	s_delay_alu instid0(VALU_DEP_3) | instskip(NEXT) | instid1(VALU_DEP_3)
	v_min3_f32 v65, v66, v65, v130
	v_min3_f32 v66, v68, v67, v131
	v_dual_add_f32 v67, v11, v59 :: v_dual_add_f32 v68, v10, v58
	s_delay_alu instid0(VALU_DEP_1) | instskip(SKIP_1) | instid1(VALU_DEP_1)
	v_min3_f32 v67, v68, v67, v66
	v_min_f32_e32 v69, v70, v69
	v_min3_f32 v68, v64, v69, v65
	s_delay_alu instid0(VALU_DEP_3)
	v_max_f32_e32 v64, v67, v67
	v_add_co_u32 v65, vcc_lo, v60, v82
	v_add_co_ci_u32_e32 v66, vcc_lo, v61, v83, vcc_lo
	s_mov_b32 vcc_lo, s2
	global_store_b32 v[65:66], v68, off
	s_cbranch_vccz .LBB11_93
; %bb.91:
	v_add_co_u32 v65, vcc_lo, v60, v86
	v_min_f32_e32 v67, 0, v64
	v_add_co_ci_u32_e32 v66, vcc_lo, v61, v87, vcc_lo
	s_mov_b32 s5, 0
	global_store_b32 v[65:66], v67, off
	s_cbranch_execz .LBB11_94
; %bb.92:
	v_mov_b32_e32 v62, s5
	s_branch .LBB11_95
.LBB11_93:
	s_mov_b32 s5, -1
.LBB11_94:
	v_add_co_u32 v65, vcc_lo, v62, v86
	v_add_co_ci_u32_e32 v66, vcc_lo, v63, v87, vcc_lo
	flat_load_b32 v65, v[65:66]
	s_waitcnt vmcnt(0) lgkmcnt(0)
	v_mul_f32_e32 v67, s15, v65
	v_add_co_u32 v65, vcc_lo, v60, v86
	v_add_co_ci_u32_e32 v66, vcc_lo, v61, v87, vcc_lo
	v_add_co_u32 v62, vcc_lo, v62, v84
	s_delay_alu instid0(VALU_DEP_4)
	v_min_f32_e32 v64, v67, v64
	v_add_co_ci_u32_e32 v63, vcc_lo, v63, v85, vcc_lo
	global_store_b32 v[65:66], v64, off
	flat_load_b32 v62, v[62:63]
	s_waitcnt vmcnt(0) lgkmcnt(0)
	v_mul_f32_e32 v62, s15, v62
.LBB11_95:
	s_waitcnt lgkmcnt(9)
	v_dual_add_f32 v63, v17, v53 :: v_dual_add_f32 v64, v16, v52
	v_dual_add_f32 v57, v1, v57 :: v_dual_add_f32 v56, v0, v56
	;; [unrolled: 1-line block ×3, first 2 shown]
	s_delay_alu instid0(VALU_DEP_3) | instskip(SKIP_1) | instid1(VALU_DEP_4)
	v_min3_f32 v63, v64, v63, v129
	v_add_nc_u32_e32 v64, 48, v113
	v_min3_f32 v65, v56, v57, v128
	v_dual_add_f32 v66, v19, v55 :: v_dual_add_f32 v67, v18, v54
	v_min_f32_e32 v68, v58, v59
	s_delay_alu instid0(VALU_DEP_4) | instskip(SKIP_1) | instid1(VALU_DEP_3)
	v_mad_i64_i32 v[56:57], null, v64, s4, 0
	v_mad_i64_i32 v[58:59], null, v64, s3, 0
	v_min3_f32 v65, v62, v68, v65
	v_add_co_u32 v62, vcc_lo, v60, v84
	v_min3_f32 v64, v67, v66, v63
	v_lshlrev_b64 v[56:57], 2, v[56:57]
	v_add_co_ci_u32_e32 v63, vcc_lo, v61, v85, vcc_lo
	v_lshlrev_b64 v[58:59], 2, v[58:59]
	s_delay_alu instid0(VALU_DEP_4) | instskip(NEXT) | instid1(VALU_DEP_4)
	v_max_f32_e32 v60, v64, v64
	v_add_co_u32 v56, vcc_lo, s0, v56
	v_add_co_ci_u32_e32 v57, vcc_lo, s1, v57, vcc_lo
	s_delay_alu instid0(VALU_DEP_4)
	v_add_co_u32 v58, vcc_lo, s8, v58
	v_add_co_ci_u32_e32 v59, vcc_lo, s9, v59, vcc_lo
	s_mov_b32 vcc_lo, s2
	global_store_b32 v[62:63], v65, off
	s_cbranch_vccz .LBB11_98
; %bb.96:
	v_add_co_u32 v61, vcc_lo, v56, v80
	v_min_f32_e32 v63, 0, v60
	v_add_co_ci_u32_e32 v62, vcc_lo, v57, v81, vcc_lo
	s_mov_b32 s5, 0
	global_store_b32 v[61:62], v63, off
	s_cbranch_execz .LBB11_99
; %bb.97:
	v_mov_b32_e32 v60, s5
	s_branch .LBB11_100
.LBB11_98:
	s_mov_b32 s5, -1
.LBB11_99:
	v_add_co_u32 v61, vcc_lo, v58, v80
	v_add_co_ci_u32_e32 v62, vcc_lo, v59, v81, vcc_lo
	flat_load_b32 v61, v[61:62]
	s_waitcnt vmcnt(0) lgkmcnt(0)
	v_mul_f32_e32 v63, s15, v61
	v_add_co_u32 v61, vcc_lo, v56, v80
	v_add_co_ci_u32_e32 v62, vcc_lo, v57, v81, vcc_lo
	s_delay_alu instid0(VALU_DEP_3)
	v_min_f32_e32 v60, v63, v60
	v_add_co_u32 v63, vcc_lo, v58, v82
	v_add_co_ci_u32_e32 v64, vcc_lo, v59, v83, vcc_lo
	global_store_b32 v[61:62], v60, off
	flat_load_b32 v60, v[63:64]
	s_waitcnt vmcnt(0) lgkmcnt(0)
	v_mul_f32_e32 v60, s15, v60
.LBB11_100:
	v_dual_add_f32 v61, v13, v53 :: v_dual_add_f32 v62, v12, v52
	v_dual_add_f32 v63, v9, v53 :: v_dual_add_f32 v64, v8, v52
	;; [unrolled: 1-line block ×3, first 2 shown]
	s_delay_alu instid0(VALU_DEP_3) | instskip(NEXT) | instid1(VALU_DEP_3)
	v_min3_f32 v61, v62, v61, v126
	v_min3_f32 v62, v64, v63, v127
	v_dual_add_f32 v63, v11, v55 :: v_dual_add_f32 v64, v10, v54
	s_delay_alu instid0(VALU_DEP_1) | instskip(SKIP_1) | instid1(VALU_DEP_1)
	v_min3_f32 v63, v64, v63, v62
	v_min_f32_e32 v65, v66, v65
	v_min3_f32 v64, v60, v65, v61
	s_delay_alu instid0(VALU_DEP_3)
	v_max_f32_e32 v60, v63, v63
	v_add_co_u32 v61, vcc_lo, v56, v82
	v_add_co_ci_u32_e32 v62, vcc_lo, v57, v83, vcc_lo
	s_mov_b32 vcc_lo, s2
	global_store_b32 v[61:62], v64, off
	s_cbranch_vccz .LBB11_103
; %bb.101:
	v_add_co_u32 v61, vcc_lo, v56, v86
	v_min_f32_e32 v63, 0, v60
	v_add_co_ci_u32_e32 v62, vcc_lo, v57, v87, vcc_lo
	s_mov_b32 s5, 0
	global_store_b32 v[61:62], v63, off
	s_cbranch_execz .LBB11_104
; %bb.102:
	v_mov_b32_e32 v58, s5
	s_branch .LBB11_105
.LBB11_103:
	s_mov_b32 s5, -1
.LBB11_104:
	v_add_co_u32 v61, vcc_lo, v58, v86
	v_add_co_ci_u32_e32 v62, vcc_lo, v59, v87, vcc_lo
	flat_load_b32 v61, v[61:62]
	s_waitcnt vmcnt(0) lgkmcnt(0)
	v_mul_f32_e32 v63, s15, v61
	v_add_co_u32 v61, vcc_lo, v56, v86
	v_add_co_ci_u32_e32 v62, vcc_lo, v57, v87, vcc_lo
	v_add_co_u32 v58, vcc_lo, v58, v84
	s_delay_alu instid0(VALU_DEP_4)
	v_min_f32_e32 v60, v63, v60
	v_add_co_ci_u32_e32 v59, vcc_lo, v59, v85, vcc_lo
	global_store_b32 v[61:62], v60, off
	flat_load_b32 v58, v[58:59]
	s_waitcnt vmcnt(0) lgkmcnt(0)
	v_mul_f32_e32 v58, s15, v58
.LBB11_105:
	s_waitcnt lgkmcnt(8)
	v_dual_add_f32 v59, v17, v49 :: v_dual_add_f32 v60, v16, v48
	v_dual_add_f32 v53, v1, v53 :: v_dual_add_f32 v52, v0, v52
	;; [unrolled: 1-line block ×3, first 2 shown]
	s_delay_alu instid0(VALU_DEP_3) | instskip(SKIP_1) | instid1(VALU_DEP_4)
	v_min3_f32 v59, v60, v59, v124
	v_add_nc_u32_e32 v60, 56, v113
	v_min3_f32 v61, v52, v53, v125
	v_dual_add_f32 v62, v19, v51 :: v_dual_add_f32 v63, v18, v50
	v_min_f32_e32 v64, v54, v55
	s_delay_alu instid0(VALU_DEP_4) | instskip(SKIP_1) | instid1(VALU_DEP_3)
	v_mad_i64_i32 v[52:53], null, v60, s4, 0
	v_mad_i64_i32 v[54:55], null, v60, s3, 0
	v_min3_f32 v61, v58, v64, v61
	v_add_co_u32 v58, vcc_lo, v56, v84
	v_min3_f32 v60, v63, v62, v59
	v_lshlrev_b64 v[52:53], 2, v[52:53]
	v_add_co_ci_u32_e32 v59, vcc_lo, v57, v85, vcc_lo
	v_lshlrev_b64 v[54:55], 2, v[54:55]
	s_delay_alu instid0(VALU_DEP_4) | instskip(NEXT) | instid1(VALU_DEP_4)
	v_max_f32_e32 v56, v60, v60
	v_add_co_u32 v52, vcc_lo, s0, v52
	v_add_co_ci_u32_e32 v53, vcc_lo, s1, v53, vcc_lo
	s_delay_alu instid0(VALU_DEP_4)
	v_add_co_u32 v54, vcc_lo, s8, v54
	v_add_co_ci_u32_e32 v55, vcc_lo, s9, v55, vcc_lo
	s_mov_b32 vcc_lo, s2
	global_store_b32 v[58:59], v61, off
	s_cbranch_vccz .LBB11_108
; %bb.106:
	v_add_co_u32 v57, vcc_lo, v52, v80
	v_min_f32_e32 v59, 0, v56
	v_add_co_ci_u32_e32 v58, vcc_lo, v53, v81, vcc_lo
	s_mov_b32 s5, 0
	global_store_b32 v[57:58], v59, off
	s_cbranch_execz .LBB11_109
; %bb.107:
	v_mov_b32_e32 v56, s5
	s_branch .LBB11_110
.LBB11_108:
	s_mov_b32 s5, -1
.LBB11_109:
	v_add_co_u32 v57, vcc_lo, v54, v80
	v_add_co_ci_u32_e32 v58, vcc_lo, v55, v81, vcc_lo
	flat_load_b32 v57, v[57:58]
	s_waitcnt vmcnt(0) lgkmcnt(0)
	v_mul_f32_e32 v59, s15, v57
	v_add_co_u32 v57, vcc_lo, v52, v80
	v_add_co_ci_u32_e32 v58, vcc_lo, v53, v81, vcc_lo
	s_delay_alu instid0(VALU_DEP_3)
	v_min_f32_e32 v56, v59, v56
	v_add_co_u32 v59, vcc_lo, v54, v82
	v_add_co_ci_u32_e32 v60, vcc_lo, v55, v83, vcc_lo
	global_store_b32 v[57:58], v56, off
	flat_load_b32 v56, v[59:60]
	s_waitcnt vmcnt(0) lgkmcnt(0)
	v_mul_f32_e32 v56, s15, v56
.LBB11_110:
	v_dual_add_f32 v57, v13, v49 :: v_dual_add_f32 v58, v12, v48
	v_dual_add_f32 v59, v9, v49 :: v_dual_add_f32 v60, v8, v48
	;; [unrolled: 1-line block ×3, first 2 shown]
	s_delay_alu instid0(VALU_DEP_3) | instskip(NEXT) | instid1(VALU_DEP_3)
	v_min3_f32 v57, v58, v57, v122
	v_min3_f32 v58, v60, v59, v123
	v_dual_add_f32 v59, v11, v51 :: v_dual_add_f32 v60, v10, v50
	s_delay_alu instid0(VALU_DEP_1) | instskip(SKIP_1) | instid1(VALU_DEP_1)
	v_min3_f32 v59, v60, v59, v58
	v_min_f32_e32 v61, v62, v61
	v_min3_f32 v60, v56, v61, v57
	s_delay_alu instid0(VALU_DEP_3)
	v_max_f32_e32 v56, v59, v59
	v_add_co_u32 v57, vcc_lo, v52, v82
	v_add_co_ci_u32_e32 v58, vcc_lo, v53, v83, vcc_lo
	s_mov_b32 vcc_lo, s2
	global_store_b32 v[57:58], v60, off
	s_cbranch_vccz .LBB11_113
; %bb.111:
	v_add_co_u32 v57, vcc_lo, v52, v86
	v_min_f32_e32 v59, 0, v56
	v_add_co_ci_u32_e32 v58, vcc_lo, v53, v87, vcc_lo
	s_mov_b32 s5, 0
	global_store_b32 v[57:58], v59, off
	s_cbranch_execz .LBB11_114
; %bb.112:
	v_mov_b32_e32 v54, s5
	s_branch .LBB11_115
.LBB11_113:
	s_mov_b32 s5, -1
.LBB11_114:
	v_add_co_u32 v57, vcc_lo, v54, v86
	v_add_co_ci_u32_e32 v58, vcc_lo, v55, v87, vcc_lo
	flat_load_b32 v57, v[57:58]
	s_waitcnt vmcnt(0) lgkmcnt(0)
	v_mul_f32_e32 v59, s15, v57
	v_add_co_u32 v57, vcc_lo, v52, v86
	v_add_co_ci_u32_e32 v58, vcc_lo, v53, v87, vcc_lo
	v_add_co_u32 v54, vcc_lo, v54, v84
	s_delay_alu instid0(VALU_DEP_4)
	v_min_f32_e32 v56, v59, v56
	v_add_co_ci_u32_e32 v55, vcc_lo, v55, v85, vcc_lo
	global_store_b32 v[57:58], v56, off
	flat_load_b32 v54, v[54:55]
	s_waitcnt vmcnt(0) lgkmcnt(0)
	v_mul_f32_e32 v54, s15, v54
.LBB11_115:
	s_waitcnt lgkmcnt(7)
	v_dual_add_f32 v55, v17, v45 :: v_dual_add_f32 v56, v16, v44
	v_dual_add_f32 v49, v1, v49 :: v_dual_add_f32 v48, v0, v48
	;; [unrolled: 1-line block ×3, first 2 shown]
	s_delay_alu instid0(VALU_DEP_3) | instskip(SKIP_1) | instid1(VALU_DEP_4)
	v_min3_f32 v55, v56, v55, v121
	v_add_nc_u32_e32 v56, 64, v113
	v_min3_f32 v57, v48, v49, v120
	v_dual_add_f32 v58, v19, v47 :: v_dual_add_f32 v59, v18, v46
	v_min_f32_e32 v60, v50, v51
	s_delay_alu instid0(VALU_DEP_4) | instskip(SKIP_1) | instid1(VALU_DEP_3)
	v_mad_i64_i32 v[48:49], null, v56, s4, 0
	v_mad_i64_i32 v[50:51], null, v56, s3, 0
	v_min3_f32 v57, v54, v60, v57
	v_add_co_u32 v54, vcc_lo, v52, v84
	v_min3_f32 v56, v59, v58, v55
	v_lshlrev_b64 v[48:49], 2, v[48:49]
	v_add_co_ci_u32_e32 v55, vcc_lo, v53, v85, vcc_lo
	v_lshlrev_b64 v[50:51], 2, v[50:51]
	s_delay_alu instid0(VALU_DEP_4) | instskip(NEXT) | instid1(VALU_DEP_4)
	v_max_f32_e32 v52, v56, v56
	v_add_co_u32 v48, vcc_lo, s0, v48
	v_add_co_ci_u32_e32 v49, vcc_lo, s1, v49, vcc_lo
	s_delay_alu instid0(VALU_DEP_4)
	v_add_co_u32 v50, vcc_lo, s8, v50
	v_add_co_ci_u32_e32 v51, vcc_lo, s9, v51, vcc_lo
	s_mov_b32 vcc_lo, s2
	global_store_b32 v[54:55], v57, off
	s_cbranch_vccz .LBB11_118
; %bb.116:
	v_add_co_u32 v53, vcc_lo, v48, v80
	v_min_f32_e32 v55, 0, v52
	v_add_co_ci_u32_e32 v54, vcc_lo, v49, v81, vcc_lo
	s_mov_b32 s5, 0
	global_store_b32 v[53:54], v55, off
	s_cbranch_execz .LBB11_119
; %bb.117:
	v_mov_b32_e32 v52, s5
	s_branch .LBB11_120
.LBB11_118:
	s_mov_b32 s5, -1
.LBB11_119:
	v_add_co_u32 v53, vcc_lo, v50, v80
	v_add_co_ci_u32_e32 v54, vcc_lo, v51, v81, vcc_lo
	flat_load_b32 v53, v[53:54]
	s_waitcnt vmcnt(0) lgkmcnt(0)
	v_mul_f32_e32 v55, s15, v53
	v_add_co_u32 v53, vcc_lo, v48, v80
	v_add_co_ci_u32_e32 v54, vcc_lo, v49, v81, vcc_lo
	s_delay_alu instid0(VALU_DEP_3)
	v_min_f32_e32 v52, v55, v52
	v_add_co_u32 v55, vcc_lo, v50, v82
	v_add_co_ci_u32_e32 v56, vcc_lo, v51, v83, vcc_lo
	global_store_b32 v[53:54], v52, off
	flat_load_b32 v52, v[55:56]
	s_waitcnt vmcnt(0) lgkmcnt(0)
	v_mul_f32_e32 v52, s15, v52
.LBB11_120:
	v_dual_add_f32 v53, v13, v45 :: v_dual_add_f32 v54, v12, v44
	v_dual_add_f32 v55, v9, v45 :: v_dual_add_f32 v56, v8, v44
	v_dual_add_f32 v57, v15, v47 :: v_dual_add_f32 v58, v14, v46
	s_delay_alu instid0(VALU_DEP_3) | instskip(NEXT) | instid1(VALU_DEP_3)
	v_min3_f32 v53, v54, v53, v118
	v_min3_f32 v54, v56, v55, v119
	v_dual_add_f32 v55, v11, v47 :: v_dual_add_f32 v56, v10, v46
	s_delay_alu instid0(VALU_DEP_1) | instskip(SKIP_1) | instid1(VALU_DEP_1)
	v_min3_f32 v55, v56, v55, v54
	v_min_f32_e32 v57, v58, v57
	v_min3_f32 v56, v52, v57, v53
	s_delay_alu instid0(VALU_DEP_3)
	v_max_f32_e32 v52, v55, v55
	v_add_co_u32 v53, vcc_lo, v48, v82
	v_add_co_ci_u32_e32 v54, vcc_lo, v49, v83, vcc_lo
	s_mov_b32 vcc_lo, s2
	global_store_b32 v[53:54], v56, off
	s_cbranch_vccz .LBB11_123
; %bb.121:
	v_add_co_u32 v53, vcc_lo, v48, v86
	v_min_f32_e32 v55, 0, v52
	v_add_co_ci_u32_e32 v54, vcc_lo, v49, v87, vcc_lo
	s_mov_b32 s5, 0
	global_store_b32 v[53:54], v55, off
	s_cbranch_execz .LBB11_124
; %bb.122:
	v_mov_b32_e32 v50, s5
	s_branch .LBB11_125
.LBB11_123:
	s_mov_b32 s5, -1
.LBB11_124:
	v_add_co_u32 v53, vcc_lo, v50, v86
	v_add_co_ci_u32_e32 v54, vcc_lo, v51, v87, vcc_lo
	flat_load_b32 v53, v[53:54]
	s_waitcnt vmcnt(0) lgkmcnt(0)
	v_mul_f32_e32 v55, s15, v53
	v_add_co_u32 v53, vcc_lo, v48, v86
	v_add_co_ci_u32_e32 v54, vcc_lo, v49, v87, vcc_lo
	v_add_co_u32 v50, vcc_lo, v50, v84
	s_delay_alu instid0(VALU_DEP_4)
	v_min_f32_e32 v52, v55, v52
	v_add_co_ci_u32_e32 v51, vcc_lo, v51, v85, vcc_lo
	global_store_b32 v[53:54], v52, off
	flat_load_b32 v50, v[50:51]
	s_waitcnt vmcnt(0) lgkmcnt(0)
	v_mul_f32_e32 v50, s15, v50
.LBB11_125:
	s_waitcnt lgkmcnt(6)
	v_dual_add_f32 v51, v17, v41 :: v_dual_add_f32 v52, v16, v40
	v_dual_add_f32 v45, v1, v45 :: v_dual_add_f32 v44, v0, v44
	;; [unrolled: 1-line block ×3, first 2 shown]
	s_delay_alu instid0(VALU_DEP_3) | instskip(SKIP_1) | instid1(VALU_DEP_4)
	v_min3_f32 v51, v52, v51, v117
	v_add_nc_u32_e32 v52, 0x48, v113
	v_min3_f32 v53, v44, v45, v116
	v_dual_add_f32 v54, v19, v43 :: v_dual_add_f32 v55, v18, v42
	v_min_f32_e32 v56, v46, v47
	s_delay_alu instid0(VALU_DEP_4) | instskip(SKIP_1) | instid1(VALU_DEP_3)
	v_mad_i64_i32 v[44:45], null, v52, s4, 0
	v_mad_i64_i32 v[46:47], null, v52, s3, 0
	v_min3_f32 v53, v50, v56, v53
	v_add_co_u32 v50, vcc_lo, v48, v84
	v_min3_f32 v52, v55, v54, v51
	v_lshlrev_b64 v[44:45], 2, v[44:45]
	v_add_co_ci_u32_e32 v51, vcc_lo, v49, v85, vcc_lo
	v_lshlrev_b64 v[46:47], 2, v[46:47]
	s_delay_alu instid0(VALU_DEP_4) | instskip(NEXT) | instid1(VALU_DEP_4)
	v_max_f32_e32 v48, v52, v52
	v_add_co_u32 v44, vcc_lo, s0, v44
	v_add_co_ci_u32_e32 v45, vcc_lo, s1, v45, vcc_lo
	s_delay_alu instid0(VALU_DEP_4)
	v_add_co_u32 v46, vcc_lo, s8, v46
	v_add_co_ci_u32_e32 v47, vcc_lo, s9, v47, vcc_lo
	s_mov_b32 vcc_lo, s2
	global_store_b32 v[50:51], v53, off
	s_cbranch_vccz .LBB11_128
; %bb.126:
	v_add_co_u32 v49, vcc_lo, v44, v80
	v_min_f32_e32 v51, 0, v48
	v_add_co_ci_u32_e32 v50, vcc_lo, v45, v81, vcc_lo
	s_mov_b32 s5, 0
	global_store_b32 v[49:50], v51, off
	s_cbranch_execz .LBB11_129
; %bb.127:
	v_mov_b32_e32 v48, s5
	s_branch .LBB11_130
.LBB11_128:
	s_mov_b32 s5, -1
.LBB11_129:
	v_add_co_u32 v49, vcc_lo, v46, v80
	v_add_co_ci_u32_e32 v50, vcc_lo, v47, v81, vcc_lo
	flat_load_b32 v49, v[49:50]
	s_waitcnt vmcnt(0) lgkmcnt(0)
	v_mul_f32_e32 v51, s15, v49
	v_add_co_u32 v49, vcc_lo, v44, v80
	v_add_co_ci_u32_e32 v50, vcc_lo, v45, v81, vcc_lo
	s_delay_alu instid0(VALU_DEP_3)
	v_min_f32_e32 v48, v51, v48
	v_add_co_u32 v51, vcc_lo, v46, v82
	v_add_co_ci_u32_e32 v52, vcc_lo, v47, v83, vcc_lo
	global_store_b32 v[49:50], v48, off
	flat_load_b32 v48, v[51:52]
	s_waitcnt vmcnt(0) lgkmcnt(0)
	v_mul_f32_e32 v48, s15, v48
.LBB11_130:
	v_dual_add_f32 v49, v13, v41 :: v_dual_add_f32 v50, v12, v40
	v_dual_add_f32 v51, v9, v41 :: v_dual_add_f32 v52, v8, v40
	;; [unrolled: 1-line block ×3, first 2 shown]
	s_delay_alu instid0(VALU_DEP_3) | instskip(NEXT) | instid1(VALU_DEP_3)
	v_min3_f32 v49, v50, v49, v115
	v_min3_f32 v50, v52, v51, v114
	v_dual_add_f32 v51, v11, v43 :: v_dual_add_f32 v52, v10, v42
	s_delay_alu instid0(VALU_DEP_1) | instskip(SKIP_1) | instid1(VALU_DEP_1)
	v_min3_f32 v51, v52, v51, v50
	v_min_f32_e32 v53, v54, v53
	v_min3_f32 v52, v48, v53, v49
	s_delay_alu instid0(VALU_DEP_3)
	v_max_f32_e32 v48, v51, v51
	v_add_co_u32 v49, vcc_lo, v44, v82
	v_add_co_ci_u32_e32 v50, vcc_lo, v45, v83, vcc_lo
	s_mov_b32 vcc_lo, s2
	global_store_b32 v[49:50], v52, off
	s_cbranch_vccz .LBB11_133
; %bb.131:
	v_add_co_u32 v49, vcc_lo, v44, v86
	v_min_f32_e32 v51, 0, v48
	v_add_co_ci_u32_e32 v50, vcc_lo, v45, v87, vcc_lo
	s_mov_b32 s5, 0
	global_store_b32 v[49:50], v51, off
	s_cbranch_execz .LBB11_134
; %bb.132:
	v_mov_b32_e32 v46, s5
	s_branch .LBB11_135
.LBB11_133:
	s_mov_b32 s5, -1
.LBB11_134:
	v_add_co_u32 v49, vcc_lo, v46, v86
	v_add_co_ci_u32_e32 v50, vcc_lo, v47, v87, vcc_lo
	flat_load_b32 v49, v[49:50]
	s_waitcnt vmcnt(0) lgkmcnt(0)
	v_mul_f32_e32 v51, s15, v49
	v_add_co_u32 v49, vcc_lo, v44, v86
	v_add_co_ci_u32_e32 v50, vcc_lo, v45, v87, vcc_lo
	v_add_co_u32 v46, vcc_lo, v46, v84
	s_delay_alu instid0(VALU_DEP_4)
	v_min_f32_e32 v48, v51, v48
	v_add_co_ci_u32_e32 v47, vcc_lo, v47, v85, vcc_lo
	global_store_b32 v[49:50], v48, off
	flat_load_b32 v46, v[46:47]
	s_waitcnt vmcnt(0) lgkmcnt(0)
	v_mul_f32_e32 v46, s15, v46
.LBB11_135:
	s_waitcnt lgkmcnt(5)
	v_dual_add_f32 v47, v17, v37 :: v_dual_add_f32 v48, v16, v36
	v_dual_add_f32 v41, v1, v41 :: v_dual_add_f32 v40, v0, v40
	;; [unrolled: 1-line block ×3, first 2 shown]
	s_delay_alu instid0(VALU_DEP_3) | instskip(SKIP_1) | instid1(VALU_DEP_4)
	v_min3_f32 v47, v48, v47, v112
	v_add_nc_u32_e32 v48, 0x50, v113
	v_min3_f32 v49, v40, v41, v111
	v_dual_add_f32 v50, v19, v39 :: v_dual_add_f32 v51, v18, v38
	v_min_f32_e32 v52, v42, v43
	s_delay_alu instid0(VALU_DEP_4) | instskip(SKIP_1) | instid1(VALU_DEP_3)
	v_mad_i64_i32 v[40:41], null, v48, s4, 0
	v_mad_i64_i32 v[42:43], null, v48, s3, 0
	v_min3_f32 v49, v46, v52, v49
	v_add_co_u32 v46, vcc_lo, v44, v84
	v_min3_f32 v48, v51, v50, v47
	v_lshlrev_b64 v[40:41], 2, v[40:41]
	v_add_co_ci_u32_e32 v47, vcc_lo, v45, v85, vcc_lo
	v_lshlrev_b64 v[42:43], 2, v[42:43]
	s_delay_alu instid0(VALU_DEP_4) | instskip(NEXT) | instid1(VALU_DEP_4)
	v_max_f32_e32 v44, v48, v48
	v_add_co_u32 v40, vcc_lo, s0, v40
	v_add_co_ci_u32_e32 v41, vcc_lo, s1, v41, vcc_lo
	s_delay_alu instid0(VALU_DEP_4)
	v_add_co_u32 v42, vcc_lo, s8, v42
	v_add_co_ci_u32_e32 v43, vcc_lo, s9, v43, vcc_lo
	s_mov_b32 vcc_lo, s2
	global_store_b32 v[46:47], v49, off
	s_cbranch_vccz .LBB11_138
; %bb.136:
	v_add_co_u32 v45, vcc_lo, v40, v80
	v_min_f32_e32 v47, 0, v44
	v_add_co_ci_u32_e32 v46, vcc_lo, v41, v81, vcc_lo
	s_mov_b32 s5, 0
	global_store_b32 v[45:46], v47, off
	s_cbranch_execz .LBB11_139
; %bb.137:
	v_mov_b32_e32 v44, s5
	s_branch .LBB11_140
.LBB11_138:
	s_mov_b32 s5, -1
.LBB11_139:
	v_add_co_u32 v45, vcc_lo, v42, v80
	v_add_co_ci_u32_e32 v46, vcc_lo, v43, v81, vcc_lo
	flat_load_b32 v45, v[45:46]
	s_waitcnt vmcnt(0) lgkmcnt(0)
	v_mul_f32_e32 v47, s15, v45
	v_add_co_u32 v45, vcc_lo, v40, v80
	v_add_co_ci_u32_e32 v46, vcc_lo, v41, v81, vcc_lo
	s_delay_alu instid0(VALU_DEP_3)
	v_min_f32_e32 v44, v47, v44
	v_add_co_u32 v47, vcc_lo, v42, v82
	v_add_co_ci_u32_e32 v48, vcc_lo, v43, v83, vcc_lo
	global_store_b32 v[45:46], v44, off
	flat_load_b32 v44, v[47:48]
	s_waitcnt vmcnt(0) lgkmcnt(0)
	v_mul_f32_e32 v44, s15, v44
.LBB11_140:
	v_dual_add_f32 v45, v13, v37 :: v_dual_add_f32 v46, v12, v36
	v_dual_add_f32 v47, v9, v37 :: v_dual_add_f32 v48, v8, v36
	;; [unrolled: 1-line block ×3, first 2 shown]
	s_delay_alu instid0(VALU_DEP_3) | instskip(NEXT) | instid1(VALU_DEP_3)
	v_min3_f32 v45, v46, v45, v109
	v_min3_f32 v46, v48, v47, v110
	v_dual_add_f32 v47, v11, v39 :: v_dual_add_f32 v48, v10, v38
	s_delay_alu instid0(VALU_DEP_1) | instskip(SKIP_1) | instid1(VALU_DEP_1)
	v_min3_f32 v47, v48, v47, v46
	v_min_f32_e32 v49, v50, v49
	v_min3_f32 v48, v44, v49, v45
	s_delay_alu instid0(VALU_DEP_3)
	v_max_f32_e32 v44, v47, v47
	v_add_co_u32 v45, vcc_lo, v40, v82
	v_add_co_ci_u32_e32 v46, vcc_lo, v41, v83, vcc_lo
	s_mov_b32 vcc_lo, s2
	global_store_b32 v[45:46], v48, off
	s_cbranch_vccz .LBB11_143
; %bb.141:
	v_add_co_u32 v45, vcc_lo, v40, v86
	v_min_f32_e32 v47, 0, v44
	v_add_co_ci_u32_e32 v46, vcc_lo, v41, v87, vcc_lo
	s_mov_b32 s5, 0
	global_store_b32 v[45:46], v47, off
	s_cbranch_execz .LBB11_144
; %bb.142:
	v_mov_b32_e32 v42, s5
	s_branch .LBB11_145
.LBB11_143:
	s_mov_b32 s5, -1
.LBB11_144:
	v_add_co_u32 v45, vcc_lo, v42, v86
	v_add_co_ci_u32_e32 v46, vcc_lo, v43, v87, vcc_lo
	flat_load_b32 v45, v[45:46]
	s_waitcnt vmcnt(0) lgkmcnt(0)
	v_mul_f32_e32 v47, s15, v45
	v_add_co_u32 v45, vcc_lo, v40, v86
	v_add_co_ci_u32_e32 v46, vcc_lo, v41, v87, vcc_lo
	v_add_co_u32 v42, vcc_lo, v42, v84
	s_delay_alu instid0(VALU_DEP_4)
	v_min_f32_e32 v44, v47, v44
	v_add_co_ci_u32_e32 v43, vcc_lo, v43, v85, vcc_lo
	global_store_b32 v[45:46], v44, off
	flat_load_b32 v42, v[42:43]
	s_waitcnt vmcnt(0) lgkmcnt(0)
	v_mul_f32_e32 v42, s15, v42
.LBB11_145:
	s_waitcnt lgkmcnt(4)
	v_dual_add_f32 v43, v17, v33 :: v_dual_add_f32 v44, v16, v32
	v_dual_add_f32 v37, v1, v37 :: v_dual_add_f32 v36, v0, v36
	;; [unrolled: 1-line block ×3, first 2 shown]
	s_delay_alu instid0(VALU_DEP_3) | instskip(SKIP_1) | instid1(VALU_DEP_4)
	v_min3_f32 v43, v44, v43, v108
	v_add_nc_u32_e32 v44, 0x58, v113
	v_min3_f32 v45, v36, v37, v107
	v_dual_add_f32 v46, v19, v35 :: v_dual_add_f32 v47, v18, v34
	v_min_f32_e32 v48, v38, v39
	s_delay_alu instid0(VALU_DEP_4) | instskip(SKIP_1) | instid1(VALU_DEP_3)
	v_mad_i64_i32 v[36:37], null, v44, s4, 0
	v_mad_i64_i32 v[38:39], null, v44, s3, 0
	v_min3_f32 v45, v42, v48, v45
	v_add_co_u32 v42, vcc_lo, v40, v84
	v_min3_f32 v44, v47, v46, v43
	v_lshlrev_b64 v[36:37], 2, v[36:37]
	v_add_co_ci_u32_e32 v43, vcc_lo, v41, v85, vcc_lo
	v_lshlrev_b64 v[38:39], 2, v[38:39]
	s_delay_alu instid0(VALU_DEP_4) | instskip(NEXT) | instid1(VALU_DEP_4)
	v_max_f32_e32 v40, v44, v44
	v_add_co_u32 v36, vcc_lo, s0, v36
	v_add_co_ci_u32_e32 v37, vcc_lo, s1, v37, vcc_lo
	s_delay_alu instid0(VALU_DEP_4)
	v_add_co_u32 v38, vcc_lo, s8, v38
	v_add_co_ci_u32_e32 v39, vcc_lo, s9, v39, vcc_lo
	s_mov_b32 vcc_lo, s2
	global_store_b32 v[42:43], v45, off
	s_cbranch_vccz .LBB11_148
; %bb.146:
	v_add_co_u32 v41, vcc_lo, v36, v80
	v_min_f32_e32 v43, 0, v40
	v_add_co_ci_u32_e32 v42, vcc_lo, v37, v81, vcc_lo
	s_mov_b32 s5, 0
	global_store_b32 v[41:42], v43, off
	s_cbranch_execz .LBB11_149
; %bb.147:
	v_mov_b32_e32 v40, s5
	s_branch .LBB11_150
.LBB11_148:
	s_mov_b32 s5, -1
.LBB11_149:
	v_add_co_u32 v41, vcc_lo, v38, v80
	v_add_co_ci_u32_e32 v42, vcc_lo, v39, v81, vcc_lo
	flat_load_b32 v41, v[41:42]
	s_waitcnt vmcnt(0) lgkmcnt(0)
	v_mul_f32_e32 v43, s15, v41
	v_add_co_u32 v41, vcc_lo, v36, v80
	v_add_co_ci_u32_e32 v42, vcc_lo, v37, v81, vcc_lo
	s_delay_alu instid0(VALU_DEP_3)
	v_min_f32_e32 v40, v43, v40
	v_add_co_u32 v43, vcc_lo, v38, v82
	v_add_co_ci_u32_e32 v44, vcc_lo, v39, v83, vcc_lo
	global_store_b32 v[41:42], v40, off
	flat_load_b32 v40, v[43:44]
	s_waitcnt vmcnt(0) lgkmcnt(0)
	v_mul_f32_e32 v40, s15, v40
.LBB11_150:
	v_dual_add_f32 v41, v13, v33 :: v_dual_add_f32 v42, v12, v32
	v_dual_add_f32 v43, v9, v33 :: v_dual_add_f32 v44, v8, v32
	;; [unrolled: 1-line block ×3, first 2 shown]
	s_delay_alu instid0(VALU_DEP_3) | instskip(NEXT) | instid1(VALU_DEP_3)
	v_min3_f32 v41, v42, v41, v105
	v_min3_f32 v42, v44, v43, v106
	v_dual_add_f32 v43, v11, v35 :: v_dual_add_f32 v44, v10, v34
	s_delay_alu instid0(VALU_DEP_1) | instskip(SKIP_1) | instid1(VALU_DEP_1)
	v_min3_f32 v43, v44, v43, v42
	v_min_f32_e32 v45, v46, v45
	v_min3_f32 v44, v40, v45, v41
	s_delay_alu instid0(VALU_DEP_3)
	v_max_f32_e32 v40, v43, v43
	v_add_co_u32 v41, vcc_lo, v36, v82
	v_add_co_ci_u32_e32 v42, vcc_lo, v37, v83, vcc_lo
	s_mov_b32 vcc_lo, s2
	global_store_b32 v[41:42], v44, off
	s_cbranch_vccz .LBB11_153
; %bb.151:
	v_add_co_u32 v41, vcc_lo, v36, v86
	v_min_f32_e32 v43, 0, v40
	v_add_co_ci_u32_e32 v42, vcc_lo, v37, v87, vcc_lo
	s_mov_b32 s5, 0
	global_store_b32 v[41:42], v43, off
	s_cbranch_execz .LBB11_154
; %bb.152:
	v_mov_b32_e32 v38, s5
	s_branch .LBB11_155
.LBB11_153:
	s_mov_b32 s5, -1
.LBB11_154:
	v_add_co_u32 v41, vcc_lo, v38, v86
	v_add_co_ci_u32_e32 v42, vcc_lo, v39, v87, vcc_lo
	flat_load_b32 v41, v[41:42]
	s_waitcnt vmcnt(0) lgkmcnt(0)
	v_mul_f32_e32 v43, s15, v41
	v_add_co_u32 v41, vcc_lo, v36, v86
	v_add_co_ci_u32_e32 v42, vcc_lo, v37, v87, vcc_lo
	v_add_co_u32 v38, vcc_lo, v38, v84
	s_delay_alu instid0(VALU_DEP_4)
	v_min_f32_e32 v40, v43, v40
	v_add_co_ci_u32_e32 v39, vcc_lo, v39, v85, vcc_lo
	global_store_b32 v[41:42], v40, off
	flat_load_b32 v38, v[38:39]
	s_waitcnt vmcnt(0) lgkmcnt(0)
	v_mul_f32_e32 v38, s15, v38
.LBB11_155:
	s_waitcnt lgkmcnt(3)
	v_dual_add_f32 v39, v17, v29 :: v_dual_add_f32 v40, v16, v28
	v_dual_add_f32 v33, v1, v33 :: v_dual_add_f32 v32, v0, v32
	;; [unrolled: 1-line block ×3, first 2 shown]
	s_delay_alu instid0(VALU_DEP_3) | instskip(SKIP_1) | instid1(VALU_DEP_4)
	v_min3_f32 v39, v40, v39, v103
	v_add_nc_u32_e32 v40, 0x60, v113
	v_min3_f32 v41, v32, v33, v104
	v_dual_add_f32 v42, v19, v31 :: v_dual_add_f32 v43, v18, v30
	v_min_f32_e32 v44, v34, v35
	s_delay_alu instid0(VALU_DEP_4) | instskip(SKIP_1) | instid1(VALU_DEP_3)
	v_mad_i64_i32 v[32:33], null, v40, s4, 0
	v_mad_i64_i32 v[34:35], null, v40, s3, 0
	v_min3_f32 v41, v38, v44, v41
	v_add_co_u32 v38, vcc_lo, v36, v84
	v_min3_f32 v40, v43, v42, v39
	v_lshlrev_b64 v[32:33], 2, v[32:33]
	v_add_co_ci_u32_e32 v39, vcc_lo, v37, v85, vcc_lo
	v_lshlrev_b64 v[34:35], 2, v[34:35]
	s_delay_alu instid0(VALU_DEP_4) | instskip(NEXT) | instid1(VALU_DEP_4)
	v_max_f32_e32 v36, v40, v40
	v_add_co_u32 v32, vcc_lo, s0, v32
	v_add_co_ci_u32_e32 v33, vcc_lo, s1, v33, vcc_lo
	s_delay_alu instid0(VALU_DEP_4)
	v_add_co_u32 v34, vcc_lo, s8, v34
	v_add_co_ci_u32_e32 v35, vcc_lo, s9, v35, vcc_lo
	s_mov_b32 vcc_lo, s2
	global_store_b32 v[38:39], v41, off
	s_cbranch_vccz .LBB11_158
; %bb.156:
	v_add_co_u32 v37, vcc_lo, v32, v80
	v_min_f32_e32 v39, 0, v36
	v_add_co_ci_u32_e32 v38, vcc_lo, v33, v81, vcc_lo
	s_mov_b32 s5, 0
	global_store_b32 v[37:38], v39, off
	s_cbranch_execz .LBB11_159
; %bb.157:
	v_mov_b32_e32 v36, s5
	s_branch .LBB11_160
.LBB11_158:
	s_mov_b32 s5, -1
.LBB11_159:
	v_add_co_u32 v37, vcc_lo, v34, v80
	v_add_co_ci_u32_e32 v38, vcc_lo, v35, v81, vcc_lo
	flat_load_b32 v37, v[37:38]
	s_waitcnt vmcnt(0) lgkmcnt(0)
	v_mul_f32_e32 v39, s15, v37
	v_add_co_u32 v37, vcc_lo, v32, v80
	v_add_co_ci_u32_e32 v38, vcc_lo, v33, v81, vcc_lo
	s_delay_alu instid0(VALU_DEP_3)
	v_min_f32_e32 v36, v39, v36
	v_add_co_u32 v39, vcc_lo, v34, v82
	v_add_co_ci_u32_e32 v40, vcc_lo, v35, v83, vcc_lo
	global_store_b32 v[37:38], v36, off
	flat_load_b32 v36, v[39:40]
	s_waitcnt vmcnt(0) lgkmcnt(0)
	v_mul_f32_e32 v36, s15, v36
.LBB11_160:
	v_dual_add_f32 v37, v13, v29 :: v_dual_add_f32 v38, v12, v28
	v_dual_add_f32 v39, v9, v29 :: v_dual_add_f32 v40, v8, v28
	;; [unrolled: 1-line block ×3, first 2 shown]
	s_delay_alu instid0(VALU_DEP_3) | instskip(NEXT) | instid1(VALU_DEP_3)
	v_min3_f32 v37, v38, v37, v101
	v_min3_f32 v38, v40, v39, v102
	v_dual_add_f32 v39, v11, v31 :: v_dual_add_f32 v40, v10, v30
	s_delay_alu instid0(VALU_DEP_1) | instskip(SKIP_1) | instid1(VALU_DEP_1)
	v_min3_f32 v39, v40, v39, v38
	v_min_f32_e32 v41, v42, v41
	v_min3_f32 v40, v36, v41, v37
	s_delay_alu instid0(VALU_DEP_3)
	v_max_f32_e32 v36, v39, v39
	v_add_co_u32 v37, vcc_lo, v32, v82
	v_add_co_ci_u32_e32 v38, vcc_lo, v33, v83, vcc_lo
	s_mov_b32 vcc_lo, s2
	global_store_b32 v[37:38], v40, off
	s_cbranch_vccz .LBB11_163
; %bb.161:
	v_add_co_u32 v37, vcc_lo, v32, v86
	v_min_f32_e32 v39, 0, v36
	v_add_co_ci_u32_e32 v38, vcc_lo, v33, v87, vcc_lo
	s_mov_b32 s5, 0
	global_store_b32 v[37:38], v39, off
	s_cbranch_execz .LBB11_164
; %bb.162:
	v_mov_b32_e32 v34, s5
	s_branch .LBB11_165
.LBB11_163:
	s_mov_b32 s5, -1
.LBB11_164:
	v_add_co_u32 v37, vcc_lo, v34, v86
	v_add_co_ci_u32_e32 v38, vcc_lo, v35, v87, vcc_lo
	flat_load_b32 v37, v[37:38]
	s_waitcnt vmcnt(0) lgkmcnt(0)
	v_mul_f32_e32 v39, s15, v37
	v_add_co_u32 v37, vcc_lo, v32, v86
	v_add_co_ci_u32_e32 v38, vcc_lo, v33, v87, vcc_lo
	v_add_co_u32 v34, vcc_lo, v34, v84
	s_delay_alu instid0(VALU_DEP_4)
	v_min_f32_e32 v36, v39, v36
	v_add_co_ci_u32_e32 v35, vcc_lo, v35, v85, vcc_lo
	global_store_b32 v[37:38], v36, off
	flat_load_b32 v34, v[34:35]
	s_waitcnt vmcnt(0) lgkmcnt(0)
	v_mul_f32_e32 v34, s15, v34
.LBB11_165:
	s_waitcnt lgkmcnt(2)
	v_dual_add_f32 v35, v17, v25 :: v_dual_add_f32 v36, v16, v24
	v_dual_add_f32 v29, v1, v29 :: v_dual_add_f32 v28, v0, v28
	;; [unrolled: 1-line block ×3, first 2 shown]
	s_delay_alu instid0(VALU_DEP_3) | instskip(SKIP_1) | instid1(VALU_DEP_4)
	v_min3_f32 v35, v36, v35, v100
	v_add_nc_u32_e32 v36, 0x68, v113
	v_min3_f32 v37, v28, v29, v99
	v_dual_add_f32 v38, v19, v27 :: v_dual_add_f32 v39, v18, v26
	v_min_f32_e32 v40, v30, v31
	s_delay_alu instid0(VALU_DEP_4) | instskip(SKIP_1) | instid1(VALU_DEP_3)
	v_mad_i64_i32 v[28:29], null, v36, s4, 0
	v_mad_i64_i32 v[30:31], null, v36, s3, 0
	v_min3_f32 v37, v34, v40, v37
	v_add_co_u32 v34, vcc_lo, v32, v84
	v_min3_f32 v36, v39, v38, v35
	v_lshlrev_b64 v[28:29], 2, v[28:29]
	v_add_co_ci_u32_e32 v35, vcc_lo, v33, v85, vcc_lo
	v_lshlrev_b64 v[30:31], 2, v[30:31]
	s_delay_alu instid0(VALU_DEP_4) | instskip(NEXT) | instid1(VALU_DEP_4)
	v_max_f32_e32 v32, v36, v36
	v_add_co_u32 v28, vcc_lo, s0, v28
	v_add_co_ci_u32_e32 v29, vcc_lo, s1, v29, vcc_lo
	s_delay_alu instid0(VALU_DEP_4)
	v_add_co_u32 v30, vcc_lo, s8, v30
	v_add_co_ci_u32_e32 v31, vcc_lo, s9, v31, vcc_lo
	s_mov_b32 vcc_lo, s2
	global_store_b32 v[34:35], v37, off
	s_cbranch_vccz .LBB11_168
; %bb.166:
	v_add_co_u32 v33, vcc_lo, v28, v80
	v_min_f32_e32 v35, 0, v32
	v_add_co_ci_u32_e32 v34, vcc_lo, v29, v81, vcc_lo
	s_mov_b32 s5, 0
	global_store_b32 v[33:34], v35, off
	s_cbranch_execz .LBB11_169
; %bb.167:
	v_mov_b32_e32 v32, s5
	s_branch .LBB11_170
.LBB11_168:
	s_mov_b32 s5, -1
.LBB11_169:
	v_add_co_u32 v33, vcc_lo, v30, v80
	v_add_co_ci_u32_e32 v34, vcc_lo, v31, v81, vcc_lo
	flat_load_b32 v33, v[33:34]
	s_waitcnt vmcnt(0) lgkmcnt(0)
	v_mul_f32_e32 v35, s15, v33
	v_add_co_u32 v33, vcc_lo, v28, v80
	v_add_co_ci_u32_e32 v34, vcc_lo, v29, v81, vcc_lo
	s_delay_alu instid0(VALU_DEP_3)
	v_min_f32_e32 v32, v35, v32
	v_add_co_u32 v35, vcc_lo, v30, v82
	v_add_co_ci_u32_e32 v36, vcc_lo, v31, v83, vcc_lo
	global_store_b32 v[33:34], v32, off
	flat_load_b32 v32, v[35:36]
	s_waitcnt vmcnt(0) lgkmcnt(0)
	v_mul_f32_e32 v32, s15, v32
.LBB11_170:
	v_dual_add_f32 v33, v13, v25 :: v_dual_add_f32 v34, v12, v24
	v_dual_add_f32 v35, v9, v25 :: v_dual_add_f32 v36, v8, v24
	;; [unrolled: 1-line block ×3, first 2 shown]
	s_delay_alu instid0(VALU_DEP_3) | instskip(NEXT) | instid1(VALU_DEP_3)
	v_min3_f32 v33, v34, v33, v97
	v_min3_f32 v34, v36, v35, v98
	v_dual_add_f32 v35, v11, v27 :: v_dual_add_f32 v36, v10, v26
	s_delay_alu instid0(VALU_DEP_1) | instskip(SKIP_1) | instid1(VALU_DEP_1)
	v_min3_f32 v35, v36, v35, v34
	v_min_f32_e32 v37, v38, v37
	v_min3_f32 v36, v32, v37, v33
	s_delay_alu instid0(VALU_DEP_3)
	v_max_f32_e32 v32, v35, v35
	v_add_co_u32 v33, vcc_lo, v28, v82
	v_add_co_ci_u32_e32 v34, vcc_lo, v29, v83, vcc_lo
	s_mov_b32 vcc_lo, s2
	global_store_b32 v[33:34], v36, off
	s_cbranch_vccz .LBB11_173
; %bb.171:
	v_add_co_u32 v33, vcc_lo, v28, v86
	v_min_f32_e32 v35, 0, v32
	v_add_co_ci_u32_e32 v34, vcc_lo, v29, v87, vcc_lo
	s_mov_b32 s5, 0
	global_store_b32 v[33:34], v35, off
	s_cbranch_execz .LBB11_174
; %bb.172:
	v_mov_b32_e32 v30, s5
	s_branch .LBB11_175
.LBB11_173:
	s_mov_b32 s5, -1
.LBB11_174:
	v_add_co_u32 v33, vcc_lo, v30, v86
	v_add_co_ci_u32_e32 v34, vcc_lo, v31, v87, vcc_lo
	flat_load_b32 v33, v[33:34]
	s_waitcnt vmcnt(0) lgkmcnt(0)
	v_mul_f32_e32 v35, s15, v33
	v_add_co_u32 v33, vcc_lo, v28, v86
	v_add_co_ci_u32_e32 v34, vcc_lo, v29, v87, vcc_lo
	v_add_co_u32 v30, vcc_lo, v30, v84
	s_delay_alu instid0(VALU_DEP_4)
	v_min_f32_e32 v32, v35, v32
	v_add_co_ci_u32_e32 v31, vcc_lo, v31, v85, vcc_lo
	global_store_b32 v[33:34], v32, off
	flat_load_b32 v30, v[30:31]
	s_waitcnt vmcnt(0) lgkmcnt(0)
	v_mul_f32_e32 v30, s15, v30
.LBB11_175:
	s_waitcnt lgkmcnt(1)
	v_dual_add_f32 v31, v17, v21 :: v_dual_add_f32 v32, v16, v20
	v_dual_add_f32 v25, v1, v25 :: v_dual_add_f32 v24, v0, v24
	;; [unrolled: 1-line block ×3, first 2 shown]
	s_delay_alu instid0(VALU_DEP_3) | instskip(SKIP_1) | instid1(VALU_DEP_4)
	v_min3_f32 v31, v32, v31, v96
	v_add_nc_u32_e32 v32, 0x70, v113
	v_min3_f32 v33, v24, v25, v95
	v_dual_add_f32 v34, v19, v23 :: v_dual_add_f32 v35, v18, v22
	v_min_f32_e32 v36, v26, v27
	s_delay_alu instid0(VALU_DEP_4) | instskip(SKIP_1) | instid1(VALU_DEP_3)
	v_mad_i64_i32 v[24:25], null, v32, s4, 0
	v_mad_i64_i32 v[26:27], null, v32, s3, 0
	v_min3_f32 v33, v30, v36, v33
	v_add_co_u32 v30, vcc_lo, v28, v84
	v_min3_f32 v32, v35, v34, v31
	v_lshlrev_b64 v[24:25], 2, v[24:25]
	v_add_co_ci_u32_e32 v31, vcc_lo, v29, v85, vcc_lo
	v_lshlrev_b64 v[26:27], 2, v[26:27]
	s_delay_alu instid0(VALU_DEP_4) | instskip(NEXT) | instid1(VALU_DEP_4)
	v_max_f32_e32 v28, v32, v32
	v_add_co_u32 v24, vcc_lo, s0, v24
	v_add_co_ci_u32_e32 v25, vcc_lo, s1, v25, vcc_lo
	s_delay_alu instid0(VALU_DEP_4)
	v_add_co_u32 v26, vcc_lo, s8, v26
	v_add_co_ci_u32_e32 v27, vcc_lo, s9, v27, vcc_lo
	s_mov_b32 vcc_lo, s2
	global_store_b32 v[30:31], v33, off
	s_cbranch_vccz .LBB11_178
; %bb.176:
	v_add_co_u32 v29, vcc_lo, v24, v80
	v_min_f32_e32 v31, 0, v28
	v_add_co_ci_u32_e32 v30, vcc_lo, v25, v81, vcc_lo
	s_mov_b32 s5, 0
	global_store_b32 v[29:30], v31, off
	s_cbranch_execz .LBB11_179
; %bb.177:
	v_mov_b32_e32 v28, s5
	s_branch .LBB11_180
.LBB11_178:
	s_mov_b32 s5, -1
.LBB11_179:
	v_add_co_u32 v29, vcc_lo, v26, v80
	v_add_co_ci_u32_e32 v30, vcc_lo, v27, v81, vcc_lo
	flat_load_b32 v29, v[29:30]
	s_waitcnt vmcnt(0) lgkmcnt(0)
	v_mul_f32_e32 v31, s15, v29
	v_add_co_u32 v29, vcc_lo, v24, v80
	v_add_co_ci_u32_e32 v30, vcc_lo, v25, v81, vcc_lo
	s_delay_alu instid0(VALU_DEP_3)
	v_min_f32_e32 v28, v31, v28
	v_add_co_u32 v31, vcc_lo, v26, v82
	v_add_co_ci_u32_e32 v32, vcc_lo, v27, v83, vcc_lo
	global_store_b32 v[29:30], v28, off
	flat_load_b32 v28, v[31:32]
	s_waitcnt vmcnt(0) lgkmcnt(0)
	v_mul_f32_e32 v28, s15, v28
.LBB11_180:
	v_dual_add_f32 v29, v13, v21 :: v_dual_add_f32 v30, v12, v20
	v_dual_add_f32 v31, v9, v21 :: v_dual_add_f32 v32, v8, v20
	v_dual_add_f32 v33, v15, v23 :: v_dual_add_f32 v34, v14, v22
	s_delay_alu instid0(VALU_DEP_3) | instskip(NEXT) | instid1(VALU_DEP_3)
	v_min3_f32 v29, v30, v29, v94
	v_min3_f32 v30, v32, v31, v93
	v_dual_add_f32 v31, v11, v23 :: v_dual_add_f32 v32, v10, v22
	s_delay_alu instid0(VALU_DEP_1) | instskip(SKIP_1) | instid1(VALU_DEP_1)
	v_min3_f32 v31, v32, v31, v30
	v_min_f32_e32 v33, v34, v33
	v_min3_f32 v32, v28, v33, v29
	s_delay_alu instid0(VALU_DEP_3)
	v_max_f32_e32 v28, v31, v31
	v_add_co_u32 v29, vcc_lo, v24, v82
	v_add_co_ci_u32_e32 v30, vcc_lo, v25, v83, vcc_lo
	s_mov_b32 vcc_lo, s2
	global_store_b32 v[29:30], v32, off
	s_cbranch_vccz .LBB11_183
; %bb.181:
	v_add_co_u32 v29, vcc_lo, v24, v86
	v_min_f32_e32 v31, 0, v28
	v_add_co_ci_u32_e32 v30, vcc_lo, v25, v87, vcc_lo
	s_mov_b32 s5, 0
	global_store_b32 v[29:30], v31, off
	s_cbranch_execz .LBB11_184
; %bb.182:
	v_mov_b32_e32 v26, s5
	s_branch .LBB11_185
.LBB11_183:
	s_mov_b32 s5, -1
.LBB11_184:
	v_add_co_u32 v29, vcc_lo, v26, v86
	v_add_co_ci_u32_e32 v30, vcc_lo, v27, v87, vcc_lo
	flat_load_b32 v29, v[29:30]
	s_waitcnt vmcnt(0) lgkmcnt(0)
	v_mul_f32_e32 v31, s15, v29
	v_add_co_u32 v29, vcc_lo, v24, v86
	v_add_co_ci_u32_e32 v30, vcc_lo, v25, v87, vcc_lo
	v_add_co_u32 v26, vcc_lo, v26, v84
	s_delay_alu instid0(VALU_DEP_4)
	v_min_f32_e32 v28, v31, v28
	v_add_co_ci_u32_e32 v27, vcc_lo, v27, v85, vcc_lo
	global_store_b32 v[29:30], v28, off
	flat_load_b32 v26, v[26:27]
	s_waitcnt vmcnt(0) lgkmcnt(0)
	v_mul_f32_e32 v26, s15, v26
.LBB11_185:
	v_dual_add_f32 v21, v1, v21 :: v_dual_add_f32 v20, v0, v20
	s_waitcnt lgkmcnt(0)
	v_dual_add_f32 v17, v17, v5 :: v_dual_add_f32 v16, v16, v4
	v_dual_add_f32 v22, v2, v22 :: v_dual_add_nc_u32 v27, 0x78, v113
	s_delay_alu instid0(VALU_DEP_3) | instskip(SKIP_1) | instid1(VALU_DEP_4)
	v_min3_f32 v20, v20, v21, v91
	v_add_f32_e32 v23, v3, v23
	v_min3_f32 v21, v16, v17, v92
	s_delay_alu instid0(VALU_DEP_4) | instskip(SKIP_3) | instid1(VALU_DEP_4)
	v_mad_i64_i32 v[16:17], null, v27, s4, 0
	v_dual_add_f32 v28, v19, v7 :: v_dual_add_f32 v29, v18, v6
	v_mad_i64_i32 v[18:19], null, v27, s3, 0
	v_min_f32_e32 v22, v22, v23
	v_lshlrev_b64 v[16:17], 2, v[16:17]
	s_delay_alu instid0(VALU_DEP_4)
	v_min3_f32 v23, v29, v28, v21
	v_add_co_u32 v21, vcc_lo, v24, v84
	v_lshlrev_b64 v[18:19], 2, v[18:19]
	v_min3_f32 v26, v26, v22, v20
	v_add_co_ci_u32_e32 v22, vcc_lo, v25, v85, vcc_lo
	v_add_co_u32 v16, vcc_lo, s0, v16
	v_add_co_ci_u32_e32 v17, vcc_lo, s1, v17, vcc_lo
	v_add_co_u32 v18, vcc_lo, s8, v18
	v_add_co_ci_u32_e32 v19, vcc_lo, s9, v19, vcc_lo
	v_max_f32_e32 v20, v23, v23
	s_mov_b32 vcc_lo, s2
	global_store_b32 v[21:22], v26, off
	s_cbranch_vccz .LBB11_188
; %bb.186:
	v_add_co_u32 v21, vcc_lo, v16, v80
	v_min_f32_e32 v23, 0, v20
	v_add_co_ci_u32_e32 v22, vcc_lo, v17, v81, vcc_lo
	s_mov_b32 s0, 0
	global_store_b32 v[21:22], v23, off
	s_cbranch_execz .LBB11_189
; %bb.187:
	v_mov_b32_e32 v20, s0
	s_branch .LBB11_190
.LBB11_188:
	s_mov_b32 s0, -1
.LBB11_189:
	v_add_co_u32 v21, vcc_lo, v18, v80
	v_add_co_ci_u32_e32 v22, vcc_lo, v19, v81, vcc_lo
	flat_load_b32 v21, v[21:22]
	s_waitcnt vmcnt(0) lgkmcnt(0)
	v_mul_f32_e32 v23, s15, v21
	v_add_co_u32 v21, vcc_lo, v16, v80
	v_add_co_ci_u32_e32 v22, vcc_lo, v17, v81, vcc_lo
	s_delay_alu instid0(VALU_DEP_3)
	v_min_f32_e32 v20, v23, v20
	v_add_co_u32 v23, vcc_lo, v18, v82
	v_add_co_ci_u32_e32 v24, vcc_lo, v19, v83, vcc_lo
	global_store_b32 v[21:22], v20, off
	flat_load_b32 v20, v[23:24]
	s_waitcnt vmcnt(0) lgkmcnt(0)
	v_mul_f32_e32 v20, s15, v20
.LBB11_190:
	v_dual_add_f32 v9, v9, v5 :: v_dual_add_f32 v8, v8, v4
	v_dual_add_f32 v13, v13, v5 :: v_dual_add_f32 v12, v12, v4
	;; [unrolled: 1-line block ×3, first 2 shown]
	s_delay_alu instid0(VALU_DEP_3) | instskip(SKIP_1) | instid1(VALU_DEP_4)
	v_min3_f32 v8, v8, v9, v90
	v_dual_add_f32 v9, v11, v7 :: v_dual_add_f32 v10, v10, v6
	v_min3_f32 v12, v12, v13, v89
	s_delay_alu instid0(VALU_DEP_2) | instskip(SKIP_3) | instid1(VALU_DEP_4)
	v_min3_f32 v8, v10, v9, v8
	v_min_f32_e32 v11, v14, v15
	v_add_co_u32 v9, vcc_lo, v16, v82
	v_add_co_ci_u32_e32 v10, vcc_lo, v17, v83, vcc_lo
	v_max_f32_e32 v8, v8, v8
	s_delay_alu instid0(VALU_DEP_4)
	v_min3_f32 v11, v20, v11, v12
	s_mov_b32 vcc_lo, s2
	global_store_b32 v[9:10], v11, off
	s_cbranch_vccz .LBB11_193
; %bb.191:
	v_add_co_u32 v9, vcc_lo, v16, v86
	v_min_f32_e32 v11, 0, v8
	v_add_co_ci_u32_e32 v10, vcc_lo, v17, v87, vcc_lo
	s_mov_b32 s0, 0
	global_store_b32 v[9:10], v11, off
	s_cbranch_execz .LBB11_194
; %bb.192:
	v_mov_b32_e32 v8, s0
	s_branch .LBB11_195
.LBB11_193:
	s_mov_b32 s0, -1
.LBB11_194:
	v_add_co_u32 v9, vcc_lo, v18, v86
	v_add_co_ci_u32_e32 v10, vcc_lo, v19, v87, vcc_lo
	flat_load_b32 v9, v[9:10]
	s_waitcnt vmcnt(0) lgkmcnt(0)
	v_mul_f32_e32 v11, s15, v9
	v_add_co_u32 v9, vcc_lo, v16, v86
	v_add_co_ci_u32_e32 v10, vcc_lo, v17, v87, vcc_lo
	s_delay_alu instid0(VALU_DEP_3)
	v_min_f32_e32 v8, v11, v8
	v_add_co_u32 v11, vcc_lo, v18, v84
	v_add_co_ci_u32_e32 v12, vcc_lo, v19, v85, vcc_lo
	global_store_b32 v[9:10], v8, off
	flat_load_b32 v8, v[11:12]
	s_waitcnt vmcnt(0) lgkmcnt(0)
	v_mul_f32_e32 v8, s15, v8
.LBB11_195:
	v_dual_add_f32 v3, v3, v7 :: v_dual_add_f32 v2, v2, v6
	v_dual_add_f32 v1, v1, v5 :: v_dual_add_f32 v0, v0, v4
	s_delay_alu instid0(VALU_DEP_2) | instskip(NEXT) | instid1(VALU_DEP_2)
	v_min_f32_e32 v2, v2, v3
	v_min3_f32 v0, v0, v1, v88
	s_delay_alu instid0(VALU_DEP_1)
	v_min3_f32 v2, v8, v2, v0
	v_add_co_u32 v0, vcc_lo, v16, v84
	v_add_co_ci_u32_e32 v1, vcc_lo, v17, v85, vcc_lo
	global_store_b32 v[0:1], v2, off
	s_nop 0
	s_sendmsg sendmsg(MSG_DEALLOC_VGPRS)
	s_endpgm
	.section	.rodata,"a",@progbits
	.p2align	6, 0x0
	.amdhsa_kernel _ZN12_GLOBAL__N_120geam_min_plus_kernelIf15HIP_vector_typeIfLj2EEfLi32ELi8ELi128ELi128ELi4ELi4ELi64ELi4ELi64ELc84ELc78ELb0ELb0ELb1EfKPKfKPfEEviiiT16_PT17_ilSA_ilS8_SA_ilPT18_ili26rocblas_geam_ex_operation_
		.amdhsa_group_segment_fixed_size 8192
		.amdhsa_private_segment_fixed_size 76
		.amdhsa_kernarg_size 128
		.amdhsa_user_sgpr_count 14
		.amdhsa_user_sgpr_dispatch_ptr 0
		.amdhsa_user_sgpr_queue_ptr 0
		.amdhsa_user_sgpr_kernarg_segment_ptr 1
		.amdhsa_user_sgpr_dispatch_id 0
		.amdhsa_user_sgpr_private_segment_size 0
		.amdhsa_wavefront_size32 1
		.amdhsa_uses_dynamic_stack 0
		.amdhsa_enable_private_segment 1
		.amdhsa_system_sgpr_workgroup_id_x 1
		.amdhsa_system_sgpr_workgroup_id_y 0
		.amdhsa_system_sgpr_workgroup_id_z 1
		.amdhsa_system_sgpr_workgroup_info 0
		.amdhsa_system_vgpr_workitem_id 1
		.amdhsa_next_free_vgpr 256
		.amdhsa_next_free_sgpr 24
		.amdhsa_reserve_vcc 1
		.amdhsa_float_round_mode_32 0
		.amdhsa_float_round_mode_16_64 0
		.amdhsa_float_denorm_mode_32 3
		.amdhsa_float_denorm_mode_16_64 3
		.amdhsa_dx10_clamp 1
		.amdhsa_ieee_mode 1
		.amdhsa_fp16_overflow 0
		.amdhsa_workgroup_processor_mode 1
		.amdhsa_memory_ordered 1
		.amdhsa_forward_progress 0
		.amdhsa_shared_vgpr_count 0
		.amdhsa_exception_fp_ieee_invalid_op 0
		.amdhsa_exception_fp_denorm_src 0
		.amdhsa_exception_fp_ieee_div_zero 0
		.amdhsa_exception_fp_ieee_overflow 0
		.amdhsa_exception_fp_ieee_underflow 0
		.amdhsa_exception_fp_ieee_inexact 0
		.amdhsa_exception_int_div_zero 0
	.end_amdhsa_kernel
	.section	.text._ZN12_GLOBAL__N_120geam_min_plus_kernelIf15HIP_vector_typeIfLj2EEfLi32ELi8ELi128ELi128ELi4ELi4ELi64ELi4ELi64ELc84ELc78ELb0ELb0ELb1EfKPKfKPfEEviiiT16_PT17_ilSA_ilS8_SA_ilPT18_ili26rocblas_geam_ex_operation_,"axG",@progbits,_ZN12_GLOBAL__N_120geam_min_plus_kernelIf15HIP_vector_typeIfLj2EEfLi32ELi8ELi128ELi128ELi4ELi4ELi64ELi4ELi64ELc84ELc78ELb0ELb0ELb1EfKPKfKPfEEviiiT16_PT17_ilSA_ilS8_SA_ilPT18_ili26rocblas_geam_ex_operation_,comdat
.Lfunc_end11:
	.size	_ZN12_GLOBAL__N_120geam_min_plus_kernelIf15HIP_vector_typeIfLj2EEfLi32ELi8ELi128ELi128ELi4ELi4ELi64ELi4ELi64ELc84ELc78ELb0ELb0ELb1EfKPKfKPfEEviiiT16_PT17_ilSA_ilS8_SA_ilPT18_ili26rocblas_geam_ex_operation_, .Lfunc_end11-_ZN12_GLOBAL__N_120geam_min_plus_kernelIf15HIP_vector_typeIfLj2EEfLi32ELi8ELi128ELi128ELi4ELi4ELi64ELi4ELi64ELc84ELc78ELb0ELb0ELb1EfKPKfKPfEEviiiT16_PT17_ilSA_ilS8_SA_ilPT18_ili26rocblas_geam_ex_operation_
                                        ; -- End function
	.section	.AMDGPU.csdata,"",@progbits
; Kernel info:
; codeLenInByte = 18580
; NumSgprs: 26
; NumVgprs: 256
; ScratchSize: 76
; MemoryBound: 0
; FloatMode: 240
; IeeeMode: 1
; LDSByteSize: 8192 bytes/workgroup (compile time only)
; SGPRBlocks: 3
; VGPRBlocks: 31
; NumSGPRsForWavesPerEU: 26
; NumVGPRsForWavesPerEU: 256
; Occupancy: 5
; WaveLimiterHint : 1
; COMPUTE_PGM_RSRC2:SCRATCH_EN: 1
; COMPUTE_PGM_RSRC2:USER_SGPR: 14
; COMPUTE_PGM_RSRC2:TRAP_HANDLER: 0
; COMPUTE_PGM_RSRC2:TGID_X_EN: 1
; COMPUTE_PGM_RSRC2:TGID_Y_EN: 0
; COMPUTE_PGM_RSRC2:TGID_Z_EN: 1
; COMPUTE_PGM_RSRC2:TIDIG_COMP_CNT: 1
	.section	.text._ZN12_GLOBAL__N_120geam_min_plus_kernelIf15HIP_vector_typeIfLj2EEfLi32ELi8ELi128ELi128ELi4ELi4ELi64ELi4ELi64ELc84ELc78ELb0ELb1ELb1EPKfKS4_KPfEEviiiT16_PT17_ilSA_ilS8_SA_ilPT18_ili26rocblas_geam_ex_operation_,"axG",@progbits,_ZN12_GLOBAL__N_120geam_min_plus_kernelIf15HIP_vector_typeIfLj2EEfLi32ELi8ELi128ELi128ELi4ELi4ELi64ELi4ELi64ELc84ELc78ELb0ELb1ELb1EPKfKS4_KPfEEviiiT16_PT17_ilSA_ilS8_SA_ilPT18_ili26rocblas_geam_ex_operation_,comdat
	.globl	_ZN12_GLOBAL__N_120geam_min_plus_kernelIf15HIP_vector_typeIfLj2EEfLi32ELi8ELi128ELi128ELi4ELi4ELi64ELi4ELi64ELc84ELc78ELb0ELb1ELb1EPKfKS4_KPfEEviiiT16_PT17_ilSA_ilS8_SA_ilPT18_ili26rocblas_geam_ex_operation_ ; -- Begin function _ZN12_GLOBAL__N_120geam_min_plus_kernelIf15HIP_vector_typeIfLj2EEfLi32ELi8ELi128ELi128ELi4ELi4ELi64ELi4ELi64ELc84ELc78ELb0ELb1ELb1EPKfKS4_KPfEEviiiT16_PT17_ilSA_ilS8_SA_ilPT18_ili26rocblas_geam_ex_operation_
	.p2align	8
	.type	_ZN12_GLOBAL__N_120geam_min_plus_kernelIf15HIP_vector_typeIfLj2EEfLi32ELi8ELi128ELi128ELi4ELi4ELi64ELi4ELi64ELc84ELc78ELb0ELb1ELb1EPKfKS4_KPfEEviiiT16_PT17_ilSA_ilS8_SA_ilPT18_ili26rocblas_geam_ex_operation_,@function
_ZN12_GLOBAL__N_120geam_min_plus_kernelIf15HIP_vector_typeIfLj2EEfLi32ELi8ELi128ELi128ELi4ELi4ELi64ELi4ELi64ELc84ELc78ELb0ELb1ELb1EPKfKS4_KPfEEviiiT16_PT17_ilSA_ilS8_SA_ilPT18_ili26rocblas_geam_ex_operation_: ; @_ZN12_GLOBAL__N_120geam_min_plus_kernelIf15HIP_vector_typeIfLj2EEfLi32ELi8ELi128ELi128ELi4ELi4ELi64ELi4ELi64ELc84ELc78ELb0ELb1ELb1EPKfKS4_KPfEEviiiT16_PT17_ilSA_ilS8_SA_ilPT18_ili26rocblas_geam_ex_operation_
; %bb.0:
	s_clause 0x1
	s_load_b128 s[16:19], s[0:1], 0x10
	s_load_b128 s[4:7], s[0:1], 0x28
	s_mov_b32 s2, s15
	s_mov_b32 s3, 0
	s_mov_b64 s[22:23], 0
	s_lshl_b64 s[20:21], s[2:3], 2
	s_waitcnt lgkmcnt(0)
	s_add_u32 s8, s16, s20
	s_addc_u32 s9, s17, s21
	s_load_b32 s24, s[8:9], 0x0
	s_clause 0x1
	s_load_b128 s[8:11], s[0:1], 0x40
	s_load_b64 s[12:13], s[0:1], 0x50
	s_waitcnt lgkmcnt(0)
	v_cmp_eq_f32_e64 s15, s24, 0
	v_cmp_neq_f32_e64 s16, s24, 0
	s_add_u32 s10, s10, s20
	s_addc_u32 s11, s11, s21
	s_mov_b64 s[20:21], 0
	s_and_b32 vcc_lo, exec_lo, s15
	s_cbranch_vccnz .LBB12_2
; %bb.1:
	s_lshl_b64 s[22:23], s[2:3], 3
	s_delay_alu instid0(SALU_CYCLE_1)
	s_add_u32 s18, s18, s22
	s_addc_u32 s19, s19, s23
	s_lshl_b64 s[4:5], s[4:5], 2
	s_load_b64 s[18:19], s[18:19], 0x0
	s_waitcnt lgkmcnt(0)
	s_add_u32 s22, s18, s4
	s_addc_u32 s23, s19, s5
.LBB12_2:
	s_load_b32 s15, s[10:11], 0x0
	s_and_not1_b32 vcc_lo, exec_lo, s16
	s_cbranch_vccnz .LBB12_4
; %bb.3:
	s_lshl_b64 s[4:5], s[2:3], 3
	s_delay_alu instid0(SALU_CYCLE_1)
	s_add_u32 s4, s6, s4
	s_addc_u32 s5, s7, s5
	s_lshl_b64 s[6:7], s[8:9], 2
	s_load_b64 s[4:5], s[4:5], 0x0
	s_waitcnt lgkmcnt(0)
	s_add_u32 s20, s4, s6
	s_addc_u32 s21, s5, s7
.LBB12_4:
	s_load_b128 s[4:7], s[0:1], 0x60
	s_waitcnt lgkmcnt(0)
	v_cmp_eq_f32_e64 s8, s15, 0
	v_cmp_neq_f32_e64 s18, s15, 0
	s_delay_alu instid0(VALU_DEP_2)
	s_and_b32 vcc_lo, exec_lo, s8
	s_cbranch_vccnz .LBB12_6
; %bb.5:
	s_lshl_b64 s[8:9], s[2:3], 3
	s_delay_alu instid0(SALU_CYCLE_1)
	s_add_u32 s8, s12, s8
	s_addc_u32 s9, s13, s9
	s_lshl_b64 s[4:5], s[4:5], 2
	s_load_b64 s[8:9], s[8:9], 0x0
	s_waitcnt lgkmcnt(0)
	s_add_u32 s12, s8, s4
	s_addc_u32 s13, s9, s5
	s_branch .LBB12_7
.LBB12_6:
	s_mov_b64 s[12:13], 0
.LBB12_7:
	s_clause 0x1
	s_load_b128 s[8:11], s[0:1], 0x0
	s_load_b32 s25, s[0:1], 0x20
	s_lshl_b64 s[2:3], s[2:3], 3
	v_and_b32_e32 v16, 0x3ff, v0
	s_add_u32 s2, s6, s2
	s_addc_u32 s3, s7, s3
	v_bfe_u32 v17, v0, 10, 10
	s_load_b64 s[16:17], s[2:3], 0x0
	v_and_b32_e32 v123, 3, v16
	s_waitcnt lgkmcnt(0)
	s_add_i32 s4, s8, -1
	s_delay_alu instid0(SALU_CYCLE_1) | instskip(NEXT) | instid1(SALU_CYCLE_1)
	s_ashr_i32 s5, s4, 31
	s_lshr_b32 s5, s5, 25
	s_delay_alu instid0(SALU_CYCLE_1) | instskip(NEXT) | instid1(SALU_CYCLE_1)
	s_add_i32 s4, s4, s5
	s_ashr_i32 s4, s4, 7
	s_delay_alu instid0(SALU_CYCLE_1) | instskip(SKIP_2) | instid1(VALU_DEP_1)
	s_add_i32 s5, s4, 1
	s_not_b32 s4, s4
	v_cvt_f32_u32_e32 v1, s5
	v_rcp_iflag_f32_e32 v1, v1
	s_waitcnt_depctr 0xfff
	v_mul_f32_e32 v1, 0x4f7ffffe, v1
	s_delay_alu instid0(VALU_DEP_1) | instskip(NEXT) | instid1(VALU_DEP_1)
	v_cvt_u32_f32_e32 v1, v1
	v_readfirstlane_b32 s6, v1
	v_lshl_add_u32 v1, v17, 5, v16
	s_delay_alu instid0(VALU_DEP_2) | instskip(NEXT) | instid1(VALU_DEP_1)
	s_mul_i32 s4, s4, s6
	v_lshrrev_b32_e32 v2, 2, v1
	s_mul_hi_u32 s4, s6, s4
	s_delay_alu instid0(SALU_CYCLE_1) | instskip(NEXT) | instid1(SALU_CYCLE_1)
	s_add_i32 s6, s6, s4
	s_mul_hi_u32 s4, s14, s6
	s_delay_alu instid0(SALU_CYCLE_1) | instskip(SKIP_2) | instid1(SALU_CYCLE_1)
	s_mul_i32 s6, s4, s5
	s_add_i32 s7, s4, 1
	s_sub_i32 s6, s14, s6
	s_sub_i32 s11, s6, s5
	s_cmp_ge_u32 s6, s5
	s_cselect_b32 s4, s7, s4
	s_cselect_b32 s6, s11, s6
	s_add_i32 s7, s4, 1
	s_cmp_ge_u32 s6, s5
	s_cselect_b32 s4, s7, s4
	s_add_i32 s19, s10, -1
	s_mul_i32 s2, s4, s5
	v_min_i32_e32 v0, s19, v123
	s_sub_i32 s2, s14, s2
	v_cmp_le_i32_e64 s5, s10, v123
	s_lshl_b32 s11, s2, 7
	v_cmp_eq_f32_e64 s14, s24, 0
	v_ashrrev_i32_e32 v1, 31, v0
	v_add_nc_u32_e32 v7, s11, v2
	s_delay_alu instid0(VALU_DEP_2) | instskip(NEXT) | instid1(VALU_DEP_2)
	v_lshlrev_b64 v[0:1], 2, v[0:1]
	v_cmp_le_i32_e32 vcc_lo, s8, v7
	s_delay_alu instid0(VALU_DEP_2) | instskip(NEXT) | instid1(VALU_DEP_1)
	v_add_co_u32 v5, s2, s22, v0
	v_add_co_ci_u32_e64 v6, s2, s23, v1, s2
	s_or_b32 s2, s5, vcc_lo
	s_delay_alu instid0(SALU_CYCLE_1) | instskip(SKIP_1) | instid1(SALU_CYCLE_1)
	v_cndmask_b32_e64 v3, 0, 0x7f7fffff, s2
	s_or_b32 s2, s14, s2
	s_xor_b32 s2, s2, -1
	s_delay_alu instid0(SALU_CYCLE_1)
	s_and_saveexec_b32 s3, s2
	s_cbranch_execz .LBB12_9
; %bb.8:
	v_mad_i64_i32 v[3:4], null, v7, s25, 0
	s_delay_alu instid0(VALU_DEP_1) | instskip(NEXT) | instid1(VALU_DEP_1)
	v_lshlrev_b64 v[3:4], 2, v[3:4]
	v_add_co_u32 v3, s2, v5, v3
	s_delay_alu instid0(VALU_DEP_1)
	v_add_co_ci_u32_e64 v4, s2, v6, v4, s2
	flat_load_b32 v3, v[3:4]
	s_waitcnt vmcnt(0) lgkmcnt(0)
	v_mul_f32_e32 v3, s24, v3
.LBB12_9:
	s_or_b32 exec_lo, exec_lo, s3
	v_add_nc_u32_e32 v4, 64, v7
	s_clause 0x1
	scratch_store_b32 off, v7, off offset:4
	scratch_store_b32 off, v4, off
	v_cmp_le_i32_e64 s2, s8, v4
	s_delay_alu instid0(VALU_DEP_1) | instskip(NEXT) | instid1(SALU_CYCLE_1)
	s_or_b32 s3, s5, s2
	v_cndmask_b32_e64 v4, 0, 0x7f7fffff, s3
	s_or_b32 s3, s14, s3
	s_delay_alu instid0(SALU_CYCLE_1) | instskip(NEXT) | instid1(SALU_CYCLE_1)
	s_xor_b32 s3, s3, -1
	s_and_saveexec_b32 s6, s3
	s_cbranch_execz .LBB12_11
; %bb.10:
	scratch_load_b32 v4, off, off           ; 4-byte Folded Reload
	s_waitcnt vmcnt(0)
	v_mad_i64_i32 v[7:8], null, v4, s25, 0
	s_delay_alu instid0(VALU_DEP_1) | instskip(NEXT) | instid1(VALU_DEP_1)
	v_lshlrev_b64 v[7:8], 2, v[7:8]
	v_add_co_u32 v4, s3, v5, v7
	s_delay_alu instid0(VALU_DEP_1)
	v_add_co_ci_u32_e64 v5, s3, v6, v8, s3
	flat_load_b32 v4, v[4:5]
	s_waitcnt vmcnt(0) lgkmcnt(0)
	v_mul_f32_e32 v4, s24, v4
.LBB12_11:
	s_or_b32 exec_lo, exec_lo, s6
	s_load_b32 s26, s[0:1], 0x38
	s_lshl_b32 s7, s4, 7
	v_add_co_u32 v0, s4, s20, v0
	v_add_nc_u32_e32 v64, s7, v2
	v_add_co_ci_u32_e64 v1, s4, s21, v1, s4
	s_delay_alu instid0(VALU_DEP_2) | instskip(NEXT) | instid1(VALU_DEP_1)
	v_cmp_le_i32_e64 s3, s9, v64
	s_or_b32 s4, s5, s3
	s_delay_alu instid0(SALU_CYCLE_1) | instskip(SKIP_1) | instid1(SALU_CYCLE_1)
	v_cndmask_b32_e64 v5, 0, 0x7f7fffff, s4
	s_or_b32 s4, s14, s4
	s_xor_b32 s4, s4, -1
	s_delay_alu instid0(SALU_CYCLE_1)
	s_and_saveexec_b32 s6, s4
	s_cbranch_execz .LBB12_13
; %bb.12:
	s_waitcnt lgkmcnt(0)
	v_mad_i64_i32 v[5:6], null, v64, s26, 0
	s_delay_alu instid0(VALU_DEP_1) | instskip(NEXT) | instid1(VALU_DEP_1)
	v_lshlrev_b64 v[5:6], 2, v[5:6]
	v_add_co_u32 v5, s4, v0, v5
	s_delay_alu instid0(VALU_DEP_1)
	v_add_co_ci_u32_e64 v6, s4, v1, v6, s4
	flat_load_b32 v5, v[5:6]
	s_waitcnt vmcnt(0) lgkmcnt(0)
	v_mul_f32_e32 v5, s24, v5
.LBB12_13:
	s_or_b32 exec_lo, exec_lo, s6
	v_add_nc_u32_e32 v6, 64, v64
	s_delay_alu instid0(VALU_DEP_1) | instskip(SKIP_2) | instid1(SALU_CYCLE_1)
	v_cmp_le_i32_e64 s4, s9, v6
	scratch_store_b32 off, v6, off offset:68 ; 4-byte Folded Spill
	s_or_b32 s5, s5, s4
	v_cndmask_b32_e64 v6, 0, 0x7f7fffff, s5
	s_or_b32 s5, s14, s5
	s_delay_alu instid0(SALU_CYCLE_1) | instskip(NEXT) | instid1(SALU_CYCLE_1)
	s_xor_b32 s5, s5, -1
	s_and_saveexec_b32 s6, s5
	s_cbranch_execz .LBB12_15
; %bb.14:
	v_add_nc_u32_e32 v8, 64, v64
	s_waitcnt lgkmcnt(0)
	s_delay_alu instid0(VALU_DEP_1) | instskip(NEXT) | instid1(VALU_DEP_1)
	v_mad_i64_i32 v[6:7], null, v8, s26, 0
	v_lshlrev_b64 v[6:7], 2, v[6:7]
	s_delay_alu instid0(VALU_DEP_1) | instskip(NEXT) | instid1(VALU_DEP_1)
	v_add_co_u32 v0, s5, v0, v6
	v_add_co_ci_u32_e64 v1, s5, v1, v7, s5
	flat_load_b32 v0, v[0:1]
	s_waitcnt vmcnt(0) lgkmcnt(0)
	v_mul_f32_e32 v6, s24, v0
.LBB12_15:
	s_or_b32 exec_lo, exec_lo, s6
	v_or_b32_e32 v7, 4, v123
	s_delay_alu instid0(VALU_DEP_1) | instskip(SKIP_1) | instid1(VALU_DEP_2)
	v_min_i32_e32 v0, s19, v7
	v_cmp_le_i32_e64 s5, s10, v7
	v_ashrrev_i32_e32 v1, 31, v0
	s_delay_alu instid0(VALU_DEP_1) | instskip(NEXT) | instid1(VALU_DEP_1)
	v_lshlrev_b64 v[0:1], 2, v[0:1]
	v_add_co_u32 v7, s6, s22, v0
	s_delay_alu instid0(VALU_DEP_1) | instskip(SKIP_1) | instid1(SALU_CYCLE_1)
	v_add_co_ci_u32_e64 v8, s6, s23, v1, s6
	s_or_b32 s6, s5, vcc_lo
	v_cndmask_b32_e64 v20, 0, 0x7f7fffff, s6
	s_or_b32 s6, s14, s6
	s_delay_alu instid0(SALU_CYCLE_1) | instskip(NEXT) | instid1(SALU_CYCLE_1)
	s_xor_b32 s6, s6, -1
	s_and_saveexec_b32 s27, s6
	s_cbranch_execz .LBB12_17
; %bb.16:
	scratch_load_b32 v11, off, off offset:4 ; 4-byte Folded Reload
	s_waitcnt vmcnt(0)
	v_mad_i64_i32 v[9:10], null, v11, s25, 0
	s_delay_alu instid0(VALU_DEP_1) | instskip(NEXT) | instid1(VALU_DEP_1)
	v_lshlrev_b64 v[9:10], 2, v[9:10]
	v_add_co_u32 v9, s6, v7, v9
	s_delay_alu instid0(VALU_DEP_1)
	v_add_co_ci_u32_e64 v10, s6, v8, v10, s6
	flat_load_b32 v9, v[9:10]
	s_waitcnt vmcnt(0) lgkmcnt(0)
	v_mul_f32_e32 v20, s24, v9
.LBB12_17:
	s_or_b32 exec_lo, exec_lo, s27
	s_or_b32 s6, s5, s2
	s_delay_alu instid0(SALU_CYCLE_1) | instskip(SKIP_1) | instid1(SALU_CYCLE_1)
	v_cndmask_b32_e64 v21, 0, 0x7f7fffff, s6
	s_or_b32 s6, s14, s6
	s_xor_b32 s6, s6, -1
	s_delay_alu instid0(SALU_CYCLE_1)
	s_and_saveexec_b32 s27, s6
	s_cbranch_execz .LBB12_19
; %bb.18:
	scratch_load_b32 v11, off, off          ; 4-byte Folded Reload
	s_waitcnt vmcnt(0)
	v_mad_i64_i32 v[9:10], null, v11, s25, 0
	s_delay_alu instid0(VALU_DEP_1) | instskip(NEXT) | instid1(VALU_DEP_1)
	v_lshlrev_b64 v[9:10], 2, v[9:10]
	v_add_co_u32 v7, s6, v7, v9
	s_delay_alu instid0(VALU_DEP_1)
	v_add_co_ci_u32_e64 v8, s6, v8, v10, s6
	flat_load_b32 v7, v[7:8]
	s_waitcnt vmcnt(0) lgkmcnt(0)
	v_mul_f32_e32 v21, s24, v7
.LBB12_19:
	s_or_b32 exec_lo, exec_lo, s27
	v_add_co_u32 v0, s6, s20, v0
	s_delay_alu instid0(VALU_DEP_1) | instskip(SKIP_1) | instid1(SALU_CYCLE_1)
	v_add_co_ci_u32_e64 v1, s6, s21, v1, s6
	s_or_b32 s6, s5, s3
	v_cndmask_b32_e64 v22, 0, 0x7f7fffff, s6
	s_or_b32 s6, s14, s6
	s_delay_alu instid0(SALU_CYCLE_1) | instskip(NEXT) | instid1(SALU_CYCLE_1)
	s_xor_b32 s6, s6, -1
	s_and_saveexec_b32 s27, s6
	s_cbranch_execz .LBB12_21
; %bb.20:
	s_waitcnt lgkmcnt(0)
	v_mad_i64_i32 v[7:8], null, v64, s26, 0
	s_delay_alu instid0(VALU_DEP_1) | instskip(NEXT) | instid1(VALU_DEP_1)
	v_lshlrev_b64 v[7:8], 2, v[7:8]
	v_add_co_u32 v7, s6, v0, v7
	s_delay_alu instid0(VALU_DEP_1)
	v_add_co_ci_u32_e64 v8, s6, v1, v8, s6
	flat_load_b32 v7, v[7:8]
	s_waitcnt vmcnt(0) lgkmcnt(0)
	v_mul_f32_e32 v22, s24, v7
.LBB12_21:
	s_or_b32 exec_lo, exec_lo, s27
	s_or_b32 s5, s5, s4
	s_delay_alu instid0(SALU_CYCLE_1) | instskip(SKIP_1) | instid1(SALU_CYCLE_1)
	v_cndmask_b32_e64 v23, 0, 0x7f7fffff, s5
	s_or_b32 s5, s14, s5
	s_xor_b32 s5, s5, -1
	s_delay_alu instid0(SALU_CYCLE_1)
	s_and_saveexec_b32 s6, s5
	s_cbranch_execz .LBB12_23
; %bb.22:
	v_add_nc_u32_e32 v9, 64, v64
	s_waitcnt lgkmcnt(0)
	s_delay_alu instid0(VALU_DEP_1) | instskip(NEXT) | instid1(VALU_DEP_1)
	v_mad_i64_i32 v[7:8], null, v9, s26, 0
	v_lshlrev_b64 v[7:8], 2, v[7:8]
	s_delay_alu instid0(VALU_DEP_1) | instskip(NEXT) | instid1(VALU_DEP_1)
	v_add_co_u32 v0, s5, v0, v7
	v_add_co_ci_u32_e64 v1, s5, v1, v8, s5
	flat_load_b32 v0, v[0:1]
	s_waitcnt vmcnt(0) lgkmcnt(0)
	v_mul_f32_e32 v23, s24, v0
.LBB12_23:
	s_or_b32 exec_lo, exec_lo, s6
	v_lshlrev_b32_e32 v0, 2, v123
	v_lshlrev_b32_e32 v125, 4, v17
	;; [unrolled: 1-line block ×3, first 2 shown]
	s_cmp_lt_i32 s10, 9
	s_delay_alu instid0(VALU_DEP_3)
	v_lshl_or_b32 v132, v2, 4, v0
	ds_store_2addr_stride64_b32 v132, v3, v4 offset1:4
	ds_store_2addr_stride64_b32 v132, v5, v6 offset0:16 offset1:20
	s_waitcnt lgkmcnt(0)
	s_waitcnt_vscnt null, 0x0
	s_barrier
	buffer_gl0_inv
	ds_load_b128 v[34:37], v125 offset:4096
	ds_load_b128 v[4:7], v126
	ds_load_b128 v[12:15], v126 offset:512
	ds_load_b128 v[8:11], v126 offset:1024
	;; [unrolled: 1-line block ×4, first 2 shown]
	s_waitcnt lgkmcnt(3)
	v_dual_add_f32 v18, v5, v35 :: v_dual_add_f32 v163, v14, v36
	v_add_f32_e32 v165, v7, v37
	s_waitcnt lgkmcnt(0)
	v_dual_add_f32 v164, v15, v37 :: v_dual_add_f32 v143, v2, v55
	scratch_store_b32 off, v18, off offset:8 ; 4-byte Folded Spill
	v_dual_add_f32 v18, v4, v34 :: v_dual_add_f32 v161, v2, v36
	v_add_f32_e32 v159, v4, v53
	v_add_f32_e32 v149, v15, v56
	;; [unrolled: 1-line block ×3, first 2 shown]
	scratch_store_b32 off, v18, off offset:24 ; 4-byte Folded Spill
	v_dual_add_f32 v18, v13, v35 :: v_dual_add_f32 v147, v11, v56
	v_add_f32_e32 v153, v8, v53
	v_add_f32_e32 v145, v3, v56
	scratch_store_b32 off, v18, off offset:12 ; 4-byte Folded Spill
	v_add_f32_e32 v18, v12, v34
	scratch_store_b32 off, v18, off offset:28 ; 4-byte Folded Spill
	;; [unrolled: 2-line block ×13, first 2 shown]
	ds_load_b128 v[66:69], v125 offset:4352
	ds_load_b128 v[79:82], v125 offset:4480
	v_add_f32_e32 v162, v6, v36
	v_add_f32_e32 v160, v10, v36
	;; [unrolled: 1-line block ×4, first 2 shown]
	s_waitcnt lgkmcnt(1)
	v_add_f32_e32 v139, v5, v67
	s_waitcnt lgkmcnt(0)
	v_dual_add_f32 v71, v1, v80 :: v_dual_add_f32 v136, v4, v66
	v_dual_add_f32 v89, v6, v81 :: v_dual_add_f32 v140, v13, v67
	v_add_f32_e32 v91, v14, v81
	v_add_f32_e32 v137, v12, v66
	v_dual_add_f32 v141, v9, v67 :: v_dual_add_f32 v138, v8, v66
	v_dual_add_f32 v93, v10, v81 :: v_dual_add_f32 v142, v1, v67
	;; [unrolled: 1-line block ×4, first 2 shown]
	v_add_f32_e32 v65, v15, v69
	v_dual_add_f32 v73, v14, v68 :: v_dual_add_f32 v66, v11, v69
	v_dual_add_f32 v74, v10, v68 :: v_dual_add_f32 v67, v3, v69
	v_add_f32_e32 v75, v2, v68
	v_add_f32_e32 v68, v5, v80
	;; [unrolled: 1-line block ×8, first 2 shown]
	ds_load_b128 v[81:84], v125 offset:4608
	ds_load_b128 v[85:88], v125 offset:4736
	v_add_f32_e32 v146, v14, v55
	v_add_f32_e32 v144, v10, v55
	;; [unrolled: 1-line block ×3, first 2 shown]
	v_dual_add_f32 v78, v8, v79 :: v_dual_mov_b32 v55, v17
	v_add_f32_e32 v77, v12, v79
	s_waitcnt lgkmcnt(1)
	v_dual_add_f32 v79, v0, v79 :: v_dual_add_f32 v96, v5, v82
	s_waitcnt lgkmcnt(0)
	v_add_f32_e32 v121, v0, v85
	v_dual_add_f32 v97, v4, v81 :: v_dual_add_f32 v98, v13, v82
	v_add_f32_e32 v131, v3, v88
	v_dual_add_f32 v99, v12, v81 :: v_dual_add_f32 v100, v9, v82
	v_add_f32_e32 v133, v2, v87
	v_dual_add_f32 v101, v8, v81 :: v_dual_add_f32 v102, v1, v82
	v_dual_add_f32 v103, v0, v81 :: v_dual_add_f32 v104, v7, v84
	v_dual_add_f32 v105, v6, v83 :: v_dual_add_f32 v106, v15, v84
	v_dual_add_f32 v107, v14, v83 :: v_dual_add_f32 v108, v11, v84
	v_dual_add_f32 v109, v10, v83 :: v_dual_add_f32 v110, v3, v84
	v_dual_add_f32 v111, v2, v83 :: v_dual_add_f32 v112, v5, v86
	v_dual_add_f32 v113, v4, v85 :: v_dual_add_f32 v114, v13, v86
	v_dual_add_f32 v115, v12, v85 :: v_dual_add_f32 v118, v9, v86
	v_dual_add_f32 v119, v8, v85 :: v_dual_add_f32 v120, v1, v86
	v_add_f32_e32 v122, v7, v88
	v_dual_add_f32 v124, v6, v87 :: v_dual_add_f32 v127, v15, v88
	v_dual_add_f32 v128, v14, v87 :: v_dual_add_f32 v129, v11, v88
	v_add_f32_e32 v130, v10, v87
	ds_load_b128 v[81:84], v125 offset:4864
	ds_load_b128 v[85:88], v125 offset:4992
	s_waitcnt lgkmcnt(0)
	v_dual_add_f32 v134, v5, v82 :: v_dual_add_f32 v183, v6, v87
	v_dual_add_f32 v135, v4, v81 :: v_dual_add_f32 v152, v13, v82
	;; [unrolled: 1-line block ×3, first 2 shown]
	v_add_f32_e32 v187, v10, v87
	v_dual_add_f32 v155, v9, v82 :: v_dual_add_f32 v156, v8, v81
	v_add_f32_e32 v189, v2, v87
	v_dual_add_f32 v157, v1, v82 :: v_dual_add_f32 v158, v0, v81
	v_dual_add_f32 v166, v7, v84 :: v_dual_add_f32 v167, v6, v83
	;; [unrolled: 1-line block ×9, first 2 shown]
	v_add_f32_e32 v182, v7, v88
	v_add_f32_e32 v184, v15, v88
	;; [unrolled: 1-line block ×4, first 2 shown]
	ds_load_b128 v[81:84], v125 offset:5120
	ds_load_b128 v[85:88], v125 offset:5248
	s_waitcnt lgkmcnt(0)
	v_dual_add_f32 v190, v5, v82 :: v_dual_add_f32 v219, v10, v87
	v_dual_add_f32 v191, v4, v81 :: v_dual_add_f32 v192, v13, v82
	v_add_f32_e32 v221, v2, v87
	v_dual_add_f32 v193, v12, v81 :: v_dual_add_f32 v194, v9, v82
	v_dual_add_f32 v195, v8, v81 :: v_dual_add_f32 v196, v1, v82
	v_dual_add_f32 v197, v0, v81 :: v_dual_add_f32 v198, v7, v84
	v_dual_add_f32 v199, v6, v83 :: v_dual_add_f32 v200, v15, v84
	v_dual_add_f32 v201, v14, v83 :: v_dual_add_f32 v202, v11, v84
	v_dual_add_f32 v203, v10, v83 :: v_dual_add_f32 v204, v3, v84
	v_dual_add_f32 v205, v2, v83 :: v_dual_add_f32 v206, v5, v86
	v_dual_add_f32 v207, v4, v85 :: v_dual_add_f32 v208, v13, v86
	v_dual_add_f32 v209, v12, v85 :: v_dual_add_f32 v210, v9, v86
	v_dual_add_f32 v211, v8, v85 :: v_dual_add_f32 v212, v1, v86
	v_dual_add_f32 v213, v0, v85 :: v_dual_add_f32 v214, v7, v88
	v_dual_add_f32 v215, v6, v87 :: v_dual_add_f32 v216, v15, v88
	v_dual_add_f32 v217, v14, v87 :: v_dual_add_f32 v218, v11, v88
	v_add_f32_e32 v220, v3, v88
	ds_load_b128 v[81:84], v125 offset:5376
	ds_load_b128 v[85:88], v125 offset:5504
	v_mov_b32_e32 v54, v16
	s_waitcnt lgkmcnt(0)
	v_dual_add_f32 v222, v5, v82 :: v_dual_add_f32 v253, v2, v87
	v_dual_add_f32 v223, v4, v81 :: v_dual_add_f32 v224, v13, v82
	;; [unrolled: 1-line block ×16, first 2 shown]
	ds_load_b128 v[81:84], v125 offset:5632
	ds_load_b128 v[85:88], v125 offset:5760
	s_waitcnt lgkmcnt(0)
	v_dual_add_f32 v254, v5, v82 :: v_dual_add_f32 v45, v11, v88
	v_add_f32_e32 v255, v4, v81
	v_dual_add_f32 v117, v13, v82 :: v_dual_add_f32 v116, v12, v81
	v_add_f32_e32 v47, v3, v88
	v_add_f32_e32 v17, v9, v82
	v_dual_add_f32 v19, v8, v81 :: v_dual_add_f32 v24, v1, v82
	v_dual_add_f32 v25, v0, v81 :: v_dual_add_f32 v26, v7, v84
	v_dual_add_f32 v27, v6, v83 :: v_dual_add_f32 v28, v15, v84
	v_dual_add_f32 v29, v14, v83 :: v_dual_add_f32 v30, v11, v84
	v_dual_add_f32 v31, v10, v83 :: v_dual_add_f32 v32, v3, v84
	v_dual_add_f32 v33, v2, v83 :: v_dual_add_f32 v34, v5, v86
	v_dual_add_f32 v35, v4, v85 :: v_dual_add_f32 v36, v13, v86
	v_dual_add_f32 v37, v12, v85 :: v_dual_add_f32 v38, v9, v86
	v_dual_add_f32 v39, v8, v85 :: v_dual_add_f32 v40, v1, v86
	v_dual_add_f32 v41, v0, v85 :: v_dual_add_f32 v42, v7, v88
	v_dual_add_f32 v43, v6, v87 :: v_dual_add_f32 v16, v15, v88
	v_add_f32_e32 v44, v14, v87
	v_add_f32_e32 v46, v10, v87
	;; [unrolled: 1-line block ×3, first 2 shown]
	ds_load_b128 v[81:84], v125 offset:5888
	ds_load_b128 v[85:88], v125 offset:6016
	v_min3_f32 v17, v19, v17, 0x7f7fffff
	s_waitcnt lgkmcnt(1)
	v_dual_add_f32 v49, v5, v82 :: v_dual_add_f32 v50, v4, v81
	v_dual_add_f32 v51, v13, v82 :: v_dual_add_f32 v52, v12, v81
	;; [unrolled: 1-line block ×4, first 2 shown]
	s_waitcnt lgkmcnt(0)
	v_dual_add_f32 v5, v5, v86 :: v_dual_add_f32 v4, v4, v85
	v_dual_add_f32 v13, v13, v86 :: v_dual_add_f32 v12, v12, v85
	;; [unrolled: 1-line block ×4, first 2 shown]
	s_clause 0x1
	scratch_load_b32 v85, off, off offset:8
	scratch_load_b32 v86, off, off offset:24
	v_add_f32_e32 v60, v6, v83
	v_add_f32_e32 v62, v14, v83
	;; [unrolled: 1-line block ×11, first 2 shown]
	v_dual_add_f32 v3, v3, v88 :: v_dual_add_f32 v6, v6, v87
	v_min3_f32 v4, v4, v5, 0x7f7fffff
	v_add_f32_e32 v14, v14, v87
	v_add_f32_e32 v10, v10, v87
	;; [unrolled: 1-line block ×3, first 2 shown]
	v_min3_f32 v0, v0, v1, 0x7f7fffff
	s_waitcnt vmcnt(0)
	v_min3_f32 v85, v86, v85, 0x7f7fffff
	s_delay_alu instid0(VALU_DEP_1)
	v_min3_f32 v165, v162, v165, v85
	s_clause 0x1
	scratch_load_b32 v85, off, off offset:12
	scratch_load_b32 v86, off, off offset:28
	s_waitcnt vmcnt(0)
	v_min3_f32 v85, v86, v85, 0x7f7fffff
	s_delay_alu instid0(VALU_DEP_1)
	v_min3_f32 v164, v163, v164, v85
	s_clause 0x1
	scratch_load_b32 v85, off, off offset:16
	scratch_load_b32 v86, off, off offset:32
	s_waitcnt vmcnt(0)
	v_min3_f32 v85, v86, v85, 0x7f7fffff
	scratch_load_b32 v86, off, off offset:40 ; 4-byte Folded Reload
	s_waitcnt vmcnt(0)
	v_min3_f32 v163, v160, v86, v85
	s_clause 0x1
	scratch_load_b32 v85, off, off offset:20
	scratch_load_b32 v86, off, off offset:36
	s_waitcnt vmcnt(0)
	v_min3_f32 v85, v86, v85, 0x7f7fffff
	scratch_load_b32 v86, off, off offset:44 ; 4-byte Folded Reload
	s_waitcnt vmcnt(0)
	v_min3_f32 v162, v161, v86, v85
	scratch_load_b32 v85, off, off offset:48 ; 4-byte Folded Reload
	s_waitcnt vmcnt(0)
	v_min3_f32 v85, v159, v85, 0x7f7fffff
	s_delay_alu instid0(VALU_DEP_1) | instskip(SKIP_3) | instid1(VALU_DEP_1)
	v_min3_f32 v161, v148, v150, v85
	scratch_load_b32 v85, off, off offset:52 ; 4-byte Folded Reload
	s_waitcnt vmcnt(0)
	v_min3_f32 v85, v151, v85, 0x7f7fffff
	v_min3_f32 v160, v146, v149, v85
	scratch_load_b32 v85, off, off offset:56 ; 4-byte Folded Reload
	s_waitcnt vmcnt(0)
	v_min3_f32 v85, v153, v85, 0x7f7fffff
	s_delay_alu instid0(VALU_DEP_1)
	v_min3_f32 v159, v144, v147, v85
	s_clause 0x1
	scratch_load_b32 v85, off, off offset:60
	scratch_load_b32 v86, off, off offset:64
	ds_store_2addr_stride64_b32 v132, v20, v21 offset0:8 offset1:12
	ds_store_2addr_stride64_b32 v132, v22, v23 offset0:24 offset1:28
	s_waitcnt vmcnt(0) lgkmcnt(0)
	s_waitcnt_vscnt null, 0x0
	s_barrier
	buffer_gl0_inv
	v_min3_f32 v85, v86, v85, 0x7f7fffff
	s_delay_alu instid0(VALU_DEP_1) | instskip(SKIP_1) | instid1(VALU_DEP_1)
	v_min3_f32 v153, v143, v145, v85
	v_min3_f32 v85, v136, v139, 0x7f7fffff
	v_min3_f32 v151, v72, v53, v85
	v_min3_f32 v53, v137, v140, 0x7f7fffff
	s_delay_alu instid0(VALU_DEP_1) | instskip(SKIP_1) | instid1(VALU_DEP_1)
	v_min3_f32 v150, v73, v65, v53
	v_min3_f32 v53, v138, v141, 0x7f7fffff
	v_min3_f32 v149, v74, v66, v53
	;; [unrolled: 5-line block ×3, first 2 shown]
	v_min3_f32 v53, v77, v69, 0x7f7fffff
	s_delay_alu instid0(VALU_DEP_1) | instskip(SKIP_2) | instid1(VALU_DEP_2)
	v_min3_f32 v146, v91, v90, v53
	v_min3_f32 v53, v78, v70, 0x7f7fffff
	;; [unrolled: 1-line block ×7, first 2 shown]
	s_delay_alu instid0(VALU_DEP_3) | instskip(SKIP_1) | instid1(VALU_DEP_3)
	v_min3_f32 v144, v95, v94, v53
	v_min3_f32 v53, v97, v96, 0x7f7fffff
	v_min3_f32 v92, v14, v15, v4
	v_min3_f32 v4, v8, v9, 0x7f7fffff
	s_delay_alu instid0(VALU_DEP_3) | instskip(SKIP_1) | instid1(VALU_DEP_3)
	v_min3_f32 v143, v105, v104, v53
	v_min3_f32 v53, v99, v98, 0x7f7fffff
	;; [unrolled: 1-line block ×3, first 2 shown]
	s_delay_alu instid0(VALU_DEP_2) | instskip(SKIP_1) | instid1(VALU_DEP_1)
	v_min3_f32 v142, v107, v106, v53
	v_min3_f32 v53, v101, v100, 0x7f7fffff
	;; [unrolled: 1-line block ×6, first 2 shown]
	s_delay_alu instid0(VALU_DEP_3) | instskip(SKIP_1) | instid1(VALU_DEP_3)
	v_min3_f32 v140, v111, v110, v53
	v_min3_f32 v53, v113, v112, 0x7f7fffff
	v_min3_f32 v102, v33, v32, v17
	v_min3_f32 v17, v35, v34, 0x7f7fffff
	s_delay_alu instid0(VALU_DEP_3) | instskip(SKIP_1) | instid1(VALU_DEP_3)
	v_min3_f32 v139, v124, v122, v53
	v_min3_f32 v53, v115, v114, 0x7f7fffff
	v_min3_f32 v101, v43, v42, v17
	v_min3_f32 v17, v37, v36, 0x7f7fffff
	;; [unrolled: 5-line block ×8, first 2 shown]
	s_delay_alu instid0(VALU_DEP_3) | instskip(SKIP_1) | instid1(VALU_DEP_3)
	v_min3_f32 v131, v173, v172, v53
	v_min3_f32 v53, v175, v174, 0x7f7fffff
	;; [unrolled: 1-line block ×3, first 2 shown]
	s_delay_alu instid0(VALU_DEP_2) | instskip(SKIP_1) | instid1(VALU_DEP_1)
	v_min3_f32 v130, v183, v182, v53
	v_min3_f32 v53, v177, v176, 0x7f7fffff
	v_min3_f32 v129, v185, v184, v53
	v_min3_f32 v53, v179, v178, 0x7f7fffff
	s_delay_alu instid0(VALU_DEP_1) | instskip(SKIP_1) | instid1(VALU_DEP_1)
	v_min3_f32 v128, v187, v186, v53
	v_min3_f32 v53, v181, v180, 0x7f7fffff
	v_min3_f32 v127, v189, v188, v53
	v_min3_f32 v53, v191, v190, 0x7f7fffff
	s_delay_alu instid0(VALU_DEP_1) | instskip(SKIP_1) | instid1(VALU_DEP_1)
	;; [unrolled: 5-line block ×10, first 2 shown]
	v_min3_f32 v105, v27, v26, v53
	v_min3_f32 v26, v116, v117, 0x7f7fffff
	;; [unrolled: 1-line block ×3, first 2 shown]
	s_cbranch_scc1 .LBB12_42
; %bb.24:
	s_clause 0x2
	scratch_load_b32 v2, off, off offset:4
	scratch_load_b32 v8, off, off offset:68
	scratch_load_b32 v4, off, off
	v_dual_mov_b32 v213, v55 :: v_dual_add_nc_u32 v152, 0x1000, v132
	v_add_nc_u32_e32 v154, 0x1000, v125
	v_dual_mov_b32 v212, v54 :: v_dual_add_nc_u32 v155, 0x800, v132
	v_add_nc_u32_e32 v156, 0x1800, v132
	v_lshl_add_u32 v157, v54, 4, 0x800
	v_lshl_add_u32 v158, v55, 4, 0x1800
	s_waitcnt vmcnt(2)
	v_mad_i64_i32 v[0:1], null, v2, s25, 0
	s_waitcnt vmcnt(0)
	v_mad_i64_i32 v[2:3], null, v4, s25, 0
	v_mad_i64_i32 v[4:5], null, v64, s26, 0
	;; [unrolled: 1-line block ×3, first 2 shown]
	s_delay_alu instid0(VALU_DEP_4) | instskip(SKIP_1) | instid1(VALU_DEP_4)
	v_lshlrev_b64 v[80:81], 2, v[0:1]
	s_add_i32 s25, s10, -8
	v_lshlrev_b64 v[82:83], 2, v[2:3]
	s_mov_b32 s26, 0
	s_delay_alu instid0(VALU_DEP_4) | instskip(NEXT) | instid1(VALU_DEP_4)
	v_lshlrev_b64 v[84:85], 2, v[4:5]
	v_lshlrev_b64 v[86:87], 2, v[6:7]
	s_branch .LBB12_26
.LBB12_25:                              ;   in Loop: Header=BB12_26 Depth=1
	s_or_b32 exec_lo, exec_lo, s6
	ds_load_b128 v[72:75], v154
	ds_load_b128 v[76:79], v126
	ds_load_b128 v[89:92], v126 offset:512
	ds_load_b128 v[168:171], v126 offset:1024
	;; [unrolled: 1-line block ×18, first 2 shown]
	s_add_i32 s26, s26, 8
	ds_store_2addr_stride64_b32 v155, v166, v167 offset1:4
	ds_store_2addr_stride64_b32 v156, v88, v0 offset1:4
	s_waitcnt lgkmcnt(20)
	v_dual_add_f32 v11, v77, v73 :: v_dual_add_f32 v14, v76, v72
	s_waitcnt lgkmcnt(19)
	v_dual_add_f32 v15, v90, v73 :: v_dual_add_f32 v18, v89, v72
	;; [unrolled: 2-line block ×3, first 2 shown]
	v_min3_f32 v11, v14, v11, v25
	s_waitcnt lgkmcnt(16)
	v_add_f32_e32 v23, v76, v93
	v_min3_f32 v14, v18, v15, v28
	v_add_f32_e32 v18, v173, v73
	v_min3_f32 v15, v22, v19, v29
	v_dual_add_f32 v19, v172, v72 :: v_dual_add_f32 v22, v77, v94
	v_dual_add_f32 v25, v90, v94 :: v_dual_add_f32 v28, v89, v93
	;; [unrolled: 1-line block ×3, first 2 shown]
	v_add_f32_e32 v73, v173, v94
	v_add_f32_e32 v93, v172, v93
	v_min3_f32 v1, v19, v18, v1
	v_min3_f32 v18, v23, v22, v32
	;; [unrolled: 1-line block ×4, first 2 shown]
	s_waitcnt lgkmcnt(15)
	v_dual_add_f32 v25, v77, v98 :: v_dual_add_f32 v36, v168, v97
	v_add_f32_e32 v28, v76, v97
	v_min3_f32 v23, v93, v73, v37
	v_dual_add_f32 v29, v90, v98 :: v_dual_add_f32 v32, v89, v97
	v_dual_add_f32 v33, v169, v98 :: v_dual_add_f32 v72, v172, v97
	v_add_f32_e32 v37, v173, v98
	s_waitcnt lgkmcnt(14)
	v_add_f32_e32 v73, v77, v102
	v_add_f32_e32 v93, v76, v101
	v_min3_f32 v4, v28, v25, v4
	v_min3_f32 v25, v32, v29, v40
	;; [unrolled: 1-line block ×3, first 2 shown]
	v_dual_add_f32 v33, v90, v102 :: v_dual_add_f32 v36, v89, v101
	v_add_f32_e32 v40, v168, v101
	v_min3_f32 v29, v72, v37, v44
	s_waitcnt lgkmcnt(13)
	v_dual_add_f32 v37, v169, v102 :: v_dual_add_f32 v72, v76, v105
	v_dual_add_f32 v41, v173, v102 :: v_dual_add_f32 v44, v172, v101
	v_min3_f32 v32, v93, v73, v45
	v_add_f32_e32 v45, v77, v106
	v_add_f32_e32 v73, v90, v106
	;; [unrolled: 1-line block ×3, first 2 shown]
	v_min3_f32 v5, v36, v33, v5
	v_min3_f32 v33, v40, v37, v48
	;; [unrolled: 1-line block ×3, first 2 shown]
	v_dual_add_f32 v41, v169, v106 :: v_dual_add_f32 v44, v168, v105
	v_add_f32_e32 v48, v172, v105
	v_min3_f32 v37, v72, v45, v52
	v_add_f32_e32 v45, v173, v106
	s_waitcnt lgkmcnt(12)
	v_dual_add_f32 v49, v77, v110 :: v_dual_add_f32 v52, v76, v109
	v_add_f32_e32 v72, v89, v109
	v_min3_f32 v8, v44, v41, v8
	v_min3_f32 v41, v48, v45, v56
	s_waitcnt lgkmcnt(11)
	v_add_f32_e32 v56, v76, v118
	v_min3_f32 v40, v93, v73, v53
	v_add_f32_e32 v53, v90, v110
	v_min3_f32 v44, v52, v49, v57
	v_dual_add_f32 v49, v173, v110 :: v_dual_add_f32 v52, v172, v109
	v_add_f32_e32 v57, v90, v119
	s_delay_alu instid0(VALU_DEP_4)
	v_min3_f32 v45, v72, v53, v58
	v_add_f32_e32 v58, v89, v118
	v_add_f32_e32 v73, v169, v110
	;; [unrolled: 1-line block ×3, first 2 shown]
	v_min3_f32 v9, v52, v49, v9
	v_dual_add_f32 v53, v77, v119 :: v_dual_add_f32 v72, v168, v118
	v_min3_f32 v52, v58, v57, v55
	s_waitcnt lgkmcnt(10)
	v_dual_add_f32 v57, v90, v177 :: v_dual_add_f32 v58, v89, v176
	s_delay_alu instid0(VALU_DEP_3) | instskip(SKIP_2) | instid1(VALU_DEP_3)
	v_min3_f32 v49, v56, v53, v54
	v_dual_add_f32 v55, v77, v177 :: v_dual_add_f32 v56, v76, v176
	s_cmp_ge_i32 s26, s25
	v_min3_f32 v50, v58, v57, v50
	s_waitcnt lgkmcnt(9)
	v_add_f32_e32 v58, v89, v180
	v_min3_f32 v48, v93, v73, v59
	v_add_f32_e32 v59, v169, v119
	v_add_f32_e32 v73, v173, v119
	;; [unrolled: 1-line block ×3, first 2 shown]
	v_min3_f32 v12, v56, v55, v12
	v_add_f32_e32 v57, v90, v181
	v_min3_f32 v53, v72, v59, v60
	v_dual_add_f32 v59, v169, v177 :: v_dual_add_f32 v60, v168, v176
	v_add_f32_e32 v72, v172, v176
	s_delay_alu instid0(VALU_DEP_4)
	v_min3_f32 v13, v58, v57, v13
	s_waitcnt lgkmcnt(0)
	s_barrier
	v_min3_f32 v51, v60, v59, v51
	v_dual_add_f32 v59, v169, v181 :: v_dual_add_f32 v60, v168, v180
	buffer_gl0_inv
	v_min3_f32 v46, v60, v59, v46
	v_add_f32_e32 v60, v168, v184
	v_min3_f32 v54, v93, v73, v61
	v_add_f32_e32 v61, v173, v177
	v_add_f32_e32 v73, v77, v181
	;; [unrolled: 1-line block ×4, first 2 shown]
	s_delay_alu instid0(VALU_DEP_4) | instskip(SKIP_1) | instid1(VALU_DEP_4)
	v_min3_f32 v55, v72, v61, v62
	v_add_f32_e32 v72, v76, v184
	v_min3_f32 v56, v93, v73, v63
	v_add_f32_e32 v63, v77, v185
	v_add_f32_e32 v73, v90, v185
	;; [unrolled: 1-line block ×3, first 2 shown]
	v_min3_f32 v16, v60, v59, v16
	v_add_f32_e32 v59, v173, v189
	v_min3_f32 v57, v72, v63, v64
	v_dual_add_f32 v63, v77, v189 :: v_dual_add_f32 v64, v76, v188
	v_add_f32_e32 v72, v89, v188
	v_dual_add_f32 v60, v172, v188 :: v_dual_add_f32 v61, v173, v181
	v_add_f32_e32 v62, v172, v180
	s_delay_alu instid0(VALU_DEP_4) | instskip(SKIP_1) | instid1(VALU_DEP_4)
	v_min3_f32 v39, v64, v63, v39
	v_dual_add_f32 v63, v90, v193 :: v_dual_add_f32 v64, v89, v192
	v_min3_f32 v17, v60, v59, v17
	s_delay_alu instid0(VALU_DEP_2)
	v_min3_f32 v35, v64, v63, v35
	v_dual_add_f32 v63, v90, v197 :: v_dual_add_f32 v64, v89, v196
	v_min3_f32 v58, v93, v73, v65
	v_add_f32_e32 v65, v90, v189
	v_add_f32_e32 v73, v169, v189
	;; [unrolled: 1-line block ×3, first 2 shown]
	v_min3_f32 v30, v64, v63, v30
	v_add_f32_e32 v64, v89, v200
	v_min3_f32 v42, v72, v65, v42
	v_dual_add_f32 v65, v169, v193 :: v_dual_add_f32 v72, v168, v192
	v_add_f32_e32 v63, v90, v201
	s_delay_alu instid0(VALU_DEP_2) | instskip(SKIP_4) | instid1(VALU_DEP_4)
	v_min3_f32 v59, v72, v65, v66
	v_dual_add_f32 v65, v169, v197 :: v_dual_add_f32 v66, v168, v196
	v_min3_f32 v47, v62, v61, v47
	v_dual_add_f32 v61, v173, v185 :: v_dual_add_f32 v62, v172, v184
	v_add_f32_e32 v72, v172, v196
	v_min3_f32 v31, v66, v65, v31
	v_dual_add_f32 v65, v169, v201 :: v_dual_add_f32 v66, v168, v200
	s_delay_alu instid0(VALU_DEP_4) | instskip(SKIP_2) | instid1(VALU_DEP_4)
	v_min3_f32 v38, v62, v61, v38
	v_dual_add_f32 v61, v77, v193 :: v_dual_add_f32 v62, v76, v192
	v_min3_f32 v21, v64, v63, v21
	v_min3_f32 v26, v66, v65, v26
	v_dual_add_f32 v65, v169, v205 :: v_dual_add_f32 v66, v168, v204
	v_min3_f32 v43, v93, v73, v43
	v_add_f32_e32 v73, v173, v193
	v_add_f32_e32 v93, v172, v192
	v_min3_f32 v34, v62, v61, v34
	v_dual_add_f32 v61, v77, v197 :: v_dual_add_f32 v62, v76, v196
	v_min3_f32 v24, v66, v65, v24
	v_dual_add_f32 v65, v173, v209 :: v_dual_add_f32 v66, v172, v208
	v_min3_f32 v60, v93, v73, v67
	v_add_f32_e32 v67, v173, v197
	v_add_f32_e32 v73, v77, v201
	;; [unrolled: 1-line block ×3, first 2 shown]
	v_min3_f32 v20, v62, v61, v20
	v_min3_f32 v2, v66, v65, v2
	;; [unrolled: 1-line block ×3, first 2 shown]
	v_add_f32_e32 v67, v173, v201
	v_min3_f32 v62, v93, v73, v69
	v_dual_add_f32 v68, v172, v200 :: v_dual_add_f32 v69, v77, v205
	v_dual_add_f32 v72, v76, v204 :: v_dual_add_f32 v73, v90, v205
	v_add_f32_e32 v93, v89, v204
	v_dual_add_f32 v65, v171, v96 :: v_dual_add_f32 v66, v170, v95
	s_delay_alu instid0(VALU_DEP_3) | instskip(SKIP_1) | instid1(VALU_DEP_4)
	v_min3_f32 v63, v72, v69, v70
	v_add_f32_e32 v69, v77, v209
	v_min3_f32 v64, v93, v73, v71
	v_dual_add_f32 v70, v76, v208 :: v_dual_add_f32 v71, v90, v209
	v_add_f32_e32 v72, v89, v208
	v_dual_add_f32 v73, v169, v209 :: v_dual_add_f32 v76, v168, v208
	v_min3_f32 v159, v66, v65, v22
	v_add_f32_e32 v22, v78, v103
	v_min3_f32 v27, v68, v67, v27
	v_dual_add_f32 v67, v173, v205 :: v_dual_add_f32 v68, v172, v204
	v_min3_f32 v6, v70, v69, v6
	v_min3_f32 v7, v72, v71, v7
	;; [unrolled: 1-line block ×3, first 2 shown]
	v_add_f32_e32 v69, v92, v75
	v_min3_f32 v3, v68, v67, v3
	v_dual_add_f32 v67, v79, v75 :: v_dual_add_f32 v68, v78, v74
	v_add_f32_e32 v70, v91, v74
	v_dual_add_f32 v71, v171, v75 :: v_dual_add_f32 v72, v170, v74
	v_dual_add_f32 v73, v175, v75 :: v_dual_add_f32 v74, v174, v74
	s_delay_alu instid0(VALU_DEP_4) | instskip(NEXT) | instid1(VALU_DEP_4)
	v_min3_f32 v165, v68, v67, v11
	v_min3_f32 v164, v70, v69, v14
	s_delay_alu instid0(VALU_DEP_4)
	v_min3_f32 v163, v72, v71, v15
	v_add_f32_e32 v11, v78, v95
	v_min3_f32 v162, v74, v73, v1
	v_add_f32_e32 v1, v79, v96
	v_dual_add_f32 v14, v92, v96 :: v_dual_add_f32 v15, v91, v95
	v_dual_add_f32 v67, v175, v96 :: v_dual_add_f32 v68, v174, v95
	s_delay_alu instid0(VALU_DEP_3) | instskip(SKIP_1) | instid1(VALU_DEP_4)
	v_min3_f32 v161, v11, v1, v18
	v_add_f32_e32 v11, v171, v100
	v_min3_f32 v160, v15, v14, v19
	v_add_f32_e32 v14, v170, v99
	v_min3_f32 v153, v68, v67, v23
	v_dual_add_f32 v15, v175, v100 :: v_dual_add_f32 v18, v174, v99
	v_add_f32_e32 v19, v79, v104
	v_add_f32_e32 v23, v92, v104
	;; [unrolled: 1-line block ×3, first 2 shown]
	v_min3_f32 v149, v14, v11, v28
	v_min3_f32 v148, v18, v15, v29
	;; [unrolled: 1-line block ×3, first 2 shown]
	v_add_f32_e32 v14, v79, v108
	v_min3_f32 v146, v65, v23, v5
	v_dual_add_f32 v15, v78, v107 :: v_dual_add_f32 v18, v92, v108
	v_add_f32_e32 v19, v91, v107
	v_dual_add_f32 v22, v171, v108 :: v_dual_add_f32 v23, v170, v107
	s_delay_alu instid0(VALU_DEP_3) | instskip(SKIP_1) | instid1(VALU_DEP_4)
	v_min3_f32 v143, v15, v14, v37
	v_add_f32_e32 v15, v171, v112
	v_min3_f32 v142, v19, v18, v40
	v_add_f32_e32 v18, v170, v111
	v_min3_f32 v141, v23, v22, v8
	v_dual_add_f32 v19, v175, v112 :: v_dual_add_f32 v22, v174, v111
	v_add_f32_e32 v1, v92, v100
	v_add_f32_e32 v5, v175, v104
	;; [unrolled: 1-line block ×3, first 2 shown]
	v_min3_f32 v137, v18, v15, v48
	v_min3_f32 v136, v22, v19, v9
	v_dual_add_f32 v18, v79, v179 :: v_dual_add_f32 v19, v78, v178
	v_dual_add_f32 v69, v79, v100 :: v_dual_add_f32 v70, v78, v99
	;; [unrolled: 1-line block ×3, first 2 shown]
	s_delay_alu instid0(VALU_DEP_3)
	v_min3_f32 v130, v19, v18, v12
	v_add_f32_e32 v18, v91, v182
	v_min3_f32 v144, v11, v5, v36
	v_add_f32_e32 v11, v92, v112
	;; [unrolled: 2-line block ×3, first 2 shown]
	v_add_f32_e32 v12, v79, v183
	v_add_f32_e32 v5, v79, v112
	v_min3_f32 v138, v14, v11, v45
	v_add_f32_e32 v14, v175, v121
	v_min3_f32 v150, v4, v1, v25
	v_dual_add_f32 v1, v171, v104 :: v_dual_add_f32 v4, v170, v103
	v_add_f32_e32 v8, v78, v111
	s_delay_alu instid0(VALU_DEP_4) | instskip(SKIP_1) | instid1(VALU_DEP_4)
	v_min3_f32 v131, v15, v14, v54
	v_dual_add_f32 v14, v78, v182 :: v_dual_add_f32 v15, v92, v183
	v_min3_f32 v145, v4, v1, v33
	v_dual_add_f32 v1, v175, v108 :: v_dual_add_f32 v4, v174, v107
	s_delay_alu instid0(VALU_DEP_3) | instskip(NEXT) | instid1(VALU_DEP_4)
	v_min3_f32 v124, v14, v12, v56
	v_min3_f32 v122, v18, v15, v13
	v_dual_add_f32 v12, v92, v187 :: v_dual_add_f32 v13, v91, v186
	v_dual_add_f32 v14, v171, v187 :: v_dual_add_f32 v15, v170, v186
	v_min3_f32 v140, v4, v1, v41
	v_min3_f32 v139, v8, v5, v44
	v_dual_add_f32 v1, v79, v121 :: v_dual_add_f32 v4, v78, v120
	v_dual_add_f32 v5, v92, v121 :: v_dual_add_f32 v8, v91, v120
	v_add_f32_e32 v9, v171, v121
	v_add_f32_e32 v11, v170, v120
	v_min3_f32 v118, v13, v12, v58
	v_min3_f32 v115, v15, v14, v16
	v_add_f32_e32 v14, v175, v191
	v_dual_add_f32 v12, v171, v191 :: v_dual_add_f32 v13, v170, v190
	v_add_f32_e32 v15, v174, v190
	v_min3_f32 v135, v4, v1, v49
	v_min3_f32 v134, v8, v5, v52
	;; [unrolled: 1-line block ×3, first 2 shown]
	v_dual_add_f32 v1, v92, v179 :: v_dual_add_f32 v4, v91, v178
	v_dual_add_f32 v5, v171, v179 :: v_dual_add_f32 v8, v170, v178
	v_add_f32_e32 v9, v175, v179
	v_add_f32_e32 v11, v174, v178
	v_min3_f32 v111, v13, v12, v43
	v_min3_f32 v110, v15, v14, v17
	v_dual_add_f32 v12, v175, v195 :: v_dual_add_f32 v13, v174, v194
	v_dual_add_f32 v14, v79, v199 :: v_dual_add_f32 v15, v78, v198
	v_min3_f32 v129, v4, v1, v50
	v_min3_f32 v128, v8, v5, v51
	v_dual_add_f32 v1, v171, v183 :: v_dual_add_f32 v4, v170, v182
	v_dual_add_f32 v5, v175, v183 :: v_dual_add_f32 v8, v174, v182
	v_min3_f32 v106, v13, v12, v60
	v_add_f32_e32 v12, v79, v203
	v_min3_f32 v127, v11, v9, v55
	v_add_f32_e32 v9, v79, v187
	v_add_f32_e32 v11, v78, v186
	v_min3_f32 v105, v15, v14, v20
	v_dual_add_f32 v14, v92, v203 :: v_dual_add_f32 v15, v91, v202
	v_min3_f32 v121, v4, v1, v46
	v_min3_f32 v120, v8, v5, v47
	v_dual_add_f32 v1, v175, v187 :: v_dual_add_f32 v4, v174, v186
	v_dual_add_f32 v5, v79, v191 :: v_dual_add_f32 v8, v78, v190
	v_min3_f32 v100, v15, v14, v21
	v_add_f32_e32 v14, v171, v207
	v_min3_f32 v119, v11, v9, v57
	v_add_f32_e32 v9, v92, v191
	v_add_f32_e32 v11, v91, v190
	v_min3_f32 v114, v4, v1, v38
	v_min3_f32 v113, v8, v5, v39
	v_dual_add_f32 v1, v79, v195 :: v_dual_add_f32 v4, v78, v194
	s_delay_alu instid0(VALU_DEP_4)
	v_min3_f32 v112, v11, v9, v42
	v_dual_add_f32 v5, v92, v195 :: v_dual_add_f32 v8, v91, v194
	v_add_f32_e32 v9, v171, v195
	v_add_f32_e32 v11, v170, v194
	v_min3_f32 v109, v4, v1, v34
	v_add_f32_e32 v1, v92, v199
	v_min3_f32 v108, v8, v5, v35
	;; [unrolled: 2-line block ×3, first 2 shown]
	v_dual_add_f32 v5, v171, v199 :: v_dual_add_f32 v8, v170, v198
	v_add_f32_e32 v9, v175, v199
	v_add_f32_e32 v11, v174, v198
	;; [unrolled: 1-line block ×3, first 2 shown]
	v_min3_f32 v104, v4, v1, v30
	v_min3_f32 v103, v8, v5, v31
	v_add_f32_e32 v1, v171, v203
	v_min3_f32 v102, v11, v9, v61
	v_min3_f32 v101, v13, v12, v62
	v_dual_add_f32 v4, v170, v202 :: v_dual_add_f32 v5, v175, v203
	v_dual_add_f32 v8, v174, v202 :: v_dual_add_f32 v9, v79, v207
	v_dual_add_f32 v11, v78, v206 :: v_dual_add_f32 v12, v92, v207
	v_add_f32_e32 v13, v91, v206
	v_add_f32_e32 v15, v170, v206
	v_min3_f32 v99, v4, v1, v26
	v_min3_f32 v98, v8, v5, v27
	;; [unrolled: 1-line block ×5, first 2 shown]
	v_dual_add_f32 v1, v175, v207 :: v_dual_add_f32 v4, v174, v206
	v_dual_add_f32 v5, v79, v211 :: v_dual_add_f32 v8, v78, v210
	v_add_f32_e32 v9, v92, v211
	v_add_f32_e32 v11, v91, v210
	v_dual_add_f32 v12, v171, v211 :: v_dual_add_f32 v13, v170, v210
	v_dual_add_f32 v14, v175, v211 :: v_dual_add_f32 v15, v174, v210
	v_min3_f32 v94, v4, v1, v3
	v_min3_f32 v93, v8, v5, v6
	;; [unrolled: 1-line block ×5, first 2 shown]
	s_cbranch_scc1 .LBB12_43
.LBB12_26:                              ; =>This Inner Loop Header: Depth=1
	v_add_nc_u32_e32 v16, s26, v123
	s_delay_alu instid0(VALU_DEP_1) | instskip(NEXT) | instid1(VALU_DEP_1)
	v_add_nc_u32_e32 v2, 8, v16
	v_min_i32_e32 v0, s19, v2
	v_cmp_le_i32_e64 s5, s10, v2
	s_delay_alu instid0(VALU_DEP_2) | instskip(NEXT) | instid1(VALU_DEP_1)
	v_ashrrev_i32_e32 v1, 31, v0
	v_lshlrev_b64 v[0:1], 2, v[0:1]
	s_delay_alu instid0(VALU_DEP_1) | instskip(NEXT) | instid1(VALU_DEP_1)
	v_add_co_u32 v2, s6, s22, v0
	v_add_co_ci_u32_e64 v3, s6, s23, v1, s6
	s_or_b32 s6, vcc_lo, s5
	s_delay_alu instid0(SALU_CYCLE_1) | instskip(SKIP_1) | instid1(SALU_CYCLE_1)
	v_cndmask_b32_e64 v166, 0, 0x7f7fffff, s6
	s_or_b32 s6, s14, s6
	s_xor_b32 s6, s6, -1
	s_delay_alu instid0(SALU_CYCLE_1)
	s_and_saveexec_b32 s27, s6
	s_cbranch_execz .LBB12_28
; %bb.27:                               ;   in Loop: Header=BB12_26 Depth=1
	v_add_co_u32 v4, s6, v2, v80
	s_delay_alu instid0(VALU_DEP_1)
	v_add_co_ci_u32_e64 v5, s6, v3, v81, s6
	flat_load_b32 v4, v[4:5]
	s_waitcnt vmcnt(0) lgkmcnt(0)
	v_mul_f32_e32 v166, s24, v4
.LBB12_28:                              ;   in Loop: Header=BB12_26 Depth=1
	s_or_b32 exec_lo, exec_lo, s27
	s_or_b32 s6, s2, s5
	s_delay_alu instid0(SALU_CYCLE_1) | instskip(SKIP_1) | instid1(SALU_CYCLE_1)
	v_cndmask_b32_e64 v167, 0, 0x7f7fffff, s6
	s_or_b32 s6, s14, s6
	s_xor_b32 s6, s6, -1
	s_delay_alu instid0(SALU_CYCLE_1)
	s_and_saveexec_b32 s27, s6
	s_cbranch_execz .LBB12_30
; %bb.29:                               ;   in Loop: Header=BB12_26 Depth=1
	v_add_co_u32 v2, s6, v2, v82
	s_delay_alu instid0(VALU_DEP_1)
	v_add_co_ci_u32_e64 v3, s6, v3, v83, s6
	flat_load_b32 v2, v[2:3]
	s_waitcnt vmcnt(0) lgkmcnt(0)
	v_mul_f32_e32 v167, s24, v2
.LBB12_30:                              ;   in Loop: Header=BB12_26 Depth=1
	s_or_b32 exec_lo, exec_lo, s27
	v_add_co_u32 v0, s6, s20, v0
	s_delay_alu instid0(VALU_DEP_1) | instskip(SKIP_1) | instid1(SALU_CYCLE_1)
	v_add_co_ci_u32_e64 v1, s6, s21, v1, s6
	s_or_b32 s6, s3, s5
	v_cndmask_b32_e64 v168, 0, 0x7f7fffff, s6
	s_or_b32 s6, s14, s6
	s_delay_alu instid0(SALU_CYCLE_1) | instskip(NEXT) | instid1(SALU_CYCLE_1)
	s_xor_b32 s6, s6, -1
	s_and_saveexec_b32 s27, s6
	s_cbranch_execz .LBB12_32
; %bb.31:                               ;   in Loop: Header=BB12_26 Depth=1
	v_add_co_u32 v2, s6, v0, v84
	s_delay_alu instid0(VALU_DEP_1)
	v_add_co_ci_u32_e64 v3, s6, v1, v85, s6
	flat_load_b32 v2, v[2:3]
	s_waitcnt vmcnt(0) lgkmcnt(0)
	v_mul_f32_e32 v168, s24, v2
.LBB12_32:                              ;   in Loop: Header=BB12_26 Depth=1
	s_or_b32 exec_lo, exec_lo, s27
	s_or_b32 s5, s4, s5
	s_delay_alu instid0(SALU_CYCLE_1) | instskip(SKIP_1) | instid1(SALU_CYCLE_1)
	v_cndmask_b32_e64 v169, 0, 0x7f7fffff, s5
	s_or_b32 s5, s14, s5
	s_xor_b32 s5, s5, -1
	s_delay_alu instid0(SALU_CYCLE_1)
	s_and_saveexec_b32 s6, s5
	s_cbranch_execz .LBB12_34
; %bb.33:                               ;   in Loop: Header=BB12_26 Depth=1
	v_add_co_u32 v0, s5, v0, v86
	s_delay_alu instid0(VALU_DEP_1)
	v_add_co_ci_u32_e64 v1, s5, v1, v87, s5
	flat_load_b32 v0, v[0:1]
	s_waitcnt vmcnt(0) lgkmcnt(0)
	v_mul_f32_e32 v169, s24, v0
.LBB12_34:                              ;   in Loop: Header=BB12_26 Depth=1
	s_or_b32 exec_lo, exec_lo, s6
	v_add_nc_u32_e32 v116, 12, v16
	ds_load_b128 v[12:15], v157
	ds_load_b128 v[8:11], v157 offset:512
	ds_load_b128 v[4:7], v157 offset:1024
	ds_load_b128 v[0:3], v157 offset:1536
	ds_load_b128 v[76:79], v158
	ds_load_b128 v[72:75], v158 offset:128
	ds_load_b128 v[68:71], v158 offset:256
	;; [unrolled: 1-line block ×15, first 2 shown]
	ds_store_2addr_stride64_b32 v132, v166, v167 offset1:4
	ds_store_2addr_stride64_b32 v152, v168, v169 offset1:4
	v_min_i32_e32 v88, s19, v116
	v_cmp_le_i32_e64 s5, s10, v116
	s_waitcnt lgkmcnt(0)
	s_barrier
	buffer_gl0_inv
	v_ashrrev_i32_e32 v89, 31, v88
	s_delay_alu instid0(VALU_DEP_1) | instskip(NEXT) | instid1(VALU_DEP_1)
	v_lshlrev_b64 v[88:89], 2, v[88:89]
	v_add_co_u32 v168, s6, s22, v88
	s_delay_alu instid0(VALU_DEP_1) | instskip(SKIP_1) | instid1(SALU_CYCLE_1)
	v_add_co_ci_u32_e64 v169, s6, s23, v89, s6
	s_or_b32 s6, vcc_lo, s5
	v_cndmask_b32_e64 v166, 0, 0x7f7fffff, s6
	s_or_b32 s6, s14, s6
	s_delay_alu instid0(SALU_CYCLE_1) | instskip(NEXT) | instid1(SALU_CYCLE_1)
	s_xor_b32 s6, s6, -1
	s_and_saveexec_b32 s27, s6
	s_delay_alu instid0(SALU_CYCLE_1)
	s_xor_b32 s27, exec_lo, s27
	s_cbranch_execz .LBB12_36
; %bb.35:                               ;   in Loop: Header=BB12_26 Depth=1
	v_add_co_u32 v166, s6, v168, v80
	s_delay_alu instid0(VALU_DEP_1)
	v_add_co_ci_u32_e64 v167, s6, v169, v81, s6
	flat_load_b32 v116, v[166:167]
	s_waitcnt vmcnt(0) lgkmcnt(0)
	v_mul_f32_e32 v166, s24, v116
.LBB12_36:                              ;   in Loop: Header=BB12_26 Depth=1
	s_or_b32 exec_lo, exec_lo, s27
	s_or_b32 s6, s2, s5
	s_delay_alu instid0(SALU_CYCLE_1) | instskip(SKIP_1) | instid1(SALU_CYCLE_1)
	v_cndmask_b32_e64 v167, 0, 0x7f7fffff, s6
	s_or_b32 s6, s14, s6
	s_xor_b32 s6, s6, -1
	s_delay_alu instid0(SALU_CYCLE_1)
	s_and_saveexec_b32 s27, s6
	s_cbranch_execz .LBB12_38
; %bb.37:                               ;   in Loop: Header=BB12_26 Depth=1
	v_add_co_u32 v167, s6, v168, v82
	s_delay_alu instid0(VALU_DEP_1)
	v_add_co_ci_u32_e64 v168, s6, v169, v83, s6
	flat_load_b32 v116, v[167:168]
	s_waitcnt vmcnt(0) lgkmcnt(0)
	v_mul_f32_e32 v167, s24, v116
.LBB12_38:                              ;   in Loop: Header=BB12_26 Depth=1
	s_or_b32 exec_lo, exec_lo, s27
	v_add_co_u32 v168, s6, s20, v88
	s_delay_alu instid0(VALU_DEP_1) | instskip(SKIP_1) | instid1(SALU_CYCLE_1)
	v_add_co_ci_u32_e64 v89, s6, s21, v89, s6
	s_or_b32 s6, s3, s5
	v_cndmask_b32_e64 v88, 0, 0x7f7fffff, s6
	s_or_b32 s6, s14, s6
	s_delay_alu instid0(SALU_CYCLE_1) | instskip(NEXT) | instid1(SALU_CYCLE_1)
	s_xor_b32 s6, s6, -1
	s_and_saveexec_b32 s27, s6
	s_cbranch_execz .LBB12_40
; %bb.39:                               ;   in Loop: Header=BB12_26 Depth=1
	v_add_co_u32 v169, s6, v168, v84
	s_delay_alu instid0(VALU_DEP_1)
	v_add_co_ci_u32_e64 v170, s6, v89, v85, s6
	flat_load_b32 v88, v[169:170]
	s_waitcnt vmcnt(0) lgkmcnt(0)
	v_mul_f32_e32 v88, s24, v88
.LBB12_40:                              ;   in Loop: Header=BB12_26 Depth=1
	s_or_b32 exec_lo, exec_lo, s27
	v_dual_add_f32 v116, v13, v77 :: v_dual_add_f32 v117, v12, v76
	v_dual_add_f32 v169, v9, v77 :: v_dual_add_f32 v170, v8, v76
	;; [unrolled: 1-line block ×3, first 2 shown]
	s_delay_alu instid0(VALU_DEP_3) | instskip(SKIP_1) | instid1(VALU_DEP_4)
	v_min3_f32 v116, v117, v116, v165
	v_dual_add_f32 v77, v1, v77 :: v_dual_add_f32 v76, v0, v76
	v_min3_f32 v117, v170, v169, v164
	s_delay_alu instid0(VALU_DEP_4)
	v_min3_f32 v163, v172, v171, v163
	v_dual_add_f32 v164, v13, v73 :: v_dual_add_f32 v165, v12, v72
	v_dual_add_f32 v169, v9, v73 :: v_dual_add_f32 v170, v8, v72
	;; [unrolled: 1-line block ×4, first 2 shown]
	v_min3_f32 v76, v76, v77, v162
	v_min3_f32 v77, v165, v164, v161
	;; [unrolled: 1-line block ×3, first 2 shown]
	v_add_f32_e32 v161, v9, v69
	v_min3_f32 v72, v72, v73, v153
	v_dual_add_f32 v73, v13, v69 :: v_dual_add_f32 v162, v8, v68
	v_dual_add_f32 v153, v12, v68 :: v_dual_add_f32 v164, v5, v69
	v_add_f32_e32 v165, v4, v68
	v_dual_add_f32 v69, v1, v69 :: v_dual_add_f32 v170, v12, v64
	v_dual_add_f32 v68, v0, v68 :: v_dual_add_f32 v169, v13, v65
	s_delay_alu instid0(VALU_DEP_4) | instskip(SKIP_2) | instid1(VALU_DEP_4)
	v_min3_f32 v73, v153, v73, v151
	v_min3_f32 v150, v162, v161, v150
	v_dual_add_f32 v151, v5, v65 :: v_dual_add_f32 v162, v12, v60
	v_min3_f32 v68, v68, v69, v148
	v_add_f32_e32 v148, v8, v64
	v_min3_f32 v69, v170, v169, v147
	v_add_f32_e32 v147, v9, v65
	v_add_f32_e32 v153, v4, v64
	v_dual_add_f32 v65, v1, v65 :: v_dual_add_f32 v64, v0, v64
	v_add_f32_e32 v161, v13, v61
	v_min3_f32 v149, v165, v164, v149
	v_dual_add_f32 v164, v9, v61 :: v_dual_add_f32 v165, v8, v60
	v_min3_f32 v146, v148, v147, v146
	v_min3_f32 v64, v64, v65, v144
	v_add_f32_e32 v144, v4, v60
	v_add_f32_e32 v60, v0, v60
	v_min3_f32 v65, v162, v161, v143
	v_dual_add_f32 v143, v5, v61 :: v_dual_add_f32 v148, v12, v56
	v_dual_add_f32 v61, v1, v61 :: v_dual_add_f32 v162, v4, v56
	v_add_f32_e32 v147, v13, v57
	v_add_f32_e32 v161, v5, v57
	s_delay_alu instid0(VALU_DEP_4) | instskip(NEXT) | instid1(VALU_DEP_4)
	v_min3_f32 v141, v144, v143, v141
	v_min3_f32 v60, v60, v61, v140
	v_add_f32_e32 v140, v12, v52
	v_min3_f32 v61, v148, v147, v139
	v_dual_add_f32 v139, v13, v53 :: v_dual_add_f32 v144, v8, v52
	v_dual_add_f32 v143, v9, v53 :: v_dual_add_f32 v148, v4, v52
	;; [unrolled: 1-line block ×3, first 2 shown]
	v_add_f32_e32 v53, v1, v53
	s_delay_alu instid0(VALU_DEP_3)
	v_min3_f32 v134, v144, v143, v134
	v_add_f32_e32 v144, v12, v44
	v_min3_f32 v135, v140, v139, v135
	v_add_f32_e32 v139, v5, v49
	;; [unrolled: 2-line block ×3, first 2 shown]
	v_min3_f32 v145, v153, v151, v145
	v_dual_add_f32 v151, v9, v57 :: v_dual_add_f32 v140, v4, v48
	v_add_f32_e32 v153, v8, v56
	v_dual_add_f32 v57, v1, v57 :: v_dual_add_f32 v56, v0, v56
	v_add_f32_e32 v53, v12, v48
	v_add_f32_e32 v143, v13, v45
	v_min3_f32 v159, v172, v171, v159
	v_min3_f32 v137, v162, v161, v137
	;; [unrolled: 1-line block ×3, first 2 shown]
	v_dual_add_f32 v56, v9, v49 :: v_dual_add_f32 v57, v8, v48
	v_dual_add_f32 v49, v1, v49 :: v_dual_add_f32 v48, v0, v48
	v_min3_f32 v130, v53, v52, v130
	v_dual_add_f32 v52, v5, v45 :: v_dual_add_f32 v53, v4, v44
	s_delay_alu instid0(VALU_DEP_4) | instskip(NEXT) | instid1(VALU_DEP_4)
	v_min3_f32 v129, v57, v56, v129
	v_min3_f32 v127, v48, v49, v127
	v_dual_add_f32 v48, v9, v45 :: v_dual_add_f32 v49, v8, v44
	v_dual_add_f32 v45, v1, v45 :: v_dual_add_f32 v44, v0, v44
	v_min3_f32 v128, v140, v139, v128
	v_dual_add_f32 v56, v13, v41 :: v_dual_add_f32 v57, v12, v40
	v_dual_add_f32 v139, v9, v41 :: v_dual_add_f32 v140, v8, v40
	s_delay_alu instid0(VALU_DEP_4)
	v_min3_f32 v120, v44, v45, v120
	v_add_f32_e32 v44, v5, v41
	v_min3_f32 v122, v49, v48, v122
	v_add_f32_e32 v45, v4, v40
	v_dual_add_f32 v41, v1, v41 :: v_dual_add_f32 v40, v0, v40
	v_dual_add_f32 v48, v13, v37 :: v_dual_add_f32 v49, v12, v36
	v_min3_f32 v121, v53, v52, v121
	v_add_f32_e32 v52, v9, v37
	v_min3_f32 v119, v57, v56, v119
	v_dual_add_f32 v53, v8, v36 :: v_dual_add_f32 v56, v5, v37
	v_add_f32_e32 v57, v4, v36
	v_min3_f32 v115, v45, v44, v115
	v_min3_f32 v114, v40, v41, v114
	v_dual_add_f32 v37, v1, v37 :: v_dual_add_f32 v36, v0, v36
	v_add_f32_e32 v40, v13, v33
	v_min3_f32 v113, v49, v48, v113
	v_dual_add_f32 v41, v12, v32 :: v_dual_add_f32 v44, v9, v33
	v_dual_add_f32 v45, v8, v32 :: v_dual_add_f32 v48, v5, v33
	v_add_f32_e32 v49, v4, v32
	v_dual_add_f32 v33, v1, v33 :: v_dual_add_f32 v32, v0, v32
	v_min3_f32 v110, v36, v37, v110
	v_dual_add_f32 v36, v9, v29 :: v_dual_add_f32 v37, v8, v28
	v_min3_f32 v108, v45, v44, v108
	s_delay_alu instid0(VALU_DEP_4)
	v_min3_f32 v106, v32, v33, v106
	v_add_f32_e32 v32, v13, v29
	v_min3_f32 v109, v41, v40, v109
	v_dual_add_f32 v33, v12, v28 :: v_dual_add_f32 v44, v13, v25
	v_dual_add_f32 v40, v5, v29 :: v_dual_add_f32 v41, v4, v28
	;; [unrolled: 1-line block ×3, first 2 shown]
	v_add_f32_e32 v45, v12, v24
	s_delay_alu instid0(VALU_DEP_4) | instskip(SKIP_1) | instid1(VALU_DEP_4)
	v_min3_f32 v105, v33, v32, v105
	v_dual_add_f32 v32, v5, v25 :: v_dual_add_f32 v33, v4, v24
	v_min3_f32 v102, v28, v29, v102
	v_dual_add_f32 v28, v9, v25 :: v_dual_add_f32 v29, v8, v24
	v_dual_add_f32 v25, v1, v25 :: v_dual_add_f32 v24, v0, v24
	v_min3_f32 v104, v37, v36, v104
	v_min3_f32 v103, v41, v40, v103
	v_dual_add_f32 v36, v13, v21 :: v_dual_add_f32 v37, v12, v20
	v_dual_add_f32 v40, v9, v21 :: v_dual_add_f32 v41, v8, v20
	;; [unrolled: 1-line block ×3, first 2 shown]
	v_min3_f32 v24, v24, v25, v98
	v_dual_add_f32 v25, v5, v21 :: v_dual_add_f32 v8, v8, v16
	v_add_f32_e32 v9, v9, v17
	v_min3_f32 v100, v29, v28, v100
	v_dual_add_f32 v28, v4, v20 :: v_dual_add_f32 v21, v1, v21
	v_add_f32_e32 v4, v4, v16
	v_dual_add_f32 v20, v0, v20 :: v_dual_add_f32 v5, v5, v17
	v_add_f32_e32 v0, v0, v16
	v_min3_f32 v93, v12, v13, v93
	v_dual_add_f32 v12, v7, v79 :: v_dual_add_f32 v13, v6, v78
	v_add_f32_e32 v16, v3, v79
	v_min3_f32 v92, v8, v9, v92
	v_dual_add_f32 v8, v11, v79 :: v_dual_add_f32 v9, v10, v78
	v_min3_f32 v95, v28, v25, v95
	v_min3_f32 v94, v20, v21, v94
	;; [unrolled: 1-line block ×3, first 2 shown]
	v_dual_add_f32 v1, v1, v17 :: v_dual_add_f32 v4, v15, v79
	v_add_f32_e32 v5, v14, v78
	v_min3_f32 v28, v9, v8, v117
	v_dual_add_f32 v8, v11, v75 :: v_dual_add_f32 v9, v10, v74
	v_add_f32_e32 v20, v15, v71
	v_min3_f32 v29, v13, v12, v163
	v_dual_add_f32 v12, v7, v75 :: v_dual_add_f32 v13, v6, v74
	v_min3_f32 v99, v33, v32, v99
	v_min3_f32 v97, v37, v36, v97
	;; [unrolled: 1-line block ×3, first 2 shown]
	v_dual_add_f32 v4, v15, v75 :: v_dual_add_f32 v5, v14, v74
	v_min3_f32 v33, v9, v8, v160
	v_min3_f32 v36, v13, v12, v159
	v_dual_add_f32 v9, v7, v71 :: v_dual_add_f32 v12, v6, v70
	v_min3_f32 v96, v41, v40, v96
	v_add_f32_e32 v17, v2, v78
	v_add_f32_e32 v8, v10, v70
	v_min3_f32 v0, v0, v1, v90
	v_min3_f32 v41, v12, v9, v149
	v_add_f32_e32 v12, v3, v67
	v_min3_f32 v32, v5, v4, v77
	v_add_f32_e32 v5, v11, v71
	v_add_f32_e32 v21, v14, v70
	v_min3_f32 v111, v57, v56, v111
	v_min3_f32 v107, v49, v48, v107
	v_add_f32_e32 v13, v3, v71
	v_min3_f32 v40, v8, v5, v150
	v_add_f32_e32 v8, v7, v67
	v_min3_f32 v1, v17, v16, v76
	v_dual_add_f32 v16, v3, v75 :: v_dual_add_f32 v17, v2, v74
	v_add_f32_e32 v56, v7, v63
	v_min3_f32 v4, v21, v20, v73
	v_dual_add_f32 v20, v14, v66 :: v_dual_add_f32 v21, v11, v67
	;; [unrolled: 3-line block ×3, first 2 shown]
	v_min3_f32 v142, v165, v164, v142
	v_min3_f32 v101, v45, v44, v101
	v_min3_f32 v5, v48, v21, v146
	s_delay_alu instid0(VALU_DEP_4)
	v_min3_f32 v44, v16, v13, v68
	v_min3_f32 v45, v20, v17, v69
	v_add_f32_e32 v9, v6, v66
	v_dual_add_f32 v13, v2, v66 :: v_dual_add_f32 v16, v15, v63
	v_dual_add_f32 v17, v14, v62 :: v_dual_add_f32 v20, v11, v63
	v_add_f32_e32 v21, v10, v62
	v_min3_f32 v138, v153, v151, v138
	v_min3_f32 v112, v53, v52, v112
	v_add_f32_e32 v57, v6, v62
	v_min3_f32 v48, v9, v8, v145
	v_min3_f32 v49, v13, v12, v64
	v_min3_f32 v52, v17, v16, v65
	v_min3_f32 v53, v21, v20, v142
	v_dual_add_f32 v9, v3, v63 :: v_dual_add_f32 v12, v2, v62
	v_dual_add_f32 v13, v15, v59 :: v_dual_add_f32 v16, v14, v58
	;; [unrolled: 1-line block ×5, first 2 shown]
	v_min3_f32 v133, v148, v147, v133
	v_min3_f32 v8, v57, v56, v141
	;; [unrolled: 1-line block ×7, first 2 shown]
	v_dual_add_f32 v12, v15, v55 :: v_dual_add_f32 v13, v14, v54
	v_dual_add_f32 v16, v11, v55 :: v_dual_add_f32 v17, v10, v54
	v_add_f32_e32 v68, v7, v43
	v_dual_add_f32 v20, v7, v55 :: v_dual_add_f32 v21, v6, v54
	v_dual_add_f32 v61, v3, v55 :: v_dual_add_f32 v62, v2, v54
	v_dual_add_f32 v63, v15, v51 :: v_dual_add_f32 v64, v14, v50
	v_min3_f32 v124, v144, v143, v124
	v_min3_f32 v54, v13, v12, v135
	;; [unrolled: 1-line block ×6, first 2 shown]
	v_dual_add_f32 v13, v11, v51 :: v_dual_add_f32 v16, v10, v50
	v_dual_add_f32 v17, v7, v51 :: v_dual_add_f32 v20, v6, v50
	;; [unrolled: 1-line block ×5, first 2 shown]
	v_min3_f32 v118, v140, v139, v118
	v_min3_f32 v50, v16, v13, v129
	;; [unrolled: 1-line block ×6, first 2 shown]
	v_dual_add_f32 v16, v7, v47 :: v_dual_add_f32 v17, v6, v46
	v_dual_add_f32 v20, v3, v47 :: v_dual_add_f32 v21, v2, v46
	;; [unrolled: 1-line block ×5, first 2 shown]
	v_min3_f32 v46, v17, v16, v121
	v_min3_f32 v47, v21, v20, v120
	;; [unrolled: 1-line block ×5, first 2 shown]
	v_dual_add_f32 v17, v3, v43 :: v_dual_add_f32 v20, v2, v42
	v_dual_add_f32 v21, v15, v39 :: v_dual_add_f32 v42, v14, v38
	;; [unrolled: 1-line block ×5, first 2 shown]
	v_min3_f32 v38, v20, v17, v114
	v_min3_f32 v39, v42, v21, v113
	;; [unrolled: 1-line block ×5, first 2 shown]
	v_dual_add_f32 v20, v15, v35 :: v_dual_add_f32 v21, v14, v34
	v_dual_add_f32 v66, v11, v35 :: v_dual_add_f32 v67, v10, v34
	;; [unrolled: 1-line block ×4, first 2 shown]
	v_add_f32_e32 v73, v14, v30
	v_min3_f32 v34, v21, v20, v109
	v_min3_f32 v35, v67, v66, v108
	;; [unrolled: 1-line block ×5, first 2 shown]
	v_dual_add_f32 v21, v11, v31 :: v_dual_add_f32 v68, v10, v30
	v_dual_add_f32 v69, v7, v31 :: v_dual_add_f32 v70, v6, v30
	;; [unrolled: 1-line block ×5, first 2 shown]
	v_min3_f32 v30, v68, v21, v104
	v_min3_f32 v31, v70, v69, v103
	;; [unrolled: 1-line block ×4, first 2 shown]
	v_dual_add_f32 v70, v7, v27 :: v_dual_add_f32 v71, v6, v26
	v_dual_add_f32 v27, v3, v27 :: v_dual_add_f32 v72, v2, v26
	;; [unrolled: 1-line block ×3, first 2 shown]
	v_min3_f32 v21, v76, v75, v100
	v_dual_add_f32 v75, v11, v23 :: v_dual_add_f32 v76, v10, v22
	v_dual_add_f32 v77, v7, v23 :: v_dual_add_f32 v78, v6, v22
	v_min3_f32 v26, v71, v70, v99
	v_min3_f32 v27, v72, v27, v24
	;; [unrolled: 1-line block ×3, first 2 shown]
	v_dual_add_f32 v23, v3, v23 :: v_dual_add_f32 v22, v2, v22
	v_dual_add_f32 v15, v15, v19 :: v_dual_add_f32 v14, v14, v18
	;; [unrolled: 1-line block ×5, first 2 shown]
	s_or_b32 s5, s4, s5
	v_min3_f32 v71, v76, v75, v96
	v_min3_f32 v24, v78, v77, v95
	;; [unrolled: 1-line block ×7, first 2 shown]
	v_cndmask_b32_e64 v0, 0, 0x7f7fffff, s5
	s_or_b32 s5, s14, s5
	s_delay_alu instid0(SALU_CYCLE_1) | instskip(NEXT) | instid1(SALU_CYCLE_1)
	s_xor_b32 s5, s5, -1
	s_and_saveexec_b32 s6, s5
	s_cbranch_execz .LBB12_25
; %bb.41:                               ;   in Loop: Header=BB12_26 Depth=1
	v_add_co_u32 v14, s5, v168, v86
	s_delay_alu instid0(VALU_DEP_1)
	v_add_co_ci_u32_e64 v15, s5, v89, v87, s5
	flat_load_b32 v0, v[14:15]
	s_waitcnt vmcnt(0) lgkmcnt(0)
	v_mul_f32_e32 v0, s24, v0
	s_branch .LBB12_25
.LBB12_42:
	v_dual_mov_b32 v212, v54 :: v_dual_mov_b32 v213, v55
.LBB12_43:
	s_clause 0x2
	s_load_b64 s[2:3], s[0:1], 0x78
	s_load_b32 s6, s[0:1], 0x58
	s_load_b32 s5, s[0:1], 0x70
	ds_load_b128 v[16:19], v126 offset:2048
	ds_load_b128 v[12:15], v126 offset:2560
	;; [unrolled: 1-line block ×14, first 2 shown]
	v_add_nc_u32_e32 v89, s7, v213
	ds_load_b128 v[36:39], v125 offset:7424
	ds_load_b128 v[32:35], v125 offset:7552
	;; [unrolled: 1-line block ×6, first 2 shown]
	v_add_nc_u32_e32 v80, s11, v212
	v_cmp_gt_i32_e64 s4, s9, v89
	v_cndmask_b32_e64 v88, 0, 1, s18
	s_waitcnt lgkmcnt(0)
	s_lshl_b64 s[0:1], s[2:3], 2
	v_mad_i64_i32 v[81:82], null, v89, s6, 0
	v_mad_i64_i32 v[83:84], null, v89, s5, 0
	s_add_u32 s7, s16, s0
	s_addc_u32 s10, s17, s1
	v_cmp_gt_i32_e64 s0, s8, v80
	s_delay_alu instid0(VALU_DEP_3) | instskip(SKIP_1) | instid1(VALU_DEP_4)
	v_lshlrev_b64 v[85:86], 2, v[81:82]
	v_ashrrev_i32_e32 v81, 31, v80
	v_lshlrev_b64 v[82:83], 2, v[83:84]
	s_delay_alu instid0(VALU_DEP_4) | instskip(NEXT) | instid1(VALU_DEP_3)
	s_and_b32 s1, s0, s4
	v_add_co_u32 v123, vcc_lo, s12, v85
	s_delay_alu instid0(VALU_DEP_4) | instskip(NEXT) | instid1(VALU_DEP_3)
	v_add_co_ci_u32_e32 v125, vcc_lo, s13, v86, vcc_lo
	v_add_co_u32 v116, vcc_lo, s7, v82
	s_delay_alu instid0(VALU_DEP_4) | instskip(SKIP_1) | instid1(SALU_CYCLE_1)
	v_add_co_ci_u32_e32 v117, vcc_lo, s10, v83, vcc_lo
	s_and_saveexec_b32 s2, s1
	s_xor_b32 s1, exec_lo, s2
	s_cbranch_execz .LBB12_48
; %bb.44:
	s_and_not1_b32 vcc_lo, exec_lo, s18
	s_cbranch_vccnz .LBB12_46
; %bb.45:
	v_lshlrev_b64 v[82:83], 2, v[80:81]
	s_delay_alu instid0(VALU_DEP_1) | instskip(NEXT) | instid1(VALU_DEP_2)
	v_add_co_u32 v82, vcc_lo, v123, v82
	v_add_co_ci_u32_e32 v83, vcc_lo, v125, v83, vcc_lo
	flat_load_b32 v82, v[82:83]
	s_waitcnt vmcnt(0) lgkmcnt(0)
	v_mul_f32_e32 v82, s15, v82
	s_branch .LBB12_47
.LBB12_46:
	v_mov_b32_e32 v82, 0
.LBB12_47:
	v_dual_add_f32 v83, v17, v77 :: v_dual_add_f32 v84, v16, v76
	v_dual_add_f32 v85, v19, v79 :: v_dual_add_f32 v86, v18, v78
	s_delay_alu instid0(VALU_DEP_2) | instskip(SKIP_1) | instid1(VALU_DEP_3)
	v_min3_f32 v87, v84, v83, v165
	v_lshlrev_b64 v[83:84], 2, v[80:81]
	v_min_f32_e32 v85, v86, v85
	s_delay_alu instid0(VALU_DEP_1) | instskip(NEXT) | instid1(VALU_DEP_3)
	v_min3_f32 v85, v82, v85, v87
	v_add_co_u32 v82, vcc_lo, v116, v83
	s_delay_alu instid0(VALU_DEP_4)
	v_add_co_ci_u32_e32 v83, vcc_lo, v117, v84, vcc_lo
	global_store_b32 v[82:83], v85, off
.LBB12_48:
	s_or_b32 exec_lo, exec_lo, s1
	v_add_nc_u32_e32 v82, 32, v80
	s_delay_alu instid0(VALU_DEP_1) | instskip(SKIP_1) | instid1(VALU_DEP_2)
	v_cmp_gt_i32_e64 s1, s8, v82
	v_ashrrev_i32_e32 v83, 31, v82
	s_and_b32 s3, s1, s4
	s_delay_alu instid0(SALU_CYCLE_1)
	s_and_saveexec_b32 s2, s3
	s_cbranch_execz .LBB12_53
; %bb.49:
	v_cmp_ne_u32_e32 vcc_lo, 1, v88
	s_cbranch_vccnz .LBB12_51
; %bb.50:
	v_lshlrev_b64 v[84:85], 2, v[82:83]
	s_delay_alu instid0(VALU_DEP_1) | instskip(NEXT) | instid1(VALU_DEP_2)
	v_add_co_u32 v84, vcc_lo, v123, v84
	v_add_co_ci_u32_e32 v85, vcc_lo, v125, v85, vcc_lo
	flat_load_b32 v84, v[84:85]
	s_waitcnt vmcnt(0) lgkmcnt(0)
	v_mul_f32_e32 v84, s15, v84
	s_branch .LBB12_52
.LBB12_51:
	v_mov_b32_e32 v84, 0
.LBB12_52:
	v_dual_add_f32 v85, v13, v77 :: v_dual_add_f32 v86, v12, v76
	v_dual_add_f32 v87, v15, v79 :: v_dual_add_f32 v126, v14, v78
	s_delay_alu instid0(VALU_DEP_2) | instskip(SKIP_1) | instid1(VALU_DEP_3)
	v_min3_f32 v132, v86, v85, v164
	v_lshlrev_b64 v[85:86], 2, v[82:83]
	v_min_f32_e32 v87, v126, v87
	s_delay_alu instid0(VALU_DEP_1) | instskip(NEXT) | instid1(VALU_DEP_3)
	v_min3_f32 v87, v84, v87, v132
	v_add_co_u32 v84, vcc_lo, v116, v85
	s_delay_alu instid0(VALU_DEP_4)
	v_add_co_ci_u32_e32 v85, vcc_lo, v117, v86, vcc_lo
	global_store_b32 v[84:85], v87, off
.LBB12_53:
	s_or_b32 exec_lo, exec_lo, s2
	v_add_nc_u32_e32 v84, 64, v80
	s_delay_alu instid0(VALU_DEP_1) | instskip(SKIP_1) | instid1(VALU_DEP_2)
	v_cmp_gt_i32_e64 s2, s8, v84
	v_ashrrev_i32_e32 v85, 31, v84
	s_and_b32 s11, s2, s4
	s_delay_alu instid0(SALU_CYCLE_1)
	s_and_saveexec_b32 s3, s11
	s_cbranch_execz .LBB12_58
; %bb.54:
	v_cmp_ne_u32_e32 vcc_lo, 1, v88
	s_cbranch_vccnz .LBB12_56
; %bb.55:
	v_lshlrev_b64 v[86:87], 2, v[84:85]
	s_delay_alu instid0(VALU_DEP_1) | instskip(NEXT) | instid1(VALU_DEP_2)
	v_add_co_u32 v86, vcc_lo, v123, v86
	v_add_co_ci_u32_e32 v87, vcc_lo, v125, v87, vcc_lo
	flat_load_b32 v86, v[86:87]
	s_waitcnt vmcnt(0) lgkmcnt(0)
	v_mul_f32_e32 v86, s15, v86
	s_branch .LBB12_57
.LBB12_56:
	v_mov_b32_e32 v86, 0
.LBB12_57:
	v_dual_add_f32 v87, v9, v77 :: v_dual_add_f32 v126, v8, v76
	v_add_f32_e32 v132, v11, v79
	v_add_f32_e32 v152, v10, v78
	v_lshlrev_b64 v[154:155], 2, v[84:85]
	s_delay_alu instid0(VALU_DEP_4) | instskip(NEXT) | instid1(VALU_DEP_3)
	v_min3_f32 v87, v126, v87, v163
	v_min_f32_e32 v126, v152, v132
	s_delay_alu instid0(VALU_DEP_1) | instskip(NEXT) | instid1(VALU_DEP_4)
	v_min3_f32 v126, v86, v126, v87
	v_add_co_u32 v86, vcc_lo, v116, v154
	v_add_co_ci_u32_e32 v87, vcc_lo, v117, v155, vcc_lo
	global_store_b32 v[86:87], v126, off
.LBB12_58:
	s_or_b32 exec_lo, exec_lo, s3
	v_add_nc_u32_e32 v86, 0x60, v80
	s_delay_alu instid0(VALU_DEP_1) | instskip(SKIP_1) | instid1(VALU_DEP_2)
	v_cmp_gt_i32_e64 s3, s8, v86
	v_ashrrev_i32_e32 v87, 31, v86
	s_and_b32 s8, s3, s4
	s_delay_alu instid0(SALU_CYCLE_1)
	s_and_saveexec_b32 s4, s8
	s_cbranch_execz .LBB12_63
; %bb.59:
	v_cmp_ne_u32_e32 vcc_lo, 1, v88
	s_cbranch_vccnz .LBB12_61
; %bb.60:
	v_lshlrev_b64 v[154:155], 2, v[86:87]
	s_delay_alu instid0(VALU_DEP_1) | instskip(NEXT) | instid1(VALU_DEP_2)
	v_add_co_u32 v154, vcc_lo, v123, v154
	v_add_co_ci_u32_e32 v155, vcc_lo, v125, v155, vcc_lo
	flat_load_b32 v123, v[154:155]
	s_waitcnt vmcnt(0) lgkmcnt(0)
	v_mul_f32_e32 v123, s15, v123
	s_branch .LBB12_62
.LBB12_61:
	v_mov_b32_e32 v123, 0
.LBB12_62:
	v_dual_add_f32 v77, v1, v77 :: v_dual_add_f32 v76, v0, v76
	v_dual_add_f32 v79, v3, v79 :: v_dual_add_f32 v78, v2, v78
	s_delay_alu instid0(VALU_DEP_2) | instskip(SKIP_1) | instid1(VALU_DEP_3)
	v_min3_f32 v125, v76, v77, v162
	v_lshlrev_b64 v[76:77], 2, v[86:87]
	v_min_f32_e32 v78, v78, v79
	s_delay_alu instid0(VALU_DEP_1) | instskip(NEXT) | instid1(VALU_DEP_3)
	v_min3_f32 v78, v123, v78, v125
	v_add_co_u32 v76, vcc_lo, v116, v76
	s_delay_alu instid0(VALU_DEP_4)
	v_add_co_ci_u32_e32 v77, vcc_lo, v117, v77, vcc_lo
	global_store_b32 v[76:77], v78, off
.LBB12_63:
	s_or_b32 exec_lo, exec_lo, s4
	v_add_nc_u32_e32 v116, 8, v89
	s_delay_alu instid0(VALU_DEP_1) | instskip(SKIP_2) | instid1(VALU_DEP_3)
	v_mad_i64_i32 v[76:77], null, v116, s6, 0
	v_mad_i64_i32 v[78:79], null, v116, s5, 0
	v_cmp_gt_i32_e64 s4, s9, v116
	v_lshlrev_b64 v[76:77], 2, v[76:77]
	s_delay_alu instid0(VALU_DEP_2) | instskip(NEXT) | instid1(VALU_DEP_3)
	s_and_b32 s11, s0, s4
	v_lshlrev_b64 v[116:117], 2, v[78:79]
	s_delay_alu instid0(VALU_DEP_2) | instskip(NEXT) | instid1(VALU_DEP_3)
	v_add_co_u32 v78, vcc_lo, s12, v76
	v_add_co_ci_u32_e32 v79, vcc_lo, s13, v77, vcc_lo
	s_delay_alu instid0(VALU_DEP_3) | instskip(NEXT) | instid1(VALU_DEP_4)
	v_add_co_u32 v76, vcc_lo, s7, v116
	v_add_co_ci_u32_e32 v77, vcc_lo, s10, v117, vcc_lo
	s_and_saveexec_b32 s8, s11
	s_cbranch_execnz .LBB12_67
; %bb.64:
	s_or_b32 exec_lo, exec_lo, s8
	s_and_b32 s11, s1, s4
	s_delay_alu instid0(SALU_CYCLE_1)
	s_and_saveexec_b32 s8, s11
	s_cbranch_execnz .LBB12_71
.LBB12_65:
	s_or_b32 exec_lo, exec_lo, s8
	s_and_b32 s11, s2, s4
	s_delay_alu instid0(SALU_CYCLE_1)
	s_and_saveexec_b32 s8, s11
	s_cbranch_execnz .LBB12_75
.LBB12_66:
	s_or_b32 exec_lo, exec_lo, s8
	s_and_b32 s8, s3, s4
	s_delay_alu instid0(SALU_CYCLE_1)
	s_and_saveexec_b32 s4, s8
	s_cbranch_execnz .LBB12_79
	s_branch .LBB12_83
.LBB12_67:
	v_cmp_ne_u32_e32 vcc_lo, 1, v88
	s_cbranch_vccnz .LBB12_69
; %bb.68:
	v_lshlrev_b64 v[116:117], 2, v[80:81]
	s_delay_alu instid0(VALU_DEP_1) | instskip(NEXT) | instid1(VALU_DEP_2)
	v_add_co_u32 v116, vcc_lo, v78, v116
	v_add_co_ci_u32_e32 v117, vcc_lo, v79, v117, vcc_lo
	flat_load_b32 v116, v[116:117]
	s_waitcnt vmcnt(0) lgkmcnt(0)
	v_mul_f32_e32 v116, s15, v116
	s_branch .LBB12_70
.LBB12_69:
	v_mov_b32_e32 v116, 0
.LBB12_70:
	v_dual_add_f32 v117, v17, v73 :: v_dual_add_f32 v126, v18, v74
	v_add_f32_e32 v123, v16, v72
	v_add_f32_e32 v125, v19, v75
	s_delay_alu instid0(VALU_DEP_2) | instskip(NEXT) | instid1(VALU_DEP_2)
	v_min3_f32 v117, v123, v117, v161
	v_min_f32_e32 v123, v126, v125
	v_lshlrev_b64 v[125:126], 2, v[80:81]
	s_delay_alu instid0(VALU_DEP_2) | instskip(NEXT) | instid1(VALU_DEP_2)
	v_min3_f32 v123, v116, v123, v117
	v_add_co_u32 v116, vcc_lo, v76, v125
	s_delay_alu instid0(VALU_DEP_3) | instskip(SKIP_3) | instid1(SALU_CYCLE_1)
	v_add_co_ci_u32_e32 v117, vcc_lo, v77, v126, vcc_lo
	global_store_b32 v[116:117], v123, off
	s_or_b32 exec_lo, exec_lo, s8
	s_and_b32 s11, s1, s4
	s_and_saveexec_b32 s8, s11
	s_cbranch_execz .LBB12_65
.LBB12_71:
	v_cmp_ne_u32_e32 vcc_lo, 1, v88
	s_cbranch_vccnz .LBB12_73
; %bb.72:
	v_lshlrev_b64 v[116:117], 2, v[82:83]
	s_delay_alu instid0(VALU_DEP_1) | instskip(NEXT) | instid1(VALU_DEP_2)
	v_add_co_u32 v116, vcc_lo, v78, v116
	v_add_co_ci_u32_e32 v117, vcc_lo, v79, v117, vcc_lo
	flat_load_b32 v116, v[116:117]
	s_waitcnt vmcnt(0) lgkmcnt(0)
	v_mul_f32_e32 v116, s15, v116
	s_branch .LBB12_74
.LBB12_73:
	v_mov_b32_e32 v116, 0
.LBB12_74:
	v_dual_add_f32 v117, v13, v73 :: v_dual_add_f32 v126, v14, v74
	v_add_f32_e32 v123, v12, v72
	v_add_f32_e32 v125, v15, v75
	s_delay_alu instid0(VALU_DEP_2) | instskip(NEXT) | instid1(VALU_DEP_2)
	v_min3_f32 v117, v123, v117, v160
	v_min_f32_e32 v123, v126, v125
	v_lshlrev_b64 v[125:126], 2, v[82:83]
	s_delay_alu instid0(VALU_DEP_2) | instskip(NEXT) | instid1(VALU_DEP_2)
	v_min3_f32 v123, v116, v123, v117
	v_add_co_u32 v116, vcc_lo, v76, v125
	s_delay_alu instid0(VALU_DEP_3) | instskip(SKIP_3) | instid1(SALU_CYCLE_1)
	v_add_co_ci_u32_e32 v117, vcc_lo, v77, v126, vcc_lo
	global_store_b32 v[116:117], v123, off
	s_or_b32 exec_lo, exec_lo, s8
	s_and_b32 s11, s2, s4
	s_and_saveexec_b32 s8, s11
	s_cbranch_execz .LBB12_66
.LBB12_75:
	v_cmp_ne_u32_e32 vcc_lo, 1, v88
	s_cbranch_vccnz .LBB12_77
; %bb.76:
	v_lshlrev_b64 v[116:117], 2, v[84:85]
	s_delay_alu instid0(VALU_DEP_1) | instskip(NEXT) | instid1(VALU_DEP_2)
	v_add_co_u32 v116, vcc_lo, v78, v116
	v_add_co_ci_u32_e32 v117, vcc_lo, v79, v117, vcc_lo
	flat_load_b32 v116, v[116:117]
	s_waitcnt vmcnt(0) lgkmcnt(0)
	v_mul_f32_e32 v116, s15, v116
	s_branch .LBB12_78
.LBB12_77:
	v_mov_b32_e32 v116, 0
.LBB12_78:
	v_dual_add_f32 v117, v9, v73 :: v_dual_add_f32 v126, v10, v74
	v_add_f32_e32 v123, v8, v72
	v_add_f32_e32 v125, v11, v75
	s_delay_alu instid0(VALU_DEP_2) | instskip(NEXT) | instid1(VALU_DEP_2)
	v_min3_f32 v117, v123, v117, v159
	v_min_f32_e32 v123, v126, v125
	v_lshlrev_b64 v[125:126], 2, v[84:85]
	s_delay_alu instid0(VALU_DEP_2) | instskip(NEXT) | instid1(VALU_DEP_2)
	v_min3_f32 v123, v116, v123, v117
	v_add_co_u32 v116, vcc_lo, v76, v125
	s_delay_alu instid0(VALU_DEP_3) | instskip(SKIP_3) | instid1(SALU_CYCLE_1)
	v_add_co_ci_u32_e32 v117, vcc_lo, v77, v126, vcc_lo
	global_store_b32 v[116:117], v123, off
	s_or_b32 exec_lo, exec_lo, s8
	s_and_b32 s8, s3, s4
	s_and_saveexec_b32 s4, s8
	s_cbranch_execz .LBB12_83
.LBB12_79:
	v_cmp_ne_u32_e32 vcc_lo, 1, v88
	s_cbranch_vccnz .LBB12_81
; %bb.80:
	v_lshlrev_b64 v[116:117], 2, v[86:87]
	s_delay_alu instid0(VALU_DEP_1) | instskip(NEXT) | instid1(VALU_DEP_2)
	v_add_co_u32 v78, vcc_lo, v78, v116
	v_add_co_ci_u32_e32 v79, vcc_lo, v79, v117, vcc_lo
	flat_load_b32 v78, v[78:79]
	s_waitcnt vmcnt(0) lgkmcnt(0)
	v_mul_f32_e32 v78, s15, v78
	s_branch .LBB12_82
.LBB12_81:
	v_mov_b32_e32 v78, 0
.LBB12_82:
	v_dual_add_f32 v73, v1, v73 :: v_dual_add_f32 v72, v0, v72
	v_dual_add_f32 v75, v3, v75 :: v_dual_add_f32 v74, v2, v74
	s_delay_alu instid0(VALU_DEP_2) | instskip(SKIP_1) | instid1(VALU_DEP_3)
	v_min3_f32 v79, v72, v73, v153
	v_lshlrev_b64 v[72:73], 2, v[86:87]
	v_min_f32_e32 v74, v74, v75
	s_delay_alu instid0(VALU_DEP_1) | instskip(NEXT) | instid1(VALU_DEP_3)
	v_min3_f32 v74, v78, v74, v79
	v_add_co_u32 v72, vcc_lo, v76, v72
	s_delay_alu instid0(VALU_DEP_4)
	v_add_co_ci_u32_e32 v73, vcc_lo, v77, v73, vcc_lo
	global_store_b32 v[72:73], v74, off
.LBB12_83:
	s_or_b32 exec_lo, exec_lo, s4
	v_add_nc_u32_e32 v76, 16, v89
	s_delay_alu instid0(VALU_DEP_1) | instskip(SKIP_2) | instid1(VALU_DEP_3)
	v_mad_i64_i32 v[72:73], null, v76, s6, 0
	v_mad_i64_i32 v[74:75], null, v76, s5, 0
	v_cmp_gt_i32_e64 s4, s9, v76
	v_lshlrev_b64 v[72:73], 2, v[72:73]
	s_delay_alu instid0(VALU_DEP_2) | instskip(NEXT) | instid1(VALU_DEP_3)
	s_and_b32 s11, s0, s4
	v_lshlrev_b64 v[76:77], 2, v[74:75]
	s_delay_alu instid0(VALU_DEP_2) | instskip(NEXT) | instid1(VALU_DEP_3)
	v_add_co_u32 v74, vcc_lo, s12, v72
	v_add_co_ci_u32_e32 v75, vcc_lo, s13, v73, vcc_lo
	s_delay_alu instid0(VALU_DEP_3) | instskip(NEXT) | instid1(VALU_DEP_4)
	v_add_co_u32 v72, vcc_lo, s7, v76
	v_add_co_ci_u32_e32 v73, vcc_lo, s10, v77, vcc_lo
	s_and_saveexec_b32 s8, s11
	s_cbranch_execnz .LBB12_87
; %bb.84:
	s_or_b32 exec_lo, exec_lo, s8
	s_and_b32 s11, s1, s4
	s_delay_alu instid0(SALU_CYCLE_1)
	s_and_saveexec_b32 s8, s11
	s_cbranch_execnz .LBB12_91
.LBB12_85:
	s_or_b32 exec_lo, exec_lo, s8
	s_and_b32 s11, s2, s4
	s_delay_alu instid0(SALU_CYCLE_1)
	s_and_saveexec_b32 s8, s11
	s_cbranch_execnz .LBB12_95
.LBB12_86:
	s_or_b32 exec_lo, exec_lo, s8
	s_and_b32 s8, s3, s4
	s_delay_alu instid0(SALU_CYCLE_1)
	s_and_saveexec_b32 s4, s8
	s_cbranch_execnz .LBB12_99
	s_branch .LBB12_103
.LBB12_87:
	v_cmp_ne_u32_e32 vcc_lo, 1, v88
	s_cbranch_vccnz .LBB12_89
; %bb.88:
	v_lshlrev_b64 v[76:77], 2, v[80:81]
	s_delay_alu instid0(VALU_DEP_1) | instskip(NEXT) | instid1(VALU_DEP_2)
	v_add_co_u32 v76, vcc_lo, v74, v76
	v_add_co_ci_u32_e32 v77, vcc_lo, v75, v77, vcc_lo
	flat_load_b32 v76, v[76:77]
	s_waitcnt vmcnt(0) lgkmcnt(0)
	v_mul_f32_e32 v76, s15, v76
	s_branch .LBB12_90
.LBB12_89:
	v_mov_b32_e32 v76, 0
.LBB12_90:
	v_dual_add_f32 v77, v17, v69 :: v_dual_add_f32 v78, v16, v68
	v_dual_add_f32 v79, v19, v71 :: v_dual_add_f32 v116, v18, v70
	s_delay_alu instid0(VALU_DEP_2) | instskip(SKIP_1) | instid1(VALU_DEP_3)
	v_min3_f32 v117, v78, v77, v151
	v_lshlrev_b64 v[77:78], 2, v[80:81]
	v_min_f32_e32 v79, v116, v79
	s_delay_alu instid0(VALU_DEP_1) | instskip(NEXT) | instid1(VALU_DEP_3)
	v_min3_f32 v79, v76, v79, v117
	v_add_co_u32 v76, vcc_lo, v72, v77
	s_delay_alu instid0(VALU_DEP_4) | instskip(SKIP_3) | instid1(SALU_CYCLE_1)
	v_add_co_ci_u32_e32 v77, vcc_lo, v73, v78, vcc_lo
	global_store_b32 v[76:77], v79, off
	s_or_b32 exec_lo, exec_lo, s8
	s_and_b32 s11, s1, s4
	s_and_saveexec_b32 s8, s11
	s_cbranch_execz .LBB12_85
.LBB12_91:
	v_cmp_ne_u32_e32 vcc_lo, 1, v88
	s_cbranch_vccnz .LBB12_93
; %bb.92:
	v_lshlrev_b64 v[76:77], 2, v[82:83]
	s_delay_alu instid0(VALU_DEP_1) | instskip(NEXT) | instid1(VALU_DEP_2)
	v_add_co_u32 v76, vcc_lo, v74, v76
	v_add_co_ci_u32_e32 v77, vcc_lo, v75, v77, vcc_lo
	flat_load_b32 v76, v[76:77]
	s_waitcnt vmcnt(0) lgkmcnt(0)
	v_mul_f32_e32 v76, s15, v76
	s_branch .LBB12_94
.LBB12_93:
	v_mov_b32_e32 v76, 0
.LBB12_94:
	v_dual_add_f32 v77, v13, v69 :: v_dual_add_f32 v78, v12, v68
	v_dual_add_f32 v79, v15, v71 :: v_dual_add_f32 v116, v14, v70
	s_delay_alu instid0(VALU_DEP_2) | instskip(SKIP_1) | instid1(VALU_DEP_3)
	v_min3_f32 v117, v78, v77, v150
	v_lshlrev_b64 v[77:78], 2, v[82:83]
	v_min_f32_e32 v79, v116, v79
	s_delay_alu instid0(VALU_DEP_1) | instskip(NEXT) | instid1(VALU_DEP_3)
	v_min3_f32 v79, v76, v79, v117
	v_add_co_u32 v76, vcc_lo, v72, v77
	s_delay_alu instid0(VALU_DEP_4) | instskip(SKIP_3) | instid1(SALU_CYCLE_1)
	v_add_co_ci_u32_e32 v77, vcc_lo, v73, v78, vcc_lo
	global_store_b32 v[76:77], v79, off
	s_or_b32 exec_lo, exec_lo, s8
	s_and_b32 s11, s2, s4
	s_and_saveexec_b32 s8, s11
	s_cbranch_execz .LBB12_86
.LBB12_95:
	v_cmp_ne_u32_e32 vcc_lo, 1, v88
	s_cbranch_vccnz .LBB12_97
; %bb.96:
	v_lshlrev_b64 v[76:77], 2, v[84:85]
	s_delay_alu instid0(VALU_DEP_1) | instskip(NEXT) | instid1(VALU_DEP_2)
	v_add_co_u32 v76, vcc_lo, v74, v76
	v_add_co_ci_u32_e32 v77, vcc_lo, v75, v77, vcc_lo
	flat_load_b32 v76, v[76:77]
	s_waitcnt vmcnt(0) lgkmcnt(0)
	v_mul_f32_e32 v76, s15, v76
	s_branch .LBB12_98
.LBB12_97:
	v_mov_b32_e32 v76, 0
.LBB12_98:
	v_dual_add_f32 v77, v9, v69 :: v_dual_add_f32 v78, v8, v68
	v_dual_add_f32 v79, v11, v71 :: v_dual_add_f32 v116, v10, v70
	s_delay_alu instid0(VALU_DEP_2) | instskip(SKIP_1) | instid1(VALU_DEP_3)
	v_min3_f32 v117, v78, v77, v149
	v_lshlrev_b64 v[77:78], 2, v[84:85]
	v_min_f32_e32 v79, v116, v79
	s_delay_alu instid0(VALU_DEP_1) | instskip(NEXT) | instid1(VALU_DEP_3)
	v_min3_f32 v79, v76, v79, v117
	v_add_co_u32 v76, vcc_lo, v72, v77
	s_delay_alu instid0(VALU_DEP_4) | instskip(SKIP_3) | instid1(SALU_CYCLE_1)
	v_add_co_ci_u32_e32 v77, vcc_lo, v73, v78, vcc_lo
	global_store_b32 v[76:77], v79, off
	s_or_b32 exec_lo, exec_lo, s8
	s_and_b32 s8, s3, s4
	s_and_saveexec_b32 s4, s8
	s_cbranch_execz .LBB12_103
.LBB12_99:
	v_cmp_ne_u32_e32 vcc_lo, 1, v88
	s_cbranch_vccnz .LBB12_101
; %bb.100:
	v_lshlrev_b64 v[76:77], 2, v[86:87]
	s_delay_alu instid0(VALU_DEP_1) | instskip(NEXT) | instid1(VALU_DEP_2)
	v_add_co_u32 v74, vcc_lo, v74, v76
	v_add_co_ci_u32_e32 v75, vcc_lo, v75, v77, vcc_lo
	flat_load_b32 v74, v[74:75]
	s_waitcnt vmcnt(0) lgkmcnt(0)
	v_mul_f32_e32 v74, s15, v74
	s_branch .LBB12_102
.LBB12_101:
	v_mov_b32_e32 v74, 0
.LBB12_102:
	v_dual_add_f32 v69, v1, v69 :: v_dual_add_f32 v68, v0, v68
	v_dual_add_f32 v71, v3, v71 :: v_dual_add_f32 v70, v2, v70
	s_delay_alu instid0(VALU_DEP_2) | instskip(SKIP_1) | instid1(VALU_DEP_3)
	v_min3_f32 v75, v68, v69, v148
	v_lshlrev_b64 v[68:69], 2, v[86:87]
	v_min_f32_e32 v70, v70, v71
	s_delay_alu instid0(VALU_DEP_1) | instskip(NEXT) | instid1(VALU_DEP_3)
	v_min3_f32 v70, v74, v70, v75
	v_add_co_u32 v68, vcc_lo, v72, v68
	s_delay_alu instid0(VALU_DEP_4)
	v_add_co_ci_u32_e32 v69, vcc_lo, v73, v69, vcc_lo
	global_store_b32 v[68:69], v70, off
.LBB12_103:
	s_or_b32 exec_lo, exec_lo, s4
	v_add_nc_u32_e32 v72, 24, v89
	s_delay_alu instid0(VALU_DEP_1) | instskip(SKIP_2) | instid1(VALU_DEP_3)
	v_mad_i64_i32 v[68:69], null, v72, s6, 0
	v_mad_i64_i32 v[70:71], null, v72, s5, 0
	v_cmp_gt_i32_e64 s4, s9, v72
	v_lshlrev_b64 v[68:69], 2, v[68:69]
	s_delay_alu instid0(VALU_DEP_2) | instskip(NEXT) | instid1(VALU_DEP_3)
	s_and_b32 s11, s0, s4
	v_lshlrev_b64 v[72:73], 2, v[70:71]
	s_delay_alu instid0(VALU_DEP_2) | instskip(NEXT) | instid1(VALU_DEP_3)
	v_add_co_u32 v70, vcc_lo, s12, v68
	v_add_co_ci_u32_e32 v71, vcc_lo, s13, v69, vcc_lo
	s_delay_alu instid0(VALU_DEP_3) | instskip(NEXT) | instid1(VALU_DEP_4)
	v_add_co_u32 v68, vcc_lo, s7, v72
	v_add_co_ci_u32_e32 v69, vcc_lo, s10, v73, vcc_lo
	s_and_saveexec_b32 s8, s11
	s_cbranch_execnz .LBB12_107
; %bb.104:
	s_or_b32 exec_lo, exec_lo, s8
	s_and_b32 s11, s1, s4
	s_delay_alu instid0(SALU_CYCLE_1)
	s_and_saveexec_b32 s8, s11
	s_cbranch_execnz .LBB12_111
.LBB12_105:
	s_or_b32 exec_lo, exec_lo, s8
	s_and_b32 s11, s2, s4
	s_delay_alu instid0(SALU_CYCLE_1)
	s_and_saveexec_b32 s8, s11
	s_cbranch_execnz .LBB12_115
.LBB12_106:
	s_or_b32 exec_lo, exec_lo, s8
	s_and_b32 s8, s3, s4
	s_delay_alu instid0(SALU_CYCLE_1)
	s_and_saveexec_b32 s4, s8
	s_cbranch_execnz .LBB12_119
	s_branch .LBB12_123
.LBB12_107:
	v_cmp_ne_u32_e32 vcc_lo, 1, v88
	s_cbranch_vccnz .LBB12_109
; %bb.108:
	v_lshlrev_b64 v[72:73], 2, v[80:81]
	s_delay_alu instid0(VALU_DEP_1) | instskip(NEXT) | instid1(VALU_DEP_2)
	v_add_co_u32 v72, vcc_lo, v70, v72
	v_add_co_ci_u32_e32 v73, vcc_lo, v71, v73, vcc_lo
	flat_load_b32 v72, v[72:73]
	s_waitcnt vmcnt(0) lgkmcnt(0)
	v_mul_f32_e32 v72, s15, v72
	s_branch .LBB12_110
.LBB12_109:
	v_mov_b32_e32 v72, 0
.LBB12_110:
	v_dual_add_f32 v73, v17, v65 :: v_dual_add_f32 v74, v16, v64
	v_dual_add_f32 v75, v19, v67 :: v_dual_add_f32 v76, v18, v66
	s_delay_alu instid0(VALU_DEP_2) | instskip(SKIP_1) | instid1(VALU_DEP_3)
	v_min3_f32 v77, v74, v73, v147
	v_lshlrev_b64 v[73:74], 2, v[80:81]
	v_min_f32_e32 v75, v76, v75
	s_delay_alu instid0(VALU_DEP_1) | instskip(NEXT) | instid1(VALU_DEP_3)
	v_min3_f32 v75, v72, v75, v77
	v_add_co_u32 v72, vcc_lo, v68, v73
	s_delay_alu instid0(VALU_DEP_4) | instskip(SKIP_3) | instid1(SALU_CYCLE_1)
	v_add_co_ci_u32_e32 v73, vcc_lo, v69, v74, vcc_lo
	global_store_b32 v[72:73], v75, off
	s_or_b32 exec_lo, exec_lo, s8
	s_and_b32 s11, s1, s4
	s_and_saveexec_b32 s8, s11
	s_cbranch_execz .LBB12_105
.LBB12_111:
	v_cmp_ne_u32_e32 vcc_lo, 1, v88
	s_cbranch_vccnz .LBB12_113
; %bb.112:
	v_lshlrev_b64 v[72:73], 2, v[82:83]
	s_delay_alu instid0(VALU_DEP_1) | instskip(NEXT) | instid1(VALU_DEP_2)
	v_add_co_u32 v72, vcc_lo, v70, v72
	v_add_co_ci_u32_e32 v73, vcc_lo, v71, v73, vcc_lo
	flat_load_b32 v72, v[72:73]
	s_waitcnt vmcnt(0) lgkmcnt(0)
	v_mul_f32_e32 v72, s15, v72
	s_branch .LBB12_114
.LBB12_113:
	v_mov_b32_e32 v72, 0
.LBB12_114:
	v_dual_add_f32 v73, v13, v65 :: v_dual_add_f32 v74, v12, v64
	v_dual_add_f32 v75, v15, v67 :: v_dual_add_f32 v76, v14, v66
	s_delay_alu instid0(VALU_DEP_2) | instskip(SKIP_1) | instid1(VALU_DEP_3)
	v_min3_f32 v77, v74, v73, v146
	v_lshlrev_b64 v[73:74], 2, v[82:83]
	v_min_f32_e32 v75, v76, v75
	s_delay_alu instid0(VALU_DEP_1) | instskip(NEXT) | instid1(VALU_DEP_3)
	v_min3_f32 v75, v72, v75, v77
	v_add_co_u32 v72, vcc_lo, v68, v73
	s_delay_alu instid0(VALU_DEP_4) | instskip(SKIP_3) | instid1(SALU_CYCLE_1)
	v_add_co_ci_u32_e32 v73, vcc_lo, v69, v74, vcc_lo
	global_store_b32 v[72:73], v75, off
	s_or_b32 exec_lo, exec_lo, s8
	s_and_b32 s11, s2, s4
	s_and_saveexec_b32 s8, s11
	s_cbranch_execz .LBB12_106
.LBB12_115:
	v_cmp_ne_u32_e32 vcc_lo, 1, v88
	s_cbranch_vccnz .LBB12_117
; %bb.116:
	v_lshlrev_b64 v[72:73], 2, v[84:85]
	s_delay_alu instid0(VALU_DEP_1) | instskip(NEXT) | instid1(VALU_DEP_2)
	v_add_co_u32 v72, vcc_lo, v70, v72
	v_add_co_ci_u32_e32 v73, vcc_lo, v71, v73, vcc_lo
	flat_load_b32 v72, v[72:73]
	s_waitcnt vmcnt(0) lgkmcnt(0)
	v_mul_f32_e32 v72, s15, v72
	s_branch .LBB12_118
.LBB12_117:
	v_mov_b32_e32 v72, 0
.LBB12_118:
	v_dual_add_f32 v73, v9, v65 :: v_dual_add_f32 v74, v8, v64
	v_dual_add_f32 v75, v11, v67 :: v_dual_add_f32 v76, v10, v66
	s_delay_alu instid0(VALU_DEP_2) | instskip(SKIP_1) | instid1(VALU_DEP_3)
	v_min3_f32 v77, v74, v73, v145
	v_lshlrev_b64 v[73:74], 2, v[84:85]
	v_min_f32_e32 v75, v76, v75
	s_delay_alu instid0(VALU_DEP_1) | instskip(NEXT) | instid1(VALU_DEP_3)
	v_min3_f32 v75, v72, v75, v77
	v_add_co_u32 v72, vcc_lo, v68, v73
	s_delay_alu instid0(VALU_DEP_4) | instskip(SKIP_3) | instid1(SALU_CYCLE_1)
	v_add_co_ci_u32_e32 v73, vcc_lo, v69, v74, vcc_lo
	global_store_b32 v[72:73], v75, off
	s_or_b32 exec_lo, exec_lo, s8
	s_and_b32 s8, s3, s4
	s_and_saveexec_b32 s4, s8
	s_cbranch_execz .LBB12_123
.LBB12_119:
	v_cmp_ne_u32_e32 vcc_lo, 1, v88
	s_cbranch_vccnz .LBB12_121
; %bb.120:
	v_lshlrev_b64 v[72:73], 2, v[86:87]
	s_delay_alu instid0(VALU_DEP_1) | instskip(NEXT) | instid1(VALU_DEP_2)
	v_add_co_u32 v70, vcc_lo, v70, v72
	v_add_co_ci_u32_e32 v71, vcc_lo, v71, v73, vcc_lo
	flat_load_b32 v70, v[70:71]
	s_waitcnt vmcnt(0) lgkmcnt(0)
	v_mul_f32_e32 v70, s15, v70
	s_branch .LBB12_122
.LBB12_121:
	v_mov_b32_e32 v70, 0
.LBB12_122:
	v_dual_add_f32 v65, v1, v65 :: v_dual_add_f32 v64, v0, v64
	v_dual_add_f32 v67, v3, v67 :: v_dual_add_f32 v66, v2, v66
	s_delay_alu instid0(VALU_DEP_2) | instskip(SKIP_1) | instid1(VALU_DEP_3)
	v_min3_f32 v71, v64, v65, v144
	v_lshlrev_b64 v[64:65], 2, v[86:87]
	v_min_f32_e32 v66, v66, v67
	s_delay_alu instid0(VALU_DEP_1) | instskip(NEXT) | instid1(VALU_DEP_3)
	v_min3_f32 v66, v70, v66, v71
	v_add_co_u32 v64, vcc_lo, v68, v64
	s_delay_alu instid0(VALU_DEP_4)
	v_add_co_ci_u32_e32 v65, vcc_lo, v69, v65, vcc_lo
	global_store_b32 v[64:65], v66, off
.LBB12_123:
	s_or_b32 exec_lo, exec_lo, s4
	v_add_nc_u32_e32 v68, 32, v89
	s_delay_alu instid0(VALU_DEP_1) | instskip(SKIP_2) | instid1(VALU_DEP_3)
	v_mad_i64_i32 v[64:65], null, v68, s6, 0
	v_mad_i64_i32 v[66:67], null, v68, s5, 0
	v_cmp_gt_i32_e64 s4, s9, v68
	v_lshlrev_b64 v[64:65], 2, v[64:65]
	s_delay_alu instid0(VALU_DEP_2) | instskip(NEXT) | instid1(VALU_DEP_3)
	s_and_b32 s11, s0, s4
	v_lshlrev_b64 v[68:69], 2, v[66:67]
	s_delay_alu instid0(VALU_DEP_2) | instskip(NEXT) | instid1(VALU_DEP_3)
	v_add_co_u32 v66, vcc_lo, s12, v64
	v_add_co_ci_u32_e32 v67, vcc_lo, s13, v65, vcc_lo
	s_delay_alu instid0(VALU_DEP_3) | instskip(NEXT) | instid1(VALU_DEP_4)
	v_add_co_u32 v64, vcc_lo, s7, v68
	v_add_co_ci_u32_e32 v65, vcc_lo, s10, v69, vcc_lo
	s_and_saveexec_b32 s8, s11
	s_cbranch_execnz .LBB12_127
; %bb.124:
	s_or_b32 exec_lo, exec_lo, s8
	s_and_b32 s11, s1, s4
	s_delay_alu instid0(SALU_CYCLE_1)
	s_and_saveexec_b32 s8, s11
	s_cbranch_execnz .LBB12_131
.LBB12_125:
	s_or_b32 exec_lo, exec_lo, s8
	s_and_b32 s11, s2, s4
	s_delay_alu instid0(SALU_CYCLE_1)
	s_and_saveexec_b32 s8, s11
	s_cbranch_execnz .LBB12_135
.LBB12_126:
	s_or_b32 exec_lo, exec_lo, s8
	s_and_b32 s8, s3, s4
	s_delay_alu instid0(SALU_CYCLE_1)
	s_and_saveexec_b32 s4, s8
	s_cbranch_execnz .LBB12_139
	s_branch .LBB12_143
.LBB12_127:
	v_cmp_ne_u32_e32 vcc_lo, 1, v88
	s_cbranch_vccnz .LBB12_129
; %bb.128:
	v_lshlrev_b64 v[68:69], 2, v[80:81]
	s_delay_alu instid0(VALU_DEP_1) | instskip(NEXT) | instid1(VALU_DEP_2)
	v_add_co_u32 v68, vcc_lo, v66, v68
	v_add_co_ci_u32_e32 v69, vcc_lo, v67, v69, vcc_lo
	flat_load_b32 v68, v[68:69]
	s_waitcnt vmcnt(0) lgkmcnt(0)
	v_mul_f32_e32 v68, s15, v68
	s_branch .LBB12_130
.LBB12_129:
	v_mov_b32_e32 v68, 0
.LBB12_130:
	v_dual_add_f32 v69, v17, v61 :: v_dual_add_f32 v70, v16, v60
	v_dual_add_f32 v71, v19, v63 :: v_dual_add_f32 v72, v18, v62
	s_delay_alu instid0(VALU_DEP_2) | instskip(SKIP_1) | instid1(VALU_DEP_3)
	v_min3_f32 v73, v70, v69, v143
	v_lshlrev_b64 v[69:70], 2, v[80:81]
	v_min_f32_e32 v71, v72, v71
	s_delay_alu instid0(VALU_DEP_1) | instskip(NEXT) | instid1(VALU_DEP_3)
	v_min3_f32 v71, v68, v71, v73
	v_add_co_u32 v68, vcc_lo, v64, v69
	s_delay_alu instid0(VALU_DEP_4) | instskip(SKIP_3) | instid1(SALU_CYCLE_1)
	v_add_co_ci_u32_e32 v69, vcc_lo, v65, v70, vcc_lo
	global_store_b32 v[68:69], v71, off
	s_or_b32 exec_lo, exec_lo, s8
	s_and_b32 s11, s1, s4
	s_and_saveexec_b32 s8, s11
	s_cbranch_execz .LBB12_125
.LBB12_131:
	v_cmp_ne_u32_e32 vcc_lo, 1, v88
	s_cbranch_vccnz .LBB12_133
; %bb.132:
	v_lshlrev_b64 v[68:69], 2, v[82:83]
	s_delay_alu instid0(VALU_DEP_1) | instskip(NEXT) | instid1(VALU_DEP_2)
	v_add_co_u32 v68, vcc_lo, v66, v68
	v_add_co_ci_u32_e32 v69, vcc_lo, v67, v69, vcc_lo
	flat_load_b32 v68, v[68:69]
	s_waitcnt vmcnt(0) lgkmcnt(0)
	v_mul_f32_e32 v68, s15, v68
	s_branch .LBB12_134
.LBB12_133:
	v_mov_b32_e32 v68, 0
.LBB12_134:
	v_dual_add_f32 v69, v13, v61 :: v_dual_add_f32 v70, v12, v60
	v_dual_add_f32 v71, v15, v63 :: v_dual_add_f32 v72, v14, v62
	s_delay_alu instid0(VALU_DEP_2) | instskip(SKIP_1) | instid1(VALU_DEP_3)
	v_min3_f32 v73, v70, v69, v142
	v_lshlrev_b64 v[69:70], 2, v[82:83]
	v_min_f32_e32 v71, v72, v71
	s_delay_alu instid0(VALU_DEP_1) | instskip(NEXT) | instid1(VALU_DEP_3)
	v_min3_f32 v71, v68, v71, v73
	v_add_co_u32 v68, vcc_lo, v64, v69
	s_delay_alu instid0(VALU_DEP_4) | instskip(SKIP_3) | instid1(SALU_CYCLE_1)
	v_add_co_ci_u32_e32 v69, vcc_lo, v65, v70, vcc_lo
	global_store_b32 v[68:69], v71, off
	s_or_b32 exec_lo, exec_lo, s8
	s_and_b32 s11, s2, s4
	s_and_saveexec_b32 s8, s11
	s_cbranch_execz .LBB12_126
.LBB12_135:
	v_cmp_ne_u32_e32 vcc_lo, 1, v88
	s_cbranch_vccnz .LBB12_137
; %bb.136:
	v_lshlrev_b64 v[68:69], 2, v[84:85]
	s_delay_alu instid0(VALU_DEP_1) | instskip(NEXT) | instid1(VALU_DEP_2)
	v_add_co_u32 v68, vcc_lo, v66, v68
	v_add_co_ci_u32_e32 v69, vcc_lo, v67, v69, vcc_lo
	flat_load_b32 v68, v[68:69]
	s_waitcnt vmcnt(0) lgkmcnt(0)
	v_mul_f32_e32 v68, s15, v68
	s_branch .LBB12_138
.LBB12_137:
	v_mov_b32_e32 v68, 0
.LBB12_138:
	v_dual_add_f32 v69, v9, v61 :: v_dual_add_f32 v70, v8, v60
	v_dual_add_f32 v71, v11, v63 :: v_dual_add_f32 v72, v10, v62
	s_delay_alu instid0(VALU_DEP_2) | instskip(SKIP_1) | instid1(VALU_DEP_3)
	v_min3_f32 v73, v70, v69, v141
	v_lshlrev_b64 v[69:70], 2, v[84:85]
	v_min_f32_e32 v71, v72, v71
	s_delay_alu instid0(VALU_DEP_1) | instskip(NEXT) | instid1(VALU_DEP_3)
	v_min3_f32 v71, v68, v71, v73
	v_add_co_u32 v68, vcc_lo, v64, v69
	s_delay_alu instid0(VALU_DEP_4) | instskip(SKIP_3) | instid1(SALU_CYCLE_1)
	v_add_co_ci_u32_e32 v69, vcc_lo, v65, v70, vcc_lo
	global_store_b32 v[68:69], v71, off
	s_or_b32 exec_lo, exec_lo, s8
	s_and_b32 s8, s3, s4
	s_and_saveexec_b32 s4, s8
	s_cbranch_execz .LBB12_143
.LBB12_139:
	v_cmp_ne_u32_e32 vcc_lo, 1, v88
	s_cbranch_vccnz .LBB12_141
; %bb.140:
	v_lshlrev_b64 v[68:69], 2, v[86:87]
	s_delay_alu instid0(VALU_DEP_1) | instskip(NEXT) | instid1(VALU_DEP_2)
	v_add_co_u32 v66, vcc_lo, v66, v68
	v_add_co_ci_u32_e32 v67, vcc_lo, v67, v69, vcc_lo
	flat_load_b32 v66, v[66:67]
	s_waitcnt vmcnt(0) lgkmcnt(0)
	v_mul_f32_e32 v66, s15, v66
	s_branch .LBB12_142
.LBB12_141:
	v_mov_b32_e32 v66, 0
.LBB12_142:
	v_dual_add_f32 v61, v1, v61 :: v_dual_add_f32 v60, v0, v60
	v_dual_add_f32 v63, v3, v63 :: v_dual_add_f32 v62, v2, v62
	s_delay_alu instid0(VALU_DEP_2) | instskip(SKIP_1) | instid1(VALU_DEP_3)
	v_min3_f32 v67, v60, v61, v140
	v_lshlrev_b64 v[60:61], 2, v[86:87]
	v_min_f32_e32 v62, v62, v63
	s_delay_alu instid0(VALU_DEP_1) | instskip(NEXT) | instid1(VALU_DEP_3)
	v_min3_f32 v62, v66, v62, v67
	v_add_co_u32 v60, vcc_lo, v64, v60
	s_delay_alu instid0(VALU_DEP_4)
	v_add_co_ci_u32_e32 v61, vcc_lo, v65, v61, vcc_lo
	global_store_b32 v[60:61], v62, off
.LBB12_143:
	s_or_b32 exec_lo, exec_lo, s4
	v_add_nc_u32_e32 v64, 40, v89
	s_delay_alu instid0(VALU_DEP_1) | instskip(SKIP_2) | instid1(VALU_DEP_3)
	v_mad_i64_i32 v[60:61], null, v64, s6, 0
	v_mad_i64_i32 v[62:63], null, v64, s5, 0
	v_cmp_gt_i32_e64 s4, s9, v64
	v_lshlrev_b64 v[60:61], 2, v[60:61]
	s_delay_alu instid0(VALU_DEP_2) | instskip(NEXT) | instid1(VALU_DEP_3)
	s_and_b32 s11, s0, s4
	v_lshlrev_b64 v[64:65], 2, v[62:63]
	s_delay_alu instid0(VALU_DEP_2) | instskip(NEXT) | instid1(VALU_DEP_3)
	v_add_co_u32 v62, vcc_lo, s12, v60
	v_add_co_ci_u32_e32 v63, vcc_lo, s13, v61, vcc_lo
	s_delay_alu instid0(VALU_DEP_3) | instskip(NEXT) | instid1(VALU_DEP_4)
	v_add_co_u32 v60, vcc_lo, s7, v64
	v_add_co_ci_u32_e32 v61, vcc_lo, s10, v65, vcc_lo
	s_and_saveexec_b32 s8, s11
	s_cbranch_execnz .LBB12_147
; %bb.144:
	s_or_b32 exec_lo, exec_lo, s8
	s_and_b32 s11, s1, s4
	s_delay_alu instid0(SALU_CYCLE_1)
	s_and_saveexec_b32 s8, s11
	s_cbranch_execnz .LBB12_151
.LBB12_145:
	s_or_b32 exec_lo, exec_lo, s8
	s_and_b32 s11, s2, s4
	s_delay_alu instid0(SALU_CYCLE_1)
	s_and_saveexec_b32 s8, s11
	s_cbranch_execnz .LBB12_155
.LBB12_146:
	s_or_b32 exec_lo, exec_lo, s8
	s_and_b32 s8, s3, s4
	s_delay_alu instid0(SALU_CYCLE_1)
	s_and_saveexec_b32 s4, s8
	s_cbranch_execnz .LBB12_159
	s_branch .LBB12_163
.LBB12_147:
	v_cmp_ne_u32_e32 vcc_lo, 1, v88
	s_cbranch_vccnz .LBB12_149
; %bb.148:
	v_lshlrev_b64 v[64:65], 2, v[80:81]
	s_delay_alu instid0(VALU_DEP_1) | instskip(NEXT) | instid1(VALU_DEP_2)
	v_add_co_u32 v64, vcc_lo, v62, v64
	v_add_co_ci_u32_e32 v65, vcc_lo, v63, v65, vcc_lo
	flat_load_b32 v64, v[64:65]
	s_waitcnt vmcnt(0) lgkmcnt(0)
	v_mul_f32_e32 v64, s15, v64
	s_branch .LBB12_150
.LBB12_149:
	v_mov_b32_e32 v64, 0
.LBB12_150:
	v_dual_add_f32 v65, v17, v57 :: v_dual_add_f32 v66, v16, v56
	v_dual_add_f32 v67, v19, v59 :: v_dual_add_f32 v68, v18, v58
	s_delay_alu instid0(VALU_DEP_2) | instskip(SKIP_1) | instid1(VALU_DEP_3)
	v_min3_f32 v69, v66, v65, v139
	v_lshlrev_b64 v[65:66], 2, v[80:81]
	v_min_f32_e32 v67, v68, v67
	s_delay_alu instid0(VALU_DEP_1) | instskip(NEXT) | instid1(VALU_DEP_3)
	v_min3_f32 v67, v64, v67, v69
	v_add_co_u32 v64, vcc_lo, v60, v65
	s_delay_alu instid0(VALU_DEP_4) | instskip(SKIP_3) | instid1(SALU_CYCLE_1)
	v_add_co_ci_u32_e32 v65, vcc_lo, v61, v66, vcc_lo
	global_store_b32 v[64:65], v67, off
	s_or_b32 exec_lo, exec_lo, s8
	s_and_b32 s11, s1, s4
	s_and_saveexec_b32 s8, s11
	s_cbranch_execz .LBB12_145
.LBB12_151:
	v_cmp_ne_u32_e32 vcc_lo, 1, v88
	s_cbranch_vccnz .LBB12_153
; %bb.152:
	v_lshlrev_b64 v[64:65], 2, v[82:83]
	s_delay_alu instid0(VALU_DEP_1) | instskip(NEXT) | instid1(VALU_DEP_2)
	v_add_co_u32 v64, vcc_lo, v62, v64
	v_add_co_ci_u32_e32 v65, vcc_lo, v63, v65, vcc_lo
	flat_load_b32 v64, v[64:65]
	s_waitcnt vmcnt(0) lgkmcnt(0)
	v_mul_f32_e32 v64, s15, v64
	s_branch .LBB12_154
.LBB12_153:
	v_mov_b32_e32 v64, 0
.LBB12_154:
	v_dual_add_f32 v65, v13, v57 :: v_dual_add_f32 v66, v12, v56
	v_dual_add_f32 v67, v15, v59 :: v_dual_add_f32 v68, v14, v58
	s_delay_alu instid0(VALU_DEP_2) | instskip(SKIP_1) | instid1(VALU_DEP_3)
	v_min3_f32 v69, v66, v65, v138
	v_lshlrev_b64 v[65:66], 2, v[82:83]
	v_min_f32_e32 v67, v68, v67
	s_delay_alu instid0(VALU_DEP_1) | instskip(NEXT) | instid1(VALU_DEP_3)
	v_min3_f32 v67, v64, v67, v69
	v_add_co_u32 v64, vcc_lo, v60, v65
	s_delay_alu instid0(VALU_DEP_4) | instskip(SKIP_3) | instid1(SALU_CYCLE_1)
	v_add_co_ci_u32_e32 v65, vcc_lo, v61, v66, vcc_lo
	global_store_b32 v[64:65], v67, off
	s_or_b32 exec_lo, exec_lo, s8
	s_and_b32 s11, s2, s4
	s_and_saveexec_b32 s8, s11
	s_cbranch_execz .LBB12_146
.LBB12_155:
	v_cmp_ne_u32_e32 vcc_lo, 1, v88
	s_cbranch_vccnz .LBB12_157
; %bb.156:
	v_lshlrev_b64 v[64:65], 2, v[84:85]
	s_delay_alu instid0(VALU_DEP_1) | instskip(NEXT) | instid1(VALU_DEP_2)
	v_add_co_u32 v64, vcc_lo, v62, v64
	v_add_co_ci_u32_e32 v65, vcc_lo, v63, v65, vcc_lo
	flat_load_b32 v64, v[64:65]
	s_waitcnt vmcnt(0) lgkmcnt(0)
	v_mul_f32_e32 v64, s15, v64
	s_branch .LBB12_158
.LBB12_157:
	v_mov_b32_e32 v64, 0
.LBB12_158:
	v_dual_add_f32 v65, v9, v57 :: v_dual_add_f32 v66, v8, v56
	v_dual_add_f32 v67, v11, v59 :: v_dual_add_f32 v68, v10, v58
	s_delay_alu instid0(VALU_DEP_2) | instskip(SKIP_1) | instid1(VALU_DEP_3)
	v_min3_f32 v69, v66, v65, v137
	v_lshlrev_b64 v[65:66], 2, v[84:85]
	v_min_f32_e32 v67, v68, v67
	s_delay_alu instid0(VALU_DEP_1) | instskip(NEXT) | instid1(VALU_DEP_3)
	v_min3_f32 v67, v64, v67, v69
	v_add_co_u32 v64, vcc_lo, v60, v65
	s_delay_alu instid0(VALU_DEP_4) | instskip(SKIP_3) | instid1(SALU_CYCLE_1)
	v_add_co_ci_u32_e32 v65, vcc_lo, v61, v66, vcc_lo
	global_store_b32 v[64:65], v67, off
	s_or_b32 exec_lo, exec_lo, s8
	s_and_b32 s8, s3, s4
	s_and_saveexec_b32 s4, s8
	s_cbranch_execz .LBB12_163
.LBB12_159:
	v_cmp_ne_u32_e32 vcc_lo, 1, v88
	s_cbranch_vccnz .LBB12_161
; %bb.160:
	v_lshlrev_b64 v[64:65], 2, v[86:87]
	s_delay_alu instid0(VALU_DEP_1) | instskip(NEXT) | instid1(VALU_DEP_2)
	v_add_co_u32 v62, vcc_lo, v62, v64
	v_add_co_ci_u32_e32 v63, vcc_lo, v63, v65, vcc_lo
	flat_load_b32 v62, v[62:63]
	s_waitcnt vmcnt(0) lgkmcnt(0)
	v_mul_f32_e32 v62, s15, v62
	s_branch .LBB12_162
.LBB12_161:
	v_mov_b32_e32 v62, 0
.LBB12_162:
	v_dual_add_f32 v57, v1, v57 :: v_dual_add_f32 v56, v0, v56
	v_dual_add_f32 v59, v3, v59 :: v_dual_add_f32 v58, v2, v58
	s_delay_alu instid0(VALU_DEP_2) | instskip(SKIP_1) | instid1(VALU_DEP_3)
	v_min3_f32 v63, v56, v57, v136
	v_lshlrev_b64 v[56:57], 2, v[86:87]
	v_min_f32_e32 v58, v58, v59
	s_delay_alu instid0(VALU_DEP_1) | instskip(NEXT) | instid1(VALU_DEP_3)
	v_min3_f32 v58, v62, v58, v63
	v_add_co_u32 v56, vcc_lo, v60, v56
	s_delay_alu instid0(VALU_DEP_4)
	v_add_co_ci_u32_e32 v57, vcc_lo, v61, v57, vcc_lo
	global_store_b32 v[56:57], v58, off
.LBB12_163:
	s_or_b32 exec_lo, exec_lo, s4
	v_add_nc_u32_e32 v60, 48, v89
	s_delay_alu instid0(VALU_DEP_1) | instskip(SKIP_2) | instid1(VALU_DEP_3)
	v_mad_i64_i32 v[56:57], null, v60, s6, 0
	v_mad_i64_i32 v[58:59], null, v60, s5, 0
	v_cmp_gt_i32_e64 s4, s9, v60
	v_lshlrev_b64 v[56:57], 2, v[56:57]
	s_delay_alu instid0(VALU_DEP_2) | instskip(NEXT) | instid1(VALU_DEP_3)
	s_and_b32 s11, s0, s4
	v_lshlrev_b64 v[60:61], 2, v[58:59]
	s_delay_alu instid0(VALU_DEP_2) | instskip(NEXT) | instid1(VALU_DEP_3)
	v_add_co_u32 v58, vcc_lo, s12, v56
	v_add_co_ci_u32_e32 v59, vcc_lo, s13, v57, vcc_lo
	s_delay_alu instid0(VALU_DEP_3) | instskip(NEXT) | instid1(VALU_DEP_4)
	v_add_co_u32 v56, vcc_lo, s7, v60
	v_add_co_ci_u32_e32 v57, vcc_lo, s10, v61, vcc_lo
	s_and_saveexec_b32 s8, s11
	s_cbranch_execnz .LBB12_167
; %bb.164:
	s_or_b32 exec_lo, exec_lo, s8
	s_and_b32 s11, s1, s4
	s_delay_alu instid0(SALU_CYCLE_1)
	s_and_saveexec_b32 s8, s11
	s_cbranch_execnz .LBB12_171
.LBB12_165:
	s_or_b32 exec_lo, exec_lo, s8
	s_and_b32 s11, s2, s4
	s_delay_alu instid0(SALU_CYCLE_1)
	s_and_saveexec_b32 s8, s11
	s_cbranch_execnz .LBB12_175
.LBB12_166:
	s_or_b32 exec_lo, exec_lo, s8
	s_and_b32 s8, s3, s4
	s_delay_alu instid0(SALU_CYCLE_1)
	s_and_saveexec_b32 s4, s8
	s_cbranch_execnz .LBB12_179
	s_branch .LBB12_183
.LBB12_167:
	v_cmp_ne_u32_e32 vcc_lo, 1, v88
	s_cbranch_vccnz .LBB12_169
; %bb.168:
	v_lshlrev_b64 v[60:61], 2, v[80:81]
	s_delay_alu instid0(VALU_DEP_1) | instskip(NEXT) | instid1(VALU_DEP_2)
	v_add_co_u32 v60, vcc_lo, v58, v60
	v_add_co_ci_u32_e32 v61, vcc_lo, v59, v61, vcc_lo
	flat_load_b32 v60, v[60:61]
	s_waitcnt vmcnt(0) lgkmcnt(0)
	v_mul_f32_e32 v60, s15, v60
	s_branch .LBB12_170
.LBB12_169:
	v_mov_b32_e32 v60, 0
.LBB12_170:
	v_dual_add_f32 v61, v17, v53 :: v_dual_add_f32 v62, v16, v52
	v_dual_add_f32 v63, v19, v55 :: v_dual_add_f32 v64, v18, v54
	s_delay_alu instid0(VALU_DEP_2) | instskip(SKIP_1) | instid1(VALU_DEP_3)
	v_min3_f32 v65, v62, v61, v135
	v_lshlrev_b64 v[61:62], 2, v[80:81]
	v_min_f32_e32 v63, v64, v63
	s_delay_alu instid0(VALU_DEP_1) | instskip(NEXT) | instid1(VALU_DEP_3)
	v_min3_f32 v63, v60, v63, v65
	v_add_co_u32 v60, vcc_lo, v56, v61
	s_delay_alu instid0(VALU_DEP_4) | instskip(SKIP_3) | instid1(SALU_CYCLE_1)
	v_add_co_ci_u32_e32 v61, vcc_lo, v57, v62, vcc_lo
	global_store_b32 v[60:61], v63, off
	s_or_b32 exec_lo, exec_lo, s8
	s_and_b32 s11, s1, s4
	s_and_saveexec_b32 s8, s11
	s_cbranch_execz .LBB12_165
.LBB12_171:
	v_cmp_ne_u32_e32 vcc_lo, 1, v88
	s_cbranch_vccnz .LBB12_173
; %bb.172:
	v_lshlrev_b64 v[60:61], 2, v[82:83]
	s_delay_alu instid0(VALU_DEP_1) | instskip(NEXT) | instid1(VALU_DEP_2)
	v_add_co_u32 v60, vcc_lo, v58, v60
	v_add_co_ci_u32_e32 v61, vcc_lo, v59, v61, vcc_lo
	flat_load_b32 v60, v[60:61]
	s_waitcnt vmcnt(0) lgkmcnt(0)
	v_mul_f32_e32 v60, s15, v60
	s_branch .LBB12_174
.LBB12_173:
	v_mov_b32_e32 v60, 0
.LBB12_174:
	v_dual_add_f32 v61, v13, v53 :: v_dual_add_f32 v62, v12, v52
	v_dual_add_f32 v63, v15, v55 :: v_dual_add_f32 v64, v14, v54
	s_delay_alu instid0(VALU_DEP_2) | instskip(SKIP_1) | instid1(VALU_DEP_3)
	v_min3_f32 v65, v62, v61, v134
	v_lshlrev_b64 v[61:62], 2, v[82:83]
	v_min_f32_e32 v63, v64, v63
	s_delay_alu instid0(VALU_DEP_1) | instskip(NEXT) | instid1(VALU_DEP_3)
	v_min3_f32 v63, v60, v63, v65
	v_add_co_u32 v60, vcc_lo, v56, v61
	s_delay_alu instid0(VALU_DEP_4) | instskip(SKIP_3) | instid1(SALU_CYCLE_1)
	v_add_co_ci_u32_e32 v61, vcc_lo, v57, v62, vcc_lo
	global_store_b32 v[60:61], v63, off
	s_or_b32 exec_lo, exec_lo, s8
	s_and_b32 s11, s2, s4
	s_and_saveexec_b32 s8, s11
	s_cbranch_execz .LBB12_166
.LBB12_175:
	v_cmp_ne_u32_e32 vcc_lo, 1, v88
	s_cbranch_vccnz .LBB12_177
; %bb.176:
	v_lshlrev_b64 v[60:61], 2, v[84:85]
	s_delay_alu instid0(VALU_DEP_1) | instskip(NEXT) | instid1(VALU_DEP_2)
	v_add_co_u32 v60, vcc_lo, v58, v60
	v_add_co_ci_u32_e32 v61, vcc_lo, v59, v61, vcc_lo
	flat_load_b32 v60, v[60:61]
	s_waitcnt vmcnt(0) lgkmcnt(0)
	v_mul_f32_e32 v60, s15, v60
	s_branch .LBB12_178
.LBB12_177:
	v_mov_b32_e32 v60, 0
.LBB12_178:
	v_dual_add_f32 v61, v9, v53 :: v_dual_add_f32 v62, v8, v52
	v_dual_add_f32 v63, v11, v55 :: v_dual_add_f32 v64, v10, v54
	s_delay_alu instid0(VALU_DEP_2) | instskip(SKIP_1) | instid1(VALU_DEP_3)
	v_min3_f32 v65, v62, v61, v133
	v_lshlrev_b64 v[61:62], 2, v[84:85]
	v_min_f32_e32 v63, v64, v63
	s_delay_alu instid0(VALU_DEP_1) | instskip(NEXT) | instid1(VALU_DEP_3)
	v_min3_f32 v63, v60, v63, v65
	v_add_co_u32 v60, vcc_lo, v56, v61
	s_delay_alu instid0(VALU_DEP_4) | instskip(SKIP_3) | instid1(SALU_CYCLE_1)
	v_add_co_ci_u32_e32 v61, vcc_lo, v57, v62, vcc_lo
	global_store_b32 v[60:61], v63, off
	s_or_b32 exec_lo, exec_lo, s8
	s_and_b32 s8, s3, s4
	s_and_saveexec_b32 s4, s8
	s_cbranch_execz .LBB12_183
.LBB12_179:
	v_cmp_ne_u32_e32 vcc_lo, 1, v88
	s_cbranch_vccnz .LBB12_181
; %bb.180:
	v_lshlrev_b64 v[60:61], 2, v[86:87]
	s_delay_alu instid0(VALU_DEP_1) | instskip(NEXT) | instid1(VALU_DEP_2)
	v_add_co_u32 v58, vcc_lo, v58, v60
	v_add_co_ci_u32_e32 v59, vcc_lo, v59, v61, vcc_lo
	flat_load_b32 v58, v[58:59]
	s_waitcnt vmcnt(0) lgkmcnt(0)
	v_mul_f32_e32 v58, s15, v58
	s_branch .LBB12_182
.LBB12_181:
	v_mov_b32_e32 v58, 0
.LBB12_182:
	v_dual_add_f32 v53, v1, v53 :: v_dual_add_f32 v52, v0, v52
	v_dual_add_f32 v55, v3, v55 :: v_dual_add_f32 v54, v2, v54
	s_delay_alu instid0(VALU_DEP_2) | instskip(SKIP_1) | instid1(VALU_DEP_3)
	v_min3_f32 v59, v52, v53, v131
	v_lshlrev_b64 v[52:53], 2, v[86:87]
	v_min_f32_e32 v54, v54, v55
	s_delay_alu instid0(VALU_DEP_1) | instskip(NEXT) | instid1(VALU_DEP_3)
	v_min3_f32 v54, v58, v54, v59
	v_add_co_u32 v52, vcc_lo, v56, v52
	s_delay_alu instid0(VALU_DEP_4)
	v_add_co_ci_u32_e32 v53, vcc_lo, v57, v53, vcc_lo
	global_store_b32 v[52:53], v54, off
.LBB12_183:
	s_or_b32 exec_lo, exec_lo, s4
	v_add_nc_u32_e32 v56, 56, v89
	s_delay_alu instid0(VALU_DEP_1) | instskip(SKIP_2) | instid1(VALU_DEP_3)
	v_mad_i64_i32 v[52:53], null, v56, s6, 0
	v_mad_i64_i32 v[54:55], null, v56, s5, 0
	v_cmp_gt_i32_e64 s4, s9, v56
	v_lshlrev_b64 v[52:53], 2, v[52:53]
	s_delay_alu instid0(VALU_DEP_2) | instskip(NEXT) | instid1(VALU_DEP_3)
	s_and_b32 s11, s0, s4
	v_lshlrev_b64 v[56:57], 2, v[54:55]
	s_delay_alu instid0(VALU_DEP_2) | instskip(NEXT) | instid1(VALU_DEP_3)
	v_add_co_u32 v54, vcc_lo, s12, v52
	v_add_co_ci_u32_e32 v55, vcc_lo, s13, v53, vcc_lo
	s_delay_alu instid0(VALU_DEP_3) | instskip(NEXT) | instid1(VALU_DEP_4)
	v_add_co_u32 v52, vcc_lo, s7, v56
	v_add_co_ci_u32_e32 v53, vcc_lo, s10, v57, vcc_lo
	s_and_saveexec_b32 s8, s11
	s_cbranch_execnz .LBB12_187
; %bb.184:
	s_or_b32 exec_lo, exec_lo, s8
	s_and_b32 s11, s1, s4
	s_delay_alu instid0(SALU_CYCLE_1)
	s_and_saveexec_b32 s8, s11
	s_cbranch_execnz .LBB12_191
.LBB12_185:
	s_or_b32 exec_lo, exec_lo, s8
	s_and_b32 s11, s2, s4
	s_delay_alu instid0(SALU_CYCLE_1)
	s_and_saveexec_b32 s8, s11
	s_cbranch_execnz .LBB12_195
.LBB12_186:
	s_or_b32 exec_lo, exec_lo, s8
	s_and_b32 s8, s3, s4
	s_delay_alu instid0(SALU_CYCLE_1)
	s_and_saveexec_b32 s4, s8
	s_cbranch_execnz .LBB12_199
	s_branch .LBB12_203
.LBB12_187:
	v_cmp_ne_u32_e32 vcc_lo, 1, v88
	s_cbranch_vccnz .LBB12_189
; %bb.188:
	v_lshlrev_b64 v[56:57], 2, v[80:81]
	s_delay_alu instid0(VALU_DEP_1) | instskip(NEXT) | instid1(VALU_DEP_2)
	v_add_co_u32 v56, vcc_lo, v54, v56
	v_add_co_ci_u32_e32 v57, vcc_lo, v55, v57, vcc_lo
	flat_load_b32 v56, v[56:57]
	s_waitcnt vmcnt(0) lgkmcnt(0)
	v_mul_f32_e32 v56, s15, v56
	s_branch .LBB12_190
.LBB12_189:
	v_mov_b32_e32 v56, 0
.LBB12_190:
	v_dual_add_f32 v57, v17, v49 :: v_dual_add_f32 v58, v16, v48
	v_dual_add_f32 v59, v19, v51 :: v_dual_add_f32 v60, v18, v50
	s_delay_alu instid0(VALU_DEP_2) | instskip(SKIP_1) | instid1(VALU_DEP_3)
	v_min3_f32 v61, v58, v57, v130
	v_lshlrev_b64 v[57:58], 2, v[80:81]
	v_min_f32_e32 v59, v60, v59
	s_delay_alu instid0(VALU_DEP_1) | instskip(NEXT) | instid1(VALU_DEP_3)
	v_min3_f32 v59, v56, v59, v61
	v_add_co_u32 v56, vcc_lo, v52, v57
	s_delay_alu instid0(VALU_DEP_4) | instskip(SKIP_3) | instid1(SALU_CYCLE_1)
	v_add_co_ci_u32_e32 v57, vcc_lo, v53, v58, vcc_lo
	global_store_b32 v[56:57], v59, off
	s_or_b32 exec_lo, exec_lo, s8
	s_and_b32 s11, s1, s4
	s_and_saveexec_b32 s8, s11
	s_cbranch_execz .LBB12_185
.LBB12_191:
	v_cmp_ne_u32_e32 vcc_lo, 1, v88
	s_cbranch_vccnz .LBB12_193
; %bb.192:
	v_lshlrev_b64 v[56:57], 2, v[82:83]
	s_delay_alu instid0(VALU_DEP_1) | instskip(NEXT) | instid1(VALU_DEP_2)
	v_add_co_u32 v56, vcc_lo, v54, v56
	v_add_co_ci_u32_e32 v57, vcc_lo, v55, v57, vcc_lo
	flat_load_b32 v56, v[56:57]
	s_waitcnt vmcnt(0) lgkmcnt(0)
	v_mul_f32_e32 v56, s15, v56
	s_branch .LBB12_194
.LBB12_193:
	v_mov_b32_e32 v56, 0
.LBB12_194:
	v_dual_add_f32 v57, v13, v49 :: v_dual_add_f32 v58, v12, v48
	v_dual_add_f32 v59, v15, v51 :: v_dual_add_f32 v60, v14, v50
	s_delay_alu instid0(VALU_DEP_2) | instskip(SKIP_1) | instid1(VALU_DEP_3)
	v_min3_f32 v61, v58, v57, v129
	v_lshlrev_b64 v[57:58], 2, v[82:83]
	v_min_f32_e32 v59, v60, v59
	s_delay_alu instid0(VALU_DEP_1) | instskip(NEXT) | instid1(VALU_DEP_3)
	v_min3_f32 v59, v56, v59, v61
	v_add_co_u32 v56, vcc_lo, v52, v57
	s_delay_alu instid0(VALU_DEP_4) | instskip(SKIP_3) | instid1(SALU_CYCLE_1)
	v_add_co_ci_u32_e32 v57, vcc_lo, v53, v58, vcc_lo
	global_store_b32 v[56:57], v59, off
	s_or_b32 exec_lo, exec_lo, s8
	s_and_b32 s11, s2, s4
	s_and_saveexec_b32 s8, s11
	s_cbranch_execz .LBB12_186
.LBB12_195:
	v_cmp_ne_u32_e32 vcc_lo, 1, v88
	s_cbranch_vccnz .LBB12_197
; %bb.196:
	v_lshlrev_b64 v[56:57], 2, v[84:85]
	s_delay_alu instid0(VALU_DEP_1) | instskip(NEXT) | instid1(VALU_DEP_2)
	v_add_co_u32 v56, vcc_lo, v54, v56
	v_add_co_ci_u32_e32 v57, vcc_lo, v55, v57, vcc_lo
	flat_load_b32 v56, v[56:57]
	s_waitcnt vmcnt(0) lgkmcnt(0)
	v_mul_f32_e32 v56, s15, v56
	s_branch .LBB12_198
.LBB12_197:
	v_mov_b32_e32 v56, 0
.LBB12_198:
	v_dual_add_f32 v57, v9, v49 :: v_dual_add_f32 v58, v8, v48
	v_dual_add_f32 v59, v11, v51 :: v_dual_add_f32 v60, v10, v50
	s_delay_alu instid0(VALU_DEP_2) | instskip(SKIP_1) | instid1(VALU_DEP_3)
	v_min3_f32 v61, v58, v57, v128
	v_lshlrev_b64 v[57:58], 2, v[84:85]
	v_min_f32_e32 v59, v60, v59
	s_delay_alu instid0(VALU_DEP_1) | instskip(NEXT) | instid1(VALU_DEP_3)
	v_min3_f32 v59, v56, v59, v61
	v_add_co_u32 v56, vcc_lo, v52, v57
	s_delay_alu instid0(VALU_DEP_4) | instskip(SKIP_3) | instid1(SALU_CYCLE_1)
	v_add_co_ci_u32_e32 v57, vcc_lo, v53, v58, vcc_lo
	global_store_b32 v[56:57], v59, off
	s_or_b32 exec_lo, exec_lo, s8
	s_and_b32 s8, s3, s4
	s_and_saveexec_b32 s4, s8
	s_cbranch_execz .LBB12_203
.LBB12_199:
	v_cmp_ne_u32_e32 vcc_lo, 1, v88
	s_cbranch_vccnz .LBB12_201
; %bb.200:
	v_lshlrev_b64 v[56:57], 2, v[86:87]
	s_delay_alu instid0(VALU_DEP_1) | instskip(NEXT) | instid1(VALU_DEP_2)
	v_add_co_u32 v54, vcc_lo, v54, v56
	v_add_co_ci_u32_e32 v55, vcc_lo, v55, v57, vcc_lo
	flat_load_b32 v54, v[54:55]
	s_waitcnt vmcnt(0) lgkmcnt(0)
	v_mul_f32_e32 v54, s15, v54
	s_branch .LBB12_202
.LBB12_201:
	v_mov_b32_e32 v54, 0
.LBB12_202:
	v_dual_add_f32 v49, v1, v49 :: v_dual_add_f32 v48, v0, v48
	v_dual_add_f32 v51, v3, v51 :: v_dual_add_f32 v50, v2, v50
	s_delay_alu instid0(VALU_DEP_2) | instskip(SKIP_1) | instid1(VALU_DEP_3)
	v_min3_f32 v55, v48, v49, v127
	v_lshlrev_b64 v[48:49], 2, v[86:87]
	v_min_f32_e32 v50, v50, v51
	s_delay_alu instid0(VALU_DEP_1) | instskip(NEXT) | instid1(VALU_DEP_3)
	v_min3_f32 v50, v54, v50, v55
	v_add_co_u32 v48, vcc_lo, v52, v48
	s_delay_alu instid0(VALU_DEP_4)
	v_add_co_ci_u32_e32 v49, vcc_lo, v53, v49, vcc_lo
	global_store_b32 v[48:49], v50, off
.LBB12_203:
	s_or_b32 exec_lo, exec_lo, s4
	v_add_nc_u32_e32 v52, 64, v89
	s_delay_alu instid0(VALU_DEP_1) | instskip(SKIP_2) | instid1(VALU_DEP_3)
	v_mad_i64_i32 v[48:49], null, v52, s6, 0
	v_mad_i64_i32 v[50:51], null, v52, s5, 0
	v_cmp_gt_i32_e64 s4, s9, v52
	v_lshlrev_b64 v[48:49], 2, v[48:49]
	s_delay_alu instid0(VALU_DEP_2) | instskip(NEXT) | instid1(VALU_DEP_3)
	s_and_b32 s11, s0, s4
	v_lshlrev_b64 v[52:53], 2, v[50:51]
	s_delay_alu instid0(VALU_DEP_2) | instskip(NEXT) | instid1(VALU_DEP_3)
	v_add_co_u32 v50, vcc_lo, s12, v48
	v_add_co_ci_u32_e32 v51, vcc_lo, s13, v49, vcc_lo
	s_delay_alu instid0(VALU_DEP_3) | instskip(NEXT) | instid1(VALU_DEP_4)
	v_add_co_u32 v48, vcc_lo, s7, v52
	v_add_co_ci_u32_e32 v49, vcc_lo, s10, v53, vcc_lo
	s_and_saveexec_b32 s8, s11
	s_cbranch_execnz .LBB12_207
; %bb.204:
	s_or_b32 exec_lo, exec_lo, s8
	s_and_b32 s11, s1, s4
	s_delay_alu instid0(SALU_CYCLE_1)
	s_and_saveexec_b32 s8, s11
	s_cbranch_execnz .LBB12_211
.LBB12_205:
	s_or_b32 exec_lo, exec_lo, s8
	s_and_b32 s11, s2, s4
	s_delay_alu instid0(SALU_CYCLE_1)
	s_and_saveexec_b32 s8, s11
	s_cbranch_execnz .LBB12_215
.LBB12_206:
	s_or_b32 exec_lo, exec_lo, s8
	s_and_b32 s8, s3, s4
	s_delay_alu instid0(SALU_CYCLE_1)
	s_and_saveexec_b32 s4, s8
	s_cbranch_execnz .LBB12_219
	s_branch .LBB12_223
.LBB12_207:
	v_cmp_ne_u32_e32 vcc_lo, 1, v88
	s_cbranch_vccnz .LBB12_209
; %bb.208:
	v_lshlrev_b64 v[52:53], 2, v[80:81]
	s_delay_alu instid0(VALU_DEP_1) | instskip(NEXT) | instid1(VALU_DEP_2)
	v_add_co_u32 v52, vcc_lo, v50, v52
	v_add_co_ci_u32_e32 v53, vcc_lo, v51, v53, vcc_lo
	flat_load_b32 v52, v[52:53]
	s_waitcnt vmcnt(0) lgkmcnt(0)
	v_mul_f32_e32 v52, s15, v52
	s_branch .LBB12_210
.LBB12_209:
	v_mov_b32_e32 v52, 0
.LBB12_210:
	v_dual_add_f32 v53, v17, v45 :: v_dual_add_f32 v54, v16, v44
	v_dual_add_f32 v55, v19, v47 :: v_dual_add_f32 v56, v18, v46
	s_delay_alu instid0(VALU_DEP_2) | instskip(SKIP_1) | instid1(VALU_DEP_3)
	v_min3_f32 v57, v54, v53, v124
	v_lshlrev_b64 v[53:54], 2, v[80:81]
	v_min_f32_e32 v55, v56, v55
	s_delay_alu instid0(VALU_DEP_1) | instskip(NEXT) | instid1(VALU_DEP_3)
	v_min3_f32 v55, v52, v55, v57
	v_add_co_u32 v52, vcc_lo, v48, v53
	s_delay_alu instid0(VALU_DEP_4) | instskip(SKIP_3) | instid1(SALU_CYCLE_1)
	v_add_co_ci_u32_e32 v53, vcc_lo, v49, v54, vcc_lo
	global_store_b32 v[52:53], v55, off
	s_or_b32 exec_lo, exec_lo, s8
	s_and_b32 s11, s1, s4
	s_and_saveexec_b32 s8, s11
	s_cbranch_execz .LBB12_205
.LBB12_211:
	v_cmp_ne_u32_e32 vcc_lo, 1, v88
	s_cbranch_vccnz .LBB12_213
; %bb.212:
	v_lshlrev_b64 v[52:53], 2, v[82:83]
	s_delay_alu instid0(VALU_DEP_1) | instskip(NEXT) | instid1(VALU_DEP_2)
	v_add_co_u32 v52, vcc_lo, v50, v52
	v_add_co_ci_u32_e32 v53, vcc_lo, v51, v53, vcc_lo
	flat_load_b32 v52, v[52:53]
	s_waitcnt vmcnt(0) lgkmcnt(0)
	v_mul_f32_e32 v52, s15, v52
	s_branch .LBB12_214
.LBB12_213:
	v_mov_b32_e32 v52, 0
.LBB12_214:
	v_dual_add_f32 v53, v13, v45 :: v_dual_add_f32 v54, v12, v44
	v_dual_add_f32 v55, v15, v47 :: v_dual_add_f32 v56, v14, v46
	s_delay_alu instid0(VALU_DEP_2) | instskip(SKIP_1) | instid1(VALU_DEP_3)
	v_min3_f32 v57, v54, v53, v122
	v_lshlrev_b64 v[53:54], 2, v[82:83]
	v_min_f32_e32 v55, v56, v55
	s_delay_alu instid0(VALU_DEP_1) | instskip(NEXT) | instid1(VALU_DEP_3)
	v_min3_f32 v55, v52, v55, v57
	v_add_co_u32 v52, vcc_lo, v48, v53
	s_delay_alu instid0(VALU_DEP_4) | instskip(SKIP_3) | instid1(SALU_CYCLE_1)
	v_add_co_ci_u32_e32 v53, vcc_lo, v49, v54, vcc_lo
	global_store_b32 v[52:53], v55, off
	s_or_b32 exec_lo, exec_lo, s8
	s_and_b32 s11, s2, s4
	s_and_saveexec_b32 s8, s11
	s_cbranch_execz .LBB12_206
.LBB12_215:
	v_cmp_ne_u32_e32 vcc_lo, 1, v88
	s_cbranch_vccnz .LBB12_217
; %bb.216:
	v_lshlrev_b64 v[52:53], 2, v[84:85]
	s_delay_alu instid0(VALU_DEP_1) | instskip(NEXT) | instid1(VALU_DEP_2)
	v_add_co_u32 v52, vcc_lo, v50, v52
	v_add_co_ci_u32_e32 v53, vcc_lo, v51, v53, vcc_lo
	flat_load_b32 v52, v[52:53]
	s_waitcnt vmcnt(0) lgkmcnt(0)
	v_mul_f32_e32 v52, s15, v52
	s_branch .LBB12_218
.LBB12_217:
	v_mov_b32_e32 v52, 0
.LBB12_218:
	v_dual_add_f32 v53, v9, v45 :: v_dual_add_f32 v54, v8, v44
	v_dual_add_f32 v55, v11, v47 :: v_dual_add_f32 v56, v10, v46
	s_delay_alu instid0(VALU_DEP_2) | instskip(SKIP_1) | instid1(VALU_DEP_3)
	v_min3_f32 v57, v54, v53, v121
	v_lshlrev_b64 v[53:54], 2, v[84:85]
	v_min_f32_e32 v55, v56, v55
	s_delay_alu instid0(VALU_DEP_1) | instskip(NEXT) | instid1(VALU_DEP_3)
	v_min3_f32 v55, v52, v55, v57
	v_add_co_u32 v52, vcc_lo, v48, v53
	s_delay_alu instid0(VALU_DEP_4) | instskip(SKIP_3) | instid1(SALU_CYCLE_1)
	v_add_co_ci_u32_e32 v53, vcc_lo, v49, v54, vcc_lo
	global_store_b32 v[52:53], v55, off
	s_or_b32 exec_lo, exec_lo, s8
	s_and_b32 s8, s3, s4
	s_and_saveexec_b32 s4, s8
	s_cbranch_execz .LBB12_223
.LBB12_219:
	v_cmp_ne_u32_e32 vcc_lo, 1, v88
	s_cbranch_vccnz .LBB12_221
; %bb.220:
	v_lshlrev_b64 v[52:53], 2, v[86:87]
	s_delay_alu instid0(VALU_DEP_1) | instskip(NEXT) | instid1(VALU_DEP_2)
	v_add_co_u32 v50, vcc_lo, v50, v52
	v_add_co_ci_u32_e32 v51, vcc_lo, v51, v53, vcc_lo
	flat_load_b32 v50, v[50:51]
	s_waitcnt vmcnt(0) lgkmcnt(0)
	v_mul_f32_e32 v50, s15, v50
	s_branch .LBB12_222
.LBB12_221:
	v_mov_b32_e32 v50, 0
.LBB12_222:
	v_dual_add_f32 v45, v1, v45 :: v_dual_add_f32 v44, v0, v44
	v_dual_add_f32 v47, v3, v47 :: v_dual_add_f32 v46, v2, v46
	s_delay_alu instid0(VALU_DEP_2) | instskip(SKIP_1) | instid1(VALU_DEP_3)
	v_min3_f32 v51, v44, v45, v120
	v_lshlrev_b64 v[44:45], 2, v[86:87]
	v_min_f32_e32 v46, v46, v47
	s_delay_alu instid0(VALU_DEP_1) | instskip(NEXT) | instid1(VALU_DEP_3)
	v_min3_f32 v46, v50, v46, v51
	v_add_co_u32 v44, vcc_lo, v48, v44
	s_delay_alu instid0(VALU_DEP_4)
	v_add_co_ci_u32_e32 v45, vcc_lo, v49, v45, vcc_lo
	global_store_b32 v[44:45], v46, off
.LBB12_223:
	s_or_b32 exec_lo, exec_lo, s4
	v_add_nc_u32_e32 v48, 0x48, v89
	s_delay_alu instid0(VALU_DEP_1) | instskip(SKIP_2) | instid1(VALU_DEP_3)
	v_mad_i64_i32 v[44:45], null, v48, s6, 0
	v_mad_i64_i32 v[46:47], null, v48, s5, 0
	v_cmp_gt_i32_e64 s4, s9, v48
	v_lshlrev_b64 v[44:45], 2, v[44:45]
	s_delay_alu instid0(VALU_DEP_2) | instskip(NEXT) | instid1(VALU_DEP_3)
	s_and_b32 s11, s0, s4
	v_lshlrev_b64 v[48:49], 2, v[46:47]
	s_delay_alu instid0(VALU_DEP_2) | instskip(NEXT) | instid1(VALU_DEP_3)
	v_add_co_u32 v46, vcc_lo, s12, v44
	v_add_co_ci_u32_e32 v47, vcc_lo, s13, v45, vcc_lo
	s_delay_alu instid0(VALU_DEP_3) | instskip(NEXT) | instid1(VALU_DEP_4)
	v_add_co_u32 v44, vcc_lo, s7, v48
	v_add_co_ci_u32_e32 v45, vcc_lo, s10, v49, vcc_lo
	s_and_saveexec_b32 s8, s11
	s_cbranch_execnz .LBB12_227
; %bb.224:
	s_or_b32 exec_lo, exec_lo, s8
	s_and_b32 s11, s1, s4
	s_delay_alu instid0(SALU_CYCLE_1)
	s_and_saveexec_b32 s8, s11
	s_cbranch_execnz .LBB12_231
.LBB12_225:
	s_or_b32 exec_lo, exec_lo, s8
	s_and_b32 s11, s2, s4
	s_delay_alu instid0(SALU_CYCLE_1)
	s_and_saveexec_b32 s8, s11
	s_cbranch_execnz .LBB12_235
.LBB12_226:
	s_or_b32 exec_lo, exec_lo, s8
	s_and_b32 s8, s3, s4
	s_delay_alu instid0(SALU_CYCLE_1)
	s_and_saveexec_b32 s4, s8
	s_cbranch_execnz .LBB12_239
	s_branch .LBB12_243
.LBB12_227:
	v_cmp_ne_u32_e32 vcc_lo, 1, v88
	s_cbranch_vccnz .LBB12_229
; %bb.228:
	v_lshlrev_b64 v[48:49], 2, v[80:81]
	s_delay_alu instid0(VALU_DEP_1) | instskip(NEXT) | instid1(VALU_DEP_2)
	v_add_co_u32 v48, vcc_lo, v46, v48
	v_add_co_ci_u32_e32 v49, vcc_lo, v47, v49, vcc_lo
	flat_load_b32 v48, v[48:49]
	s_waitcnt vmcnt(0) lgkmcnt(0)
	v_mul_f32_e32 v48, s15, v48
	s_branch .LBB12_230
.LBB12_229:
	v_mov_b32_e32 v48, 0
.LBB12_230:
	v_dual_add_f32 v49, v17, v41 :: v_dual_add_f32 v50, v16, v40
	v_dual_add_f32 v51, v19, v43 :: v_dual_add_f32 v52, v18, v42
	s_delay_alu instid0(VALU_DEP_2) | instskip(SKIP_1) | instid1(VALU_DEP_3)
	v_min3_f32 v53, v50, v49, v119
	v_lshlrev_b64 v[49:50], 2, v[80:81]
	v_min_f32_e32 v51, v52, v51
	s_delay_alu instid0(VALU_DEP_1) | instskip(NEXT) | instid1(VALU_DEP_3)
	v_min3_f32 v51, v48, v51, v53
	v_add_co_u32 v48, vcc_lo, v44, v49
	s_delay_alu instid0(VALU_DEP_4) | instskip(SKIP_3) | instid1(SALU_CYCLE_1)
	v_add_co_ci_u32_e32 v49, vcc_lo, v45, v50, vcc_lo
	global_store_b32 v[48:49], v51, off
	s_or_b32 exec_lo, exec_lo, s8
	s_and_b32 s11, s1, s4
	s_and_saveexec_b32 s8, s11
	s_cbranch_execz .LBB12_225
.LBB12_231:
	v_cmp_ne_u32_e32 vcc_lo, 1, v88
	s_cbranch_vccnz .LBB12_233
; %bb.232:
	v_lshlrev_b64 v[48:49], 2, v[82:83]
	s_delay_alu instid0(VALU_DEP_1) | instskip(NEXT) | instid1(VALU_DEP_2)
	v_add_co_u32 v48, vcc_lo, v46, v48
	v_add_co_ci_u32_e32 v49, vcc_lo, v47, v49, vcc_lo
	flat_load_b32 v48, v[48:49]
	s_waitcnt vmcnt(0) lgkmcnt(0)
	v_mul_f32_e32 v48, s15, v48
	s_branch .LBB12_234
.LBB12_233:
	v_mov_b32_e32 v48, 0
.LBB12_234:
	v_dual_add_f32 v49, v13, v41 :: v_dual_add_f32 v50, v12, v40
	v_dual_add_f32 v51, v15, v43 :: v_dual_add_f32 v52, v14, v42
	s_delay_alu instid0(VALU_DEP_2) | instskip(SKIP_1) | instid1(VALU_DEP_3)
	v_min3_f32 v53, v50, v49, v118
	v_lshlrev_b64 v[49:50], 2, v[82:83]
	v_min_f32_e32 v51, v52, v51
	s_delay_alu instid0(VALU_DEP_1) | instskip(NEXT) | instid1(VALU_DEP_3)
	v_min3_f32 v51, v48, v51, v53
	v_add_co_u32 v48, vcc_lo, v44, v49
	s_delay_alu instid0(VALU_DEP_4) | instskip(SKIP_3) | instid1(SALU_CYCLE_1)
	v_add_co_ci_u32_e32 v49, vcc_lo, v45, v50, vcc_lo
	global_store_b32 v[48:49], v51, off
	s_or_b32 exec_lo, exec_lo, s8
	s_and_b32 s11, s2, s4
	s_and_saveexec_b32 s8, s11
	s_cbranch_execz .LBB12_226
.LBB12_235:
	v_cmp_ne_u32_e32 vcc_lo, 1, v88
	s_cbranch_vccnz .LBB12_237
; %bb.236:
	v_lshlrev_b64 v[48:49], 2, v[84:85]
	s_delay_alu instid0(VALU_DEP_1) | instskip(NEXT) | instid1(VALU_DEP_2)
	v_add_co_u32 v48, vcc_lo, v46, v48
	v_add_co_ci_u32_e32 v49, vcc_lo, v47, v49, vcc_lo
	flat_load_b32 v48, v[48:49]
	s_waitcnt vmcnt(0) lgkmcnt(0)
	v_mul_f32_e32 v48, s15, v48
	s_branch .LBB12_238
.LBB12_237:
	v_mov_b32_e32 v48, 0
.LBB12_238:
	v_dual_add_f32 v49, v9, v41 :: v_dual_add_f32 v50, v8, v40
	v_dual_add_f32 v51, v11, v43 :: v_dual_add_f32 v52, v10, v42
	s_delay_alu instid0(VALU_DEP_2) | instskip(SKIP_1) | instid1(VALU_DEP_3)
	v_min3_f32 v53, v50, v49, v115
	v_lshlrev_b64 v[49:50], 2, v[84:85]
	v_min_f32_e32 v51, v52, v51
	s_delay_alu instid0(VALU_DEP_1) | instskip(NEXT) | instid1(VALU_DEP_3)
	v_min3_f32 v51, v48, v51, v53
	v_add_co_u32 v48, vcc_lo, v44, v49
	s_delay_alu instid0(VALU_DEP_4) | instskip(SKIP_3) | instid1(SALU_CYCLE_1)
	v_add_co_ci_u32_e32 v49, vcc_lo, v45, v50, vcc_lo
	global_store_b32 v[48:49], v51, off
	s_or_b32 exec_lo, exec_lo, s8
	s_and_b32 s8, s3, s4
	s_and_saveexec_b32 s4, s8
	s_cbranch_execz .LBB12_243
.LBB12_239:
	v_cmp_ne_u32_e32 vcc_lo, 1, v88
	s_cbranch_vccnz .LBB12_241
; %bb.240:
	v_lshlrev_b64 v[48:49], 2, v[86:87]
	s_delay_alu instid0(VALU_DEP_1) | instskip(NEXT) | instid1(VALU_DEP_2)
	v_add_co_u32 v46, vcc_lo, v46, v48
	v_add_co_ci_u32_e32 v47, vcc_lo, v47, v49, vcc_lo
	flat_load_b32 v46, v[46:47]
	s_waitcnt vmcnt(0) lgkmcnt(0)
	v_mul_f32_e32 v46, s15, v46
	s_branch .LBB12_242
.LBB12_241:
	v_mov_b32_e32 v46, 0
.LBB12_242:
	v_dual_add_f32 v41, v1, v41 :: v_dual_add_f32 v40, v0, v40
	v_dual_add_f32 v43, v3, v43 :: v_dual_add_f32 v42, v2, v42
	s_delay_alu instid0(VALU_DEP_2) | instskip(SKIP_1) | instid1(VALU_DEP_3)
	v_min3_f32 v47, v40, v41, v114
	v_lshlrev_b64 v[40:41], 2, v[86:87]
	v_min_f32_e32 v42, v42, v43
	s_delay_alu instid0(VALU_DEP_1) | instskip(NEXT) | instid1(VALU_DEP_3)
	v_min3_f32 v42, v46, v42, v47
	v_add_co_u32 v40, vcc_lo, v44, v40
	s_delay_alu instid0(VALU_DEP_4)
	v_add_co_ci_u32_e32 v41, vcc_lo, v45, v41, vcc_lo
	global_store_b32 v[40:41], v42, off
.LBB12_243:
	s_or_b32 exec_lo, exec_lo, s4
	v_add_nc_u32_e32 v44, 0x50, v89
	s_delay_alu instid0(VALU_DEP_1) | instskip(SKIP_2) | instid1(VALU_DEP_3)
	v_mad_i64_i32 v[40:41], null, v44, s6, 0
	v_mad_i64_i32 v[42:43], null, v44, s5, 0
	v_cmp_gt_i32_e64 s4, s9, v44
	v_lshlrev_b64 v[40:41], 2, v[40:41]
	s_delay_alu instid0(VALU_DEP_2) | instskip(NEXT) | instid1(VALU_DEP_3)
	s_and_b32 s11, s0, s4
	v_lshlrev_b64 v[44:45], 2, v[42:43]
	s_delay_alu instid0(VALU_DEP_2) | instskip(NEXT) | instid1(VALU_DEP_3)
	v_add_co_u32 v42, vcc_lo, s12, v40
	v_add_co_ci_u32_e32 v43, vcc_lo, s13, v41, vcc_lo
	s_delay_alu instid0(VALU_DEP_3) | instskip(NEXT) | instid1(VALU_DEP_4)
	v_add_co_u32 v40, vcc_lo, s7, v44
	v_add_co_ci_u32_e32 v41, vcc_lo, s10, v45, vcc_lo
	s_and_saveexec_b32 s8, s11
	s_cbranch_execnz .LBB12_247
; %bb.244:
	s_or_b32 exec_lo, exec_lo, s8
	s_and_b32 s11, s1, s4
	s_delay_alu instid0(SALU_CYCLE_1)
	s_and_saveexec_b32 s8, s11
	s_cbranch_execnz .LBB12_251
.LBB12_245:
	s_or_b32 exec_lo, exec_lo, s8
	s_and_b32 s11, s2, s4
	s_delay_alu instid0(SALU_CYCLE_1)
	s_and_saveexec_b32 s8, s11
	s_cbranch_execnz .LBB12_255
.LBB12_246:
	s_or_b32 exec_lo, exec_lo, s8
	s_and_b32 s8, s3, s4
	s_delay_alu instid0(SALU_CYCLE_1)
	s_and_saveexec_b32 s4, s8
	s_cbranch_execnz .LBB12_259
	s_branch .LBB12_263
.LBB12_247:
	v_cmp_ne_u32_e32 vcc_lo, 1, v88
	s_cbranch_vccnz .LBB12_249
; %bb.248:
	v_lshlrev_b64 v[44:45], 2, v[80:81]
	s_delay_alu instid0(VALU_DEP_1) | instskip(NEXT) | instid1(VALU_DEP_2)
	v_add_co_u32 v44, vcc_lo, v42, v44
	v_add_co_ci_u32_e32 v45, vcc_lo, v43, v45, vcc_lo
	flat_load_b32 v44, v[44:45]
	s_waitcnt vmcnt(0) lgkmcnt(0)
	v_mul_f32_e32 v44, s15, v44
	s_branch .LBB12_250
.LBB12_249:
	v_mov_b32_e32 v44, 0
.LBB12_250:
	v_dual_add_f32 v45, v17, v37 :: v_dual_add_f32 v46, v16, v36
	v_dual_add_f32 v47, v19, v39 :: v_dual_add_f32 v48, v18, v38
	s_delay_alu instid0(VALU_DEP_2) | instskip(SKIP_1) | instid1(VALU_DEP_3)
	v_min3_f32 v49, v46, v45, v113
	v_lshlrev_b64 v[45:46], 2, v[80:81]
	v_min_f32_e32 v47, v48, v47
	s_delay_alu instid0(VALU_DEP_1) | instskip(NEXT) | instid1(VALU_DEP_3)
	v_min3_f32 v47, v44, v47, v49
	v_add_co_u32 v44, vcc_lo, v40, v45
	s_delay_alu instid0(VALU_DEP_4) | instskip(SKIP_3) | instid1(SALU_CYCLE_1)
	v_add_co_ci_u32_e32 v45, vcc_lo, v41, v46, vcc_lo
	global_store_b32 v[44:45], v47, off
	s_or_b32 exec_lo, exec_lo, s8
	s_and_b32 s11, s1, s4
	s_and_saveexec_b32 s8, s11
	s_cbranch_execz .LBB12_245
.LBB12_251:
	v_cmp_ne_u32_e32 vcc_lo, 1, v88
	s_cbranch_vccnz .LBB12_253
; %bb.252:
	v_lshlrev_b64 v[44:45], 2, v[82:83]
	s_delay_alu instid0(VALU_DEP_1) | instskip(NEXT) | instid1(VALU_DEP_2)
	v_add_co_u32 v44, vcc_lo, v42, v44
	v_add_co_ci_u32_e32 v45, vcc_lo, v43, v45, vcc_lo
	flat_load_b32 v44, v[44:45]
	s_waitcnt vmcnt(0) lgkmcnt(0)
	v_mul_f32_e32 v44, s15, v44
	s_branch .LBB12_254
.LBB12_253:
	v_mov_b32_e32 v44, 0
.LBB12_254:
	v_dual_add_f32 v45, v13, v37 :: v_dual_add_f32 v46, v12, v36
	v_dual_add_f32 v47, v15, v39 :: v_dual_add_f32 v48, v14, v38
	s_delay_alu instid0(VALU_DEP_2) | instskip(SKIP_1) | instid1(VALU_DEP_3)
	v_min3_f32 v49, v46, v45, v112
	v_lshlrev_b64 v[45:46], 2, v[82:83]
	v_min_f32_e32 v47, v48, v47
	s_delay_alu instid0(VALU_DEP_1) | instskip(NEXT) | instid1(VALU_DEP_3)
	v_min3_f32 v47, v44, v47, v49
	v_add_co_u32 v44, vcc_lo, v40, v45
	s_delay_alu instid0(VALU_DEP_4) | instskip(SKIP_3) | instid1(SALU_CYCLE_1)
	v_add_co_ci_u32_e32 v45, vcc_lo, v41, v46, vcc_lo
	global_store_b32 v[44:45], v47, off
	s_or_b32 exec_lo, exec_lo, s8
	s_and_b32 s11, s2, s4
	s_and_saveexec_b32 s8, s11
	s_cbranch_execz .LBB12_246
.LBB12_255:
	v_cmp_ne_u32_e32 vcc_lo, 1, v88
	s_cbranch_vccnz .LBB12_257
; %bb.256:
	v_lshlrev_b64 v[44:45], 2, v[84:85]
	s_delay_alu instid0(VALU_DEP_1) | instskip(NEXT) | instid1(VALU_DEP_2)
	v_add_co_u32 v44, vcc_lo, v42, v44
	v_add_co_ci_u32_e32 v45, vcc_lo, v43, v45, vcc_lo
	flat_load_b32 v44, v[44:45]
	s_waitcnt vmcnt(0) lgkmcnt(0)
	v_mul_f32_e32 v44, s15, v44
	s_branch .LBB12_258
.LBB12_257:
	v_mov_b32_e32 v44, 0
.LBB12_258:
	v_dual_add_f32 v45, v9, v37 :: v_dual_add_f32 v46, v8, v36
	v_dual_add_f32 v47, v11, v39 :: v_dual_add_f32 v48, v10, v38
	s_delay_alu instid0(VALU_DEP_2) | instskip(SKIP_1) | instid1(VALU_DEP_3)
	v_min3_f32 v49, v46, v45, v111
	v_lshlrev_b64 v[45:46], 2, v[84:85]
	v_min_f32_e32 v47, v48, v47
	s_delay_alu instid0(VALU_DEP_1) | instskip(NEXT) | instid1(VALU_DEP_3)
	v_min3_f32 v47, v44, v47, v49
	v_add_co_u32 v44, vcc_lo, v40, v45
	s_delay_alu instid0(VALU_DEP_4) | instskip(SKIP_3) | instid1(SALU_CYCLE_1)
	v_add_co_ci_u32_e32 v45, vcc_lo, v41, v46, vcc_lo
	global_store_b32 v[44:45], v47, off
	s_or_b32 exec_lo, exec_lo, s8
	s_and_b32 s8, s3, s4
	s_and_saveexec_b32 s4, s8
	s_cbranch_execz .LBB12_263
.LBB12_259:
	v_cmp_ne_u32_e32 vcc_lo, 1, v88
	s_cbranch_vccnz .LBB12_261
; %bb.260:
	v_lshlrev_b64 v[44:45], 2, v[86:87]
	s_delay_alu instid0(VALU_DEP_1) | instskip(NEXT) | instid1(VALU_DEP_2)
	v_add_co_u32 v42, vcc_lo, v42, v44
	v_add_co_ci_u32_e32 v43, vcc_lo, v43, v45, vcc_lo
	flat_load_b32 v42, v[42:43]
	s_waitcnt vmcnt(0) lgkmcnt(0)
	v_mul_f32_e32 v42, s15, v42
	s_branch .LBB12_262
.LBB12_261:
	v_mov_b32_e32 v42, 0
.LBB12_262:
	v_dual_add_f32 v37, v1, v37 :: v_dual_add_f32 v36, v0, v36
	v_dual_add_f32 v39, v3, v39 :: v_dual_add_f32 v38, v2, v38
	s_delay_alu instid0(VALU_DEP_2) | instskip(SKIP_1) | instid1(VALU_DEP_3)
	v_min3_f32 v43, v36, v37, v110
	v_lshlrev_b64 v[36:37], 2, v[86:87]
	v_min_f32_e32 v38, v38, v39
	s_delay_alu instid0(VALU_DEP_1) | instskip(NEXT) | instid1(VALU_DEP_3)
	v_min3_f32 v38, v42, v38, v43
	v_add_co_u32 v36, vcc_lo, v40, v36
	s_delay_alu instid0(VALU_DEP_4)
	v_add_co_ci_u32_e32 v37, vcc_lo, v41, v37, vcc_lo
	global_store_b32 v[36:37], v38, off
.LBB12_263:
	s_or_b32 exec_lo, exec_lo, s4
	v_add_nc_u32_e32 v40, 0x58, v89
	s_delay_alu instid0(VALU_DEP_1) | instskip(SKIP_2) | instid1(VALU_DEP_3)
	v_mad_i64_i32 v[36:37], null, v40, s6, 0
	v_mad_i64_i32 v[38:39], null, v40, s5, 0
	v_cmp_gt_i32_e64 s4, s9, v40
	v_lshlrev_b64 v[36:37], 2, v[36:37]
	s_delay_alu instid0(VALU_DEP_2) | instskip(NEXT) | instid1(VALU_DEP_3)
	s_and_b32 s11, s0, s4
	v_lshlrev_b64 v[40:41], 2, v[38:39]
	s_delay_alu instid0(VALU_DEP_2) | instskip(NEXT) | instid1(VALU_DEP_3)
	v_add_co_u32 v38, vcc_lo, s12, v36
	v_add_co_ci_u32_e32 v39, vcc_lo, s13, v37, vcc_lo
	s_delay_alu instid0(VALU_DEP_3) | instskip(NEXT) | instid1(VALU_DEP_4)
	v_add_co_u32 v36, vcc_lo, s7, v40
	v_add_co_ci_u32_e32 v37, vcc_lo, s10, v41, vcc_lo
	s_and_saveexec_b32 s8, s11
	s_cbranch_execnz .LBB12_267
; %bb.264:
	s_or_b32 exec_lo, exec_lo, s8
	s_and_b32 s11, s1, s4
	s_delay_alu instid0(SALU_CYCLE_1)
	s_and_saveexec_b32 s8, s11
	s_cbranch_execnz .LBB12_271
.LBB12_265:
	s_or_b32 exec_lo, exec_lo, s8
	s_and_b32 s11, s2, s4
	s_delay_alu instid0(SALU_CYCLE_1)
	s_and_saveexec_b32 s8, s11
	s_cbranch_execnz .LBB12_275
.LBB12_266:
	s_or_b32 exec_lo, exec_lo, s8
	s_and_b32 s8, s3, s4
	s_delay_alu instid0(SALU_CYCLE_1)
	s_and_saveexec_b32 s4, s8
	s_cbranch_execnz .LBB12_279
	s_branch .LBB12_283
.LBB12_267:
	v_cmp_ne_u32_e32 vcc_lo, 1, v88
	s_cbranch_vccnz .LBB12_269
; %bb.268:
	v_lshlrev_b64 v[40:41], 2, v[80:81]
	s_delay_alu instid0(VALU_DEP_1) | instskip(NEXT) | instid1(VALU_DEP_2)
	v_add_co_u32 v40, vcc_lo, v38, v40
	v_add_co_ci_u32_e32 v41, vcc_lo, v39, v41, vcc_lo
	flat_load_b32 v40, v[40:41]
	s_waitcnt vmcnt(0) lgkmcnt(0)
	v_mul_f32_e32 v40, s15, v40
	s_branch .LBB12_270
.LBB12_269:
	v_mov_b32_e32 v40, 0
.LBB12_270:
	v_dual_add_f32 v41, v17, v33 :: v_dual_add_f32 v42, v16, v32
	v_dual_add_f32 v43, v19, v35 :: v_dual_add_f32 v44, v18, v34
	s_delay_alu instid0(VALU_DEP_2) | instskip(SKIP_1) | instid1(VALU_DEP_3)
	v_min3_f32 v45, v42, v41, v109
	v_lshlrev_b64 v[41:42], 2, v[80:81]
	v_min_f32_e32 v43, v44, v43
	s_delay_alu instid0(VALU_DEP_1) | instskip(NEXT) | instid1(VALU_DEP_3)
	v_min3_f32 v43, v40, v43, v45
	v_add_co_u32 v40, vcc_lo, v36, v41
	s_delay_alu instid0(VALU_DEP_4) | instskip(SKIP_3) | instid1(SALU_CYCLE_1)
	v_add_co_ci_u32_e32 v41, vcc_lo, v37, v42, vcc_lo
	global_store_b32 v[40:41], v43, off
	s_or_b32 exec_lo, exec_lo, s8
	s_and_b32 s11, s1, s4
	s_and_saveexec_b32 s8, s11
	s_cbranch_execz .LBB12_265
.LBB12_271:
	v_cmp_ne_u32_e32 vcc_lo, 1, v88
	s_cbranch_vccnz .LBB12_273
; %bb.272:
	v_lshlrev_b64 v[40:41], 2, v[82:83]
	s_delay_alu instid0(VALU_DEP_1) | instskip(NEXT) | instid1(VALU_DEP_2)
	v_add_co_u32 v40, vcc_lo, v38, v40
	v_add_co_ci_u32_e32 v41, vcc_lo, v39, v41, vcc_lo
	flat_load_b32 v40, v[40:41]
	s_waitcnt vmcnt(0) lgkmcnt(0)
	v_mul_f32_e32 v40, s15, v40
	s_branch .LBB12_274
.LBB12_273:
	v_mov_b32_e32 v40, 0
.LBB12_274:
	v_dual_add_f32 v41, v13, v33 :: v_dual_add_f32 v42, v12, v32
	v_dual_add_f32 v43, v15, v35 :: v_dual_add_f32 v44, v14, v34
	s_delay_alu instid0(VALU_DEP_2) | instskip(SKIP_1) | instid1(VALU_DEP_3)
	v_min3_f32 v45, v42, v41, v108
	v_lshlrev_b64 v[41:42], 2, v[82:83]
	v_min_f32_e32 v43, v44, v43
	s_delay_alu instid0(VALU_DEP_1) | instskip(NEXT) | instid1(VALU_DEP_3)
	v_min3_f32 v43, v40, v43, v45
	v_add_co_u32 v40, vcc_lo, v36, v41
	s_delay_alu instid0(VALU_DEP_4) | instskip(SKIP_3) | instid1(SALU_CYCLE_1)
	v_add_co_ci_u32_e32 v41, vcc_lo, v37, v42, vcc_lo
	global_store_b32 v[40:41], v43, off
	s_or_b32 exec_lo, exec_lo, s8
	s_and_b32 s11, s2, s4
	s_and_saveexec_b32 s8, s11
	s_cbranch_execz .LBB12_266
.LBB12_275:
	v_cmp_ne_u32_e32 vcc_lo, 1, v88
	s_cbranch_vccnz .LBB12_277
; %bb.276:
	v_lshlrev_b64 v[40:41], 2, v[84:85]
	s_delay_alu instid0(VALU_DEP_1) | instskip(NEXT) | instid1(VALU_DEP_2)
	v_add_co_u32 v40, vcc_lo, v38, v40
	v_add_co_ci_u32_e32 v41, vcc_lo, v39, v41, vcc_lo
	flat_load_b32 v40, v[40:41]
	s_waitcnt vmcnt(0) lgkmcnt(0)
	v_mul_f32_e32 v40, s15, v40
	s_branch .LBB12_278
.LBB12_277:
	v_mov_b32_e32 v40, 0
.LBB12_278:
	v_dual_add_f32 v41, v9, v33 :: v_dual_add_f32 v42, v8, v32
	v_dual_add_f32 v43, v11, v35 :: v_dual_add_f32 v44, v10, v34
	s_delay_alu instid0(VALU_DEP_2) | instskip(SKIP_1) | instid1(VALU_DEP_3)
	v_min3_f32 v45, v42, v41, v107
	v_lshlrev_b64 v[41:42], 2, v[84:85]
	v_min_f32_e32 v43, v44, v43
	s_delay_alu instid0(VALU_DEP_1) | instskip(NEXT) | instid1(VALU_DEP_3)
	v_min3_f32 v43, v40, v43, v45
	v_add_co_u32 v40, vcc_lo, v36, v41
	s_delay_alu instid0(VALU_DEP_4) | instskip(SKIP_3) | instid1(SALU_CYCLE_1)
	v_add_co_ci_u32_e32 v41, vcc_lo, v37, v42, vcc_lo
	global_store_b32 v[40:41], v43, off
	s_or_b32 exec_lo, exec_lo, s8
	s_and_b32 s8, s3, s4
	s_and_saveexec_b32 s4, s8
	s_cbranch_execz .LBB12_283
.LBB12_279:
	v_cmp_ne_u32_e32 vcc_lo, 1, v88
	s_cbranch_vccnz .LBB12_281
; %bb.280:
	v_lshlrev_b64 v[40:41], 2, v[86:87]
	s_delay_alu instid0(VALU_DEP_1) | instskip(NEXT) | instid1(VALU_DEP_2)
	v_add_co_u32 v38, vcc_lo, v38, v40
	v_add_co_ci_u32_e32 v39, vcc_lo, v39, v41, vcc_lo
	flat_load_b32 v38, v[38:39]
	s_waitcnt vmcnt(0) lgkmcnt(0)
	v_mul_f32_e32 v38, s15, v38
	s_branch .LBB12_282
.LBB12_281:
	v_mov_b32_e32 v38, 0
.LBB12_282:
	v_dual_add_f32 v33, v1, v33 :: v_dual_add_f32 v32, v0, v32
	v_dual_add_f32 v35, v3, v35 :: v_dual_add_f32 v34, v2, v34
	s_delay_alu instid0(VALU_DEP_2) | instskip(SKIP_1) | instid1(VALU_DEP_3)
	v_min3_f32 v39, v32, v33, v106
	v_lshlrev_b64 v[32:33], 2, v[86:87]
	v_min_f32_e32 v34, v34, v35
	s_delay_alu instid0(VALU_DEP_1) | instskip(NEXT) | instid1(VALU_DEP_3)
	v_min3_f32 v34, v38, v34, v39
	v_add_co_u32 v32, vcc_lo, v36, v32
	s_delay_alu instid0(VALU_DEP_4)
	v_add_co_ci_u32_e32 v33, vcc_lo, v37, v33, vcc_lo
	global_store_b32 v[32:33], v34, off
.LBB12_283:
	s_or_b32 exec_lo, exec_lo, s4
	v_add_nc_u32_e32 v36, 0x60, v89
	s_delay_alu instid0(VALU_DEP_1) | instskip(SKIP_2) | instid1(VALU_DEP_3)
	v_mad_i64_i32 v[32:33], null, v36, s6, 0
	v_mad_i64_i32 v[34:35], null, v36, s5, 0
	v_cmp_gt_i32_e64 s4, s9, v36
	v_lshlrev_b64 v[32:33], 2, v[32:33]
	s_delay_alu instid0(VALU_DEP_2) | instskip(NEXT) | instid1(VALU_DEP_3)
	s_and_b32 s11, s0, s4
	v_lshlrev_b64 v[36:37], 2, v[34:35]
	s_delay_alu instid0(VALU_DEP_2) | instskip(NEXT) | instid1(VALU_DEP_3)
	v_add_co_u32 v34, vcc_lo, s12, v32
	v_add_co_ci_u32_e32 v35, vcc_lo, s13, v33, vcc_lo
	s_delay_alu instid0(VALU_DEP_3) | instskip(NEXT) | instid1(VALU_DEP_4)
	v_add_co_u32 v32, vcc_lo, s7, v36
	v_add_co_ci_u32_e32 v33, vcc_lo, s10, v37, vcc_lo
	s_and_saveexec_b32 s8, s11
	s_cbranch_execnz .LBB12_287
; %bb.284:
	s_or_b32 exec_lo, exec_lo, s8
	s_and_b32 s11, s1, s4
	s_delay_alu instid0(SALU_CYCLE_1)
	s_and_saveexec_b32 s8, s11
	s_cbranch_execnz .LBB12_291
.LBB12_285:
	s_or_b32 exec_lo, exec_lo, s8
	s_and_b32 s11, s2, s4
	s_delay_alu instid0(SALU_CYCLE_1)
	s_and_saveexec_b32 s8, s11
	s_cbranch_execnz .LBB12_295
.LBB12_286:
	s_or_b32 exec_lo, exec_lo, s8
	s_and_b32 s8, s3, s4
	s_delay_alu instid0(SALU_CYCLE_1)
	s_and_saveexec_b32 s4, s8
	s_cbranch_execnz .LBB12_299
	s_branch .LBB12_303
.LBB12_287:
	v_cmp_ne_u32_e32 vcc_lo, 1, v88
	s_cbranch_vccnz .LBB12_289
; %bb.288:
	v_lshlrev_b64 v[36:37], 2, v[80:81]
	s_delay_alu instid0(VALU_DEP_1) | instskip(NEXT) | instid1(VALU_DEP_2)
	v_add_co_u32 v36, vcc_lo, v34, v36
	v_add_co_ci_u32_e32 v37, vcc_lo, v35, v37, vcc_lo
	flat_load_b32 v36, v[36:37]
	s_waitcnt vmcnt(0) lgkmcnt(0)
	v_mul_f32_e32 v36, s15, v36
	s_branch .LBB12_290
.LBB12_289:
	v_mov_b32_e32 v36, 0
.LBB12_290:
	v_dual_add_f32 v37, v17, v29 :: v_dual_add_f32 v38, v16, v28
	v_dual_add_f32 v39, v19, v31 :: v_dual_add_f32 v40, v18, v30
	s_delay_alu instid0(VALU_DEP_2) | instskip(SKIP_1) | instid1(VALU_DEP_3)
	v_min3_f32 v41, v38, v37, v105
	v_lshlrev_b64 v[37:38], 2, v[80:81]
	v_min_f32_e32 v39, v40, v39
	s_delay_alu instid0(VALU_DEP_1) | instskip(NEXT) | instid1(VALU_DEP_3)
	v_min3_f32 v39, v36, v39, v41
	v_add_co_u32 v36, vcc_lo, v32, v37
	s_delay_alu instid0(VALU_DEP_4) | instskip(SKIP_3) | instid1(SALU_CYCLE_1)
	v_add_co_ci_u32_e32 v37, vcc_lo, v33, v38, vcc_lo
	global_store_b32 v[36:37], v39, off
	s_or_b32 exec_lo, exec_lo, s8
	s_and_b32 s11, s1, s4
	s_and_saveexec_b32 s8, s11
	s_cbranch_execz .LBB12_285
.LBB12_291:
	v_cmp_ne_u32_e32 vcc_lo, 1, v88
	s_cbranch_vccnz .LBB12_293
; %bb.292:
	v_lshlrev_b64 v[36:37], 2, v[82:83]
	s_delay_alu instid0(VALU_DEP_1) | instskip(NEXT) | instid1(VALU_DEP_2)
	v_add_co_u32 v36, vcc_lo, v34, v36
	v_add_co_ci_u32_e32 v37, vcc_lo, v35, v37, vcc_lo
	flat_load_b32 v36, v[36:37]
	s_waitcnt vmcnt(0) lgkmcnt(0)
	v_mul_f32_e32 v36, s15, v36
	s_branch .LBB12_294
.LBB12_293:
	v_mov_b32_e32 v36, 0
.LBB12_294:
	v_dual_add_f32 v37, v13, v29 :: v_dual_add_f32 v38, v12, v28
	v_dual_add_f32 v39, v15, v31 :: v_dual_add_f32 v40, v14, v30
	s_delay_alu instid0(VALU_DEP_2) | instskip(SKIP_1) | instid1(VALU_DEP_3)
	v_min3_f32 v41, v38, v37, v104
	v_lshlrev_b64 v[37:38], 2, v[82:83]
	v_min_f32_e32 v39, v40, v39
	s_delay_alu instid0(VALU_DEP_1) | instskip(NEXT) | instid1(VALU_DEP_3)
	v_min3_f32 v39, v36, v39, v41
	v_add_co_u32 v36, vcc_lo, v32, v37
	s_delay_alu instid0(VALU_DEP_4) | instskip(SKIP_3) | instid1(SALU_CYCLE_1)
	v_add_co_ci_u32_e32 v37, vcc_lo, v33, v38, vcc_lo
	global_store_b32 v[36:37], v39, off
	s_or_b32 exec_lo, exec_lo, s8
	s_and_b32 s11, s2, s4
	s_and_saveexec_b32 s8, s11
	s_cbranch_execz .LBB12_286
.LBB12_295:
	v_cmp_ne_u32_e32 vcc_lo, 1, v88
	s_cbranch_vccnz .LBB12_297
; %bb.296:
	v_lshlrev_b64 v[36:37], 2, v[84:85]
	s_delay_alu instid0(VALU_DEP_1) | instskip(NEXT) | instid1(VALU_DEP_2)
	v_add_co_u32 v36, vcc_lo, v34, v36
	v_add_co_ci_u32_e32 v37, vcc_lo, v35, v37, vcc_lo
	flat_load_b32 v36, v[36:37]
	s_waitcnt vmcnt(0) lgkmcnt(0)
	v_mul_f32_e32 v36, s15, v36
	s_branch .LBB12_298
.LBB12_297:
	v_mov_b32_e32 v36, 0
.LBB12_298:
	v_dual_add_f32 v37, v9, v29 :: v_dual_add_f32 v38, v8, v28
	v_dual_add_f32 v39, v11, v31 :: v_dual_add_f32 v40, v10, v30
	s_delay_alu instid0(VALU_DEP_2) | instskip(SKIP_1) | instid1(VALU_DEP_3)
	v_min3_f32 v41, v38, v37, v103
	v_lshlrev_b64 v[37:38], 2, v[84:85]
	v_min_f32_e32 v39, v40, v39
	s_delay_alu instid0(VALU_DEP_1) | instskip(NEXT) | instid1(VALU_DEP_3)
	v_min3_f32 v39, v36, v39, v41
	v_add_co_u32 v36, vcc_lo, v32, v37
	s_delay_alu instid0(VALU_DEP_4) | instskip(SKIP_3) | instid1(SALU_CYCLE_1)
	v_add_co_ci_u32_e32 v37, vcc_lo, v33, v38, vcc_lo
	global_store_b32 v[36:37], v39, off
	s_or_b32 exec_lo, exec_lo, s8
	s_and_b32 s8, s3, s4
	s_and_saveexec_b32 s4, s8
	s_cbranch_execz .LBB12_303
.LBB12_299:
	v_cmp_ne_u32_e32 vcc_lo, 1, v88
	s_cbranch_vccnz .LBB12_301
; %bb.300:
	v_lshlrev_b64 v[36:37], 2, v[86:87]
	s_delay_alu instid0(VALU_DEP_1) | instskip(NEXT) | instid1(VALU_DEP_2)
	v_add_co_u32 v34, vcc_lo, v34, v36
	v_add_co_ci_u32_e32 v35, vcc_lo, v35, v37, vcc_lo
	flat_load_b32 v34, v[34:35]
	s_waitcnt vmcnt(0) lgkmcnt(0)
	v_mul_f32_e32 v34, s15, v34
	s_branch .LBB12_302
.LBB12_301:
	v_mov_b32_e32 v34, 0
.LBB12_302:
	v_dual_add_f32 v29, v1, v29 :: v_dual_add_f32 v28, v0, v28
	v_dual_add_f32 v31, v3, v31 :: v_dual_add_f32 v30, v2, v30
	s_delay_alu instid0(VALU_DEP_2) | instskip(SKIP_1) | instid1(VALU_DEP_3)
	v_min3_f32 v35, v28, v29, v102
	v_lshlrev_b64 v[28:29], 2, v[86:87]
	v_min_f32_e32 v30, v30, v31
	s_delay_alu instid0(VALU_DEP_1) | instskip(NEXT) | instid1(VALU_DEP_3)
	v_min3_f32 v30, v34, v30, v35
	v_add_co_u32 v28, vcc_lo, v32, v28
	s_delay_alu instid0(VALU_DEP_4)
	v_add_co_ci_u32_e32 v29, vcc_lo, v33, v29, vcc_lo
	global_store_b32 v[28:29], v30, off
.LBB12_303:
	s_or_b32 exec_lo, exec_lo, s4
	v_add_nc_u32_e32 v32, 0x68, v89
	s_delay_alu instid0(VALU_DEP_1) | instskip(SKIP_2) | instid1(VALU_DEP_3)
	v_mad_i64_i32 v[28:29], null, v32, s6, 0
	v_mad_i64_i32 v[30:31], null, v32, s5, 0
	v_cmp_gt_i32_e64 s4, s9, v32
	v_lshlrev_b64 v[28:29], 2, v[28:29]
	s_delay_alu instid0(VALU_DEP_2) | instskip(NEXT) | instid1(VALU_DEP_3)
	s_and_b32 s11, s0, s4
	v_lshlrev_b64 v[32:33], 2, v[30:31]
	s_delay_alu instid0(VALU_DEP_2) | instskip(NEXT) | instid1(VALU_DEP_3)
	v_add_co_u32 v30, vcc_lo, s12, v28
	v_add_co_ci_u32_e32 v31, vcc_lo, s13, v29, vcc_lo
	s_delay_alu instid0(VALU_DEP_3) | instskip(NEXT) | instid1(VALU_DEP_4)
	v_add_co_u32 v28, vcc_lo, s7, v32
	v_add_co_ci_u32_e32 v29, vcc_lo, s10, v33, vcc_lo
	s_and_saveexec_b32 s8, s11
	s_cbranch_execnz .LBB12_307
; %bb.304:
	s_or_b32 exec_lo, exec_lo, s8
	s_and_b32 s11, s1, s4
	s_delay_alu instid0(SALU_CYCLE_1)
	s_and_saveexec_b32 s8, s11
	s_cbranch_execnz .LBB12_311
.LBB12_305:
	s_or_b32 exec_lo, exec_lo, s8
	s_and_b32 s11, s2, s4
	s_delay_alu instid0(SALU_CYCLE_1)
	s_and_saveexec_b32 s8, s11
	s_cbranch_execnz .LBB12_315
.LBB12_306:
	s_or_b32 exec_lo, exec_lo, s8
	s_and_b32 s8, s3, s4
	s_delay_alu instid0(SALU_CYCLE_1)
	s_and_saveexec_b32 s4, s8
	s_cbranch_execnz .LBB12_319
	s_branch .LBB12_323
.LBB12_307:
	v_cmp_ne_u32_e32 vcc_lo, 1, v88
	s_cbranch_vccnz .LBB12_309
; %bb.308:
	v_lshlrev_b64 v[32:33], 2, v[80:81]
	s_delay_alu instid0(VALU_DEP_1) | instskip(NEXT) | instid1(VALU_DEP_2)
	v_add_co_u32 v32, vcc_lo, v30, v32
	v_add_co_ci_u32_e32 v33, vcc_lo, v31, v33, vcc_lo
	flat_load_b32 v32, v[32:33]
	s_waitcnt vmcnt(0) lgkmcnt(0)
	v_mul_f32_e32 v32, s15, v32
	s_branch .LBB12_310
.LBB12_309:
	v_mov_b32_e32 v32, 0
.LBB12_310:
	v_dual_add_f32 v33, v17, v25 :: v_dual_add_f32 v34, v16, v24
	v_dual_add_f32 v35, v19, v27 :: v_dual_add_f32 v36, v18, v26
	s_delay_alu instid0(VALU_DEP_2) | instskip(SKIP_1) | instid1(VALU_DEP_3)
	v_min3_f32 v37, v34, v33, v101
	v_lshlrev_b64 v[33:34], 2, v[80:81]
	v_min_f32_e32 v35, v36, v35
	s_delay_alu instid0(VALU_DEP_1) | instskip(NEXT) | instid1(VALU_DEP_3)
	v_min3_f32 v35, v32, v35, v37
	v_add_co_u32 v32, vcc_lo, v28, v33
	s_delay_alu instid0(VALU_DEP_4) | instskip(SKIP_3) | instid1(SALU_CYCLE_1)
	v_add_co_ci_u32_e32 v33, vcc_lo, v29, v34, vcc_lo
	global_store_b32 v[32:33], v35, off
	s_or_b32 exec_lo, exec_lo, s8
	s_and_b32 s11, s1, s4
	s_and_saveexec_b32 s8, s11
	s_cbranch_execz .LBB12_305
.LBB12_311:
	v_cmp_ne_u32_e32 vcc_lo, 1, v88
	s_cbranch_vccnz .LBB12_313
; %bb.312:
	v_lshlrev_b64 v[32:33], 2, v[82:83]
	s_delay_alu instid0(VALU_DEP_1) | instskip(NEXT) | instid1(VALU_DEP_2)
	v_add_co_u32 v32, vcc_lo, v30, v32
	v_add_co_ci_u32_e32 v33, vcc_lo, v31, v33, vcc_lo
	flat_load_b32 v32, v[32:33]
	s_waitcnt vmcnt(0) lgkmcnt(0)
	v_mul_f32_e32 v32, s15, v32
	s_branch .LBB12_314
.LBB12_313:
	v_mov_b32_e32 v32, 0
.LBB12_314:
	v_dual_add_f32 v33, v13, v25 :: v_dual_add_f32 v34, v12, v24
	v_dual_add_f32 v35, v15, v27 :: v_dual_add_f32 v36, v14, v26
	s_delay_alu instid0(VALU_DEP_2) | instskip(SKIP_1) | instid1(VALU_DEP_3)
	v_min3_f32 v37, v34, v33, v100
	v_lshlrev_b64 v[33:34], 2, v[82:83]
	v_min_f32_e32 v35, v36, v35
	s_delay_alu instid0(VALU_DEP_1) | instskip(NEXT) | instid1(VALU_DEP_3)
	v_min3_f32 v35, v32, v35, v37
	v_add_co_u32 v32, vcc_lo, v28, v33
	s_delay_alu instid0(VALU_DEP_4) | instskip(SKIP_3) | instid1(SALU_CYCLE_1)
	v_add_co_ci_u32_e32 v33, vcc_lo, v29, v34, vcc_lo
	global_store_b32 v[32:33], v35, off
	s_or_b32 exec_lo, exec_lo, s8
	s_and_b32 s11, s2, s4
	s_and_saveexec_b32 s8, s11
	s_cbranch_execz .LBB12_306
.LBB12_315:
	v_cmp_ne_u32_e32 vcc_lo, 1, v88
	s_cbranch_vccnz .LBB12_317
; %bb.316:
	v_lshlrev_b64 v[32:33], 2, v[84:85]
	s_delay_alu instid0(VALU_DEP_1) | instskip(NEXT) | instid1(VALU_DEP_2)
	v_add_co_u32 v32, vcc_lo, v30, v32
	v_add_co_ci_u32_e32 v33, vcc_lo, v31, v33, vcc_lo
	flat_load_b32 v32, v[32:33]
	s_waitcnt vmcnt(0) lgkmcnt(0)
	v_mul_f32_e32 v32, s15, v32
	s_branch .LBB12_318
.LBB12_317:
	v_mov_b32_e32 v32, 0
.LBB12_318:
	v_dual_add_f32 v33, v9, v25 :: v_dual_add_f32 v34, v8, v24
	v_dual_add_f32 v35, v11, v27 :: v_dual_add_f32 v36, v10, v26
	s_delay_alu instid0(VALU_DEP_2) | instskip(SKIP_1) | instid1(VALU_DEP_3)
	v_min3_f32 v37, v34, v33, v99
	v_lshlrev_b64 v[33:34], 2, v[84:85]
	v_min_f32_e32 v35, v36, v35
	s_delay_alu instid0(VALU_DEP_1) | instskip(NEXT) | instid1(VALU_DEP_3)
	v_min3_f32 v35, v32, v35, v37
	v_add_co_u32 v32, vcc_lo, v28, v33
	s_delay_alu instid0(VALU_DEP_4) | instskip(SKIP_3) | instid1(SALU_CYCLE_1)
	v_add_co_ci_u32_e32 v33, vcc_lo, v29, v34, vcc_lo
	global_store_b32 v[32:33], v35, off
	s_or_b32 exec_lo, exec_lo, s8
	s_and_b32 s8, s3, s4
	s_and_saveexec_b32 s4, s8
	s_cbranch_execz .LBB12_323
.LBB12_319:
	v_cmp_ne_u32_e32 vcc_lo, 1, v88
	s_cbranch_vccnz .LBB12_321
; %bb.320:
	v_lshlrev_b64 v[32:33], 2, v[86:87]
	s_delay_alu instid0(VALU_DEP_1) | instskip(NEXT) | instid1(VALU_DEP_2)
	v_add_co_u32 v30, vcc_lo, v30, v32
	v_add_co_ci_u32_e32 v31, vcc_lo, v31, v33, vcc_lo
	flat_load_b32 v30, v[30:31]
	s_waitcnt vmcnt(0) lgkmcnt(0)
	v_mul_f32_e32 v30, s15, v30
	s_branch .LBB12_322
.LBB12_321:
	v_mov_b32_e32 v30, 0
.LBB12_322:
	v_dual_add_f32 v25, v1, v25 :: v_dual_add_f32 v24, v0, v24
	v_dual_add_f32 v27, v3, v27 :: v_dual_add_f32 v26, v2, v26
	s_delay_alu instid0(VALU_DEP_2) | instskip(SKIP_1) | instid1(VALU_DEP_3)
	v_min3_f32 v31, v24, v25, v98
	v_lshlrev_b64 v[24:25], 2, v[86:87]
	v_min_f32_e32 v26, v26, v27
	s_delay_alu instid0(VALU_DEP_1) | instskip(NEXT) | instid1(VALU_DEP_3)
	v_min3_f32 v26, v30, v26, v31
	v_add_co_u32 v24, vcc_lo, v28, v24
	s_delay_alu instid0(VALU_DEP_4)
	v_add_co_ci_u32_e32 v25, vcc_lo, v29, v25, vcc_lo
	global_store_b32 v[24:25], v26, off
.LBB12_323:
	s_or_b32 exec_lo, exec_lo, s4
	v_add_nc_u32_e32 v28, 0x70, v89
	s_delay_alu instid0(VALU_DEP_1) | instskip(SKIP_2) | instid1(VALU_DEP_3)
	v_mad_i64_i32 v[24:25], null, v28, s6, 0
	v_mad_i64_i32 v[26:27], null, v28, s5, 0
	v_cmp_gt_i32_e64 s4, s9, v28
	v_lshlrev_b64 v[24:25], 2, v[24:25]
	s_delay_alu instid0(VALU_DEP_2) | instskip(NEXT) | instid1(VALU_DEP_3)
	s_and_b32 s11, s0, s4
	v_lshlrev_b64 v[28:29], 2, v[26:27]
	s_delay_alu instid0(VALU_DEP_2) | instskip(NEXT) | instid1(VALU_DEP_3)
	v_add_co_u32 v26, vcc_lo, s12, v24
	v_add_co_ci_u32_e32 v27, vcc_lo, s13, v25, vcc_lo
	s_delay_alu instid0(VALU_DEP_3) | instskip(NEXT) | instid1(VALU_DEP_4)
	v_add_co_u32 v24, vcc_lo, s7, v28
	v_add_co_ci_u32_e32 v25, vcc_lo, s10, v29, vcc_lo
	s_and_saveexec_b32 s8, s11
	s_cbranch_execnz .LBB12_327
; %bb.324:
	s_or_b32 exec_lo, exec_lo, s8
	s_and_b32 s11, s1, s4
	s_delay_alu instid0(SALU_CYCLE_1)
	s_and_saveexec_b32 s8, s11
	s_cbranch_execnz .LBB12_331
.LBB12_325:
	s_or_b32 exec_lo, exec_lo, s8
	s_and_b32 s11, s2, s4
	s_delay_alu instid0(SALU_CYCLE_1)
	s_and_saveexec_b32 s8, s11
	s_cbranch_execnz .LBB12_335
.LBB12_326:
	s_or_b32 exec_lo, exec_lo, s8
	s_and_b32 s8, s3, s4
	s_delay_alu instid0(SALU_CYCLE_1)
	s_and_saveexec_b32 s4, s8
	s_cbranch_execnz .LBB12_339
	s_branch .LBB12_343
.LBB12_327:
	v_cmp_ne_u32_e32 vcc_lo, 1, v88
	s_cbranch_vccnz .LBB12_329
; %bb.328:
	v_lshlrev_b64 v[28:29], 2, v[80:81]
	s_delay_alu instid0(VALU_DEP_1) | instskip(NEXT) | instid1(VALU_DEP_2)
	v_add_co_u32 v28, vcc_lo, v26, v28
	v_add_co_ci_u32_e32 v29, vcc_lo, v27, v29, vcc_lo
	flat_load_b32 v28, v[28:29]
	s_waitcnt vmcnt(0) lgkmcnt(0)
	v_mul_f32_e32 v28, s15, v28
	s_branch .LBB12_330
.LBB12_329:
	v_mov_b32_e32 v28, 0
.LBB12_330:
	v_dual_add_f32 v29, v17, v21 :: v_dual_add_f32 v30, v16, v20
	v_dual_add_f32 v31, v19, v23 :: v_dual_add_f32 v32, v18, v22
	s_delay_alu instid0(VALU_DEP_2) | instskip(SKIP_1) | instid1(VALU_DEP_3)
	v_min3_f32 v33, v30, v29, v97
	v_lshlrev_b64 v[29:30], 2, v[80:81]
	v_min_f32_e32 v31, v32, v31
	s_delay_alu instid0(VALU_DEP_1) | instskip(NEXT) | instid1(VALU_DEP_3)
	v_min3_f32 v31, v28, v31, v33
	v_add_co_u32 v28, vcc_lo, v24, v29
	s_delay_alu instid0(VALU_DEP_4) | instskip(SKIP_3) | instid1(SALU_CYCLE_1)
	v_add_co_ci_u32_e32 v29, vcc_lo, v25, v30, vcc_lo
	global_store_b32 v[28:29], v31, off
	s_or_b32 exec_lo, exec_lo, s8
	s_and_b32 s11, s1, s4
	s_and_saveexec_b32 s8, s11
	s_cbranch_execz .LBB12_325
.LBB12_331:
	v_cmp_ne_u32_e32 vcc_lo, 1, v88
	s_cbranch_vccnz .LBB12_333
; %bb.332:
	v_lshlrev_b64 v[28:29], 2, v[82:83]
	s_delay_alu instid0(VALU_DEP_1) | instskip(NEXT) | instid1(VALU_DEP_2)
	v_add_co_u32 v28, vcc_lo, v26, v28
	v_add_co_ci_u32_e32 v29, vcc_lo, v27, v29, vcc_lo
	flat_load_b32 v28, v[28:29]
	s_waitcnt vmcnt(0) lgkmcnt(0)
	v_mul_f32_e32 v28, s15, v28
	s_branch .LBB12_334
.LBB12_333:
	v_mov_b32_e32 v28, 0
.LBB12_334:
	v_dual_add_f32 v29, v13, v21 :: v_dual_add_f32 v30, v12, v20
	v_dual_add_f32 v31, v15, v23 :: v_dual_add_f32 v32, v14, v22
	s_delay_alu instid0(VALU_DEP_2) | instskip(SKIP_1) | instid1(VALU_DEP_3)
	v_min3_f32 v33, v30, v29, v96
	v_lshlrev_b64 v[29:30], 2, v[82:83]
	v_min_f32_e32 v31, v32, v31
	s_delay_alu instid0(VALU_DEP_1) | instskip(NEXT) | instid1(VALU_DEP_3)
	v_min3_f32 v31, v28, v31, v33
	v_add_co_u32 v28, vcc_lo, v24, v29
	s_delay_alu instid0(VALU_DEP_4) | instskip(SKIP_3) | instid1(SALU_CYCLE_1)
	v_add_co_ci_u32_e32 v29, vcc_lo, v25, v30, vcc_lo
	global_store_b32 v[28:29], v31, off
	s_or_b32 exec_lo, exec_lo, s8
	s_and_b32 s11, s2, s4
	s_and_saveexec_b32 s8, s11
	s_cbranch_execz .LBB12_326
.LBB12_335:
	v_cmp_ne_u32_e32 vcc_lo, 1, v88
	s_cbranch_vccnz .LBB12_337
; %bb.336:
	v_lshlrev_b64 v[28:29], 2, v[84:85]
	s_delay_alu instid0(VALU_DEP_1) | instskip(NEXT) | instid1(VALU_DEP_2)
	v_add_co_u32 v28, vcc_lo, v26, v28
	v_add_co_ci_u32_e32 v29, vcc_lo, v27, v29, vcc_lo
	flat_load_b32 v28, v[28:29]
	s_waitcnt vmcnt(0) lgkmcnt(0)
	v_mul_f32_e32 v28, s15, v28
	s_branch .LBB12_338
.LBB12_337:
	v_mov_b32_e32 v28, 0
.LBB12_338:
	v_dual_add_f32 v29, v9, v21 :: v_dual_add_f32 v30, v8, v20
	v_dual_add_f32 v31, v11, v23 :: v_dual_add_f32 v32, v10, v22
	s_delay_alu instid0(VALU_DEP_2) | instskip(SKIP_1) | instid1(VALU_DEP_3)
	v_min3_f32 v33, v30, v29, v95
	v_lshlrev_b64 v[29:30], 2, v[84:85]
	v_min_f32_e32 v31, v32, v31
	s_delay_alu instid0(VALU_DEP_1) | instskip(NEXT) | instid1(VALU_DEP_3)
	v_min3_f32 v31, v28, v31, v33
	v_add_co_u32 v28, vcc_lo, v24, v29
	s_delay_alu instid0(VALU_DEP_4) | instskip(SKIP_3) | instid1(SALU_CYCLE_1)
	v_add_co_ci_u32_e32 v29, vcc_lo, v25, v30, vcc_lo
	global_store_b32 v[28:29], v31, off
	s_or_b32 exec_lo, exec_lo, s8
	s_and_b32 s8, s3, s4
	s_and_saveexec_b32 s4, s8
	s_cbranch_execz .LBB12_343
.LBB12_339:
	v_cmp_ne_u32_e32 vcc_lo, 1, v88
	s_cbranch_vccnz .LBB12_341
; %bb.340:
	v_lshlrev_b64 v[28:29], 2, v[86:87]
	s_delay_alu instid0(VALU_DEP_1) | instskip(NEXT) | instid1(VALU_DEP_2)
	v_add_co_u32 v26, vcc_lo, v26, v28
	v_add_co_ci_u32_e32 v27, vcc_lo, v27, v29, vcc_lo
	flat_load_b32 v26, v[26:27]
	s_waitcnt vmcnt(0) lgkmcnt(0)
	v_mul_f32_e32 v26, s15, v26
	s_branch .LBB12_342
.LBB12_341:
	v_mov_b32_e32 v26, 0
.LBB12_342:
	v_dual_add_f32 v21, v1, v21 :: v_dual_add_f32 v20, v0, v20
	v_dual_add_f32 v23, v3, v23 :: v_dual_add_f32 v22, v2, v22
	s_delay_alu instid0(VALU_DEP_2) | instskip(SKIP_1) | instid1(VALU_DEP_3)
	v_min3_f32 v27, v20, v21, v94
	v_lshlrev_b64 v[20:21], 2, v[86:87]
	v_min_f32_e32 v22, v22, v23
	s_delay_alu instid0(VALU_DEP_1) | instskip(NEXT) | instid1(VALU_DEP_3)
	v_min3_f32 v22, v26, v22, v27
	v_add_co_u32 v20, vcc_lo, v24, v20
	s_delay_alu instid0(VALU_DEP_4)
	v_add_co_ci_u32_e32 v21, vcc_lo, v25, v21, vcc_lo
	global_store_b32 v[20:21], v22, off
.LBB12_343:
	s_or_b32 exec_lo, exec_lo, s4
	v_add_nc_u32_e32 v24, 0x78, v89
	s_delay_alu instid0(VALU_DEP_1) | instskip(SKIP_2) | instid1(VALU_DEP_3)
	v_mad_i64_i32 v[20:21], null, v24, s6, 0
	v_mad_i64_i32 v[22:23], null, v24, s5, 0
	v_cmp_gt_i32_e64 s4, s9, v24
	v_lshlrev_b64 v[20:21], 2, v[20:21]
	s_delay_alu instid0(VALU_DEP_2) | instskip(NEXT) | instid1(VALU_DEP_3)
	s_and_b32 s5, s0, s4
	v_lshlrev_b64 v[22:23], 2, v[22:23]
	s_delay_alu instid0(VALU_DEP_2) | instskip(NEXT) | instid1(VALU_DEP_3)
	v_add_co_u32 v24, vcc_lo, s12, v20
	v_add_co_ci_u32_e32 v25, vcc_lo, s13, v21, vcc_lo
	s_delay_alu instid0(VALU_DEP_3) | instskip(NEXT) | instid1(VALU_DEP_4)
	v_add_co_u32 v22, vcc_lo, s7, v22
	v_add_co_ci_u32_e32 v23, vcc_lo, s10, v23, vcc_lo
	s_and_saveexec_b32 s0, s5
	s_cbranch_execnz .LBB12_348
; %bb.344:
	s_or_b32 exec_lo, exec_lo, s0
	s_and_b32 s1, s1, s4
	s_delay_alu instid0(SALU_CYCLE_1)
	s_and_saveexec_b32 s0, s1
	s_cbranch_execnz .LBB12_352
.LBB12_345:
	s_or_b32 exec_lo, exec_lo, s0
	s_and_b32 s1, s2, s4
	s_delay_alu instid0(SALU_CYCLE_1)
	s_and_saveexec_b32 s0, s1
	s_cbranch_execnz .LBB12_356
.LBB12_346:
	s_or_b32 exec_lo, exec_lo, s0
	s_and_b32 s0, s3, s4
	s_delay_alu instid0(SALU_CYCLE_1)
	s_and_saveexec_b32 s1, s0
	s_cbranch_execnz .LBB12_360
.LBB12_347:
	s_nop 0
	s_sendmsg sendmsg(MSG_DEALLOC_VGPRS)
	s_endpgm
.LBB12_348:
	v_cmp_ne_u32_e32 vcc_lo, 1, v88
	v_lshlrev_b64 v[20:21], 2, v[80:81]
	s_cbranch_vccnz .LBB12_350
; %bb.349:
	s_delay_alu instid0(VALU_DEP_1) | instskip(NEXT) | instid1(VALU_DEP_2)
	v_add_co_u32 v26, vcc_lo, v24, v20
	v_add_co_ci_u32_e32 v27, vcc_lo, v25, v21, vcc_lo
	flat_load_b32 v26, v[26:27]
	s_waitcnt vmcnt(0) lgkmcnt(0)
	v_mul_f32_e32 v26, s15, v26
	s_branch .LBB12_351
.LBB12_350:
	v_mov_b32_e32 v26, 0
.LBB12_351:
	v_dual_add_f32 v17, v17, v5 :: v_dual_add_f32 v16, v16, v4
	v_dual_add_f32 v19, v19, v7 :: v_dual_add_f32 v18, v18, v6
	s_delay_alu instid0(VALU_DEP_2) | instskip(NEXT) | instid1(VALU_DEP_2)
	v_min3_f32 v16, v16, v17, v93
	v_min_f32_e32 v17, v18, v19
	s_delay_alu instid0(VALU_DEP_1)
	v_min3_f32 v18, v26, v17, v16
	v_add_co_u32 v16, vcc_lo, v22, v20
	v_add_co_ci_u32_e32 v17, vcc_lo, v23, v21, vcc_lo
	global_store_b32 v[16:17], v18, off
	s_or_b32 exec_lo, exec_lo, s0
	s_and_b32 s1, s1, s4
	s_delay_alu instid0(SALU_CYCLE_1)
	s_and_saveexec_b32 s0, s1
	s_cbranch_execz .LBB12_345
.LBB12_352:
	v_cmp_ne_u32_e32 vcc_lo, 1, v88
	v_lshlrev_b64 v[16:17], 2, v[82:83]
	s_cbranch_vccnz .LBB12_354
; %bb.353:
	s_delay_alu instid0(VALU_DEP_1) | instskip(NEXT) | instid1(VALU_DEP_2)
	v_add_co_u32 v18, vcc_lo, v24, v16
	v_add_co_ci_u32_e32 v19, vcc_lo, v25, v17, vcc_lo
	flat_load_b32 v18, v[18:19]
	s_waitcnt vmcnt(0) lgkmcnt(0)
	v_mul_f32_e32 v18, s15, v18
	s_branch .LBB12_355
.LBB12_354:
	v_mov_b32_e32 v18, 0
.LBB12_355:
	v_dual_add_f32 v13, v13, v5 :: v_dual_add_f32 v12, v12, v4
	v_dual_add_f32 v15, v15, v7 :: v_dual_add_f32 v14, v14, v6
	s_delay_alu instid0(VALU_DEP_2) | instskip(NEXT) | instid1(VALU_DEP_2)
	v_min3_f32 v12, v12, v13, v92
	v_min_f32_e32 v13, v14, v15
	s_delay_alu instid0(VALU_DEP_1)
	v_min3_f32 v14, v18, v13, v12
	v_add_co_u32 v12, vcc_lo, v22, v16
	v_add_co_ci_u32_e32 v13, vcc_lo, v23, v17, vcc_lo
	global_store_b32 v[12:13], v14, off
	s_or_b32 exec_lo, exec_lo, s0
	s_and_b32 s1, s2, s4
	s_delay_alu instid0(SALU_CYCLE_1)
	s_and_saveexec_b32 s0, s1
	s_cbranch_execz .LBB12_346
.LBB12_356:
	v_cmp_ne_u32_e32 vcc_lo, 1, v88
	v_lshlrev_b64 v[12:13], 2, v[84:85]
	s_cbranch_vccnz .LBB12_358
; %bb.357:
	s_delay_alu instid0(VALU_DEP_1) | instskip(NEXT) | instid1(VALU_DEP_2)
	v_add_co_u32 v14, vcc_lo, v24, v12
	v_add_co_ci_u32_e32 v15, vcc_lo, v25, v13, vcc_lo
	flat_load_b32 v14, v[14:15]
	s_waitcnt vmcnt(0) lgkmcnt(0)
	v_mul_f32_e32 v14, s15, v14
	s_branch .LBB12_359
.LBB12_358:
	v_mov_b32_e32 v14, 0
.LBB12_359:
	v_dual_add_f32 v9, v9, v5 :: v_dual_add_f32 v8, v8, v4
	v_dual_add_f32 v11, v11, v7 :: v_dual_add_f32 v10, v10, v6
	s_delay_alu instid0(VALU_DEP_2) | instskip(NEXT) | instid1(VALU_DEP_2)
	v_min3_f32 v8, v8, v9, v91
	v_min_f32_e32 v9, v10, v11
	s_delay_alu instid0(VALU_DEP_1)
	v_min3_f32 v10, v14, v9, v8
	v_add_co_u32 v8, vcc_lo, v22, v12
	v_add_co_ci_u32_e32 v9, vcc_lo, v23, v13, vcc_lo
	global_store_b32 v[8:9], v10, off
	s_or_b32 exec_lo, exec_lo, s0
	s_and_b32 s0, s3, s4
	s_delay_alu instid0(SALU_CYCLE_1)
	s_and_saveexec_b32 s1, s0
	s_cbranch_execz .LBB12_347
.LBB12_360:
	v_cmp_ne_u32_e32 vcc_lo, 1, v88
	v_lshlrev_b64 v[8:9], 2, v[86:87]
	s_cbranch_vccnz .LBB12_362
; %bb.361:
	s_delay_alu instid0(VALU_DEP_1) | instskip(NEXT) | instid1(VALU_DEP_2)
	v_add_co_u32 v10, vcc_lo, v24, v8
	v_add_co_ci_u32_e32 v11, vcc_lo, v25, v9, vcc_lo
	flat_load_b32 v10, v[10:11]
	s_waitcnt vmcnt(0) lgkmcnt(0)
	v_mul_f32_e32 v10, s15, v10
	s_branch .LBB12_363
.LBB12_362:
	v_mov_b32_e32 v10, 0
.LBB12_363:
	v_dual_add_f32 v1, v1, v5 :: v_dual_add_f32 v0, v0, v4
	v_dual_add_f32 v3, v3, v7 :: v_dual_add_f32 v2, v2, v6
	s_delay_alu instid0(VALU_DEP_2) | instskip(NEXT) | instid1(VALU_DEP_2)
	v_min3_f32 v0, v0, v1, v90
	v_min_f32_e32 v1, v2, v3
	s_delay_alu instid0(VALU_DEP_1)
	v_min3_f32 v2, v10, v1, v0
	v_add_co_u32 v0, vcc_lo, v22, v8
	v_add_co_ci_u32_e32 v1, vcc_lo, v23, v9, vcc_lo
	global_store_b32 v[0:1], v2, off
	s_nop 0
	s_sendmsg sendmsg(MSG_DEALLOC_VGPRS)
	s_endpgm
	.section	.rodata,"a",@progbits
	.p2align	6, 0x0
	.amdhsa_kernel _ZN12_GLOBAL__N_120geam_min_plus_kernelIf15HIP_vector_typeIfLj2EEfLi32ELi8ELi128ELi128ELi4ELi4ELi64ELi4ELi64ELc84ELc78ELb0ELb1ELb1EPKfKS4_KPfEEviiiT16_PT17_ilSA_ilS8_SA_ilPT18_ili26rocblas_geam_ex_operation_
		.amdhsa_group_segment_fixed_size 8192
		.amdhsa_private_segment_fixed_size 76
		.amdhsa_kernarg_size 136
		.amdhsa_user_sgpr_count 14
		.amdhsa_user_sgpr_dispatch_ptr 0
		.amdhsa_user_sgpr_queue_ptr 0
		.amdhsa_user_sgpr_kernarg_segment_ptr 1
		.amdhsa_user_sgpr_dispatch_id 0
		.amdhsa_user_sgpr_private_segment_size 0
		.amdhsa_wavefront_size32 1
		.amdhsa_uses_dynamic_stack 0
		.amdhsa_enable_private_segment 1
		.amdhsa_system_sgpr_workgroup_id_x 1
		.amdhsa_system_sgpr_workgroup_id_y 0
		.amdhsa_system_sgpr_workgroup_id_z 1
		.amdhsa_system_sgpr_workgroup_info 0
		.amdhsa_system_vgpr_workitem_id 1
		.amdhsa_next_free_vgpr 256
		.amdhsa_next_free_sgpr 28
		.amdhsa_reserve_vcc 1
		.amdhsa_float_round_mode_32 0
		.amdhsa_float_round_mode_16_64 0
		.amdhsa_float_denorm_mode_32 3
		.amdhsa_float_denorm_mode_16_64 3
		.amdhsa_dx10_clamp 1
		.amdhsa_ieee_mode 1
		.amdhsa_fp16_overflow 0
		.amdhsa_workgroup_processor_mode 1
		.amdhsa_memory_ordered 1
		.amdhsa_forward_progress 0
		.amdhsa_shared_vgpr_count 0
		.amdhsa_exception_fp_ieee_invalid_op 0
		.amdhsa_exception_fp_denorm_src 0
		.amdhsa_exception_fp_ieee_div_zero 0
		.amdhsa_exception_fp_ieee_overflow 0
		.amdhsa_exception_fp_ieee_underflow 0
		.amdhsa_exception_fp_ieee_inexact 0
		.amdhsa_exception_int_div_zero 0
	.end_amdhsa_kernel
	.section	.text._ZN12_GLOBAL__N_120geam_min_plus_kernelIf15HIP_vector_typeIfLj2EEfLi32ELi8ELi128ELi128ELi4ELi4ELi64ELi4ELi64ELc84ELc78ELb0ELb1ELb1EPKfKS4_KPfEEviiiT16_PT17_ilSA_ilS8_SA_ilPT18_ili26rocblas_geam_ex_operation_,"axG",@progbits,_ZN12_GLOBAL__N_120geam_min_plus_kernelIf15HIP_vector_typeIfLj2EEfLi32ELi8ELi128ELi128ELi4ELi4ELi64ELi4ELi64ELc84ELc78ELb0ELb1ELb1EPKfKS4_KPfEEviiiT16_PT17_ilSA_ilS8_SA_ilPT18_ili26rocblas_geam_ex_operation_,comdat
.Lfunc_end12:
	.size	_ZN12_GLOBAL__N_120geam_min_plus_kernelIf15HIP_vector_typeIfLj2EEfLi32ELi8ELi128ELi128ELi4ELi4ELi64ELi4ELi64ELc84ELc78ELb0ELb1ELb1EPKfKS4_KPfEEviiiT16_PT17_ilSA_ilS8_SA_ilPT18_ili26rocblas_geam_ex_operation_, .Lfunc_end12-_ZN12_GLOBAL__N_120geam_min_plus_kernelIf15HIP_vector_typeIfLj2EEfLi32ELi8ELi128ELi128ELi4ELi4ELi64ELi4ELi64ELc84ELc78ELb0ELb1ELb1EPKfKS4_KPfEEviiiT16_PT17_ilSA_ilS8_SA_ilPT18_ili26rocblas_geam_ex_operation_
                                        ; -- End function
	.section	.AMDGPU.csdata,"",@progbits
; Kernel info:
; codeLenInByte = 22376
; NumSgprs: 30
; NumVgprs: 256
; ScratchSize: 76
; MemoryBound: 0
; FloatMode: 240
; IeeeMode: 1
; LDSByteSize: 8192 bytes/workgroup (compile time only)
; SGPRBlocks: 3
; VGPRBlocks: 31
; NumSGPRsForWavesPerEU: 30
; NumVGPRsForWavesPerEU: 256
; Occupancy: 5
; WaveLimiterHint : 1
; COMPUTE_PGM_RSRC2:SCRATCH_EN: 1
; COMPUTE_PGM_RSRC2:USER_SGPR: 14
; COMPUTE_PGM_RSRC2:TRAP_HANDLER: 0
; COMPUTE_PGM_RSRC2:TGID_X_EN: 1
; COMPUTE_PGM_RSRC2:TGID_Y_EN: 0
; COMPUTE_PGM_RSRC2:TGID_Z_EN: 1
; COMPUTE_PGM_RSRC2:TIDIG_COMP_CNT: 1
	.section	.text._ZN12_GLOBAL__N_120geam_min_plus_kernelIf15HIP_vector_typeIfLj2EEfLi32ELi8ELi128ELi128ELi4ELi4ELi64ELi4ELi64ELc84ELc78ELb1ELb1ELb1EfKPKfKPfEEviiiT16_PT17_ilSA_ilS8_SA_ilPT18_ili26rocblas_geam_ex_operation_,"axG",@progbits,_ZN12_GLOBAL__N_120geam_min_plus_kernelIf15HIP_vector_typeIfLj2EEfLi32ELi8ELi128ELi128ELi4ELi4ELi64ELi4ELi64ELc84ELc78ELb1ELb1ELb1EfKPKfKPfEEviiiT16_PT17_ilSA_ilS8_SA_ilPT18_ili26rocblas_geam_ex_operation_,comdat
	.globl	_ZN12_GLOBAL__N_120geam_min_plus_kernelIf15HIP_vector_typeIfLj2EEfLi32ELi8ELi128ELi128ELi4ELi4ELi64ELi4ELi64ELc84ELc78ELb1ELb1ELb1EfKPKfKPfEEviiiT16_PT17_ilSA_ilS8_SA_ilPT18_ili26rocblas_geam_ex_operation_ ; -- Begin function _ZN12_GLOBAL__N_120geam_min_plus_kernelIf15HIP_vector_typeIfLj2EEfLi32ELi8ELi128ELi128ELi4ELi4ELi64ELi4ELi64ELc84ELc78ELb1ELb1ELb1EfKPKfKPfEEviiiT16_PT17_ilSA_ilS8_SA_ilPT18_ili26rocblas_geam_ex_operation_
	.p2align	8
	.type	_ZN12_GLOBAL__N_120geam_min_plus_kernelIf15HIP_vector_typeIfLj2EEfLi32ELi8ELi128ELi128ELi4ELi4ELi64ELi4ELi64ELc84ELc78ELb1ELb1ELb1EfKPKfKPfEEviiiT16_PT17_ilSA_ilS8_SA_ilPT18_ili26rocblas_geam_ex_operation_,@function
_ZN12_GLOBAL__N_120geam_min_plus_kernelIf15HIP_vector_typeIfLj2EEfLi32ELi8ELi128ELi128ELi4ELi4ELi64ELi4ELi64ELc84ELc78ELb1ELb1ELb1EfKPKfKPfEEviiiT16_PT17_ilSA_ilS8_SA_ilPT18_ili26rocblas_geam_ex_operation_: ; @_ZN12_GLOBAL__N_120geam_min_plus_kernelIf15HIP_vector_typeIfLj2EEfLi32ELi8ELi128ELi128ELi4ELi4ELi64ELi4ELi64ELc84ELc78ELb1ELb1ELb1EfKPKfKPfEEviiiT16_PT17_ilSA_ilS8_SA_ilPT18_ili26rocblas_geam_ex_operation_
; %bb.0:
	s_clause 0x1
	s_load_b128 s[8:11], s[0:1], 0x0
	s_load_b128 s[4:7], s[0:1], 0x20
	s_mov_b32 s2, s15
	s_mov_b32 s3, 0
	s_waitcnt lgkmcnt(0)
	v_cmp_eq_f32_e64 s11, s11, 0
	s_delay_alu instid0(VALU_DEP_1)
	s_and_b32 vcc_lo, exec_lo, s11
	s_cbranch_vccnz .LBB13_3
; %bb.1:
	s_load_b64 s[12:13], s[0:1], 0x10
	s_lshl_b64 s[16:17], s[2:3], 3
	s_waitcnt lgkmcnt(0)
	s_add_u32 s12, s12, s16
	s_addc_u32 s13, s13, s17
	s_lshl_b64 s[4:5], s[4:5], 2
	s_load_b64 s[12:13], s[12:13], 0x0
	s_waitcnt lgkmcnt(0)
	s_add_u32 s18, s12, s4
	s_addc_u32 s19, s13, s5
	s_and_not1_b32 vcc_lo, exec_lo, s11
	s_cbranch_vccnz .LBB13_4
.LBB13_2:
	s_mov_b64 s[20:21], 0
	s_and_not1_b32 vcc_lo, exec_lo, s3
	s_cbranch_vccz .LBB13_5
	s_branch .LBB13_6
.LBB13_3:
	s_mov_b64 s[18:19], 0
	s_and_not1_b32 vcc_lo, exec_lo, s11
	s_cbranch_vccz .LBB13_2
.LBB13_4:
	s_mov_b32 s3, -1
                                        ; implicit-def: $sgpr20_sgpr21
.LBB13_5:
	s_mov_b32 s3, 0
	s_load_b64 s[12:13], s[0:1], 0x38
	s_lshl_b64 s[4:5], s[2:3], 3
	s_delay_alu instid0(SALU_CYCLE_1) | instskip(SKIP_4) | instid1(SALU_CYCLE_1)
	s_add_u32 s4, s6, s4
	s_addc_u32 s5, s7, s5
	s_load_b64 s[4:5], s[4:5], 0x0
	s_waitcnt lgkmcnt(0)
	s_lshl_b64 s[6:7], s[12:13], 2
	s_add_u32 s20, s4, s6
	s_addc_u32 s21, s5, s7
.LBB13_6:
	s_clause 0x1
	s_load_b32 s11, s[0:1], 0x40
	s_load_b128 s[4:7], s[0:1], 0x58
	s_waitcnt lgkmcnt(0)
	v_cmp_eq_f32_e64 s12, s11, 0
	v_cmp_neq_f32_e64 s15, s11, 0
	s_delay_alu instid0(VALU_DEP_2)
	s_and_b32 vcc_lo, exec_lo, s12
	s_cbranch_vccnz .LBB13_8
; %bb.7:
	s_load_b64 s[12:13], s[0:1], 0x48
	s_lshl_b64 s[16:17], s[2:3], 3
	s_waitcnt lgkmcnt(0)
	s_add_u32 s12, s12, s16
	s_addc_u32 s13, s13, s17
	s_lshl_b64 s[4:5], s[4:5], 2
	s_load_b64 s[12:13], s[12:13], 0x0
	s_waitcnt lgkmcnt(0)
	s_add_u32 s12, s12, s4
	s_addc_u32 s13, s13, s5
	s_branch .LBB13_9
.LBB13_8:
	s_mov_b64 s[12:13], 0
.LBB13_9:
	s_lshl_b64 s[2:3], s[2:3], 3
	v_and_b32_e32 v16, 0x3ff, v0
	s_add_u32 s2, s6, s2
	s_addc_u32 s3, s7, s3
	s_add_i32 s4, s8, -1
	v_bfe_u32 v17, v0, 10, 10
	s_ashr_i32 s5, s4, 31
	s_load_b32 s22, s[0:1], 0x18
	s_lshr_b32 s5, s5, 25
	v_dual_mov_b32 v2, 0x7f7fffff :: v_dual_and_b32 v83, 3, v16
	s_add_i32 s4, s4, s5
	v_lshl_add_u32 v0, v17, 5, v16
	s_ashr_i32 s4, s4, 7
	s_delay_alu instid0(VALU_DEP_2) | instskip(SKIP_4) | instid1(VALU_DEP_2)
	v_lshlrev_b32_e32 v84, 2, v83
	s_add_i32 s5, s4, 1
	s_not_b32 s4, s4
	v_cvt_f32_u32_e32 v1, s5
	v_lshrrev_b32_e32 v0, 2, v0
	v_rcp_iflag_f32_e32 v1, v1
	s_waitcnt_depctr 0xfff
	v_mul_f32_e32 v1, 0x4f7ffffe, v1
	s_delay_alu instid0(VALU_DEP_1) | instskip(NEXT) | instid1(VALU_DEP_1)
	v_cvt_u32_f32_e32 v1, v1
	v_readfirstlane_b32 s6, v1
	v_mov_b32_e32 v1, 0x7f7fffff
	s_delay_alu instid0(VALU_DEP_2) | instskip(NEXT) | instid1(SALU_CYCLE_1)
	s_mul_i32 s4, s4, s6
	s_mul_hi_u32 s4, s6, s4
	s_delay_alu instid0(SALU_CYCLE_1) | instskip(NEXT) | instid1(SALU_CYCLE_1)
	s_add_i32 s6, s6, s4
	s_mul_hi_u32 s4, s14, s6
	s_delay_alu instid0(SALU_CYCLE_1) | instskip(SKIP_2) | instid1(SALU_CYCLE_1)
	s_mul_i32 s6, s4, s5
	s_add_i32 s7, s4, 1
	s_sub_i32 s6, s14, s6
	s_sub_i32 s16, s6, s5
	s_cmp_ge_u32 s6, s5
	s_cselect_b32 s4, s7, s4
	s_cselect_b32 s6, s16, s6
	s_add_i32 s7, s4, 1
	s_cmp_ge_u32 s6, s5
	s_load_b64 s[16:17], s[2:3], 0x0
	s_cselect_b32 s4, s7, s4
	s_delay_alu instid0(SALU_CYCLE_1) | instskip(SKIP_2) | instid1(SALU_CYCLE_1)
	s_mul_i32 s2, s4, s5
	v_cmp_le_i32_e64 s5, s10, v83
	s_sub_i32 s2, s14, s2
	s_lshl_b32 s14, s2, 7
	v_add_co_u32 v3, s2, s18, v84
	v_add_nc_u32_e32 v64, s14, v0
	v_add_co_ci_u32_e64 v4, null, s19, 0, s2
	s_delay_alu instid0(VALU_DEP_2) | instskip(SKIP_1) | instid1(SALU_CYCLE_1)
	v_cmp_le_i32_e32 vcc_lo, s8, v64
	s_or_b32 s2, s5, vcc_lo
	s_xor_b32 s2, s2, -1
	s_delay_alu instid0(SALU_CYCLE_1)
	s_and_saveexec_b32 s3, s2
	s_cbranch_execz .LBB13_11
; %bb.10:
	s_waitcnt lgkmcnt(0)
	v_mad_i64_i32 v[5:6], null, v64, s22, 0
	s_delay_alu instid0(VALU_DEP_1) | instskip(NEXT) | instid1(VALU_DEP_1)
	v_lshlrev_b64 v[5:6], 2, v[5:6]
	v_add_co_u32 v5, s2, v3, v5
	s_delay_alu instid0(VALU_DEP_1)
	v_add_co_ci_u32_e64 v6, s2, v4, v6, s2
	flat_load_b32 v2, v[5:6]
.LBB13_11:
	s_or_b32 exec_lo, exec_lo, s3
	v_add_nc_u32_e32 v5, 64, v64
	s_delay_alu instid0(VALU_DEP_1) | instskip(SKIP_2) | instid1(SALU_CYCLE_1)
	v_cmp_le_i32_e64 s2, s8, v5
	scratch_store_b32 off, v5, off offset:68 ; 4-byte Folded Spill
	s_or_b32 s3, s5, s2
	s_xor_b32 s3, s3, -1
	s_delay_alu instid0(SALU_CYCLE_1)
	s_and_saveexec_b32 s6, s3
	s_cbranch_execz .LBB13_13
; %bb.12:
	v_add_nc_u32_e32 v1, 64, v64
	s_waitcnt lgkmcnt(0)
	s_delay_alu instid0(VALU_DEP_1) | instskip(NEXT) | instid1(VALU_DEP_1)
	v_mad_i64_i32 v[5:6], null, v1, s22, 0
	v_lshlrev_b64 v[5:6], 2, v[5:6]
	s_delay_alu instid0(VALU_DEP_1) | instskip(NEXT) | instid1(VALU_DEP_1)
	v_add_co_u32 v5, s3, v3, v5
	v_add_co_ci_u32_e64 v6, s3, v4, v6, s3
	flat_load_b32 v1, v[5:6]
.LBB13_13:
	s_or_b32 exec_lo, exec_lo, s6
	s_load_b32 s23, s[0:1], 0x30
	s_lshl_b32 s7, s4, 7
	s_delay_alu instid0(SALU_CYCLE_1) | instskip(SKIP_1) | instid1(VALU_DEP_1)
	v_dual_mov_b32 v5, 0x7f7fffff :: v_dual_add_nc_u32 v18, s7, v0
	v_add_co_u32 v7, s4, s20, v84
	v_add_co_ci_u32_e64 v8, null, s21, 0, s4
	s_delay_alu instid0(VALU_DEP_3) | instskip(SKIP_1) | instid1(VALU_DEP_2)
	v_cmp_le_i32_e64 s3, s9, v18
	v_mov_b32_e32 v6, 0x7f7fffff
	s_or_b32 s4, s5, s3
	s_delay_alu instid0(SALU_CYCLE_1) | instskip(NEXT) | instid1(SALU_CYCLE_1)
	s_xor_b32 s4, s4, -1
	s_and_saveexec_b32 s6, s4
	s_cbranch_execz .LBB13_15
; %bb.14:
	s_waitcnt lgkmcnt(0)
	v_mad_i64_i32 v[9:10], null, v18, s23, 0
	s_delay_alu instid0(VALU_DEP_1) | instskip(NEXT) | instid1(VALU_DEP_1)
	v_lshlrev_b64 v[9:10], 2, v[9:10]
	v_add_co_u32 v9, s4, v7, v9
	s_delay_alu instid0(VALU_DEP_1)
	v_add_co_ci_u32_e64 v10, s4, v8, v10, s4
	flat_load_b32 v6, v[9:10]
.LBB13_15:
	s_or_b32 exec_lo, exec_lo, s6
	v_add_nc_u32_e32 v9, 64, v18
	s_delay_alu instid0(VALU_DEP_1) | instskip(SKIP_2) | instid1(SALU_CYCLE_1)
	v_cmp_le_i32_e64 s4, s9, v9
	scratch_store_b32 off, v9, off offset:72 ; 4-byte Folded Spill
	s_or_b32 s5, s5, s4
	s_xor_b32 s5, s5, -1
	s_delay_alu instid0(SALU_CYCLE_1)
	s_and_saveexec_b32 s6, s5
	s_cbranch_execz .LBB13_17
; %bb.16:
	v_add_nc_u32_e32 v5, 64, v18
	s_waitcnt lgkmcnt(0)
	s_delay_alu instid0(VALU_DEP_1) | instskip(NEXT) | instid1(VALU_DEP_1)
	v_mad_i64_i32 v[9:10], null, v5, s23, 0
	v_lshlrev_b64 v[9:10], 2, v[9:10]
	s_delay_alu instid0(VALU_DEP_1) | instskip(NEXT) | instid1(VALU_DEP_1)
	v_add_co_u32 v9, s5, v7, v9
	v_add_co_ci_u32_e64 v10, s5, v8, v10, s5
	flat_load_b32 v5, v[9:10]
.LBB13_17:
	s_or_b32 exec_lo, exec_lo, s6
	v_or_b32_e32 v9, 4, v83
	v_dual_mov_b32 v20, 0x7f7fffff :: v_dual_mov_b32 v21, 0x7f7fffff
	s_delay_alu instid0(VALU_DEP_2) | instskip(NEXT) | instid1(VALU_DEP_1)
	v_cmp_le_i32_e64 s5, s10, v9
	s_or_b32 s6, s5, vcc_lo
	s_delay_alu instid0(SALU_CYCLE_1) | instskip(NEXT) | instid1(SALU_CYCLE_1)
	s_xor_b32 s6, s6, -1
	s_and_saveexec_b32 s24, s6
	s_cbranch_execz .LBB13_19
; %bb.18:
	s_waitcnt lgkmcnt(0)
	v_mad_i64_i32 v[9:10], null, v64, s22, 0
	s_delay_alu instid0(VALU_DEP_1) | instskip(NEXT) | instid1(VALU_DEP_1)
	v_lshlrev_b64 v[9:10], 2, v[9:10]
	v_add_co_u32 v9, s6, v3, v9
	s_delay_alu instid0(VALU_DEP_1)
	v_add_co_ci_u32_e64 v10, s6, v4, v10, s6
	flat_load_b32 v21, v[9:10] offset:16
.LBB13_19:
	s_or_b32 exec_lo, exec_lo, s24
	s_or_b32 s6, s5, s2
	s_delay_alu instid0(SALU_CYCLE_1) | instskip(NEXT) | instid1(SALU_CYCLE_1)
	s_xor_b32 s6, s6, -1
	s_and_saveexec_b32 s24, s6
	s_cbranch_execz .LBB13_21
; %bb.20:
	v_add_nc_u32_e32 v11, 64, v64
	s_waitcnt lgkmcnt(0)
	s_delay_alu instid0(VALU_DEP_1) | instskip(NEXT) | instid1(VALU_DEP_1)
	v_mad_i64_i32 v[9:10], null, v11, s22, 0
	v_lshlrev_b64 v[9:10], 2, v[9:10]
	s_delay_alu instid0(VALU_DEP_1) | instskip(NEXT) | instid1(VALU_DEP_1)
	v_add_co_u32 v3, s6, v3, v9
	v_add_co_ci_u32_e64 v4, s6, v4, v10, s6
	flat_load_b32 v20, v[3:4] offset:16
.LBB13_21:
	s_or_b32 exec_lo, exec_lo, s24
	v_dual_mov_b32 v22, 0x7f7fffff :: v_dual_mov_b32 v23, 0x7f7fffff
	s_or_b32 s6, s5, s3
	s_delay_alu instid0(SALU_CYCLE_1) | instskip(NEXT) | instid1(SALU_CYCLE_1)
	s_xor_b32 s6, s6, -1
	s_and_saveexec_b32 s24, s6
	s_cbranch_execz .LBB13_23
; %bb.22:
	s_waitcnt lgkmcnt(0)
	v_mad_i64_i32 v[3:4], null, v18, s23, 0
	s_delay_alu instid0(VALU_DEP_1) | instskip(NEXT) | instid1(VALU_DEP_1)
	v_lshlrev_b64 v[3:4], 2, v[3:4]
	v_add_co_u32 v3, s6, v7, v3
	s_delay_alu instid0(VALU_DEP_1)
	v_add_co_ci_u32_e64 v4, s6, v8, v4, s6
	flat_load_b32 v23, v[3:4] offset:16
.LBB13_23:
	s_or_b32 exec_lo, exec_lo, s24
	s_or_b32 s5, s5, s4
	s_delay_alu instid0(SALU_CYCLE_1) | instskip(NEXT) | instid1(SALU_CYCLE_1)
	s_xor_b32 s5, s5, -1
	s_and_saveexec_b32 s6, s5
	s_cbranch_execz .LBB13_25
; %bb.24:
	v_add_nc_u32_e32 v9, 64, v18
	s_waitcnt lgkmcnt(0)
	s_delay_alu instid0(VALU_DEP_1) | instskip(NEXT) | instid1(VALU_DEP_1)
	v_mad_i64_i32 v[3:4], null, v9, s23, 0
	v_lshlrev_b64 v[3:4], 2, v[3:4]
	s_delay_alu instid0(VALU_DEP_1) | instskip(NEXT) | instid1(VALU_DEP_1)
	v_add_co_u32 v3, s5, v7, v3
	v_add_co_ci_u32_e64 v4, s5, v8, v4, s5
	flat_load_b32 v22, v[3:4] offset:16
.LBB13_25:
	s_or_b32 exec_lo, exec_lo, s6
	v_lshl_or_b32 v86, v0, 4, v84
	v_lshlrev_b32_e32 v82, 4, v17
	v_lshlrev_b32_e32 v85, 4, v16
	s_cmp_lt_i32 s10, 9
	s_waitcnt vmcnt(0) lgkmcnt(0)
	ds_store_2addr_stride64_b32 v86, v2, v1 offset1:4
	ds_store_2addr_stride64_b32 v86, v6, v5 offset0:16 offset1:20
	s_waitcnt lgkmcnt(0)
	s_waitcnt_vscnt null, 0x0
	s_barrier
	buffer_gl0_inv
	ds_load_b128 v[34:37], v82 offset:4096
	ds_load_b128 v[4:7], v85
	ds_load_b128 v[12:15], v85 offset:512
	ds_load_b128 v[8:11], v85 offset:1024
	;; [unrolled: 1-line block ×4, first 2 shown]
	s_waitcnt lgkmcnt(4)
	v_dual_add_f32 v164, v7, v37 :: v_dual_add_f32 v19, v5, v35
	v_add_f32_e32 v162, v6, v36
	s_waitcnt lgkmcnt(0)
	v_add_f32_e32 v160, v4, v53
	v_add_f32_e32 v146, v7, v56
	scratch_store_b32 off, v19, off         ; 4-byte Folded Spill
	v_dual_add_f32 v19, v4, v34 :: v_dual_add_f32 v144, v6, v55
	v_add_f32_e32 v142, v14, v55
	v_add_f32_e32 v140, v10, v55
	scratch_store_b32 off, v19, off offset:16 ; 4-byte Folded Spill
	v_add_f32_e32 v19, v13, v35
	scratch_store_b32 off, v19, off offset:4 ; 4-byte Folded Spill
	;; [unrolled: 2-line block ×14, first 2 shown]
	v_dual_add_f32 v19, v1, v54 :: v_dual_mov_b32 v54, v16
	scratch_store_b32 off, v19, off offset:56 ; 4-byte Folded Spill
	v_add_f32_e32 v19, v0, v53
	scratch_store_b32 off, v19, off offset:64 ; 4-byte Folded Spill
	ds_load_b128 v[66:69], v82 offset:4352
	ds_load_b128 v[87:90], v82 offset:4480
	v_add_f32_e32 v163, v14, v36
	v_add_f32_e32 v161, v2, v36
	;; [unrolled: 1-line block ×7, first 2 shown]
	s_waitcnt lgkmcnt(1)
	v_dual_add_f32 v135, v5, v67 :: v_dual_add_f32 v132, v4, v66
	v_dual_add_f32 v136, v13, v67 :: v_dual_add_f32 v133, v12, v66
	;; [unrolled: 1-line block ×3, first 2 shown]
	v_add_f32_e32 v138, v1, v67
	v_dual_add_f32 v56, v0, v66 :: v_dual_add_f32 v53, v7, v69
	v_dual_add_f32 v72, v6, v68 :: v_dual_add_f32 v65, v15, v69
	;; [unrolled: 1-line block ×4, first 2 shown]
	v_add_f32_e32 v75, v2, v68
	s_waitcnt lgkmcnt(0)
	v_add_f32_e32 v68, v5, v88
	v_dual_add_f32 v76, v4, v87 :: v_dual_add_f32 v69, v13, v88
	v_dual_add_f32 v77, v12, v87 :: v_dual_add_f32 v70, v9, v88
	;; [unrolled: 1-line block ×3, first 2 shown]
	v_add_f32_e32 v79, v0, v87
	v_dual_add_f32 v87, v7, v90 :: v_dual_add_f32 v96, v6, v89
	v_dual_add_f32 v97, v15, v90 :: v_dual_add_f32 v98, v14, v89
	;; [unrolled: 1-line block ×4, first 2 shown]
	ds_load_b128 v[88:91], v82 offset:4608
	ds_load_b128 v[92:95], v82 offset:4736
	s_waitcnt lgkmcnt(1)
	v_dual_add_f32 v139, v2, v55 :: v_dual_add_f32 v104, v4, v88
	v_add_f32_e32 v103, v5, v89
	v_dual_add_f32 v105, v13, v89 :: v_dual_add_f32 v106, v12, v88
	v_dual_add_f32 v107, v9, v89 :: v_dual_add_f32 v108, v8, v88
	;; [unrolled: 1-line block ×7, first 2 shown]
	s_waitcnt lgkmcnt(0)
	v_dual_add_f32 v119, v5, v93 :: v_dual_add_f32 v120, v4, v92
	v_dual_add_f32 v121, v13, v93 :: v_dual_add_f32 v122, v12, v92
	v_dual_add_f32 v123, v9, v93 :: v_dual_add_f32 v124, v8, v92
	v_dual_add_f32 v125, v1, v93 :: v_dual_add_f32 v126, v0, v92
	v_dual_add_f32 v127, v7, v95 :: v_dual_add_f32 v128, v6, v94
	v_dual_add_f32 v129, v15, v95 :: v_dual_add_f32 v130, v14, v94
	v_add_f32_e32 v131, v11, v95
	v_dual_add_f32 v147, v10, v94 :: v_dual_add_f32 v148, v3, v95
	v_add_f32_e32 v149, v2, v94
	ds_load_b128 v[88:91], v82 offset:4864
	ds_load_b128 v[92:95], v82 offset:4992
	s_waitcnt lgkmcnt(1)
	v_dual_add_f32 v150, v5, v89 :: v_dual_add_f32 v151, v4, v88
	v_dual_add_f32 v152, v13, v89 :: v_dual_add_f32 v153, v12, v88
	v_add_f32_e32 v154, v9, v89
	v_dual_add_f32 v156, v8, v88 :: v_dual_add_f32 v157, v1, v89
	v_dual_add_f32 v158, v0, v88 :: v_dual_add_f32 v165, v7, v91
	;; [unrolled: 1-line block ×5, first 2 shown]
	s_waitcnt lgkmcnt(0)
	v_dual_add_f32 v172, v2, v90 :: v_dual_add_f32 v173, v5, v93
	v_dual_add_f32 v174, v4, v92 :: v_dual_add_f32 v175, v13, v93
	v_dual_add_f32 v176, v12, v92 :: v_dual_add_f32 v177, v9, v93
	v_dual_add_f32 v178, v8, v92 :: v_dual_add_f32 v179, v1, v93
	v_dual_add_f32 v180, v0, v92 :: v_dual_add_f32 v181, v7, v95
	v_dual_add_f32 v182, v6, v94 :: v_dual_add_f32 v183, v15, v95
	v_dual_add_f32 v184, v14, v94 :: v_dual_add_f32 v185, v11, v95
	v_dual_add_f32 v186, v10, v94 :: v_dual_add_f32 v187, v3, v95
	v_add_f32_e32 v188, v2, v94
	ds_load_b128 v[88:91], v82 offset:5120
	ds_load_b128 v[92:95], v82 offset:5248
	s_waitcnt lgkmcnt(1)
	v_dual_add_f32 v189, v5, v89 :: v_dual_add_f32 v190, v4, v88
	v_dual_add_f32 v191, v13, v89 :: v_dual_add_f32 v192, v12, v88
	;; [unrolled: 1-line block ×8, first 2 shown]
	s_waitcnt lgkmcnt(0)
	v_dual_add_f32 v205, v5, v93 :: v_dual_add_f32 v206, v4, v92
	v_dual_add_f32 v207, v13, v93 :: v_dual_add_f32 v208, v12, v92
	;; [unrolled: 1-line block ×8, first 2 shown]
	ds_load_b128 v[88:91], v82 offset:5376
	ds_load_b128 v[92:95], v82 offset:5504
	v_mov_b32_e32 v55, v17
	s_waitcnt lgkmcnt(1)
	v_dual_add_f32 v221, v5, v89 :: v_dual_add_f32 v222, v4, v88
	v_dual_add_f32 v223, v13, v89 :: v_dual_add_f32 v224, v12, v88
	;; [unrolled: 1-line block ×8, first 2 shown]
	s_waitcnt lgkmcnt(0)
	v_dual_add_f32 v237, v5, v93 :: v_dual_add_f32 v238, v4, v92
	v_dual_add_f32 v239, v13, v93 :: v_dual_add_f32 v240, v12, v92
	;; [unrolled: 1-line block ×8, first 2 shown]
	ds_load_b128 v[88:91], v82 offset:5632
	ds_load_b128 v[92:95], v82 offset:5760
	s_waitcnt lgkmcnt(1)
	v_dual_add_f32 v253, v5, v89 :: v_dual_add_f32 v254, v4, v88
	v_add_f32_e32 v255, v13, v89
	v_dual_add_f32 v81, v12, v88 :: v_dual_add_f32 v80, v9, v89
	v_add_f32_e32 v17, v8, v88
	v_dual_add_f32 v19, v1, v89 :: v_dual_add_f32 v24, v0, v88
	v_dual_add_f32 v25, v7, v91 :: v_dual_add_f32 v26, v6, v90
	;; [unrolled: 1-line block ×5, first 2 shown]
	s_waitcnt lgkmcnt(0)
	v_dual_add_f32 v33, v5, v93 :: v_dual_add_f32 v34, v4, v92
	v_dual_add_f32 v35, v13, v93 :: v_dual_add_f32 v36, v12, v92
	;; [unrolled: 1-line block ×8, first 2 shown]
	ds_load_b128 v[88:91], v82 offset:5888
	ds_load_b128 v[92:95], v82 offset:6016
	s_waitcnt lgkmcnt(1)
	v_dual_add_f32 v48, v5, v89 :: v_dual_add_f32 v49, v4, v88
	v_dual_add_f32 v50, v13, v89 :: v_dual_add_f32 v51, v12, v88
	;; [unrolled: 1-line block ×4, first 2 shown]
	s_waitcnt lgkmcnt(0)
	v_dual_add_f32 v5, v5, v93 :: v_dual_add_f32 v4, v4, v92
	v_dual_add_f32 v13, v13, v93 :: v_dual_add_f32 v12, v12, v92
	;; [unrolled: 1-line block ×4, first 2 shown]
	s_clause 0x1
	scratch_load_b32 v92, off, off
	scratch_load_b32 v93, off, off offset:16
	v_add_f32_e32 v59, v6, v90
	v_add_f32_e32 v61, v14, v90
	;; [unrolled: 1-line block ×9, first 2 shown]
	v_min3_f32 v17, v17, v80, 0x7f7fffff
	v_add_f32_e32 v58, v7, v91
	v_add_f32_e32 v60, v15, v91
	;; [unrolled: 1-line block ×7, first 2 shown]
	v_min3_f32 v4, v4, v5, 0x7f7fffff
	v_min3_f32 v0, v0, v1, 0x7f7fffff
	s_waitcnt vmcnt(0)
	v_min3_f32 v92, v93, v92, 0x7f7fffff
	s_delay_alu instid0(VALU_DEP_1)
	v_min3_f32 v164, v162, v164, v92
	s_clause 0x1
	scratch_load_b32 v92, off, off offset:4
	scratch_load_b32 v93, off, off offset:20
	s_waitcnt vmcnt(0)
	v_min3_f32 v92, v93, v92, 0x7f7fffff
	scratch_load_b32 v93, off, off offset:32 ; 4-byte Folded Reload
	s_waitcnt vmcnt(0)
	v_min3_f32 v163, v163, v93, v92
	s_clause 0x1
	scratch_load_b32 v92, off, off offset:8
	scratch_load_b32 v93, off, off offset:24
	s_waitcnt vmcnt(0)
	v_min3_f32 v92, v93, v92, 0x7f7fffff
	s_clause 0x1
	scratch_load_b32 v93, off, off offset:36
	scratch_load_b32 v94, off, off offset:60
	;; [unrolled: 5-line block ×3, first 2 shown]
	s_waitcnt vmcnt(0)
	v_min3_f32 v92, v93, v92, 0x7f7fffff
	scratch_load_b32 v93, off, off offset:40 ; 4-byte Folded Reload
	s_waitcnt vmcnt(0)
	v_min3_f32 v161, v161, v93, v92
	scratch_load_b32 v92, off, off offset:44 ; 4-byte Folded Reload
	s_waitcnt vmcnt(0)
	v_min3_f32 v92, v160, v92, 0x7f7fffff
	s_delay_alu instid0(VALU_DEP_1) | instskip(SKIP_3) | instid1(VALU_DEP_1)
	v_min3_f32 v160, v144, v146, v92
	scratch_load_b32 v92, off, off offset:48 ; 4-byte Folded Reload
	s_waitcnt vmcnt(0)
	v_min3_f32 v92, v159, v92, 0x7f7fffff
	v_min3_f32 v159, v142, v145, v92
	scratch_load_b32 v92, off, off offset:52 ; 4-byte Folded Reload
	s_waitcnt vmcnt(0)
	v_min3_f32 v92, v155, v92, 0x7f7fffff
	s_delay_alu instid0(VALU_DEP_1)
	v_min3_f32 v155, v140, v143, v92
	s_clause 0x1
	scratch_load_b32 v92, off, off offset:56
	scratch_load_b32 v93, off, off offset:64
	ds_store_2addr_stride64_b32 v86, v21, v20 offset0:8 offset1:12
	ds_store_2addr_stride64_b32 v86, v23, v22 offset0:24 offset1:28
	s_waitcnt vmcnt(0) lgkmcnt(0)
	s_waitcnt_vscnt null, 0x0
	s_barrier
	buffer_gl0_inv
	v_min3_f32 v92, v93, v92, 0x7f7fffff
	s_delay_alu instid0(VALU_DEP_1) | instskip(SKIP_1) | instid1(VALU_DEP_1)
	v_min3_f32 v146, v139, v141, v92
	v_min3_f32 v92, v132, v135, 0x7f7fffff
	v_min3_f32 v145, v72, v53, v92
	v_min3_f32 v53, v133, v136, 0x7f7fffff
	s_delay_alu instid0(VALU_DEP_1) | instskip(SKIP_1) | instid1(VALU_DEP_1)
	v_min3_f32 v144, v73, v65, v53
	v_min3_f32 v53, v134, v137, 0x7f7fffff
	v_min3_f32 v143, v74, v66, v53
	;; [unrolled: 5-line block ×4, first 2 shown]
	v_min3_f32 v53, v79, v71, 0x7f7fffff
	s_delay_alu instid0(VALU_DEP_1) | instskip(SKIP_3) | instid1(VALU_DEP_3)
	v_min3_f32 v138, v102, v101, v53
	v_min3_f32 v53, v104, v103, 0x7f7fffff
	;; [unrolled: 1-line block ×6, first 2 shown]
	s_delay_alu instid0(VALU_DEP_3) | instskip(SKIP_1) | instid1(VALU_DEP_3)
	v_min3_f32 v100, v32, v31, v17
	v_min3_f32 v17, v34, v33, 0x7f7fffff
	v_min3_f32 v136, v114, v113, v53
	v_min3_f32 v53, v108, v107, 0x7f7fffff
	s_delay_alu instid0(VALU_DEP_3) | instskip(SKIP_1) | instid1(VALU_DEP_3)
	v_min3_f32 v99, v43, v42, v17
	v_min3_f32 v17, v36, v35, 0x7f7fffff
	v_min3_f32 v135, v116, v115, v53
	v_min3_f32 v53, v110, v109, 0x7f7fffff
	s_delay_alu instid0(VALU_DEP_3) | instskip(SKIP_1) | instid1(VALU_DEP_3)
	v_min3_f32 v98, v39, v16, v17
	v_min3_f32 v16, v38, v37, 0x7f7fffff
	v_min3_f32 v134, v118, v117, v53
	v_min3_f32 v53, v120, v119, 0x7f7fffff
	s_delay_alu instid0(VALU_DEP_3) | instskip(SKIP_1) | instid1(VALU_DEP_3)
	v_min3_f32 v97, v45, v44, v16
	v_min3_f32 v16, v41, v40, 0x7f7fffff
	v_min3_f32 v133, v128, v127, v53
	v_min3_f32 v53, v122, v121, 0x7f7fffff
	s_delay_alu instid0(VALU_DEP_3) | instskip(SKIP_1) | instid1(VALU_DEP_3)
	v_min3_f32 v96, v47, v46, v16
	v_min3_f32 v16, v49, v48, 0x7f7fffff
	v_min3_f32 v132, v130, v129, v53
	v_min3_f32 v53, v124, v123, 0x7f7fffff
	s_delay_alu instid0(VALU_DEP_3) | instskip(SKIP_1) | instid1(VALU_DEP_3)
	v_min3_f32 v95, v59, v58, v16
	v_min3_f32 v16, v51, v50, 0x7f7fffff
	v_min3_f32 v131, v147, v131, v53
	v_min3_f32 v53, v126, v125, 0x7f7fffff
	s_delay_alu instid0(VALU_DEP_3) | instskip(SKIP_1) | instid1(VALU_DEP_3)
	v_min3_f32 v94, v61, v60, v16
	v_min3_f32 v16, v57, v52, 0x7f7fffff
	v_min3_f32 v130, v149, v148, v53
	v_min3_f32 v53, v151, v150, 0x7f7fffff
	s_delay_alu instid0(VALU_DEP_3) | instskip(SKIP_2) | instid1(VALU_DEP_4)
	v_min3_f32 v93, v63, v62, v16
	v_min3_f32 v16, v88, v89, 0x7f7fffff
	;; [unrolled: 1-line block ×5, first 2 shown]
	s_delay_alu instid0(VALU_DEP_4) | instskip(SKIP_2) | instid1(VALU_DEP_4)
	v_min3_f32 v92, v90, v91, v16
	v_min3_f32 v91, v6, v7, v4
	v_min3_f32 v4, v12, v13, 0x7f7fffff
	v_min3_f32 v128, v168, v167, v53
	v_min3_f32 v53, v156, v154, 0x7f7fffff
	s_delay_alu instid0(VALU_DEP_3) | instskip(SKIP_1) | instid1(VALU_DEP_3)
	v_min3_f32 v90, v14, v15, v4
	v_min3_f32 v4, v8, v9, 0x7f7fffff
	;; [unrolled: 1-line block ×4, first 2 shown]
	s_delay_alu instid0(VALU_DEP_3) | instskip(NEXT) | instid1(VALU_DEP_2)
	v_min3_f32 v89, v10, v11, v4
	v_min3_f32 v126, v172, v171, v53
	v_min3_f32 v53, v174, v173, 0x7f7fffff
	s_delay_alu instid0(VALU_DEP_1) | instskip(SKIP_1) | instid1(VALU_DEP_1)
	v_min3_f32 v125, v182, v181, v53
	v_min3_f32 v53, v176, v175, 0x7f7fffff
	v_min3_f32 v124, v184, v183, v53
	v_min3_f32 v53, v178, v177, 0x7f7fffff
	s_delay_alu instid0(VALU_DEP_1) | instskip(SKIP_1) | instid1(VALU_DEP_1)
	v_min3_f32 v123, v186, v185, v53
	;; [unrolled: 5-line block ×11, first 2 shown]
	v_min3_f32 v25, v81, v255, 0x7f7fffff
	v_min3_f32 v102, v28, v27, v25
	s_cbranch_scc1 .LBB13_44
; %bb.26:
	s_clause 0x1
	scratch_load_b32 v4, off, off offset:68
	scratch_load_b32 v8, off, off offset:72
	v_mad_i64_i32 v[0:1], null, v64, s22, 0
	v_dual_mov_b32 v214, v55 :: v_dual_add_nc_u32 v87, 0x1000, v86
	v_add_nc_u32_e32 v109, 0x1000, v82
	v_add_nc_u32_e32 v113, 0x800, v86
	;; [unrolled: 1-line block ×3, first 2 shown]
	v_lshl_add_u32 v148, v54, 4, 0x800
	v_lshlrev_b64 v[0:1], 2, v[0:1]
	v_lshl_add_u32 v149, v55, 4, 0x1800
	v_mov_b32_e32 v213, v54
	s_delay_alu instid0(VALU_DEP_3) | instskip(NEXT) | instid1(VALU_DEP_1)
	v_add_co_u32 v150, s5, s18, v0
	v_add_co_ci_u32_e64 v151, s5, s19, v1, s5
	s_waitcnt vmcnt(1)
	v_mad_i64_i32 v[2:3], null, v4, s22, 0
	v_mad_i64_i32 v[4:5], null, s23, v18, 0
	s_waitcnt vmcnt(0)
	v_mad_i64_i32 v[6:7], null, s23, v8, 0
	s_delay_alu instid0(VALU_DEP_3) | instskip(NEXT) | instid1(VALU_DEP_3)
	v_lshlrev_b64 v[2:3], 2, v[2:3]
	v_lshlrev_b64 v[0:1], 2, v[4:5]
	s_delay_alu instid0(VALU_DEP_2) | instskip(NEXT) | instid1(VALU_DEP_1)
	v_add_co_u32 v152, s5, s18, v2
	v_add_co_ci_u32_e64 v153, s5, s19, v3, s5
	v_lshlrev_b64 v[2:3], 2, v[6:7]
	s_delay_alu instid0(VALU_DEP_4) | instskip(NEXT) | instid1(VALU_DEP_1)
	v_add_co_u32 v154, s5, s20, v0
	v_add_co_ci_u32_e64 v156, s5, s21, v1, s5
	s_add_i32 s18, s10, -8
	s_delay_alu instid0(VALU_DEP_3) | instskip(NEXT) | instid1(VALU_DEP_1)
	v_add_co_u32 v157, s5, s20, v2
	v_add_co_ci_u32_e64 v158, s5, s21, v3, s5
	s_mov_b32 s19, 0
	s_branch .LBB13_28
.LBB13_27:                              ;   in Loop: Header=BB13_28 Depth=1
	s_or_b32 exec_lo, exec_lo, s6
	ds_load_b128 v[71:74], v109
	ds_load_b128 v[75:78], v85
	ds_load_b128 v[88:91], v85 offset:512
	ds_load_b128 v[169:172], v85 offset:1024
	;; [unrolled: 1-line block ×18, first 2 shown]
	v_add_co_u32 v152, s5, v152, 32
	s_waitcnt lgkmcnt(18)
	v_dual_add_f32 v11, v76, v72 :: v_dual_add_f32 v14, v75, v71
	s_waitcnt lgkmcnt(17)
	v_dual_add_f32 v15, v89, v72 :: v_dual_add_f32 v18, v88, v71
	s_waitcnt lgkmcnt(16)
	v_dual_add_f32 v19, v170, v72 :: v_dual_add_f32 v22, v169, v71
	v_min3_f32 v11, v14, v11, v24
	s_waitcnt lgkmcnt(14)
	v_add_f32_e32 v23, v75, v92
	v_min3_f32 v14, v18, v15, v25
	v_add_f32_e32 v18, v174, v72
	v_min3_f32 v15, v22, v19, v28
	v_dual_add_f32 v19, v173, v71 :: v_dual_add_f32 v22, v76, v93
	v_dual_add_f32 v24, v89, v93 :: v_dual_add_f32 v25, v88, v92
	;; [unrolled: 1-line block ×4, first 2 shown]
	s_delay_alu instid0(VALU_DEP_4)
	v_min3_f32 v0, v19, v18, v0
	v_min3_f32 v18, v23, v22, v29
	;; [unrolled: 1-line block ×5, first 2 shown]
	s_waitcnt lgkmcnt(13)
	v_dual_add_f32 v24, v76, v97 :: v_dual_add_f32 v25, v75, v96
	v_dual_add_f32 v28, v89, v97 :: v_dual_add_f32 v29, v88, v96
	;; [unrolled: 1-line block ×4, first 2 shown]
	s_waitcnt lgkmcnt(12)
	v_dual_add_f32 v72, v76, v101 :: v_dual_add_f32 v79, v75, v100
	v_min3_f32 v1, v25, v24, v1
	v_min3_f32 v24, v29, v28, v37
	;; [unrolled: 1-line block ×5, first 2 shown]
	v_dual_add_f32 v32, v89, v101 :: v_dual_add_f32 v33, v88, v100
	v_dual_add_f32 v36, v170, v101 :: v_dual_add_f32 v37, v169, v100
	;; [unrolled: 1-line block ×3, first 2 shown]
	s_waitcnt lgkmcnt(11)
	v_dual_add_f32 v44, v76, v105 :: v_dual_add_f32 v71, v75, v104
	v_dual_add_f32 v72, v89, v105 :: v_dual_add_f32 v79, v88, v104
	v_min3_f32 v4, v33, v32, v4
	v_min3_f32 v32, v37, v36, v45
	;; [unrolled: 1-line block ×5, first 2 shown]
	v_dual_add_f32 v40, v170, v105 :: v_dual_add_f32 v41, v169, v104
	v_dual_add_f32 v44, v174, v105 :: v_dual_add_f32 v45, v173, v104
	s_waitcnt lgkmcnt(10)
	v_dual_add_f32 v48, v76, v115 :: v_dual_add_f32 v49, v75, v114
	v_dual_add_f32 v52, v89, v115 :: v_dual_add_f32 v71, v88, v114
	;; [unrolled: 1-line block ×3, first 2 shown]
	v_min3_f32 v5, v41, v40, v5
	v_min3_f32 v40, v45, v44, v53
	;; [unrolled: 1-line block ×5, first 2 shown]
	v_dual_add_f32 v48, v174, v115 :: v_dual_add_f32 v49, v173, v114
	s_waitcnt lgkmcnt(9)
	v_dual_add_f32 v52, v76, v119 :: v_dual_add_f32 v53, v75, v118
	v_dual_add_f32 v56, v89, v119 :: v_dual_add_f32 v57, v88, v118
	;; [unrolled: 1-line block ×4, first 2 shown]
	v_min3_f32 v8, v49, v48, v8
	v_min3_f32 v48, v53, v52, v54
	;; [unrolled: 1-line block ×5, first 2 shown]
	s_waitcnt lgkmcnt(8)
	v_dual_add_f32 v54, v76, v178 :: v_dual_add_f32 v55, v75, v177
	v_dual_add_f32 v56, v89, v178 :: v_dual_add_f32 v57, v88, v177
	;; [unrolled: 1-line block ×4, first 2 shown]
	s_waitcnt lgkmcnt(7)
	v_dual_add_f32 v72, v76, v182 :: v_dual_add_f32 v79, v75, v181
	v_min3_f32 v9, v55, v54, v9
	v_min3_f32 v50, v57, v56, v50
	;; [unrolled: 1-line block ×5, first 2 shown]
	v_dual_add_f32 v56, v89, v182 :: v_dual_add_f32 v57, v88, v181
	v_dual_add_f32 v58, v170, v182 :: v_dual_add_f32 v59, v169, v181
	;; [unrolled: 1-line block ×3, first 2 shown]
	s_waitcnt lgkmcnt(6)
	v_dual_add_f32 v62, v76, v186 :: v_dual_add_f32 v71, v75, v185
	v_dual_add_f32 v72, v89, v186 :: v_dual_add_f32 v79, v88, v185
	v_min3_f32 v12, v57, v56, v12
	v_min3_f32 v46, v59, v58, v46
	;; [unrolled: 1-line block ×5, first 2 shown]
	v_dual_add_f32 v58, v170, v186 :: v_dual_add_f32 v59, v169, v185
	v_dual_add_f32 v60, v174, v186 :: v_dual_add_f32 v61, v173, v185
	s_waitcnt lgkmcnt(5)
	v_dual_add_f32 v62, v76, v190 :: v_dual_add_f32 v63, v75, v189
	v_dual_add_f32 v64, v89, v190 :: v_dual_add_f32 v71, v88, v189
	;; [unrolled: 1-line block ×3, first 2 shown]
	v_min3_f32 v13, v59, v58, v13
	v_min3_f32 v38, v61, v60, v38
	;; [unrolled: 1-line block ×5, first 2 shown]
	v_dual_add_f32 v58, v174, v190 :: v_dual_add_f32 v59, v173, v189
	s_waitcnt lgkmcnt(4)
	v_dual_add_f32 v60, v76, v194 :: v_dual_add_f32 v61, v75, v193
	v_dual_add_f32 v62, v89, v194 :: v_dual_add_f32 v63, v88, v193
	;; [unrolled: 1-line block ×4, first 2 shown]
	v_min3_f32 v16, v59, v58, v16
	v_min3_f32 v34, v61, v60, v34
	;; [unrolled: 1-line block ×5, first 2 shown]
	s_waitcnt lgkmcnt(3)
	v_dual_add_f32 v60, v76, v198 :: v_dual_add_f32 v61, v75, v197
	v_dual_add_f32 v62, v89, v198 :: v_dual_add_f32 v63, v88, v197
	;; [unrolled: 1-line block ×4, first 2 shown]
	s_waitcnt lgkmcnt(2)
	v_dual_add_f32 v72, v76, v202 :: v_dual_add_f32 v79, v75, v201
	v_min3_f32 v17, v61, v60, v17
	v_min3_f32 v30, v63, v62, v30
	;; [unrolled: 1-line block ×5, first 2 shown]
	v_dual_add_f32 v62, v89, v202 :: v_dual_add_f32 v63, v88, v201
	v_dual_add_f32 v64, v170, v202 :: v_dual_add_f32 v65, v169, v201
	;; [unrolled: 1-line block ×3, first 2 shown]
	s_waitcnt lgkmcnt(1)
	v_dual_add_f32 v68, v76, v206 :: v_dual_add_f32 v71, v75, v205
	v_dual_add_f32 v72, v89, v206 :: v_dual_add_f32 v79, v88, v205
	v_min3_f32 v20, v63, v62, v20
	v_min3_f32 v26, v65, v64, v26
	;; [unrolled: 1-line block ×5, first 2 shown]
	v_dual_add_f32 v64, v170, v206 :: v_dual_add_f32 v65, v169, v205
	v_dual_add_f32 v66, v174, v206 :: v_dual_add_f32 v67, v173, v205
	s_waitcnt lgkmcnt(0)
	v_dual_add_f32 v68, v76, v210 :: v_dual_add_f32 v69, v75, v209
	v_dual_add_f32 v70, v89, v210 :: v_dual_add_f32 v71, v88, v209
	v_dual_add_f32 v72, v170, v210 :: v_dual_add_f32 v75, v169, v209
	v_min3_f32 v21, v65, v64, v21
	v_min3_f32 v3, v67, v66, v3
	v_min3_f32 v6, v69, v68, v6
	v_min3_f32 v7, v71, v70, v7
	v_min3_f32 v10, v75, v72, v10
	v_dual_add_f32 v64, v174, v210 :: v_dual_add_f32 v65, v173, v209
	v_dual_add_f32 v66, v78, v74 :: v_dual_add_f32 v67, v77, v73
	v_dual_add_f32 v68, v91, v74 :: v_dual_add_f32 v69, v90, v73
	v_dual_add_f32 v70, v172, v74 :: v_dual_add_f32 v71, v171, v73
	v_dual_add_f32 v72, v176, v74 :: v_dual_add_f32 v73, v175, v73
	v_min3_f32 v2, v65, v64, v2
	v_min3_f32 v164, v67, v66, v11
	v_min3_f32 v163, v69, v68, v14
	v_min3_f32 v162, v71, v70, v15
	v_min3_f32 v161, v73, v72, v0
	v_dual_add_f32 v0, v78, v95 :: v_dual_add_f32 v11, v77, v94
	v_dual_add_f32 v14, v91, v95 :: v_dual_add_f32 v15, v90, v94
	;; [unrolled: 10-line block ×12, first 2 shown]
	v_dual_add_f32 v8, v78, v208 :: v_dual_add_f32 v9, v77, v207
	v_dual_add_f32 v11, v91, v208 :: v_dual_add_f32 v12, v90, v207
	v_dual_add_f32 v13, v172, v208 :: v_dual_add_f32 v14, v171, v207
	v_add_co_ci_u32_e64 v153, s5, 0, v153, s5
	v_add_co_u32 v150, s5, v150, 32
	s_delay_alu instid0(VALU_DEP_1)
	v_add_co_ci_u32_e64 v151, s5, 0, v151, s5
	v_min3_f32 v97, v1, v0, v26
	v_min3_f32 v96, v5, v4, v27
	;; [unrolled: 1-line block ×5, first 2 shown]
	v_dual_add_f32 v0, v176, v208 :: v_dual_add_f32 v1, v175, v207
	v_dual_add_f32 v4, v78, v212 :: v_dual_add_f32 v5, v77, v211
	;; [unrolled: 1-line block ×5, first 2 shown]
	v_add_co_u32 v154, s5, v154, 32
	s_delay_alu instid0(VALU_DEP_1)
	v_add_co_ci_u32_e64 v156, s5, 0, v156, s5
	v_add_co_u32 v157, s5, v157, 32
	v_min3_f32 v92, v1, v0, v3
	v_min3_f32 v91, v5, v4, v6
	;; [unrolled: 1-line block ×5, first 2 shown]
	v_add_co_ci_u32_e64 v158, s5, 0, v158, s5
	s_add_i32 s19, s19, 8
	s_waitcnt vmcnt(0)
	ds_store_2addr_stride64_b32 v113, v166, v165 offset1:4
	ds_store_2addr_stride64_b32 v147, v168, v167 offset1:4
	s_cmp_ge_i32 s19, s18
	s_waitcnt lgkmcnt(0)
	s_barrier
	buffer_gl0_inv
	s_cbranch_scc1 .LBB13_45
.LBB13_28:                              ; =>This Inner Loop Header: Depth=1
	v_dual_mov_b32 v166, 0x7f7fffff :: v_dual_add_nc_u32 v165, s19, v83
	s_delay_alu instid0(VALU_DEP_1) | instskip(NEXT) | instid1(VALU_DEP_1)
	v_dual_mov_b32 v167, 0x7f7fffff :: v_dual_add_nc_u32 v0, 8, v165
	v_cmp_le_i32_e64 s5, s10, v0
	s_delay_alu instid0(VALU_DEP_1) | instskip(NEXT) | instid1(SALU_CYCLE_1)
	s_or_b32 s6, vcc_lo, s5
	s_xor_b32 s6, s6, -1
	s_delay_alu instid0(SALU_CYCLE_1)
	s_and_saveexec_b32 s20, s6
	s_cbranch_execz .LBB13_30
; %bb.29:                               ;   in Loop: Header=BB13_28 Depth=1
	v_add_co_u32 v0, s6, v150, v84
	s_delay_alu instid0(VALU_DEP_1)
	v_add_co_ci_u32_e64 v1, s6, 0, v151, s6
	flat_load_b32 v167, v[0:1] offset:32
.LBB13_30:                              ;   in Loop: Header=BB13_28 Depth=1
	s_or_b32 exec_lo, exec_lo, s20
	s_or_b32 s6, s2, s5
	s_delay_alu instid0(SALU_CYCLE_1) | instskip(NEXT) | instid1(SALU_CYCLE_1)
	s_xor_b32 s6, s6, -1
	s_and_saveexec_b32 s20, s6
	s_cbranch_execz .LBB13_32
; %bb.31:                               ;   in Loop: Header=BB13_28 Depth=1
	v_add_co_u32 v0, s6, v152, v84
	s_delay_alu instid0(VALU_DEP_1)
	v_add_co_ci_u32_e64 v1, s6, 0, v153, s6
	flat_load_b32 v166, v[0:1] offset:32
.LBB13_32:                              ;   in Loop: Header=BB13_28 Depth=1
	s_or_b32 exec_lo, exec_lo, s20
	v_dual_mov_b32 v168, 0x7f7fffff :: v_dual_mov_b32 v169, 0x7f7fffff
	s_or_b32 s6, s3, s5
	s_delay_alu instid0(SALU_CYCLE_1) | instskip(NEXT) | instid1(SALU_CYCLE_1)
	s_xor_b32 s6, s6, -1
	s_and_saveexec_b32 s20, s6
	s_cbranch_execz .LBB13_34
; %bb.33:                               ;   in Loop: Header=BB13_28 Depth=1
	v_add_co_u32 v0, s6, v154, v84
	s_delay_alu instid0(VALU_DEP_1)
	v_add_co_ci_u32_e64 v1, s6, 0, v156, s6
	flat_load_b32 v169, v[0:1] offset:32
.LBB13_34:                              ;   in Loop: Header=BB13_28 Depth=1
	s_or_b32 exec_lo, exec_lo, s20
	s_or_b32 s5, s4, s5
	s_delay_alu instid0(SALU_CYCLE_1) | instskip(NEXT) | instid1(SALU_CYCLE_1)
	s_xor_b32 s5, s5, -1
	s_and_saveexec_b32 s6, s5
	s_cbranch_execz .LBB13_36
; %bb.35:                               ;   in Loop: Header=BB13_28 Depth=1
	v_add_co_u32 v0, s5, v157, v84
	s_delay_alu instid0(VALU_DEP_1)
	v_add_co_ci_u32_e64 v1, s5, 0, v158, s5
	flat_load_b32 v168, v[0:1] offset:32
.LBB13_36:                              ;   in Loop: Header=BB13_28 Depth=1
	s_or_b32 exec_lo, exec_lo, s6
	ds_load_b128 v[12:15], v148
	ds_load_b128 v[8:11], v148 offset:512
	ds_load_b128 v[4:7], v148 offset:1024
	;; [unrolled: 1-line block ×3, first 2 shown]
	ds_load_b128 v[76:79], v149
	ds_load_b128 v[72:75], v149 offset:128
	ds_load_b128 v[68:71], v149 offset:256
	;; [unrolled: 1-line block ×15, first 2 shown]
	v_dual_mov_b32 v165, 0x7f7fffff :: v_dual_add_nc_u32 v80, 12, v165
	s_waitcnt vmcnt(0) lgkmcnt(20)
	ds_store_2addr_stride64_b32 v86, v167, v166 offset1:4
	v_mov_b32_e32 v166, 0x7f7fffff
	ds_store_2addr_stride64_b32 v87, v169, v168 offset1:4
	v_cmp_le_i32_e64 s5, s10, v80
	s_waitcnt lgkmcnt(0)
	s_barrier
	buffer_gl0_inv
	s_or_b32 s6, vcc_lo, s5
	s_delay_alu instid0(SALU_CYCLE_1) | instskip(NEXT) | instid1(SALU_CYCLE_1)
	s_xor_b32 s6, s6, -1
	s_and_saveexec_b32 s20, s6
	s_delay_alu instid0(SALU_CYCLE_1)
	s_xor_b32 s20, exec_lo, s20
	s_cbranch_execz .LBB13_38
; %bb.37:                               ;   in Loop: Header=BB13_28 Depth=1
	v_add_co_u32 v166, s6, v150, v84
	s_delay_alu instid0(VALU_DEP_1)
	v_add_co_ci_u32_e64 v167, s6, 0, v151, s6
	flat_load_b32 v166, v[166:167] offset:48
.LBB13_38:                              ;   in Loop: Header=BB13_28 Depth=1
	s_or_b32 exec_lo, exec_lo, s20
	s_or_b32 s6, s2, s5
	s_delay_alu instid0(SALU_CYCLE_1) | instskip(NEXT) | instid1(SALU_CYCLE_1)
	s_xor_b32 s6, s6, -1
	s_and_saveexec_b32 s20, s6
	s_cbranch_execz .LBB13_40
; %bb.39:                               ;   in Loop: Header=BB13_28 Depth=1
	v_add_co_u32 v167, s6, v152, v84
	s_delay_alu instid0(VALU_DEP_1)
	v_add_co_ci_u32_e64 v168, s6, 0, v153, s6
	flat_load_b32 v165, v[167:168] offset:48
.LBB13_40:                              ;   in Loop: Header=BB13_28 Depth=1
	s_or_b32 exec_lo, exec_lo, s20
	v_dual_mov_b32 v167, 0x7f7fffff :: v_dual_mov_b32 v168, 0x7f7fffff
	s_or_b32 s6, s3, s5
	s_delay_alu instid0(SALU_CYCLE_1) | instskip(NEXT) | instid1(SALU_CYCLE_1)
	s_xor_b32 s6, s6, -1
	s_and_saveexec_b32 s20, s6
	s_cbranch_execz .LBB13_42
; %bb.41:                               ;   in Loop: Header=BB13_28 Depth=1
	v_add_co_u32 v168, s6, v154, v84
	s_delay_alu instid0(VALU_DEP_1)
	v_add_co_ci_u32_e64 v169, s6, 0, v156, s6
	flat_load_b32 v168, v[168:169] offset:48
.LBB13_42:                              ;   in Loop: Header=BB13_28 Depth=1
	s_or_b32 exec_lo, exec_lo, s20
	v_dual_add_f32 v80, v13, v77 :: v_dual_add_f32 v81, v12, v76
	v_dual_add_f32 v169, v9, v77 :: v_dual_add_f32 v170, v8, v76
	;; [unrolled: 1-line block ×3, first 2 shown]
	s_delay_alu instid0(VALU_DEP_3) | instskip(SKIP_1) | instid1(VALU_DEP_4)
	v_min3_f32 v80, v81, v80, v164
	v_dual_add_f32 v77, v1, v77 :: v_dual_add_f32 v76, v0, v76
	v_min3_f32 v81, v170, v169, v163
	s_delay_alu instid0(VALU_DEP_4)
	v_min3_f32 v162, v172, v171, v162
	v_dual_add_f32 v163, v13, v73 :: v_dual_add_f32 v164, v12, v72
	v_dual_add_f32 v169, v9, v73 :: v_dual_add_f32 v170, v8, v72
	;; [unrolled: 1-line block ×4, first 2 shown]
	v_min3_f32 v76, v76, v77, v161
	v_min3_f32 v77, v164, v163, v160
	;; [unrolled: 1-line block ×3, first 2 shown]
	v_dual_add_f32 v160, v9, v69 :: v_dual_add_f32 v161, v8, v68
	v_min3_f32 v72, v72, v73, v146
	v_dual_add_f32 v73, v13, v69 :: v_dual_add_f32 v146, v12, v68
	v_dual_add_f32 v163, v5, v69 :: v_dual_add_f32 v164, v4, v68
	v_dual_add_f32 v69, v1, v69 :: v_dual_add_f32 v68, v0, v68
	v_dual_add_f32 v169, v13, v65 :: v_dual_add_f32 v170, v12, v64
	s_delay_alu instid0(VALU_DEP_4) | instskip(SKIP_1) | instid1(VALU_DEP_4)
	v_min3_f32 v73, v146, v73, v145
	v_min3_f32 v144, v161, v160, v144
	;; [unrolled: 1-line block ×3, first 2 shown]
	v_add_f32_e32 v142, v8, v64
	v_min3_f32 v69, v170, v169, v141
	v_add_f32_e32 v141, v9, v65
	v_dual_add_f32 v145, v5, v65 :: v_dual_add_f32 v146, v4, v64
	v_dual_add_f32 v65, v1, v65 :: v_dual_add_f32 v64, v0, v64
	;; [unrolled: 1-line block ×3, first 2 shown]
	v_min3_f32 v143, v164, v163, v143
	v_dual_add_f32 v163, v9, v61 :: v_dual_add_f32 v164, v8, v60
	v_min3_f32 v140, v142, v141, v140
	v_min3_f32 v64, v64, v65, v138
	;; [unrolled: 1-line block ×3, first 2 shown]
	v_dual_add_f32 v137, v5, v61 :: v_dual_add_f32 v138, v4, v60
	v_dual_add_f32 v61, v1, v61 :: v_dual_add_f32 v60, v0, v60
	;; [unrolled: 1-line block ×3, first 2 shown]
	v_min3_f32 v139, v146, v145, v139
	v_dual_add_f32 v145, v9, v57 :: v_dual_add_f32 v146, v8, v56
	v_dual_add_f32 v160, v5, v57 :: v_dual_add_f32 v161, v4, v56
	v_min3_f32 v135, v138, v137, v135
	v_min3_f32 v60, v60, v61, v134
	;; [unrolled: 1-line block ×3, first 2 shown]
	v_dual_add_f32 v57, v1, v57 :: v_dual_add_f32 v56, v0, v56
	v_dual_add_f32 v133, v13, v53 :: v_dual_add_f32 v134, v12, v52
	;; [unrolled: 1-line block ×5, first 2 shown]
	v_min3_f32 v130, v56, v57, v130
	v_min3_f32 v129, v134, v133, v129
	v_dual_add_f32 v56, v9, v49 :: v_dual_add_f32 v57, v8, v48
	s_delay_alu instid0(VALU_DEP_4)
	v_min3_f32 v126, v52, v53, v126
	v_dual_add_f32 v52, v13, v49 :: v_dual_add_f32 v53, v12, v48
	v_dual_add_f32 v133, v5, v49 :: v_dual_add_f32 v134, v4, v48
	;; [unrolled: 1-line block ×3, first 2 shown]
	v_min3_f32 v128, v138, v137, v128
	v_dual_add_f32 v137, v13, v45 :: v_dual_add_f32 v138, v12, v44
	v_min3_f32 v125, v53, v52, v125
	s_delay_alu instid0(VALU_DEP_4)
	v_min3_f32 v122, v48, v49, v122
	v_dual_add_f32 v48, v9, v45 :: v_dual_add_f32 v49, v8, v44
	v_dual_add_f32 v52, v5, v45 :: v_dual_add_f32 v53, v4, v44
	;; [unrolled: 1-line block ×3, first 2 shown]
	v_min3_f32 v124, v57, v56, v124
	v_min3_f32 v123, v134, v133, v123
	v_dual_add_f32 v56, v13, v41 :: v_dual_add_f32 v57, v12, v40
	v_dual_add_f32 v133, v9, v41 :: v_dual_add_f32 v134, v8, v40
	v_min3_f32 v120, v49, v48, v120
	v_min3_f32 v118, v44, v45, v118
	v_dual_add_f32 v44, v5, v41 :: v_dual_add_f32 v45, v4, v40
	v_dual_add_f32 v41, v1, v41 :: v_dual_add_f32 v40, v0, v40
	;; [unrolled: 1-line block ×3, first 2 shown]
	v_min3_f32 v119, v53, v52, v119
	v_min3_f32 v117, v57, v56, v117
	v_dual_add_f32 v52, v9, v37 :: v_dual_add_f32 v53, v8, v36
	v_dual_add_f32 v56, v5, v37 :: v_dual_add_f32 v57, v4, v36
	v_min3_f32 v115, v45, v44, v115
	v_min3_f32 v114, v40, v41, v114
	;; [unrolled: 1-line block ×3, first 2 shown]
	v_dual_add_f32 v37, v1, v37 :: v_dual_add_f32 v36, v0, v36
	v_dual_add_f32 v40, v13, v33 :: v_dual_add_f32 v41, v12, v32
	;; [unrolled: 1-line block ×5, first 2 shown]
	v_min3_f32 v108, v36, v37, v108
	v_min3_f32 v107, v41, v40, v107
	v_dual_add_f32 v36, v9, v29 :: v_dual_add_f32 v37, v8, v28
	s_delay_alu instid0(VALU_DEP_4)
	v_min3_f32 v104, v32, v33, v104
	v_dual_add_f32 v32, v13, v29 :: v_dual_add_f32 v33, v12, v28
	v_dual_add_f32 v40, v5, v29 :: v_dual_add_f32 v41, v4, v28
	;; [unrolled: 1-line block ×3, first 2 shown]
	v_min3_f32 v106, v45, v44, v106
	v_dual_add_f32 v44, v13, v25 :: v_dual_add_f32 v45, v12, v24
	v_min3_f32 v103, v33, v32, v103
	s_delay_alu instid0(VALU_DEP_4)
	v_min3_f32 v100, v28, v29, v100
	v_dual_add_f32 v28, v9, v25 :: v_dual_add_f32 v29, v8, v24
	v_dual_add_f32 v32, v5, v25 :: v_dual_add_f32 v33, v4, v24
	;; [unrolled: 1-line block ×3, first 2 shown]
	v_min3_f32 v102, v37, v36, v102
	v_min3_f32 v101, v41, v40, v101
	v_dual_add_f32 v36, v13, v21 :: v_dual_add_f32 v37, v12, v20
	v_dual_add_f32 v40, v9, v21 :: v_dual_add_f32 v41, v8, v20
	v_min3_f32 v96, v24, v25, v96
	v_dual_add_f32 v24, v5, v21 :: v_dual_add_f32 v25, v4, v20
	v_dual_add_f32 v13, v13, v17 :: v_dual_add_f32 v12, v12, v16
	;; [unrolled: 1-line block ×5, first 2 shown]
	s_delay_alu instid0(VALU_DEP_4) | instskip(NEXT) | instid1(VALU_DEP_4)
	v_min3_f32 v91, v12, v13, v91
	v_min3_f32 v90, v8, v9, v90
	s_delay_alu instid0(VALU_DEP_4)
	v_min3_f32 v89, v4, v5, v89
	v_dual_add_f32 v1, v1, v17 :: v_dual_add_f32 v0, v0, v16
	v_dual_add_f32 v4, v15, v79 :: v_dual_add_f32 v5, v14, v78
	;; [unrolled: 1-line block ×5, first 2 shown]
	v_min3_f32 v155, v172, v171, v155
	v_min3_f32 v98, v29, v28, v98
	;; [unrolled: 1-line block ×9, first 2 shown]
	v_dual_add_f32 v1, v15, v75 :: v_dual_add_f32 v4, v14, v74
	v_dual_add_f32 v5, v11, v75 :: v_dual_add_f32 v8, v10, v74
	;; [unrolled: 1-line block ×5, first 2 shown]
	v_min3_f32 v97, v33, v32, v97
	v_min3_f32 v95, v37, v36, v95
	;; [unrolled: 1-line block ×7, first 2 shown]
	v_dual_add_f32 v4, v11, v71 :: v_dual_add_f32 v5, v10, v70
	v_dual_add_f32 v8, v7, v71 :: v_dual_add_f32 v9, v6, v70
	;; [unrolled: 1-line block ×5, first 2 shown]
	v_min3_f32 v136, v164, v163, v136
	v_min3_f32 v111, v53, v52, v111
	;; [unrolled: 1-line block ×9, first 2 shown]
	v_dual_add_f32 v5, v7, v67 :: v_dual_add_f32 v8, v6, v66
	v_dual_add_f32 v9, v3, v67 :: v_dual_add_f32 v12, v2, v66
	;; [unrolled: 1-line block ×4, first 2 shown]
	v_add_f32_e32 v21, v7, v63
	v_add_f32_e32 v53, v6, v62
	v_min3_f32 v132, v146, v145, v132
	v_min3_f32 v131, v161, v160, v131
	;; [unrolled: 1-line block ×4, first 2 shown]
	v_add_f32_e32 v8, v3, v63
	v_min3_f32 v48, v12, v9, v64
	v_min3_f32 v49, v16, v13, v65
	;; [unrolled: 1-line block ×3, first 2 shown]
	v_dual_add_f32 v9, v2, v62 :: v_dual_add_f32 v12, v15, v59
	v_dual_add_f32 v13, v14, v58 :: v_dual_add_f32 v16, v11, v59
	;; [unrolled: 1-line block ×3, first 2 shown]
	v_add_f32_e32 v62, v2, v58
	v_min3_f32 v5, v53, v21, v135
	v_add_f32_e32 v21, v6, v58
	v_min3_f32 v127, v142, v141, v127
	v_min3_f32 v110, v57, v56, v110
	v_add_f32_e32 v59, v3, v59
	v_min3_f32 v53, v9, v8, v60
	;; [unrolled: 3-line block ×3, first 2 shown]
	v_min3_f32 v58, v21, v20, v131
	v_dual_add_f32 v9, v15, v55 :: v_dual_add_f32 v16, v10, v54
	v_dual_add_f32 v13, v11, v55 :: v_dual_add_f32 v20, v6, v54
	;; [unrolled: 1-line block ×3, first 2 shown]
	v_min3_f32 v8, v62, v59, v130
	v_dual_add_f32 v21, v3, v55 :: v_dual_add_f32 v62, v14, v50
	v_add_f32_e32 v61, v15, v51
	v_min3_f32 v55, v16, v13, v128
	v_min3_f32 v59, v20, v17, v127
	v_dual_add_f32 v13, v10, v50 :: v_dual_add_f32 v16, v7, v51
	v_dual_add_f32 v17, v6, v50 :: v_dual_add_f32 v20, v3, v51
	v_min3_f32 v121, v138, v137, v121
	v_min3_f32 v54, v12, v9, v129
	;; [unrolled: 1-line block ×3, first 2 shown]
	v_dual_add_f32 v12, v11, v51 :: v_dual_add_f32 v21, v2, v50
	v_dual_add_f32 v63, v14, v46 :: v_dual_add_f32 v64, v11, v47
	v_add_f32_e32 v65, v10, v46
	v_min3_f32 v51, v17, v16, v123
	v_add_f32_e32 v16, v6, v46
	v_min3_f32 v9, v62, v61, v125
	;; [unrolled: 2-line block ×3, first 2 shown]
	v_min3_f32 v50, v13, v12, v124
	v_min3_f32 v61, v21, v20, v122
	;; [unrolled: 1-line block ×3, first 2 shown]
	v_add_f32_e32 v64, v11, v43
	v_min3_f32 v62, v63, v62, v121
	v_dual_add_f32 v13, v7, v47 :: v_dual_add_f32 v20, v2, v46
	v_add_f32_e32 v17, v3, v47
	v_dual_add_f32 v21, v15, v43 :: v_dual_add_f32 v68, v2, v38
	v_dual_add_f32 v63, v14, v42 :: v_dual_add_f32 v66, v7, v43
	v_add_f32_e32 v65, v10, v42
	v_add_f32_e32 v67, v6, v42
	v_min3_f32 v46, v16, v13, v119
	s_delay_alu instid0(VALU_DEP_4)
	v_min3_f32 v63, v63, v21, v117
	v_add_f32_e32 v16, v3, v43
	v_min3_f32 v64, v65, v64, v116
	v_min3_f32 v13, v67, v66, v115
	v_add_f32_e32 v21, v14, v38
	v_add_f32_e32 v43, v10, v38
	v_dual_add_f32 v65, v7, v39 :: v_dual_add_f32 v66, v6, v38
	v_min3_f32 v47, v20, v17, v118
	v_dual_add_f32 v17, v2, v42 :: v_dual_add_f32 v42, v11, v39
	v_add_f32_e32 v20, v15, v39
	v_add_f32_e32 v67, v3, v39
	v_add_f32_e32 v69, v2, v34
	s_delay_alu instid0(VALU_DEP_4)
	v_min3_f32 v38, v17, v16, v114
	v_add_f32_e32 v17, v15, v35
	v_add_f32_e32 v70, v15, v31
	v_min3_f32 v16, v68, v67, v108
	v_dual_add_f32 v67, v6, v34 :: v_dual_add_f32 v68, v3, v35
	v_min3_f32 v42, v43, v42, v111
	v_min3_f32 v43, v66, v65, v110
	v_dual_add_f32 v65, v10, v34 :: v_dual_add_f32 v66, v7, v35
	v_min3_f32 v39, v21, v20, v112
	v_dual_add_f32 v20, v14, v34 :: v_dual_add_f32 v21, v11, v35
	v_add_f32_e32 v72, v14, v26
	v_add_f32_e32 v71, v14, v30
	v_add_f32_e32 v73, v11, v27
	s_delay_alu instid0(VALU_DEP_4)
	v_min3_f32 v34, v20, v17, v107
	v_min3_f32 v35, v65, v21, v106
	v_add_f32_e32 v20, v11, v31
	v_min3_f32 v65, v67, v66, v105
	v_min3_f32 v66, v69, v68, v104
	;; [unrolled: 1-line block ×3, first 2 shown]
	v_add_f32_e32 v21, v10, v30
	v_dual_add_f32 v67, v7, v31 :: v_dual_add_f32 v74, v10, v26
	v_dual_add_f32 v68, v6, v30 :: v_dual_add_f32 v69, v3, v31
	;; [unrolled: 1-line block ×3, first 2 shown]
	s_delay_alu instid0(VALU_DEP_4) | instskip(NEXT) | instid1(VALU_DEP_3)
	v_min3_f32 v30, v21, v20, v102
	v_min3_f32 v31, v68, v67, v101
	v_dual_add_f32 v21, v7, v27 :: v_dual_add_f32 v76, v6, v22
	s_delay_alu instid0(VALU_DEP_4)
	v_min3_f32 v67, v70, v69, v100
	v_min3_f32 v68, v72, v71, v99
	v_add_f32_e32 v69, v6, v26
	v_dual_add_f32 v71, v15, v23 :: v_dual_add_f32 v72, v14, v22
	v_add_f32_e32 v14, v14, v18
	v_min3_f32 v20, v74, v73, v98
	v_dual_add_f32 v27, v3, v27 :: v_dual_add_f32 v70, v2, v26
	v_dual_add_f32 v73, v11, v23 :: v_dual_add_f32 v74, v10, v22
	;; [unrolled: 1-line block ×3, first 2 shown]
	v_min3_f32 v26, v69, v21, v97
	v_min3_f32 v69, v72, v71, v95
	v_dual_add_f32 v72, v6, v18 :: v_dual_add_f32 v23, v3, v23
	v_add_f32_e32 v22, v2, v22
	v_dual_add_f32 v2, v2, v18 :: v_dual_add_f32 v15, v15, v19
	v_add_f32_e32 v11, v11, v19
	v_add_f32_e32 v71, v7, v19
	;; [unrolled: 1-line block ×3, first 2 shown]
	v_min3_f32 v27, v70, v27, v96
	v_min3_f32 v70, v74, v73, v94
	;; [unrolled: 1-line block ×8, first 2 shown]
	s_or_b32 s5, s4, s5
	s_delay_alu instid0(SALU_CYCLE_1) | instskip(NEXT) | instid1(SALU_CYCLE_1)
	s_xor_b32 s5, s5, -1
	s_and_saveexec_b32 s6, s5
	s_cbranch_execz .LBB13_27
; %bb.43:                               ;   in Loop: Header=BB13_28 Depth=1
	v_add_co_u32 v14, s5, v157, v84
	s_delay_alu instid0(VALU_DEP_1)
	v_add_co_ci_u32_e64 v15, s5, 0, v158, s5
	flat_load_b32 v167, v[14:15] offset:48
	s_branch .LBB13_27
.LBB13_44:
	v_dual_mov_b32 v213, v54 :: v_dual_mov_b32 v214, v55
.LBB13_45:
	s_clause 0x2
	s_load_b64 s[2:3], s[0:1], 0x70
	s_load_b32 s6, s[0:1], 0x50
	s_load_b32 s5, s[0:1], 0x68
	ds_load_b128 v[16:19], v85 offset:2048
	ds_load_b128 v[12:15], v85 offset:2560
	;; [unrolled: 1-line block ×14, first 2 shown]
	v_add_nc_u32_e32 v113, s7, v214
	ds_load_b128 v[36:39], v82 offset:7424
	ds_load_b128 v[32:35], v82 offset:7552
	;; [unrolled: 1-line block ×6, first 2 shown]
	v_add_nc_u32_e32 v80, s14, v213
	v_cmp_gt_i32_e64 s4, s9, v113
	v_cndmask_b32_e64 v109, 0, 1, s15
	s_delay_alu instid0(VALU_DEP_3)
	v_ashrrev_i32_e32 v81, 31, v80
	s_waitcnt lgkmcnt(0)
	s_lshl_b64 s[0:1], s[2:3], 2
	v_mad_i64_i32 v[83:84], null, v113, s6, 0
	v_mad_i64_i32 v[85:86], null, v113, s5, 0
	s_add_u32 s7, s16, s0
	s_addc_u32 s10, s17, s1
	v_cmp_gt_i32_e64 s0, s8, v80
	s_delay_alu instid0(VALU_DEP_3) | instskip(NEXT) | instid1(VALU_DEP_3)
	v_lshlrev_b64 v[82:83], 2, v[83:84]
	v_lshlrev_b64 v[84:85], 2, v[85:86]
	s_delay_alu instid0(VALU_DEP_3) | instskip(NEXT) | instid1(VALU_DEP_2)
	s_and_b32 s1, s0, s4
	v_add_co_u32 v149, vcc_lo, s12, v82
	s_delay_alu instid0(VALU_DEP_3) | instskip(NEXT) | instid1(VALU_DEP_3)
	v_add_co_ci_u32_e32 v150, vcc_lo, s13, v83, vcc_lo
	v_add_co_u32 v147, vcc_lo, s7, v84
	s_delay_alu instid0(VALU_DEP_4) | instskip(SKIP_1) | instid1(SALU_CYCLE_1)
	v_add_co_ci_u32_e32 v148, vcc_lo, s10, v85, vcc_lo
	s_and_saveexec_b32 s2, s1
	s_xor_b32 s1, exec_lo, s2
	s_cbranch_execz .LBB13_50
; %bb.46:
	s_and_not1_b32 vcc_lo, exec_lo, s15
	s_cbranch_vccnz .LBB13_48
; %bb.47:
	v_lshlrev_b64 v[82:83], 2, v[80:81]
	s_delay_alu instid0(VALU_DEP_1) | instskip(NEXT) | instid1(VALU_DEP_2)
	v_add_co_u32 v82, vcc_lo, v149, v82
	v_add_co_ci_u32_e32 v83, vcc_lo, v150, v83, vcc_lo
	flat_load_b32 v82, v[82:83]
	s_waitcnt vmcnt(0) lgkmcnt(0)
	v_mul_f32_e32 v82, s11, v82
	s_branch .LBB13_49
.LBB13_48:
	v_mov_b32_e32 v82, 0
.LBB13_49:
	v_dual_add_f32 v83, v17, v77 :: v_dual_add_f32 v84, v16, v76
	v_dual_add_f32 v85, v19, v79 :: v_dual_add_f32 v86, v18, v78
	s_delay_alu instid0(VALU_DEP_2) | instskip(SKIP_1) | instid1(VALU_DEP_3)
	v_min3_f32 v87, v84, v83, v164
	v_lshlrev_b64 v[83:84], 2, v[80:81]
	v_min_f32_e32 v85, v86, v85
	s_delay_alu instid0(VALU_DEP_1) | instskip(NEXT) | instid1(VALU_DEP_3)
	v_min3_f32 v85, v82, v85, v87
	v_add_co_u32 v82, vcc_lo, v147, v83
	s_delay_alu instid0(VALU_DEP_4)
	v_add_co_ci_u32_e32 v83, vcc_lo, v148, v84, vcc_lo
	global_store_b32 v[82:83], v85, off
.LBB13_50:
	s_or_b32 exec_lo, exec_lo, s1
	v_add_nc_u32_e32 v82, 32, v80
	s_delay_alu instid0(VALU_DEP_1) | instskip(SKIP_1) | instid1(VALU_DEP_2)
	v_cmp_gt_i32_e64 s1, s8, v82
	v_ashrrev_i32_e32 v83, 31, v82
	s_and_b32 s3, s1, s4
	s_delay_alu instid0(SALU_CYCLE_1)
	s_and_saveexec_b32 s2, s3
	s_cbranch_execz .LBB13_55
; %bb.51:
	v_cmp_ne_u32_e32 vcc_lo, 1, v109
	s_cbranch_vccnz .LBB13_53
; %bb.52:
	v_lshlrev_b64 v[84:85], 2, v[82:83]
	s_delay_alu instid0(VALU_DEP_1) | instskip(NEXT) | instid1(VALU_DEP_2)
	v_add_co_u32 v84, vcc_lo, v149, v84
	v_add_co_ci_u32_e32 v85, vcc_lo, v150, v85, vcc_lo
	flat_load_b32 v84, v[84:85]
	s_waitcnt vmcnt(0) lgkmcnt(0)
	v_mul_f32_e32 v84, s11, v84
	s_branch .LBB13_54
.LBB13_53:
	v_mov_b32_e32 v84, 0
.LBB13_54:
	v_dual_add_f32 v85, v13, v77 :: v_dual_add_f32 v86, v12, v76
	v_add_f32_e32 v87, v15, v79
	v_add_f32_e32 v151, v14, v78
	s_delay_alu instid0(VALU_DEP_3) | instskip(SKIP_1) | instid1(VALU_DEP_3)
	v_min3_f32 v152, v86, v85, v163
	v_lshlrev_b64 v[85:86], 2, v[82:83]
	v_min_f32_e32 v87, v151, v87
	s_delay_alu instid0(VALU_DEP_1) | instskip(NEXT) | instid1(VALU_DEP_3)
	v_min3_f32 v87, v84, v87, v152
	v_add_co_u32 v84, vcc_lo, v147, v85
	s_delay_alu instid0(VALU_DEP_4)
	v_add_co_ci_u32_e32 v85, vcc_lo, v148, v86, vcc_lo
	global_store_b32 v[84:85], v87, off
.LBB13_55:
	s_or_b32 exec_lo, exec_lo, s2
	v_add_nc_u32_e32 v84, 64, v80
	s_delay_alu instid0(VALU_DEP_1) | instskip(SKIP_1) | instid1(VALU_DEP_2)
	v_cmp_gt_i32_e64 s2, s8, v84
	v_ashrrev_i32_e32 v85, 31, v84
	s_and_b32 s14, s2, s4
	s_delay_alu instid0(SALU_CYCLE_1)
	s_and_saveexec_b32 s3, s14
	s_cbranch_execz .LBB13_60
; %bb.56:
	v_cmp_ne_u32_e32 vcc_lo, 1, v109
	s_cbranch_vccnz .LBB13_58
; %bb.57:
	v_lshlrev_b64 v[86:87], 2, v[84:85]
	s_delay_alu instid0(VALU_DEP_1) | instskip(NEXT) | instid1(VALU_DEP_2)
	v_add_co_u32 v86, vcc_lo, v149, v86
	v_add_co_ci_u32_e32 v87, vcc_lo, v150, v87, vcc_lo
	flat_load_b32 v86, v[86:87]
	s_waitcnt vmcnt(0) lgkmcnt(0)
	v_mul_f32_e32 v86, s11, v86
	s_branch .LBB13_59
.LBB13_58:
	v_mov_b32_e32 v86, 0
.LBB13_59:
	v_dual_add_f32 v87, v9, v77 :: v_dual_add_f32 v152, v11, v79
	v_add_f32_e32 v151, v8, v76
	v_add_f32_e32 v153, v10, v78
	s_delay_alu instid0(VALU_DEP_2) | instskip(NEXT) | instid1(VALU_DEP_2)
	v_min3_f32 v87, v151, v87, v162
	v_min_f32_e32 v153, v153, v152
	v_lshlrev_b64 v[151:152], 2, v[84:85]
	s_delay_alu instid0(VALU_DEP_2) | instskip(NEXT) | instid1(VALU_DEP_2)
	v_min3_f32 v153, v86, v153, v87
	v_add_co_u32 v86, vcc_lo, v147, v151
	s_delay_alu instid0(VALU_DEP_3)
	v_add_co_ci_u32_e32 v87, vcc_lo, v148, v152, vcc_lo
	global_store_b32 v[86:87], v153, off
.LBB13_60:
	s_or_b32 exec_lo, exec_lo, s3
	v_add_nc_u32_e32 v86, 0x60, v80
	s_delay_alu instid0(VALU_DEP_1) | instskip(SKIP_1) | instid1(VALU_DEP_2)
	v_cmp_gt_i32_e64 s3, s8, v86
	v_ashrrev_i32_e32 v87, 31, v86
	s_and_b32 s8, s3, s4
	s_delay_alu instid0(SALU_CYCLE_1)
	s_and_saveexec_b32 s4, s8
	s_cbranch_execz .LBB13_65
; %bb.61:
	v_cmp_ne_u32_e32 vcc_lo, 1, v109
	s_cbranch_vccnz .LBB13_63
; %bb.62:
	v_lshlrev_b64 v[151:152], 2, v[86:87]
	s_delay_alu instid0(VALU_DEP_1) | instskip(NEXT) | instid1(VALU_DEP_2)
	v_add_co_u32 v149, vcc_lo, v149, v151
	v_add_co_ci_u32_e32 v150, vcc_lo, v150, v152, vcc_lo
	flat_load_b32 v149, v[149:150]
	s_waitcnt vmcnt(0) lgkmcnt(0)
	v_mul_f32_e32 v149, s11, v149
	s_branch .LBB13_64
.LBB13_63:
	v_mov_b32_e32 v149, 0
.LBB13_64:
	v_dual_add_f32 v77, v1, v77 :: v_dual_add_f32 v76, v0, v76
	v_dual_add_f32 v79, v3, v79 :: v_dual_add_f32 v78, v2, v78
	s_delay_alu instid0(VALU_DEP_2) | instskip(SKIP_1) | instid1(VALU_DEP_3)
	v_min3_f32 v150, v76, v77, v161
	v_lshlrev_b64 v[76:77], 2, v[86:87]
	v_min_f32_e32 v78, v78, v79
	s_delay_alu instid0(VALU_DEP_1) | instskip(NEXT) | instid1(VALU_DEP_3)
	v_min3_f32 v78, v149, v78, v150
	v_add_co_u32 v76, vcc_lo, v147, v76
	s_delay_alu instid0(VALU_DEP_4)
	v_add_co_ci_u32_e32 v77, vcc_lo, v148, v77, vcc_lo
	global_store_b32 v[76:77], v78, off
.LBB13_65:
	s_or_b32 exec_lo, exec_lo, s4
	v_add_nc_u32_e32 v147, 8, v113
	s_delay_alu instid0(VALU_DEP_1) | instskip(SKIP_2) | instid1(VALU_DEP_3)
	v_mad_i64_i32 v[76:77], null, v147, s6, 0
	v_mad_i64_i32 v[78:79], null, v147, s5, 0
	v_cmp_gt_i32_e64 s4, s9, v147
	v_lshlrev_b64 v[76:77], 2, v[76:77]
	s_delay_alu instid0(VALU_DEP_2) | instskip(NEXT) | instid1(VALU_DEP_3)
	s_and_b32 s14, s0, s4
	v_lshlrev_b64 v[147:148], 2, v[78:79]
	s_delay_alu instid0(VALU_DEP_2) | instskip(NEXT) | instid1(VALU_DEP_3)
	v_add_co_u32 v78, vcc_lo, s12, v76
	v_add_co_ci_u32_e32 v79, vcc_lo, s13, v77, vcc_lo
	s_delay_alu instid0(VALU_DEP_3) | instskip(NEXT) | instid1(VALU_DEP_4)
	v_add_co_u32 v76, vcc_lo, s7, v147
	v_add_co_ci_u32_e32 v77, vcc_lo, s10, v148, vcc_lo
	s_and_saveexec_b32 s8, s14
	s_cbranch_execnz .LBB13_69
; %bb.66:
	s_or_b32 exec_lo, exec_lo, s8
	s_and_b32 s14, s1, s4
	s_delay_alu instid0(SALU_CYCLE_1)
	s_and_saveexec_b32 s8, s14
	s_cbranch_execnz .LBB13_73
.LBB13_67:
	s_or_b32 exec_lo, exec_lo, s8
	s_and_b32 s14, s2, s4
	s_delay_alu instid0(SALU_CYCLE_1)
	s_and_saveexec_b32 s8, s14
	s_cbranch_execnz .LBB13_77
.LBB13_68:
	s_or_b32 exec_lo, exec_lo, s8
	s_and_b32 s8, s3, s4
	s_delay_alu instid0(SALU_CYCLE_1)
	s_and_saveexec_b32 s4, s8
	s_cbranch_execnz .LBB13_81
	s_branch .LBB13_85
.LBB13_69:
	v_cmp_ne_u32_e32 vcc_lo, 1, v109
	s_cbranch_vccnz .LBB13_71
; %bb.70:
	v_lshlrev_b64 v[147:148], 2, v[80:81]
	s_delay_alu instid0(VALU_DEP_1) | instskip(NEXT) | instid1(VALU_DEP_2)
	v_add_co_u32 v147, vcc_lo, v78, v147
	v_add_co_ci_u32_e32 v148, vcc_lo, v79, v148, vcc_lo
	flat_load_b32 v147, v[147:148]
	s_waitcnt vmcnt(0) lgkmcnt(0)
	v_mul_f32_e32 v147, s11, v147
	s_branch .LBB13_72
.LBB13_71:
	v_mov_b32_e32 v147, 0
.LBB13_72:
	v_dual_add_f32 v148, v17, v73 :: v_dual_add_f32 v149, v16, v72
	v_dual_add_f32 v150, v19, v75 :: v_dual_add_f32 v151, v18, v74
	s_delay_alu instid0(VALU_DEP_2) | instskip(SKIP_1) | instid1(VALU_DEP_3)
	v_min3_f32 v152, v149, v148, v160
	v_lshlrev_b64 v[148:149], 2, v[80:81]
	v_min_f32_e32 v150, v151, v150
	s_delay_alu instid0(VALU_DEP_1) | instskip(NEXT) | instid1(VALU_DEP_3)
	v_min3_f32 v150, v147, v150, v152
	v_add_co_u32 v147, vcc_lo, v76, v148
	s_delay_alu instid0(VALU_DEP_4) | instskip(SKIP_3) | instid1(SALU_CYCLE_1)
	v_add_co_ci_u32_e32 v148, vcc_lo, v77, v149, vcc_lo
	global_store_b32 v[147:148], v150, off
	s_or_b32 exec_lo, exec_lo, s8
	s_and_b32 s14, s1, s4
	s_and_saveexec_b32 s8, s14
	s_cbranch_execz .LBB13_67
.LBB13_73:
	v_cmp_ne_u32_e32 vcc_lo, 1, v109
	s_cbranch_vccnz .LBB13_75
; %bb.74:
	v_lshlrev_b64 v[147:148], 2, v[82:83]
	s_delay_alu instid0(VALU_DEP_1) | instskip(NEXT) | instid1(VALU_DEP_2)
	v_add_co_u32 v147, vcc_lo, v78, v147
	v_add_co_ci_u32_e32 v148, vcc_lo, v79, v148, vcc_lo
	flat_load_b32 v147, v[147:148]
	s_waitcnt vmcnt(0) lgkmcnt(0)
	v_mul_f32_e32 v147, s11, v147
	s_branch .LBB13_76
.LBB13_75:
	v_mov_b32_e32 v147, 0
.LBB13_76:
	v_dual_add_f32 v148, v13, v73 :: v_dual_add_f32 v149, v12, v72
	v_dual_add_f32 v150, v15, v75 :: v_dual_add_f32 v151, v14, v74
	s_delay_alu instid0(VALU_DEP_2) | instskip(SKIP_1) | instid1(VALU_DEP_3)
	v_min3_f32 v152, v149, v148, v159
	v_lshlrev_b64 v[148:149], 2, v[82:83]
	v_min_f32_e32 v150, v151, v150
	s_delay_alu instid0(VALU_DEP_1) | instskip(NEXT) | instid1(VALU_DEP_3)
	v_min3_f32 v150, v147, v150, v152
	v_add_co_u32 v147, vcc_lo, v76, v148
	s_delay_alu instid0(VALU_DEP_4) | instskip(SKIP_3) | instid1(SALU_CYCLE_1)
	v_add_co_ci_u32_e32 v148, vcc_lo, v77, v149, vcc_lo
	global_store_b32 v[147:148], v150, off
	s_or_b32 exec_lo, exec_lo, s8
	s_and_b32 s14, s2, s4
	s_and_saveexec_b32 s8, s14
	s_cbranch_execz .LBB13_68
.LBB13_77:
	v_cmp_ne_u32_e32 vcc_lo, 1, v109
	s_cbranch_vccnz .LBB13_79
; %bb.78:
	v_lshlrev_b64 v[147:148], 2, v[84:85]
	s_delay_alu instid0(VALU_DEP_1) | instskip(NEXT) | instid1(VALU_DEP_2)
	v_add_co_u32 v147, vcc_lo, v78, v147
	v_add_co_ci_u32_e32 v148, vcc_lo, v79, v148, vcc_lo
	flat_load_b32 v147, v[147:148]
	s_waitcnt vmcnt(0) lgkmcnt(0)
	v_mul_f32_e32 v147, s11, v147
	s_branch .LBB13_80
.LBB13_79:
	v_mov_b32_e32 v147, 0
.LBB13_80:
	v_dual_add_f32 v148, v9, v73 :: v_dual_add_f32 v149, v8, v72
	v_dual_add_f32 v150, v11, v75 :: v_dual_add_f32 v151, v10, v74
	s_delay_alu instid0(VALU_DEP_2) | instskip(SKIP_1) | instid1(VALU_DEP_3)
	v_min3_f32 v152, v149, v148, v155
	v_lshlrev_b64 v[148:149], 2, v[84:85]
	v_min_f32_e32 v150, v151, v150
	s_delay_alu instid0(VALU_DEP_1) | instskip(NEXT) | instid1(VALU_DEP_3)
	v_min3_f32 v150, v147, v150, v152
	v_add_co_u32 v147, vcc_lo, v76, v148
	s_delay_alu instid0(VALU_DEP_4) | instskip(SKIP_3) | instid1(SALU_CYCLE_1)
	v_add_co_ci_u32_e32 v148, vcc_lo, v77, v149, vcc_lo
	global_store_b32 v[147:148], v150, off
	s_or_b32 exec_lo, exec_lo, s8
	s_and_b32 s8, s3, s4
	s_and_saveexec_b32 s4, s8
	s_cbranch_execz .LBB13_85
.LBB13_81:
	v_cmp_ne_u32_e32 vcc_lo, 1, v109
	s_cbranch_vccnz .LBB13_83
; %bb.82:
	v_lshlrev_b64 v[147:148], 2, v[86:87]
	s_delay_alu instid0(VALU_DEP_1) | instskip(NEXT) | instid1(VALU_DEP_2)
	v_add_co_u32 v78, vcc_lo, v78, v147
	v_add_co_ci_u32_e32 v79, vcc_lo, v79, v148, vcc_lo
	flat_load_b32 v78, v[78:79]
	s_waitcnt vmcnt(0) lgkmcnt(0)
	v_mul_f32_e32 v78, s11, v78
	s_branch .LBB13_84
.LBB13_83:
	v_mov_b32_e32 v78, 0
.LBB13_84:
	v_dual_add_f32 v73, v1, v73 :: v_dual_add_f32 v72, v0, v72
	v_dual_add_f32 v75, v3, v75 :: v_dual_add_f32 v74, v2, v74
	s_delay_alu instid0(VALU_DEP_2) | instskip(SKIP_1) | instid1(VALU_DEP_3)
	v_min3_f32 v79, v72, v73, v146
	v_lshlrev_b64 v[72:73], 2, v[86:87]
	v_min_f32_e32 v74, v74, v75
	s_delay_alu instid0(VALU_DEP_1) | instskip(NEXT) | instid1(VALU_DEP_3)
	v_min3_f32 v74, v78, v74, v79
	v_add_co_u32 v72, vcc_lo, v76, v72
	s_delay_alu instid0(VALU_DEP_4)
	v_add_co_ci_u32_e32 v73, vcc_lo, v77, v73, vcc_lo
	global_store_b32 v[72:73], v74, off
.LBB13_85:
	s_or_b32 exec_lo, exec_lo, s4
	v_add_nc_u32_e32 v76, 16, v113
	s_delay_alu instid0(VALU_DEP_1) | instskip(SKIP_2) | instid1(VALU_DEP_3)
	v_mad_i64_i32 v[72:73], null, v76, s6, 0
	v_mad_i64_i32 v[74:75], null, v76, s5, 0
	v_cmp_gt_i32_e64 s4, s9, v76
	v_lshlrev_b64 v[72:73], 2, v[72:73]
	s_delay_alu instid0(VALU_DEP_2) | instskip(NEXT) | instid1(VALU_DEP_3)
	s_and_b32 s14, s0, s4
	v_lshlrev_b64 v[76:77], 2, v[74:75]
	s_delay_alu instid0(VALU_DEP_2) | instskip(NEXT) | instid1(VALU_DEP_3)
	v_add_co_u32 v74, vcc_lo, s12, v72
	v_add_co_ci_u32_e32 v75, vcc_lo, s13, v73, vcc_lo
	s_delay_alu instid0(VALU_DEP_3) | instskip(NEXT) | instid1(VALU_DEP_4)
	v_add_co_u32 v72, vcc_lo, s7, v76
	v_add_co_ci_u32_e32 v73, vcc_lo, s10, v77, vcc_lo
	s_and_saveexec_b32 s8, s14
	s_cbranch_execnz .LBB13_89
; %bb.86:
	s_or_b32 exec_lo, exec_lo, s8
	s_and_b32 s14, s1, s4
	s_delay_alu instid0(SALU_CYCLE_1)
	s_and_saveexec_b32 s8, s14
	s_cbranch_execnz .LBB13_93
.LBB13_87:
	s_or_b32 exec_lo, exec_lo, s8
	s_and_b32 s14, s2, s4
	s_delay_alu instid0(SALU_CYCLE_1)
	s_and_saveexec_b32 s8, s14
	s_cbranch_execnz .LBB13_97
.LBB13_88:
	s_or_b32 exec_lo, exec_lo, s8
	s_and_b32 s8, s3, s4
	s_delay_alu instid0(SALU_CYCLE_1)
	s_and_saveexec_b32 s4, s8
	s_cbranch_execnz .LBB13_101
	s_branch .LBB13_105
.LBB13_89:
	v_cmp_ne_u32_e32 vcc_lo, 1, v109
	s_cbranch_vccnz .LBB13_91
; %bb.90:
	v_lshlrev_b64 v[76:77], 2, v[80:81]
	s_delay_alu instid0(VALU_DEP_1) | instskip(NEXT) | instid1(VALU_DEP_2)
	v_add_co_u32 v76, vcc_lo, v74, v76
	v_add_co_ci_u32_e32 v77, vcc_lo, v75, v77, vcc_lo
	flat_load_b32 v76, v[76:77]
	s_waitcnt vmcnt(0) lgkmcnt(0)
	v_mul_f32_e32 v76, s11, v76
	s_branch .LBB13_92
.LBB13_91:
	v_mov_b32_e32 v76, 0
.LBB13_92:
	v_dual_add_f32 v77, v17, v69 :: v_dual_add_f32 v78, v16, v68
	v_dual_add_f32 v79, v19, v71 :: v_dual_add_f32 v146, v18, v70
	s_delay_alu instid0(VALU_DEP_2) | instskip(SKIP_1) | instid1(VALU_DEP_3)
	v_min3_f32 v145, v78, v77, v145
	v_lshlrev_b64 v[77:78], 2, v[80:81]
	v_min_f32_e32 v79, v146, v79
	s_delay_alu instid0(VALU_DEP_1) | instskip(NEXT) | instid1(VALU_DEP_3)
	v_min3_f32 v79, v76, v79, v145
	v_add_co_u32 v76, vcc_lo, v72, v77
	s_delay_alu instid0(VALU_DEP_4) | instskip(SKIP_3) | instid1(SALU_CYCLE_1)
	v_add_co_ci_u32_e32 v77, vcc_lo, v73, v78, vcc_lo
	global_store_b32 v[76:77], v79, off
	s_or_b32 exec_lo, exec_lo, s8
	s_and_b32 s14, s1, s4
	s_and_saveexec_b32 s8, s14
	s_cbranch_execz .LBB13_87
.LBB13_93:
	v_cmp_ne_u32_e32 vcc_lo, 1, v109
	s_cbranch_vccnz .LBB13_95
; %bb.94:
	v_lshlrev_b64 v[76:77], 2, v[82:83]
	s_delay_alu instid0(VALU_DEP_1) | instskip(NEXT) | instid1(VALU_DEP_2)
	v_add_co_u32 v76, vcc_lo, v74, v76
	v_add_co_ci_u32_e32 v77, vcc_lo, v75, v77, vcc_lo
	flat_load_b32 v76, v[76:77]
	s_waitcnt vmcnt(0) lgkmcnt(0)
	v_mul_f32_e32 v76, s11, v76
	s_branch .LBB13_96
.LBB13_95:
	v_mov_b32_e32 v76, 0
.LBB13_96:
	v_dual_add_f32 v77, v13, v69 :: v_dual_add_f32 v78, v12, v68
	v_add_f32_e32 v79, v15, v71
	v_add_f32_e32 v145, v14, v70
	s_delay_alu instid0(VALU_DEP_3) | instskip(SKIP_1) | instid1(VALU_DEP_3)
	v_min3_f32 v144, v78, v77, v144
	v_lshlrev_b64 v[77:78], 2, v[82:83]
	v_min_f32_e32 v79, v145, v79
	s_delay_alu instid0(VALU_DEP_1) | instskip(NEXT) | instid1(VALU_DEP_3)
	v_min3_f32 v79, v76, v79, v144
	v_add_co_u32 v76, vcc_lo, v72, v77
	s_delay_alu instid0(VALU_DEP_4) | instskip(SKIP_3) | instid1(SALU_CYCLE_1)
	v_add_co_ci_u32_e32 v77, vcc_lo, v73, v78, vcc_lo
	global_store_b32 v[76:77], v79, off
	s_or_b32 exec_lo, exec_lo, s8
	s_and_b32 s14, s2, s4
	s_and_saveexec_b32 s8, s14
	s_cbranch_execz .LBB13_88
.LBB13_97:
	v_cmp_ne_u32_e32 vcc_lo, 1, v109
	s_cbranch_vccnz .LBB13_99
; %bb.98:
	v_lshlrev_b64 v[76:77], 2, v[84:85]
	s_delay_alu instid0(VALU_DEP_1) | instskip(NEXT) | instid1(VALU_DEP_2)
	v_add_co_u32 v76, vcc_lo, v74, v76
	v_add_co_ci_u32_e32 v77, vcc_lo, v75, v77, vcc_lo
	flat_load_b32 v76, v[76:77]
	s_waitcnt vmcnt(0) lgkmcnt(0)
	v_mul_f32_e32 v76, s11, v76
	s_branch .LBB13_100
.LBB13_99:
	v_mov_b32_e32 v76, 0
.LBB13_100:
	v_dual_add_f32 v77, v9, v69 :: v_dual_add_f32 v78, v8, v68
	v_dual_add_f32 v79, v11, v71 :: v_dual_add_f32 v144, v10, v70
	s_delay_alu instid0(VALU_DEP_2) | instskip(SKIP_1) | instid1(VALU_DEP_3)
	v_min3_f32 v143, v78, v77, v143
	v_lshlrev_b64 v[77:78], 2, v[84:85]
	v_min_f32_e32 v79, v144, v79
	s_delay_alu instid0(VALU_DEP_1) | instskip(NEXT) | instid1(VALU_DEP_3)
	v_min3_f32 v79, v76, v79, v143
	v_add_co_u32 v76, vcc_lo, v72, v77
	s_delay_alu instid0(VALU_DEP_4) | instskip(SKIP_3) | instid1(SALU_CYCLE_1)
	v_add_co_ci_u32_e32 v77, vcc_lo, v73, v78, vcc_lo
	global_store_b32 v[76:77], v79, off
	s_or_b32 exec_lo, exec_lo, s8
	s_and_b32 s8, s3, s4
	s_and_saveexec_b32 s4, s8
	s_cbranch_execz .LBB13_105
.LBB13_101:
	v_cmp_ne_u32_e32 vcc_lo, 1, v109
	s_cbranch_vccnz .LBB13_103
; %bb.102:
	v_lshlrev_b64 v[76:77], 2, v[86:87]
	s_delay_alu instid0(VALU_DEP_1) | instskip(NEXT) | instid1(VALU_DEP_2)
	v_add_co_u32 v74, vcc_lo, v74, v76
	v_add_co_ci_u32_e32 v75, vcc_lo, v75, v77, vcc_lo
	flat_load_b32 v74, v[74:75]
	s_waitcnt vmcnt(0) lgkmcnt(0)
	v_mul_f32_e32 v74, s11, v74
	s_branch .LBB13_104
.LBB13_103:
	v_mov_b32_e32 v74, 0
.LBB13_104:
	v_dual_add_f32 v69, v1, v69 :: v_dual_add_f32 v68, v0, v68
	v_dual_add_f32 v71, v3, v71 :: v_dual_add_f32 v70, v2, v70
	s_delay_alu instid0(VALU_DEP_2) | instskip(SKIP_1) | instid1(VALU_DEP_3)
	v_min3_f32 v75, v68, v69, v142
	v_lshlrev_b64 v[68:69], 2, v[86:87]
	v_min_f32_e32 v70, v70, v71
	s_delay_alu instid0(VALU_DEP_1) | instskip(NEXT) | instid1(VALU_DEP_3)
	v_min3_f32 v70, v74, v70, v75
	v_add_co_u32 v68, vcc_lo, v72, v68
	s_delay_alu instid0(VALU_DEP_4)
	v_add_co_ci_u32_e32 v69, vcc_lo, v73, v69, vcc_lo
	global_store_b32 v[68:69], v70, off
.LBB13_105:
	s_or_b32 exec_lo, exec_lo, s4
	v_add_nc_u32_e32 v72, 24, v113
	s_delay_alu instid0(VALU_DEP_1) | instskip(SKIP_2) | instid1(VALU_DEP_3)
	v_mad_i64_i32 v[68:69], null, v72, s6, 0
	v_mad_i64_i32 v[70:71], null, v72, s5, 0
	v_cmp_gt_i32_e64 s4, s9, v72
	v_lshlrev_b64 v[68:69], 2, v[68:69]
	s_delay_alu instid0(VALU_DEP_2) | instskip(NEXT) | instid1(VALU_DEP_3)
	s_and_b32 s14, s0, s4
	v_lshlrev_b64 v[72:73], 2, v[70:71]
	s_delay_alu instid0(VALU_DEP_2) | instskip(NEXT) | instid1(VALU_DEP_3)
	v_add_co_u32 v70, vcc_lo, s12, v68
	v_add_co_ci_u32_e32 v71, vcc_lo, s13, v69, vcc_lo
	s_delay_alu instid0(VALU_DEP_3) | instskip(NEXT) | instid1(VALU_DEP_4)
	v_add_co_u32 v68, vcc_lo, s7, v72
	v_add_co_ci_u32_e32 v69, vcc_lo, s10, v73, vcc_lo
	s_and_saveexec_b32 s8, s14
	s_cbranch_execnz .LBB13_109
; %bb.106:
	s_or_b32 exec_lo, exec_lo, s8
	s_and_b32 s14, s1, s4
	s_delay_alu instid0(SALU_CYCLE_1)
	s_and_saveexec_b32 s8, s14
	s_cbranch_execnz .LBB13_113
.LBB13_107:
	s_or_b32 exec_lo, exec_lo, s8
	s_and_b32 s14, s2, s4
	s_delay_alu instid0(SALU_CYCLE_1)
	s_and_saveexec_b32 s8, s14
	s_cbranch_execnz .LBB13_117
.LBB13_108:
	s_or_b32 exec_lo, exec_lo, s8
	s_and_b32 s8, s3, s4
	s_delay_alu instid0(SALU_CYCLE_1)
	s_and_saveexec_b32 s4, s8
	s_cbranch_execnz .LBB13_121
	s_branch .LBB13_125
.LBB13_109:
	v_cmp_ne_u32_e32 vcc_lo, 1, v109
	s_cbranch_vccnz .LBB13_111
; %bb.110:
	v_lshlrev_b64 v[72:73], 2, v[80:81]
	s_delay_alu instid0(VALU_DEP_1) | instskip(NEXT) | instid1(VALU_DEP_2)
	v_add_co_u32 v72, vcc_lo, v70, v72
	v_add_co_ci_u32_e32 v73, vcc_lo, v71, v73, vcc_lo
	flat_load_b32 v72, v[72:73]
	s_waitcnt vmcnt(0) lgkmcnt(0)
	v_mul_f32_e32 v72, s11, v72
	s_branch .LBB13_112
.LBB13_111:
	v_mov_b32_e32 v72, 0
.LBB13_112:
	v_dual_add_f32 v73, v17, v65 :: v_dual_add_f32 v74, v16, v64
	v_dual_add_f32 v75, v19, v67 :: v_dual_add_f32 v76, v18, v66
	s_delay_alu instid0(VALU_DEP_2) | instskip(SKIP_1) | instid1(VALU_DEP_3)
	v_min3_f32 v77, v74, v73, v141
	v_lshlrev_b64 v[73:74], 2, v[80:81]
	v_min_f32_e32 v75, v76, v75
	s_delay_alu instid0(VALU_DEP_1) | instskip(NEXT) | instid1(VALU_DEP_3)
	v_min3_f32 v75, v72, v75, v77
	v_add_co_u32 v72, vcc_lo, v68, v73
	s_delay_alu instid0(VALU_DEP_4) | instskip(SKIP_3) | instid1(SALU_CYCLE_1)
	v_add_co_ci_u32_e32 v73, vcc_lo, v69, v74, vcc_lo
	global_store_b32 v[72:73], v75, off
	s_or_b32 exec_lo, exec_lo, s8
	s_and_b32 s14, s1, s4
	s_and_saveexec_b32 s8, s14
	s_cbranch_execz .LBB13_107
.LBB13_113:
	v_cmp_ne_u32_e32 vcc_lo, 1, v109
	s_cbranch_vccnz .LBB13_115
; %bb.114:
	v_lshlrev_b64 v[72:73], 2, v[82:83]
	s_delay_alu instid0(VALU_DEP_1) | instskip(NEXT) | instid1(VALU_DEP_2)
	v_add_co_u32 v72, vcc_lo, v70, v72
	v_add_co_ci_u32_e32 v73, vcc_lo, v71, v73, vcc_lo
	flat_load_b32 v72, v[72:73]
	s_waitcnt vmcnt(0) lgkmcnt(0)
	v_mul_f32_e32 v72, s11, v72
	s_branch .LBB13_116
.LBB13_115:
	v_mov_b32_e32 v72, 0
.LBB13_116:
	v_dual_add_f32 v73, v13, v65 :: v_dual_add_f32 v74, v12, v64
	v_dual_add_f32 v75, v15, v67 :: v_dual_add_f32 v76, v14, v66
	s_delay_alu instid0(VALU_DEP_2) | instskip(SKIP_1) | instid1(VALU_DEP_3)
	v_min3_f32 v77, v74, v73, v140
	v_lshlrev_b64 v[73:74], 2, v[82:83]
	v_min_f32_e32 v75, v76, v75
	s_delay_alu instid0(VALU_DEP_1) | instskip(NEXT) | instid1(VALU_DEP_3)
	v_min3_f32 v75, v72, v75, v77
	v_add_co_u32 v72, vcc_lo, v68, v73
	s_delay_alu instid0(VALU_DEP_4) | instskip(SKIP_3) | instid1(SALU_CYCLE_1)
	v_add_co_ci_u32_e32 v73, vcc_lo, v69, v74, vcc_lo
	global_store_b32 v[72:73], v75, off
	s_or_b32 exec_lo, exec_lo, s8
	s_and_b32 s14, s2, s4
	s_and_saveexec_b32 s8, s14
	s_cbranch_execz .LBB13_108
.LBB13_117:
	v_cmp_ne_u32_e32 vcc_lo, 1, v109
	s_cbranch_vccnz .LBB13_119
; %bb.118:
	v_lshlrev_b64 v[72:73], 2, v[84:85]
	s_delay_alu instid0(VALU_DEP_1) | instskip(NEXT) | instid1(VALU_DEP_2)
	v_add_co_u32 v72, vcc_lo, v70, v72
	v_add_co_ci_u32_e32 v73, vcc_lo, v71, v73, vcc_lo
	flat_load_b32 v72, v[72:73]
	s_waitcnt vmcnt(0) lgkmcnt(0)
	v_mul_f32_e32 v72, s11, v72
	s_branch .LBB13_120
.LBB13_119:
	v_mov_b32_e32 v72, 0
.LBB13_120:
	v_dual_add_f32 v73, v9, v65 :: v_dual_add_f32 v74, v8, v64
	v_dual_add_f32 v75, v11, v67 :: v_dual_add_f32 v76, v10, v66
	s_delay_alu instid0(VALU_DEP_2) | instskip(SKIP_1) | instid1(VALU_DEP_3)
	v_min3_f32 v77, v74, v73, v139
	v_lshlrev_b64 v[73:74], 2, v[84:85]
	v_min_f32_e32 v75, v76, v75
	s_delay_alu instid0(VALU_DEP_1) | instskip(NEXT) | instid1(VALU_DEP_3)
	v_min3_f32 v75, v72, v75, v77
	v_add_co_u32 v72, vcc_lo, v68, v73
	s_delay_alu instid0(VALU_DEP_4) | instskip(SKIP_3) | instid1(SALU_CYCLE_1)
	v_add_co_ci_u32_e32 v73, vcc_lo, v69, v74, vcc_lo
	global_store_b32 v[72:73], v75, off
	s_or_b32 exec_lo, exec_lo, s8
	s_and_b32 s8, s3, s4
	s_and_saveexec_b32 s4, s8
	s_cbranch_execz .LBB13_125
.LBB13_121:
	v_cmp_ne_u32_e32 vcc_lo, 1, v109
	s_cbranch_vccnz .LBB13_123
; %bb.122:
	v_lshlrev_b64 v[72:73], 2, v[86:87]
	s_delay_alu instid0(VALU_DEP_1) | instskip(NEXT) | instid1(VALU_DEP_2)
	v_add_co_u32 v70, vcc_lo, v70, v72
	v_add_co_ci_u32_e32 v71, vcc_lo, v71, v73, vcc_lo
	flat_load_b32 v70, v[70:71]
	s_waitcnt vmcnt(0) lgkmcnt(0)
	v_mul_f32_e32 v70, s11, v70
	s_branch .LBB13_124
.LBB13_123:
	v_mov_b32_e32 v70, 0
.LBB13_124:
	v_dual_add_f32 v65, v1, v65 :: v_dual_add_f32 v64, v0, v64
	v_dual_add_f32 v67, v3, v67 :: v_dual_add_f32 v66, v2, v66
	s_delay_alu instid0(VALU_DEP_2) | instskip(SKIP_1) | instid1(VALU_DEP_3)
	v_min3_f32 v71, v64, v65, v138
	v_lshlrev_b64 v[64:65], 2, v[86:87]
	v_min_f32_e32 v66, v66, v67
	s_delay_alu instid0(VALU_DEP_1) | instskip(NEXT) | instid1(VALU_DEP_3)
	v_min3_f32 v66, v70, v66, v71
	v_add_co_u32 v64, vcc_lo, v68, v64
	s_delay_alu instid0(VALU_DEP_4)
	v_add_co_ci_u32_e32 v65, vcc_lo, v69, v65, vcc_lo
	global_store_b32 v[64:65], v66, off
.LBB13_125:
	s_or_b32 exec_lo, exec_lo, s4
	v_add_nc_u32_e32 v68, 32, v113
	s_delay_alu instid0(VALU_DEP_1) | instskip(SKIP_2) | instid1(VALU_DEP_3)
	v_mad_i64_i32 v[64:65], null, v68, s6, 0
	v_mad_i64_i32 v[66:67], null, v68, s5, 0
	v_cmp_gt_i32_e64 s4, s9, v68
	v_lshlrev_b64 v[64:65], 2, v[64:65]
	s_delay_alu instid0(VALU_DEP_2) | instskip(NEXT) | instid1(VALU_DEP_3)
	s_and_b32 s14, s0, s4
	v_lshlrev_b64 v[68:69], 2, v[66:67]
	s_delay_alu instid0(VALU_DEP_2) | instskip(NEXT) | instid1(VALU_DEP_3)
	v_add_co_u32 v66, vcc_lo, s12, v64
	v_add_co_ci_u32_e32 v67, vcc_lo, s13, v65, vcc_lo
	s_delay_alu instid0(VALU_DEP_3) | instskip(NEXT) | instid1(VALU_DEP_4)
	v_add_co_u32 v64, vcc_lo, s7, v68
	v_add_co_ci_u32_e32 v65, vcc_lo, s10, v69, vcc_lo
	s_and_saveexec_b32 s8, s14
	s_cbranch_execnz .LBB13_129
; %bb.126:
	s_or_b32 exec_lo, exec_lo, s8
	s_and_b32 s14, s1, s4
	s_delay_alu instid0(SALU_CYCLE_1)
	s_and_saveexec_b32 s8, s14
	s_cbranch_execnz .LBB13_133
.LBB13_127:
	s_or_b32 exec_lo, exec_lo, s8
	s_and_b32 s14, s2, s4
	s_delay_alu instid0(SALU_CYCLE_1)
	s_and_saveexec_b32 s8, s14
	s_cbranch_execnz .LBB13_137
.LBB13_128:
	s_or_b32 exec_lo, exec_lo, s8
	s_and_b32 s8, s3, s4
	s_delay_alu instid0(SALU_CYCLE_1)
	s_and_saveexec_b32 s4, s8
	s_cbranch_execnz .LBB13_141
	s_branch .LBB13_145
.LBB13_129:
	v_cmp_ne_u32_e32 vcc_lo, 1, v109
	s_cbranch_vccnz .LBB13_131
; %bb.130:
	v_lshlrev_b64 v[68:69], 2, v[80:81]
	s_delay_alu instid0(VALU_DEP_1) | instskip(NEXT) | instid1(VALU_DEP_2)
	v_add_co_u32 v68, vcc_lo, v66, v68
	v_add_co_ci_u32_e32 v69, vcc_lo, v67, v69, vcc_lo
	flat_load_b32 v68, v[68:69]
	s_waitcnt vmcnt(0) lgkmcnt(0)
	v_mul_f32_e32 v68, s11, v68
	s_branch .LBB13_132
.LBB13_131:
	v_mov_b32_e32 v68, 0
.LBB13_132:
	v_dual_add_f32 v69, v17, v61 :: v_dual_add_f32 v70, v16, v60
	v_dual_add_f32 v71, v19, v63 :: v_dual_add_f32 v72, v18, v62
	s_delay_alu instid0(VALU_DEP_2) | instskip(SKIP_1) | instid1(VALU_DEP_3)
	v_min3_f32 v73, v70, v69, v137
	v_lshlrev_b64 v[69:70], 2, v[80:81]
	v_min_f32_e32 v71, v72, v71
	s_delay_alu instid0(VALU_DEP_1) | instskip(NEXT) | instid1(VALU_DEP_3)
	v_min3_f32 v71, v68, v71, v73
	v_add_co_u32 v68, vcc_lo, v64, v69
	s_delay_alu instid0(VALU_DEP_4) | instskip(SKIP_3) | instid1(SALU_CYCLE_1)
	v_add_co_ci_u32_e32 v69, vcc_lo, v65, v70, vcc_lo
	global_store_b32 v[68:69], v71, off
	s_or_b32 exec_lo, exec_lo, s8
	s_and_b32 s14, s1, s4
	s_and_saveexec_b32 s8, s14
	s_cbranch_execz .LBB13_127
.LBB13_133:
	v_cmp_ne_u32_e32 vcc_lo, 1, v109
	s_cbranch_vccnz .LBB13_135
; %bb.134:
	v_lshlrev_b64 v[68:69], 2, v[82:83]
	s_delay_alu instid0(VALU_DEP_1) | instskip(NEXT) | instid1(VALU_DEP_2)
	v_add_co_u32 v68, vcc_lo, v66, v68
	v_add_co_ci_u32_e32 v69, vcc_lo, v67, v69, vcc_lo
	flat_load_b32 v68, v[68:69]
	s_waitcnt vmcnt(0) lgkmcnt(0)
	v_mul_f32_e32 v68, s11, v68
	s_branch .LBB13_136
.LBB13_135:
	v_mov_b32_e32 v68, 0
.LBB13_136:
	v_dual_add_f32 v69, v13, v61 :: v_dual_add_f32 v70, v12, v60
	v_dual_add_f32 v71, v15, v63 :: v_dual_add_f32 v72, v14, v62
	s_delay_alu instid0(VALU_DEP_2) | instskip(SKIP_1) | instid1(VALU_DEP_3)
	v_min3_f32 v73, v70, v69, v136
	v_lshlrev_b64 v[69:70], 2, v[82:83]
	v_min_f32_e32 v71, v72, v71
	s_delay_alu instid0(VALU_DEP_1) | instskip(NEXT) | instid1(VALU_DEP_3)
	v_min3_f32 v71, v68, v71, v73
	v_add_co_u32 v68, vcc_lo, v64, v69
	s_delay_alu instid0(VALU_DEP_4) | instskip(SKIP_3) | instid1(SALU_CYCLE_1)
	v_add_co_ci_u32_e32 v69, vcc_lo, v65, v70, vcc_lo
	global_store_b32 v[68:69], v71, off
	s_or_b32 exec_lo, exec_lo, s8
	s_and_b32 s14, s2, s4
	s_and_saveexec_b32 s8, s14
	s_cbranch_execz .LBB13_128
.LBB13_137:
	v_cmp_ne_u32_e32 vcc_lo, 1, v109
	s_cbranch_vccnz .LBB13_139
; %bb.138:
	v_lshlrev_b64 v[68:69], 2, v[84:85]
	s_delay_alu instid0(VALU_DEP_1) | instskip(NEXT) | instid1(VALU_DEP_2)
	v_add_co_u32 v68, vcc_lo, v66, v68
	v_add_co_ci_u32_e32 v69, vcc_lo, v67, v69, vcc_lo
	flat_load_b32 v68, v[68:69]
	s_waitcnt vmcnt(0) lgkmcnt(0)
	v_mul_f32_e32 v68, s11, v68
	s_branch .LBB13_140
.LBB13_139:
	v_mov_b32_e32 v68, 0
.LBB13_140:
	v_dual_add_f32 v69, v9, v61 :: v_dual_add_f32 v70, v8, v60
	v_dual_add_f32 v71, v11, v63 :: v_dual_add_f32 v72, v10, v62
	s_delay_alu instid0(VALU_DEP_2) | instskip(SKIP_1) | instid1(VALU_DEP_3)
	v_min3_f32 v73, v70, v69, v135
	v_lshlrev_b64 v[69:70], 2, v[84:85]
	v_min_f32_e32 v71, v72, v71
	s_delay_alu instid0(VALU_DEP_1) | instskip(NEXT) | instid1(VALU_DEP_3)
	v_min3_f32 v71, v68, v71, v73
	v_add_co_u32 v68, vcc_lo, v64, v69
	s_delay_alu instid0(VALU_DEP_4) | instskip(SKIP_3) | instid1(SALU_CYCLE_1)
	v_add_co_ci_u32_e32 v69, vcc_lo, v65, v70, vcc_lo
	global_store_b32 v[68:69], v71, off
	s_or_b32 exec_lo, exec_lo, s8
	s_and_b32 s8, s3, s4
	s_and_saveexec_b32 s4, s8
	s_cbranch_execz .LBB13_145
.LBB13_141:
	v_cmp_ne_u32_e32 vcc_lo, 1, v109
	s_cbranch_vccnz .LBB13_143
; %bb.142:
	v_lshlrev_b64 v[68:69], 2, v[86:87]
	s_delay_alu instid0(VALU_DEP_1) | instskip(NEXT) | instid1(VALU_DEP_2)
	v_add_co_u32 v66, vcc_lo, v66, v68
	v_add_co_ci_u32_e32 v67, vcc_lo, v67, v69, vcc_lo
	flat_load_b32 v66, v[66:67]
	s_waitcnt vmcnt(0) lgkmcnt(0)
	v_mul_f32_e32 v66, s11, v66
	s_branch .LBB13_144
.LBB13_143:
	v_mov_b32_e32 v66, 0
.LBB13_144:
	v_dual_add_f32 v61, v1, v61 :: v_dual_add_f32 v60, v0, v60
	v_dual_add_f32 v63, v3, v63 :: v_dual_add_f32 v62, v2, v62
	s_delay_alu instid0(VALU_DEP_2) | instskip(SKIP_1) | instid1(VALU_DEP_3)
	v_min3_f32 v67, v60, v61, v134
	v_lshlrev_b64 v[60:61], 2, v[86:87]
	v_min_f32_e32 v62, v62, v63
	s_delay_alu instid0(VALU_DEP_1) | instskip(NEXT) | instid1(VALU_DEP_3)
	v_min3_f32 v62, v66, v62, v67
	v_add_co_u32 v60, vcc_lo, v64, v60
	s_delay_alu instid0(VALU_DEP_4)
	v_add_co_ci_u32_e32 v61, vcc_lo, v65, v61, vcc_lo
	global_store_b32 v[60:61], v62, off
.LBB13_145:
	s_or_b32 exec_lo, exec_lo, s4
	v_add_nc_u32_e32 v64, 40, v113
	s_delay_alu instid0(VALU_DEP_1) | instskip(SKIP_2) | instid1(VALU_DEP_3)
	v_mad_i64_i32 v[60:61], null, v64, s6, 0
	v_mad_i64_i32 v[62:63], null, v64, s5, 0
	v_cmp_gt_i32_e64 s4, s9, v64
	v_lshlrev_b64 v[60:61], 2, v[60:61]
	s_delay_alu instid0(VALU_DEP_2) | instskip(NEXT) | instid1(VALU_DEP_3)
	s_and_b32 s14, s0, s4
	v_lshlrev_b64 v[64:65], 2, v[62:63]
	s_delay_alu instid0(VALU_DEP_2) | instskip(NEXT) | instid1(VALU_DEP_3)
	v_add_co_u32 v62, vcc_lo, s12, v60
	v_add_co_ci_u32_e32 v63, vcc_lo, s13, v61, vcc_lo
	s_delay_alu instid0(VALU_DEP_3) | instskip(NEXT) | instid1(VALU_DEP_4)
	v_add_co_u32 v60, vcc_lo, s7, v64
	v_add_co_ci_u32_e32 v61, vcc_lo, s10, v65, vcc_lo
	s_and_saveexec_b32 s8, s14
	s_cbranch_execnz .LBB13_149
; %bb.146:
	s_or_b32 exec_lo, exec_lo, s8
	s_and_b32 s14, s1, s4
	s_delay_alu instid0(SALU_CYCLE_1)
	s_and_saveexec_b32 s8, s14
	s_cbranch_execnz .LBB13_153
.LBB13_147:
	s_or_b32 exec_lo, exec_lo, s8
	s_and_b32 s14, s2, s4
	s_delay_alu instid0(SALU_CYCLE_1)
	s_and_saveexec_b32 s8, s14
	s_cbranch_execnz .LBB13_157
.LBB13_148:
	s_or_b32 exec_lo, exec_lo, s8
	s_and_b32 s8, s3, s4
	s_delay_alu instid0(SALU_CYCLE_1)
	s_and_saveexec_b32 s4, s8
	s_cbranch_execnz .LBB13_161
	s_branch .LBB13_165
.LBB13_149:
	v_cmp_ne_u32_e32 vcc_lo, 1, v109
	s_cbranch_vccnz .LBB13_151
; %bb.150:
	v_lshlrev_b64 v[64:65], 2, v[80:81]
	s_delay_alu instid0(VALU_DEP_1) | instskip(NEXT) | instid1(VALU_DEP_2)
	v_add_co_u32 v64, vcc_lo, v62, v64
	v_add_co_ci_u32_e32 v65, vcc_lo, v63, v65, vcc_lo
	flat_load_b32 v64, v[64:65]
	s_waitcnt vmcnt(0) lgkmcnt(0)
	v_mul_f32_e32 v64, s11, v64
	s_branch .LBB13_152
.LBB13_151:
	v_mov_b32_e32 v64, 0
.LBB13_152:
	v_dual_add_f32 v65, v17, v57 :: v_dual_add_f32 v66, v16, v56
	v_dual_add_f32 v67, v19, v59 :: v_dual_add_f32 v68, v18, v58
	s_delay_alu instid0(VALU_DEP_2) | instskip(SKIP_1) | instid1(VALU_DEP_3)
	v_min3_f32 v69, v66, v65, v133
	v_lshlrev_b64 v[65:66], 2, v[80:81]
	v_min_f32_e32 v67, v68, v67
	s_delay_alu instid0(VALU_DEP_1) | instskip(NEXT) | instid1(VALU_DEP_3)
	v_min3_f32 v67, v64, v67, v69
	v_add_co_u32 v64, vcc_lo, v60, v65
	s_delay_alu instid0(VALU_DEP_4) | instskip(SKIP_3) | instid1(SALU_CYCLE_1)
	v_add_co_ci_u32_e32 v65, vcc_lo, v61, v66, vcc_lo
	global_store_b32 v[64:65], v67, off
	s_or_b32 exec_lo, exec_lo, s8
	s_and_b32 s14, s1, s4
	s_and_saveexec_b32 s8, s14
	s_cbranch_execz .LBB13_147
.LBB13_153:
	v_cmp_ne_u32_e32 vcc_lo, 1, v109
	s_cbranch_vccnz .LBB13_155
; %bb.154:
	v_lshlrev_b64 v[64:65], 2, v[82:83]
	s_delay_alu instid0(VALU_DEP_1) | instskip(NEXT) | instid1(VALU_DEP_2)
	v_add_co_u32 v64, vcc_lo, v62, v64
	v_add_co_ci_u32_e32 v65, vcc_lo, v63, v65, vcc_lo
	flat_load_b32 v64, v[64:65]
	s_waitcnt vmcnt(0) lgkmcnt(0)
	v_mul_f32_e32 v64, s11, v64
	s_branch .LBB13_156
.LBB13_155:
	v_mov_b32_e32 v64, 0
.LBB13_156:
	v_dual_add_f32 v65, v13, v57 :: v_dual_add_f32 v66, v12, v56
	v_dual_add_f32 v67, v15, v59 :: v_dual_add_f32 v68, v14, v58
	s_delay_alu instid0(VALU_DEP_2) | instskip(SKIP_1) | instid1(VALU_DEP_3)
	v_min3_f32 v69, v66, v65, v132
	v_lshlrev_b64 v[65:66], 2, v[82:83]
	v_min_f32_e32 v67, v68, v67
	s_delay_alu instid0(VALU_DEP_1) | instskip(NEXT) | instid1(VALU_DEP_3)
	v_min3_f32 v67, v64, v67, v69
	v_add_co_u32 v64, vcc_lo, v60, v65
	s_delay_alu instid0(VALU_DEP_4) | instskip(SKIP_3) | instid1(SALU_CYCLE_1)
	v_add_co_ci_u32_e32 v65, vcc_lo, v61, v66, vcc_lo
	global_store_b32 v[64:65], v67, off
	s_or_b32 exec_lo, exec_lo, s8
	s_and_b32 s14, s2, s4
	s_and_saveexec_b32 s8, s14
	s_cbranch_execz .LBB13_148
.LBB13_157:
	v_cmp_ne_u32_e32 vcc_lo, 1, v109
	s_cbranch_vccnz .LBB13_159
; %bb.158:
	v_lshlrev_b64 v[64:65], 2, v[84:85]
	s_delay_alu instid0(VALU_DEP_1) | instskip(NEXT) | instid1(VALU_DEP_2)
	v_add_co_u32 v64, vcc_lo, v62, v64
	v_add_co_ci_u32_e32 v65, vcc_lo, v63, v65, vcc_lo
	flat_load_b32 v64, v[64:65]
	s_waitcnt vmcnt(0) lgkmcnt(0)
	v_mul_f32_e32 v64, s11, v64
	s_branch .LBB13_160
.LBB13_159:
	v_mov_b32_e32 v64, 0
.LBB13_160:
	v_dual_add_f32 v65, v9, v57 :: v_dual_add_f32 v66, v8, v56
	v_dual_add_f32 v67, v11, v59 :: v_dual_add_f32 v68, v10, v58
	s_delay_alu instid0(VALU_DEP_2) | instskip(SKIP_1) | instid1(VALU_DEP_3)
	v_min3_f32 v69, v66, v65, v131
	v_lshlrev_b64 v[65:66], 2, v[84:85]
	v_min_f32_e32 v67, v68, v67
	s_delay_alu instid0(VALU_DEP_1) | instskip(NEXT) | instid1(VALU_DEP_3)
	v_min3_f32 v67, v64, v67, v69
	v_add_co_u32 v64, vcc_lo, v60, v65
	s_delay_alu instid0(VALU_DEP_4) | instskip(SKIP_3) | instid1(SALU_CYCLE_1)
	v_add_co_ci_u32_e32 v65, vcc_lo, v61, v66, vcc_lo
	global_store_b32 v[64:65], v67, off
	s_or_b32 exec_lo, exec_lo, s8
	s_and_b32 s8, s3, s4
	s_and_saveexec_b32 s4, s8
	s_cbranch_execz .LBB13_165
.LBB13_161:
	v_cmp_ne_u32_e32 vcc_lo, 1, v109
	s_cbranch_vccnz .LBB13_163
; %bb.162:
	v_lshlrev_b64 v[64:65], 2, v[86:87]
	s_delay_alu instid0(VALU_DEP_1) | instskip(NEXT) | instid1(VALU_DEP_2)
	v_add_co_u32 v62, vcc_lo, v62, v64
	v_add_co_ci_u32_e32 v63, vcc_lo, v63, v65, vcc_lo
	flat_load_b32 v62, v[62:63]
	s_waitcnt vmcnt(0) lgkmcnt(0)
	v_mul_f32_e32 v62, s11, v62
	s_branch .LBB13_164
.LBB13_163:
	v_mov_b32_e32 v62, 0
.LBB13_164:
	v_dual_add_f32 v57, v1, v57 :: v_dual_add_f32 v56, v0, v56
	v_dual_add_f32 v59, v3, v59 :: v_dual_add_f32 v58, v2, v58
	s_delay_alu instid0(VALU_DEP_2) | instskip(SKIP_1) | instid1(VALU_DEP_3)
	v_min3_f32 v63, v56, v57, v130
	v_lshlrev_b64 v[56:57], 2, v[86:87]
	v_min_f32_e32 v58, v58, v59
	s_delay_alu instid0(VALU_DEP_1) | instskip(NEXT) | instid1(VALU_DEP_3)
	v_min3_f32 v58, v62, v58, v63
	v_add_co_u32 v56, vcc_lo, v60, v56
	s_delay_alu instid0(VALU_DEP_4)
	v_add_co_ci_u32_e32 v57, vcc_lo, v61, v57, vcc_lo
	global_store_b32 v[56:57], v58, off
.LBB13_165:
	s_or_b32 exec_lo, exec_lo, s4
	v_add_nc_u32_e32 v60, 48, v113
	s_delay_alu instid0(VALU_DEP_1) | instskip(SKIP_2) | instid1(VALU_DEP_3)
	v_mad_i64_i32 v[56:57], null, v60, s6, 0
	v_mad_i64_i32 v[58:59], null, v60, s5, 0
	v_cmp_gt_i32_e64 s4, s9, v60
	v_lshlrev_b64 v[56:57], 2, v[56:57]
	s_delay_alu instid0(VALU_DEP_2) | instskip(NEXT) | instid1(VALU_DEP_3)
	s_and_b32 s14, s0, s4
	v_lshlrev_b64 v[60:61], 2, v[58:59]
	s_delay_alu instid0(VALU_DEP_2) | instskip(NEXT) | instid1(VALU_DEP_3)
	v_add_co_u32 v58, vcc_lo, s12, v56
	v_add_co_ci_u32_e32 v59, vcc_lo, s13, v57, vcc_lo
	s_delay_alu instid0(VALU_DEP_3) | instskip(NEXT) | instid1(VALU_DEP_4)
	v_add_co_u32 v56, vcc_lo, s7, v60
	v_add_co_ci_u32_e32 v57, vcc_lo, s10, v61, vcc_lo
	s_and_saveexec_b32 s8, s14
	s_cbranch_execnz .LBB13_169
; %bb.166:
	s_or_b32 exec_lo, exec_lo, s8
	s_and_b32 s14, s1, s4
	s_delay_alu instid0(SALU_CYCLE_1)
	s_and_saveexec_b32 s8, s14
	s_cbranch_execnz .LBB13_173
.LBB13_167:
	s_or_b32 exec_lo, exec_lo, s8
	s_and_b32 s14, s2, s4
	s_delay_alu instid0(SALU_CYCLE_1)
	s_and_saveexec_b32 s8, s14
	s_cbranch_execnz .LBB13_177
.LBB13_168:
	s_or_b32 exec_lo, exec_lo, s8
	s_and_b32 s8, s3, s4
	s_delay_alu instid0(SALU_CYCLE_1)
	s_and_saveexec_b32 s4, s8
	s_cbranch_execnz .LBB13_181
	s_branch .LBB13_185
.LBB13_169:
	v_cmp_ne_u32_e32 vcc_lo, 1, v109
	s_cbranch_vccnz .LBB13_171
; %bb.170:
	v_lshlrev_b64 v[60:61], 2, v[80:81]
	s_delay_alu instid0(VALU_DEP_1) | instskip(NEXT) | instid1(VALU_DEP_2)
	v_add_co_u32 v60, vcc_lo, v58, v60
	v_add_co_ci_u32_e32 v61, vcc_lo, v59, v61, vcc_lo
	flat_load_b32 v60, v[60:61]
	s_waitcnt vmcnt(0) lgkmcnt(0)
	v_mul_f32_e32 v60, s11, v60
	s_branch .LBB13_172
.LBB13_171:
	v_mov_b32_e32 v60, 0
.LBB13_172:
	v_dual_add_f32 v61, v17, v53 :: v_dual_add_f32 v62, v16, v52
	v_dual_add_f32 v63, v19, v55 :: v_dual_add_f32 v64, v18, v54
	s_delay_alu instid0(VALU_DEP_2) | instskip(SKIP_1) | instid1(VALU_DEP_3)
	v_min3_f32 v65, v62, v61, v129
	v_lshlrev_b64 v[61:62], 2, v[80:81]
	v_min_f32_e32 v63, v64, v63
	s_delay_alu instid0(VALU_DEP_1) | instskip(NEXT) | instid1(VALU_DEP_3)
	v_min3_f32 v63, v60, v63, v65
	v_add_co_u32 v60, vcc_lo, v56, v61
	s_delay_alu instid0(VALU_DEP_4) | instskip(SKIP_3) | instid1(SALU_CYCLE_1)
	v_add_co_ci_u32_e32 v61, vcc_lo, v57, v62, vcc_lo
	global_store_b32 v[60:61], v63, off
	s_or_b32 exec_lo, exec_lo, s8
	s_and_b32 s14, s1, s4
	s_and_saveexec_b32 s8, s14
	s_cbranch_execz .LBB13_167
.LBB13_173:
	v_cmp_ne_u32_e32 vcc_lo, 1, v109
	s_cbranch_vccnz .LBB13_175
; %bb.174:
	v_lshlrev_b64 v[60:61], 2, v[82:83]
	s_delay_alu instid0(VALU_DEP_1) | instskip(NEXT) | instid1(VALU_DEP_2)
	v_add_co_u32 v60, vcc_lo, v58, v60
	v_add_co_ci_u32_e32 v61, vcc_lo, v59, v61, vcc_lo
	flat_load_b32 v60, v[60:61]
	s_waitcnt vmcnt(0) lgkmcnt(0)
	v_mul_f32_e32 v60, s11, v60
	s_branch .LBB13_176
.LBB13_175:
	v_mov_b32_e32 v60, 0
.LBB13_176:
	v_dual_add_f32 v61, v13, v53 :: v_dual_add_f32 v62, v12, v52
	v_dual_add_f32 v63, v15, v55 :: v_dual_add_f32 v64, v14, v54
	s_delay_alu instid0(VALU_DEP_2) | instskip(SKIP_1) | instid1(VALU_DEP_3)
	v_min3_f32 v65, v62, v61, v128
	v_lshlrev_b64 v[61:62], 2, v[82:83]
	v_min_f32_e32 v63, v64, v63
	s_delay_alu instid0(VALU_DEP_1) | instskip(NEXT) | instid1(VALU_DEP_3)
	v_min3_f32 v63, v60, v63, v65
	v_add_co_u32 v60, vcc_lo, v56, v61
	s_delay_alu instid0(VALU_DEP_4) | instskip(SKIP_3) | instid1(SALU_CYCLE_1)
	v_add_co_ci_u32_e32 v61, vcc_lo, v57, v62, vcc_lo
	global_store_b32 v[60:61], v63, off
	s_or_b32 exec_lo, exec_lo, s8
	s_and_b32 s14, s2, s4
	s_and_saveexec_b32 s8, s14
	s_cbranch_execz .LBB13_168
.LBB13_177:
	v_cmp_ne_u32_e32 vcc_lo, 1, v109
	s_cbranch_vccnz .LBB13_179
; %bb.178:
	v_lshlrev_b64 v[60:61], 2, v[84:85]
	s_delay_alu instid0(VALU_DEP_1) | instskip(NEXT) | instid1(VALU_DEP_2)
	v_add_co_u32 v60, vcc_lo, v58, v60
	v_add_co_ci_u32_e32 v61, vcc_lo, v59, v61, vcc_lo
	flat_load_b32 v60, v[60:61]
	s_waitcnt vmcnt(0) lgkmcnt(0)
	v_mul_f32_e32 v60, s11, v60
	s_branch .LBB13_180
.LBB13_179:
	v_mov_b32_e32 v60, 0
.LBB13_180:
	v_dual_add_f32 v61, v9, v53 :: v_dual_add_f32 v62, v8, v52
	v_dual_add_f32 v63, v11, v55 :: v_dual_add_f32 v64, v10, v54
	s_delay_alu instid0(VALU_DEP_2) | instskip(SKIP_1) | instid1(VALU_DEP_3)
	v_min3_f32 v65, v62, v61, v127
	v_lshlrev_b64 v[61:62], 2, v[84:85]
	v_min_f32_e32 v63, v64, v63
	s_delay_alu instid0(VALU_DEP_1) | instskip(NEXT) | instid1(VALU_DEP_3)
	v_min3_f32 v63, v60, v63, v65
	v_add_co_u32 v60, vcc_lo, v56, v61
	s_delay_alu instid0(VALU_DEP_4) | instskip(SKIP_3) | instid1(SALU_CYCLE_1)
	v_add_co_ci_u32_e32 v61, vcc_lo, v57, v62, vcc_lo
	global_store_b32 v[60:61], v63, off
	s_or_b32 exec_lo, exec_lo, s8
	s_and_b32 s8, s3, s4
	s_and_saveexec_b32 s4, s8
	s_cbranch_execz .LBB13_185
.LBB13_181:
	v_cmp_ne_u32_e32 vcc_lo, 1, v109
	s_cbranch_vccnz .LBB13_183
; %bb.182:
	v_lshlrev_b64 v[60:61], 2, v[86:87]
	s_delay_alu instid0(VALU_DEP_1) | instskip(NEXT) | instid1(VALU_DEP_2)
	v_add_co_u32 v58, vcc_lo, v58, v60
	v_add_co_ci_u32_e32 v59, vcc_lo, v59, v61, vcc_lo
	flat_load_b32 v58, v[58:59]
	s_waitcnt vmcnt(0) lgkmcnt(0)
	v_mul_f32_e32 v58, s11, v58
	s_branch .LBB13_184
.LBB13_183:
	v_mov_b32_e32 v58, 0
.LBB13_184:
	v_dual_add_f32 v53, v1, v53 :: v_dual_add_f32 v52, v0, v52
	v_dual_add_f32 v55, v3, v55 :: v_dual_add_f32 v54, v2, v54
	s_delay_alu instid0(VALU_DEP_2) | instskip(SKIP_1) | instid1(VALU_DEP_3)
	v_min3_f32 v59, v52, v53, v126
	v_lshlrev_b64 v[52:53], 2, v[86:87]
	v_min_f32_e32 v54, v54, v55
	s_delay_alu instid0(VALU_DEP_1) | instskip(NEXT) | instid1(VALU_DEP_3)
	v_min3_f32 v54, v58, v54, v59
	v_add_co_u32 v52, vcc_lo, v56, v52
	s_delay_alu instid0(VALU_DEP_4)
	v_add_co_ci_u32_e32 v53, vcc_lo, v57, v53, vcc_lo
	global_store_b32 v[52:53], v54, off
.LBB13_185:
	s_or_b32 exec_lo, exec_lo, s4
	v_add_nc_u32_e32 v56, 56, v113
	s_delay_alu instid0(VALU_DEP_1) | instskip(SKIP_2) | instid1(VALU_DEP_3)
	v_mad_i64_i32 v[52:53], null, v56, s6, 0
	v_mad_i64_i32 v[54:55], null, v56, s5, 0
	v_cmp_gt_i32_e64 s4, s9, v56
	v_lshlrev_b64 v[52:53], 2, v[52:53]
	s_delay_alu instid0(VALU_DEP_2) | instskip(NEXT) | instid1(VALU_DEP_3)
	s_and_b32 s14, s0, s4
	v_lshlrev_b64 v[56:57], 2, v[54:55]
	s_delay_alu instid0(VALU_DEP_2) | instskip(NEXT) | instid1(VALU_DEP_3)
	v_add_co_u32 v54, vcc_lo, s12, v52
	v_add_co_ci_u32_e32 v55, vcc_lo, s13, v53, vcc_lo
	s_delay_alu instid0(VALU_DEP_3) | instskip(NEXT) | instid1(VALU_DEP_4)
	v_add_co_u32 v52, vcc_lo, s7, v56
	v_add_co_ci_u32_e32 v53, vcc_lo, s10, v57, vcc_lo
	s_and_saveexec_b32 s8, s14
	s_cbranch_execnz .LBB13_189
; %bb.186:
	s_or_b32 exec_lo, exec_lo, s8
	s_and_b32 s14, s1, s4
	s_delay_alu instid0(SALU_CYCLE_1)
	s_and_saveexec_b32 s8, s14
	s_cbranch_execnz .LBB13_193
.LBB13_187:
	s_or_b32 exec_lo, exec_lo, s8
	s_and_b32 s14, s2, s4
	s_delay_alu instid0(SALU_CYCLE_1)
	s_and_saveexec_b32 s8, s14
	s_cbranch_execnz .LBB13_197
.LBB13_188:
	s_or_b32 exec_lo, exec_lo, s8
	s_and_b32 s8, s3, s4
	s_delay_alu instid0(SALU_CYCLE_1)
	s_and_saveexec_b32 s4, s8
	s_cbranch_execnz .LBB13_201
	s_branch .LBB13_205
.LBB13_189:
	v_cmp_ne_u32_e32 vcc_lo, 1, v109
	s_cbranch_vccnz .LBB13_191
; %bb.190:
	v_lshlrev_b64 v[56:57], 2, v[80:81]
	s_delay_alu instid0(VALU_DEP_1) | instskip(NEXT) | instid1(VALU_DEP_2)
	v_add_co_u32 v56, vcc_lo, v54, v56
	v_add_co_ci_u32_e32 v57, vcc_lo, v55, v57, vcc_lo
	flat_load_b32 v56, v[56:57]
	s_waitcnt vmcnt(0) lgkmcnt(0)
	v_mul_f32_e32 v56, s11, v56
	s_branch .LBB13_192
.LBB13_191:
	v_mov_b32_e32 v56, 0
.LBB13_192:
	v_dual_add_f32 v57, v17, v49 :: v_dual_add_f32 v58, v16, v48
	v_dual_add_f32 v59, v19, v51 :: v_dual_add_f32 v60, v18, v50
	s_delay_alu instid0(VALU_DEP_2) | instskip(SKIP_1) | instid1(VALU_DEP_3)
	v_min3_f32 v61, v58, v57, v125
	v_lshlrev_b64 v[57:58], 2, v[80:81]
	v_min_f32_e32 v59, v60, v59
	s_delay_alu instid0(VALU_DEP_1) | instskip(NEXT) | instid1(VALU_DEP_3)
	v_min3_f32 v59, v56, v59, v61
	v_add_co_u32 v56, vcc_lo, v52, v57
	s_delay_alu instid0(VALU_DEP_4) | instskip(SKIP_3) | instid1(SALU_CYCLE_1)
	v_add_co_ci_u32_e32 v57, vcc_lo, v53, v58, vcc_lo
	global_store_b32 v[56:57], v59, off
	s_or_b32 exec_lo, exec_lo, s8
	s_and_b32 s14, s1, s4
	s_and_saveexec_b32 s8, s14
	s_cbranch_execz .LBB13_187
.LBB13_193:
	v_cmp_ne_u32_e32 vcc_lo, 1, v109
	s_cbranch_vccnz .LBB13_195
; %bb.194:
	v_lshlrev_b64 v[56:57], 2, v[82:83]
	s_delay_alu instid0(VALU_DEP_1) | instskip(NEXT) | instid1(VALU_DEP_2)
	v_add_co_u32 v56, vcc_lo, v54, v56
	v_add_co_ci_u32_e32 v57, vcc_lo, v55, v57, vcc_lo
	flat_load_b32 v56, v[56:57]
	s_waitcnt vmcnt(0) lgkmcnt(0)
	v_mul_f32_e32 v56, s11, v56
	s_branch .LBB13_196
.LBB13_195:
	v_mov_b32_e32 v56, 0
.LBB13_196:
	v_dual_add_f32 v57, v13, v49 :: v_dual_add_f32 v58, v12, v48
	v_dual_add_f32 v59, v15, v51 :: v_dual_add_f32 v60, v14, v50
	s_delay_alu instid0(VALU_DEP_2) | instskip(SKIP_1) | instid1(VALU_DEP_3)
	v_min3_f32 v61, v58, v57, v124
	v_lshlrev_b64 v[57:58], 2, v[82:83]
	v_min_f32_e32 v59, v60, v59
	s_delay_alu instid0(VALU_DEP_1) | instskip(NEXT) | instid1(VALU_DEP_3)
	v_min3_f32 v59, v56, v59, v61
	v_add_co_u32 v56, vcc_lo, v52, v57
	s_delay_alu instid0(VALU_DEP_4) | instskip(SKIP_3) | instid1(SALU_CYCLE_1)
	v_add_co_ci_u32_e32 v57, vcc_lo, v53, v58, vcc_lo
	global_store_b32 v[56:57], v59, off
	s_or_b32 exec_lo, exec_lo, s8
	s_and_b32 s14, s2, s4
	s_and_saveexec_b32 s8, s14
	s_cbranch_execz .LBB13_188
.LBB13_197:
	v_cmp_ne_u32_e32 vcc_lo, 1, v109
	s_cbranch_vccnz .LBB13_199
; %bb.198:
	v_lshlrev_b64 v[56:57], 2, v[84:85]
	s_delay_alu instid0(VALU_DEP_1) | instskip(NEXT) | instid1(VALU_DEP_2)
	v_add_co_u32 v56, vcc_lo, v54, v56
	v_add_co_ci_u32_e32 v57, vcc_lo, v55, v57, vcc_lo
	flat_load_b32 v56, v[56:57]
	s_waitcnt vmcnt(0) lgkmcnt(0)
	v_mul_f32_e32 v56, s11, v56
	s_branch .LBB13_200
.LBB13_199:
	v_mov_b32_e32 v56, 0
.LBB13_200:
	v_dual_add_f32 v57, v9, v49 :: v_dual_add_f32 v58, v8, v48
	v_dual_add_f32 v59, v11, v51 :: v_dual_add_f32 v60, v10, v50
	s_delay_alu instid0(VALU_DEP_2) | instskip(SKIP_1) | instid1(VALU_DEP_3)
	v_min3_f32 v61, v58, v57, v123
	v_lshlrev_b64 v[57:58], 2, v[84:85]
	v_min_f32_e32 v59, v60, v59
	s_delay_alu instid0(VALU_DEP_1) | instskip(NEXT) | instid1(VALU_DEP_3)
	v_min3_f32 v59, v56, v59, v61
	v_add_co_u32 v56, vcc_lo, v52, v57
	s_delay_alu instid0(VALU_DEP_4) | instskip(SKIP_3) | instid1(SALU_CYCLE_1)
	v_add_co_ci_u32_e32 v57, vcc_lo, v53, v58, vcc_lo
	global_store_b32 v[56:57], v59, off
	s_or_b32 exec_lo, exec_lo, s8
	s_and_b32 s8, s3, s4
	s_and_saveexec_b32 s4, s8
	s_cbranch_execz .LBB13_205
.LBB13_201:
	v_cmp_ne_u32_e32 vcc_lo, 1, v109
	s_cbranch_vccnz .LBB13_203
; %bb.202:
	v_lshlrev_b64 v[56:57], 2, v[86:87]
	s_delay_alu instid0(VALU_DEP_1) | instskip(NEXT) | instid1(VALU_DEP_2)
	v_add_co_u32 v54, vcc_lo, v54, v56
	v_add_co_ci_u32_e32 v55, vcc_lo, v55, v57, vcc_lo
	flat_load_b32 v54, v[54:55]
	s_waitcnt vmcnt(0) lgkmcnt(0)
	v_mul_f32_e32 v54, s11, v54
	s_branch .LBB13_204
.LBB13_203:
	v_mov_b32_e32 v54, 0
.LBB13_204:
	v_dual_add_f32 v49, v1, v49 :: v_dual_add_f32 v48, v0, v48
	v_dual_add_f32 v51, v3, v51 :: v_dual_add_f32 v50, v2, v50
	s_delay_alu instid0(VALU_DEP_2) | instskip(SKIP_1) | instid1(VALU_DEP_3)
	v_min3_f32 v55, v48, v49, v122
	v_lshlrev_b64 v[48:49], 2, v[86:87]
	v_min_f32_e32 v50, v50, v51
	s_delay_alu instid0(VALU_DEP_1) | instskip(NEXT) | instid1(VALU_DEP_3)
	v_min3_f32 v50, v54, v50, v55
	v_add_co_u32 v48, vcc_lo, v52, v48
	s_delay_alu instid0(VALU_DEP_4)
	v_add_co_ci_u32_e32 v49, vcc_lo, v53, v49, vcc_lo
	global_store_b32 v[48:49], v50, off
.LBB13_205:
	s_or_b32 exec_lo, exec_lo, s4
	v_add_nc_u32_e32 v52, 64, v113
	s_delay_alu instid0(VALU_DEP_1) | instskip(SKIP_2) | instid1(VALU_DEP_3)
	v_mad_i64_i32 v[48:49], null, v52, s6, 0
	v_mad_i64_i32 v[50:51], null, v52, s5, 0
	v_cmp_gt_i32_e64 s4, s9, v52
	v_lshlrev_b64 v[48:49], 2, v[48:49]
	s_delay_alu instid0(VALU_DEP_2) | instskip(NEXT) | instid1(VALU_DEP_3)
	s_and_b32 s14, s0, s4
	v_lshlrev_b64 v[52:53], 2, v[50:51]
	s_delay_alu instid0(VALU_DEP_2) | instskip(NEXT) | instid1(VALU_DEP_3)
	v_add_co_u32 v50, vcc_lo, s12, v48
	v_add_co_ci_u32_e32 v51, vcc_lo, s13, v49, vcc_lo
	s_delay_alu instid0(VALU_DEP_3) | instskip(NEXT) | instid1(VALU_DEP_4)
	v_add_co_u32 v48, vcc_lo, s7, v52
	v_add_co_ci_u32_e32 v49, vcc_lo, s10, v53, vcc_lo
	s_and_saveexec_b32 s8, s14
	s_cbranch_execnz .LBB13_209
; %bb.206:
	s_or_b32 exec_lo, exec_lo, s8
	s_and_b32 s14, s1, s4
	s_delay_alu instid0(SALU_CYCLE_1)
	s_and_saveexec_b32 s8, s14
	s_cbranch_execnz .LBB13_213
.LBB13_207:
	s_or_b32 exec_lo, exec_lo, s8
	s_and_b32 s14, s2, s4
	s_delay_alu instid0(SALU_CYCLE_1)
	s_and_saveexec_b32 s8, s14
	s_cbranch_execnz .LBB13_217
.LBB13_208:
	s_or_b32 exec_lo, exec_lo, s8
	s_and_b32 s8, s3, s4
	s_delay_alu instid0(SALU_CYCLE_1)
	s_and_saveexec_b32 s4, s8
	s_cbranch_execnz .LBB13_221
	s_branch .LBB13_225
.LBB13_209:
	v_cmp_ne_u32_e32 vcc_lo, 1, v109
	s_cbranch_vccnz .LBB13_211
; %bb.210:
	v_lshlrev_b64 v[52:53], 2, v[80:81]
	s_delay_alu instid0(VALU_DEP_1) | instskip(NEXT) | instid1(VALU_DEP_2)
	v_add_co_u32 v52, vcc_lo, v50, v52
	v_add_co_ci_u32_e32 v53, vcc_lo, v51, v53, vcc_lo
	flat_load_b32 v52, v[52:53]
	s_waitcnt vmcnt(0) lgkmcnt(0)
	v_mul_f32_e32 v52, s11, v52
	s_branch .LBB13_212
.LBB13_211:
	v_mov_b32_e32 v52, 0
.LBB13_212:
	v_dual_add_f32 v53, v17, v45 :: v_dual_add_f32 v54, v16, v44
	v_dual_add_f32 v55, v19, v47 :: v_dual_add_f32 v56, v18, v46
	s_delay_alu instid0(VALU_DEP_2) | instskip(SKIP_1) | instid1(VALU_DEP_3)
	v_min3_f32 v57, v54, v53, v121
	v_lshlrev_b64 v[53:54], 2, v[80:81]
	v_min_f32_e32 v55, v56, v55
	s_delay_alu instid0(VALU_DEP_1) | instskip(NEXT) | instid1(VALU_DEP_3)
	v_min3_f32 v55, v52, v55, v57
	v_add_co_u32 v52, vcc_lo, v48, v53
	s_delay_alu instid0(VALU_DEP_4) | instskip(SKIP_3) | instid1(SALU_CYCLE_1)
	v_add_co_ci_u32_e32 v53, vcc_lo, v49, v54, vcc_lo
	global_store_b32 v[52:53], v55, off
	s_or_b32 exec_lo, exec_lo, s8
	s_and_b32 s14, s1, s4
	s_and_saveexec_b32 s8, s14
	s_cbranch_execz .LBB13_207
.LBB13_213:
	v_cmp_ne_u32_e32 vcc_lo, 1, v109
	s_cbranch_vccnz .LBB13_215
; %bb.214:
	v_lshlrev_b64 v[52:53], 2, v[82:83]
	s_delay_alu instid0(VALU_DEP_1) | instskip(NEXT) | instid1(VALU_DEP_2)
	v_add_co_u32 v52, vcc_lo, v50, v52
	v_add_co_ci_u32_e32 v53, vcc_lo, v51, v53, vcc_lo
	flat_load_b32 v52, v[52:53]
	s_waitcnt vmcnt(0) lgkmcnt(0)
	v_mul_f32_e32 v52, s11, v52
	s_branch .LBB13_216
.LBB13_215:
	v_mov_b32_e32 v52, 0
.LBB13_216:
	v_dual_add_f32 v53, v13, v45 :: v_dual_add_f32 v54, v12, v44
	v_dual_add_f32 v55, v15, v47 :: v_dual_add_f32 v56, v14, v46
	s_delay_alu instid0(VALU_DEP_2) | instskip(SKIP_1) | instid1(VALU_DEP_3)
	v_min3_f32 v57, v54, v53, v120
	v_lshlrev_b64 v[53:54], 2, v[82:83]
	v_min_f32_e32 v55, v56, v55
	s_delay_alu instid0(VALU_DEP_1) | instskip(NEXT) | instid1(VALU_DEP_3)
	v_min3_f32 v55, v52, v55, v57
	v_add_co_u32 v52, vcc_lo, v48, v53
	s_delay_alu instid0(VALU_DEP_4) | instskip(SKIP_3) | instid1(SALU_CYCLE_1)
	v_add_co_ci_u32_e32 v53, vcc_lo, v49, v54, vcc_lo
	global_store_b32 v[52:53], v55, off
	s_or_b32 exec_lo, exec_lo, s8
	s_and_b32 s14, s2, s4
	s_and_saveexec_b32 s8, s14
	s_cbranch_execz .LBB13_208
.LBB13_217:
	v_cmp_ne_u32_e32 vcc_lo, 1, v109
	s_cbranch_vccnz .LBB13_219
; %bb.218:
	v_lshlrev_b64 v[52:53], 2, v[84:85]
	s_delay_alu instid0(VALU_DEP_1) | instskip(NEXT) | instid1(VALU_DEP_2)
	v_add_co_u32 v52, vcc_lo, v50, v52
	v_add_co_ci_u32_e32 v53, vcc_lo, v51, v53, vcc_lo
	flat_load_b32 v52, v[52:53]
	s_waitcnt vmcnt(0) lgkmcnt(0)
	v_mul_f32_e32 v52, s11, v52
	s_branch .LBB13_220
.LBB13_219:
	v_mov_b32_e32 v52, 0
.LBB13_220:
	v_dual_add_f32 v53, v9, v45 :: v_dual_add_f32 v54, v8, v44
	v_dual_add_f32 v55, v11, v47 :: v_dual_add_f32 v56, v10, v46
	s_delay_alu instid0(VALU_DEP_2) | instskip(SKIP_1) | instid1(VALU_DEP_3)
	v_min3_f32 v57, v54, v53, v119
	v_lshlrev_b64 v[53:54], 2, v[84:85]
	v_min_f32_e32 v55, v56, v55
	s_delay_alu instid0(VALU_DEP_1) | instskip(NEXT) | instid1(VALU_DEP_3)
	v_min3_f32 v55, v52, v55, v57
	v_add_co_u32 v52, vcc_lo, v48, v53
	s_delay_alu instid0(VALU_DEP_4) | instskip(SKIP_3) | instid1(SALU_CYCLE_1)
	v_add_co_ci_u32_e32 v53, vcc_lo, v49, v54, vcc_lo
	global_store_b32 v[52:53], v55, off
	s_or_b32 exec_lo, exec_lo, s8
	s_and_b32 s8, s3, s4
	s_and_saveexec_b32 s4, s8
	s_cbranch_execz .LBB13_225
.LBB13_221:
	v_cmp_ne_u32_e32 vcc_lo, 1, v109
	s_cbranch_vccnz .LBB13_223
; %bb.222:
	v_lshlrev_b64 v[52:53], 2, v[86:87]
	s_delay_alu instid0(VALU_DEP_1) | instskip(NEXT) | instid1(VALU_DEP_2)
	v_add_co_u32 v50, vcc_lo, v50, v52
	v_add_co_ci_u32_e32 v51, vcc_lo, v51, v53, vcc_lo
	flat_load_b32 v50, v[50:51]
	s_waitcnt vmcnt(0) lgkmcnt(0)
	v_mul_f32_e32 v50, s11, v50
	s_branch .LBB13_224
.LBB13_223:
	v_mov_b32_e32 v50, 0
.LBB13_224:
	v_dual_add_f32 v45, v1, v45 :: v_dual_add_f32 v44, v0, v44
	v_dual_add_f32 v47, v3, v47 :: v_dual_add_f32 v46, v2, v46
	s_delay_alu instid0(VALU_DEP_2) | instskip(SKIP_1) | instid1(VALU_DEP_3)
	v_min3_f32 v51, v44, v45, v118
	v_lshlrev_b64 v[44:45], 2, v[86:87]
	v_min_f32_e32 v46, v46, v47
	s_delay_alu instid0(VALU_DEP_1) | instskip(NEXT) | instid1(VALU_DEP_3)
	v_min3_f32 v46, v50, v46, v51
	v_add_co_u32 v44, vcc_lo, v48, v44
	s_delay_alu instid0(VALU_DEP_4)
	v_add_co_ci_u32_e32 v45, vcc_lo, v49, v45, vcc_lo
	global_store_b32 v[44:45], v46, off
.LBB13_225:
	s_or_b32 exec_lo, exec_lo, s4
	v_add_nc_u32_e32 v48, 0x48, v113
	s_delay_alu instid0(VALU_DEP_1) | instskip(SKIP_2) | instid1(VALU_DEP_3)
	v_mad_i64_i32 v[44:45], null, v48, s6, 0
	v_mad_i64_i32 v[46:47], null, v48, s5, 0
	v_cmp_gt_i32_e64 s4, s9, v48
	v_lshlrev_b64 v[44:45], 2, v[44:45]
	s_delay_alu instid0(VALU_DEP_2) | instskip(NEXT) | instid1(VALU_DEP_3)
	s_and_b32 s14, s0, s4
	v_lshlrev_b64 v[48:49], 2, v[46:47]
	s_delay_alu instid0(VALU_DEP_2) | instskip(NEXT) | instid1(VALU_DEP_3)
	v_add_co_u32 v46, vcc_lo, s12, v44
	v_add_co_ci_u32_e32 v47, vcc_lo, s13, v45, vcc_lo
	s_delay_alu instid0(VALU_DEP_3) | instskip(NEXT) | instid1(VALU_DEP_4)
	v_add_co_u32 v44, vcc_lo, s7, v48
	v_add_co_ci_u32_e32 v45, vcc_lo, s10, v49, vcc_lo
	s_and_saveexec_b32 s8, s14
	s_cbranch_execnz .LBB13_229
; %bb.226:
	s_or_b32 exec_lo, exec_lo, s8
	s_and_b32 s14, s1, s4
	s_delay_alu instid0(SALU_CYCLE_1)
	s_and_saveexec_b32 s8, s14
	s_cbranch_execnz .LBB13_233
.LBB13_227:
	s_or_b32 exec_lo, exec_lo, s8
	s_and_b32 s14, s2, s4
	s_delay_alu instid0(SALU_CYCLE_1)
	s_and_saveexec_b32 s8, s14
	s_cbranch_execnz .LBB13_237
.LBB13_228:
	s_or_b32 exec_lo, exec_lo, s8
	s_and_b32 s8, s3, s4
	s_delay_alu instid0(SALU_CYCLE_1)
	s_and_saveexec_b32 s4, s8
	s_cbranch_execnz .LBB13_241
	s_branch .LBB13_245
.LBB13_229:
	v_cmp_ne_u32_e32 vcc_lo, 1, v109
	s_cbranch_vccnz .LBB13_231
; %bb.230:
	v_lshlrev_b64 v[48:49], 2, v[80:81]
	s_delay_alu instid0(VALU_DEP_1) | instskip(NEXT) | instid1(VALU_DEP_2)
	v_add_co_u32 v48, vcc_lo, v46, v48
	v_add_co_ci_u32_e32 v49, vcc_lo, v47, v49, vcc_lo
	flat_load_b32 v48, v[48:49]
	s_waitcnt vmcnt(0) lgkmcnt(0)
	v_mul_f32_e32 v48, s11, v48
	s_branch .LBB13_232
.LBB13_231:
	v_mov_b32_e32 v48, 0
.LBB13_232:
	v_dual_add_f32 v49, v17, v41 :: v_dual_add_f32 v50, v16, v40
	v_dual_add_f32 v51, v19, v43 :: v_dual_add_f32 v52, v18, v42
	s_delay_alu instid0(VALU_DEP_2) | instskip(SKIP_1) | instid1(VALU_DEP_3)
	v_min3_f32 v53, v50, v49, v117
	v_lshlrev_b64 v[49:50], 2, v[80:81]
	v_min_f32_e32 v51, v52, v51
	s_delay_alu instid0(VALU_DEP_1) | instskip(NEXT) | instid1(VALU_DEP_3)
	v_min3_f32 v51, v48, v51, v53
	v_add_co_u32 v48, vcc_lo, v44, v49
	s_delay_alu instid0(VALU_DEP_4) | instskip(SKIP_3) | instid1(SALU_CYCLE_1)
	v_add_co_ci_u32_e32 v49, vcc_lo, v45, v50, vcc_lo
	global_store_b32 v[48:49], v51, off
	s_or_b32 exec_lo, exec_lo, s8
	s_and_b32 s14, s1, s4
	s_and_saveexec_b32 s8, s14
	s_cbranch_execz .LBB13_227
.LBB13_233:
	v_cmp_ne_u32_e32 vcc_lo, 1, v109
	s_cbranch_vccnz .LBB13_235
; %bb.234:
	v_lshlrev_b64 v[48:49], 2, v[82:83]
	s_delay_alu instid0(VALU_DEP_1) | instskip(NEXT) | instid1(VALU_DEP_2)
	v_add_co_u32 v48, vcc_lo, v46, v48
	v_add_co_ci_u32_e32 v49, vcc_lo, v47, v49, vcc_lo
	flat_load_b32 v48, v[48:49]
	s_waitcnt vmcnt(0) lgkmcnt(0)
	v_mul_f32_e32 v48, s11, v48
	s_branch .LBB13_236
.LBB13_235:
	v_mov_b32_e32 v48, 0
.LBB13_236:
	v_dual_add_f32 v49, v13, v41 :: v_dual_add_f32 v50, v12, v40
	v_dual_add_f32 v51, v15, v43 :: v_dual_add_f32 v52, v14, v42
	s_delay_alu instid0(VALU_DEP_2) | instskip(SKIP_1) | instid1(VALU_DEP_3)
	v_min3_f32 v53, v50, v49, v116
	v_lshlrev_b64 v[49:50], 2, v[82:83]
	v_min_f32_e32 v51, v52, v51
	s_delay_alu instid0(VALU_DEP_1) | instskip(NEXT) | instid1(VALU_DEP_3)
	v_min3_f32 v51, v48, v51, v53
	v_add_co_u32 v48, vcc_lo, v44, v49
	s_delay_alu instid0(VALU_DEP_4) | instskip(SKIP_3) | instid1(SALU_CYCLE_1)
	v_add_co_ci_u32_e32 v49, vcc_lo, v45, v50, vcc_lo
	global_store_b32 v[48:49], v51, off
	s_or_b32 exec_lo, exec_lo, s8
	s_and_b32 s14, s2, s4
	s_and_saveexec_b32 s8, s14
	s_cbranch_execz .LBB13_228
.LBB13_237:
	v_cmp_ne_u32_e32 vcc_lo, 1, v109
	s_cbranch_vccnz .LBB13_239
; %bb.238:
	v_lshlrev_b64 v[48:49], 2, v[84:85]
	s_delay_alu instid0(VALU_DEP_1) | instskip(NEXT) | instid1(VALU_DEP_2)
	v_add_co_u32 v48, vcc_lo, v46, v48
	v_add_co_ci_u32_e32 v49, vcc_lo, v47, v49, vcc_lo
	flat_load_b32 v48, v[48:49]
	s_waitcnt vmcnt(0) lgkmcnt(0)
	v_mul_f32_e32 v48, s11, v48
	s_branch .LBB13_240
.LBB13_239:
	v_mov_b32_e32 v48, 0
.LBB13_240:
	v_dual_add_f32 v49, v9, v41 :: v_dual_add_f32 v50, v8, v40
	v_dual_add_f32 v51, v11, v43 :: v_dual_add_f32 v52, v10, v42
	s_delay_alu instid0(VALU_DEP_2) | instskip(SKIP_1) | instid1(VALU_DEP_3)
	v_min3_f32 v53, v50, v49, v115
	v_lshlrev_b64 v[49:50], 2, v[84:85]
	v_min_f32_e32 v51, v52, v51
	s_delay_alu instid0(VALU_DEP_1) | instskip(NEXT) | instid1(VALU_DEP_3)
	v_min3_f32 v51, v48, v51, v53
	v_add_co_u32 v48, vcc_lo, v44, v49
	s_delay_alu instid0(VALU_DEP_4) | instskip(SKIP_3) | instid1(SALU_CYCLE_1)
	v_add_co_ci_u32_e32 v49, vcc_lo, v45, v50, vcc_lo
	global_store_b32 v[48:49], v51, off
	s_or_b32 exec_lo, exec_lo, s8
	s_and_b32 s8, s3, s4
	s_and_saveexec_b32 s4, s8
	s_cbranch_execz .LBB13_245
.LBB13_241:
	v_cmp_ne_u32_e32 vcc_lo, 1, v109
	s_cbranch_vccnz .LBB13_243
; %bb.242:
	v_lshlrev_b64 v[48:49], 2, v[86:87]
	s_delay_alu instid0(VALU_DEP_1) | instskip(NEXT) | instid1(VALU_DEP_2)
	v_add_co_u32 v46, vcc_lo, v46, v48
	v_add_co_ci_u32_e32 v47, vcc_lo, v47, v49, vcc_lo
	flat_load_b32 v46, v[46:47]
	s_waitcnt vmcnt(0) lgkmcnt(0)
	v_mul_f32_e32 v46, s11, v46
	s_branch .LBB13_244
.LBB13_243:
	v_mov_b32_e32 v46, 0
.LBB13_244:
	v_dual_add_f32 v41, v1, v41 :: v_dual_add_f32 v40, v0, v40
	v_dual_add_f32 v43, v3, v43 :: v_dual_add_f32 v42, v2, v42
	s_delay_alu instid0(VALU_DEP_2) | instskip(SKIP_1) | instid1(VALU_DEP_3)
	v_min3_f32 v47, v40, v41, v114
	v_lshlrev_b64 v[40:41], 2, v[86:87]
	v_min_f32_e32 v42, v42, v43
	s_delay_alu instid0(VALU_DEP_1) | instskip(NEXT) | instid1(VALU_DEP_3)
	v_min3_f32 v42, v46, v42, v47
	v_add_co_u32 v40, vcc_lo, v44, v40
	s_delay_alu instid0(VALU_DEP_4)
	v_add_co_ci_u32_e32 v41, vcc_lo, v45, v41, vcc_lo
	global_store_b32 v[40:41], v42, off
.LBB13_245:
	s_or_b32 exec_lo, exec_lo, s4
	v_add_nc_u32_e32 v44, 0x50, v113
	s_delay_alu instid0(VALU_DEP_1) | instskip(SKIP_2) | instid1(VALU_DEP_3)
	v_mad_i64_i32 v[40:41], null, v44, s6, 0
	v_mad_i64_i32 v[42:43], null, v44, s5, 0
	v_cmp_gt_i32_e64 s4, s9, v44
	v_lshlrev_b64 v[40:41], 2, v[40:41]
	s_delay_alu instid0(VALU_DEP_2) | instskip(NEXT) | instid1(VALU_DEP_3)
	s_and_b32 s14, s0, s4
	v_lshlrev_b64 v[44:45], 2, v[42:43]
	s_delay_alu instid0(VALU_DEP_2) | instskip(NEXT) | instid1(VALU_DEP_3)
	v_add_co_u32 v42, vcc_lo, s12, v40
	v_add_co_ci_u32_e32 v43, vcc_lo, s13, v41, vcc_lo
	s_delay_alu instid0(VALU_DEP_3) | instskip(NEXT) | instid1(VALU_DEP_4)
	v_add_co_u32 v40, vcc_lo, s7, v44
	v_add_co_ci_u32_e32 v41, vcc_lo, s10, v45, vcc_lo
	s_and_saveexec_b32 s8, s14
	s_cbranch_execnz .LBB13_249
; %bb.246:
	s_or_b32 exec_lo, exec_lo, s8
	s_and_b32 s14, s1, s4
	s_delay_alu instid0(SALU_CYCLE_1)
	s_and_saveexec_b32 s8, s14
	s_cbranch_execnz .LBB13_253
.LBB13_247:
	s_or_b32 exec_lo, exec_lo, s8
	s_and_b32 s14, s2, s4
	s_delay_alu instid0(SALU_CYCLE_1)
	s_and_saveexec_b32 s8, s14
	s_cbranch_execnz .LBB13_257
.LBB13_248:
	s_or_b32 exec_lo, exec_lo, s8
	s_and_b32 s8, s3, s4
	s_delay_alu instid0(SALU_CYCLE_1)
	s_and_saveexec_b32 s4, s8
	s_cbranch_execnz .LBB13_261
	s_branch .LBB13_265
.LBB13_249:
	v_cmp_ne_u32_e32 vcc_lo, 1, v109
	s_cbranch_vccnz .LBB13_251
; %bb.250:
	v_lshlrev_b64 v[44:45], 2, v[80:81]
	s_delay_alu instid0(VALU_DEP_1) | instskip(NEXT) | instid1(VALU_DEP_2)
	v_add_co_u32 v44, vcc_lo, v42, v44
	v_add_co_ci_u32_e32 v45, vcc_lo, v43, v45, vcc_lo
	flat_load_b32 v44, v[44:45]
	s_waitcnt vmcnt(0) lgkmcnt(0)
	v_mul_f32_e32 v44, s11, v44
	s_branch .LBB13_252
.LBB13_251:
	v_mov_b32_e32 v44, 0
.LBB13_252:
	v_dual_add_f32 v45, v17, v37 :: v_dual_add_f32 v46, v16, v36
	v_dual_add_f32 v47, v19, v39 :: v_dual_add_f32 v48, v18, v38
	s_delay_alu instid0(VALU_DEP_2) | instskip(SKIP_1) | instid1(VALU_DEP_3)
	v_min3_f32 v49, v46, v45, v112
	v_lshlrev_b64 v[45:46], 2, v[80:81]
	v_min_f32_e32 v47, v48, v47
	s_delay_alu instid0(VALU_DEP_1) | instskip(NEXT) | instid1(VALU_DEP_3)
	v_min3_f32 v47, v44, v47, v49
	v_add_co_u32 v44, vcc_lo, v40, v45
	s_delay_alu instid0(VALU_DEP_4) | instskip(SKIP_3) | instid1(SALU_CYCLE_1)
	v_add_co_ci_u32_e32 v45, vcc_lo, v41, v46, vcc_lo
	global_store_b32 v[44:45], v47, off
	s_or_b32 exec_lo, exec_lo, s8
	s_and_b32 s14, s1, s4
	s_and_saveexec_b32 s8, s14
	s_cbranch_execz .LBB13_247
.LBB13_253:
	v_cmp_ne_u32_e32 vcc_lo, 1, v109
	s_cbranch_vccnz .LBB13_255
; %bb.254:
	v_lshlrev_b64 v[44:45], 2, v[82:83]
	s_delay_alu instid0(VALU_DEP_1) | instskip(NEXT) | instid1(VALU_DEP_2)
	v_add_co_u32 v44, vcc_lo, v42, v44
	v_add_co_ci_u32_e32 v45, vcc_lo, v43, v45, vcc_lo
	flat_load_b32 v44, v[44:45]
	s_waitcnt vmcnt(0) lgkmcnt(0)
	v_mul_f32_e32 v44, s11, v44
	s_branch .LBB13_256
.LBB13_255:
	v_mov_b32_e32 v44, 0
.LBB13_256:
	v_dual_add_f32 v45, v13, v37 :: v_dual_add_f32 v46, v12, v36
	v_dual_add_f32 v47, v15, v39 :: v_dual_add_f32 v48, v14, v38
	s_delay_alu instid0(VALU_DEP_2) | instskip(SKIP_1) | instid1(VALU_DEP_3)
	v_min3_f32 v49, v46, v45, v111
	v_lshlrev_b64 v[45:46], 2, v[82:83]
	v_min_f32_e32 v47, v48, v47
	s_delay_alu instid0(VALU_DEP_1) | instskip(NEXT) | instid1(VALU_DEP_3)
	v_min3_f32 v47, v44, v47, v49
	v_add_co_u32 v44, vcc_lo, v40, v45
	s_delay_alu instid0(VALU_DEP_4) | instskip(SKIP_3) | instid1(SALU_CYCLE_1)
	v_add_co_ci_u32_e32 v45, vcc_lo, v41, v46, vcc_lo
	global_store_b32 v[44:45], v47, off
	s_or_b32 exec_lo, exec_lo, s8
	s_and_b32 s14, s2, s4
	s_and_saveexec_b32 s8, s14
	s_cbranch_execz .LBB13_248
.LBB13_257:
	v_cmp_ne_u32_e32 vcc_lo, 1, v109
	s_cbranch_vccnz .LBB13_259
; %bb.258:
	v_lshlrev_b64 v[44:45], 2, v[84:85]
	s_delay_alu instid0(VALU_DEP_1) | instskip(NEXT) | instid1(VALU_DEP_2)
	v_add_co_u32 v44, vcc_lo, v42, v44
	v_add_co_ci_u32_e32 v45, vcc_lo, v43, v45, vcc_lo
	flat_load_b32 v44, v[44:45]
	s_waitcnt vmcnt(0) lgkmcnt(0)
	v_mul_f32_e32 v44, s11, v44
	s_branch .LBB13_260
.LBB13_259:
	v_mov_b32_e32 v44, 0
.LBB13_260:
	v_dual_add_f32 v45, v9, v37 :: v_dual_add_f32 v46, v8, v36
	v_dual_add_f32 v47, v11, v39 :: v_dual_add_f32 v48, v10, v38
	s_delay_alu instid0(VALU_DEP_2) | instskip(SKIP_1) | instid1(VALU_DEP_3)
	v_min3_f32 v49, v46, v45, v110
	v_lshlrev_b64 v[45:46], 2, v[84:85]
	v_min_f32_e32 v47, v48, v47
	s_delay_alu instid0(VALU_DEP_1) | instskip(NEXT) | instid1(VALU_DEP_3)
	v_min3_f32 v47, v44, v47, v49
	v_add_co_u32 v44, vcc_lo, v40, v45
	s_delay_alu instid0(VALU_DEP_4) | instskip(SKIP_3) | instid1(SALU_CYCLE_1)
	v_add_co_ci_u32_e32 v45, vcc_lo, v41, v46, vcc_lo
	global_store_b32 v[44:45], v47, off
	s_or_b32 exec_lo, exec_lo, s8
	s_and_b32 s8, s3, s4
	s_and_saveexec_b32 s4, s8
	s_cbranch_execz .LBB13_265
.LBB13_261:
	v_cmp_ne_u32_e32 vcc_lo, 1, v109
	s_cbranch_vccnz .LBB13_263
; %bb.262:
	v_lshlrev_b64 v[44:45], 2, v[86:87]
	s_delay_alu instid0(VALU_DEP_1) | instskip(NEXT) | instid1(VALU_DEP_2)
	v_add_co_u32 v42, vcc_lo, v42, v44
	v_add_co_ci_u32_e32 v43, vcc_lo, v43, v45, vcc_lo
	flat_load_b32 v42, v[42:43]
	s_waitcnt vmcnt(0) lgkmcnt(0)
	v_mul_f32_e32 v42, s11, v42
	s_branch .LBB13_264
.LBB13_263:
	v_mov_b32_e32 v42, 0
.LBB13_264:
	v_dual_add_f32 v37, v1, v37 :: v_dual_add_f32 v36, v0, v36
	v_dual_add_f32 v39, v3, v39 :: v_dual_add_f32 v38, v2, v38
	s_delay_alu instid0(VALU_DEP_2) | instskip(SKIP_1) | instid1(VALU_DEP_3)
	v_min3_f32 v43, v36, v37, v108
	v_lshlrev_b64 v[36:37], 2, v[86:87]
	v_min_f32_e32 v38, v38, v39
	s_delay_alu instid0(VALU_DEP_1) | instskip(NEXT) | instid1(VALU_DEP_3)
	v_min3_f32 v38, v42, v38, v43
	v_add_co_u32 v36, vcc_lo, v40, v36
	s_delay_alu instid0(VALU_DEP_4)
	v_add_co_ci_u32_e32 v37, vcc_lo, v41, v37, vcc_lo
	global_store_b32 v[36:37], v38, off
.LBB13_265:
	s_or_b32 exec_lo, exec_lo, s4
	v_add_nc_u32_e32 v40, 0x58, v113
	s_delay_alu instid0(VALU_DEP_1) | instskip(SKIP_2) | instid1(VALU_DEP_3)
	v_mad_i64_i32 v[36:37], null, v40, s6, 0
	v_mad_i64_i32 v[38:39], null, v40, s5, 0
	v_cmp_gt_i32_e64 s4, s9, v40
	v_lshlrev_b64 v[36:37], 2, v[36:37]
	s_delay_alu instid0(VALU_DEP_2) | instskip(NEXT) | instid1(VALU_DEP_3)
	s_and_b32 s14, s0, s4
	v_lshlrev_b64 v[40:41], 2, v[38:39]
	s_delay_alu instid0(VALU_DEP_2) | instskip(NEXT) | instid1(VALU_DEP_3)
	v_add_co_u32 v38, vcc_lo, s12, v36
	v_add_co_ci_u32_e32 v39, vcc_lo, s13, v37, vcc_lo
	s_delay_alu instid0(VALU_DEP_3) | instskip(NEXT) | instid1(VALU_DEP_4)
	v_add_co_u32 v36, vcc_lo, s7, v40
	v_add_co_ci_u32_e32 v37, vcc_lo, s10, v41, vcc_lo
	s_and_saveexec_b32 s8, s14
	s_cbranch_execnz .LBB13_269
; %bb.266:
	s_or_b32 exec_lo, exec_lo, s8
	s_and_b32 s14, s1, s4
	s_delay_alu instid0(SALU_CYCLE_1)
	s_and_saveexec_b32 s8, s14
	s_cbranch_execnz .LBB13_273
.LBB13_267:
	s_or_b32 exec_lo, exec_lo, s8
	s_and_b32 s14, s2, s4
	s_delay_alu instid0(SALU_CYCLE_1)
	s_and_saveexec_b32 s8, s14
	s_cbranch_execnz .LBB13_277
.LBB13_268:
	s_or_b32 exec_lo, exec_lo, s8
	s_and_b32 s8, s3, s4
	s_delay_alu instid0(SALU_CYCLE_1)
	s_and_saveexec_b32 s4, s8
	s_cbranch_execnz .LBB13_281
	s_branch .LBB13_285
.LBB13_269:
	v_cmp_ne_u32_e32 vcc_lo, 1, v109
	s_cbranch_vccnz .LBB13_271
; %bb.270:
	v_lshlrev_b64 v[40:41], 2, v[80:81]
	s_delay_alu instid0(VALU_DEP_1) | instskip(NEXT) | instid1(VALU_DEP_2)
	v_add_co_u32 v40, vcc_lo, v38, v40
	v_add_co_ci_u32_e32 v41, vcc_lo, v39, v41, vcc_lo
	flat_load_b32 v40, v[40:41]
	s_waitcnt vmcnt(0) lgkmcnt(0)
	v_mul_f32_e32 v40, s11, v40
	s_branch .LBB13_272
.LBB13_271:
	v_mov_b32_e32 v40, 0
.LBB13_272:
	v_dual_add_f32 v41, v17, v33 :: v_dual_add_f32 v42, v16, v32
	v_dual_add_f32 v43, v19, v35 :: v_dual_add_f32 v44, v18, v34
	s_delay_alu instid0(VALU_DEP_2) | instskip(SKIP_1) | instid1(VALU_DEP_3)
	v_min3_f32 v45, v42, v41, v107
	v_lshlrev_b64 v[41:42], 2, v[80:81]
	v_min_f32_e32 v43, v44, v43
	s_delay_alu instid0(VALU_DEP_1) | instskip(NEXT) | instid1(VALU_DEP_3)
	v_min3_f32 v43, v40, v43, v45
	v_add_co_u32 v40, vcc_lo, v36, v41
	s_delay_alu instid0(VALU_DEP_4) | instskip(SKIP_3) | instid1(SALU_CYCLE_1)
	v_add_co_ci_u32_e32 v41, vcc_lo, v37, v42, vcc_lo
	global_store_b32 v[40:41], v43, off
	s_or_b32 exec_lo, exec_lo, s8
	s_and_b32 s14, s1, s4
	s_and_saveexec_b32 s8, s14
	s_cbranch_execz .LBB13_267
.LBB13_273:
	v_cmp_ne_u32_e32 vcc_lo, 1, v109
	s_cbranch_vccnz .LBB13_275
; %bb.274:
	v_lshlrev_b64 v[40:41], 2, v[82:83]
	s_delay_alu instid0(VALU_DEP_1) | instskip(NEXT) | instid1(VALU_DEP_2)
	v_add_co_u32 v40, vcc_lo, v38, v40
	v_add_co_ci_u32_e32 v41, vcc_lo, v39, v41, vcc_lo
	flat_load_b32 v40, v[40:41]
	s_waitcnt vmcnt(0) lgkmcnt(0)
	v_mul_f32_e32 v40, s11, v40
	s_branch .LBB13_276
.LBB13_275:
	v_mov_b32_e32 v40, 0
.LBB13_276:
	v_dual_add_f32 v41, v13, v33 :: v_dual_add_f32 v42, v12, v32
	v_dual_add_f32 v43, v15, v35 :: v_dual_add_f32 v44, v14, v34
	s_delay_alu instid0(VALU_DEP_2) | instskip(SKIP_1) | instid1(VALU_DEP_3)
	v_min3_f32 v45, v42, v41, v106
	v_lshlrev_b64 v[41:42], 2, v[82:83]
	v_min_f32_e32 v43, v44, v43
	s_delay_alu instid0(VALU_DEP_1) | instskip(NEXT) | instid1(VALU_DEP_3)
	v_min3_f32 v43, v40, v43, v45
	v_add_co_u32 v40, vcc_lo, v36, v41
	s_delay_alu instid0(VALU_DEP_4) | instskip(SKIP_3) | instid1(SALU_CYCLE_1)
	v_add_co_ci_u32_e32 v41, vcc_lo, v37, v42, vcc_lo
	global_store_b32 v[40:41], v43, off
	s_or_b32 exec_lo, exec_lo, s8
	s_and_b32 s14, s2, s4
	s_and_saveexec_b32 s8, s14
	s_cbranch_execz .LBB13_268
.LBB13_277:
	v_cmp_ne_u32_e32 vcc_lo, 1, v109
	s_cbranch_vccnz .LBB13_279
; %bb.278:
	v_lshlrev_b64 v[40:41], 2, v[84:85]
	s_delay_alu instid0(VALU_DEP_1) | instskip(NEXT) | instid1(VALU_DEP_2)
	v_add_co_u32 v40, vcc_lo, v38, v40
	v_add_co_ci_u32_e32 v41, vcc_lo, v39, v41, vcc_lo
	flat_load_b32 v40, v[40:41]
	s_waitcnt vmcnt(0) lgkmcnt(0)
	v_mul_f32_e32 v40, s11, v40
	s_branch .LBB13_280
.LBB13_279:
	v_mov_b32_e32 v40, 0
.LBB13_280:
	v_dual_add_f32 v41, v9, v33 :: v_dual_add_f32 v42, v8, v32
	v_dual_add_f32 v43, v11, v35 :: v_dual_add_f32 v44, v10, v34
	s_delay_alu instid0(VALU_DEP_2) | instskip(SKIP_1) | instid1(VALU_DEP_3)
	v_min3_f32 v45, v42, v41, v105
	v_lshlrev_b64 v[41:42], 2, v[84:85]
	v_min_f32_e32 v43, v44, v43
	s_delay_alu instid0(VALU_DEP_1) | instskip(NEXT) | instid1(VALU_DEP_3)
	v_min3_f32 v43, v40, v43, v45
	v_add_co_u32 v40, vcc_lo, v36, v41
	s_delay_alu instid0(VALU_DEP_4) | instskip(SKIP_3) | instid1(SALU_CYCLE_1)
	v_add_co_ci_u32_e32 v41, vcc_lo, v37, v42, vcc_lo
	global_store_b32 v[40:41], v43, off
	s_or_b32 exec_lo, exec_lo, s8
	s_and_b32 s8, s3, s4
	s_and_saveexec_b32 s4, s8
	s_cbranch_execz .LBB13_285
.LBB13_281:
	v_cmp_ne_u32_e32 vcc_lo, 1, v109
	s_cbranch_vccnz .LBB13_283
; %bb.282:
	v_lshlrev_b64 v[40:41], 2, v[86:87]
	s_delay_alu instid0(VALU_DEP_1) | instskip(NEXT) | instid1(VALU_DEP_2)
	v_add_co_u32 v38, vcc_lo, v38, v40
	v_add_co_ci_u32_e32 v39, vcc_lo, v39, v41, vcc_lo
	flat_load_b32 v38, v[38:39]
	s_waitcnt vmcnt(0) lgkmcnt(0)
	v_mul_f32_e32 v38, s11, v38
	s_branch .LBB13_284
.LBB13_283:
	v_mov_b32_e32 v38, 0
.LBB13_284:
	v_dual_add_f32 v33, v1, v33 :: v_dual_add_f32 v32, v0, v32
	v_dual_add_f32 v35, v3, v35 :: v_dual_add_f32 v34, v2, v34
	s_delay_alu instid0(VALU_DEP_2) | instskip(SKIP_1) | instid1(VALU_DEP_3)
	v_min3_f32 v39, v32, v33, v104
	v_lshlrev_b64 v[32:33], 2, v[86:87]
	v_min_f32_e32 v34, v34, v35
	s_delay_alu instid0(VALU_DEP_1) | instskip(NEXT) | instid1(VALU_DEP_3)
	v_min3_f32 v34, v38, v34, v39
	v_add_co_u32 v32, vcc_lo, v36, v32
	s_delay_alu instid0(VALU_DEP_4)
	v_add_co_ci_u32_e32 v33, vcc_lo, v37, v33, vcc_lo
	global_store_b32 v[32:33], v34, off
.LBB13_285:
	s_or_b32 exec_lo, exec_lo, s4
	v_add_nc_u32_e32 v36, 0x60, v113
	s_delay_alu instid0(VALU_DEP_1) | instskip(SKIP_2) | instid1(VALU_DEP_3)
	v_mad_i64_i32 v[32:33], null, v36, s6, 0
	v_mad_i64_i32 v[34:35], null, v36, s5, 0
	v_cmp_gt_i32_e64 s4, s9, v36
	v_lshlrev_b64 v[32:33], 2, v[32:33]
	s_delay_alu instid0(VALU_DEP_2) | instskip(NEXT) | instid1(VALU_DEP_3)
	s_and_b32 s14, s0, s4
	v_lshlrev_b64 v[36:37], 2, v[34:35]
	s_delay_alu instid0(VALU_DEP_2) | instskip(NEXT) | instid1(VALU_DEP_3)
	v_add_co_u32 v34, vcc_lo, s12, v32
	v_add_co_ci_u32_e32 v35, vcc_lo, s13, v33, vcc_lo
	s_delay_alu instid0(VALU_DEP_3) | instskip(NEXT) | instid1(VALU_DEP_4)
	v_add_co_u32 v32, vcc_lo, s7, v36
	v_add_co_ci_u32_e32 v33, vcc_lo, s10, v37, vcc_lo
	s_and_saveexec_b32 s8, s14
	s_cbranch_execnz .LBB13_289
; %bb.286:
	s_or_b32 exec_lo, exec_lo, s8
	s_and_b32 s14, s1, s4
	s_delay_alu instid0(SALU_CYCLE_1)
	s_and_saveexec_b32 s8, s14
	s_cbranch_execnz .LBB13_293
.LBB13_287:
	s_or_b32 exec_lo, exec_lo, s8
	s_and_b32 s14, s2, s4
	s_delay_alu instid0(SALU_CYCLE_1)
	s_and_saveexec_b32 s8, s14
	s_cbranch_execnz .LBB13_297
.LBB13_288:
	s_or_b32 exec_lo, exec_lo, s8
	s_and_b32 s8, s3, s4
	s_delay_alu instid0(SALU_CYCLE_1)
	s_and_saveexec_b32 s4, s8
	s_cbranch_execnz .LBB13_301
	s_branch .LBB13_305
.LBB13_289:
	v_cmp_ne_u32_e32 vcc_lo, 1, v109
	s_cbranch_vccnz .LBB13_291
; %bb.290:
	v_lshlrev_b64 v[36:37], 2, v[80:81]
	s_delay_alu instid0(VALU_DEP_1) | instskip(NEXT) | instid1(VALU_DEP_2)
	v_add_co_u32 v36, vcc_lo, v34, v36
	v_add_co_ci_u32_e32 v37, vcc_lo, v35, v37, vcc_lo
	flat_load_b32 v36, v[36:37]
	s_waitcnt vmcnt(0) lgkmcnt(0)
	v_mul_f32_e32 v36, s11, v36
	s_branch .LBB13_292
.LBB13_291:
	v_mov_b32_e32 v36, 0
.LBB13_292:
	v_dual_add_f32 v37, v17, v29 :: v_dual_add_f32 v38, v16, v28
	v_dual_add_f32 v39, v19, v31 :: v_dual_add_f32 v40, v18, v30
	s_delay_alu instid0(VALU_DEP_2) | instskip(SKIP_1) | instid1(VALU_DEP_3)
	v_min3_f32 v41, v38, v37, v103
	v_lshlrev_b64 v[37:38], 2, v[80:81]
	v_min_f32_e32 v39, v40, v39
	s_delay_alu instid0(VALU_DEP_1) | instskip(NEXT) | instid1(VALU_DEP_3)
	v_min3_f32 v39, v36, v39, v41
	v_add_co_u32 v36, vcc_lo, v32, v37
	s_delay_alu instid0(VALU_DEP_4) | instskip(SKIP_3) | instid1(SALU_CYCLE_1)
	v_add_co_ci_u32_e32 v37, vcc_lo, v33, v38, vcc_lo
	global_store_b32 v[36:37], v39, off
	s_or_b32 exec_lo, exec_lo, s8
	s_and_b32 s14, s1, s4
	s_and_saveexec_b32 s8, s14
	s_cbranch_execz .LBB13_287
.LBB13_293:
	v_cmp_ne_u32_e32 vcc_lo, 1, v109
	s_cbranch_vccnz .LBB13_295
; %bb.294:
	v_lshlrev_b64 v[36:37], 2, v[82:83]
	s_delay_alu instid0(VALU_DEP_1) | instskip(NEXT) | instid1(VALU_DEP_2)
	v_add_co_u32 v36, vcc_lo, v34, v36
	v_add_co_ci_u32_e32 v37, vcc_lo, v35, v37, vcc_lo
	flat_load_b32 v36, v[36:37]
	s_waitcnt vmcnt(0) lgkmcnt(0)
	v_mul_f32_e32 v36, s11, v36
	s_branch .LBB13_296
.LBB13_295:
	v_mov_b32_e32 v36, 0
.LBB13_296:
	v_dual_add_f32 v37, v13, v29 :: v_dual_add_f32 v38, v12, v28
	v_dual_add_f32 v39, v15, v31 :: v_dual_add_f32 v40, v14, v30
	s_delay_alu instid0(VALU_DEP_2) | instskip(SKIP_1) | instid1(VALU_DEP_3)
	v_min3_f32 v41, v38, v37, v102
	v_lshlrev_b64 v[37:38], 2, v[82:83]
	v_min_f32_e32 v39, v40, v39
	s_delay_alu instid0(VALU_DEP_1) | instskip(NEXT) | instid1(VALU_DEP_3)
	v_min3_f32 v39, v36, v39, v41
	v_add_co_u32 v36, vcc_lo, v32, v37
	s_delay_alu instid0(VALU_DEP_4) | instskip(SKIP_3) | instid1(SALU_CYCLE_1)
	v_add_co_ci_u32_e32 v37, vcc_lo, v33, v38, vcc_lo
	global_store_b32 v[36:37], v39, off
	s_or_b32 exec_lo, exec_lo, s8
	s_and_b32 s14, s2, s4
	s_and_saveexec_b32 s8, s14
	s_cbranch_execz .LBB13_288
.LBB13_297:
	v_cmp_ne_u32_e32 vcc_lo, 1, v109
	s_cbranch_vccnz .LBB13_299
; %bb.298:
	v_lshlrev_b64 v[36:37], 2, v[84:85]
	s_delay_alu instid0(VALU_DEP_1) | instskip(NEXT) | instid1(VALU_DEP_2)
	v_add_co_u32 v36, vcc_lo, v34, v36
	v_add_co_ci_u32_e32 v37, vcc_lo, v35, v37, vcc_lo
	flat_load_b32 v36, v[36:37]
	s_waitcnt vmcnt(0) lgkmcnt(0)
	v_mul_f32_e32 v36, s11, v36
	s_branch .LBB13_300
.LBB13_299:
	v_mov_b32_e32 v36, 0
.LBB13_300:
	v_dual_add_f32 v37, v9, v29 :: v_dual_add_f32 v38, v8, v28
	v_dual_add_f32 v39, v11, v31 :: v_dual_add_f32 v40, v10, v30
	s_delay_alu instid0(VALU_DEP_2) | instskip(SKIP_1) | instid1(VALU_DEP_3)
	v_min3_f32 v41, v38, v37, v101
	v_lshlrev_b64 v[37:38], 2, v[84:85]
	v_min_f32_e32 v39, v40, v39
	s_delay_alu instid0(VALU_DEP_1) | instskip(NEXT) | instid1(VALU_DEP_3)
	v_min3_f32 v39, v36, v39, v41
	v_add_co_u32 v36, vcc_lo, v32, v37
	s_delay_alu instid0(VALU_DEP_4) | instskip(SKIP_3) | instid1(SALU_CYCLE_1)
	v_add_co_ci_u32_e32 v37, vcc_lo, v33, v38, vcc_lo
	global_store_b32 v[36:37], v39, off
	s_or_b32 exec_lo, exec_lo, s8
	s_and_b32 s8, s3, s4
	s_and_saveexec_b32 s4, s8
	s_cbranch_execz .LBB13_305
.LBB13_301:
	v_cmp_ne_u32_e32 vcc_lo, 1, v109
	s_cbranch_vccnz .LBB13_303
; %bb.302:
	v_lshlrev_b64 v[36:37], 2, v[86:87]
	s_delay_alu instid0(VALU_DEP_1) | instskip(NEXT) | instid1(VALU_DEP_2)
	v_add_co_u32 v34, vcc_lo, v34, v36
	v_add_co_ci_u32_e32 v35, vcc_lo, v35, v37, vcc_lo
	flat_load_b32 v34, v[34:35]
	s_waitcnt vmcnt(0) lgkmcnt(0)
	v_mul_f32_e32 v34, s11, v34
	s_branch .LBB13_304
.LBB13_303:
	v_mov_b32_e32 v34, 0
.LBB13_304:
	v_dual_add_f32 v29, v1, v29 :: v_dual_add_f32 v28, v0, v28
	v_dual_add_f32 v31, v3, v31 :: v_dual_add_f32 v30, v2, v30
	s_delay_alu instid0(VALU_DEP_2) | instskip(SKIP_1) | instid1(VALU_DEP_3)
	v_min3_f32 v35, v28, v29, v100
	v_lshlrev_b64 v[28:29], 2, v[86:87]
	v_min_f32_e32 v30, v30, v31
	s_delay_alu instid0(VALU_DEP_1) | instskip(NEXT) | instid1(VALU_DEP_3)
	v_min3_f32 v30, v34, v30, v35
	v_add_co_u32 v28, vcc_lo, v32, v28
	s_delay_alu instid0(VALU_DEP_4)
	v_add_co_ci_u32_e32 v29, vcc_lo, v33, v29, vcc_lo
	global_store_b32 v[28:29], v30, off
.LBB13_305:
	s_or_b32 exec_lo, exec_lo, s4
	v_add_nc_u32_e32 v32, 0x68, v113
	s_delay_alu instid0(VALU_DEP_1) | instskip(SKIP_2) | instid1(VALU_DEP_3)
	v_mad_i64_i32 v[28:29], null, v32, s6, 0
	v_mad_i64_i32 v[30:31], null, v32, s5, 0
	v_cmp_gt_i32_e64 s4, s9, v32
	v_lshlrev_b64 v[28:29], 2, v[28:29]
	s_delay_alu instid0(VALU_DEP_2) | instskip(NEXT) | instid1(VALU_DEP_3)
	s_and_b32 s14, s0, s4
	v_lshlrev_b64 v[32:33], 2, v[30:31]
	s_delay_alu instid0(VALU_DEP_2) | instskip(NEXT) | instid1(VALU_DEP_3)
	v_add_co_u32 v30, vcc_lo, s12, v28
	v_add_co_ci_u32_e32 v31, vcc_lo, s13, v29, vcc_lo
	s_delay_alu instid0(VALU_DEP_3) | instskip(NEXT) | instid1(VALU_DEP_4)
	v_add_co_u32 v28, vcc_lo, s7, v32
	v_add_co_ci_u32_e32 v29, vcc_lo, s10, v33, vcc_lo
	s_and_saveexec_b32 s8, s14
	s_cbranch_execnz .LBB13_309
; %bb.306:
	s_or_b32 exec_lo, exec_lo, s8
	s_and_b32 s14, s1, s4
	s_delay_alu instid0(SALU_CYCLE_1)
	s_and_saveexec_b32 s8, s14
	s_cbranch_execnz .LBB13_313
.LBB13_307:
	s_or_b32 exec_lo, exec_lo, s8
	s_and_b32 s14, s2, s4
	s_delay_alu instid0(SALU_CYCLE_1)
	s_and_saveexec_b32 s8, s14
	s_cbranch_execnz .LBB13_317
.LBB13_308:
	s_or_b32 exec_lo, exec_lo, s8
	s_and_b32 s8, s3, s4
	s_delay_alu instid0(SALU_CYCLE_1)
	s_and_saveexec_b32 s4, s8
	s_cbranch_execnz .LBB13_321
	s_branch .LBB13_325
.LBB13_309:
	v_cmp_ne_u32_e32 vcc_lo, 1, v109
	s_cbranch_vccnz .LBB13_311
; %bb.310:
	v_lshlrev_b64 v[32:33], 2, v[80:81]
	s_delay_alu instid0(VALU_DEP_1) | instskip(NEXT) | instid1(VALU_DEP_2)
	v_add_co_u32 v32, vcc_lo, v30, v32
	v_add_co_ci_u32_e32 v33, vcc_lo, v31, v33, vcc_lo
	flat_load_b32 v32, v[32:33]
	s_waitcnt vmcnt(0) lgkmcnt(0)
	v_mul_f32_e32 v32, s11, v32
	s_branch .LBB13_312
.LBB13_311:
	v_mov_b32_e32 v32, 0
.LBB13_312:
	v_dual_add_f32 v33, v17, v25 :: v_dual_add_f32 v34, v16, v24
	v_dual_add_f32 v35, v19, v27 :: v_dual_add_f32 v36, v18, v26
	s_delay_alu instid0(VALU_DEP_2) | instskip(SKIP_1) | instid1(VALU_DEP_3)
	v_min3_f32 v37, v34, v33, v99
	v_lshlrev_b64 v[33:34], 2, v[80:81]
	v_min_f32_e32 v35, v36, v35
	s_delay_alu instid0(VALU_DEP_1) | instskip(NEXT) | instid1(VALU_DEP_3)
	v_min3_f32 v35, v32, v35, v37
	v_add_co_u32 v32, vcc_lo, v28, v33
	s_delay_alu instid0(VALU_DEP_4) | instskip(SKIP_3) | instid1(SALU_CYCLE_1)
	v_add_co_ci_u32_e32 v33, vcc_lo, v29, v34, vcc_lo
	global_store_b32 v[32:33], v35, off
	s_or_b32 exec_lo, exec_lo, s8
	s_and_b32 s14, s1, s4
	s_and_saveexec_b32 s8, s14
	s_cbranch_execz .LBB13_307
.LBB13_313:
	v_cmp_ne_u32_e32 vcc_lo, 1, v109
	s_cbranch_vccnz .LBB13_315
; %bb.314:
	v_lshlrev_b64 v[32:33], 2, v[82:83]
	s_delay_alu instid0(VALU_DEP_1) | instskip(NEXT) | instid1(VALU_DEP_2)
	v_add_co_u32 v32, vcc_lo, v30, v32
	v_add_co_ci_u32_e32 v33, vcc_lo, v31, v33, vcc_lo
	flat_load_b32 v32, v[32:33]
	s_waitcnt vmcnt(0) lgkmcnt(0)
	v_mul_f32_e32 v32, s11, v32
	s_branch .LBB13_316
.LBB13_315:
	v_mov_b32_e32 v32, 0
.LBB13_316:
	v_dual_add_f32 v33, v13, v25 :: v_dual_add_f32 v34, v12, v24
	v_dual_add_f32 v35, v15, v27 :: v_dual_add_f32 v36, v14, v26
	s_delay_alu instid0(VALU_DEP_2) | instskip(SKIP_1) | instid1(VALU_DEP_3)
	v_min3_f32 v37, v34, v33, v98
	v_lshlrev_b64 v[33:34], 2, v[82:83]
	v_min_f32_e32 v35, v36, v35
	s_delay_alu instid0(VALU_DEP_1) | instskip(NEXT) | instid1(VALU_DEP_3)
	v_min3_f32 v35, v32, v35, v37
	v_add_co_u32 v32, vcc_lo, v28, v33
	s_delay_alu instid0(VALU_DEP_4) | instskip(SKIP_3) | instid1(SALU_CYCLE_1)
	v_add_co_ci_u32_e32 v33, vcc_lo, v29, v34, vcc_lo
	global_store_b32 v[32:33], v35, off
	s_or_b32 exec_lo, exec_lo, s8
	s_and_b32 s14, s2, s4
	s_and_saveexec_b32 s8, s14
	s_cbranch_execz .LBB13_308
.LBB13_317:
	v_cmp_ne_u32_e32 vcc_lo, 1, v109
	s_cbranch_vccnz .LBB13_319
; %bb.318:
	v_lshlrev_b64 v[32:33], 2, v[84:85]
	s_delay_alu instid0(VALU_DEP_1) | instskip(NEXT) | instid1(VALU_DEP_2)
	v_add_co_u32 v32, vcc_lo, v30, v32
	v_add_co_ci_u32_e32 v33, vcc_lo, v31, v33, vcc_lo
	flat_load_b32 v32, v[32:33]
	s_waitcnt vmcnt(0) lgkmcnt(0)
	v_mul_f32_e32 v32, s11, v32
	s_branch .LBB13_320
.LBB13_319:
	v_mov_b32_e32 v32, 0
.LBB13_320:
	v_dual_add_f32 v33, v9, v25 :: v_dual_add_f32 v34, v8, v24
	v_dual_add_f32 v35, v11, v27 :: v_dual_add_f32 v36, v10, v26
	s_delay_alu instid0(VALU_DEP_2) | instskip(SKIP_1) | instid1(VALU_DEP_3)
	v_min3_f32 v37, v34, v33, v97
	v_lshlrev_b64 v[33:34], 2, v[84:85]
	v_min_f32_e32 v35, v36, v35
	s_delay_alu instid0(VALU_DEP_1) | instskip(NEXT) | instid1(VALU_DEP_3)
	v_min3_f32 v35, v32, v35, v37
	v_add_co_u32 v32, vcc_lo, v28, v33
	s_delay_alu instid0(VALU_DEP_4) | instskip(SKIP_3) | instid1(SALU_CYCLE_1)
	v_add_co_ci_u32_e32 v33, vcc_lo, v29, v34, vcc_lo
	global_store_b32 v[32:33], v35, off
	s_or_b32 exec_lo, exec_lo, s8
	s_and_b32 s8, s3, s4
	s_and_saveexec_b32 s4, s8
	s_cbranch_execz .LBB13_325
.LBB13_321:
	v_cmp_ne_u32_e32 vcc_lo, 1, v109
	s_cbranch_vccnz .LBB13_323
; %bb.322:
	v_lshlrev_b64 v[32:33], 2, v[86:87]
	s_delay_alu instid0(VALU_DEP_1) | instskip(NEXT) | instid1(VALU_DEP_2)
	v_add_co_u32 v30, vcc_lo, v30, v32
	v_add_co_ci_u32_e32 v31, vcc_lo, v31, v33, vcc_lo
	flat_load_b32 v30, v[30:31]
	s_waitcnt vmcnt(0) lgkmcnt(0)
	v_mul_f32_e32 v30, s11, v30
	s_branch .LBB13_324
.LBB13_323:
	v_mov_b32_e32 v30, 0
.LBB13_324:
	v_dual_add_f32 v25, v1, v25 :: v_dual_add_f32 v24, v0, v24
	v_dual_add_f32 v27, v3, v27 :: v_dual_add_f32 v26, v2, v26
	s_delay_alu instid0(VALU_DEP_2) | instskip(SKIP_1) | instid1(VALU_DEP_3)
	v_min3_f32 v31, v24, v25, v96
	v_lshlrev_b64 v[24:25], 2, v[86:87]
	v_min_f32_e32 v26, v26, v27
	s_delay_alu instid0(VALU_DEP_1) | instskip(NEXT) | instid1(VALU_DEP_3)
	v_min3_f32 v26, v30, v26, v31
	v_add_co_u32 v24, vcc_lo, v28, v24
	s_delay_alu instid0(VALU_DEP_4)
	v_add_co_ci_u32_e32 v25, vcc_lo, v29, v25, vcc_lo
	global_store_b32 v[24:25], v26, off
.LBB13_325:
	s_or_b32 exec_lo, exec_lo, s4
	v_add_nc_u32_e32 v28, 0x70, v113
	s_delay_alu instid0(VALU_DEP_1) | instskip(SKIP_2) | instid1(VALU_DEP_3)
	v_mad_i64_i32 v[24:25], null, v28, s6, 0
	v_mad_i64_i32 v[26:27], null, v28, s5, 0
	v_cmp_gt_i32_e64 s4, s9, v28
	v_lshlrev_b64 v[24:25], 2, v[24:25]
	s_delay_alu instid0(VALU_DEP_2) | instskip(NEXT) | instid1(VALU_DEP_3)
	s_and_b32 s14, s0, s4
	v_lshlrev_b64 v[28:29], 2, v[26:27]
	s_delay_alu instid0(VALU_DEP_2) | instskip(NEXT) | instid1(VALU_DEP_3)
	v_add_co_u32 v26, vcc_lo, s12, v24
	v_add_co_ci_u32_e32 v27, vcc_lo, s13, v25, vcc_lo
	s_delay_alu instid0(VALU_DEP_3) | instskip(NEXT) | instid1(VALU_DEP_4)
	v_add_co_u32 v24, vcc_lo, s7, v28
	v_add_co_ci_u32_e32 v25, vcc_lo, s10, v29, vcc_lo
	s_and_saveexec_b32 s8, s14
	s_cbranch_execnz .LBB13_329
; %bb.326:
	s_or_b32 exec_lo, exec_lo, s8
	s_and_b32 s14, s1, s4
	s_delay_alu instid0(SALU_CYCLE_1)
	s_and_saveexec_b32 s8, s14
	s_cbranch_execnz .LBB13_333
.LBB13_327:
	s_or_b32 exec_lo, exec_lo, s8
	s_and_b32 s14, s2, s4
	s_delay_alu instid0(SALU_CYCLE_1)
	s_and_saveexec_b32 s8, s14
	s_cbranch_execnz .LBB13_337
.LBB13_328:
	s_or_b32 exec_lo, exec_lo, s8
	s_and_b32 s8, s3, s4
	s_delay_alu instid0(SALU_CYCLE_1)
	s_and_saveexec_b32 s4, s8
	s_cbranch_execnz .LBB13_341
	s_branch .LBB13_345
.LBB13_329:
	v_cmp_ne_u32_e32 vcc_lo, 1, v109
	s_cbranch_vccnz .LBB13_331
; %bb.330:
	v_lshlrev_b64 v[28:29], 2, v[80:81]
	s_delay_alu instid0(VALU_DEP_1) | instskip(NEXT) | instid1(VALU_DEP_2)
	v_add_co_u32 v28, vcc_lo, v26, v28
	v_add_co_ci_u32_e32 v29, vcc_lo, v27, v29, vcc_lo
	flat_load_b32 v28, v[28:29]
	s_waitcnt vmcnt(0) lgkmcnt(0)
	v_mul_f32_e32 v28, s11, v28
	s_branch .LBB13_332
.LBB13_331:
	v_mov_b32_e32 v28, 0
.LBB13_332:
	v_dual_add_f32 v29, v17, v21 :: v_dual_add_f32 v30, v16, v20
	v_dual_add_f32 v31, v19, v23 :: v_dual_add_f32 v32, v18, v22
	s_delay_alu instid0(VALU_DEP_2) | instskip(SKIP_1) | instid1(VALU_DEP_3)
	v_min3_f32 v33, v30, v29, v95
	v_lshlrev_b64 v[29:30], 2, v[80:81]
	v_min_f32_e32 v31, v32, v31
	s_delay_alu instid0(VALU_DEP_1) | instskip(NEXT) | instid1(VALU_DEP_3)
	v_min3_f32 v31, v28, v31, v33
	v_add_co_u32 v28, vcc_lo, v24, v29
	s_delay_alu instid0(VALU_DEP_4) | instskip(SKIP_3) | instid1(SALU_CYCLE_1)
	v_add_co_ci_u32_e32 v29, vcc_lo, v25, v30, vcc_lo
	global_store_b32 v[28:29], v31, off
	s_or_b32 exec_lo, exec_lo, s8
	s_and_b32 s14, s1, s4
	s_and_saveexec_b32 s8, s14
	s_cbranch_execz .LBB13_327
.LBB13_333:
	v_cmp_ne_u32_e32 vcc_lo, 1, v109
	s_cbranch_vccnz .LBB13_335
; %bb.334:
	v_lshlrev_b64 v[28:29], 2, v[82:83]
	s_delay_alu instid0(VALU_DEP_1) | instskip(NEXT) | instid1(VALU_DEP_2)
	v_add_co_u32 v28, vcc_lo, v26, v28
	v_add_co_ci_u32_e32 v29, vcc_lo, v27, v29, vcc_lo
	flat_load_b32 v28, v[28:29]
	s_waitcnt vmcnt(0) lgkmcnt(0)
	v_mul_f32_e32 v28, s11, v28
	s_branch .LBB13_336
.LBB13_335:
	v_mov_b32_e32 v28, 0
.LBB13_336:
	v_dual_add_f32 v29, v13, v21 :: v_dual_add_f32 v30, v12, v20
	v_dual_add_f32 v31, v15, v23 :: v_dual_add_f32 v32, v14, v22
	s_delay_alu instid0(VALU_DEP_2) | instskip(SKIP_1) | instid1(VALU_DEP_3)
	v_min3_f32 v33, v30, v29, v94
	v_lshlrev_b64 v[29:30], 2, v[82:83]
	v_min_f32_e32 v31, v32, v31
	s_delay_alu instid0(VALU_DEP_1) | instskip(NEXT) | instid1(VALU_DEP_3)
	v_min3_f32 v31, v28, v31, v33
	v_add_co_u32 v28, vcc_lo, v24, v29
	s_delay_alu instid0(VALU_DEP_4) | instskip(SKIP_3) | instid1(SALU_CYCLE_1)
	v_add_co_ci_u32_e32 v29, vcc_lo, v25, v30, vcc_lo
	global_store_b32 v[28:29], v31, off
	s_or_b32 exec_lo, exec_lo, s8
	s_and_b32 s14, s2, s4
	s_and_saveexec_b32 s8, s14
	s_cbranch_execz .LBB13_328
.LBB13_337:
	v_cmp_ne_u32_e32 vcc_lo, 1, v109
	s_cbranch_vccnz .LBB13_339
; %bb.338:
	v_lshlrev_b64 v[28:29], 2, v[84:85]
	s_delay_alu instid0(VALU_DEP_1) | instskip(NEXT) | instid1(VALU_DEP_2)
	v_add_co_u32 v28, vcc_lo, v26, v28
	v_add_co_ci_u32_e32 v29, vcc_lo, v27, v29, vcc_lo
	flat_load_b32 v28, v[28:29]
	s_waitcnt vmcnt(0) lgkmcnt(0)
	v_mul_f32_e32 v28, s11, v28
	s_branch .LBB13_340
.LBB13_339:
	v_mov_b32_e32 v28, 0
.LBB13_340:
	v_dual_add_f32 v29, v9, v21 :: v_dual_add_f32 v30, v8, v20
	v_dual_add_f32 v31, v11, v23 :: v_dual_add_f32 v32, v10, v22
	s_delay_alu instid0(VALU_DEP_2) | instskip(SKIP_1) | instid1(VALU_DEP_3)
	v_min3_f32 v33, v30, v29, v93
	v_lshlrev_b64 v[29:30], 2, v[84:85]
	v_min_f32_e32 v31, v32, v31
	s_delay_alu instid0(VALU_DEP_1) | instskip(NEXT) | instid1(VALU_DEP_3)
	v_min3_f32 v31, v28, v31, v33
	v_add_co_u32 v28, vcc_lo, v24, v29
	s_delay_alu instid0(VALU_DEP_4) | instskip(SKIP_3) | instid1(SALU_CYCLE_1)
	v_add_co_ci_u32_e32 v29, vcc_lo, v25, v30, vcc_lo
	global_store_b32 v[28:29], v31, off
	s_or_b32 exec_lo, exec_lo, s8
	s_and_b32 s8, s3, s4
	s_and_saveexec_b32 s4, s8
	s_cbranch_execz .LBB13_345
.LBB13_341:
	v_cmp_ne_u32_e32 vcc_lo, 1, v109
	s_cbranch_vccnz .LBB13_343
; %bb.342:
	v_lshlrev_b64 v[28:29], 2, v[86:87]
	s_delay_alu instid0(VALU_DEP_1) | instskip(NEXT) | instid1(VALU_DEP_2)
	v_add_co_u32 v26, vcc_lo, v26, v28
	v_add_co_ci_u32_e32 v27, vcc_lo, v27, v29, vcc_lo
	flat_load_b32 v26, v[26:27]
	s_waitcnt vmcnt(0) lgkmcnt(0)
	v_mul_f32_e32 v26, s11, v26
	s_branch .LBB13_344
.LBB13_343:
	v_mov_b32_e32 v26, 0
.LBB13_344:
	v_dual_add_f32 v21, v1, v21 :: v_dual_add_f32 v20, v0, v20
	v_dual_add_f32 v23, v3, v23 :: v_dual_add_f32 v22, v2, v22
	s_delay_alu instid0(VALU_DEP_2) | instskip(SKIP_1) | instid1(VALU_DEP_3)
	v_min3_f32 v27, v20, v21, v92
	v_lshlrev_b64 v[20:21], 2, v[86:87]
	v_min_f32_e32 v22, v22, v23
	s_delay_alu instid0(VALU_DEP_1) | instskip(NEXT) | instid1(VALU_DEP_3)
	v_min3_f32 v22, v26, v22, v27
	v_add_co_u32 v20, vcc_lo, v24, v20
	s_delay_alu instid0(VALU_DEP_4)
	v_add_co_ci_u32_e32 v21, vcc_lo, v25, v21, vcc_lo
	global_store_b32 v[20:21], v22, off
.LBB13_345:
	s_or_b32 exec_lo, exec_lo, s4
	v_add_nc_u32_e32 v24, 0x78, v113
	s_delay_alu instid0(VALU_DEP_1) | instskip(SKIP_2) | instid1(VALU_DEP_3)
	v_mad_i64_i32 v[20:21], null, v24, s6, 0
	v_mad_i64_i32 v[22:23], null, v24, s5, 0
	v_cmp_gt_i32_e64 s4, s9, v24
	v_lshlrev_b64 v[20:21], 2, v[20:21]
	s_delay_alu instid0(VALU_DEP_2) | instskip(NEXT) | instid1(VALU_DEP_3)
	s_and_b32 s5, s0, s4
	v_lshlrev_b64 v[22:23], 2, v[22:23]
	s_delay_alu instid0(VALU_DEP_2) | instskip(NEXT) | instid1(VALU_DEP_3)
	v_add_co_u32 v24, vcc_lo, s12, v20
	v_add_co_ci_u32_e32 v25, vcc_lo, s13, v21, vcc_lo
	s_delay_alu instid0(VALU_DEP_3) | instskip(NEXT) | instid1(VALU_DEP_4)
	v_add_co_u32 v22, vcc_lo, s7, v22
	v_add_co_ci_u32_e32 v23, vcc_lo, s10, v23, vcc_lo
	s_and_saveexec_b32 s0, s5
	s_cbranch_execnz .LBB13_350
; %bb.346:
	s_or_b32 exec_lo, exec_lo, s0
	s_and_b32 s1, s1, s4
	s_delay_alu instid0(SALU_CYCLE_1)
	s_and_saveexec_b32 s0, s1
	s_cbranch_execnz .LBB13_354
.LBB13_347:
	s_or_b32 exec_lo, exec_lo, s0
	s_and_b32 s1, s2, s4
	s_delay_alu instid0(SALU_CYCLE_1)
	s_and_saveexec_b32 s0, s1
	s_cbranch_execnz .LBB13_358
.LBB13_348:
	s_or_b32 exec_lo, exec_lo, s0
	s_and_b32 s0, s3, s4
	s_delay_alu instid0(SALU_CYCLE_1)
	s_and_saveexec_b32 s1, s0
	s_cbranch_execnz .LBB13_362
.LBB13_349:
	s_nop 0
	s_sendmsg sendmsg(MSG_DEALLOC_VGPRS)
	s_endpgm
.LBB13_350:
	v_cmp_ne_u32_e32 vcc_lo, 1, v109
	v_lshlrev_b64 v[20:21], 2, v[80:81]
	s_cbranch_vccnz .LBB13_352
; %bb.351:
	s_delay_alu instid0(VALU_DEP_1) | instskip(NEXT) | instid1(VALU_DEP_2)
	v_add_co_u32 v26, vcc_lo, v24, v20
	v_add_co_ci_u32_e32 v27, vcc_lo, v25, v21, vcc_lo
	flat_load_b32 v26, v[26:27]
	s_waitcnt vmcnt(0) lgkmcnt(0)
	v_mul_f32_e32 v26, s11, v26
	s_branch .LBB13_353
.LBB13_352:
	v_mov_b32_e32 v26, 0
.LBB13_353:
	v_dual_add_f32 v17, v17, v5 :: v_dual_add_f32 v16, v16, v4
	v_dual_add_f32 v19, v19, v7 :: v_dual_add_f32 v18, v18, v6
	s_delay_alu instid0(VALU_DEP_2) | instskip(NEXT) | instid1(VALU_DEP_2)
	v_min3_f32 v16, v16, v17, v91
	v_min_f32_e32 v17, v18, v19
	s_delay_alu instid0(VALU_DEP_1)
	v_min3_f32 v18, v26, v17, v16
	v_add_co_u32 v16, vcc_lo, v22, v20
	v_add_co_ci_u32_e32 v17, vcc_lo, v23, v21, vcc_lo
	global_store_b32 v[16:17], v18, off
	s_or_b32 exec_lo, exec_lo, s0
	s_and_b32 s1, s1, s4
	s_delay_alu instid0(SALU_CYCLE_1)
	s_and_saveexec_b32 s0, s1
	s_cbranch_execz .LBB13_347
.LBB13_354:
	v_cmp_ne_u32_e32 vcc_lo, 1, v109
	v_lshlrev_b64 v[16:17], 2, v[82:83]
	s_cbranch_vccnz .LBB13_356
; %bb.355:
	s_delay_alu instid0(VALU_DEP_1) | instskip(NEXT) | instid1(VALU_DEP_2)
	v_add_co_u32 v18, vcc_lo, v24, v16
	v_add_co_ci_u32_e32 v19, vcc_lo, v25, v17, vcc_lo
	flat_load_b32 v18, v[18:19]
	s_waitcnt vmcnt(0) lgkmcnt(0)
	v_mul_f32_e32 v18, s11, v18
	s_branch .LBB13_357
.LBB13_356:
	v_mov_b32_e32 v18, 0
.LBB13_357:
	v_dual_add_f32 v13, v13, v5 :: v_dual_add_f32 v12, v12, v4
	v_dual_add_f32 v15, v15, v7 :: v_dual_add_f32 v14, v14, v6
	s_delay_alu instid0(VALU_DEP_2) | instskip(NEXT) | instid1(VALU_DEP_2)
	v_min3_f32 v12, v12, v13, v90
	v_min_f32_e32 v13, v14, v15
	s_delay_alu instid0(VALU_DEP_1)
	v_min3_f32 v14, v18, v13, v12
	v_add_co_u32 v12, vcc_lo, v22, v16
	v_add_co_ci_u32_e32 v13, vcc_lo, v23, v17, vcc_lo
	global_store_b32 v[12:13], v14, off
	s_or_b32 exec_lo, exec_lo, s0
	s_and_b32 s1, s2, s4
	s_delay_alu instid0(SALU_CYCLE_1)
	s_and_saveexec_b32 s0, s1
	s_cbranch_execz .LBB13_348
.LBB13_358:
	v_cmp_ne_u32_e32 vcc_lo, 1, v109
	v_lshlrev_b64 v[12:13], 2, v[84:85]
	s_cbranch_vccnz .LBB13_360
; %bb.359:
	s_delay_alu instid0(VALU_DEP_1) | instskip(NEXT) | instid1(VALU_DEP_2)
	v_add_co_u32 v14, vcc_lo, v24, v12
	v_add_co_ci_u32_e32 v15, vcc_lo, v25, v13, vcc_lo
	flat_load_b32 v14, v[14:15]
	s_waitcnt vmcnt(0) lgkmcnt(0)
	v_mul_f32_e32 v14, s11, v14
	s_branch .LBB13_361
.LBB13_360:
	v_mov_b32_e32 v14, 0
.LBB13_361:
	v_dual_add_f32 v9, v9, v5 :: v_dual_add_f32 v8, v8, v4
	v_dual_add_f32 v11, v11, v7 :: v_dual_add_f32 v10, v10, v6
	s_delay_alu instid0(VALU_DEP_2) | instskip(NEXT) | instid1(VALU_DEP_2)
	v_min3_f32 v8, v8, v9, v89
	v_min_f32_e32 v9, v10, v11
	s_delay_alu instid0(VALU_DEP_1)
	v_min3_f32 v10, v14, v9, v8
	v_add_co_u32 v8, vcc_lo, v22, v12
	v_add_co_ci_u32_e32 v9, vcc_lo, v23, v13, vcc_lo
	global_store_b32 v[8:9], v10, off
	s_or_b32 exec_lo, exec_lo, s0
	s_and_b32 s0, s3, s4
	s_delay_alu instid0(SALU_CYCLE_1)
	s_and_saveexec_b32 s1, s0
	s_cbranch_execz .LBB13_349
.LBB13_362:
	v_cmp_ne_u32_e32 vcc_lo, 1, v109
	v_lshlrev_b64 v[8:9], 2, v[86:87]
	s_cbranch_vccnz .LBB13_364
; %bb.363:
	s_delay_alu instid0(VALU_DEP_1) | instskip(NEXT) | instid1(VALU_DEP_2)
	v_add_co_u32 v10, vcc_lo, v24, v8
	v_add_co_ci_u32_e32 v11, vcc_lo, v25, v9, vcc_lo
	flat_load_b32 v10, v[10:11]
	s_waitcnt vmcnt(0) lgkmcnt(0)
	v_mul_f32_e32 v10, s11, v10
	s_branch .LBB13_365
.LBB13_364:
	v_mov_b32_e32 v10, 0
.LBB13_365:
	v_dual_add_f32 v1, v1, v5 :: v_dual_add_f32 v0, v0, v4
	v_dual_add_f32 v3, v3, v7 :: v_dual_add_f32 v2, v2, v6
	s_delay_alu instid0(VALU_DEP_2) | instskip(NEXT) | instid1(VALU_DEP_2)
	v_min3_f32 v0, v0, v1, v88
	v_min_f32_e32 v1, v2, v3
	s_delay_alu instid0(VALU_DEP_1)
	v_min3_f32 v2, v10, v1, v0
	v_add_co_u32 v0, vcc_lo, v22, v8
	v_add_co_ci_u32_e32 v1, vcc_lo, v23, v9, vcc_lo
	global_store_b32 v[0:1], v2, off
	s_nop 0
	s_sendmsg sendmsg(MSG_DEALLOC_VGPRS)
	s_endpgm
	.section	.rodata,"a",@progbits
	.p2align	6, 0x0
	.amdhsa_kernel _ZN12_GLOBAL__N_120geam_min_plus_kernelIf15HIP_vector_typeIfLj2EEfLi32ELi8ELi128ELi128ELi4ELi4ELi64ELi4ELi64ELc84ELc78ELb1ELb1ELb1EfKPKfKPfEEviiiT16_PT17_ilSA_ilS8_SA_ilPT18_ili26rocblas_geam_ex_operation_
		.amdhsa_group_segment_fixed_size 8192
		.amdhsa_private_segment_fixed_size 80
		.amdhsa_kernarg_size 128
		.amdhsa_user_sgpr_count 14
		.amdhsa_user_sgpr_dispatch_ptr 0
		.amdhsa_user_sgpr_queue_ptr 0
		.amdhsa_user_sgpr_kernarg_segment_ptr 1
		.amdhsa_user_sgpr_dispatch_id 0
		.amdhsa_user_sgpr_private_segment_size 0
		.amdhsa_wavefront_size32 1
		.amdhsa_uses_dynamic_stack 0
		.amdhsa_enable_private_segment 1
		.amdhsa_system_sgpr_workgroup_id_x 1
		.amdhsa_system_sgpr_workgroup_id_y 0
		.amdhsa_system_sgpr_workgroup_id_z 1
		.amdhsa_system_sgpr_workgroup_info 0
		.amdhsa_system_vgpr_workitem_id 1
		.amdhsa_next_free_vgpr 256
		.amdhsa_next_free_sgpr 25
		.amdhsa_reserve_vcc 1
		.amdhsa_float_round_mode_32 0
		.amdhsa_float_round_mode_16_64 0
		.amdhsa_float_denorm_mode_32 3
		.amdhsa_float_denorm_mode_16_64 3
		.amdhsa_dx10_clamp 1
		.amdhsa_ieee_mode 1
		.amdhsa_fp16_overflow 0
		.amdhsa_workgroup_processor_mode 1
		.amdhsa_memory_ordered 1
		.amdhsa_forward_progress 0
		.amdhsa_shared_vgpr_count 0
		.amdhsa_exception_fp_ieee_invalid_op 0
		.amdhsa_exception_fp_denorm_src 0
		.amdhsa_exception_fp_ieee_div_zero 0
		.amdhsa_exception_fp_ieee_overflow 0
		.amdhsa_exception_fp_ieee_underflow 0
		.amdhsa_exception_fp_ieee_inexact 0
		.amdhsa_exception_int_div_zero 0
	.end_amdhsa_kernel
	.section	.text._ZN12_GLOBAL__N_120geam_min_plus_kernelIf15HIP_vector_typeIfLj2EEfLi32ELi8ELi128ELi128ELi4ELi4ELi64ELi4ELi64ELc84ELc78ELb1ELb1ELb1EfKPKfKPfEEviiiT16_PT17_ilSA_ilS8_SA_ilPT18_ili26rocblas_geam_ex_operation_,"axG",@progbits,_ZN12_GLOBAL__N_120geam_min_plus_kernelIf15HIP_vector_typeIfLj2EEfLi32ELi8ELi128ELi128ELi4ELi4ELi64ELi4ELi64ELc84ELc78ELb1ELb1ELb1EfKPKfKPfEEviiiT16_PT17_ilSA_ilS8_SA_ilPT18_ili26rocblas_geam_ex_operation_,comdat
.Lfunc_end13:
	.size	_ZN12_GLOBAL__N_120geam_min_plus_kernelIf15HIP_vector_typeIfLj2EEfLi32ELi8ELi128ELi128ELi4ELi4ELi64ELi4ELi64ELc84ELc78ELb1ELb1ELb1EfKPKfKPfEEviiiT16_PT17_ilSA_ilS8_SA_ilPT18_ili26rocblas_geam_ex_operation_, .Lfunc_end13-_ZN12_GLOBAL__N_120geam_min_plus_kernelIf15HIP_vector_typeIfLj2EEfLi32ELi8ELi128ELi128ELi4ELi4ELi64ELi4ELi64ELc84ELc78ELb1ELb1ELb1EfKPKfKPfEEviiiT16_PT17_ilSA_ilS8_SA_ilPT18_ili26rocblas_geam_ex_operation_
                                        ; -- End function
	.section	.AMDGPU.csdata,"",@progbits
; Kernel info:
; codeLenInByte = 22012
; NumSgprs: 27
; NumVgprs: 256
; ScratchSize: 80
; MemoryBound: 0
; FloatMode: 240
; IeeeMode: 1
; LDSByteSize: 8192 bytes/workgroup (compile time only)
; SGPRBlocks: 3
; VGPRBlocks: 31
; NumSGPRsForWavesPerEU: 27
; NumVGPRsForWavesPerEU: 256
; Occupancy: 5
; WaveLimiterHint : 1
; COMPUTE_PGM_RSRC2:SCRATCH_EN: 1
; COMPUTE_PGM_RSRC2:USER_SGPR: 14
; COMPUTE_PGM_RSRC2:TRAP_HANDLER: 0
; COMPUTE_PGM_RSRC2:TGID_X_EN: 1
; COMPUTE_PGM_RSRC2:TGID_Y_EN: 0
; COMPUTE_PGM_RSRC2:TGID_Z_EN: 1
; COMPUTE_PGM_RSRC2:TIDIG_COMP_CNT: 1
	.section	.text._ZN12_GLOBAL__N_120geam_min_plus_kernelIf15HIP_vector_typeIfLj2EEfLi32ELi8ELi128ELi128ELi4ELi4ELi64ELi4ELi64ELc84ELc78ELb0ELb1ELb1EfKPKfKPfEEviiiT16_PT17_ilSA_ilS8_SA_ilPT18_ili26rocblas_geam_ex_operation_,"axG",@progbits,_ZN12_GLOBAL__N_120geam_min_plus_kernelIf15HIP_vector_typeIfLj2EEfLi32ELi8ELi128ELi128ELi4ELi4ELi64ELi4ELi64ELc84ELc78ELb0ELb1ELb1EfKPKfKPfEEviiiT16_PT17_ilSA_ilS8_SA_ilPT18_ili26rocblas_geam_ex_operation_,comdat
	.globl	_ZN12_GLOBAL__N_120geam_min_plus_kernelIf15HIP_vector_typeIfLj2EEfLi32ELi8ELi128ELi128ELi4ELi4ELi64ELi4ELi64ELc84ELc78ELb0ELb1ELb1EfKPKfKPfEEviiiT16_PT17_ilSA_ilS8_SA_ilPT18_ili26rocblas_geam_ex_operation_ ; -- Begin function _ZN12_GLOBAL__N_120geam_min_plus_kernelIf15HIP_vector_typeIfLj2EEfLi32ELi8ELi128ELi128ELi4ELi4ELi64ELi4ELi64ELc84ELc78ELb0ELb1ELb1EfKPKfKPfEEviiiT16_PT17_ilSA_ilS8_SA_ilPT18_ili26rocblas_geam_ex_operation_
	.p2align	8
	.type	_ZN12_GLOBAL__N_120geam_min_plus_kernelIf15HIP_vector_typeIfLj2EEfLi32ELi8ELi128ELi128ELi4ELi4ELi64ELi4ELi64ELc84ELc78ELb0ELb1ELb1EfKPKfKPfEEviiiT16_PT17_ilSA_ilS8_SA_ilPT18_ili26rocblas_geam_ex_operation_,@function
_ZN12_GLOBAL__N_120geam_min_plus_kernelIf15HIP_vector_typeIfLj2EEfLi32ELi8ELi128ELi128ELi4ELi4ELi64ELi4ELi64ELc84ELc78ELb0ELb1ELb1EfKPKfKPfEEviiiT16_PT17_ilSA_ilS8_SA_ilPT18_ili26rocblas_geam_ex_operation_: ; @_ZN12_GLOBAL__N_120geam_min_plus_kernelIf15HIP_vector_typeIfLj2EEfLi32ELi8ELi128ELi128ELi4ELi4ELi64ELi4ELi64ELc84ELc78ELb0ELb1ELb1EfKPKfKPfEEviiiT16_PT17_ilSA_ilS8_SA_ilPT18_ili26rocblas_geam_ex_operation_
; %bb.0:
	s_clause 0x1
	s_load_b128 s[8:11], s[0:1], 0x0
	s_load_b128 s[4:7], s[0:1], 0x20
	s_mov_b32 s2, s15
	s_mov_b32 s3, 0
	s_waitcnt lgkmcnt(0)
	v_cmp_eq_f32_e64 s12, s11, 0
	s_delay_alu instid0(VALU_DEP_1)
	s_and_b32 vcc_lo, exec_lo, s12
	s_cbranch_vccnz .LBB14_3
; %bb.1:
	s_load_b64 s[16:17], s[0:1], 0x10
	s_lshl_b64 s[18:19], s[2:3], 3
	s_waitcnt lgkmcnt(0)
	s_add_u32 s16, s16, s18
	s_addc_u32 s17, s17, s19
	s_lshl_b64 s[4:5], s[4:5], 2
	s_load_b64 s[16:17], s[16:17], 0x0
	s_waitcnt lgkmcnt(0)
	s_add_u32 s18, s16, s4
	s_addc_u32 s19, s17, s5
	s_and_not1_b32 vcc_lo, exec_lo, s12
	s_cbranch_vccnz .LBB14_4
.LBB14_2:
	s_mov_b64 s[20:21], 0
	s_and_not1_b32 vcc_lo, exec_lo, s3
	s_cbranch_vccz .LBB14_5
	s_branch .LBB14_6
.LBB14_3:
	s_mov_b64 s[18:19], 0
	s_and_not1_b32 vcc_lo, exec_lo, s12
	s_cbranch_vccz .LBB14_2
.LBB14_4:
	s_mov_b32 s3, -1
                                        ; implicit-def: $sgpr20_sgpr21
.LBB14_5:
	s_mov_b32 s3, 0
	s_load_b64 s[12:13], s[0:1], 0x38
	s_lshl_b64 s[4:5], s[2:3], 3
	s_delay_alu instid0(SALU_CYCLE_1) | instskip(SKIP_4) | instid1(SALU_CYCLE_1)
	s_add_u32 s4, s6, s4
	s_addc_u32 s5, s7, s5
	s_load_b64 s[4:5], s[4:5], 0x0
	s_waitcnt lgkmcnt(0)
	s_lshl_b64 s[6:7], s[12:13], 2
	s_add_u32 s20, s4, s6
	s_addc_u32 s21, s5, s7
.LBB14_6:
	s_clause 0x1
	s_load_b32 s15, s[0:1], 0x40
	s_load_b128 s[4:7], s[0:1], 0x58
	s_waitcnt lgkmcnt(0)
	v_cmp_eq_f32_e64 s12, s15, 0
	v_cmp_neq_f32_e64 s22, s15, 0
	s_delay_alu instid0(VALU_DEP_2)
	s_and_b32 vcc_lo, exec_lo, s12
	s_cbranch_vccnz .LBB14_8
; %bb.7:
	s_load_b64 s[12:13], s[0:1], 0x48
	s_lshl_b64 s[16:17], s[2:3], 3
	s_waitcnt lgkmcnt(0)
	s_add_u32 s12, s12, s16
	s_addc_u32 s13, s13, s17
	s_lshl_b64 s[4:5], s[4:5], 2
	s_load_b64 s[12:13], s[12:13], 0x0
	s_waitcnt lgkmcnt(0)
	s_add_u32 s12, s12, s4
	s_addc_u32 s13, s13, s5
	s_branch .LBB14_9
.LBB14_8:
	s_mov_b64 s[12:13], 0
.LBB14_9:
	s_lshl_b64 s[2:3], s[2:3], 3
	v_and_b32_e32 v16, 0x3ff, v0
	s_add_u32 s2, s6, s2
	s_addc_u32 s3, s7, s3
	s_add_i32 s4, s8, -1
	v_bfe_u32 v17, v0, 10, 10
	s_ashr_i32 s5, s4, 31
	v_and_b32_e32 v123, 3, v16
	s_lshr_b32 s5, s5, 25
	s_load_b32 s25, s[0:1], 0x18
	s_add_i32 s4, s4, s5
	v_cmp_eq_f32_e64 s24, s11, 0
	s_ashr_i32 s4, s4, 7
	s_delay_alu instid0(SALU_CYCLE_1) | instskip(SKIP_2) | instid1(VALU_DEP_1)
	s_add_i32 s5, s4, 1
	s_not_b32 s4, s4
	v_cvt_f32_u32_e32 v1, s5
	v_rcp_iflag_f32_e32 v1, v1
	s_waitcnt_depctr 0xfff
	v_mul_f32_e32 v1, 0x4f7ffffe, v1
	s_delay_alu instid0(VALU_DEP_1) | instskip(NEXT) | instid1(VALU_DEP_1)
	v_cvt_u32_f32_e32 v1, v1
	v_readfirstlane_b32 s6, v1
	v_lshl_add_u32 v1, v17, 5, v16
	s_delay_alu instid0(VALU_DEP_2) | instskip(NEXT) | instid1(VALU_DEP_1)
	s_mul_i32 s4, s4, s6
	v_lshrrev_b32_e32 v2, 2, v1
	s_mul_hi_u32 s4, s6, s4
	s_delay_alu instid0(SALU_CYCLE_1) | instskip(NEXT) | instid1(SALU_CYCLE_1)
	s_add_i32 s6, s6, s4
	s_mul_hi_u32 s4, s14, s6
	s_delay_alu instid0(SALU_CYCLE_1) | instskip(SKIP_2) | instid1(SALU_CYCLE_1)
	s_mul_i32 s6, s4, s5
	s_add_i32 s7, s4, 1
	s_sub_i32 s6, s14, s6
	s_sub_i32 s16, s6, s5
	s_cmp_ge_u32 s6, s5
	s_cselect_b32 s4, s7, s4
	s_cselect_b32 s6, s16, s6
	s_add_i32 s7, s4, 1
	s_cmp_ge_u32 s6, s5
	s_load_b64 s[16:17], s[2:3], 0x0
	s_cselect_b32 s4, s7, s4
	s_add_i32 s23, s10, -1
	s_mul_i32 s2, s4, s5
	v_min_i32_e32 v0, s23, v123
	s_sub_i32 s2, s14, s2
	v_cmp_le_i32_e64 s5, s10, v123
	s_lshl_b32 s14, s2, 7
	s_delay_alu instid0(VALU_DEP_2) | instskip(SKIP_1) | instid1(VALU_DEP_2)
	v_ashrrev_i32_e32 v1, 31, v0
	v_add_nc_u32_e32 v7, s14, v2
	v_lshlrev_b64 v[0:1], 2, v[0:1]
	s_delay_alu instid0(VALU_DEP_2) | instskip(NEXT) | instid1(VALU_DEP_2)
	v_cmp_le_i32_e32 vcc_lo, s8, v7
	v_add_co_u32 v5, s2, s18, v0
	s_delay_alu instid0(VALU_DEP_1) | instskip(SKIP_1) | instid1(SALU_CYCLE_1)
	v_add_co_ci_u32_e64 v6, s2, s19, v1, s2
	s_or_b32 s2, s5, vcc_lo
	v_cndmask_b32_e64 v3, 0, 0x7f7fffff, s2
	s_or_b32 s2, s24, s2
	s_delay_alu instid0(SALU_CYCLE_1) | instskip(NEXT) | instid1(SALU_CYCLE_1)
	s_xor_b32 s2, s2, -1
	s_and_saveexec_b32 s3, s2
	s_cbranch_execz .LBB14_11
; %bb.10:
	s_waitcnt lgkmcnt(0)
	v_mad_i64_i32 v[3:4], null, v7, s25, 0
	s_delay_alu instid0(VALU_DEP_1) | instskip(NEXT) | instid1(VALU_DEP_1)
	v_lshlrev_b64 v[3:4], 2, v[3:4]
	v_add_co_u32 v3, s2, v5, v3
	s_delay_alu instid0(VALU_DEP_1)
	v_add_co_ci_u32_e64 v4, s2, v6, v4, s2
	flat_load_b32 v3, v[3:4]
	s_waitcnt vmcnt(0) lgkmcnt(0)
	v_mul_f32_e32 v3, s11, v3
.LBB14_11:
	s_or_b32 exec_lo, exec_lo, s3
	v_add_nc_u32_e32 v4, 64, v7
	s_clause 0x1
	scratch_store_b32 off, v7, off offset:4
	scratch_store_b32 off, v4, off
	v_cmp_le_i32_e64 s2, s8, v4
	s_delay_alu instid0(VALU_DEP_1) | instskip(NEXT) | instid1(SALU_CYCLE_1)
	s_or_b32 s3, s5, s2
	v_cndmask_b32_e64 v4, 0, 0x7f7fffff, s3
	s_or_b32 s3, s24, s3
	s_delay_alu instid0(SALU_CYCLE_1) | instskip(NEXT) | instid1(SALU_CYCLE_1)
	s_xor_b32 s3, s3, -1
	s_and_saveexec_b32 s6, s3
	s_cbranch_execz .LBB14_13
; %bb.12:
	scratch_load_b32 v4, off, off           ; 4-byte Folded Reload
	s_waitcnt vmcnt(0) lgkmcnt(0)
	v_mad_i64_i32 v[7:8], null, v4, s25, 0
	s_delay_alu instid0(VALU_DEP_1) | instskip(NEXT) | instid1(VALU_DEP_1)
	v_lshlrev_b64 v[7:8], 2, v[7:8]
	v_add_co_u32 v4, s3, v5, v7
	s_delay_alu instid0(VALU_DEP_1)
	v_add_co_ci_u32_e64 v5, s3, v6, v8, s3
	flat_load_b32 v4, v[4:5]
	s_waitcnt vmcnt(0) lgkmcnt(0)
	v_mul_f32_e32 v4, s11, v4
.LBB14_13:
	s_or_b32 exec_lo, exec_lo, s6
	s_load_b32 s26, s[0:1], 0x30
	s_lshl_b32 s7, s4, 7
	v_add_co_u32 v0, s4, s20, v0
	v_add_nc_u32_e32 v64, s7, v2
	v_add_co_ci_u32_e64 v1, s4, s21, v1, s4
	s_delay_alu instid0(VALU_DEP_2) | instskip(NEXT) | instid1(VALU_DEP_1)
	v_cmp_le_i32_e64 s3, s9, v64
	s_or_b32 s4, s5, s3
	s_delay_alu instid0(SALU_CYCLE_1) | instskip(SKIP_1) | instid1(SALU_CYCLE_1)
	v_cndmask_b32_e64 v5, 0, 0x7f7fffff, s4
	s_or_b32 s4, s24, s4
	s_xor_b32 s4, s4, -1
	s_delay_alu instid0(SALU_CYCLE_1)
	s_and_saveexec_b32 s6, s4
	s_cbranch_execz .LBB14_15
; %bb.14:
	s_waitcnt lgkmcnt(0)
	v_mad_i64_i32 v[5:6], null, v64, s26, 0
	s_delay_alu instid0(VALU_DEP_1) | instskip(NEXT) | instid1(VALU_DEP_1)
	v_lshlrev_b64 v[5:6], 2, v[5:6]
	v_add_co_u32 v5, s4, v0, v5
	s_delay_alu instid0(VALU_DEP_1)
	v_add_co_ci_u32_e64 v6, s4, v1, v6, s4
	flat_load_b32 v5, v[5:6]
	s_waitcnt vmcnt(0) lgkmcnt(0)
	v_mul_f32_e32 v5, s11, v5
.LBB14_15:
	s_or_b32 exec_lo, exec_lo, s6
	v_add_nc_u32_e32 v6, 64, v64
	s_delay_alu instid0(VALU_DEP_1) | instskip(SKIP_2) | instid1(SALU_CYCLE_1)
	v_cmp_le_i32_e64 s4, s9, v6
	scratch_store_b32 off, v6, off offset:68 ; 4-byte Folded Spill
	s_or_b32 s5, s5, s4
	v_cndmask_b32_e64 v6, 0, 0x7f7fffff, s5
	s_or_b32 s5, s24, s5
	s_delay_alu instid0(SALU_CYCLE_1) | instskip(NEXT) | instid1(SALU_CYCLE_1)
	s_xor_b32 s5, s5, -1
	s_and_saveexec_b32 s6, s5
	s_cbranch_execz .LBB14_17
; %bb.16:
	v_add_nc_u32_e32 v8, 64, v64
	s_waitcnt lgkmcnt(0)
	s_delay_alu instid0(VALU_DEP_1) | instskip(NEXT) | instid1(VALU_DEP_1)
	v_mad_i64_i32 v[6:7], null, v8, s26, 0
	v_lshlrev_b64 v[6:7], 2, v[6:7]
	s_delay_alu instid0(VALU_DEP_1) | instskip(NEXT) | instid1(VALU_DEP_1)
	v_add_co_u32 v0, s5, v0, v6
	v_add_co_ci_u32_e64 v1, s5, v1, v7, s5
	flat_load_b32 v0, v[0:1]
	s_waitcnt vmcnt(0) lgkmcnt(0)
	v_mul_f32_e32 v6, s11, v0
.LBB14_17:
	s_or_b32 exec_lo, exec_lo, s6
	v_or_b32_e32 v7, 4, v123
	s_delay_alu instid0(VALU_DEP_1) | instskip(SKIP_1) | instid1(VALU_DEP_2)
	v_min_i32_e32 v0, s23, v7
	v_cmp_le_i32_e64 s5, s10, v7
	v_ashrrev_i32_e32 v1, 31, v0
	s_delay_alu instid0(VALU_DEP_1) | instskip(NEXT) | instid1(VALU_DEP_1)
	v_lshlrev_b64 v[0:1], 2, v[0:1]
	v_add_co_u32 v7, s6, s18, v0
	s_delay_alu instid0(VALU_DEP_1) | instskip(SKIP_1) | instid1(SALU_CYCLE_1)
	v_add_co_ci_u32_e64 v8, s6, s19, v1, s6
	s_or_b32 s6, s5, vcc_lo
	v_cndmask_b32_e64 v20, 0, 0x7f7fffff, s6
	s_or_b32 s6, s24, s6
	s_delay_alu instid0(SALU_CYCLE_1) | instskip(NEXT) | instid1(SALU_CYCLE_1)
	s_xor_b32 s6, s6, -1
	s_and_saveexec_b32 s27, s6
	s_cbranch_execz .LBB14_19
; %bb.18:
	scratch_load_b32 v11, off, off offset:4 ; 4-byte Folded Reload
	s_waitcnt vmcnt(0) lgkmcnt(0)
	v_mad_i64_i32 v[9:10], null, v11, s25, 0
	s_delay_alu instid0(VALU_DEP_1) | instskip(NEXT) | instid1(VALU_DEP_1)
	v_lshlrev_b64 v[9:10], 2, v[9:10]
	v_add_co_u32 v9, s6, v7, v9
	s_delay_alu instid0(VALU_DEP_1)
	v_add_co_ci_u32_e64 v10, s6, v8, v10, s6
	flat_load_b32 v9, v[9:10]
	s_waitcnt vmcnt(0) lgkmcnt(0)
	v_mul_f32_e32 v20, s11, v9
.LBB14_19:
	s_or_b32 exec_lo, exec_lo, s27
	s_or_b32 s6, s5, s2
	s_delay_alu instid0(SALU_CYCLE_1) | instskip(SKIP_1) | instid1(SALU_CYCLE_1)
	v_cndmask_b32_e64 v21, 0, 0x7f7fffff, s6
	s_or_b32 s6, s24, s6
	s_xor_b32 s6, s6, -1
	s_delay_alu instid0(SALU_CYCLE_1)
	s_and_saveexec_b32 s27, s6
	s_cbranch_execz .LBB14_21
; %bb.20:
	scratch_load_b32 v11, off, off          ; 4-byte Folded Reload
	s_waitcnt vmcnt(0) lgkmcnt(0)
	v_mad_i64_i32 v[9:10], null, v11, s25, 0
	s_delay_alu instid0(VALU_DEP_1) | instskip(NEXT) | instid1(VALU_DEP_1)
	v_lshlrev_b64 v[9:10], 2, v[9:10]
	v_add_co_u32 v7, s6, v7, v9
	s_delay_alu instid0(VALU_DEP_1)
	v_add_co_ci_u32_e64 v8, s6, v8, v10, s6
	flat_load_b32 v7, v[7:8]
	s_waitcnt vmcnt(0) lgkmcnt(0)
	v_mul_f32_e32 v21, s11, v7
.LBB14_21:
	s_or_b32 exec_lo, exec_lo, s27
	v_add_co_u32 v0, s6, s20, v0
	s_delay_alu instid0(VALU_DEP_1) | instskip(SKIP_1) | instid1(SALU_CYCLE_1)
	v_add_co_ci_u32_e64 v1, s6, s21, v1, s6
	s_or_b32 s6, s5, s3
	v_cndmask_b32_e64 v22, 0, 0x7f7fffff, s6
	s_or_b32 s6, s24, s6
	s_delay_alu instid0(SALU_CYCLE_1) | instskip(NEXT) | instid1(SALU_CYCLE_1)
	s_xor_b32 s6, s6, -1
	s_and_saveexec_b32 s27, s6
	s_cbranch_execz .LBB14_23
; %bb.22:
	s_waitcnt lgkmcnt(0)
	v_mad_i64_i32 v[7:8], null, v64, s26, 0
	s_delay_alu instid0(VALU_DEP_1) | instskip(NEXT) | instid1(VALU_DEP_1)
	v_lshlrev_b64 v[7:8], 2, v[7:8]
	v_add_co_u32 v7, s6, v0, v7
	s_delay_alu instid0(VALU_DEP_1)
	v_add_co_ci_u32_e64 v8, s6, v1, v8, s6
	flat_load_b32 v7, v[7:8]
	s_waitcnt vmcnt(0) lgkmcnt(0)
	v_mul_f32_e32 v22, s11, v7
.LBB14_23:
	s_or_b32 exec_lo, exec_lo, s27
	s_or_b32 s5, s5, s4
	s_delay_alu instid0(SALU_CYCLE_1) | instskip(SKIP_1) | instid1(SALU_CYCLE_1)
	v_cndmask_b32_e64 v23, 0, 0x7f7fffff, s5
	s_or_b32 s5, s24, s5
	s_xor_b32 s5, s5, -1
	s_delay_alu instid0(SALU_CYCLE_1)
	s_and_saveexec_b32 s6, s5
	s_cbranch_execz .LBB14_25
; %bb.24:
	v_add_nc_u32_e32 v9, 64, v64
	s_waitcnt lgkmcnt(0)
	s_delay_alu instid0(VALU_DEP_1) | instskip(NEXT) | instid1(VALU_DEP_1)
	v_mad_i64_i32 v[7:8], null, v9, s26, 0
	v_lshlrev_b64 v[7:8], 2, v[7:8]
	s_delay_alu instid0(VALU_DEP_1) | instskip(NEXT) | instid1(VALU_DEP_1)
	v_add_co_u32 v0, s5, v0, v7
	v_add_co_ci_u32_e64 v1, s5, v1, v8, s5
	flat_load_b32 v0, v[0:1]
	s_waitcnt vmcnt(0) lgkmcnt(0)
	v_mul_f32_e32 v23, s11, v0
.LBB14_25:
	s_or_b32 exec_lo, exec_lo, s6
	v_lshlrev_b32_e32 v0, 2, v123
	v_lshlrev_b32_e32 v125, 4, v17
	;; [unrolled: 1-line block ×3, first 2 shown]
	s_cmp_lt_i32 s10, 9
	s_delay_alu instid0(VALU_DEP_3)
	v_lshl_or_b32 v132, v2, 4, v0
	ds_store_2addr_stride64_b32 v132, v3, v4 offset1:4
	ds_store_2addr_stride64_b32 v132, v5, v6 offset0:16 offset1:20
	s_waitcnt lgkmcnt(0)
	s_waitcnt_vscnt null, 0x0
	s_barrier
	buffer_gl0_inv
	ds_load_b128 v[34:37], v125 offset:4096
	ds_load_b128 v[4:7], v126
	ds_load_b128 v[12:15], v126 offset:512
	ds_load_b128 v[8:11], v126 offset:1024
	ds_load_b128 v[0:3], v126 offset:1536
	ds_load_b128 v[53:56], v125 offset:4224
	s_waitcnt lgkmcnt(3)
	v_dual_add_f32 v18, v5, v35 :: v_dual_add_f32 v163, v14, v36
	v_add_f32_e32 v165, v7, v37
	s_waitcnt lgkmcnt(0)
	v_dual_add_f32 v164, v15, v37 :: v_dual_add_f32 v143, v2, v55
	scratch_store_b32 off, v18, off offset:8 ; 4-byte Folded Spill
	v_dual_add_f32 v18, v4, v34 :: v_dual_add_f32 v161, v2, v36
	v_add_f32_e32 v159, v4, v53
	v_add_f32_e32 v149, v15, v56
	;; [unrolled: 1-line block ×3, first 2 shown]
	scratch_store_b32 off, v18, off offset:24 ; 4-byte Folded Spill
	v_dual_add_f32 v18, v13, v35 :: v_dual_add_f32 v147, v11, v56
	v_add_f32_e32 v153, v8, v53
	v_add_f32_e32 v145, v3, v56
	scratch_store_b32 off, v18, off offset:12 ; 4-byte Folded Spill
	v_add_f32_e32 v18, v12, v34
	scratch_store_b32 off, v18, off offset:28 ; 4-byte Folded Spill
	;; [unrolled: 2-line block ×13, first 2 shown]
	ds_load_b128 v[66:69], v125 offset:4352
	ds_load_b128 v[79:82], v125 offset:4480
	v_add_f32_e32 v162, v6, v36
	v_add_f32_e32 v160, v10, v36
	;; [unrolled: 1-line block ×4, first 2 shown]
	s_waitcnt lgkmcnt(1)
	v_add_f32_e32 v139, v5, v67
	s_waitcnt lgkmcnt(0)
	v_dual_add_f32 v71, v1, v80 :: v_dual_add_f32 v136, v4, v66
	v_dual_add_f32 v89, v6, v81 :: v_dual_add_f32 v140, v13, v67
	v_add_f32_e32 v91, v14, v81
	v_add_f32_e32 v137, v12, v66
	v_dual_add_f32 v141, v9, v67 :: v_dual_add_f32 v138, v8, v66
	v_dual_add_f32 v93, v10, v81 :: v_dual_add_f32 v142, v1, v67
	v_dual_add_f32 v95, v2, v81 :: v_dual_add_f32 v56, v0, v66
	v_dual_add_f32 v53, v7, v69 :: v_dual_add_f32 v72, v6, v68
	v_add_f32_e32 v65, v15, v69
	v_dual_add_f32 v73, v14, v68 :: v_dual_add_f32 v66, v11, v69
	v_dual_add_f32 v74, v10, v68 :: v_dual_add_f32 v67, v3, v69
	v_add_f32_e32 v75, v2, v68
	v_add_f32_e32 v68, v5, v80
	;; [unrolled: 1-line block ×8, first 2 shown]
	ds_load_b128 v[81:84], v125 offset:4608
	ds_load_b128 v[85:88], v125 offset:4736
	v_add_f32_e32 v146, v14, v55
	v_add_f32_e32 v144, v10, v55
	;; [unrolled: 1-line block ×3, first 2 shown]
	v_dual_add_f32 v78, v8, v79 :: v_dual_mov_b32 v55, v17
	v_add_f32_e32 v77, v12, v79
	s_waitcnt lgkmcnt(1)
	v_dual_add_f32 v79, v0, v79 :: v_dual_add_f32 v96, v5, v82
	s_waitcnt lgkmcnt(0)
	v_add_f32_e32 v121, v0, v85
	v_dual_add_f32 v97, v4, v81 :: v_dual_add_f32 v98, v13, v82
	v_add_f32_e32 v131, v3, v88
	v_dual_add_f32 v99, v12, v81 :: v_dual_add_f32 v100, v9, v82
	;; [unrolled: 2-line block ×3, first 2 shown]
	v_dual_add_f32 v103, v0, v81 :: v_dual_add_f32 v104, v7, v84
	v_dual_add_f32 v105, v6, v83 :: v_dual_add_f32 v106, v15, v84
	;; [unrolled: 1-line block ×8, first 2 shown]
	v_add_f32_e32 v122, v7, v88
	v_dual_add_f32 v124, v6, v87 :: v_dual_add_f32 v127, v15, v88
	v_dual_add_f32 v128, v14, v87 :: v_dual_add_f32 v129, v11, v88
	v_add_f32_e32 v130, v10, v87
	ds_load_b128 v[81:84], v125 offset:4864
	ds_load_b128 v[85:88], v125 offset:4992
	s_waitcnt lgkmcnt(0)
	v_dual_add_f32 v134, v5, v82 :: v_dual_add_f32 v183, v6, v87
	v_dual_add_f32 v135, v4, v81 :: v_dual_add_f32 v152, v13, v82
	;; [unrolled: 1-line block ×3, first 2 shown]
	v_add_f32_e32 v187, v10, v87
	v_dual_add_f32 v155, v9, v82 :: v_dual_add_f32 v156, v8, v81
	v_add_f32_e32 v189, v2, v87
	v_dual_add_f32 v157, v1, v82 :: v_dual_add_f32 v158, v0, v81
	v_dual_add_f32 v166, v7, v84 :: v_dual_add_f32 v167, v6, v83
	;; [unrolled: 1-line block ×9, first 2 shown]
	v_add_f32_e32 v182, v7, v88
	v_add_f32_e32 v184, v15, v88
	;; [unrolled: 1-line block ×4, first 2 shown]
	ds_load_b128 v[81:84], v125 offset:5120
	ds_load_b128 v[85:88], v125 offset:5248
	s_waitcnt lgkmcnt(0)
	v_dual_add_f32 v190, v5, v82 :: v_dual_add_f32 v219, v10, v87
	v_dual_add_f32 v191, v4, v81 :: v_dual_add_f32 v192, v13, v82
	v_add_f32_e32 v221, v2, v87
	v_dual_add_f32 v193, v12, v81 :: v_dual_add_f32 v194, v9, v82
	v_dual_add_f32 v195, v8, v81 :: v_dual_add_f32 v196, v1, v82
	;; [unrolled: 1-line block ×13, first 2 shown]
	v_add_f32_e32 v220, v3, v88
	ds_load_b128 v[81:84], v125 offset:5376
	ds_load_b128 v[85:88], v125 offset:5504
	v_mov_b32_e32 v54, v16
	s_waitcnt lgkmcnt(0)
	v_dual_add_f32 v222, v5, v82 :: v_dual_add_f32 v253, v2, v87
	v_dual_add_f32 v223, v4, v81 :: v_dual_add_f32 v224, v13, v82
	;; [unrolled: 1-line block ×16, first 2 shown]
	ds_load_b128 v[81:84], v125 offset:5632
	ds_load_b128 v[85:88], v125 offset:5760
	s_waitcnt lgkmcnt(0)
	v_dual_add_f32 v254, v5, v82 :: v_dual_add_f32 v45, v11, v88
	v_add_f32_e32 v255, v4, v81
	v_dual_add_f32 v117, v13, v82 :: v_dual_add_f32 v116, v12, v81
	v_add_f32_e32 v47, v3, v88
	v_add_f32_e32 v17, v9, v82
	v_dual_add_f32 v19, v8, v81 :: v_dual_add_f32 v24, v1, v82
	v_dual_add_f32 v25, v0, v81 :: v_dual_add_f32 v26, v7, v84
	;; [unrolled: 1-line block ×11, first 2 shown]
	v_add_f32_e32 v44, v14, v87
	v_add_f32_e32 v46, v10, v87
	;; [unrolled: 1-line block ×3, first 2 shown]
	ds_load_b128 v[81:84], v125 offset:5888
	ds_load_b128 v[85:88], v125 offset:6016
	v_min3_f32 v17, v19, v17, 0x7f7fffff
	s_waitcnt lgkmcnt(1)
	v_dual_add_f32 v49, v5, v82 :: v_dual_add_f32 v50, v4, v81
	v_dual_add_f32 v51, v13, v82 :: v_dual_add_f32 v52, v12, v81
	;; [unrolled: 1-line block ×4, first 2 shown]
	s_waitcnt lgkmcnt(0)
	v_dual_add_f32 v5, v5, v86 :: v_dual_add_f32 v4, v4, v85
	v_dual_add_f32 v13, v13, v86 :: v_dual_add_f32 v12, v12, v85
	;; [unrolled: 1-line block ×4, first 2 shown]
	s_clause 0x1
	scratch_load_b32 v85, off, off offset:8
	scratch_load_b32 v86, off, off offset:24
	v_add_f32_e32 v60, v6, v83
	v_add_f32_e32 v62, v14, v83
	;; [unrolled: 1-line block ×11, first 2 shown]
	v_dual_add_f32 v3, v3, v88 :: v_dual_add_f32 v6, v6, v87
	v_min3_f32 v4, v4, v5, 0x7f7fffff
	v_add_f32_e32 v14, v14, v87
	v_add_f32_e32 v10, v10, v87
	;; [unrolled: 1-line block ×3, first 2 shown]
	v_min3_f32 v0, v0, v1, 0x7f7fffff
	s_waitcnt vmcnt(0)
	v_min3_f32 v85, v86, v85, 0x7f7fffff
	s_delay_alu instid0(VALU_DEP_1)
	v_min3_f32 v165, v162, v165, v85
	s_clause 0x1
	scratch_load_b32 v85, off, off offset:12
	scratch_load_b32 v86, off, off offset:28
	s_waitcnt vmcnt(0)
	v_min3_f32 v85, v86, v85, 0x7f7fffff
	s_delay_alu instid0(VALU_DEP_1)
	v_min3_f32 v164, v163, v164, v85
	s_clause 0x1
	scratch_load_b32 v85, off, off offset:16
	scratch_load_b32 v86, off, off offset:32
	s_waitcnt vmcnt(0)
	v_min3_f32 v85, v86, v85, 0x7f7fffff
	scratch_load_b32 v86, off, off offset:40 ; 4-byte Folded Reload
	s_waitcnt vmcnt(0)
	v_min3_f32 v163, v160, v86, v85
	s_clause 0x1
	scratch_load_b32 v85, off, off offset:20
	scratch_load_b32 v86, off, off offset:36
	s_waitcnt vmcnt(0)
	v_min3_f32 v85, v86, v85, 0x7f7fffff
	scratch_load_b32 v86, off, off offset:44 ; 4-byte Folded Reload
	s_waitcnt vmcnt(0)
	v_min3_f32 v162, v161, v86, v85
	scratch_load_b32 v85, off, off offset:48 ; 4-byte Folded Reload
	s_waitcnt vmcnt(0)
	v_min3_f32 v85, v159, v85, 0x7f7fffff
	s_delay_alu instid0(VALU_DEP_1) | instskip(SKIP_3) | instid1(VALU_DEP_1)
	v_min3_f32 v161, v148, v150, v85
	scratch_load_b32 v85, off, off offset:52 ; 4-byte Folded Reload
	s_waitcnt vmcnt(0)
	v_min3_f32 v85, v151, v85, 0x7f7fffff
	v_min3_f32 v160, v146, v149, v85
	scratch_load_b32 v85, off, off offset:56 ; 4-byte Folded Reload
	s_waitcnt vmcnt(0)
	v_min3_f32 v85, v153, v85, 0x7f7fffff
	s_delay_alu instid0(VALU_DEP_1)
	v_min3_f32 v159, v144, v147, v85
	s_clause 0x1
	scratch_load_b32 v85, off, off offset:60
	scratch_load_b32 v86, off, off offset:64
	ds_store_2addr_stride64_b32 v132, v20, v21 offset0:8 offset1:12
	ds_store_2addr_stride64_b32 v132, v22, v23 offset0:24 offset1:28
	s_waitcnt vmcnt(0) lgkmcnt(0)
	s_waitcnt_vscnt null, 0x0
	s_barrier
	buffer_gl0_inv
	v_min3_f32 v85, v86, v85, 0x7f7fffff
	s_delay_alu instid0(VALU_DEP_1) | instskip(SKIP_1) | instid1(VALU_DEP_1)
	v_min3_f32 v153, v143, v145, v85
	v_min3_f32 v85, v136, v139, 0x7f7fffff
	v_min3_f32 v151, v72, v53, v85
	v_min3_f32 v53, v137, v140, 0x7f7fffff
	s_delay_alu instid0(VALU_DEP_1) | instskip(SKIP_1) | instid1(VALU_DEP_1)
	v_min3_f32 v150, v73, v65, v53
	v_min3_f32 v53, v138, v141, 0x7f7fffff
	v_min3_f32 v149, v74, v66, v53
	;; [unrolled: 5-line block ×3, first 2 shown]
	v_min3_f32 v53, v77, v69, 0x7f7fffff
	s_delay_alu instid0(VALU_DEP_1) | instskip(SKIP_2) | instid1(VALU_DEP_2)
	v_min3_f32 v146, v91, v90, v53
	v_min3_f32 v53, v78, v70, 0x7f7fffff
	;; [unrolled: 1-line block ×7, first 2 shown]
	s_delay_alu instid0(VALU_DEP_3) | instskip(SKIP_1) | instid1(VALU_DEP_3)
	v_min3_f32 v144, v95, v94, v53
	v_min3_f32 v53, v97, v96, 0x7f7fffff
	;; [unrolled: 1-line block ×4, first 2 shown]
	s_delay_alu instid0(VALU_DEP_3) | instskip(SKIP_1) | instid1(VALU_DEP_3)
	v_min3_f32 v143, v105, v104, v53
	v_min3_f32 v53, v99, v98, 0x7f7fffff
	;; [unrolled: 1-line block ×3, first 2 shown]
	s_delay_alu instid0(VALU_DEP_2) | instskip(SKIP_1) | instid1(VALU_DEP_1)
	v_min3_f32 v142, v107, v106, v53
	v_min3_f32 v53, v101, v100, 0x7f7fffff
	v_min3_f32 v141, v109, v108, v53
	v_min3_f32 v53, v103, v102, 0x7f7fffff
	v_min3_f32 v103, v31, v30, v17
	v_min3_f32 v17, v25, v24, 0x7f7fffff
	s_delay_alu instid0(VALU_DEP_3) | instskip(SKIP_1) | instid1(VALU_DEP_3)
	v_min3_f32 v140, v111, v110, v53
	v_min3_f32 v53, v113, v112, 0x7f7fffff
	v_min3_f32 v102, v33, v32, v17
	v_min3_f32 v17, v35, v34, 0x7f7fffff
	s_delay_alu instid0(VALU_DEP_3) | instskip(SKIP_1) | instid1(VALU_DEP_3)
	v_min3_f32 v139, v124, v122, v53
	v_min3_f32 v53, v115, v114, 0x7f7fffff
	v_min3_f32 v101, v43, v42, v17
	v_min3_f32 v17, v37, v36, 0x7f7fffff
	;; [unrolled: 5-line block ×8, first 2 shown]
	s_delay_alu instid0(VALU_DEP_3) | instskip(SKIP_1) | instid1(VALU_DEP_3)
	v_min3_f32 v131, v173, v172, v53
	v_min3_f32 v53, v175, v174, 0x7f7fffff
	;; [unrolled: 1-line block ×3, first 2 shown]
	s_delay_alu instid0(VALU_DEP_2) | instskip(SKIP_1) | instid1(VALU_DEP_1)
	v_min3_f32 v130, v183, v182, v53
	v_min3_f32 v53, v177, v176, 0x7f7fffff
	v_min3_f32 v129, v185, v184, v53
	v_min3_f32 v53, v179, v178, 0x7f7fffff
	s_delay_alu instid0(VALU_DEP_1) | instskip(SKIP_1) | instid1(VALU_DEP_1)
	v_min3_f32 v128, v187, v186, v53
	v_min3_f32 v53, v181, v180, 0x7f7fffff
	v_min3_f32 v127, v189, v188, v53
	v_min3_f32 v53, v191, v190, 0x7f7fffff
	s_delay_alu instid0(VALU_DEP_1) | instskip(SKIP_1) | instid1(VALU_DEP_1)
	;; [unrolled: 5-line block ×10, first 2 shown]
	v_min3_f32 v105, v27, v26, v53
	v_min3_f32 v26, v116, v117, 0x7f7fffff
	;; [unrolled: 1-line block ×3, first 2 shown]
	s_cbranch_scc1 .LBB14_44
; %bb.26:
	s_clause 0x2
	scratch_load_b32 v2, off, off offset:4
	scratch_load_b32 v8, off, off offset:68
	scratch_load_b32 v4, off, off
	v_dual_mov_b32 v213, v55 :: v_dual_add_nc_u32 v152, 0x1000, v132
	v_add_nc_u32_e32 v154, 0x1000, v125
	v_dual_mov_b32 v212, v54 :: v_dual_add_nc_u32 v155, 0x800, v132
	v_add_nc_u32_e32 v156, 0x1800, v132
	v_lshl_add_u32 v157, v54, 4, 0x800
	v_lshl_add_u32 v158, v55, 4, 0x1800
	s_waitcnt vmcnt(2)
	v_mad_i64_i32 v[0:1], null, v2, s25, 0
	s_waitcnt vmcnt(0)
	v_mad_i64_i32 v[2:3], null, v4, s25, 0
	v_mad_i64_i32 v[4:5], null, v64, s26, 0
	;; [unrolled: 1-line block ×3, first 2 shown]
	s_delay_alu instid0(VALU_DEP_4) | instskip(SKIP_1) | instid1(VALU_DEP_4)
	v_lshlrev_b64 v[80:81], 2, v[0:1]
	s_add_i32 s25, s10, -8
	v_lshlrev_b64 v[82:83], 2, v[2:3]
	s_mov_b32 s26, 0
	s_delay_alu instid0(VALU_DEP_4) | instskip(NEXT) | instid1(VALU_DEP_4)
	v_lshlrev_b64 v[84:85], 2, v[4:5]
	v_lshlrev_b64 v[86:87], 2, v[6:7]
	s_branch .LBB14_28
.LBB14_27:                              ;   in Loop: Header=BB14_28 Depth=1
	s_or_b32 exec_lo, exec_lo, s6
	ds_load_b128 v[72:75], v154
	ds_load_b128 v[76:79], v126
	ds_load_b128 v[89:92], v126 offset:512
	ds_load_b128 v[168:171], v126 offset:1024
	;; [unrolled: 1-line block ×18, first 2 shown]
	s_add_i32 s26, s26, 8
	ds_store_2addr_stride64_b32 v155, v166, v167 offset1:4
	ds_store_2addr_stride64_b32 v156, v88, v0 offset1:4
	s_waitcnt lgkmcnt(20)
	v_dual_add_f32 v11, v77, v73 :: v_dual_add_f32 v14, v76, v72
	s_waitcnt lgkmcnt(19)
	v_dual_add_f32 v15, v90, v73 :: v_dual_add_f32 v18, v89, v72
	;; [unrolled: 2-line block ×3, first 2 shown]
	v_min3_f32 v11, v14, v11, v25
	s_waitcnt lgkmcnt(16)
	v_add_f32_e32 v23, v76, v93
	v_min3_f32 v14, v18, v15, v28
	v_add_f32_e32 v18, v173, v73
	v_min3_f32 v15, v22, v19, v29
	v_dual_add_f32 v19, v172, v72 :: v_dual_add_f32 v22, v77, v94
	v_dual_add_f32 v25, v90, v94 :: v_dual_add_f32 v28, v89, v93
	;; [unrolled: 1-line block ×3, first 2 shown]
	v_add_f32_e32 v73, v173, v94
	v_add_f32_e32 v93, v172, v93
	v_min3_f32 v1, v19, v18, v1
	v_min3_f32 v18, v23, v22, v32
	;; [unrolled: 1-line block ×4, first 2 shown]
	s_waitcnt lgkmcnt(15)
	v_dual_add_f32 v25, v77, v98 :: v_dual_add_f32 v36, v168, v97
	v_add_f32_e32 v28, v76, v97
	v_min3_f32 v23, v93, v73, v37
	v_dual_add_f32 v29, v90, v98 :: v_dual_add_f32 v32, v89, v97
	v_dual_add_f32 v33, v169, v98 :: v_dual_add_f32 v72, v172, v97
	v_add_f32_e32 v37, v173, v98
	s_waitcnt lgkmcnt(14)
	v_add_f32_e32 v73, v77, v102
	v_add_f32_e32 v93, v76, v101
	v_min3_f32 v4, v28, v25, v4
	v_min3_f32 v25, v32, v29, v40
	;; [unrolled: 1-line block ×3, first 2 shown]
	v_dual_add_f32 v33, v90, v102 :: v_dual_add_f32 v36, v89, v101
	v_add_f32_e32 v40, v168, v101
	v_min3_f32 v29, v72, v37, v44
	s_waitcnt lgkmcnt(13)
	v_dual_add_f32 v37, v169, v102 :: v_dual_add_f32 v72, v76, v105
	v_dual_add_f32 v41, v173, v102 :: v_dual_add_f32 v44, v172, v101
	v_min3_f32 v32, v93, v73, v45
	v_add_f32_e32 v45, v77, v106
	v_add_f32_e32 v73, v90, v106
	;; [unrolled: 1-line block ×3, first 2 shown]
	v_min3_f32 v5, v36, v33, v5
	v_min3_f32 v33, v40, v37, v48
	;; [unrolled: 1-line block ×3, first 2 shown]
	v_dual_add_f32 v41, v169, v106 :: v_dual_add_f32 v44, v168, v105
	v_add_f32_e32 v48, v172, v105
	v_min3_f32 v37, v72, v45, v52
	v_add_f32_e32 v45, v173, v106
	s_waitcnt lgkmcnt(12)
	v_dual_add_f32 v49, v77, v110 :: v_dual_add_f32 v52, v76, v109
	v_add_f32_e32 v72, v89, v109
	v_min3_f32 v8, v44, v41, v8
	v_min3_f32 v41, v48, v45, v56
	s_waitcnt lgkmcnt(11)
	v_add_f32_e32 v56, v76, v118
	v_min3_f32 v40, v93, v73, v53
	v_add_f32_e32 v53, v90, v110
	v_min3_f32 v44, v52, v49, v57
	v_dual_add_f32 v49, v173, v110 :: v_dual_add_f32 v52, v172, v109
	v_add_f32_e32 v57, v90, v119
	s_delay_alu instid0(VALU_DEP_4)
	v_min3_f32 v45, v72, v53, v58
	v_add_f32_e32 v58, v89, v118
	v_add_f32_e32 v73, v169, v110
	;; [unrolled: 1-line block ×3, first 2 shown]
	v_min3_f32 v9, v52, v49, v9
	v_dual_add_f32 v53, v77, v119 :: v_dual_add_f32 v72, v168, v118
	v_min3_f32 v52, v58, v57, v55
	s_waitcnt lgkmcnt(10)
	v_dual_add_f32 v57, v90, v177 :: v_dual_add_f32 v58, v89, v176
	s_delay_alu instid0(VALU_DEP_3) | instskip(SKIP_2) | instid1(VALU_DEP_3)
	v_min3_f32 v49, v56, v53, v54
	v_dual_add_f32 v55, v77, v177 :: v_dual_add_f32 v56, v76, v176
	s_cmp_ge_i32 s26, s25
	v_min3_f32 v50, v58, v57, v50
	s_waitcnt lgkmcnt(9)
	v_add_f32_e32 v58, v89, v180
	v_min3_f32 v48, v93, v73, v59
	v_add_f32_e32 v59, v169, v119
	v_add_f32_e32 v73, v173, v119
	;; [unrolled: 1-line block ×3, first 2 shown]
	v_min3_f32 v12, v56, v55, v12
	v_add_f32_e32 v57, v90, v181
	v_min3_f32 v53, v72, v59, v60
	v_dual_add_f32 v59, v169, v177 :: v_dual_add_f32 v60, v168, v176
	v_add_f32_e32 v72, v172, v176
	s_delay_alu instid0(VALU_DEP_4)
	v_min3_f32 v13, v58, v57, v13
	s_waitcnt lgkmcnt(0)
	s_barrier
	v_min3_f32 v51, v60, v59, v51
	v_dual_add_f32 v59, v169, v181 :: v_dual_add_f32 v60, v168, v180
	buffer_gl0_inv
	v_min3_f32 v46, v60, v59, v46
	v_add_f32_e32 v60, v168, v184
	v_min3_f32 v54, v93, v73, v61
	v_add_f32_e32 v61, v173, v177
	v_add_f32_e32 v73, v77, v181
	;; [unrolled: 1-line block ×4, first 2 shown]
	s_delay_alu instid0(VALU_DEP_4) | instskip(SKIP_1) | instid1(VALU_DEP_4)
	v_min3_f32 v55, v72, v61, v62
	v_add_f32_e32 v72, v76, v184
	v_min3_f32 v56, v93, v73, v63
	v_add_f32_e32 v63, v77, v185
	v_add_f32_e32 v73, v90, v185
	;; [unrolled: 1-line block ×3, first 2 shown]
	v_min3_f32 v16, v60, v59, v16
	v_add_f32_e32 v59, v173, v189
	v_min3_f32 v57, v72, v63, v64
	v_dual_add_f32 v63, v77, v189 :: v_dual_add_f32 v64, v76, v188
	v_add_f32_e32 v72, v89, v188
	v_dual_add_f32 v60, v172, v188 :: v_dual_add_f32 v61, v173, v181
	v_add_f32_e32 v62, v172, v180
	s_delay_alu instid0(VALU_DEP_4) | instskip(SKIP_1) | instid1(VALU_DEP_4)
	v_min3_f32 v39, v64, v63, v39
	v_dual_add_f32 v63, v90, v193 :: v_dual_add_f32 v64, v89, v192
	v_min3_f32 v17, v60, v59, v17
	s_delay_alu instid0(VALU_DEP_2)
	v_min3_f32 v35, v64, v63, v35
	v_dual_add_f32 v63, v90, v197 :: v_dual_add_f32 v64, v89, v196
	v_min3_f32 v58, v93, v73, v65
	v_add_f32_e32 v65, v90, v189
	v_add_f32_e32 v73, v169, v189
	;; [unrolled: 1-line block ×3, first 2 shown]
	v_min3_f32 v30, v64, v63, v30
	v_add_f32_e32 v64, v89, v200
	v_min3_f32 v42, v72, v65, v42
	v_dual_add_f32 v65, v169, v193 :: v_dual_add_f32 v72, v168, v192
	v_add_f32_e32 v63, v90, v201
	s_delay_alu instid0(VALU_DEP_2) | instskip(SKIP_4) | instid1(VALU_DEP_4)
	v_min3_f32 v59, v72, v65, v66
	v_dual_add_f32 v65, v169, v197 :: v_dual_add_f32 v66, v168, v196
	v_min3_f32 v47, v62, v61, v47
	v_dual_add_f32 v61, v173, v185 :: v_dual_add_f32 v62, v172, v184
	v_add_f32_e32 v72, v172, v196
	v_min3_f32 v31, v66, v65, v31
	v_dual_add_f32 v65, v169, v201 :: v_dual_add_f32 v66, v168, v200
	s_delay_alu instid0(VALU_DEP_4) | instskip(SKIP_2) | instid1(VALU_DEP_4)
	v_min3_f32 v38, v62, v61, v38
	v_dual_add_f32 v61, v77, v193 :: v_dual_add_f32 v62, v76, v192
	v_min3_f32 v21, v64, v63, v21
	v_min3_f32 v26, v66, v65, v26
	v_dual_add_f32 v65, v169, v205 :: v_dual_add_f32 v66, v168, v204
	v_min3_f32 v43, v93, v73, v43
	v_add_f32_e32 v73, v173, v193
	v_add_f32_e32 v93, v172, v192
	v_min3_f32 v34, v62, v61, v34
	v_dual_add_f32 v61, v77, v197 :: v_dual_add_f32 v62, v76, v196
	v_min3_f32 v24, v66, v65, v24
	v_dual_add_f32 v65, v173, v209 :: v_dual_add_f32 v66, v172, v208
	v_min3_f32 v60, v93, v73, v67
	v_add_f32_e32 v67, v173, v197
	v_add_f32_e32 v73, v77, v201
	;; [unrolled: 1-line block ×3, first 2 shown]
	v_min3_f32 v20, v62, v61, v20
	v_min3_f32 v2, v66, v65, v2
	;; [unrolled: 1-line block ×3, first 2 shown]
	v_add_f32_e32 v67, v173, v201
	v_min3_f32 v62, v93, v73, v69
	v_dual_add_f32 v68, v172, v200 :: v_dual_add_f32 v69, v77, v205
	v_dual_add_f32 v72, v76, v204 :: v_dual_add_f32 v73, v90, v205
	v_add_f32_e32 v93, v89, v204
	v_dual_add_f32 v65, v171, v96 :: v_dual_add_f32 v66, v170, v95
	s_delay_alu instid0(VALU_DEP_3) | instskip(SKIP_1) | instid1(VALU_DEP_4)
	v_min3_f32 v63, v72, v69, v70
	v_add_f32_e32 v69, v77, v209
	v_min3_f32 v64, v93, v73, v71
	v_dual_add_f32 v70, v76, v208 :: v_dual_add_f32 v71, v90, v209
	v_add_f32_e32 v72, v89, v208
	v_dual_add_f32 v73, v169, v209 :: v_dual_add_f32 v76, v168, v208
	v_min3_f32 v159, v66, v65, v22
	v_add_f32_e32 v22, v78, v103
	v_min3_f32 v27, v68, v67, v27
	v_dual_add_f32 v67, v173, v205 :: v_dual_add_f32 v68, v172, v204
	v_min3_f32 v6, v70, v69, v6
	v_min3_f32 v7, v72, v71, v7
	v_min3_f32 v10, v76, v73, v10
	v_add_f32_e32 v69, v92, v75
	v_min3_f32 v3, v68, v67, v3
	v_dual_add_f32 v67, v79, v75 :: v_dual_add_f32 v68, v78, v74
	v_add_f32_e32 v70, v91, v74
	v_dual_add_f32 v71, v171, v75 :: v_dual_add_f32 v72, v170, v74
	v_dual_add_f32 v73, v175, v75 :: v_dual_add_f32 v74, v174, v74
	s_delay_alu instid0(VALU_DEP_4) | instskip(NEXT) | instid1(VALU_DEP_4)
	v_min3_f32 v165, v68, v67, v11
	v_min3_f32 v164, v70, v69, v14
	s_delay_alu instid0(VALU_DEP_4)
	v_min3_f32 v163, v72, v71, v15
	v_add_f32_e32 v11, v78, v95
	v_min3_f32 v162, v74, v73, v1
	v_add_f32_e32 v1, v79, v96
	v_dual_add_f32 v14, v92, v96 :: v_dual_add_f32 v15, v91, v95
	v_dual_add_f32 v67, v175, v96 :: v_dual_add_f32 v68, v174, v95
	s_delay_alu instid0(VALU_DEP_3) | instskip(SKIP_1) | instid1(VALU_DEP_4)
	v_min3_f32 v161, v11, v1, v18
	v_add_f32_e32 v11, v171, v100
	v_min3_f32 v160, v15, v14, v19
	v_add_f32_e32 v14, v170, v99
	v_min3_f32 v153, v68, v67, v23
	v_dual_add_f32 v15, v175, v100 :: v_dual_add_f32 v18, v174, v99
	v_add_f32_e32 v19, v79, v104
	v_add_f32_e32 v23, v92, v104
	;; [unrolled: 1-line block ×3, first 2 shown]
	v_min3_f32 v149, v14, v11, v28
	v_min3_f32 v148, v18, v15, v29
	v_min3_f32 v147, v22, v19, v32
	v_add_f32_e32 v14, v79, v108
	v_min3_f32 v146, v65, v23, v5
	v_dual_add_f32 v15, v78, v107 :: v_dual_add_f32 v18, v92, v108
	v_add_f32_e32 v19, v91, v107
	v_dual_add_f32 v22, v171, v108 :: v_dual_add_f32 v23, v170, v107
	s_delay_alu instid0(VALU_DEP_3) | instskip(SKIP_1) | instid1(VALU_DEP_4)
	v_min3_f32 v143, v15, v14, v37
	v_add_f32_e32 v15, v171, v112
	v_min3_f32 v142, v19, v18, v40
	v_add_f32_e32 v18, v170, v111
	v_min3_f32 v141, v23, v22, v8
	v_dual_add_f32 v19, v175, v112 :: v_dual_add_f32 v22, v174, v111
	v_add_f32_e32 v1, v92, v100
	v_add_f32_e32 v5, v175, v104
	;; [unrolled: 1-line block ×3, first 2 shown]
	v_min3_f32 v137, v18, v15, v48
	v_min3_f32 v136, v22, v19, v9
	v_dual_add_f32 v18, v79, v179 :: v_dual_add_f32 v19, v78, v178
	v_dual_add_f32 v69, v79, v100 :: v_dual_add_f32 v70, v78, v99
	;; [unrolled: 1-line block ×3, first 2 shown]
	s_delay_alu instid0(VALU_DEP_3)
	v_min3_f32 v130, v19, v18, v12
	v_add_f32_e32 v18, v91, v182
	v_min3_f32 v144, v11, v5, v36
	v_add_f32_e32 v11, v92, v112
	;; [unrolled: 2-line block ×3, first 2 shown]
	v_add_f32_e32 v12, v79, v183
	v_add_f32_e32 v5, v79, v112
	v_min3_f32 v138, v14, v11, v45
	v_add_f32_e32 v14, v175, v121
	v_min3_f32 v150, v4, v1, v25
	v_dual_add_f32 v1, v171, v104 :: v_dual_add_f32 v4, v170, v103
	v_add_f32_e32 v8, v78, v111
	s_delay_alu instid0(VALU_DEP_4) | instskip(SKIP_1) | instid1(VALU_DEP_4)
	v_min3_f32 v131, v15, v14, v54
	v_dual_add_f32 v14, v78, v182 :: v_dual_add_f32 v15, v92, v183
	v_min3_f32 v145, v4, v1, v33
	v_dual_add_f32 v1, v175, v108 :: v_dual_add_f32 v4, v174, v107
	s_delay_alu instid0(VALU_DEP_3) | instskip(NEXT) | instid1(VALU_DEP_4)
	v_min3_f32 v124, v14, v12, v56
	v_min3_f32 v122, v18, v15, v13
	v_dual_add_f32 v12, v92, v187 :: v_dual_add_f32 v13, v91, v186
	v_dual_add_f32 v14, v171, v187 :: v_dual_add_f32 v15, v170, v186
	v_min3_f32 v140, v4, v1, v41
	v_min3_f32 v139, v8, v5, v44
	v_dual_add_f32 v1, v79, v121 :: v_dual_add_f32 v4, v78, v120
	v_dual_add_f32 v5, v92, v121 :: v_dual_add_f32 v8, v91, v120
	v_add_f32_e32 v9, v171, v121
	v_add_f32_e32 v11, v170, v120
	v_min3_f32 v118, v13, v12, v58
	v_min3_f32 v115, v15, v14, v16
	v_add_f32_e32 v14, v175, v191
	v_dual_add_f32 v12, v171, v191 :: v_dual_add_f32 v13, v170, v190
	v_add_f32_e32 v15, v174, v190
	v_min3_f32 v135, v4, v1, v49
	v_min3_f32 v134, v8, v5, v52
	;; [unrolled: 1-line block ×3, first 2 shown]
	v_dual_add_f32 v1, v92, v179 :: v_dual_add_f32 v4, v91, v178
	v_dual_add_f32 v5, v171, v179 :: v_dual_add_f32 v8, v170, v178
	v_add_f32_e32 v9, v175, v179
	v_add_f32_e32 v11, v174, v178
	v_min3_f32 v111, v13, v12, v43
	v_min3_f32 v110, v15, v14, v17
	v_dual_add_f32 v12, v175, v195 :: v_dual_add_f32 v13, v174, v194
	v_dual_add_f32 v14, v79, v199 :: v_dual_add_f32 v15, v78, v198
	v_min3_f32 v129, v4, v1, v50
	v_min3_f32 v128, v8, v5, v51
	v_dual_add_f32 v1, v171, v183 :: v_dual_add_f32 v4, v170, v182
	v_dual_add_f32 v5, v175, v183 :: v_dual_add_f32 v8, v174, v182
	v_min3_f32 v106, v13, v12, v60
	v_add_f32_e32 v12, v79, v203
	v_min3_f32 v127, v11, v9, v55
	v_add_f32_e32 v9, v79, v187
	v_add_f32_e32 v11, v78, v186
	v_min3_f32 v105, v15, v14, v20
	v_dual_add_f32 v14, v92, v203 :: v_dual_add_f32 v15, v91, v202
	v_min3_f32 v121, v4, v1, v46
	v_min3_f32 v120, v8, v5, v47
	v_dual_add_f32 v1, v175, v187 :: v_dual_add_f32 v4, v174, v186
	v_dual_add_f32 v5, v79, v191 :: v_dual_add_f32 v8, v78, v190
	v_min3_f32 v100, v15, v14, v21
	v_add_f32_e32 v14, v171, v207
	v_min3_f32 v119, v11, v9, v57
	v_add_f32_e32 v9, v92, v191
	v_add_f32_e32 v11, v91, v190
	v_min3_f32 v114, v4, v1, v38
	v_min3_f32 v113, v8, v5, v39
	v_dual_add_f32 v1, v79, v195 :: v_dual_add_f32 v4, v78, v194
	s_delay_alu instid0(VALU_DEP_4)
	v_min3_f32 v112, v11, v9, v42
	v_dual_add_f32 v5, v92, v195 :: v_dual_add_f32 v8, v91, v194
	v_add_f32_e32 v9, v171, v195
	v_add_f32_e32 v11, v170, v194
	v_min3_f32 v109, v4, v1, v34
	v_add_f32_e32 v1, v92, v199
	v_min3_f32 v108, v8, v5, v35
	;; [unrolled: 2-line block ×3, first 2 shown]
	v_dual_add_f32 v5, v171, v199 :: v_dual_add_f32 v8, v170, v198
	v_add_f32_e32 v9, v175, v199
	v_add_f32_e32 v11, v174, v198
	;; [unrolled: 1-line block ×3, first 2 shown]
	v_min3_f32 v104, v4, v1, v30
	v_min3_f32 v103, v8, v5, v31
	v_add_f32_e32 v1, v171, v203
	v_min3_f32 v102, v11, v9, v61
	v_min3_f32 v101, v13, v12, v62
	v_dual_add_f32 v4, v170, v202 :: v_dual_add_f32 v5, v175, v203
	v_dual_add_f32 v8, v174, v202 :: v_dual_add_f32 v9, v79, v207
	;; [unrolled: 1-line block ×3, first 2 shown]
	v_add_f32_e32 v13, v91, v206
	v_add_f32_e32 v15, v170, v206
	v_min3_f32 v99, v4, v1, v26
	v_min3_f32 v98, v8, v5, v27
	v_min3_f32 v97, v11, v9, v63
	v_min3_f32 v96, v13, v12, v64
	v_min3_f32 v95, v15, v14, v24
	v_dual_add_f32 v1, v175, v207 :: v_dual_add_f32 v4, v174, v206
	v_dual_add_f32 v5, v79, v211 :: v_dual_add_f32 v8, v78, v210
	v_add_f32_e32 v9, v92, v211
	v_add_f32_e32 v11, v91, v210
	v_dual_add_f32 v12, v171, v211 :: v_dual_add_f32 v13, v170, v210
	v_dual_add_f32 v14, v175, v211 :: v_dual_add_f32 v15, v174, v210
	v_min3_f32 v94, v4, v1, v3
	v_min3_f32 v93, v8, v5, v6
	;; [unrolled: 1-line block ×5, first 2 shown]
	s_cbranch_scc1 .LBB14_45
.LBB14_28:                              ; =>This Inner Loop Header: Depth=1
	v_add_nc_u32_e32 v16, s26, v123
	s_delay_alu instid0(VALU_DEP_1) | instskip(NEXT) | instid1(VALU_DEP_1)
	v_add_nc_u32_e32 v2, 8, v16
	v_min_i32_e32 v0, s23, v2
	v_cmp_le_i32_e64 s5, s10, v2
	s_delay_alu instid0(VALU_DEP_2) | instskip(NEXT) | instid1(VALU_DEP_1)
	v_ashrrev_i32_e32 v1, 31, v0
	v_lshlrev_b64 v[0:1], 2, v[0:1]
	s_delay_alu instid0(VALU_DEP_1) | instskip(NEXT) | instid1(VALU_DEP_1)
	v_add_co_u32 v2, s6, s18, v0
	v_add_co_ci_u32_e64 v3, s6, s19, v1, s6
	s_or_b32 s6, vcc_lo, s5
	s_delay_alu instid0(SALU_CYCLE_1) | instskip(SKIP_1) | instid1(SALU_CYCLE_1)
	v_cndmask_b32_e64 v166, 0, 0x7f7fffff, s6
	s_or_b32 s6, s24, s6
	s_xor_b32 s6, s6, -1
	s_delay_alu instid0(SALU_CYCLE_1)
	s_and_saveexec_b32 s27, s6
	s_cbranch_execz .LBB14_30
; %bb.29:                               ;   in Loop: Header=BB14_28 Depth=1
	v_add_co_u32 v4, s6, v2, v80
	s_delay_alu instid0(VALU_DEP_1)
	v_add_co_ci_u32_e64 v5, s6, v3, v81, s6
	flat_load_b32 v4, v[4:5]
	s_waitcnt vmcnt(0) lgkmcnt(0)
	v_mul_f32_e32 v166, s11, v4
.LBB14_30:                              ;   in Loop: Header=BB14_28 Depth=1
	s_or_b32 exec_lo, exec_lo, s27
	s_or_b32 s6, s2, s5
	s_delay_alu instid0(SALU_CYCLE_1) | instskip(SKIP_1) | instid1(SALU_CYCLE_1)
	v_cndmask_b32_e64 v167, 0, 0x7f7fffff, s6
	s_or_b32 s6, s24, s6
	s_xor_b32 s6, s6, -1
	s_delay_alu instid0(SALU_CYCLE_1)
	s_and_saveexec_b32 s27, s6
	s_cbranch_execz .LBB14_32
; %bb.31:                               ;   in Loop: Header=BB14_28 Depth=1
	v_add_co_u32 v2, s6, v2, v82
	s_delay_alu instid0(VALU_DEP_1)
	v_add_co_ci_u32_e64 v3, s6, v3, v83, s6
	flat_load_b32 v2, v[2:3]
	s_waitcnt vmcnt(0) lgkmcnt(0)
	v_mul_f32_e32 v167, s11, v2
.LBB14_32:                              ;   in Loop: Header=BB14_28 Depth=1
	s_or_b32 exec_lo, exec_lo, s27
	v_add_co_u32 v0, s6, s20, v0
	s_delay_alu instid0(VALU_DEP_1) | instskip(SKIP_1) | instid1(SALU_CYCLE_1)
	v_add_co_ci_u32_e64 v1, s6, s21, v1, s6
	s_or_b32 s6, s3, s5
	v_cndmask_b32_e64 v168, 0, 0x7f7fffff, s6
	s_or_b32 s6, s24, s6
	s_delay_alu instid0(SALU_CYCLE_1) | instskip(NEXT) | instid1(SALU_CYCLE_1)
	s_xor_b32 s6, s6, -1
	s_and_saveexec_b32 s27, s6
	s_cbranch_execz .LBB14_34
; %bb.33:                               ;   in Loop: Header=BB14_28 Depth=1
	v_add_co_u32 v2, s6, v0, v84
	s_delay_alu instid0(VALU_DEP_1)
	v_add_co_ci_u32_e64 v3, s6, v1, v85, s6
	flat_load_b32 v2, v[2:3]
	s_waitcnt vmcnt(0) lgkmcnt(0)
	v_mul_f32_e32 v168, s11, v2
.LBB14_34:                              ;   in Loop: Header=BB14_28 Depth=1
	s_or_b32 exec_lo, exec_lo, s27
	s_or_b32 s5, s4, s5
	s_delay_alu instid0(SALU_CYCLE_1) | instskip(SKIP_1) | instid1(SALU_CYCLE_1)
	v_cndmask_b32_e64 v169, 0, 0x7f7fffff, s5
	s_or_b32 s5, s24, s5
	s_xor_b32 s5, s5, -1
	s_delay_alu instid0(SALU_CYCLE_1)
	s_and_saveexec_b32 s6, s5
	s_cbranch_execz .LBB14_36
; %bb.35:                               ;   in Loop: Header=BB14_28 Depth=1
	v_add_co_u32 v0, s5, v0, v86
	s_delay_alu instid0(VALU_DEP_1)
	v_add_co_ci_u32_e64 v1, s5, v1, v87, s5
	flat_load_b32 v0, v[0:1]
	s_waitcnt vmcnt(0) lgkmcnt(0)
	v_mul_f32_e32 v169, s11, v0
.LBB14_36:                              ;   in Loop: Header=BB14_28 Depth=1
	s_or_b32 exec_lo, exec_lo, s6
	v_add_nc_u32_e32 v116, 12, v16
	ds_load_b128 v[12:15], v157
	ds_load_b128 v[8:11], v157 offset:512
	ds_load_b128 v[4:7], v157 offset:1024
	;; [unrolled: 1-line block ×3, first 2 shown]
	ds_load_b128 v[76:79], v158
	ds_load_b128 v[72:75], v158 offset:128
	ds_load_b128 v[68:71], v158 offset:256
	;; [unrolled: 1-line block ×15, first 2 shown]
	ds_store_2addr_stride64_b32 v132, v166, v167 offset1:4
	ds_store_2addr_stride64_b32 v152, v168, v169 offset1:4
	v_min_i32_e32 v88, s23, v116
	v_cmp_le_i32_e64 s5, s10, v116
	s_waitcnt lgkmcnt(0)
	s_barrier
	buffer_gl0_inv
	v_ashrrev_i32_e32 v89, 31, v88
	s_delay_alu instid0(VALU_DEP_1) | instskip(NEXT) | instid1(VALU_DEP_1)
	v_lshlrev_b64 v[88:89], 2, v[88:89]
	v_add_co_u32 v168, s6, s18, v88
	s_delay_alu instid0(VALU_DEP_1) | instskip(SKIP_1) | instid1(SALU_CYCLE_1)
	v_add_co_ci_u32_e64 v169, s6, s19, v89, s6
	s_or_b32 s6, vcc_lo, s5
	v_cndmask_b32_e64 v166, 0, 0x7f7fffff, s6
	s_or_b32 s6, s24, s6
	s_delay_alu instid0(SALU_CYCLE_1) | instskip(NEXT) | instid1(SALU_CYCLE_1)
	s_xor_b32 s6, s6, -1
	s_and_saveexec_b32 s27, s6
	s_delay_alu instid0(SALU_CYCLE_1)
	s_xor_b32 s27, exec_lo, s27
	s_cbranch_execz .LBB14_38
; %bb.37:                               ;   in Loop: Header=BB14_28 Depth=1
	v_add_co_u32 v166, s6, v168, v80
	s_delay_alu instid0(VALU_DEP_1)
	v_add_co_ci_u32_e64 v167, s6, v169, v81, s6
	flat_load_b32 v116, v[166:167]
	s_waitcnt vmcnt(0) lgkmcnt(0)
	v_mul_f32_e32 v166, s11, v116
.LBB14_38:                              ;   in Loop: Header=BB14_28 Depth=1
	s_or_b32 exec_lo, exec_lo, s27
	s_or_b32 s6, s2, s5
	s_delay_alu instid0(SALU_CYCLE_1) | instskip(SKIP_1) | instid1(SALU_CYCLE_1)
	v_cndmask_b32_e64 v167, 0, 0x7f7fffff, s6
	s_or_b32 s6, s24, s6
	s_xor_b32 s6, s6, -1
	s_delay_alu instid0(SALU_CYCLE_1)
	s_and_saveexec_b32 s27, s6
	s_cbranch_execz .LBB14_40
; %bb.39:                               ;   in Loop: Header=BB14_28 Depth=1
	v_add_co_u32 v167, s6, v168, v82
	s_delay_alu instid0(VALU_DEP_1)
	v_add_co_ci_u32_e64 v168, s6, v169, v83, s6
	flat_load_b32 v116, v[167:168]
	s_waitcnt vmcnt(0) lgkmcnt(0)
	v_mul_f32_e32 v167, s11, v116
.LBB14_40:                              ;   in Loop: Header=BB14_28 Depth=1
	s_or_b32 exec_lo, exec_lo, s27
	v_add_co_u32 v168, s6, s20, v88
	s_delay_alu instid0(VALU_DEP_1) | instskip(SKIP_1) | instid1(SALU_CYCLE_1)
	v_add_co_ci_u32_e64 v89, s6, s21, v89, s6
	s_or_b32 s6, s3, s5
	v_cndmask_b32_e64 v88, 0, 0x7f7fffff, s6
	s_or_b32 s6, s24, s6
	s_delay_alu instid0(SALU_CYCLE_1) | instskip(NEXT) | instid1(SALU_CYCLE_1)
	s_xor_b32 s6, s6, -1
	s_and_saveexec_b32 s27, s6
	s_cbranch_execz .LBB14_42
; %bb.41:                               ;   in Loop: Header=BB14_28 Depth=1
	v_add_co_u32 v169, s6, v168, v84
	s_delay_alu instid0(VALU_DEP_1)
	v_add_co_ci_u32_e64 v170, s6, v89, v85, s6
	flat_load_b32 v88, v[169:170]
	s_waitcnt vmcnt(0) lgkmcnt(0)
	v_mul_f32_e32 v88, s11, v88
.LBB14_42:                              ;   in Loop: Header=BB14_28 Depth=1
	s_or_b32 exec_lo, exec_lo, s27
	v_dual_add_f32 v116, v13, v77 :: v_dual_add_f32 v117, v12, v76
	v_dual_add_f32 v169, v9, v77 :: v_dual_add_f32 v170, v8, v76
	;; [unrolled: 1-line block ×3, first 2 shown]
	s_delay_alu instid0(VALU_DEP_3) | instskip(SKIP_1) | instid1(VALU_DEP_4)
	v_min3_f32 v116, v117, v116, v165
	v_dual_add_f32 v77, v1, v77 :: v_dual_add_f32 v76, v0, v76
	v_min3_f32 v117, v170, v169, v164
	s_delay_alu instid0(VALU_DEP_4)
	v_min3_f32 v163, v172, v171, v163
	v_dual_add_f32 v164, v13, v73 :: v_dual_add_f32 v165, v12, v72
	v_dual_add_f32 v169, v9, v73 :: v_dual_add_f32 v170, v8, v72
	;; [unrolled: 1-line block ×4, first 2 shown]
	v_min3_f32 v76, v76, v77, v162
	v_min3_f32 v77, v165, v164, v161
	;; [unrolled: 1-line block ×3, first 2 shown]
	v_add_f32_e32 v161, v9, v69
	v_min3_f32 v72, v72, v73, v153
	v_dual_add_f32 v73, v13, v69 :: v_dual_add_f32 v162, v8, v68
	v_dual_add_f32 v153, v12, v68 :: v_dual_add_f32 v164, v5, v69
	v_add_f32_e32 v165, v4, v68
	v_dual_add_f32 v69, v1, v69 :: v_dual_add_f32 v170, v12, v64
	v_dual_add_f32 v68, v0, v68 :: v_dual_add_f32 v169, v13, v65
	s_delay_alu instid0(VALU_DEP_4) | instskip(SKIP_2) | instid1(VALU_DEP_4)
	v_min3_f32 v73, v153, v73, v151
	v_min3_f32 v150, v162, v161, v150
	v_dual_add_f32 v151, v5, v65 :: v_dual_add_f32 v162, v12, v60
	v_min3_f32 v68, v68, v69, v148
	v_add_f32_e32 v148, v8, v64
	v_min3_f32 v69, v170, v169, v147
	v_add_f32_e32 v147, v9, v65
	v_add_f32_e32 v153, v4, v64
	v_dual_add_f32 v65, v1, v65 :: v_dual_add_f32 v64, v0, v64
	v_add_f32_e32 v161, v13, v61
	v_min3_f32 v149, v165, v164, v149
	v_dual_add_f32 v164, v9, v61 :: v_dual_add_f32 v165, v8, v60
	v_min3_f32 v146, v148, v147, v146
	v_min3_f32 v64, v64, v65, v144
	v_add_f32_e32 v144, v4, v60
	v_add_f32_e32 v60, v0, v60
	v_min3_f32 v65, v162, v161, v143
	v_dual_add_f32 v143, v5, v61 :: v_dual_add_f32 v148, v12, v56
	v_dual_add_f32 v61, v1, v61 :: v_dual_add_f32 v162, v4, v56
	v_add_f32_e32 v147, v13, v57
	v_add_f32_e32 v161, v5, v57
	s_delay_alu instid0(VALU_DEP_4) | instskip(NEXT) | instid1(VALU_DEP_4)
	v_min3_f32 v141, v144, v143, v141
	v_min3_f32 v60, v60, v61, v140
	v_add_f32_e32 v140, v12, v52
	v_min3_f32 v61, v148, v147, v139
	v_dual_add_f32 v139, v13, v53 :: v_dual_add_f32 v144, v8, v52
	v_dual_add_f32 v143, v9, v53 :: v_dual_add_f32 v148, v4, v52
	;; [unrolled: 1-line block ×3, first 2 shown]
	v_add_f32_e32 v53, v1, v53
	s_delay_alu instid0(VALU_DEP_3)
	v_min3_f32 v134, v144, v143, v134
	v_add_f32_e32 v144, v12, v44
	v_min3_f32 v135, v140, v139, v135
	v_add_f32_e32 v139, v5, v49
	;; [unrolled: 2-line block ×3, first 2 shown]
	v_min3_f32 v145, v153, v151, v145
	v_dual_add_f32 v151, v9, v57 :: v_dual_add_f32 v140, v4, v48
	v_add_f32_e32 v153, v8, v56
	v_dual_add_f32 v57, v1, v57 :: v_dual_add_f32 v56, v0, v56
	v_add_f32_e32 v53, v12, v48
	v_add_f32_e32 v143, v13, v45
	v_min3_f32 v159, v172, v171, v159
	v_min3_f32 v137, v162, v161, v137
	v_min3_f32 v136, v56, v57, v136
	v_dual_add_f32 v56, v9, v49 :: v_dual_add_f32 v57, v8, v48
	v_dual_add_f32 v49, v1, v49 :: v_dual_add_f32 v48, v0, v48
	v_min3_f32 v130, v53, v52, v130
	v_dual_add_f32 v52, v5, v45 :: v_dual_add_f32 v53, v4, v44
	s_delay_alu instid0(VALU_DEP_4) | instskip(NEXT) | instid1(VALU_DEP_4)
	v_min3_f32 v129, v57, v56, v129
	v_min3_f32 v127, v48, v49, v127
	v_dual_add_f32 v48, v9, v45 :: v_dual_add_f32 v49, v8, v44
	v_dual_add_f32 v45, v1, v45 :: v_dual_add_f32 v44, v0, v44
	v_min3_f32 v128, v140, v139, v128
	v_dual_add_f32 v56, v13, v41 :: v_dual_add_f32 v57, v12, v40
	v_dual_add_f32 v139, v9, v41 :: v_dual_add_f32 v140, v8, v40
	s_delay_alu instid0(VALU_DEP_4)
	v_min3_f32 v120, v44, v45, v120
	v_add_f32_e32 v44, v5, v41
	v_min3_f32 v122, v49, v48, v122
	v_add_f32_e32 v45, v4, v40
	v_dual_add_f32 v41, v1, v41 :: v_dual_add_f32 v40, v0, v40
	v_dual_add_f32 v48, v13, v37 :: v_dual_add_f32 v49, v12, v36
	v_min3_f32 v121, v53, v52, v121
	v_add_f32_e32 v52, v9, v37
	v_min3_f32 v119, v57, v56, v119
	v_dual_add_f32 v53, v8, v36 :: v_dual_add_f32 v56, v5, v37
	v_add_f32_e32 v57, v4, v36
	v_min3_f32 v115, v45, v44, v115
	v_min3_f32 v114, v40, v41, v114
	v_dual_add_f32 v37, v1, v37 :: v_dual_add_f32 v36, v0, v36
	v_add_f32_e32 v40, v13, v33
	v_min3_f32 v113, v49, v48, v113
	v_dual_add_f32 v41, v12, v32 :: v_dual_add_f32 v44, v9, v33
	v_dual_add_f32 v45, v8, v32 :: v_dual_add_f32 v48, v5, v33
	v_add_f32_e32 v49, v4, v32
	v_dual_add_f32 v33, v1, v33 :: v_dual_add_f32 v32, v0, v32
	v_min3_f32 v110, v36, v37, v110
	v_dual_add_f32 v36, v9, v29 :: v_dual_add_f32 v37, v8, v28
	v_min3_f32 v108, v45, v44, v108
	s_delay_alu instid0(VALU_DEP_4)
	v_min3_f32 v106, v32, v33, v106
	v_add_f32_e32 v32, v13, v29
	v_min3_f32 v109, v41, v40, v109
	v_dual_add_f32 v33, v12, v28 :: v_dual_add_f32 v44, v13, v25
	v_dual_add_f32 v40, v5, v29 :: v_dual_add_f32 v41, v4, v28
	;; [unrolled: 1-line block ×3, first 2 shown]
	v_add_f32_e32 v45, v12, v24
	s_delay_alu instid0(VALU_DEP_4) | instskip(SKIP_1) | instid1(VALU_DEP_4)
	v_min3_f32 v105, v33, v32, v105
	v_dual_add_f32 v32, v5, v25 :: v_dual_add_f32 v33, v4, v24
	v_min3_f32 v102, v28, v29, v102
	v_dual_add_f32 v28, v9, v25 :: v_dual_add_f32 v29, v8, v24
	v_dual_add_f32 v25, v1, v25 :: v_dual_add_f32 v24, v0, v24
	v_min3_f32 v104, v37, v36, v104
	v_min3_f32 v103, v41, v40, v103
	v_dual_add_f32 v36, v13, v21 :: v_dual_add_f32 v37, v12, v20
	v_dual_add_f32 v40, v9, v21 :: v_dual_add_f32 v41, v8, v20
	;; [unrolled: 1-line block ×3, first 2 shown]
	v_min3_f32 v24, v24, v25, v98
	v_dual_add_f32 v25, v5, v21 :: v_dual_add_f32 v8, v8, v16
	v_add_f32_e32 v9, v9, v17
	v_min3_f32 v100, v29, v28, v100
	v_dual_add_f32 v28, v4, v20 :: v_dual_add_f32 v21, v1, v21
	v_add_f32_e32 v4, v4, v16
	v_dual_add_f32 v20, v0, v20 :: v_dual_add_f32 v5, v5, v17
	v_add_f32_e32 v0, v0, v16
	v_min3_f32 v93, v12, v13, v93
	v_dual_add_f32 v12, v7, v79 :: v_dual_add_f32 v13, v6, v78
	v_add_f32_e32 v16, v3, v79
	v_min3_f32 v92, v8, v9, v92
	v_dual_add_f32 v8, v11, v79 :: v_dual_add_f32 v9, v10, v78
	v_min3_f32 v95, v28, v25, v95
	v_min3_f32 v94, v20, v21, v94
	;; [unrolled: 1-line block ×3, first 2 shown]
	v_dual_add_f32 v1, v1, v17 :: v_dual_add_f32 v4, v15, v79
	v_add_f32_e32 v5, v14, v78
	v_min3_f32 v28, v9, v8, v117
	v_dual_add_f32 v8, v11, v75 :: v_dual_add_f32 v9, v10, v74
	v_add_f32_e32 v20, v15, v71
	v_min3_f32 v29, v13, v12, v163
	v_dual_add_f32 v12, v7, v75 :: v_dual_add_f32 v13, v6, v74
	v_min3_f32 v99, v33, v32, v99
	v_min3_f32 v97, v37, v36, v97
	v_min3_f32 v25, v5, v4, v116
	v_dual_add_f32 v4, v15, v75 :: v_dual_add_f32 v5, v14, v74
	v_min3_f32 v33, v9, v8, v160
	v_min3_f32 v36, v13, v12, v159
	v_dual_add_f32 v9, v7, v71 :: v_dual_add_f32 v12, v6, v70
	v_min3_f32 v96, v41, v40, v96
	v_add_f32_e32 v17, v2, v78
	v_add_f32_e32 v8, v10, v70
	v_min3_f32 v0, v0, v1, v90
	v_min3_f32 v41, v12, v9, v149
	v_add_f32_e32 v12, v3, v67
	v_min3_f32 v32, v5, v4, v77
	v_add_f32_e32 v5, v11, v71
	v_add_f32_e32 v21, v14, v70
	v_min3_f32 v111, v57, v56, v111
	v_min3_f32 v107, v49, v48, v107
	v_add_f32_e32 v13, v3, v71
	v_min3_f32 v40, v8, v5, v150
	v_add_f32_e32 v8, v7, v67
	v_min3_f32 v1, v17, v16, v76
	v_dual_add_f32 v16, v3, v75 :: v_dual_add_f32 v17, v2, v74
	v_add_f32_e32 v56, v7, v63
	v_min3_f32 v4, v21, v20, v73
	v_dual_add_f32 v20, v14, v66 :: v_dual_add_f32 v21, v11, v67
	;; [unrolled: 3-line block ×3, first 2 shown]
	v_min3_f32 v142, v165, v164, v142
	v_min3_f32 v101, v45, v44, v101
	;; [unrolled: 1-line block ×3, first 2 shown]
	s_delay_alu instid0(VALU_DEP_4)
	v_min3_f32 v44, v16, v13, v68
	v_min3_f32 v45, v20, v17, v69
	v_add_f32_e32 v9, v6, v66
	v_dual_add_f32 v13, v2, v66 :: v_dual_add_f32 v16, v15, v63
	v_dual_add_f32 v17, v14, v62 :: v_dual_add_f32 v20, v11, v63
	v_add_f32_e32 v21, v10, v62
	v_min3_f32 v138, v153, v151, v138
	v_min3_f32 v112, v53, v52, v112
	v_add_f32_e32 v57, v6, v62
	v_min3_f32 v48, v9, v8, v145
	v_min3_f32 v49, v13, v12, v64
	;; [unrolled: 1-line block ×4, first 2 shown]
	v_dual_add_f32 v9, v3, v63 :: v_dual_add_f32 v12, v2, v62
	v_dual_add_f32 v13, v15, v59 :: v_dual_add_f32 v16, v14, v58
	;; [unrolled: 1-line block ×5, first 2 shown]
	v_min3_f32 v133, v148, v147, v133
	v_min3_f32 v8, v57, v56, v141
	v_min3_f32 v56, v12, v9, v60
	v_min3_f32 v57, v16, v13, v61
	v_min3_f32 v58, v20, v17, v138
	v_min3_f32 v59, v62, v21, v137
	v_min3_f32 v9, v64, v63, v136
	v_dual_add_f32 v12, v15, v55 :: v_dual_add_f32 v13, v14, v54
	v_dual_add_f32 v16, v11, v55 :: v_dual_add_f32 v17, v10, v54
	v_add_f32_e32 v68, v7, v43
	v_dual_add_f32 v20, v7, v55 :: v_dual_add_f32 v21, v6, v54
	v_dual_add_f32 v61, v3, v55 :: v_dual_add_f32 v62, v2, v54
	v_dual_add_f32 v63, v15, v51 :: v_dual_add_f32 v64, v14, v50
	v_min3_f32 v124, v144, v143, v124
	v_min3_f32 v54, v13, v12, v135
	;; [unrolled: 1-line block ×6, first 2 shown]
	v_dual_add_f32 v13, v11, v51 :: v_dual_add_f32 v16, v10, v50
	v_dual_add_f32 v17, v7, v51 :: v_dual_add_f32 v20, v6, v50
	;; [unrolled: 1-line block ×5, first 2 shown]
	v_min3_f32 v118, v140, v139, v118
	v_min3_f32 v50, v16, v13, v129
	;; [unrolled: 1-line block ×6, first 2 shown]
	v_dual_add_f32 v16, v7, v47 :: v_dual_add_f32 v17, v6, v46
	v_dual_add_f32 v20, v3, v47 :: v_dual_add_f32 v21, v2, v46
	;; [unrolled: 1-line block ×5, first 2 shown]
	v_min3_f32 v46, v17, v16, v121
	v_min3_f32 v47, v21, v20, v120
	;; [unrolled: 1-line block ×5, first 2 shown]
	v_dual_add_f32 v17, v3, v43 :: v_dual_add_f32 v20, v2, v42
	v_dual_add_f32 v21, v15, v39 :: v_dual_add_f32 v42, v14, v38
	;; [unrolled: 1-line block ×5, first 2 shown]
	v_min3_f32 v38, v20, v17, v114
	v_min3_f32 v39, v42, v21, v113
	;; [unrolled: 1-line block ×5, first 2 shown]
	v_dual_add_f32 v20, v15, v35 :: v_dual_add_f32 v21, v14, v34
	v_dual_add_f32 v66, v11, v35 :: v_dual_add_f32 v67, v10, v34
	;; [unrolled: 1-line block ×4, first 2 shown]
	v_add_f32_e32 v73, v14, v30
	v_min3_f32 v34, v21, v20, v109
	v_min3_f32 v35, v67, v66, v108
	v_min3_f32 v66, v69, v68, v107
	v_min3_f32 v67, v71, v70, v106
	v_min3_f32 v20, v73, v72, v105
	v_dual_add_f32 v21, v11, v31 :: v_dual_add_f32 v68, v10, v30
	v_dual_add_f32 v69, v7, v31 :: v_dual_add_f32 v70, v6, v30
	;; [unrolled: 1-line block ×5, first 2 shown]
	v_min3_f32 v30, v68, v21, v104
	v_min3_f32 v31, v70, v69, v103
	;; [unrolled: 1-line block ×4, first 2 shown]
	v_dual_add_f32 v70, v7, v27 :: v_dual_add_f32 v71, v6, v26
	v_dual_add_f32 v27, v3, v27 :: v_dual_add_f32 v72, v2, v26
	;; [unrolled: 1-line block ×3, first 2 shown]
	v_min3_f32 v21, v76, v75, v100
	v_dual_add_f32 v75, v11, v23 :: v_dual_add_f32 v76, v10, v22
	v_dual_add_f32 v77, v7, v23 :: v_dual_add_f32 v78, v6, v22
	v_min3_f32 v26, v71, v70, v99
	v_min3_f32 v27, v72, v27, v24
	;; [unrolled: 1-line block ×3, first 2 shown]
	v_dual_add_f32 v23, v3, v23 :: v_dual_add_f32 v22, v2, v22
	v_dual_add_f32 v15, v15, v19 :: v_dual_add_f32 v14, v14, v18
	;; [unrolled: 1-line block ×5, first 2 shown]
	s_or_b32 s5, s4, s5
	v_min3_f32 v71, v76, v75, v96
	v_min3_f32 v24, v78, v77, v95
	;; [unrolled: 1-line block ×7, first 2 shown]
	v_cndmask_b32_e64 v0, 0, 0x7f7fffff, s5
	s_or_b32 s5, s24, s5
	s_delay_alu instid0(SALU_CYCLE_1) | instskip(NEXT) | instid1(SALU_CYCLE_1)
	s_xor_b32 s5, s5, -1
	s_and_saveexec_b32 s6, s5
	s_cbranch_execz .LBB14_27
; %bb.43:                               ;   in Loop: Header=BB14_28 Depth=1
	v_add_co_u32 v14, s5, v168, v86
	s_delay_alu instid0(VALU_DEP_1)
	v_add_co_ci_u32_e64 v15, s5, v89, v87, s5
	flat_load_b32 v0, v[14:15]
	s_waitcnt vmcnt(0) lgkmcnt(0)
	v_mul_f32_e32 v0, s11, v0
	s_branch .LBB14_27
.LBB14_44:
	v_dual_mov_b32 v212, v54 :: v_dual_mov_b32 v213, v55
.LBB14_45:
	s_clause 0x2
	s_load_b64 s[2:3], s[0:1], 0x70
	s_load_b32 s6, s[0:1], 0x50
	s_load_b32 s5, s[0:1], 0x68
	ds_load_b128 v[16:19], v126 offset:2048
	ds_load_b128 v[12:15], v126 offset:2560
	;; [unrolled: 1-line block ×14, first 2 shown]
	v_add_nc_u32_e32 v89, s7, v213
	ds_load_b128 v[36:39], v125 offset:7424
	ds_load_b128 v[32:35], v125 offset:7552
	;; [unrolled: 1-line block ×6, first 2 shown]
	v_add_nc_u32_e32 v80, s14, v212
	v_cmp_gt_i32_e64 s4, s9, v89
	v_cndmask_b32_e64 v88, 0, 1, s22
	s_waitcnt lgkmcnt(0)
	s_lshl_b64 s[0:1], s[2:3], 2
	v_mad_i64_i32 v[81:82], null, v89, s6, 0
	v_mad_i64_i32 v[83:84], null, v89, s5, 0
	s_add_u32 s7, s16, s0
	s_addc_u32 s10, s17, s1
	v_cmp_gt_i32_e64 s0, s8, v80
	s_delay_alu instid0(VALU_DEP_3) | instskip(SKIP_1) | instid1(VALU_DEP_4)
	v_lshlrev_b64 v[85:86], 2, v[81:82]
	v_ashrrev_i32_e32 v81, 31, v80
	v_lshlrev_b64 v[82:83], 2, v[83:84]
	s_delay_alu instid0(VALU_DEP_4) | instskip(NEXT) | instid1(VALU_DEP_3)
	s_and_b32 s1, s0, s4
	v_add_co_u32 v123, vcc_lo, s12, v85
	s_delay_alu instid0(VALU_DEP_4) | instskip(NEXT) | instid1(VALU_DEP_3)
	v_add_co_ci_u32_e32 v125, vcc_lo, s13, v86, vcc_lo
	v_add_co_u32 v116, vcc_lo, s7, v82
	s_delay_alu instid0(VALU_DEP_4) | instskip(SKIP_1) | instid1(SALU_CYCLE_1)
	v_add_co_ci_u32_e32 v117, vcc_lo, s10, v83, vcc_lo
	s_and_saveexec_b32 s2, s1
	s_xor_b32 s1, exec_lo, s2
	s_cbranch_execz .LBB14_50
; %bb.46:
	s_and_not1_b32 vcc_lo, exec_lo, s22
	s_cbranch_vccnz .LBB14_48
; %bb.47:
	v_lshlrev_b64 v[82:83], 2, v[80:81]
	s_delay_alu instid0(VALU_DEP_1) | instskip(NEXT) | instid1(VALU_DEP_2)
	v_add_co_u32 v82, vcc_lo, v123, v82
	v_add_co_ci_u32_e32 v83, vcc_lo, v125, v83, vcc_lo
	flat_load_b32 v82, v[82:83]
	s_waitcnt vmcnt(0) lgkmcnt(0)
	v_mul_f32_e32 v82, s15, v82
	s_branch .LBB14_49
.LBB14_48:
	v_mov_b32_e32 v82, 0
.LBB14_49:
	v_dual_add_f32 v83, v17, v77 :: v_dual_add_f32 v84, v16, v76
	v_dual_add_f32 v85, v19, v79 :: v_dual_add_f32 v86, v18, v78
	s_delay_alu instid0(VALU_DEP_2) | instskip(SKIP_1) | instid1(VALU_DEP_3)
	v_min3_f32 v87, v84, v83, v165
	v_lshlrev_b64 v[83:84], 2, v[80:81]
	v_min_f32_e32 v85, v86, v85
	s_delay_alu instid0(VALU_DEP_1) | instskip(NEXT) | instid1(VALU_DEP_3)
	v_min3_f32 v85, v82, v85, v87
	v_add_co_u32 v82, vcc_lo, v116, v83
	s_delay_alu instid0(VALU_DEP_4)
	v_add_co_ci_u32_e32 v83, vcc_lo, v117, v84, vcc_lo
	global_store_b32 v[82:83], v85, off
.LBB14_50:
	s_or_b32 exec_lo, exec_lo, s1
	v_add_nc_u32_e32 v82, 32, v80
	s_delay_alu instid0(VALU_DEP_1) | instskip(SKIP_1) | instid1(VALU_DEP_2)
	v_cmp_gt_i32_e64 s1, s8, v82
	v_ashrrev_i32_e32 v83, 31, v82
	s_and_b32 s3, s1, s4
	s_delay_alu instid0(SALU_CYCLE_1)
	s_and_saveexec_b32 s2, s3
	s_cbranch_execz .LBB14_55
; %bb.51:
	v_cmp_ne_u32_e32 vcc_lo, 1, v88
	s_cbranch_vccnz .LBB14_53
; %bb.52:
	v_lshlrev_b64 v[84:85], 2, v[82:83]
	s_delay_alu instid0(VALU_DEP_1) | instskip(NEXT) | instid1(VALU_DEP_2)
	v_add_co_u32 v84, vcc_lo, v123, v84
	v_add_co_ci_u32_e32 v85, vcc_lo, v125, v85, vcc_lo
	flat_load_b32 v84, v[84:85]
	s_waitcnt vmcnt(0) lgkmcnt(0)
	v_mul_f32_e32 v84, s15, v84
	s_branch .LBB14_54
.LBB14_53:
	v_mov_b32_e32 v84, 0
.LBB14_54:
	v_dual_add_f32 v85, v13, v77 :: v_dual_add_f32 v86, v12, v76
	v_dual_add_f32 v87, v15, v79 :: v_dual_add_f32 v126, v14, v78
	s_delay_alu instid0(VALU_DEP_2) | instskip(SKIP_1) | instid1(VALU_DEP_3)
	v_min3_f32 v132, v86, v85, v164
	v_lshlrev_b64 v[85:86], 2, v[82:83]
	v_min_f32_e32 v87, v126, v87
	s_delay_alu instid0(VALU_DEP_1) | instskip(NEXT) | instid1(VALU_DEP_3)
	v_min3_f32 v87, v84, v87, v132
	v_add_co_u32 v84, vcc_lo, v116, v85
	s_delay_alu instid0(VALU_DEP_4)
	v_add_co_ci_u32_e32 v85, vcc_lo, v117, v86, vcc_lo
	global_store_b32 v[84:85], v87, off
.LBB14_55:
	s_or_b32 exec_lo, exec_lo, s2
	v_add_nc_u32_e32 v84, 64, v80
	s_delay_alu instid0(VALU_DEP_1) | instskip(SKIP_1) | instid1(VALU_DEP_2)
	v_cmp_gt_i32_e64 s2, s8, v84
	v_ashrrev_i32_e32 v85, 31, v84
	s_and_b32 s11, s2, s4
	s_delay_alu instid0(SALU_CYCLE_1)
	s_and_saveexec_b32 s3, s11
	s_cbranch_execz .LBB14_60
; %bb.56:
	v_cmp_ne_u32_e32 vcc_lo, 1, v88
	s_cbranch_vccnz .LBB14_58
; %bb.57:
	v_lshlrev_b64 v[86:87], 2, v[84:85]
	s_delay_alu instid0(VALU_DEP_1) | instskip(NEXT) | instid1(VALU_DEP_2)
	v_add_co_u32 v86, vcc_lo, v123, v86
	v_add_co_ci_u32_e32 v87, vcc_lo, v125, v87, vcc_lo
	flat_load_b32 v86, v[86:87]
	s_waitcnt vmcnt(0) lgkmcnt(0)
	v_mul_f32_e32 v86, s15, v86
	s_branch .LBB14_59
.LBB14_58:
	v_mov_b32_e32 v86, 0
.LBB14_59:
	v_dual_add_f32 v87, v9, v77 :: v_dual_add_f32 v126, v8, v76
	v_add_f32_e32 v132, v11, v79
	v_add_f32_e32 v152, v10, v78
	v_lshlrev_b64 v[154:155], 2, v[84:85]
	s_delay_alu instid0(VALU_DEP_4) | instskip(NEXT) | instid1(VALU_DEP_3)
	v_min3_f32 v87, v126, v87, v163
	v_min_f32_e32 v126, v152, v132
	s_delay_alu instid0(VALU_DEP_1) | instskip(NEXT) | instid1(VALU_DEP_4)
	v_min3_f32 v126, v86, v126, v87
	v_add_co_u32 v86, vcc_lo, v116, v154
	v_add_co_ci_u32_e32 v87, vcc_lo, v117, v155, vcc_lo
	global_store_b32 v[86:87], v126, off
.LBB14_60:
	s_or_b32 exec_lo, exec_lo, s3
	v_add_nc_u32_e32 v86, 0x60, v80
	s_delay_alu instid0(VALU_DEP_1) | instskip(SKIP_1) | instid1(VALU_DEP_2)
	v_cmp_gt_i32_e64 s3, s8, v86
	v_ashrrev_i32_e32 v87, 31, v86
	s_and_b32 s8, s3, s4
	s_delay_alu instid0(SALU_CYCLE_1)
	s_and_saveexec_b32 s4, s8
	s_cbranch_execz .LBB14_65
; %bb.61:
	v_cmp_ne_u32_e32 vcc_lo, 1, v88
	s_cbranch_vccnz .LBB14_63
; %bb.62:
	v_lshlrev_b64 v[154:155], 2, v[86:87]
	s_delay_alu instid0(VALU_DEP_1) | instskip(NEXT) | instid1(VALU_DEP_2)
	v_add_co_u32 v154, vcc_lo, v123, v154
	v_add_co_ci_u32_e32 v155, vcc_lo, v125, v155, vcc_lo
	flat_load_b32 v123, v[154:155]
	s_waitcnt vmcnt(0) lgkmcnt(0)
	v_mul_f32_e32 v123, s15, v123
	s_branch .LBB14_64
.LBB14_63:
	v_mov_b32_e32 v123, 0
.LBB14_64:
	v_dual_add_f32 v77, v1, v77 :: v_dual_add_f32 v76, v0, v76
	v_dual_add_f32 v79, v3, v79 :: v_dual_add_f32 v78, v2, v78
	s_delay_alu instid0(VALU_DEP_2) | instskip(SKIP_1) | instid1(VALU_DEP_3)
	v_min3_f32 v125, v76, v77, v162
	v_lshlrev_b64 v[76:77], 2, v[86:87]
	v_min_f32_e32 v78, v78, v79
	s_delay_alu instid0(VALU_DEP_1) | instskip(NEXT) | instid1(VALU_DEP_3)
	v_min3_f32 v78, v123, v78, v125
	v_add_co_u32 v76, vcc_lo, v116, v76
	s_delay_alu instid0(VALU_DEP_4)
	v_add_co_ci_u32_e32 v77, vcc_lo, v117, v77, vcc_lo
	global_store_b32 v[76:77], v78, off
.LBB14_65:
	s_or_b32 exec_lo, exec_lo, s4
	v_add_nc_u32_e32 v116, 8, v89
	s_delay_alu instid0(VALU_DEP_1) | instskip(SKIP_2) | instid1(VALU_DEP_3)
	v_mad_i64_i32 v[76:77], null, v116, s6, 0
	v_mad_i64_i32 v[78:79], null, v116, s5, 0
	v_cmp_gt_i32_e64 s4, s9, v116
	v_lshlrev_b64 v[76:77], 2, v[76:77]
	s_delay_alu instid0(VALU_DEP_2) | instskip(NEXT) | instid1(VALU_DEP_3)
	s_and_b32 s11, s0, s4
	v_lshlrev_b64 v[116:117], 2, v[78:79]
	s_delay_alu instid0(VALU_DEP_2) | instskip(NEXT) | instid1(VALU_DEP_3)
	v_add_co_u32 v78, vcc_lo, s12, v76
	v_add_co_ci_u32_e32 v79, vcc_lo, s13, v77, vcc_lo
	s_delay_alu instid0(VALU_DEP_3) | instskip(NEXT) | instid1(VALU_DEP_4)
	v_add_co_u32 v76, vcc_lo, s7, v116
	v_add_co_ci_u32_e32 v77, vcc_lo, s10, v117, vcc_lo
	s_and_saveexec_b32 s8, s11
	s_cbranch_execnz .LBB14_69
; %bb.66:
	s_or_b32 exec_lo, exec_lo, s8
	s_and_b32 s11, s1, s4
	s_delay_alu instid0(SALU_CYCLE_1)
	s_and_saveexec_b32 s8, s11
	s_cbranch_execnz .LBB14_73
.LBB14_67:
	s_or_b32 exec_lo, exec_lo, s8
	s_and_b32 s11, s2, s4
	s_delay_alu instid0(SALU_CYCLE_1)
	s_and_saveexec_b32 s8, s11
	s_cbranch_execnz .LBB14_77
.LBB14_68:
	s_or_b32 exec_lo, exec_lo, s8
	s_and_b32 s8, s3, s4
	s_delay_alu instid0(SALU_CYCLE_1)
	s_and_saveexec_b32 s4, s8
	s_cbranch_execnz .LBB14_81
	s_branch .LBB14_85
.LBB14_69:
	v_cmp_ne_u32_e32 vcc_lo, 1, v88
	s_cbranch_vccnz .LBB14_71
; %bb.70:
	v_lshlrev_b64 v[116:117], 2, v[80:81]
	s_delay_alu instid0(VALU_DEP_1) | instskip(NEXT) | instid1(VALU_DEP_2)
	v_add_co_u32 v116, vcc_lo, v78, v116
	v_add_co_ci_u32_e32 v117, vcc_lo, v79, v117, vcc_lo
	flat_load_b32 v116, v[116:117]
	s_waitcnt vmcnt(0) lgkmcnt(0)
	v_mul_f32_e32 v116, s15, v116
	s_branch .LBB14_72
.LBB14_71:
	v_mov_b32_e32 v116, 0
.LBB14_72:
	v_dual_add_f32 v117, v17, v73 :: v_dual_add_f32 v126, v18, v74
	v_add_f32_e32 v123, v16, v72
	v_add_f32_e32 v125, v19, v75
	s_delay_alu instid0(VALU_DEP_2) | instskip(NEXT) | instid1(VALU_DEP_2)
	v_min3_f32 v117, v123, v117, v161
	v_min_f32_e32 v123, v126, v125
	v_lshlrev_b64 v[125:126], 2, v[80:81]
	s_delay_alu instid0(VALU_DEP_2) | instskip(NEXT) | instid1(VALU_DEP_2)
	v_min3_f32 v123, v116, v123, v117
	v_add_co_u32 v116, vcc_lo, v76, v125
	s_delay_alu instid0(VALU_DEP_3) | instskip(SKIP_3) | instid1(SALU_CYCLE_1)
	v_add_co_ci_u32_e32 v117, vcc_lo, v77, v126, vcc_lo
	global_store_b32 v[116:117], v123, off
	s_or_b32 exec_lo, exec_lo, s8
	s_and_b32 s11, s1, s4
	s_and_saveexec_b32 s8, s11
	s_cbranch_execz .LBB14_67
.LBB14_73:
	v_cmp_ne_u32_e32 vcc_lo, 1, v88
	s_cbranch_vccnz .LBB14_75
; %bb.74:
	v_lshlrev_b64 v[116:117], 2, v[82:83]
	s_delay_alu instid0(VALU_DEP_1) | instskip(NEXT) | instid1(VALU_DEP_2)
	v_add_co_u32 v116, vcc_lo, v78, v116
	v_add_co_ci_u32_e32 v117, vcc_lo, v79, v117, vcc_lo
	flat_load_b32 v116, v[116:117]
	s_waitcnt vmcnt(0) lgkmcnt(0)
	v_mul_f32_e32 v116, s15, v116
	s_branch .LBB14_76
.LBB14_75:
	v_mov_b32_e32 v116, 0
.LBB14_76:
	v_dual_add_f32 v117, v13, v73 :: v_dual_add_f32 v126, v14, v74
	v_add_f32_e32 v123, v12, v72
	v_add_f32_e32 v125, v15, v75
	s_delay_alu instid0(VALU_DEP_2) | instskip(NEXT) | instid1(VALU_DEP_2)
	v_min3_f32 v117, v123, v117, v160
	v_min_f32_e32 v123, v126, v125
	v_lshlrev_b64 v[125:126], 2, v[82:83]
	s_delay_alu instid0(VALU_DEP_2) | instskip(NEXT) | instid1(VALU_DEP_2)
	v_min3_f32 v123, v116, v123, v117
	v_add_co_u32 v116, vcc_lo, v76, v125
	s_delay_alu instid0(VALU_DEP_3) | instskip(SKIP_3) | instid1(SALU_CYCLE_1)
	v_add_co_ci_u32_e32 v117, vcc_lo, v77, v126, vcc_lo
	global_store_b32 v[116:117], v123, off
	s_or_b32 exec_lo, exec_lo, s8
	s_and_b32 s11, s2, s4
	s_and_saveexec_b32 s8, s11
	s_cbranch_execz .LBB14_68
.LBB14_77:
	v_cmp_ne_u32_e32 vcc_lo, 1, v88
	s_cbranch_vccnz .LBB14_79
; %bb.78:
	v_lshlrev_b64 v[116:117], 2, v[84:85]
	s_delay_alu instid0(VALU_DEP_1) | instskip(NEXT) | instid1(VALU_DEP_2)
	v_add_co_u32 v116, vcc_lo, v78, v116
	v_add_co_ci_u32_e32 v117, vcc_lo, v79, v117, vcc_lo
	flat_load_b32 v116, v[116:117]
	s_waitcnt vmcnt(0) lgkmcnt(0)
	v_mul_f32_e32 v116, s15, v116
	s_branch .LBB14_80
.LBB14_79:
	v_mov_b32_e32 v116, 0
.LBB14_80:
	v_dual_add_f32 v117, v9, v73 :: v_dual_add_f32 v126, v10, v74
	v_add_f32_e32 v123, v8, v72
	v_add_f32_e32 v125, v11, v75
	s_delay_alu instid0(VALU_DEP_2) | instskip(NEXT) | instid1(VALU_DEP_2)
	v_min3_f32 v117, v123, v117, v159
	v_min_f32_e32 v123, v126, v125
	v_lshlrev_b64 v[125:126], 2, v[84:85]
	s_delay_alu instid0(VALU_DEP_2) | instskip(NEXT) | instid1(VALU_DEP_2)
	v_min3_f32 v123, v116, v123, v117
	v_add_co_u32 v116, vcc_lo, v76, v125
	s_delay_alu instid0(VALU_DEP_3) | instskip(SKIP_3) | instid1(SALU_CYCLE_1)
	v_add_co_ci_u32_e32 v117, vcc_lo, v77, v126, vcc_lo
	global_store_b32 v[116:117], v123, off
	s_or_b32 exec_lo, exec_lo, s8
	s_and_b32 s8, s3, s4
	s_and_saveexec_b32 s4, s8
	s_cbranch_execz .LBB14_85
.LBB14_81:
	v_cmp_ne_u32_e32 vcc_lo, 1, v88
	s_cbranch_vccnz .LBB14_83
; %bb.82:
	v_lshlrev_b64 v[116:117], 2, v[86:87]
	s_delay_alu instid0(VALU_DEP_1) | instskip(NEXT) | instid1(VALU_DEP_2)
	v_add_co_u32 v78, vcc_lo, v78, v116
	v_add_co_ci_u32_e32 v79, vcc_lo, v79, v117, vcc_lo
	flat_load_b32 v78, v[78:79]
	s_waitcnt vmcnt(0) lgkmcnt(0)
	v_mul_f32_e32 v78, s15, v78
	s_branch .LBB14_84
.LBB14_83:
	v_mov_b32_e32 v78, 0
.LBB14_84:
	v_dual_add_f32 v73, v1, v73 :: v_dual_add_f32 v72, v0, v72
	v_dual_add_f32 v75, v3, v75 :: v_dual_add_f32 v74, v2, v74
	s_delay_alu instid0(VALU_DEP_2) | instskip(SKIP_1) | instid1(VALU_DEP_3)
	v_min3_f32 v79, v72, v73, v153
	v_lshlrev_b64 v[72:73], 2, v[86:87]
	v_min_f32_e32 v74, v74, v75
	s_delay_alu instid0(VALU_DEP_1) | instskip(NEXT) | instid1(VALU_DEP_3)
	v_min3_f32 v74, v78, v74, v79
	v_add_co_u32 v72, vcc_lo, v76, v72
	s_delay_alu instid0(VALU_DEP_4)
	v_add_co_ci_u32_e32 v73, vcc_lo, v77, v73, vcc_lo
	global_store_b32 v[72:73], v74, off
.LBB14_85:
	s_or_b32 exec_lo, exec_lo, s4
	v_add_nc_u32_e32 v76, 16, v89
	s_delay_alu instid0(VALU_DEP_1) | instskip(SKIP_2) | instid1(VALU_DEP_3)
	v_mad_i64_i32 v[72:73], null, v76, s6, 0
	v_mad_i64_i32 v[74:75], null, v76, s5, 0
	v_cmp_gt_i32_e64 s4, s9, v76
	v_lshlrev_b64 v[72:73], 2, v[72:73]
	s_delay_alu instid0(VALU_DEP_2) | instskip(NEXT) | instid1(VALU_DEP_3)
	s_and_b32 s11, s0, s4
	v_lshlrev_b64 v[76:77], 2, v[74:75]
	s_delay_alu instid0(VALU_DEP_2) | instskip(NEXT) | instid1(VALU_DEP_3)
	v_add_co_u32 v74, vcc_lo, s12, v72
	v_add_co_ci_u32_e32 v75, vcc_lo, s13, v73, vcc_lo
	s_delay_alu instid0(VALU_DEP_3) | instskip(NEXT) | instid1(VALU_DEP_4)
	v_add_co_u32 v72, vcc_lo, s7, v76
	v_add_co_ci_u32_e32 v73, vcc_lo, s10, v77, vcc_lo
	s_and_saveexec_b32 s8, s11
	s_cbranch_execnz .LBB14_89
; %bb.86:
	s_or_b32 exec_lo, exec_lo, s8
	s_and_b32 s11, s1, s4
	s_delay_alu instid0(SALU_CYCLE_1)
	s_and_saveexec_b32 s8, s11
	s_cbranch_execnz .LBB14_93
.LBB14_87:
	s_or_b32 exec_lo, exec_lo, s8
	s_and_b32 s11, s2, s4
	s_delay_alu instid0(SALU_CYCLE_1)
	s_and_saveexec_b32 s8, s11
	s_cbranch_execnz .LBB14_97
.LBB14_88:
	s_or_b32 exec_lo, exec_lo, s8
	s_and_b32 s8, s3, s4
	s_delay_alu instid0(SALU_CYCLE_1)
	s_and_saveexec_b32 s4, s8
	s_cbranch_execnz .LBB14_101
	s_branch .LBB14_105
.LBB14_89:
	v_cmp_ne_u32_e32 vcc_lo, 1, v88
	s_cbranch_vccnz .LBB14_91
; %bb.90:
	v_lshlrev_b64 v[76:77], 2, v[80:81]
	s_delay_alu instid0(VALU_DEP_1) | instskip(NEXT) | instid1(VALU_DEP_2)
	v_add_co_u32 v76, vcc_lo, v74, v76
	v_add_co_ci_u32_e32 v77, vcc_lo, v75, v77, vcc_lo
	flat_load_b32 v76, v[76:77]
	s_waitcnt vmcnt(0) lgkmcnt(0)
	v_mul_f32_e32 v76, s15, v76
	s_branch .LBB14_92
.LBB14_91:
	v_mov_b32_e32 v76, 0
.LBB14_92:
	v_dual_add_f32 v77, v17, v69 :: v_dual_add_f32 v78, v16, v68
	v_dual_add_f32 v79, v19, v71 :: v_dual_add_f32 v116, v18, v70
	s_delay_alu instid0(VALU_DEP_2) | instskip(SKIP_1) | instid1(VALU_DEP_3)
	v_min3_f32 v117, v78, v77, v151
	v_lshlrev_b64 v[77:78], 2, v[80:81]
	v_min_f32_e32 v79, v116, v79
	s_delay_alu instid0(VALU_DEP_1) | instskip(NEXT) | instid1(VALU_DEP_3)
	v_min3_f32 v79, v76, v79, v117
	v_add_co_u32 v76, vcc_lo, v72, v77
	s_delay_alu instid0(VALU_DEP_4) | instskip(SKIP_3) | instid1(SALU_CYCLE_1)
	v_add_co_ci_u32_e32 v77, vcc_lo, v73, v78, vcc_lo
	global_store_b32 v[76:77], v79, off
	s_or_b32 exec_lo, exec_lo, s8
	s_and_b32 s11, s1, s4
	s_and_saveexec_b32 s8, s11
	s_cbranch_execz .LBB14_87
.LBB14_93:
	v_cmp_ne_u32_e32 vcc_lo, 1, v88
	s_cbranch_vccnz .LBB14_95
; %bb.94:
	v_lshlrev_b64 v[76:77], 2, v[82:83]
	s_delay_alu instid0(VALU_DEP_1) | instskip(NEXT) | instid1(VALU_DEP_2)
	v_add_co_u32 v76, vcc_lo, v74, v76
	v_add_co_ci_u32_e32 v77, vcc_lo, v75, v77, vcc_lo
	flat_load_b32 v76, v[76:77]
	s_waitcnt vmcnt(0) lgkmcnt(0)
	v_mul_f32_e32 v76, s15, v76
	s_branch .LBB14_96
.LBB14_95:
	v_mov_b32_e32 v76, 0
.LBB14_96:
	v_dual_add_f32 v77, v13, v69 :: v_dual_add_f32 v78, v12, v68
	v_dual_add_f32 v79, v15, v71 :: v_dual_add_f32 v116, v14, v70
	s_delay_alu instid0(VALU_DEP_2) | instskip(SKIP_1) | instid1(VALU_DEP_3)
	v_min3_f32 v117, v78, v77, v150
	v_lshlrev_b64 v[77:78], 2, v[82:83]
	v_min_f32_e32 v79, v116, v79
	s_delay_alu instid0(VALU_DEP_1) | instskip(NEXT) | instid1(VALU_DEP_3)
	v_min3_f32 v79, v76, v79, v117
	v_add_co_u32 v76, vcc_lo, v72, v77
	s_delay_alu instid0(VALU_DEP_4) | instskip(SKIP_3) | instid1(SALU_CYCLE_1)
	v_add_co_ci_u32_e32 v77, vcc_lo, v73, v78, vcc_lo
	global_store_b32 v[76:77], v79, off
	s_or_b32 exec_lo, exec_lo, s8
	s_and_b32 s11, s2, s4
	s_and_saveexec_b32 s8, s11
	s_cbranch_execz .LBB14_88
.LBB14_97:
	v_cmp_ne_u32_e32 vcc_lo, 1, v88
	s_cbranch_vccnz .LBB14_99
; %bb.98:
	v_lshlrev_b64 v[76:77], 2, v[84:85]
	s_delay_alu instid0(VALU_DEP_1) | instskip(NEXT) | instid1(VALU_DEP_2)
	v_add_co_u32 v76, vcc_lo, v74, v76
	v_add_co_ci_u32_e32 v77, vcc_lo, v75, v77, vcc_lo
	flat_load_b32 v76, v[76:77]
	s_waitcnt vmcnt(0) lgkmcnt(0)
	v_mul_f32_e32 v76, s15, v76
	s_branch .LBB14_100
.LBB14_99:
	v_mov_b32_e32 v76, 0
.LBB14_100:
	v_dual_add_f32 v77, v9, v69 :: v_dual_add_f32 v78, v8, v68
	v_dual_add_f32 v79, v11, v71 :: v_dual_add_f32 v116, v10, v70
	s_delay_alu instid0(VALU_DEP_2) | instskip(SKIP_1) | instid1(VALU_DEP_3)
	v_min3_f32 v117, v78, v77, v149
	v_lshlrev_b64 v[77:78], 2, v[84:85]
	v_min_f32_e32 v79, v116, v79
	s_delay_alu instid0(VALU_DEP_1) | instskip(NEXT) | instid1(VALU_DEP_3)
	v_min3_f32 v79, v76, v79, v117
	v_add_co_u32 v76, vcc_lo, v72, v77
	s_delay_alu instid0(VALU_DEP_4) | instskip(SKIP_3) | instid1(SALU_CYCLE_1)
	v_add_co_ci_u32_e32 v77, vcc_lo, v73, v78, vcc_lo
	global_store_b32 v[76:77], v79, off
	s_or_b32 exec_lo, exec_lo, s8
	s_and_b32 s8, s3, s4
	s_and_saveexec_b32 s4, s8
	s_cbranch_execz .LBB14_105
.LBB14_101:
	v_cmp_ne_u32_e32 vcc_lo, 1, v88
	s_cbranch_vccnz .LBB14_103
; %bb.102:
	v_lshlrev_b64 v[76:77], 2, v[86:87]
	s_delay_alu instid0(VALU_DEP_1) | instskip(NEXT) | instid1(VALU_DEP_2)
	v_add_co_u32 v74, vcc_lo, v74, v76
	v_add_co_ci_u32_e32 v75, vcc_lo, v75, v77, vcc_lo
	flat_load_b32 v74, v[74:75]
	s_waitcnt vmcnt(0) lgkmcnt(0)
	v_mul_f32_e32 v74, s15, v74
	s_branch .LBB14_104
.LBB14_103:
	v_mov_b32_e32 v74, 0
.LBB14_104:
	v_dual_add_f32 v69, v1, v69 :: v_dual_add_f32 v68, v0, v68
	v_dual_add_f32 v71, v3, v71 :: v_dual_add_f32 v70, v2, v70
	s_delay_alu instid0(VALU_DEP_2) | instskip(SKIP_1) | instid1(VALU_DEP_3)
	v_min3_f32 v75, v68, v69, v148
	v_lshlrev_b64 v[68:69], 2, v[86:87]
	v_min_f32_e32 v70, v70, v71
	s_delay_alu instid0(VALU_DEP_1) | instskip(NEXT) | instid1(VALU_DEP_3)
	v_min3_f32 v70, v74, v70, v75
	v_add_co_u32 v68, vcc_lo, v72, v68
	s_delay_alu instid0(VALU_DEP_4)
	v_add_co_ci_u32_e32 v69, vcc_lo, v73, v69, vcc_lo
	global_store_b32 v[68:69], v70, off
.LBB14_105:
	s_or_b32 exec_lo, exec_lo, s4
	v_add_nc_u32_e32 v72, 24, v89
	s_delay_alu instid0(VALU_DEP_1) | instskip(SKIP_2) | instid1(VALU_DEP_3)
	v_mad_i64_i32 v[68:69], null, v72, s6, 0
	v_mad_i64_i32 v[70:71], null, v72, s5, 0
	v_cmp_gt_i32_e64 s4, s9, v72
	v_lshlrev_b64 v[68:69], 2, v[68:69]
	s_delay_alu instid0(VALU_DEP_2) | instskip(NEXT) | instid1(VALU_DEP_3)
	s_and_b32 s11, s0, s4
	v_lshlrev_b64 v[72:73], 2, v[70:71]
	s_delay_alu instid0(VALU_DEP_2) | instskip(NEXT) | instid1(VALU_DEP_3)
	v_add_co_u32 v70, vcc_lo, s12, v68
	v_add_co_ci_u32_e32 v71, vcc_lo, s13, v69, vcc_lo
	s_delay_alu instid0(VALU_DEP_3) | instskip(NEXT) | instid1(VALU_DEP_4)
	v_add_co_u32 v68, vcc_lo, s7, v72
	v_add_co_ci_u32_e32 v69, vcc_lo, s10, v73, vcc_lo
	s_and_saveexec_b32 s8, s11
	s_cbranch_execnz .LBB14_109
; %bb.106:
	s_or_b32 exec_lo, exec_lo, s8
	s_and_b32 s11, s1, s4
	s_delay_alu instid0(SALU_CYCLE_1)
	s_and_saveexec_b32 s8, s11
	s_cbranch_execnz .LBB14_113
.LBB14_107:
	s_or_b32 exec_lo, exec_lo, s8
	s_and_b32 s11, s2, s4
	s_delay_alu instid0(SALU_CYCLE_1)
	s_and_saveexec_b32 s8, s11
	s_cbranch_execnz .LBB14_117
.LBB14_108:
	s_or_b32 exec_lo, exec_lo, s8
	s_and_b32 s8, s3, s4
	s_delay_alu instid0(SALU_CYCLE_1)
	s_and_saveexec_b32 s4, s8
	s_cbranch_execnz .LBB14_121
	s_branch .LBB14_125
.LBB14_109:
	v_cmp_ne_u32_e32 vcc_lo, 1, v88
	s_cbranch_vccnz .LBB14_111
; %bb.110:
	v_lshlrev_b64 v[72:73], 2, v[80:81]
	s_delay_alu instid0(VALU_DEP_1) | instskip(NEXT) | instid1(VALU_DEP_2)
	v_add_co_u32 v72, vcc_lo, v70, v72
	v_add_co_ci_u32_e32 v73, vcc_lo, v71, v73, vcc_lo
	flat_load_b32 v72, v[72:73]
	s_waitcnt vmcnt(0) lgkmcnt(0)
	v_mul_f32_e32 v72, s15, v72
	s_branch .LBB14_112
.LBB14_111:
	v_mov_b32_e32 v72, 0
.LBB14_112:
	v_dual_add_f32 v73, v17, v65 :: v_dual_add_f32 v74, v16, v64
	v_dual_add_f32 v75, v19, v67 :: v_dual_add_f32 v76, v18, v66
	s_delay_alu instid0(VALU_DEP_2) | instskip(SKIP_1) | instid1(VALU_DEP_3)
	v_min3_f32 v77, v74, v73, v147
	v_lshlrev_b64 v[73:74], 2, v[80:81]
	v_min_f32_e32 v75, v76, v75
	s_delay_alu instid0(VALU_DEP_1) | instskip(NEXT) | instid1(VALU_DEP_3)
	v_min3_f32 v75, v72, v75, v77
	v_add_co_u32 v72, vcc_lo, v68, v73
	s_delay_alu instid0(VALU_DEP_4) | instskip(SKIP_3) | instid1(SALU_CYCLE_1)
	v_add_co_ci_u32_e32 v73, vcc_lo, v69, v74, vcc_lo
	global_store_b32 v[72:73], v75, off
	s_or_b32 exec_lo, exec_lo, s8
	s_and_b32 s11, s1, s4
	s_and_saveexec_b32 s8, s11
	s_cbranch_execz .LBB14_107
.LBB14_113:
	v_cmp_ne_u32_e32 vcc_lo, 1, v88
	s_cbranch_vccnz .LBB14_115
; %bb.114:
	v_lshlrev_b64 v[72:73], 2, v[82:83]
	s_delay_alu instid0(VALU_DEP_1) | instskip(NEXT) | instid1(VALU_DEP_2)
	v_add_co_u32 v72, vcc_lo, v70, v72
	v_add_co_ci_u32_e32 v73, vcc_lo, v71, v73, vcc_lo
	flat_load_b32 v72, v[72:73]
	s_waitcnt vmcnt(0) lgkmcnt(0)
	v_mul_f32_e32 v72, s15, v72
	s_branch .LBB14_116
.LBB14_115:
	v_mov_b32_e32 v72, 0
.LBB14_116:
	v_dual_add_f32 v73, v13, v65 :: v_dual_add_f32 v74, v12, v64
	v_dual_add_f32 v75, v15, v67 :: v_dual_add_f32 v76, v14, v66
	s_delay_alu instid0(VALU_DEP_2) | instskip(SKIP_1) | instid1(VALU_DEP_3)
	v_min3_f32 v77, v74, v73, v146
	v_lshlrev_b64 v[73:74], 2, v[82:83]
	v_min_f32_e32 v75, v76, v75
	s_delay_alu instid0(VALU_DEP_1) | instskip(NEXT) | instid1(VALU_DEP_3)
	v_min3_f32 v75, v72, v75, v77
	v_add_co_u32 v72, vcc_lo, v68, v73
	s_delay_alu instid0(VALU_DEP_4) | instskip(SKIP_3) | instid1(SALU_CYCLE_1)
	v_add_co_ci_u32_e32 v73, vcc_lo, v69, v74, vcc_lo
	global_store_b32 v[72:73], v75, off
	s_or_b32 exec_lo, exec_lo, s8
	s_and_b32 s11, s2, s4
	s_and_saveexec_b32 s8, s11
	s_cbranch_execz .LBB14_108
.LBB14_117:
	v_cmp_ne_u32_e32 vcc_lo, 1, v88
	s_cbranch_vccnz .LBB14_119
; %bb.118:
	v_lshlrev_b64 v[72:73], 2, v[84:85]
	s_delay_alu instid0(VALU_DEP_1) | instskip(NEXT) | instid1(VALU_DEP_2)
	v_add_co_u32 v72, vcc_lo, v70, v72
	v_add_co_ci_u32_e32 v73, vcc_lo, v71, v73, vcc_lo
	flat_load_b32 v72, v[72:73]
	s_waitcnt vmcnt(0) lgkmcnt(0)
	v_mul_f32_e32 v72, s15, v72
	s_branch .LBB14_120
.LBB14_119:
	v_mov_b32_e32 v72, 0
.LBB14_120:
	v_dual_add_f32 v73, v9, v65 :: v_dual_add_f32 v74, v8, v64
	v_dual_add_f32 v75, v11, v67 :: v_dual_add_f32 v76, v10, v66
	s_delay_alu instid0(VALU_DEP_2) | instskip(SKIP_1) | instid1(VALU_DEP_3)
	v_min3_f32 v77, v74, v73, v145
	v_lshlrev_b64 v[73:74], 2, v[84:85]
	v_min_f32_e32 v75, v76, v75
	s_delay_alu instid0(VALU_DEP_1) | instskip(NEXT) | instid1(VALU_DEP_3)
	v_min3_f32 v75, v72, v75, v77
	v_add_co_u32 v72, vcc_lo, v68, v73
	s_delay_alu instid0(VALU_DEP_4) | instskip(SKIP_3) | instid1(SALU_CYCLE_1)
	v_add_co_ci_u32_e32 v73, vcc_lo, v69, v74, vcc_lo
	global_store_b32 v[72:73], v75, off
	s_or_b32 exec_lo, exec_lo, s8
	s_and_b32 s8, s3, s4
	s_and_saveexec_b32 s4, s8
	s_cbranch_execz .LBB14_125
.LBB14_121:
	v_cmp_ne_u32_e32 vcc_lo, 1, v88
	s_cbranch_vccnz .LBB14_123
; %bb.122:
	v_lshlrev_b64 v[72:73], 2, v[86:87]
	s_delay_alu instid0(VALU_DEP_1) | instskip(NEXT) | instid1(VALU_DEP_2)
	v_add_co_u32 v70, vcc_lo, v70, v72
	v_add_co_ci_u32_e32 v71, vcc_lo, v71, v73, vcc_lo
	flat_load_b32 v70, v[70:71]
	s_waitcnt vmcnt(0) lgkmcnt(0)
	v_mul_f32_e32 v70, s15, v70
	s_branch .LBB14_124
.LBB14_123:
	v_mov_b32_e32 v70, 0
.LBB14_124:
	v_dual_add_f32 v65, v1, v65 :: v_dual_add_f32 v64, v0, v64
	v_dual_add_f32 v67, v3, v67 :: v_dual_add_f32 v66, v2, v66
	s_delay_alu instid0(VALU_DEP_2) | instskip(SKIP_1) | instid1(VALU_DEP_3)
	v_min3_f32 v71, v64, v65, v144
	v_lshlrev_b64 v[64:65], 2, v[86:87]
	v_min_f32_e32 v66, v66, v67
	s_delay_alu instid0(VALU_DEP_1) | instskip(NEXT) | instid1(VALU_DEP_3)
	v_min3_f32 v66, v70, v66, v71
	v_add_co_u32 v64, vcc_lo, v68, v64
	s_delay_alu instid0(VALU_DEP_4)
	v_add_co_ci_u32_e32 v65, vcc_lo, v69, v65, vcc_lo
	global_store_b32 v[64:65], v66, off
.LBB14_125:
	s_or_b32 exec_lo, exec_lo, s4
	v_add_nc_u32_e32 v68, 32, v89
	s_delay_alu instid0(VALU_DEP_1) | instskip(SKIP_2) | instid1(VALU_DEP_3)
	v_mad_i64_i32 v[64:65], null, v68, s6, 0
	v_mad_i64_i32 v[66:67], null, v68, s5, 0
	v_cmp_gt_i32_e64 s4, s9, v68
	v_lshlrev_b64 v[64:65], 2, v[64:65]
	s_delay_alu instid0(VALU_DEP_2) | instskip(NEXT) | instid1(VALU_DEP_3)
	s_and_b32 s11, s0, s4
	v_lshlrev_b64 v[68:69], 2, v[66:67]
	s_delay_alu instid0(VALU_DEP_2) | instskip(NEXT) | instid1(VALU_DEP_3)
	v_add_co_u32 v66, vcc_lo, s12, v64
	v_add_co_ci_u32_e32 v67, vcc_lo, s13, v65, vcc_lo
	s_delay_alu instid0(VALU_DEP_3) | instskip(NEXT) | instid1(VALU_DEP_4)
	v_add_co_u32 v64, vcc_lo, s7, v68
	v_add_co_ci_u32_e32 v65, vcc_lo, s10, v69, vcc_lo
	s_and_saveexec_b32 s8, s11
	s_cbranch_execnz .LBB14_129
; %bb.126:
	s_or_b32 exec_lo, exec_lo, s8
	s_and_b32 s11, s1, s4
	s_delay_alu instid0(SALU_CYCLE_1)
	s_and_saveexec_b32 s8, s11
	s_cbranch_execnz .LBB14_133
.LBB14_127:
	s_or_b32 exec_lo, exec_lo, s8
	s_and_b32 s11, s2, s4
	s_delay_alu instid0(SALU_CYCLE_1)
	s_and_saveexec_b32 s8, s11
	s_cbranch_execnz .LBB14_137
.LBB14_128:
	s_or_b32 exec_lo, exec_lo, s8
	s_and_b32 s8, s3, s4
	s_delay_alu instid0(SALU_CYCLE_1)
	s_and_saveexec_b32 s4, s8
	s_cbranch_execnz .LBB14_141
	s_branch .LBB14_145
.LBB14_129:
	v_cmp_ne_u32_e32 vcc_lo, 1, v88
	s_cbranch_vccnz .LBB14_131
; %bb.130:
	v_lshlrev_b64 v[68:69], 2, v[80:81]
	s_delay_alu instid0(VALU_DEP_1) | instskip(NEXT) | instid1(VALU_DEP_2)
	v_add_co_u32 v68, vcc_lo, v66, v68
	v_add_co_ci_u32_e32 v69, vcc_lo, v67, v69, vcc_lo
	flat_load_b32 v68, v[68:69]
	s_waitcnt vmcnt(0) lgkmcnt(0)
	v_mul_f32_e32 v68, s15, v68
	s_branch .LBB14_132
.LBB14_131:
	v_mov_b32_e32 v68, 0
.LBB14_132:
	v_dual_add_f32 v69, v17, v61 :: v_dual_add_f32 v70, v16, v60
	v_dual_add_f32 v71, v19, v63 :: v_dual_add_f32 v72, v18, v62
	s_delay_alu instid0(VALU_DEP_2) | instskip(SKIP_1) | instid1(VALU_DEP_3)
	v_min3_f32 v73, v70, v69, v143
	v_lshlrev_b64 v[69:70], 2, v[80:81]
	v_min_f32_e32 v71, v72, v71
	s_delay_alu instid0(VALU_DEP_1) | instskip(NEXT) | instid1(VALU_DEP_3)
	v_min3_f32 v71, v68, v71, v73
	v_add_co_u32 v68, vcc_lo, v64, v69
	s_delay_alu instid0(VALU_DEP_4) | instskip(SKIP_3) | instid1(SALU_CYCLE_1)
	v_add_co_ci_u32_e32 v69, vcc_lo, v65, v70, vcc_lo
	global_store_b32 v[68:69], v71, off
	s_or_b32 exec_lo, exec_lo, s8
	s_and_b32 s11, s1, s4
	s_and_saveexec_b32 s8, s11
	s_cbranch_execz .LBB14_127
.LBB14_133:
	v_cmp_ne_u32_e32 vcc_lo, 1, v88
	s_cbranch_vccnz .LBB14_135
; %bb.134:
	v_lshlrev_b64 v[68:69], 2, v[82:83]
	s_delay_alu instid0(VALU_DEP_1) | instskip(NEXT) | instid1(VALU_DEP_2)
	v_add_co_u32 v68, vcc_lo, v66, v68
	v_add_co_ci_u32_e32 v69, vcc_lo, v67, v69, vcc_lo
	flat_load_b32 v68, v[68:69]
	s_waitcnt vmcnt(0) lgkmcnt(0)
	v_mul_f32_e32 v68, s15, v68
	s_branch .LBB14_136
.LBB14_135:
	v_mov_b32_e32 v68, 0
.LBB14_136:
	v_dual_add_f32 v69, v13, v61 :: v_dual_add_f32 v70, v12, v60
	v_dual_add_f32 v71, v15, v63 :: v_dual_add_f32 v72, v14, v62
	s_delay_alu instid0(VALU_DEP_2) | instskip(SKIP_1) | instid1(VALU_DEP_3)
	v_min3_f32 v73, v70, v69, v142
	v_lshlrev_b64 v[69:70], 2, v[82:83]
	v_min_f32_e32 v71, v72, v71
	s_delay_alu instid0(VALU_DEP_1) | instskip(NEXT) | instid1(VALU_DEP_3)
	v_min3_f32 v71, v68, v71, v73
	v_add_co_u32 v68, vcc_lo, v64, v69
	s_delay_alu instid0(VALU_DEP_4) | instskip(SKIP_3) | instid1(SALU_CYCLE_1)
	v_add_co_ci_u32_e32 v69, vcc_lo, v65, v70, vcc_lo
	global_store_b32 v[68:69], v71, off
	s_or_b32 exec_lo, exec_lo, s8
	s_and_b32 s11, s2, s4
	s_and_saveexec_b32 s8, s11
	s_cbranch_execz .LBB14_128
.LBB14_137:
	v_cmp_ne_u32_e32 vcc_lo, 1, v88
	s_cbranch_vccnz .LBB14_139
; %bb.138:
	v_lshlrev_b64 v[68:69], 2, v[84:85]
	s_delay_alu instid0(VALU_DEP_1) | instskip(NEXT) | instid1(VALU_DEP_2)
	v_add_co_u32 v68, vcc_lo, v66, v68
	v_add_co_ci_u32_e32 v69, vcc_lo, v67, v69, vcc_lo
	flat_load_b32 v68, v[68:69]
	s_waitcnt vmcnt(0) lgkmcnt(0)
	v_mul_f32_e32 v68, s15, v68
	s_branch .LBB14_140
.LBB14_139:
	v_mov_b32_e32 v68, 0
.LBB14_140:
	v_dual_add_f32 v69, v9, v61 :: v_dual_add_f32 v70, v8, v60
	v_dual_add_f32 v71, v11, v63 :: v_dual_add_f32 v72, v10, v62
	s_delay_alu instid0(VALU_DEP_2) | instskip(SKIP_1) | instid1(VALU_DEP_3)
	v_min3_f32 v73, v70, v69, v141
	v_lshlrev_b64 v[69:70], 2, v[84:85]
	v_min_f32_e32 v71, v72, v71
	s_delay_alu instid0(VALU_DEP_1) | instskip(NEXT) | instid1(VALU_DEP_3)
	v_min3_f32 v71, v68, v71, v73
	v_add_co_u32 v68, vcc_lo, v64, v69
	s_delay_alu instid0(VALU_DEP_4) | instskip(SKIP_3) | instid1(SALU_CYCLE_1)
	v_add_co_ci_u32_e32 v69, vcc_lo, v65, v70, vcc_lo
	global_store_b32 v[68:69], v71, off
	s_or_b32 exec_lo, exec_lo, s8
	s_and_b32 s8, s3, s4
	s_and_saveexec_b32 s4, s8
	s_cbranch_execz .LBB14_145
.LBB14_141:
	v_cmp_ne_u32_e32 vcc_lo, 1, v88
	s_cbranch_vccnz .LBB14_143
; %bb.142:
	v_lshlrev_b64 v[68:69], 2, v[86:87]
	s_delay_alu instid0(VALU_DEP_1) | instskip(NEXT) | instid1(VALU_DEP_2)
	v_add_co_u32 v66, vcc_lo, v66, v68
	v_add_co_ci_u32_e32 v67, vcc_lo, v67, v69, vcc_lo
	flat_load_b32 v66, v[66:67]
	s_waitcnt vmcnt(0) lgkmcnt(0)
	v_mul_f32_e32 v66, s15, v66
	s_branch .LBB14_144
.LBB14_143:
	v_mov_b32_e32 v66, 0
.LBB14_144:
	v_dual_add_f32 v61, v1, v61 :: v_dual_add_f32 v60, v0, v60
	v_dual_add_f32 v63, v3, v63 :: v_dual_add_f32 v62, v2, v62
	s_delay_alu instid0(VALU_DEP_2) | instskip(SKIP_1) | instid1(VALU_DEP_3)
	v_min3_f32 v67, v60, v61, v140
	v_lshlrev_b64 v[60:61], 2, v[86:87]
	v_min_f32_e32 v62, v62, v63
	s_delay_alu instid0(VALU_DEP_1) | instskip(NEXT) | instid1(VALU_DEP_3)
	v_min3_f32 v62, v66, v62, v67
	v_add_co_u32 v60, vcc_lo, v64, v60
	s_delay_alu instid0(VALU_DEP_4)
	v_add_co_ci_u32_e32 v61, vcc_lo, v65, v61, vcc_lo
	global_store_b32 v[60:61], v62, off
.LBB14_145:
	s_or_b32 exec_lo, exec_lo, s4
	v_add_nc_u32_e32 v64, 40, v89
	s_delay_alu instid0(VALU_DEP_1) | instskip(SKIP_2) | instid1(VALU_DEP_3)
	v_mad_i64_i32 v[60:61], null, v64, s6, 0
	v_mad_i64_i32 v[62:63], null, v64, s5, 0
	v_cmp_gt_i32_e64 s4, s9, v64
	v_lshlrev_b64 v[60:61], 2, v[60:61]
	s_delay_alu instid0(VALU_DEP_2) | instskip(NEXT) | instid1(VALU_DEP_3)
	s_and_b32 s11, s0, s4
	v_lshlrev_b64 v[64:65], 2, v[62:63]
	s_delay_alu instid0(VALU_DEP_2) | instskip(NEXT) | instid1(VALU_DEP_3)
	v_add_co_u32 v62, vcc_lo, s12, v60
	v_add_co_ci_u32_e32 v63, vcc_lo, s13, v61, vcc_lo
	s_delay_alu instid0(VALU_DEP_3) | instskip(NEXT) | instid1(VALU_DEP_4)
	v_add_co_u32 v60, vcc_lo, s7, v64
	v_add_co_ci_u32_e32 v61, vcc_lo, s10, v65, vcc_lo
	s_and_saveexec_b32 s8, s11
	s_cbranch_execnz .LBB14_149
; %bb.146:
	s_or_b32 exec_lo, exec_lo, s8
	s_and_b32 s11, s1, s4
	s_delay_alu instid0(SALU_CYCLE_1)
	s_and_saveexec_b32 s8, s11
	s_cbranch_execnz .LBB14_153
.LBB14_147:
	s_or_b32 exec_lo, exec_lo, s8
	s_and_b32 s11, s2, s4
	s_delay_alu instid0(SALU_CYCLE_1)
	s_and_saveexec_b32 s8, s11
	s_cbranch_execnz .LBB14_157
.LBB14_148:
	s_or_b32 exec_lo, exec_lo, s8
	s_and_b32 s8, s3, s4
	s_delay_alu instid0(SALU_CYCLE_1)
	s_and_saveexec_b32 s4, s8
	s_cbranch_execnz .LBB14_161
	s_branch .LBB14_165
.LBB14_149:
	v_cmp_ne_u32_e32 vcc_lo, 1, v88
	s_cbranch_vccnz .LBB14_151
; %bb.150:
	v_lshlrev_b64 v[64:65], 2, v[80:81]
	s_delay_alu instid0(VALU_DEP_1) | instskip(NEXT) | instid1(VALU_DEP_2)
	v_add_co_u32 v64, vcc_lo, v62, v64
	v_add_co_ci_u32_e32 v65, vcc_lo, v63, v65, vcc_lo
	flat_load_b32 v64, v[64:65]
	s_waitcnt vmcnt(0) lgkmcnt(0)
	v_mul_f32_e32 v64, s15, v64
	s_branch .LBB14_152
.LBB14_151:
	v_mov_b32_e32 v64, 0
.LBB14_152:
	v_dual_add_f32 v65, v17, v57 :: v_dual_add_f32 v66, v16, v56
	v_dual_add_f32 v67, v19, v59 :: v_dual_add_f32 v68, v18, v58
	s_delay_alu instid0(VALU_DEP_2) | instskip(SKIP_1) | instid1(VALU_DEP_3)
	v_min3_f32 v69, v66, v65, v139
	v_lshlrev_b64 v[65:66], 2, v[80:81]
	v_min_f32_e32 v67, v68, v67
	s_delay_alu instid0(VALU_DEP_1) | instskip(NEXT) | instid1(VALU_DEP_3)
	v_min3_f32 v67, v64, v67, v69
	v_add_co_u32 v64, vcc_lo, v60, v65
	s_delay_alu instid0(VALU_DEP_4) | instskip(SKIP_3) | instid1(SALU_CYCLE_1)
	v_add_co_ci_u32_e32 v65, vcc_lo, v61, v66, vcc_lo
	global_store_b32 v[64:65], v67, off
	s_or_b32 exec_lo, exec_lo, s8
	s_and_b32 s11, s1, s4
	s_and_saveexec_b32 s8, s11
	s_cbranch_execz .LBB14_147
.LBB14_153:
	v_cmp_ne_u32_e32 vcc_lo, 1, v88
	s_cbranch_vccnz .LBB14_155
; %bb.154:
	v_lshlrev_b64 v[64:65], 2, v[82:83]
	s_delay_alu instid0(VALU_DEP_1) | instskip(NEXT) | instid1(VALU_DEP_2)
	v_add_co_u32 v64, vcc_lo, v62, v64
	v_add_co_ci_u32_e32 v65, vcc_lo, v63, v65, vcc_lo
	flat_load_b32 v64, v[64:65]
	s_waitcnt vmcnt(0) lgkmcnt(0)
	v_mul_f32_e32 v64, s15, v64
	s_branch .LBB14_156
.LBB14_155:
	v_mov_b32_e32 v64, 0
.LBB14_156:
	v_dual_add_f32 v65, v13, v57 :: v_dual_add_f32 v66, v12, v56
	v_dual_add_f32 v67, v15, v59 :: v_dual_add_f32 v68, v14, v58
	s_delay_alu instid0(VALU_DEP_2) | instskip(SKIP_1) | instid1(VALU_DEP_3)
	v_min3_f32 v69, v66, v65, v138
	v_lshlrev_b64 v[65:66], 2, v[82:83]
	v_min_f32_e32 v67, v68, v67
	s_delay_alu instid0(VALU_DEP_1) | instskip(NEXT) | instid1(VALU_DEP_3)
	v_min3_f32 v67, v64, v67, v69
	v_add_co_u32 v64, vcc_lo, v60, v65
	s_delay_alu instid0(VALU_DEP_4) | instskip(SKIP_3) | instid1(SALU_CYCLE_1)
	v_add_co_ci_u32_e32 v65, vcc_lo, v61, v66, vcc_lo
	global_store_b32 v[64:65], v67, off
	s_or_b32 exec_lo, exec_lo, s8
	s_and_b32 s11, s2, s4
	s_and_saveexec_b32 s8, s11
	s_cbranch_execz .LBB14_148
.LBB14_157:
	v_cmp_ne_u32_e32 vcc_lo, 1, v88
	s_cbranch_vccnz .LBB14_159
; %bb.158:
	v_lshlrev_b64 v[64:65], 2, v[84:85]
	s_delay_alu instid0(VALU_DEP_1) | instskip(NEXT) | instid1(VALU_DEP_2)
	v_add_co_u32 v64, vcc_lo, v62, v64
	v_add_co_ci_u32_e32 v65, vcc_lo, v63, v65, vcc_lo
	flat_load_b32 v64, v[64:65]
	s_waitcnt vmcnt(0) lgkmcnt(0)
	v_mul_f32_e32 v64, s15, v64
	s_branch .LBB14_160
.LBB14_159:
	v_mov_b32_e32 v64, 0
.LBB14_160:
	v_dual_add_f32 v65, v9, v57 :: v_dual_add_f32 v66, v8, v56
	v_dual_add_f32 v67, v11, v59 :: v_dual_add_f32 v68, v10, v58
	s_delay_alu instid0(VALU_DEP_2) | instskip(SKIP_1) | instid1(VALU_DEP_3)
	v_min3_f32 v69, v66, v65, v137
	v_lshlrev_b64 v[65:66], 2, v[84:85]
	v_min_f32_e32 v67, v68, v67
	s_delay_alu instid0(VALU_DEP_1) | instskip(NEXT) | instid1(VALU_DEP_3)
	v_min3_f32 v67, v64, v67, v69
	v_add_co_u32 v64, vcc_lo, v60, v65
	s_delay_alu instid0(VALU_DEP_4) | instskip(SKIP_3) | instid1(SALU_CYCLE_1)
	v_add_co_ci_u32_e32 v65, vcc_lo, v61, v66, vcc_lo
	global_store_b32 v[64:65], v67, off
	s_or_b32 exec_lo, exec_lo, s8
	s_and_b32 s8, s3, s4
	s_and_saveexec_b32 s4, s8
	s_cbranch_execz .LBB14_165
.LBB14_161:
	v_cmp_ne_u32_e32 vcc_lo, 1, v88
	s_cbranch_vccnz .LBB14_163
; %bb.162:
	v_lshlrev_b64 v[64:65], 2, v[86:87]
	s_delay_alu instid0(VALU_DEP_1) | instskip(NEXT) | instid1(VALU_DEP_2)
	v_add_co_u32 v62, vcc_lo, v62, v64
	v_add_co_ci_u32_e32 v63, vcc_lo, v63, v65, vcc_lo
	flat_load_b32 v62, v[62:63]
	s_waitcnt vmcnt(0) lgkmcnt(0)
	v_mul_f32_e32 v62, s15, v62
	s_branch .LBB14_164
.LBB14_163:
	v_mov_b32_e32 v62, 0
.LBB14_164:
	v_dual_add_f32 v57, v1, v57 :: v_dual_add_f32 v56, v0, v56
	v_dual_add_f32 v59, v3, v59 :: v_dual_add_f32 v58, v2, v58
	s_delay_alu instid0(VALU_DEP_2) | instskip(SKIP_1) | instid1(VALU_DEP_3)
	v_min3_f32 v63, v56, v57, v136
	v_lshlrev_b64 v[56:57], 2, v[86:87]
	v_min_f32_e32 v58, v58, v59
	s_delay_alu instid0(VALU_DEP_1) | instskip(NEXT) | instid1(VALU_DEP_3)
	v_min3_f32 v58, v62, v58, v63
	v_add_co_u32 v56, vcc_lo, v60, v56
	s_delay_alu instid0(VALU_DEP_4)
	v_add_co_ci_u32_e32 v57, vcc_lo, v61, v57, vcc_lo
	global_store_b32 v[56:57], v58, off
.LBB14_165:
	s_or_b32 exec_lo, exec_lo, s4
	v_add_nc_u32_e32 v60, 48, v89
	s_delay_alu instid0(VALU_DEP_1) | instskip(SKIP_2) | instid1(VALU_DEP_3)
	v_mad_i64_i32 v[56:57], null, v60, s6, 0
	v_mad_i64_i32 v[58:59], null, v60, s5, 0
	v_cmp_gt_i32_e64 s4, s9, v60
	v_lshlrev_b64 v[56:57], 2, v[56:57]
	s_delay_alu instid0(VALU_DEP_2) | instskip(NEXT) | instid1(VALU_DEP_3)
	s_and_b32 s11, s0, s4
	v_lshlrev_b64 v[60:61], 2, v[58:59]
	s_delay_alu instid0(VALU_DEP_2) | instskip(NEXT) | instid1(VALU_DEP_3)
	v_add_co_u32 v58, vcc_lo, s12, v56
	v_add_co_ci_u32_e32 v59, vcc_lo, s13, v57, vcc_lo
	s_delay_alu instid0(VALU_DEP_3) | instskip(NEXT) | instid1(VALU_DEP_4)
	v_add_co_u32 v56, vcc_lo, s7, v60
	v_add_co_ci_u32_e32 v57, vcc_lo, s10, v61, vcc_lo
	s_and_saveexec_b32 s8, s11
	s_cbranch_execnz .LBB14_169
; %bb.166:
	s_or_b32 exec_lo, exec_lo, s8
	s_and_b32 s11, s1, s4
	s_delay_alu instid0(SALU_CYCLE_1)
	s_and_saveexec_b32 s8, s11
	s_cbranch_execnz .LBB14_173
.LBB14_167:
	s_or_b32 exec_lo, exec_lo, s8
	s_and_b32 s11, s2, s4
	s_delay_alu instid0(SALU_CYCLE_1)
	s_and_saveexec_b32 s8, s11
	s_cbranch_execnz .LBB14_177
.LBB14_168:
	s_or_b32 exec_lo, exec_lo, s8
	s_and_b32 s8, s3, s4
	s_delay_alu instid0(SALU_CYCLE_1)
	s_and_saveexec_b32 s4, s8
	s_cbranch_execnz .LBB14_181
	s_branch .LBB14_185
.LBB14_169:
	v_cmp_ne_u32_e32 vcc_lo, 1, v88
	s_cbranch_vccnz .LBB14_171
; %bb.170:
	v_lshlrev_b64 v[60:61], 2, v[80:81]
	s_delay_alu instid0(VALU_DEP_1) | instskip(NEXT) | instid1(VALU_DEP_2)
	v_add_co_u32 v60, vcc_lo, v58, v60
	v_add_co_ci_u32_e32 v61, vcc_lo, v59, v61, vcc_lo
	flat_load_b32 v60, v[60:61]
	s_waitcnt vmcnt(0) lgkmcnt(0)
	v_mul_f32_e32 v60, s15, v60
	s_branch .LBB14_172
.LBB14_171:
	v_mov_b32_e32 v60, 0
.LBB14_172:
	v_dual_add_f32 v61, v17, v53 :: v_dual_add_f32 v62, v16, v52
	v_dual_add_f32 v63, v19, v55 :: v_dual_add_f32 v64, v18, v54
	s_delay_alu instid0(VALU_DEP_2) | instskip(SKIP_1) | instid1(VALU_DEP_3)
	v_min3_f32 v65, v62, v61, v135
	v_lshlrev_b64 v[61:62], 2, v[80:81]
	v_min_f32_e32 v63, v64, v63
	s_delay_alu instid0(VALU_DEP_1) | instskip(NEXT) | instid1(VALU_DEP_3)
	v_min3_f32 v63, v60, v63, v65
	v_add_co_u32 v60, vcc_lo, v56, v61
	s_delay_alu instid0(VALU_DEP_4) | instskip(SKIP_3) | instid1(SALU_CYCLE_1)
	v_add_co_ci_u32_e32 v61, vcc_lo, v57, v62, vcc_lo
	global_store_b32 v[60:61], v63, off
	s_or_b32 exec_lo, exec_lo, s8
	s_and_b32 s11, s1, s4
	s_and_saveexec_b32 s8, s11
	s_cbranch_execz .LBB14_167
.LBB14_173:
	v_cmp_ne_u32_e32 vcc_lo, 1, v88
	s_cbranch_vccnz .LBB14_175
; %bb.174:
	v_lshlrev_b64 v[60:61], 2, v[82:83]
	s_delay_alu instid0(VALU_DEP_1) | instskip(NEXT) | instid1(VALU_DEP_2)
	v_add_co_u32 v60, vcc_lo, v58, v60
	v_add_co_ci_u32_e32 v61, vcc_lo, v59, v61, vcc_lo
	flat_load_b32 v60, v[60:61]
	s_waitcnt vmcnt(0) lgkmcnt(0)
	v_mul_f32_e32 v60, s15, v60
	s_branch .LBB14_176
.LBB14_175:
	v_mov_b32_e32 v60, 0
.LBB14_176:
	v_dual_add_f32 v61, v13, v53 :: v_dual_add_f32 v62, v12, v52
	v_dual_add_f32 v63, v15, v55 :: v_dual_add_f32 v64, v14, v54
	s_delay_alu instid0(VALU_DEP_2) | instskip(SKIP_1) | instid1(VALU_DEP_3)
	v_min3_f32 v65, v62, v61, v134
	v_lshlrev_b64 v[61:62], 2, v[82:83]
	v_min_f32_e32 v63, v64, v63
	s_delay_alu instid0(VALU_DEP_1) | instskip(NEXT) | instid1(VALU_DEP_3)
	v_min3_f32 v63, v60, v63, v65
	v_add_co_u32 v60, vcc_lo, v56, v61
	s_delay_alu instid0(VALU_DEP_4) | instskip(SKIP_3) | instid1(SALU_CYCLE_1)
	v_add_co_ci_u32_e32 v61, vcc_lo, v57, v62, vcc_lo
	global_store_b32 v[60:61], v63, off
	s_or_b32 exec_lo, exec_lo, s8
	s_and_b32 s11, s2, s4
	s_and_saveexec_b32 s8, s11
	s_cbranch_execz .LBB14_168
.LBB14_177:
	v_cmp_ne_u32_e32 vcc_lo, 1, v88
	s_cbranch_vccnz .LBB14_179
; %bb.178:
	v_lshlrev_b64 v[60:61], 2, v[84:85]
	s_delay_alu instid0(VALU_DEP_1) | instskip(NEXT) | instid1(VALU_DEP_2)
	v_add_co_u32 v60, vcc_lo, v58, v60
	v_add_co_ci_u32_e32 v61, vcc_lo, v59, v61, vcc_lo
	flat_load_b32 v60, v[60:61]
	s_waitcnt vmcnt(0) lgkmcnt(0)
	v_mul_f32_e32 v60, s15, v60
	s_branch .LBB14_180
.LBB14_179:
	v_mov_b32_e32 v60, 0
.LBB14_180:
	v_dual_add_f32 v61, v9, v53 :: v_dual_add_f32 v62, v8, v52
	v_dual_add_f32 v63, v11, v55 :: v_dual_add_f32 v64, v10, v54
	s_delay_alu instid0(VALU_DEP_2) | instskip(SKIP_1) | instid1(VALU_DEP_3)
	v_min3_f32 v65, v62, v61, v133
	v_lshlrev_b64 v[61:62], 2, v[84:85]
	v_min_f32_e32 v63, v64, v63
	s_delay_alu instid0(VALU_DEP_1) | instskip(NEXT) | instid1(VALU_DEP_3)
	v_min3_f32 v63, v60, v63, v65
	v_add_co_u32 v60, vcc_lo, v56, v61
	s_delay_alu instid0(VALU_DEP_4) | instskip(SKIP_3) | instid1(SALU_CYCLE_1)
	v_add_co_ci_u32_e32 v61, vcc_lo, v57, v62, vcc_lo
	global_store_b32 v[60:61], v63, off
	s_or_b32 exec_lo, exec_lo, s8
	s_and_b32 s8, s3, s4
	s_and_saveexec_b32 s4, s8
	s_cbranch_execz .LBB14_185
.LBB14_181:
	v_cmp_ne_u32_e32 vcc_lo, 1, v88
	s_cbranch_vccnz .LBB14_183
; %bb.182:
	v_lshlrev_b64 v[60:61], 2, v[86:87]
	s_delay_alu instid0(VALU_DEP_1) | instskip(NEXT) | instid1(VALU_DEP_2)
	v_add_co_u32 v58, vcc_lo, v58, v60
	v_add_co_ci_u32_e32 v59, vcc_lo, v59, v61, vcc_lo
	flat_load_b32 v58, v[58:59]
	s_waitcnt vmcnt(0) lgkmcnt(0)
	v_mul_f32_e32 v58, s15, v58
	s_branch .LBB14_184
.LBB14_183:
	v_mov_b32_e32 v58, 0
.LBB14_184:
	v_dual_add_f32 v53, v1, v53 :: v_dual_add_f32 v52, v0, v52
	v_dual_add_f32 v55, v3, v55 :: v_dual_add_f32 v54, v2, v54
	s_delay_alu instid0(VALU_DEP_2) | instskip(SKIP_1) | instid1(VALU_DEP_3)
	v_min3_f32 v59, v52, v53, v131
	v_lshlrev_b64 v[52:53], 2, v[86:87]
	v_min_f32_e32 v54, v54, v55
	s_delay_alu instid0(VALU_DEP_1) | instskip(NEXT) | instid1(VALU_DEP_3)
	v_min3_f32 v54, v58, v54, v59
	v_add_co_u32 v52, vcc_lo, v56, v52
	s_delay_alu instid0(VALU_DEP_4)
	v_add_co_ci_u32_e32 v53, vcc_lo, v57, v53, vcc_lo
	global_store_b32 v[52:53], v54, off
.LBB14_185:
	s_or_b32 exec_lo, exec_lo, s4
	v_add_nc_u32_e32 v56, 56, v89
	s_delay_alu instid0(VALU_DEP_1) | instskip(SKIP_2) | instid1(VALU_DEP_3)
	v_mad_i64_i32 v[52:53], null, v56, s6, 0
	v_mad_i64_i32 v[54:55], null, v56, s5, 0
	v_cmp_gt_i32_e64 s4, s9, v56
	v_lshlrev_b64 v[52:53], 2, v[52:53]
	s_delay_alu instid0(VALU_DEP_2) | instskip(NEXT) | instid1(VALU_DEP_3)
	s_and_b32 s11, s0, s4
	v_lshlrev_b64 v[56:57], 2, v[54:55]
	s_delay_alu instid0(VALU_DEP_2) | instskip(NEXT) | instid1(VALU_DEP_3)
	v_add_co_u32 v54, vcc_lo, s12, v52
	v_add_co_ci_u32_e32 v55, vcc_lo, s13, v53, vcc_lo
	s_delay_alu instid0(VALU_DEP_3) | instskip(NEXT) | instid1(VALU_DEP_4)
	v_add_co_u32 v52, vcc_lo, s7, v56
	v_add_co_ci_u32_e32 v53, vcc_lo, s10, v57, vcc_lo
	s_and_saveexec_b32 s8, s11
	s_cbranch_execnz .LBB14_189
; %bb.186:
	s_or_b32 exec_lo, exec_lo, s8
	s_and_b32 s11, s1, s4
	s_delay_alu instid0(SALU_CYCLE_1)
	s_and_saveexec_b32 s8, s11
	s_cbranch_execnz .LBB14_193
.LBB14_187:
	s_or_b32 exec_lo, exec_lo, s8
	s_and_b32 s11, s2, s4
	s_delay_alu instid0(SALU_CYCLE_1)
	s_and_saveexec_b32 s8, s11
	s_cbranch_execnz .LBB14_197
.LBB14_188:
	s_or_b32 exec_lo, exec_lo, s8
	s_and_b32 s8, s3, s4
	s_delay_alu instid0(SALU_CYCLE_1)
	s_and_saveexec_b32 s4, s8
	s_cbranch_execnz .LBB14_201
	s_branch .LBB14_205
.LBB14_189:
	v_cmp_ne_u32_e32 vcc_lo, 1, v88
	s_cbranch_vccnz .LBB14_191
; %bb.190:
	v_lshlrev_b64 v[56:57], 2, v[80:81]
	s_delay_alu instid0(VALU_DEP_1) | instskip(NEXT) | instid1(VALU_DEP_2)
	v_add_co_u32 v56, vcc_lo, v54, v56
	v_add_co_ci_u32_e32 v57, vcc_lo, v55, v57, vcc_lo
	flat_load_b32 v56, v[56:57]
	s_waitcnt vmcnt(0) lgkmcnt(0)
	v_mul_f32_e32 v56, s15, v56
	s_branch .LBB14_192
.LBB14_191:
	v_mov_b32_e32 v56, 0
.LBB14_192:
	v_dual_add_f32 v57, v17, v49 :: v_dual_add_f32 v58, v16, v48
	v_dual_add_f32 v59, v19, v51 :: v_dual_add_f32 v60, v18, v50
	s_delay_alu instid0(VALU_DEP_2) | instskip(SKIP_1) | instid1(VALU_DEP_3)
	v_min3_f32 v61, v58, v57, v130
	v_lshlrev_b64 v[57:58], 2, v[80:81]
	v_min_f32_e32 v59, v60, v59
	s_delay_alu instid0(VALU_DEP_1) | instskip(NEXT) | instid1(VALU_DEP_3)
	v_min3_f32 v59, v56, v59, v61
	v_add_co_u32 v56, vcc_lo, v52, v57
	s_delay_alu instid0(VALU_DEP_4) | instskip(SKIP_3) | instid1(SALU_CYCLE_1)
	v_add_co_ci_u32_e32 v57, vcc_lo, v53, v58, vcc_lo
	global_store_b32 v[56:57], v59, off
	s_or_b32 exec_lo, exec_lo, s8
	s_and_b32 s11, s1, s4
	s_and_saveexec_b32 s8, s11
	s_cbranch_execz .LBB14_187
.LBB14_193:
	v_cmp_ne_u32_e32 vcc_lo, 1, v88
	s_cbranch_vccnz .LBB14_195
; %bb.194:
	v_lshlrev_b64 v[56:57], 2, v[82:83]
	s_delay_alu instid0(VALU_DEP_1) | instskip(NEXT) | instid1(VALU_DEP_2)
	v_add_co_u32 v56, vcc_lo, v54, v56
	v_add_co_ci_u32_e32 v57, vcc_lo, v55, v57, vcc_lo
	flat_load_b32 v56, v[56:57]
	s_waitcnt vmcnt(0) lgkmcnt(0)
	v_mul_f32_e32 v56, s15, v56
	s_branch .LBB14_196
.LBB14_195:
	v_mov_b32_e32 v56, 0
.LBB14_196:
	v_dual_add_f32 v57, v13, v49 :: v_dual_add_f32 v58, v12, v48
	v_dual_add_f32 v59, v15, v51 :: v_dual_add_f32 v60, v14, v50
	s_delay_alu instid0(VALU_DEP_2) | instskip(SKIP_1) | instid1(VALU_DEP_3)
	v_min3_f32 v61, v58, v57, v129
	v_lshlrev_b64 v[57:58], 2, v[82:83]
	v_min_f32_e32 v59, v60, v59
	s_delay_alu instid0(VALU_DEP_1) | instskip(NEXT) | instid1(VALU_DEP_3)
	v_min3_f32 v59, v56, v59, v61
	v_add_co_u32 v56, vcc_lo, v52, v57
	s_delay_alu instid0(VALU_DEP_4) | instskip(SKIP_3) | instid1(SALU_CYCLE_1)
	v_add_co_ci_u32_e32 v57, vcc_lo, v53, v58, vcc_lo
	global_store_b32 v[56:57], v59, off
	s_or_b32 exec_lo, exec_lo, s8
	s_and_b32 s11, s2, s4
	s_and_saveexec_b32 s8, s11
	s_cbranch_execz .LBB14_188
.LBB14_197:
	v_cmp_ne_u32_e32 vcc_lo, 1, v88
	s_cbranch_vccnz .LBB14_199
; %bb.198:
	v_lshlrev_b64 v[56:57], 2, v[84:85]
	s_delay_alu instid0(VALU_DEP_1) | instskip(NEXT) | instid1(VALU_DEP_2)
	v_add_co_u32 v56, vcc_lo, v54, v56
	v_add_co_ci_u32_e32 v57, vcc_lo, v55, v57, vcc_lo
	flat_load_b32 v56, v[56:57]
	s_waitcnt vmcnt(0) lgkmcnt(0)
	v_mul_f32_e32 v56, s15, v56
	s_branch .LBB14_200
.LBB14_199:
	v_mov_b32_e32 v56, 0
.LBB14_200:
	v_dual_add_f32 v57, v9, v49 :: v_dual_add_f32 v58, v8, v48
	v_dual_add_f32 v59, v11, v51 :: v_dual_add_f32 v60, v10, v50
	s_delay_alu instid0(VALU_DEP_2) | instskip(SKIP_1) | instid1(VALU_DEP_3)
	v_min3_f32 v61, v58, v57, v128
	v_lshlrev_b64 v[57:58], 2, v[84:85]
	v_min_f32_e32 v59, v60, v59
	s_delay_alu instid0(VALU_DEP_1) | instskip(NEXT) | instid1(VALU_DEP_3)
	v_min3_f32 v59, v56, v59, v61
	v_add_co_u32 v56, vcc_lo, v52, v57
	s_delay_alu instid0(VALU_DEP_4) | instskip(SKIP_3) | instid1(SALU_CYCLE_1)
	v_add_co_ci_u32_e32 v57, vcc_lo, v53, v58, vcc_lo
	global_store_b32 v[56:57], v59, off
	s_or_b32 exec_lo, exec_lo, s8
	s_and_b32 s8, s3, s4
	s_and_saveexec_b32 s4, s8
	s_cbranch_execz .LBB14_205
.LBB14_201:
	v_cmp_ne_u32_e32 vcc_lo, 1, v88
	s_cbranch_vccnz .LBB14_203
; %bb.202:
	v_lshlrev_b64 v[56:57], 2, v[86:87]
	s_delay_alu instid0(VALU_DEP_1) | instskip(NEXT) | instid1(VALU_DEP_2)
	v_add_co_u32 v54, vcc_lo, v54, v56
	v_add_co_ci_u32_e32 v55, vcc_lo, v55, v57, vcc_lo
	flat_load_b32 v54, v[54:55]
	s_waitcnt vmcnt(0) lgkmcnt(0)
	v_mul_f32_e32 v54, s15, v54
	s_branch .LBB14_204
.LBB14_203:
	v_mov_b32_e32 v54, 0
.LBB14_204:
	v_dual_add_f32 v49, v1, v49 :: v_dual_add_f32 v48, v0, v48
	v_dual_add_f32 v51, v3, v51 :: v_dual_add_f32 v50, v2, v50
	s_delay_alu instid0(VALU_DEP_2) | instskip(SKIP_1) | instid1(VALU_DEP_3)
	v_min3_f32 v55, v48, v49, v127
	v_lshlrev_b64 v[48:49], 2, v[86:87]
	v_min_f32_e32 v50, v50, v51
	s_delay_alu instid0(VALU_DEP_1) | instskip(NEXT) | instid1(VALU_DEP_3)
	v_min3_f32 v50, v54, v50, v55
	v_add_co_u32 v48, vcc_lo, v52, v48
	s_delay_alu instid0(VALU_DEP_4)
	v_add_co_ci_u32_e32 v49, vcc_lo, v53, v49, vcc_lo
	global_store_b32 v[48:49], v50, off
.LBB14_205:
	s_or_b32 exec_lo, exec_lo, s4
	v_add_nc_u32_e32 v52, 64, v89
	s_delay_alu instid0(VALU_DEP_1) | instskip(SKIP_2) | instid1(VALU_DEP_3)
	v_mad_i64_i32 v[48:49], null, v52, s6, 0
	v_mad_i64_i32 v[50:51], null, v52, s5, 0
	v_cmp_gt_i32_e64 s4, s9, v52
	v_lshlrev_b64 v[48:49], 2, v[48:49]
	s_delay_alu instid0(VALU_DEP_2) | instskip(NEXT) | instid1(VALU_DEP_3)
	s_and_b32 s11, s0, s4
	v_lshlrev_b64 v[52:53], 2, v[50:51]
	s_delay_alu instid0(VALU_DEP_2) | instskip(NEXT) | instid1(VALU_DEP_3)
	v_add_co_u32 v50, vcc_lo, s12, v48
	v_add_co_ci_u32_e32 v51, vcc_lo, s13, v49, vcc_lo
	s_delay_alu instid0(VALU_DEP_3) | instskip(NEXT) | instid1(VALU_DEP_4)
	v_add_co_u32 v48, vcc_lo, s7, v52
	v_add_co_ci_u32_e32 v49, vcc_lo, s10, v53, vcc_lo
	s_and_saveexec_b32 s8, s11
	s_cbranch_execnz .LBB14_209
; %bb.206:
	s_or_b32 exec_lo, exec_lo, s8
	s_and_b32 s11, s1, s4
	s_delay_alu instid0(SALU_CYCLE_1)
	s_and_saveexec_b32 s8, s11
	s_cbranch_execnz .LBB14_213
.LBB14_207:
	s_or_b32 exec_lo, exec_lo, s8
	s_and_b32 s11, s2, s4
	s_delay_alu instid0(SALU_CYCLE_1)
	s_and_saveexec_b32 s8, s11
	s_cbranch_execnz .LBB14_217
.LBB14_208:
	s_or_b32 exec_lo, exec_lo, s8
	s_and_b32 s8, s3, s4
	s_delay_alu instid0(SALU_CYCLE_1)
	s_and_saveexec_b32 s4, s8
	s_cbranch_execnz .LBB14_221
	s_branch .LBB14_225
.LBB14_209:
	v_cmp_ne_u32_e32 vcc_lo, 1, v88
	s_cbranch_vccnz .LBB14_211
; %bb.210:
	v_lshlrev_b64 v[52:53], 2, v[80:81]
	s_delay_alu instid0(VALU_DEP_1) | instskip(NEXT) | instid1(VALU_DEP_2)
	v_add_co_u32 v52, vcc_lo, v50, v52
	v_add_co_ci_u32_e32 v53, vcc_lo, v51, v53, vcc_lo
	flat_load_b32 v52, v[52:53]
	s_waitcnt vmcnt(0) lgkmcnt(0)
	v_mul_f32_e32 v52, s15, v52
	s_branch .LBB14_212
.LBB14_211:
	v_mov_b32_e32 v52, 0
.LBB14_212:
	v_dual_add_f32 v53, v17, v45 :: v_dual_add_f32 v54, v16, v44
	v_dual_add_f32 v55, v19, v47 :: v_dual_add_f32 v56, v18, v46
	s_delay_alu instid0(VALU_DEP_2) | instskip(SKIP_1) | instid1(VALU_DEP_3)
	v_min3_f32 v57, v54, v53, v124
	v_lshlrev_b64 v[53:54], 2, v[80:81]
	v_min_f32_e32 v55, v56, v55
	s_delay_alu instid0(VALU_DEP_1) | instskip(NEXT) | instid1(VALU_DEP_3)
	v_min3_f32 v55, v52, v55, v57
	v_add_co_u32 v52, vcc_lo, v48, v53
	s_delay_alu instid0(VALU_DEP_4) | instskip(SKIP_3) | instid1(SALU_CYCLE_1)
	v_add_co_ci_u32_e32 v53, vcc_lo, v49, v54, vcc_lo
	global_store_b32 v[52:53], v55, off
	s_or_b32 exec_lo, exec_lo, s8
	s_and_b32 s11, s1, s4
	s_and_saveexec_b32 s8, s11
	s_cbranch_execz .LBB14_207
.LBB14_213:
	v_cmp_ne_u32_e32 vcc_lo, 1, v88
	s_cbranch_vccnz .LBB14_215
; %bb.214:
	v_lshlrev_b64 v[52:53], 2, v[82:83]
	s_delay_alu instid0(VALU_DEP_1) | instskip(NEXT) | instid1(VALU_DEP_2)
	v_add_co_u32 v52, vcc_lo, v50, v52
	v_add_co_ci_u32_e32 v53, vcc_lo, v51, v53, vcc_lo
	flat_load_b32 v52, v[52:53]
	s_waitcnt vmcnt(0) lgkmcnt(0)
	v_mul_f32_e32 v52, s15, v52
	s_branch .LBB14_216
.LBB14_215:
	v_mov_b32_e32 v52, 0
.LBB14_216:
	v_dual_add_f32 v53, v13, v45 :: v_dual_add_f32 v54, v12, v44
	v_dual_add_f32 v55, v15, v47 :: v_dual_add_f32 v56, v14, v46
	s_delay_alu instid0(VALU_DEP_2) | instskip(SKIP_1) | instid1(VALU_DEP_3)
	v_min3_f32 v57, v54, v53, v122
	v_lshlrev_b64 v[53:54], 2, v[82:83]
	v_min_f32_e32 v55, v56, v55
	s_delay_alu instid0(VALU_DEP_1) | instskip(NEXT) | instid1(VALU_DEP_3)
	v_min3_f32 v55, v52, v55, v57
	v_add_co_u32 v52, vcc_lo, v48, v53
	s_delay_alu instid0(VALU_DEP_4) | instskip(SKIP_3) | instid1(SALU_CYCLE_1)
	v_add_co_ci_u32_e32 v53, vcc_lo, v49, v54, vcc_lo
	global_store_b32 v[52:53], v55, off
	s_or_b32 exec_lo, exec_lo, s8
	s_and_b32 s11, s2, s4
	s_and_saveexec_b32 s8, s11
	s_cbranch_execz .LBB14_208
.LBB14_217:
	v_cmp_ne_u32_e32 vcc_lo, 1, v88
	s_cbranch_vccnz .LBB14_219
; %bb.218:
	v_lshlrev_b64 v[52:53], 2, v[84:85]
	s_delay_alu instid0(VALU_DEP_1) | instskip(NEXT) | instid1(VALU_DEP_2)
	v_add_co_u32 v52, vcc_lo, v50, v52
	v_add_co_ci_u32_e32 v53, vcc_lo, v51, v53, vcc_lo
	flat_load_b32 v52, v[52:53]
	s_waitcnt vmcnt(0) lgkmcnt(0)
	v_mul_f32_e32 v52, s15, v52
	s_branch .LBB14_220
.LBB14_219:
	v_mov_b32_e32 v52, 0
.LBB14_220:
	v_dual_add_f32 v53, v9, v45 :: v_dual_add_f32 v54, v8, v44
	v_dual_add_f32 v55, v11, v47 :: v_dual_add_f32 v56, v10, v46
	s_delay_alu instid0(VALU_DEP_2) | instskip(SKIP_1) | instid1(VALU_DEP_3)
	v_min3_f32 v57, v54, v53, v121
	v_lshlrev_b64 v[53:54], 2, v[84:85]
	v_min_f32_e32 v55, v56, v55
	s_delay_alu instid0(VALU_DEP_1) | instskip(NEXT) | instid1(VALU_DEP_3)
	v_min3_f32 v55, v52, v55, v57
	v_add_co_u32 v52, vcc_lo, v48, v53
	s_delay_alu instid0(VALU_DEP_4) | instskip(SKIP_3) | instid1(SALU_CYCLE_1)
	v_add_co_ci_u32_e32 v53, vcc_lo, v49, v54, vcc_lo
	global_store_b32 v[52:53], v55, off
	s_or_b32 exec_lo, exec_lo, s8
	s_and_b32 s8, s3, s4
	s_and_saveexec_b32 s4, s8
	s_cbranch_execz .LBB14_225
.LBB14_221:
	v_cmp_ne_u32_e32 vcc_lo, 1, v88
	s_cbranch_vccnz .LBB14_223
; %bb.222:
	v_lshlrev_b64 v[52:53], 2, v[86:87]
	s_delay_alu instid0(VALU_DEP_1) | instskip(NEXT) | instid1(VALU_DEP_2)
	v_add_co_u32 v50, vcc_lo, v50, v52
	v_add_co_ci_u32_e32 v51, vcc_lo, v51, v53, vcc_lo
	flat_load_b32 v50, v[50:51]
	s_waitcnt vmcnt(0) lgkmcnt(0)
	v_mul_f32_e32 v50, s15, v50
	s_branch .LBB14_224
.LBB14_223:
	v_mov_b32_e32 v50, 0
.LBB14_224:
	v_dual_add_f32 v45, v1, v45 :: v_dual_add_f32 v44, v0, v44
	v_dual_add_f32 v47, v3, v47 :: v_dual_add_f32 v46, v2, v46
	s_delay_alu instid0(VALU_DEP_2) | instskip(SKIP_1) | instid1(VALU_DEP_3)
	v_min3_f32 v51, v44, v45, v120
	v_lshlrev_b64 v[44:45], 2, v[86:87]
	v_min_f32_e32 v46, v46, v47
	s_delay_alu instid0(VALU_DEP_1) | instskip(NEXT) | instid1(VALU_DEP_3)
	v_min3_f32 v46, v50, v46, v51
	v_add_co_u32 v44, vcc_lo, v48, v44
	s_delay_alu instid0(VALU_DEP_4)
	v_add_co_ci_u32_e32 v45, vcc_lo, v49, v45, vcc_lo
	global_store_b32 v[44:45], v46, off
.LBB14_225:
	s_or_b32 exec_lo, exec_lo, s4
	v_add_nc_u32_e32 v48, 0x48, v89
	s_delay_alu instid0(VALU_DEP_1) | instskip(SKIP_2) | instid1(VALU_DEP_3)
	v_mad_i64_i32 v[44:45], null, v48, s6, 0
	v_mad_i64_i32 v[46:47], null, v48, s5, 0
	v_cmp_gt_i32_e64 s4, s9, v48
	v_lshlrev_b64 v[44:45], 2, v[44:45]
	s_delay_alu instid0(VALU_DEP_2) | instskip(NEXT) | instid1(VALU_DEP_3)
	s_and_b32 s11, s0, s4
	v_lshlrev_b64 v[48:49], 2, v[46:47]
	s_delay_alu instid0(VALU_DEP_2) | instskip(NEXT) | instid1(VALU_DEP_3)
	v_add_co_u32 v46, vcc_lo, s12, v44
	v_add_co_ci_u32_e32 v47, vcc_lo, s13, v45, vcc_lo
	s_delay_alu instid0(VALU_DEP_3) | instskip(NEXT) | instid1(VALU_DEP_4)
	v_add_co_u32 v44, vcc_lo, s7, v48
	v_add_co_ci_u32_e32 v45, vcc_lo, s10, v49, vcc_lo
	s_and_saveexec_b32 s8, s11
	s_cbranch_execnz .LBB14_229
; %bb.226:
	s_or_b32 exec_lo, exec_lo, s8
	s_and_b32 s11, s1, s4
	s_delay_alu instid0(SALU_CYCLE_1)
	s_and_saveexec_b32 s8, s11
	s_cbranch_execnz .LBB14_233
.LBB14_227:
	s_or_b32 exec_lo, exec_lo, s8
	s_and_b32 s11, s2, s4
	s_delay_alu instid0(SALU_CYCLE_1)
	s_and_saveexec_b32 s8, s11
	s_cbranch_execnz .LBB14_237
.LBB14_228:
	s_or_b32 exec_lo, exec_lo, s8
	s_and_b32 s8, s3, s4
	s_delay_alu instid0(SALU_CYCLE_1)
	s_and_saveexec_b32 s4, s8
	s_cbranch_execnz .LBB14_241
	s_branch .LBB14_245
.LBB14_229:
	v_cmp_ne_u32_e32 vcc_lo, 1, v88
	s_cbranch_vccnz .LBB14_231
; %bb.230:
	v_lshlrev_b64 v[48:49], 2, v[80:81]
	s_delay_alu instid0(VALU_DEP_1) | instskip(NEXT) | instid1(VALU_DEP_2)
	v_add_co_u32 v48, vcc_lo, v46, v48
	v_add_co_ci_u32_e32 v49, vcc_lo, v47, v49, vcc_lo
	flat_load_b32 v48, v[48:49]
	s_waitcnt vmcnt(0) lgkmcnt(0)
	v_mul_f32_e32 v48, s15, v48
	s_branch .LBB14_232
.LBB14_231:
	v_mov_b32_e32 v48, 0
.LBB14_232:
	v_dual_add_f32 v49, v17, v41 :: v_dual_add_f32 v50, v16, v40
	v_dual_add_f32 v51, v19, v43 :: v_dual_add_f32 v52, v18, v42
	s_delay_alu instid0(VALU_DEP_2) | instskip(SKIP_1) | instid1(VALU_DEP_3)
	v_min3_f32 v53, v50, v49, v119
	v_lshlrev_b64 v[49:50], 2, v[80:81]
	v_min_f32_e32 v51, v52, v51
	s_delay_alu instid0(VALU_DEP_1) | instskip(NEXT) | instid1(VALU_DEP_3)
	v_min3_f32 v51, v48, v51, v53
	v_add_co_u32 v48, vcc_lo, v44, v49
	s_delay_alu instid0(VALU_DEP_4) | instskip(SKIP_3) | instid1(SALU_CYCLE_1)
	v_add_co_ci_u32_e32 v49, vcc_lo, v45, v50, vcc_lo
	global_store_b32 v[48:49], v51, off
	s_or_b32 exec_lo, exec_lo, s8
	s_and_b32 s11, s1, s4
	s_and_saveexec_b32 s8, s11
	s_cbranch_execz .LBB14_227
.LBB14_233:
	v_cmp_ne_u32_e32 vcc_lo, 1, v88
	s_cbranch_vccnz .LBB14_235
; %bb.234:
	v_lshlrev_b64 v[48:49], 2, v[82:83]
	s_delay_alu instid0(VALU_DEP_1) | instskip(NEXT) | instid1(VALU_DEP_2)
	v_add_co_u32 v48, vcc_lo, v46, v48
	v_add_co_ci_u32_e32 v49, vcc_lo, v47, v49, vcc_lo
	flat_load_b32 v48, v[48:49]
	s_waitcnt vmcnt(0) lgkmcnt(0)
	v_mul_f32_e32 v48, s15, v48
	s_branch .LBB14_236
.LBB14_235:
	v_mov_b32_e32 v48, 0
.LBB14_236:
	v_dual_add_f32 v49, v13, v41 :: v_dual_add_f32 v50, v12, v40
	v_dual_add_f32 v51, v15, v43 :: v_dual_add_f32 v52, v14, v42
	s_delay_alu instid0(VALU_DEP_2) | instskip(SKIP_1) | instid1(VALU_DEP_3)
	v_min3_f32 v53, v50, v49, v118
	v_lshlrev_b64 v[49:50], 2, v[82:83]
	v_min_f32_e32 v51, v52, v51
	s_delay_alu instid0(VALU_DEP_1) | instskip(NEXT) | instid1(VALU_DEP_3)
	v_min3_f32 v51, v48, v51, v53
	v_add_co_u32 v48, vcc_lo, v44, v49
	s_delay_alu instid0(VALU_DEP_4) | instskip(SKIP_3) | instid1(SALU_CYCLE_1)
	v_add_co_ci_u32_e32 v49, vcc_lo, v45, v50, vcc_lo
	global_store_b32 v[48:49], v51, off
	s_or_b32 exec_lo, exec_lo, s8
	s_and_b32 s11, s2, s4
	s_and_saveexec_b32 s8, s11
	s_cbranch_execz .LBB14_228
.LBB14_237:
	v_cmp_ne_u32_e32 vcc_lo, 1, v88
	s_cbranch_vccnz .LBB14_239
; %bb.238:
	v_lshlrev_b64 v[48:49], 2, v[84:85]
	s_delay_alu instid0(VALU_DEP_1) | instskip(NEXT) | instid1(VALU_DEP_2)
	v_add_co_u32 v48, vcc_lo, v46, v48
	v_add_co_ci_u32_e32 v49, vcc_lo, v47, v49, vcc_lo
	flat_load_b32 v48, v[48:49]
	s_waitcnt vmcnt(0) lgkmcnt(0)
	v_mul_f32_e32 v48, s15, v48
	s_branch .LBB14_240
.LBB14_239:
	v_mov_b32_e32 v48, 0
.LBB14_240:
	v_dual_add_f32 v49, v9, v41 :: v_dual_add_f32 v50, v8, v40
	v_dual_add_f32 v51, v11, v43 :: v_dual_add_f32 v52, v10, v42
	s_delay_alu instid0(VALU_DEP_2) | instskip(SKIP_1) | instid1(VALU_DEP_3)
	v_min3_f32 v53, v50, v49, v115
	v_lshlrev_b64 v[49:50], 2, v[84:85]
	v_min_f32_e32 v51, v52, v51
	s_delay_alu instid0(VALU_DEP_1) | instskip(NEXT) | instid1(VALU_DEP_3)
	v_min3_f32 v51, v48, v51, v53
	v_add_co_u32 v48, vcc_lo, v44, v49
	s_delay_alu instid0(VALU_DEP_4) | instskip(SKIP_3) | instid1(SALU_CYCLE_1)
	v_add_co_ci_u32_e32 v49, vcc_lo, v45, v50, vcc_lo
	global_store_b32 v[48:49], v51, off
	s_or_b32 exec_lo, exec_lo, s8
	s_and_b32 s8, s3, s4
	s_and_saveexec_b32 s4, s8
	s_cbranch_execz .LBB14_245
.LBB14_241:
	v_cmp_ne_u32_e32 vcc_lo, 1, v88
	s_cbranch_vccnz .LBB14_243
; %bb.242:
	v_lshlrev_b64 v[48:49], 2, v[86:87]
	s_delay_alu instid0(VALU_DEP_1) | instskip(NEXT) | instid1(VALU_DEP_2)
	v_add_co_u32 v46, vcc_lo, v46, v48
	v_add_co_ci_u32_e32 v47, vcc_lo, v47, v49, vcc_lo
	flat_load_b32 v46, v[46:47]
	s_waitcnt vmcnt(0) lgkmcnt(0)
	v_mul_f32_e32 v46, s15, v46
	s_branch .LBB14_244
.LBB14_243:
	v_mov_b32_e32 v46, 0
.LBB14_244:
	v_dual_add_f32 v41, v1, v41 :: v_dual_add_f32 v40, v0, v40
	v_dual_add_f32 v43, v3, v43 :: v_dual_add_f32 v42, v2, v42
	s_delay_alu instid0(VALU_DEP_2) | instskip(SKIP_1) | instid1(VALU_DEP_3)
	v_min3_f32 v47, v40, v41, v114
	v_lshlrev_b64 v[40:41], 2, v[86:87]
	v_min_f32_e32 v42, v42, v43
	s_delay_alu instid0(VALU_DEP_1) | instskip(NEXT) | instid1(VALU_DEP_3)
	v_min3_f32 v42, v46, v42, v47
	v_add_co_u32 v40, vcc_lo, v44, v40
	s_delay_alu instid0(VALU_DEP_4)
	v_add_co_ci_u32_e32 v41, vcc_lo, v45, v41, vcc_lo
	global_store_b32 v[40:41], v42, off
.LBB14_245:
	s_or_b32 exec_lo, exec_lo, s4
	v_add_nc_u32_e32 v44, 0x50, v89
	s_delay_alu instid0(VALU_DEP_1) | instskip(SKIP_2) | instid1(VALU_DEP_3)
	v_mad_i64_i32 v[40:41], null, v44, s6, 0
	v_mad_i64_i32 v[42:43], null, v44, s5, 0
	v_cmp_gt_i32_e64 s4, s9, v44
	v_lshlrev_b64 v[40:41], 2, v[40:41]
	s_delay_alu instid0(VALU_DEP_2) | instskip(NEXT) | instid1(VALU_DEP_3)
	s_and_b32 s11, s0, s4
	v_lshlrev_b64 v[44:45], 2, v[42:43]
	s_delay_alu instid0(VALU_DEP_2) | instskip(NEXT) | instid1(VALU_DEP_3)
	v_add_co_u32 v42, vcc_lo, s12, v40
	v_add_co_ci_u32_e32 v43, vcc_lo, s13, v41, vcc_lo
	s_delay_alu instid0(VALU_DEP_3) | instskip(NEXT) | instid1(VALU_DEP_4)
	v_add_co_u32 v40, vcc_lo, s7, v44
	v_add_co_ci_u32_e32 v41, vcc_lo, s10, v45, vcc_lo
	s_and_saveexec_b32 s8, s11
	s_cbranch_execnz .LBB14_249
; %bb.246:
	s_or_b32 exec_lo, exec_lo, s8
	s_and_b32 s11, s1, s4
	s_delay_alu instid0(SALU_CYCLE_1)
	s_and_saveexec_b32 s8, s11
	s_cbranch_execnz .LBB14_253
.LBB14_247:
	s_or_b32 exec_lo, exec_lo, s8
	s_and_b32 s11, s2, s4
	s_delay_alu instid0(SALU_CYCLE_1)
	s_and_saveexec_b32 s8, s11
	s_cbranch_execnz .LBB14_257
.LBB14_248:
	s_or_b32 exec_lo, exec_lo, s8
	s_and_b32 s8, s3, s4
	s_delay_alu instid0(SALU_CYCLE_1)
	s_and_saveexec_b32 s4, s8
	s_cbranch_execnz .LBB14_261
	s_branch .LBB14_265
.LBB14_249:
	v_cmp_ne_u32_e32 vcc_lo, 1, v88
	s_cbranch_vccnz .LBB14_251
; %bb.250:
	v_lshlrev_b64 v[44:45], 2, v[80:81]
	s_delay_alu instid0(VALU_DEP_1) | instskip(NEXT) | instid1(VALU_DEP_2)
	v_add_co_u32 v44, vcc_lo, v42, v44
	v_add_co_ci_u32_e32 v45, vcc_lo, v43, v45, vcc_lo
	flat_load_b32 v44, v[44:45]
	s_waitcnt vmcnt(0) lgkmcnt(0)
	v_mul_f32_e32 v44, s15, v44
	s_branch .LBB14_252
.LBB14_251:
	v_mov_b32_e32 v44, 0
.LBB14_252:
	v_dual_add_f32 v45, v17, v37 :: v_dual_add_f32 v46, v16, v36
	v_dual_add_f32 v47, v19, v39 :: v_dual_add_f32 v48, v18, v38
	s_delay_alu instid0(VALU_DEP_2) | instskip(SKIP_1) | instid1(VALU_DEP_3)
	v_min3_f32 v49, v46, v45, v113
	v_lshlrev_b64 v[45:46], 2, v[80:81]
	v_min_f32_e32 v47, v48, v47
	s_delay_alu instid0(VALU_DEP_1) | instskip(NEXT) | instid1(VALU_DEP_3)
	v_min3_f32 v47, v44, v47, v49
	v_add_co_u32 v44, vcc_lo, v40, v45
	s_delay_alu instid0(VALU_DEP_4) | instskip(SKIP_3) | instid1(SALU_CYCLE_1)
	v_add_co_ci_u32_e32 v45, vcc_lo, v41, v46, vcc_lo
	global_store_b32 v[44:45], v47, off
	s_or_b32 exec_lo, exec_lo, s8
	s_and_b32 s11, s1, s4
	s_and_saveexec_b32 s8, s11
	s_cbranch_execz .LBB14_247
.LBB14_253:
	v_cmp_ne_u32_e32 vcc_lo, 1, v88
	s_cbranch_vccnz .LBB14_255
; %bb.254:
	v_lshlrev_b64 v[44:45], 2, v[82:83]
	s_delay_alu instid0(VALU_DEP_1) | instskip(NEXT) | instid1(VALU_DEP_2)
	v_add_co_u32 v44, vcc_lo, v42, v44
	v_add_co_ci_u32_e32 v45, vcc_lo, v43, v45, vcc_lo
	flat_load_b32 v44, v[44:45]
	s_waitcnt vmcnt(0) lgkmcnt(0)
	v_mul_f32_e32 v44, s15, v44
	s_branch .LBB14_256
.LBB14_255:
	v_mov_b32_e32 v44, 0
.LBB14_256:
	v_dual_add_f32 v45, v13, v37 :: v_dual_add_f32 v46, v12, v36
	v_dual_add_f32 v47, v15, v39 :: v_dual_add_f32 v48, v14, v38
	s_delay_alu instid0(VALU_DEP_2) | instskip(SKIP_1) | instid1(VALU_DEP_3)
	v_min3_f32 v49, v46, v45, v112
	v_lshlrev_b64 v[45:46], 2, v[82:83]
	v_min_f32_e32 v47, v48, v47
	s_delay_alu instid0(VALU_DEP_1) | instskip(NEXT) | instid1(VALU_DEP_3)
	v_min3_f32 v47, v44, v47, v49
	v_add_co_u32 v44, vcc_lo, v40, v45
	s_delay_alu instid0(VALU_DEP_4) | instskip(SKIP_3) | instid1(SALU_CYCLE_1)
	v_add_co_ci_u32_e32 v45, vcc_lo, v41, v46, vcc_lo
	global_store_b32 v[44:45], v47, off
	s_or_b32 exec_lo, exec_lo, s8
	s_and_b32 s11, s2, s4
	s_and_saveexec_b32 s8, s11
	s_cbranch_execz .LBB14_248
.LBB14_257:
	v_cmp_ne_u32_e32 vcc_lo, 1, v88
	s_cbranch_vccnz .LBB14_259
; %bb.258:
	v_lshlrev_b64 v[44:45], 2, v[84:85]
	s_delay_alu instid0(VALU_DEP_1) | instskip(NEXT) | instid1(VALU_DEP_2)
	v_add_co_u32 v44, vcc_lo, v42, v44
	v_add_co_ci_u32_e32 v45, vcc_lo, v43, v45, vcc_lo
	flat_load_b32 v44, v[44:45]
	s_waitcnt vmcnt(0) lgkmcnt(0)
	v_mul_f32_e32 v44, s15, v44
	s_branch .LBB14_260
.LBB14_259:
	v_mov_b32_e32 v44, 0
.LBB14_260:
	v_dual_add_f32 v45, v9, v37 :: v_dual_add_f32 v46, v8, v36
	v_dual_add_f32 v47, v11, v39 :: v_dual_add_f32 v48, v10, v38
	s_delay_alu instid0(VALU_DEP_2) | instskip(SKIP_1) | instid1(VALU_DEP_3)
	v_min3_f32 v49, v46, v45, v111
	v_lshlrev_b64 v[45:46], 2, v[84:85]
	v_min_f32_e32 v47, v48, v47
	s_delay_alu instid0(VALU_DEP_1) | instskip(NEXT) | instid1(VALU_DEP_3)
	v_min3_f32 v47, v44, v47, v49
	v_add_co_u32 v44, vcc_lo, v40, v45
	s_delay_alu instid0(VALU_DEP_4) | instskip(SKIP_3) | instid1(SALU_CYCLE_1)
	v_add_co_ci_u32_e32 v45, vcc_lo, v41, v46, vcc_lo
	global_store_b32 v[44:45], v47, off
	s_or_b32 exec_lo, exec_lo, s8
	s_and_b32 s8, s3, s4
	s_and_saveexec_b32 s4, s8
	s_cbranch_execz .LBB14_265
.LBB14_261:
	v_cmp_ne_u32_e32 vcc_lo, 1, v88
	s_cbranch_vccnz .LBB14_263
; %bb.262:
	v_lshlrev_b64 v[44:45], 2, v[86:87]
	s_delay_alu instid0(VALU_DEP_1) | instskip(NEXT) | instid1(VALU_DEP_2)
	v_add_co_u32 v42, vcc_lo, v42, v44
	v_add_co_ci_u32_e32 v43, vcc_lo, v43, v45, vcc_lo
	flat_load_b32 v42, v[42:43]
	s_waitcnt vmcnt(0) lgkmcnt(0)
	v_mul_f32_e32 v42, s15, v42
	s_branch .LBB14_264
.LBB14_263:
	v_mov_b32_e32 v42, 0
.LBB14_264:
	v_dual_add_f32 v37, v1, v37 :: v_dual_add_f32 v36, v0, v36
	v_dual_add_f32 v39, v3, v39 :: v_dual_add_f32 v38, v2, v38
	s_delay_alu instid0(VALU_DEP_2) | instskip(SKIP_1) | instid1(VALU_DEP_3)
	v_min3_f32 v43, v36, v37, v110
	v_lshlrev_b64 v[36:37], 2, v[86:87]
	v_min_f32_e32 v38, v38, v39
	s_delay_alu instid0(VALU_DEP_1) | instskip(NEXT) | instid1(VALU_DEP_3)
	v_min3_f32 v38, v42, v38, v43
	v_add_co_u32 v36, vcc_lo, v40, v36
	s_delay_alu instid0(VALU_DEP_4)
	v_add_co_ci_u32_e32 v37, vcc_lo, v41, v37, vcc_lo
	global_store_b32 v[36:37], v38, off
.LBB14_265:
	s_or_b32 exec_lo, exec_lo, s4
	v_add_nc_u32_e32 v40, 0x58, v89
	s_delay_alu instid0(VALU_DEP_1) | instskip(SKIP_2) | instid1(VALU_DEP_3)
	v_mad_i64_i32 v[36:37], null, v40, s6, 0
	v_mad_i64_i32 v[38:39], null, v40, s5, 0
	v_cmp_gt_i32_e64 s4, s9, v40
	v_lshlrev_b64 v[36:37], 2, v[36:37]
	s_delay_alu instid0(VALU_DEP_2) | instskip(NEXT) | instid1(VALU_DEP_3)
	s_and_b32 s11, s0, s4
	v_lshlrev_b64 v[40:41], 2, v[38:39]
	s_delay_alu instid0(VALU_DEP_2) | instskip(NEXT) | instid1(VALU_DEP_3)
	v_add_co_u32 v38, vcc_lo, s12, v36
	v_add_co_ci_u32_e32 v39, vcc_lo, s13, v37, vcc_lo
	s_delay_alu instid0(VALU_DEP_3) | instskip(NEXT) | instid1(VALU_DEP_4)
	v_add_co_u32 v36, vcc_lo, s7, v40
	v_add_co_ci_u32_e32 v37, vcc_lo, s10, v41, vcc_lo
	s_and_saveexec_b32 s8, s11
	s_cbranch_execnz .LBB14_269
; %bb.266:
	s_or_b32 exec_lo, exec_lo, s8
	s_and_b32 s11, s1, s4
	s_delay_alu instid0(SALU_CYCLE_1)
	s_and_saveexec_b32 s8, s11
	s_cbranch_execnz .LBB14_273
.LBB14_267:
	s_or_b32 exec_lo, exec_lo, s8
	s_and_b32 s11, s2, s4
	s_delay_alu instid0(SALU_CYCLE_1)
	s_and_saveexec_b32 s8, s11
	s_cbranch_execnz .LBB14_277
.LBB14_268:
	s_or_b32 exec_lo, exec_lo, s8
	s_and_b32 s8, s3, s4
	s_delay_alu instid0(SALU_CYCLE_1)
	s_and_saveexec_b32 s4, s8
	s_cbranch_execnz .LBB14_281
	s_branch .LBB14_285
.LBB14_269:
	v_cmp_ne_u32_e32 vcc_lo, 1, v88
	s_cbranch_vccnz .LBB14_271
; %bb.270:
	v_lshlrev_b64 v[40:41], 2, v[80:81]
	s_delay_alu instid0(VALU_DEP_1) | instskip(NEXT) | instid1(VALU_DEP_2)
	v_add_co_u32 v40, vcc_lo, v38, v40
	v_add_co_ci_u32_e32 v41, vcc_lo, v39, v41, vcc_lo
	flat_load_b32 v40, v[40:41]
	s_waitcnt vmcnt(0) lgkmcnt(0)
	v_mul_f32_e32 v40, s15, v40
	s_branch .LBB14_272
.LBB14_271:
	v_mov_b32_e32 v40, 0
.LBB14_272:
	v_dual_add_f32 v41, v17, v33 :: v_dual_add_f32 v42, v16, v32
	v_dual_add_f32 v43, v19, v35 :: v_dual_add_f32 v44, v18, v34
	s_delay_alu instid0(VALU_DEP_2) | instskip(SKIP_1) | instid1(VALU_DEP_3)
	v_min3_f32 v45, v42, v41, v109
	v_lshlrev_b64 v[41:42], 2, v[80:81]
	v_min_f32_e32 v43, v44, v43
	s_delay_alu instid0(VALU_DEP_1) | instskip(NEXT) | instid1(VALU_DEP_3)
	v_min3_f32 v43, v40, v43, v45
	v_add_co_u32 v40, vcc_lo, v36, v41
	s_delay_alu instid0(VALU_DEP_4) | instskip(SKIP_3) | instid1(SALU_CYCLE_1)
	v_add_co_ci_u32_e32 v41, vcc_lo, v37, v42, vcc_lo
	global_store_b32 v[40:41], v43, off
	s_or_b32 exec_lo, exec_lo, s8
	s_and_b32 s11, s1, s4
	s_and_saveexec_b32 s8, s11
	s_cbranch_execz .LBB14_267
.LBB14_273:
	v_cmp_ne_u32_e32 vcc_lo, 1, v88
	s_cbranch_vccnz .LBB14_275
; %bb.274:
	v_lshlrev_b64 v[40:41], 2, v[82:83]
	s_delay_alu instid0(VALU_DEP_1) | instskip(NEXT) | instid1(VALU_DEP_2)
	v_add_co_u32 v40, vcc_lo, v38, v40
	v_add_co_ci_u32_e32 v41, vcc_lo, v39, v41, vcc_lo
	flat_load_b32 v40, v[40:41]
	s_waitcnt vmcnt(0) lgkmcnt(0)
	v_mul_f32_e32 v40, s15, v40
	s_branch .LBB14_276
.LBB14_275:
	v_mov_b32_e32 v40, 0
.LBB14_276:
	v_dual_add_f32 v41, v13, v33 :: v_dual_add_f32 v42, v12, v32
	v_dual_add_f32 v43, v15, v35 :: v_dual_add_f32 v44, v14, v34
	s_delay_alu instid0(VALU_DEP_2) | instskip(SKIP_1) | instid1(VALU_DEP_3)
	v_min3_f32 v45, v42, v41, v108
	v_lshlrev_b64 v[41:42], 2, v[82:83]
	v_min_f32_e32 v43, v44, v43
	s_delay_alu instid0(VALU_DEP_1) | instskip(NEXT) | instid1(VALU_DEP_3)
	v_min3_f32 v43, v40, v43, v45
	v_add_co_u32 v40, vcc_lo, v36, v41
	s_delay_alu instid0(VALU_DEP_4) | instskip(SKIP_3) | instid1(SALU_CYCLE_1)
	v_add_co_ci_u32_e32 v41, vcc_lo, v37, v42, vcc_lo
	global_store_b32 v[40:41], v43, off
	s_or_b32 exec_lo, exec_lo, s8
	s_and_b32 s11, s2, s4
	s_and_saveexec_b32 s8, s11
	s_cbranch_execz .LBB14_268
.LBB14_277:
	v_cmp_ne_u32_e32 vcc_lo, 1, v88
	s_cbranch_vccnz .LBB14_279
; %bb.278:
	v_lshlrev_b64 v[40:41], 2, v[84:85]
	s_delay_alu instid0(VALU_DEP_1) | instskip(NEXT) | instid1(VALU_DEP_2)
	v_add_co_u32 v40, vcc_lo, v38, v40
	v_add_co_ci_u32_e32 v41, vcc_lo, v39, v41, vcc_lo
	flat_load_b32 v40, v[40:41]
	s_waitcnt vmcnt(0) lgkmcnt(0)
	v_mul_f32_e32 v40, s15, v40
	s_branch .LBB14_280
.LBB14_279:
	v_mov_b32_e32 v40, 0
.LBB14_280:
	v_dual_add_f32 v41, v9, v33 :: v_dual_add_f32 v42, v8, v32
	v_dual_add_f32 v43, v11, v35 :: v_dual_add_f32 v44, v10, v34
	s_delay_alu instid0(VALU_DEP_2) | instskip(SKIP_1) | instid1(VALU_DEP_3)
	v_min3_f32 v45, v42, v41, v107
	v_lshlrev_b64 v[41:42], 2, v[84:85]
	v_min_f32_e32 v43, v44, v43
	s_delay_alu instid0(VALU_DEP_1) | instskip(NEXT) | instid1(VALU_DEP_3)
	v_min3_f32 v43, v40, v43, v45
	v_add_co_u32 v40, vcc_lo, v36, v41
	s_delay_alu instid0(VALU_DEP_4) | instskip(SKIP_3) | instid1(SALU_CYCLE_1)
	v_add_co_ci_u32_e32 v41, vcc_lo, v37, v42, vcc_lo
	global_store_b32 v[40:41], v43, off
	s_or_b32 exec_lo, exec_lo, s8
	s_and_b32 s8, s3, s4
	s_and_saveexec_b32 s4, s8
	s_cbranch_execz .LBB14_285
.LBB14_281:
	v_cmp_ne_u32_e32 vcc_lo, 1, v88
	s_cbranch_vccnz .LBB14_283
; %bb.282:
	v_lshlrev_b64 v[40:41], 2, v[86:87]
	s_delay_alu instid0(VALU_DEP_1) | instskip(NEXT) | instid1(VALU_DEP_2)
	v_add_co_u32 v38, vcc_lo, v38, v40
	v_add_co_ci_u32_e32 v39, vcc_lo, v39, v41, vcc_lo
	flat_load_b32 v38, v[38:39]
	s_waitcnt vmcnt(0) lgkmcnt(0)
	v_mul_f32_e32 v38, s15, v38
	s_branch .LBB14_284
.LBB14_283:
	v_mov_b32_e32 v38, 0
.LBB14_284:
	v_dual_add_f32 v33, v1, v33 :: v_dual_add_f32 v32, v0, v32
	v_dual_add_f32 v35, v3, v35 :: v_dual_add_f32 v34, v2, v34
	s_delay_alu instid0(VALU_DEP_2) | instskip(SKIP_1) | instid1(VALU_DEP_3)
	v_min3_f32 v39, v32, v33, v106
	v_lshlrev_b64 v[32:33], 2, v[86:87]
	v_min_f32_e32 v34, v34, v35
	s_delay_alu instid0(VALU_DEP_1) | instskip(NEXT) | instid1(VALU_DEP_3)
	v_min3_f32 v34, v38, v34, v39
	v_add_co_u32 v32, vcc_lo, v36, v32
	s_delay_alu instid0(VALU_DEP_4)
	v_add_co_ci_u32_e32 v33, vcc_lo, v37, v33, vcc_lo
	global_store_b32 v[32:33], v34, off
.LBB14_285:
	s_or_b32 exec_lo, exec_lo, s4
	v_add_nc_u32_e32 v36, 0x60, v89
	s_delay_alu instid0(VALU_DEP_1) | instskip(SKIP_2) | instid1(VALU_DEP_3)
	v_mad_i64_i32 v[32:33], null, v36, s6, 0
	v_mad_i64_i32 v[34:35], null, v36, s5, 0
	v_cmp_gt_i32_e64 s4, s9, v36
	v_lshlrev_b64 v[32:33], 2, v[32:33]
	s_delay_alu instid0(VALU_DEP_2) | instskip(NEXT) | instid1(VALU_DEP_3)
	s_and_b32 s11, s0, s4
	v_lshlrev_b64 v[36:37], 2, v[34:35]
	s_delay_alu instid0(VALU_DEP_2) | instskip(NEXT) | instid1(VALU_DEP_3)
	v_add_co_u32 v34, vcc_lo, s12, v32
	v_add_co_ci_u32_e32 v35, vcc_lo, s13, v33, vcc_lo
	s_delay_alu instid0(VALU_DEP_3) | instskip(NEXT) | instid1(VALU_DEP_4)
	v_add_co_u32 v32, vcc_lo, s7, v36
	v_add_co_ci_u32_e32 v33, vcc_lo, s10, v37, vcc_lo
	s_and_saveexec_b32 s8, s11
	s_cbranch_execnz .LBB14_289
; %bb.286:
	s_or_b32 exec_lo, exec_lo, s8
	s_and_b32 s11, s1, s4
	s_delay_alu instid0(SALU_CYCLE_1)
	s_and_saveexec_b32 s8, s11
	s_cbranch_execnz .LBB14_293
.LBB14_287:
	s_or_b32 exec_lo, exec_lo, s8
	s_and_b32 s11, s2, s4
	s_delay_alu instid0(SALU_CYCLE_1)
	s_and_saveexec_b32 s8, s11
	s_cbranch_execnz .LBB14_297
.LBB14_288:
	s_or_b32 exec_lo, exec_lo, s8
	s_and_b32 s8, s3, s4
	s_delay_alu instid0(SALU_CYCLE_1)
	s_and_saveexec_b32 s4, s8
	s_cbranch_execnz .LBB14_301
	s_branch .LBB14_305
.LBB14_289:
	v_cmp_ne_u32_e32 vcc_lo, 1, v88
	s_cbranch_vccnz .LBB14_291
; %bb.290:
	v_lshlrev_b64 v[36:37], 2, v[80:81]
	s_delay_alu instid0(VALU_DEP_1) | instskip(NEXT) | instid1(VALU_DEP_2)
	v_add_co_u32 v36, vcc_lo, v34, v36
	v_add_co_ci_u32_e32 v37, vcc_lo, v35, v37, vcc_lo
	flat_load_b32 v36, v[36:37]
	s_waitcnt vmcnt(0) lgkmcnt(0)
	v_mul_f32_e32 v36, s15, v36
	s_branch .LBB14_292
.LBB14_291:
	v_mov_b32_e32 v36, 0
.LBB14_292:
	v_dual_add_f32 v37, v17, v29 :: v_dual_add_f32 v38, v16, v28
	v_dual_add_f32 v39, v19, v31 :: v_dual_add_f32 v40, v18, v30
	s_delay_alu instid0(VALU_DEP_2) | instskip(SKIP_1) | instid1(VALU_DEP_3)
	v_min3_f32 v41, v38, v37, v105
	v_lshlrev_b64 v[37:38], 2, v[80:81]
	v_min_f32_e32 v39, v40, v39
	s_delay_alu instid0(VALU_DEP_1) | instskip(NEXT) | instid1(VALU_DEP_3)
	v_min3_f32 v39, v36, v39, v41
	v_add_co_u32 v36, vcc_lo, v32, v37
	s_delay_alu instid0(VALU_DEP_4) | instskip(SKIP_3) | instid1(SALU_CYCLE_1)
	v_add_co_ci_u32_e32 v37, vcc_lo, v33, v38, vcc_lo
	global_store_b32 v[36:37], v39, off
	s_or_b32 exec_lo, exec_lo, s8
	s_and_b32 s11, s1, s4
	s_and_saveexec_b32 s8, s11
	s_cbranch_execz .LBB14_287
.LBB14_293:
	v_cmp_ne_u32_e32 vcc_lo, 1, v88
	s_cbranch_vccnz .LBB14_295
; %bb.294:
	v_lshlrev_b64 v[36:37], 2, v[82:83]
	s_delay_alu instid0(VALU_DEP_1) | instskip(NEXT) | instid1(VALU_DEP_2)
	v_add_co_u32 v36, vcc_lo, v34, v36
	v_add_co_ci_u32_e32 v37, vcc_lo, v35, v37, vcc_lo
	flat_load_b32 v36, v[36:37]
	s_waitcnt vmcnt(0) lgkmcnt(0)
	v_mul_f32_e32 v36, s15, v36
	s_branch .LBB14_296
.LBB14_295:
	v_mov_b32_e32 v36, 0
.LBB14_296:
	v_dual_add_f32 v37, v13, v29 :: v_dual_add_f32 v38, v12, v28
	v_dual_add_f32 v39, v15, v31 :: v_dual_add_f32 v40, v14, v30
	s_delay_alu instid0(VALU_DEP_2) | instskip(SKIP_1) | instid1(VALU_DEP_3)
	v_min3_f32 v41, v38, v37, v104
	v_lshlrev_b64 v[37:38], 2, v[82:83]
	v_min_f32_e32 v39, v40, v39
	s_delay_alu instid0(VALU_DEP_1) | instskip(NEXT) | instid1(VALU_DEP_3)
	v_min3_f32 v39, v36, v39, v41
	v_add_co_u32 v36, vcc_lo, v32, v37
	s_delay_alu instid0(VALU_DEP_4) | instskip(SKIP_3) | instid1(SALU_CYCLE_1)
	v_add_co_ci_u32_e32 v37, vcc_lo, v33, v38, vcc_lo
	global_store_b32 v[36:37], v39, off
	s_or_b32 exec_lo, exec_lo, s8
	s_and_b32 s11, s2, s4
	s_and_saveexec_b32 s8, s11
	s_cbranch_execz .LBB14_288
.LBB14_297:
	v_cmp_ne_u32_e32 vcc_lo, 1, v88
	s_cbranch_vccnz .LBB14_299
; %bb.298:
	v_lshlrev_b64 v[36:37], 2, v[84:85]
	s_delay_alu instid0(VALU_DEP_1) | instskip(NEXT) | instid1(VALU_DEP_2)
	v_add_co_u32 v36, vcc_lo, v34, v36
	v_add_co_ci_u32_e32 v37, vcc_lo, v35, v37, vcc_lo
	flat_load_b32 v36, v[36:37]
	s_waitcnt vmcnt(0) lgkmcnt(0)
	v_mul_f32_e32 v36, s15, v36
	s_branch .LBB14_300
.LBB14_299:
	v_mov_b32_e32 v36, 0
.LBB14_300:
	v_dual_add_f32 v37, v9, v29 :: v_dual_add_f32 v38, v8, v28
	v_dual_add_f32 v39, v11, v31 :: v_dual_add_f32 v40, v10, v30
	s_delay_alu instid0(VALU_DEP_2) | instskip(SKIP_1) | instid1(VALU_DEP_3)
	v_min3_f32 v41, v38, v37, v103
	v_lshlrev_b64 v[37:38], 2, v[84:85]
	v_min_f32_e32 v39, v40, v39
	s_delay_alu instid0(VALU_DEP_1) | instskip(NEXT) | instid1(VALU_DEP_3)
	v_min3_f32 v39, v36, v39, v41
	v_add_co_u32 v36, vcc_lo, v32, v37
	s_delay_alu instid0(VALU_DEP_4) | instskip(SKIP_3) | instid1(SALU_CYCLE_1)
	v_add_co_ci_u32_e32 v37, vcc_lo, v33, v38, vcc_lo
	global_store_b32 v[36:37], v39, off
	s_or_b32 exec_lo, exec_lo, s8
	s_and_b32 s8, s3, s4
	s_and_saveexec_b32 s4, s8
	s_cbranch_execz .LBB14_305
.LBB14_301:
	v_cmp_ne_u32_e32 vcc_lo, 1, v88
	s_cbranch_vccnz .LBB14_303
; %bb.302:
	v_lshlrev_b64 v[36:37], 2, v[86:87]
	s_delay_alu instid0(VALU_DEP_1) | instskip(NEXT) | instid1(VALU_DEP_2)
	v_add_co_u32 v34, vcc_lo, v34, v36
	v_add_co_ci_u32_e32 v35, vcc_lo, v35, v37, vcc_lo
	flat_load_b32 v34, v[34:35]
	s_waitcnt vmcnt(0) lgkmcnt(0)
	v_mul_f32_e32 v34, s15, v34
	s_branch .LBB14_304
.LBB14_303:
	v_mov_b32_e32 v34, 0
.LBB14_304:
	v_dual_add_f32 v29, v1, v29 :: v_dual_add_f32 v28, v0, v28
	v_dual_add_f32 v31, v3, v31 :: v_dual_add_f32 v30, v2, v30
	s_delay_alu instid0(VALU_DEP_2) | instskip(SKIP_1) | instid1(VALU_DEP_3)
	v_min3_f32 v35, v28, v29, v102
	v_lshlrev_b64 v[28:29], 2, v[86:87]
	v_min_f32_e32 v30, v30, v31
	s_delay_alu instid0(VALU_DEP_1) | instskip(NEXT) | instid1(VALU_DEP_3)
	v_min3_f32 v30, v34, v30, v35
	v_add_co_u32 v28, vcc_lo, v32, v28
	s_delay_alu instid0(VALU_DEP_4)
	v_add_co_ci_u32_e32 v29, vcc_lo, v33, v29, vcc_lo
	global_store_b32 v[28:29], v30, off
.LBB14_305:
	s_or_b32 exec_lo, exec_lo, s4
	v_add_nc_u32_e32 v32, 0x68, v89
	s_delay_alu instid0(VALU_DEP_1) | instskip(SKIP_2) | instid1(VALU_DEP_3)
	v_mad_i64_i32 v[28:29], null, v32, s6, 0
	v_mad_i64_i32 v[30:31], null, v32, s5, 0
	v_cmp_gt_i32_e64 s4, s9, v32
	v_lshlrev_b64 v[28:29], 2, v[28:29]
	s_delay_alu instid0(VALU_DEP_2) | instskip(NEXT) | instid1(VALU_DEP_3)
	s_and_b32 s11, s0, s4
	v_lshlrev_b64 v[32:33], 2, v[30:31]
	s_delay_alu instid0(VALU_DEP_2) | instskip(NEXT) | instid1(VALU_DEP_3)
	v_add_co_u32 v30, vcc_lo, s12, v28
	v_add_co_ci_u32_e32 v31, vcc_lo, s13, v29, vcc_lo
	s_delay_alu instid0(VALU_DEP_3) | instskip(NEXT) | instid1(VALU_DEP_4)
	v_add_co_u32 v28, vcc_lo, s7, v32
	v_add_co_ci_u32_e32 v29, vcc_lo, s10, v33, vcc_lo
	s_and_saveexec_b32 s8, s11
	s_cbranch_execnz .LBB14_309
; %bb.306:
	s_or_b32 exec_lo, exec_lo, s8
	s_and_b32 s11, s1, s4
	s_delay_alu instid0(SALU_CYCLE_1)
	s_and_saveexec_b32 s8, s11
	s_cbranch_execnz .LBB14_313
.LBB14_307:
	s_or_b32 exec_lo, exec_lo, s8
	s_and_b32 s11, s2, s4
	s_delay_alu instid0(SALU_CYCLE_1)
	s_and_saveexec_b32 s8, s11
	s_cbranch_execnz .LBB14_317
.LBB14_308:
	s_or_b32 exec_lo, exec_lo, s8
	s_and_b32 s8, s3, s4
	s_delay_alu instid0(SALU_CYCLE_1)
	s_and_saveexec_b32 s4, s8
	s_cbranch_execnz .LBB14_321
	s_branch .LBB14_325
.LBB14_309:
	v_cmp_ne_u32_e32 vcc_lo, 1, v88
	s_cbranch_vccnz .LBB14_311
; %bb.310:
	v_lshlrev_b64 v[32:33], 2, v[80:81]
	s_delay_alu instid0(VALU_DEP_1) | instskip(NEXT) | instid1(VALU_DEP_2)
	v_add_co_u32 v32, vcc_lo, v30, v32
	v_add_co_ci_u32_e32 v33, vcc_lo, v31, v33, vcc_lo
	flat_load_b32 v32, v[32:33]
	s_waitcnt vmcnt(0) lgkmcnt(0)
	v_mul_f32_e32 v32, s15, v32
	s_branch .LBB14_312
.LBB14_311:
	v_mov_b32_e32 v32, 0
.LBB14_312:
	v_dual_add_f32 v33, v17, v25 :: v_dual_add_f32 v34, v16, v24
	v_dual_add_f32 v35, v19, v27 :: v_dual_add_f32 v36, v18, v26
	s_delay_alu instid0(VALU_DEP_2) | instskip(SKIP_1) | instid1(VALU_DEP_3)
	v_min3_f32 v37, v34, v33, v101
	v_lshlrev_b64 v[33:34], 2, v[80:81]
	v_min_f32_e32 v35, v36, v35
	s_delay_alu instid0(VALU_DEP_1) | instskip(NEXT) | instid1(VALU_DEP_3)
	v_min3_f32 v35, v32, v35, v37
	v_add_co_u32 v32, vcc_lo, v28, v33
	s_delay_alu instid0(VALU_DEP_4) | instskip(SKIP_3) | instid1(SALU_CYCLE_1)
	v_add_co_ci_u32_e32 v33, vcc_lo, v29, v34, vcc_lo
	global_store_b32 v[32:33], v35, off
	s_or_b32 exec_lo, exec_lo, s8
	s_and_b32 s11, s1, s4
	s_and_saveexec_b32 s8, s11
	s_cbranch_execz .LBB14_307
.LBB14_313:
	v_cmp_ne_u32_e32 vcc_lo, 1, v88
	s_cbranch_vccnz .LBB14_315
; %bb.314:
	v_lshlrev_b64 v[32:33], 2, v[82:83]
	s_delay_alu instid0(VALU_DEP_1) | instskip(NEXT) | instid1(VALU_DEP_2)
	v_add_co_u32 v32, vcc_lo, v30, v32
	v_add_co_ci_u32_e32 v33, vcc_lo, v31, v33, vcc_lo
	flat_load_b32 v32, v[32:33]
	s_waitcnt vmcnt(0) lgkmcnt(0)
	v_mul_f32_e32 v32, s15, v32
	s_branch .LBB14_316
.LBB14_315:
	v_mov_b32_e32 v32, 0
.LBB14_316:
	v_dual_add_f32 v33, v13, v25 :: v_dual_add_f32 v34, v12, v24
	v_dual_add_f32 v35, v15, v27 :: v_dual_add_f32 v36, v14, v26
	s_delay_alu instid0(VALU_DEP_2) | instskip(SKIP_1) | instid1(VALU_DEP_3)
	v_min3_f32 v37, v34, v33, v100
	v_lshlrev_b64 v[33:34], 2, v[82:83]
	v_min_f32_e32 v35, v36, v35
	s_delay_alu instid0(VALU_DEP_1) | instskip(NEXT) | instid1(VALU_DEP_3)
	v_min3_f32 v35, v32, v35, v37
	v_add_co_u32 v32, vcc_lo, v28, v33
	s_delay_alu instid0(VALU_DEP_4) | instskip(SKIP_3) | instid1(SALU_CYCLE_1)
	v_add_co_ci_u32_e32 v33, vcc_lo, v29, v34, vcc_lo
	global_store_b32 v[32:33], v35, off
	s_or_b32 exec_lo, exec_lo, s8
	s_and_b32 s11, s2, s4
	s_and_saveexec_b32 s8, s11
	s_cbranch_execz .LBB14_308
.LBB14_317:
	v_cmp_ne_u32_e32 vcc_lo, 1, v88
	s_cbranch_vccnz .LBB14_319
; %bb.318:
	v_lshlrev_b64 v[32:33], 2, v[84:85]
	s_delay_alu instid0(VALU_DEP_1) | instskip(NEXT) | instid1(VALU_DEP_2)
	v_add_co_u32 v32, vcc_lo, v30, v32
	v_add_co_ci_u32_e32 v33, vcc_lo, v31, v33, vcc_lo
	flat_load_b32 v32, v[32:33]
	s_waitcnt vmcnt(0) lgkmcnt(0)
	v_mul_f32_e32 v32, s15, v32
	s_branch .LBB14_320
.LBB14_319:
	v_mov_b32_e32 v32, 0
.LBB14_320:
	v_dual_add_f32 v33, v9, v25 :: v_dual_add_f32 v34, v8, v24
	v_dual_add_f32 v35, v11, v27 :: v_dual_add_f32 v36, v10, v26
	s_delay_alu instid0(VALU_DEP_2) | instskip(SKIP_1) | instid1(VALU_DEP_3)
	v_min3_f32 v37, v34, v33, v99
	v_lshlrev_b64 v[33:34], 2, v[84:85]
	v_min_f32_e32 v35, v36, v35
	s_delay_alu instid0(VALU_DEP_1) | instskip(NEXT) | instid1(VALU_DEP_3)
	v_min3_f32 v35, v32, v35, v37
	v_add_co_u32 v32, vcc_lo, v28, v33
	s_delay_alu instid0(VALU_DEP_4) | instskip(SKIP_3) | instid1(SALU_CYCLE_1)
	v_add_co_ci_u32_e32 v33, vcc_lo, v29, v34, vcc_lo
	global_store_b32 v[32:33], v35, off
	s_or_b32 exec_lo, exec_lo, s8
	s_and_b32 s8, s3, s4
	s_and_saveexec_b32 s4, s8
	s_cbranch_execz .LBB14_325
.LBB14_321:
	v_cmp_ne_u32_e32 vcc_lo, 1, v88
	s_cbranch_vccnz .LBB14_323
; %bb.322:
	v_lshlrev_b64 v[32:33], 2, v[86:87]
	s_delay_alu instid0(VALU_DEP_1) | instskip(NEXT) | instid1(VALU_DEP_2)
	v_add_co_u32 v30, vcc_lo, v30, v32
	v_add_co_ci_u32_e32 v31, vcc_lo, v31, v33, vcc_lo
	flat_load_b32 v30, v[30:31]
	s_waitcnt vmcnt(0) lgkmcnt(0)
	v_mul_f32_e32 v30, s15, v30
	s_branch .LBB14_324
.LBB14_323:
	v_mov_b32_e32 v30, 0
.LBB14_324:
	v_dual_add_f32 v25, v1, v25 :: v_dual_add_f32 v24, v0, v24
	v_dual_add_f32 v27, v3, v27 :: v_dual_add_f32 v26, v2, v26
	s_delay_alu instid0(VALU_DEP_2) | instskip(SKIP_1) | instid1(VALU_DEP_3)
	v_min3_f32 v31, v24, v25, v98
	v_lshlrev_b64 v[24:25], 2, v[86:87]
	v_min_f32_e32 v26, v26, v27
	s_delay_alu instid0(VALU_DEP_1) | instskip(NEXT) | instid1(VALU_DEP_3)
	v_min3_f32 v26, v30, v26, v31
	v_add_co_u32 v24, vcc_lo, v28, v24
	s_delay_alu instid0(VALU_DEP_4)
	v_add_co_ci_u32_e32 v25, vcc_lo, v29, v25, vcc_lo
	global_store_b32 v[24:25], v26, off
.LBB14_325:
	s_or_b32 exec_lo, exec_lo, s4
	v_add_nc_u32_e32 v28, 0x70, v89
	s_delay_alu instid0(VALU_DEP_1) | instskip(SKIP_2) | instid1(VALU_DEP_3)
	v_mad_i64_i32 v[24:25], null, v28, s6, 0
	v_mad_i64_i32 v[26:27], null, v28, s5, 0
	v_cmp_gt_i32_e64 s4, s9, v28
	v_lshlrev_b64 v[24:25], 2, v[24:25]
	s_delay_alu instid0(VALU_DEP_2) | instskip(NEXT) | instid1(VALU_DEP_3)
	s_and_b32 s11, s0, s4
	v_lshlrev_b64 v[28:29], 2, v[26:27]
	s_delay_alu instid0(VALU_DEP_2) | instskip(NEXT) | instid1(VALU_DEP_3)
	v_add_co_u32 v26, vcc_lo, s12, v24
	v_add_co_ci_u32_e32 v27, vcc_lo, s13, v25, vcc_lo
	s_delay_alu instid0(VALU_DEP_3) | instskip(NEXT) | instid1(VALU_DEP_4)
	v_add_co_u32 v24, vcc_lo, s7, v28
	v_add_co_ci_u32_e32 v25, vcc_lo, s10, v29, vcc_lo
	s_and_saveexec_b32 s8, s11
	s_cbranch_execnz .LBB14_329
; %bb.326:
	s_or_b32 exec_lo, exec_lo, s8
	s_and_b32 s11, s1, s4
	s_delay_alu instid0(SALU_CYCLE_1)
	s_and_saveexec_b32 s8, s11
	s_cbranch_execnz .LBB14_333
.LBB14_327:
	s_or_b32 exec_lo, exec_lo, s8
	s_and_b32 s11, s2, s4
	s_delay_alu instid0(SALU_CYCLE_1)
	s_and_saveexec_b32 s8, s11
	s_cbranch_execnz .LBB14_337
.LBB14_328:
	s_or_b32 exec_lo, exec_lo, s8
	s_and_b32 s8, s3, s4
	s_delay_alu instid0(SALU_CYCLE_1)
	s_and_saveexec_b32 s4, s8
	s_cbranch_execnz .LBB14_341
	s_branch .LBB14_345
.LBB14_329:
	v_cmp_ne_u32_e32 vcc_lo, 1, v88
	s_cbranch_vccnz .LBB14_331
; %bb.330:
	v_lshlrev_b64 v[28:29], 2, v[80:81]
	s_delay_alu instid0(VALU_DEP_1) | instskip(NEXT) | instid1(VALU_DEP_2)
	v_add_co_u32 v28, vcc_lo, v26, v28
	v_add_co_ci_u32_e32 v29, vcc_lo, v27, v29, vcc_lo
	flat_load_b32 v28, v[28:29]
	s_waitcnt vmcnt(0) lgkmcnt(0)
	v_mul_f32_e32 v28, s15, v28
	s_branch .LBB14_332
.LBB14_331:
	v_mov_b32_e32 v28, 0
.LBB14_332:
	v_dual_add_f32 v29, v17, v21 :: v_dual_add_f32 v30, v16, v20
	v_dual_add_f32 v31, v19, v23 :: v_dual_add_f32 v32, v18, v22
	s_delay_alu instid0(VALU_DEP_2) | instskip(SKIP_1) | instid1(VALU_DEP_3)
	v_min3_f32 v33, v30, v29, v97
	v_lshlrev_b64 v[29:30], 2, v[80:81]
	v_min_f32_e32 v31, v32, v31
	s_delay_alu instid0(VALU_DEP_1) | instskip(NEXT) | instid1(VALU_DEP_3)
	v_min3_f32 v31, v28, v31, v33
	v_add_co_u32 v28, vcc_lo, v24, v29
	s_delay_alu instid0(VALU_DEP_4) | instskip(SKIP_3) | instid1(SALU_CYCLE_1)
	v_add_co_ci_u32_e32 v29, vcc_lo, v25, v30, vcc_lo
	global_store_b32 v[28:29], v31, off
	s_or_b32 exec_lo, exec_lo, s8
	s_and_b32 s11, s1, s4
	s_and_saveexec_b32 s8, s11
	s_cbranch_execz .LBB14_327
.LBB14_333:
	v_cmp_ne_u32_e32 vcc_lo, 1, v88
	s_cbranch_vccnz .LBB14_335
; %bb.334:
	v_lshlrev_b64 v[28:29], 2, v[82:83]
	s_delay_alu instid0(VALU_DEP_1) | instskip(NEXT) | instid1(VALU_DEP_2)
	v_add_co_u32 v28, vcc_lo, v26, v28
	v_add_co_ci_u32_e32 v29, vcc_lo, v27, v29, vcc_lo
	flat_load_b32 v28, v[28:29]
	s_waitcnt vmcnt(0) lgkmcnt(0)
	v_mul_f32_e32 v28, s15, v28
	s_branch .LBB14_336
.LBB14_335:
	v_mov_b32_e32 v28, 0
.LBB14_336:
	v_dual_add_f32 v29, v13, v21 :: v_dual_add_f32 v30, v12, v20
	v_dual_add_f32 v31, v15, v23 :: v_dual_add_f32 v32, v14, v22
	s_delay_alu instid0(VALU_DEP_2) | instskip(SKIP_1) | instid1(VALU_DEP_3)
	v_min3_f32 v33, v30, v29, v96
	v_lshlrev_b64 v[29:30], 2, v[82:83]
	v_min_f32_e32 v31, v32, v31
	s_delay_alu instid0(VALU_DEP_1) | instskip(NEXT) | instid1(VALU_DEP_3)
	v_min3_f32 v31, v28, v31, v33
	v_add_co_u32 v28, vcc_lo, v24, v29
	s_delay_alu instid0(VALU_DEP_4) | instskip(SKIP_3) | instid1(SALU_CYCLE_1)
	v_add_co_ci_u32_e32 v29, vcc_lo, v25, v30, vcc_lo
	global_store_b32 v[28:29], v31, off
	s_or_b32 exec_lo, exec_lo, s8
	s_and_b32 s11, s2, s4
	s_and_saveexec_b32 s8, s11
	s_cbranch_execz .LBB14_328
.LBB14_337:
	v_cmp_ne_u32_e32 vcc_lo, 1, v88
	s_cbranch_vccnz .LBB14_339
; %bb.338:
	v_lshlrev_b64 v[28:29], 2, v[84:85]
	s_delay_alu instid0(VALU_DEP_1) | instskip(NEXT) | instid1(VALU_DEP_2)
	v_add_co_u32 v28, vcc_lo, v26, v28
	v_add_co_ci_u32_e32 v29, vcc_lo, v27, v29, vcc_lo
	flat_load_b32 v28, v[28:29]
	s_waitcnt vmcnt(0) lgkmcnt(0)
	v_mul_f32_e32 v28, s15, v28
	s_branch .LBB14_340
.LBB14_339:
	v_mov_b32_e32 v28, 0
.LBB14_340:
	v_dual_add_f32 v29, v9, v21 :: v_dual_add_f32 v30, v8, v20
	v_dual_add_f32 v31, v11, v23 :: v_dual_add_f32 v32, v10, v22
	s_delay_alu instid0(VALU_DEP_2) | instskip(SKIP_1) | instid1(VALU_DEP_3)
	v_min3_f32 v33, v30, v29, v95
	v_lshlrev_b64 v[29:30], 2, v[84:85]
	v_min_f32_e32 v31, v32, v31
	s_delay_alu instid0(VALU_DEP_1) | instskip(NEXT) | instid1(VALU_DEP_3)
	v_min3_f32 v31, v28, v31, v33
	v_add_co_u32 v28, vcc_lo, v24, v29
	s_delay_alu instid0(VALU_DEP_4) | instskip(SKIP_3) | instid1(SALU_CYCLE_1)
	v_add_co_ci_u32_e32 v29, vcc_lo, v25, v30, vcc_lo
	global_store_b32 v[28:29], v31, off
	s_or_b32 exec_lo, exec_lo, s8
	s_and_b32 s8, s3, s4
	s_and_saveexec_b32 s4, s8
	s_cbranch_execz .LBB14_345
.LBB14_341:
	v_cmp_ne_u32_e32 vcc_lo, 1, v88
	s_cbranch_vccnz .LBB14_343
; %bb.342:
	v_lshlrev_b64 v[28:29], 2, v[86:87]
	s_delay_alu instid0(VALU_DEP_1) | instskip(NEXT) | instid1(VALU_DEP_2)
	v_add_co_u32 v26, vcc_lo, v26, v28
	v_add_co_ci_u32_e32 v27, vcc_lo, v27, v29, vcc_lo
	flat_load_b32 v26, v[26:27]
	s_waitcnt vmcnt(0) lgkmcnt(0)
	v_mul_f32_e32 v26, s15, v26
	s_branch .LBB14_344
.LBB14_343:
	v_mov_b32_e32 v26, 0
.LBB14_344:
	v_dual_add_f32 v21, v1, v21 :: v_dual_add_f32 v20, v0, v20
	v_dual_add_f32 v23, v3, v23 :: v_dual_add_f32 v22, v2, v22
	s_delay_alu instid0(VALU_DEP_2) | instskip(SKIP_1) | instid1(VALU_DEP_3)
	v_min3_f32 v27, v20, v21, v94
	v_lshlrev_b64 v[20:21], 2, v[86:87]
	v_min_f32_e32 v22, v22, v23
	s_delay_alu instid0(VALU_DEP_1) | instskip(NEXT) | instid1(VALU_DEP_3)
	v_min3_f32 v22, v26, v22, v27
	v_add_co_u32 v20, vcc_lo, v24, v20
	s_delay_alu instid0(VALU_DEP_4)
	v_add_co_ci_u32_e32 v21, vcc_lo, v25, v21, vcc_lo
	global_store_b32 v[20:21], v22, off
.LBB14_345:
	s_or_b32 exec_lo, exec_lo, s4
	v_add_nc_u32_e32 v24, 0x78, v89
	s_delay_alu instid0(VALU_DEP_1) | instskip(SKIP_2) | instid1(VALU_DEP_3)
	v_mad_i64_i32 v[20:21], null, v24, s6, 0
	v_mad_i64_i32 v[22:23], null, v24, s5, 0
	v_cmp_gt_i32_e64 s4, s9, v24
	v_lshlrev_b64 v[20:21], 2, v[20:21]
	s_delay_alu instid0(VALU_DEP_2) | instskip(NEXT) | instid1(VALU_DEP_3)
	s_and_b32 s5, s0, s4
	v_lshlrev_b64 v[22:23], 2, v[22:23]
	s_delay_alu instid0(VALU_DEP_2) | instskip(NEXT) | instid1(VALU_DEP_3)
	v_add_co_u32 v24, vcc_lo, s12, v20
	v_add_co_ci_u32_e32 v25, vcc_lo, s13, v21, vcc_lo
	s_delay_alu instid0(VALU_DEP_3) | instskip(NEXT) | instid1(VALU_DEP_4)
	v_add_co_u32 v22, vcc_lo, s7, v22
	v_add_co_ci_u32_e32 v23, vcc_lo, s10, v23, vcc_lo
	s_and_saveexec_b32 s0, s5
	s_cbranch_execnz .LBB14_350
; %bb.346:
	s_or_b32 exec_lo, exec_lo, s0
	s_and_b32 s1, s1, s4
	s_delay_alu instid0(SALU_CYCLE_1)
	s_and_saveexec_b32 s0, s1
	s_cbranch_execnz .LBB14_354
.LBB14_347:
	s_or_b32 exec_lo, exec_lo, s0
	s_and_b32 s1, s2, s4
	s_delay_alu instid0(SALU_CYCLE_1)
	s_and_saveexec_b32 s0, s1
	s_cbranch_execnz .LBB14_358
.LBB14_348:
	s_or_b32 exec_lo, exec_lo, s0
	s_and_b32 s0, s3, s4
	s_delay_alu instid0(SALU_CYCLE_1)
	s_and_saveexec_b32 s1, s0
	s_cbranch_execnz .LBB14_362
.LBB14_349:
	s_nop 0
	s_sendmsg sendmsg(MSG_DEALLOC_VGPRS)
	s_endpgm
.LBB14_350:
	v_cmp_ne_u32_e32 vcc_lo, 1, v88
	v_lshlrev_b64 v[20:21], 2, v[80:81]
	s_cbranch_vccnz .LBB14_352
; %bb.351:
	s_delay_alu instid0(VALU_DEP_1) | instskip(NEXT) | instid1(VALU_DEP_2)
	v_add_co_u32 v26, vcc_lo, v24, v20
	v_add_co_ci_u32_e32 v27, vcc_lo, v25, v21, vcc_lo
	flat_load_b32 v26, v[26:27]
	s_waitcnt vmcnt(0) lgkmcnt(0)
	v_mul_f32_e32 v26, s15, v26
	s_branch .LBB14_353
.LBB14_352:
	v_mov_b32_e32 v26, 0
.LBB14_353:
	v_dual_add_f32 v17, v17, v5 :: v_dual_add_f32 v16, v16, v4
	v_dual_add_f32 v19, v19, v7 :: v_dual_add_f32 v18, v18, v6
	s_delay_alu instid0(VALU_DEP_2) | instskip(NEXT) | instid1(VALU_DEP_2)
	v_min3_f32 v16, v16, v17, v93
	v_min_f32_e32 v17, v18, v19
	s_delay_alu instid0(VALU_DEP_1)
	v_min3_f32 v18, v26, v17, v16
	v_add_co_u32 v16, vcc_lo, v22, v20
	v_add_co_ci_u32_e32 v17, vcc_lo, v23, v21, vcc_lo
	global_store_b32 v[16:17], v18, off
	s_or_b32 exec_lo, exec_lo, s0
	s_and_b32 s1, s1, s4
	s_delay_alu instid0(SALU_CYCLE_1)
	s_and_saveexec_b32 s0, s1
	s_cbranch_execz .LBB14_347
.LBB14_354:
	v_cmp_ne_u32_e32 vcc_lo, 1, v88
	v_lshlrev_b64 v[16:17], 2, v[82:83]
	s_cbranch_vccnz .LBB14_356
; %bb.355:
	s_delay_alu instid0(VALU_DEP_1) | instskip(NEXT) | instid1(VALU_DEP_2)
	v_add_co_u32 v18, vcc_lo, v24, v16
	v_add_co_ci_u32_e32 v19, vcc_lo, v25, v17, vcc_lo
	flat_load_b32 v18, v[18:19]
	s_waitcnt vmcnt(0) lgkmcnt(0)
	v_mul_f32_e32 v18, s15, v18
	s_branch .LBB14_357
.LBB14_356:
	v_mov_b32_e32 v18, 0
.LBB14_357:
	v_dual_add_f32 v13, v13, v5 :: v_dual_add_f32 v12, v12, v4
	v_dual_add_f32 v15, v15, v7 :: v_dual_add_f32 v14, v14, v6
	s_delay_alu instid0(VALU_DEP_2) | instskip(NEXT) | instid1(VALU_DEP_2)
	v_min3_f32 v12, v12, v13, v92
	v_min_f32_e32 v13, v14, v15
	s_delay_alu instid0(VALU_DEP_1)
	v_min3_f32 v14, v18, v13, v12
	v_add_co_u32 v12, vcc_lo, v22, v16
	v_add_co_ci_u32_e32 v13, vcc_lo, v23, v17, vcc_lo
	global_store_b32 v[12:13], v14, off
	s_or_b32 exec_lo, exec_lo, s0
	s_and_b32 s1, s2, s4
	s_delay_alu instid0(SALU_CYCLE_1)
	s_and_saveexec_b32 s0, s1
	s_cbranch_execz .LBB14_348
.LBB14_358:
	v_cmp_ne_u32_e32 vcc_lo, 1, v88
	v_lshlrev_b64 v[12:13], 2, v[84:85]
	s_cbranch_vccnz .LBB14_360
; %bb.359:
	s_delay_alu instid0(VALU_DEP_1) | instskip(NEXT) | instid1(VALU_DEP_2)
	v_add_co_u32 v14, vcc_lo, v24, v12
	v_add_co_ci_u32_e32 v15, vcc_lo, v25, v13, vcc_lo
	flat_load_b32 v14, v[14:15]
	s_waitcnt vmcnt(0) lgkmcnt(0)
	v_mul_f32_e32 v14, s15, v14
	s_branch .LBB14_361
.LBB14_360:
	v_mov_b32_e32 v14, 0
.LBB14_361:
	v_dual_add_f32 v9, v9, v5 :: v_dual_add_f32 v8, v8, v4
	v_dual_add_f32 v11, v11, v7 :: v_dual_add_f32 v10, v10, v6
	s_delay_alu instid0(VALU_DEP_2) | instskip(NEXT) | instid1(VALU_DEP_2)
	v_min3_f32 v8, v8, v9, v91
	v_min_f32_e32 v9, v10, v11
	s_delay_alu instid0(VALU_DEP_1)
	v_min3_f32 v10, v14, v9, v8
	v_add_co_u32 v8, vcc_lo, v22, v12
	v_add_co_ci_u32_e32 v9, vcc_lo, v23, v13, vcc_lo
	global_store_b32 v[8:9], v10, off
	s_or_b32 exec_lo, exec_lo, s0
	s_and_b32 s0, s3, s4
	s_delay_alu instid0(SALU_CYCLE_1)
	s_and_saveexec_b32 s1, s0
	s_cbranch_execz .LBB14_349
.LBB14_362:
	v_cmp_ne_u32_e32 vcc_lo, 1, v88
	v_lshlrev_b64 v[8:9], 2, v[86:87]
	s_cbranch_vccnz .LBB14_364
; %bb.363:
	s_delay_alu instid0(VALU_DEP_1) | instskip(NEXT) | instid1(VALU_DEP_2)
	v_add_co_u32 v10, vcc_lo, v24, v8
	v_add_co_ci_u32_e32 v11, vcc_lo, v25, v9, vcc_lo
	flat_load_b32 v10, v[10:11]
	s_waitcnt vmcnt(0) lgkmcnt(0)
	v_mul_f32_e32 v10, s15, v10
	s_branch .LBB14_365
.LBB14_364:
	v_mov_b32_e32 v10, 0
.LBB14_365:
	v_dual_add_f32 v1, v1, v5 :: v_dual_add_f32 v0, v0, v4
	v_dual_add_f32 v3, v3, v7 :: v_dual_add_f32 v2, v2, v6
	s_delay_alu instid0(VALU_DEP_2) | instskip(NEXT) | instid1(VALU_DEP_2)
	v_min3_f32 v0, v0, v1, v90
	v_min_f32_e32 v1, v2, v3
	s_delay_alu instid0(VALU_DEP_1)
	v_min3_f32 v2, v10, v1, v0
	v_add_co_u32 v0, vcc_lo, v22, v8
	v_add_co_ci_u32_e32 v1, vcc_lo, v23, v9, vcc_lo
	global_store_b32 v[0:1], v2, off
	s_nop 0
	s_sendmsg sendmsg(MSG_DEALLOC_VGPRS)
	s_endpgm
	.section	.rodata,"a",@progbits
	.p2align	6, 0x0
	.amdhsa_kernel _ZN12_GLOBAL__N_120geam_min_plus_kernelIf15HIP_vector_typeIfLj2EEfLi32ELi8ELi128ELi128ELi4ELi4ELi64ELi4ELi64ELc84ELc78ELb0ELb1ELb1EfKPKfKPfEEviiiT16_PT17_ilSA_ilS8_SA_ilPT18_ili26rocblas_geam_ex_operation_
		.amdhsa_group_segment_fixed_size 8192
		.amdhsa_private_segment_fixed_size 76
		.amdhsa_kernarg_size 128
		.amdhsa_user_sgpr_count 14
		.amdhsa_user_sgpr_dispatch_ptr 0
		.amdhsa_user_sgpr_queue_ptr 0
		.amdhsa_user_sgpr_kernarg_segment_ptr 1
		.amdhsa_user_sgpr_dispatch_id 0
		.amdhsa_user_sgpr_private_segment_size 0
		.amdhsa_wavefront_size32 1
		.amdhsa_uses_dynamic_stack 0
		.amdhsa_enable_private_segment 1
		.amdhsa_system_sgpr_workgroup_id_x 1
		.amdhsa_system_sgpr_workgroup_id_y 0
		.amdhsa_system_sgpr_workgroup_id_z 1
		.amdhsa_system_sgpr_workgroup_info 0
		.amdhsa_system_vgpr_workitem_id 1
		.amdhsa_next_free_vgpr 256
		.amdhsa_next_free_sgpr 28
		.amdhsa_reserve_vcc 1
		.amdhsa_float_round_mode_32 0
		.amdhsa_float_round_mode_16_64 0
		.amdhsa_float_denorm_mode_32 3
		.amdhsa_float_denorm_mode_16_64 3
		.amdhsa_dx10_clamp 1
		.amdhsa_ieee_mode 1
		.amdhsa_fp16_overflow 0
		.amdhsa_workgroup_processor_mode 1
		.amdhsa_memory_ordered 1
		.amdhsa_forward_progress 0
		.amdhsa_shared_vgpr_count 0
		.amdhsa_exception_fp_ieee_invalid_op 0
		.amdhsa_exception_fp_denorm_src 0
		.amdhsa_exception_fp_ieee_div_zero 0
		.amdhsa_exception_fp_ieee_overflow 0
		.amdhsa_exception_fp_ieee_underflow 0
		.amdhsa_exception_fp_ieee_inexact 0
		.amdhsa_exception_int_div_zero 0
	.end_amdhsa_kernel
	.section	.text._ZN12_GLOBAL__N_120geam_min_plus_kernelIf15HIP_vector_typeIfLj2EEfLi32ELi8ELi128ELi128ELi4ELi4ELi64ELi4ELi64ELc84ELc78ELb0ELb1ELb1EfKPKfKPfEEviiiT16_PT17_ilSA_ilS8_SA_ilPT18_ili26rocblas_geam_ex_operation_,"axG",@progbits,_ZN12_GLOBAL__N_120geam_min_plus_kernelIf15HIP_vector_typeIfLj2EEfLi32ELi8ELi128ELi128ELi4ELi4ELi64ELi4ELi64ELc84ELc78ELb0ELb1ELb1EfKPKfKPfEEviiiT16_PT17_ilSA_ilS8_SA_ilPT18_ili26rocblas_geam_ex_operation_,comdat
.Lfunc_end14:
	.size	_ZN12_GLOBAL__N_120geam_min_plus_kernelIf15HIP_vector_typeIfLj2EEfLi32ELi8ELi128ELi128ELi4ELi4ELi64ELi4ELi64ELc84ELc78ELb0ELb1ELb1EfKPKfKPfEEviiiT16_PT17_ilSA_ilS8_SA_ilPT18_ili26rocblas_geam_ex_operation_, .Lfunc_end14-_ZN12_GLOBAL__N_120geam_min_plus_kernelIf15HIP_vector_typeIfLj2EEfLi32ELi8ELi128ELi128ELi4ELi4ELi64ELi4ELi64ELc84ELc78ELb0ELb1ELb1EfKPKfKPfEEviiiT16_PT17_ilSA_ilS8_SA_ilPT18_ili26rocblas_geam_ex_operation_
                                        ; -- End function
	.section	.AMDGPU.csdata,"",@progbits
; Kernel info:
; codeLenInByte = 22356
; NumSgprs: 30
; NumVgprs: 256
; ScratchSize: 76
; MemoryBound: 0
; FloatMode: 240
; IeeeMode: 1
; LDSByteSize: 8192 bytes/workgroup (compile time only)
; SGPRBlocks: 3
; VGPRBlocks: 31
; NumSGPRsForWavesPerEU: 30
; NumVGPRsForWavesPerEU: 256
; Occupancy: 5
; WaveLimiterHint : 1
; COMPUTE_PGM_RSRC2:SCRATCH_EN: 1
; COMPUTE_PGM_RSRC2:USER_SGPR: 14
; COMPUTE_PGM_RSRC2:TRAP_HANDLER: 0
; COMPUTE_PGM_RSRC2:TGID_X_EN: 1
; COMPUTE_PGM_RSRC2:TGID_Y_EN: 0
; COMPUTE_PGM_RSRC2:TGID_Z_EN: 1
; COMPUTE_PGM_RSRC2:TIDIG_COMP_CNT: 1
	.section	.text._ZN12_GLOBAL__N_120geam_min_plus_kernelIf15HIP_vector_typeIfLj2EEfLi8ELi32ELi64ELi256ELi4ELi64ELi4ELi64ELi4ELc78ELc84ELb0ELb0ELb1EPKfKS4_KPfEEviiiT16_PT17_ilSA_ilS8_SA_ilPT18_ili26rocblas_geam_ex_operation_,"axG",@progbits,_ZN12_GLOBAL__N_120geam_min_plus_kernelIf15HIP_vector_typeIfLj2EEfLi8ELi32ELi64ELi256ELi4ELi64ELi4ELi64ELi4ELc78ELc84ELb0ELb0ELb1EPKfKS4_KPfEEviiiT16_PT17_ilSA_ilS8_SA_ilPT18_ili26rocblas_geam_ex_operation_,comdat
	.globl	_ZN12_GLOBAL__N_120geam_min_plus_kernelIf15HIP_vector_typeIfLj2EEfLi8ELi32ELi64ELi256ELi4ELi64ELi4ELi64ELi4ELc78ELc84ELb0ELb0ELb1EPKfKS4_KPfEEviiiT16_PT17_ilSA_ilS8_SA_ilPT18_ili26rocblas_geam_ex_operation_ ; -- Begin function _ZN12_GLOBAL__N_120geam_min_plus_kernelIf15HIP_vector_typeIfLj2EEfLi8ELi32ELi64ELi256ELi4ELi64ELi4ELi64ELi4ELc78ELc84ELb0ELb0ELb1EPKfKS4_KPfEEviiiT16_PT17_ilSA_ilS8_SA_ilPT18_ili26rocblas_geam_ex_operation_
	.p2align	8
	.type	_ZN12_GLOBAL__N_120geam_min_plus_kernelIf15HIP_vector_typeIfLj2EEfLi8ELi32ELi64ELi256ELi4ELi64ELi4ELi64ELi4ELc78ELc84ELb0ELb0ELb1EPKfKS4_KPfEEviiiT16_PT17_ilSA_ilS8_SA_ilPT18_ili26rocblas_geam_ex_operation_,@function
_ZN12_GLOBAL__N_120geam_min_plus_kernelIf15HIP_vector_typeIfLj2EEfLi8ELi32ELi64ELi256ELi4ELi64ELi4ELi64ELi4ELc78ELc84ELb0ELb0ELb1EPKfKS4_KPfEEviiiT16_PT17_ilSA_ilS8_SA_ilPT18_ili26rocblas_geam_ex_operation_: ; @_ZN12_GLOBAL__N_120geam_min_plus_kernelIf15HIP_vector_typeIfLj2EEfLi8ELi32ELi64ELi256ELi4ELi64ELi4ELi64ELi4ELc78ELc84ELb0ELb0ELb1EPKfKS4_KPfEEviiiT16_PT17_ilSA_ilS8_SA_ilPT18_ili26rocblas_geam_ex_operation_
; %bb.0:
	s_clause 0x1
	s_load_b128 s[16:19], s[0:1], 0x10
	s_load_b128 s[4:7], s[0:1], 0x28
	s_mov_b32 s20, s15
	s_mov_b32 s21, 0
	s_mov_b64 s[12:13], 0
	s_lshl_b64 s[2:3], s[20:21], 2
	s_waitcnt lgkmcnt(0)
	s_add_u32 s8, s16, s2
	s_addc_u32 s9, s17, s3
	s_load_b32 s22, s[8:9], 0x0
	s_clause 0x1
	s_load_b128 s[8:11], s[0:1], 0x40
	s_load_b64 s[16:17], s[0:1], 0x50
	s_waitcnt lgkmcnt(0)
	v_cmp_eq_f32_e64 s23, s22, 0
	v_cmp_neq_f32_e64 s24, s22, 0
	s_add_u32 s2, s10, s2
	s_addc_u32 s3, s11, s3
	s_mov_b64 s[10:11], 0
	s_and_b32 vcc_lo, exec_lo, s23
	s_cbranch_vccnz .LBB15_2
; %bb.1:
	s_lshl_b64 s[12:13], s[20:21], 3
	s_delay_alu instid0(SALU_CYCLE_1)
	s_add_u32 s12, s18, s12
	s_addc_u32 s13, s19, s13
	s_lshl_b64 s[4:5], s[4:5], 2
	s_load_b64 s[12:13], s[12:13], 0x0
	s_waitcnt lgkmcnt(0)
	s_add_u32 s12, s12, s4
	s_addc_u32 s13, s13, s5
.LBB15_2:
	s_load_b32 s15, s[2:3], 0x0
	v_cndmask_b32_e64 v1, 0, 1, s24
	s_and_not1_b32 vcc_lo, exec_lo, s24
	s_delay_alu instid0(VALU_DEP_1)
	v_cmp_ne_u32_e64 s3, 1, v1
	s_cbranch_vccnz .LBB15_4
; %bb.3:
	s_lshl_b64 s[4:5], s[20:21], 3
	s_delay_alu instid0(SALU_CYCLE_1)
	s_add_u32 s4, s6, s4
	s_addc_u32 s5, s7, s5
	s_lshl_b64 s[6:7], s[8:9], 2
	s_load_b64 s[4:5], s[4:5], 0x0
	s_waitcnt lgkmcnt(0)
	s_add_u32 s10, s4, s6
	s_addc_u32 s11, s5, s7
.LBB15_4:
	s_load_b128 s[4:7], s[0:1], 0x60
	s_waitcnt lgkmcnt(0)
	v_cmp_eq_f32_e64 s2, s15, 0
	s_delay_alu instid0(VALU_DEP_1) | instskip(NEXT) | instid1(SALU_CYCLE_1)
	s_and_b32 s2, exec_lo, s2
	s_mov_b32 vcc_lo, s2
	s_cbranch_vccnz .LBB15_6
; %bb.5:
	s_lshl_b64 s[8:9], s[20:21], 3
	s_delay_alu instid0(SALU_CYCLE_1)
	s_add_u32 s8, s16, s8
	s_addc_u32 s9, s17, s9
	s_lshl_b64 s[4:5], s[4:5], 2
	s_load_b64 s[8:9], s[8:9], 0x0
	s_waitcnt lgkmcnt(0)
	s_add_u32 s8, s8, s4
	s_addc_u32 s9, s9, s5
	s_branch .LBB15_7
.LBB15_6:
	s_mov_b64 s[8:9], 0
.LBB15_7:
	s_clause 0x1
	s_load_b32 s16, s[0:1], 0x20
	s_load_b32 s18, s[0:1], 0x0
	s_lshl_b64 s[4:5], s[20:21], 3
	v_and_b32_e32 v17, 0x3ff, v0
	v_bfe_u32 v16, v0, 10, 10
	v_cndmask_b32_e64 v0, 0, 1, s23
	s_waitcnt lgkmcnt(0)
	s_ashr_i32 s17, s16, 31
	s_add_u32 s4, s6, s4
	s_addc_u32 s5, s7, s5
	s_add_i32 s6, s18, -1
	s_delay_alu instid0(SALU_CYCLE_1) | instskip(NEXT) | instid1(SALU_CYCLE_1)
	s_ashr_i32 s7, s6, 31
	s_lshr_b32 s7, s7, 26
	s_delay_alu instid0(SALU_CYCLE_1) | instskip(NEXT) | instid1(SALU_CYCLE_1)
	s_add_i32 s6, s6, s7
	s_ashr_i32 s6, s6, 6
	s_delay_alu instid0(SALU_CYCLE_1) | instskip(SKIP_2) | instid1(VALU_DEP_1)
	s_add_i32 s19, s6, 1
	s_not_b32 s6, s6
	v_cvt_f32_u32_e32 v1, s19
	v_rcp_iflag_f32_e32 v1, v1
	s_waitcnt_depctr 0xfff
	v_mul_f32_e32 v1, 0x4f7ffffe, v1
	s_delay_alu instid0(VALU_DEP_1) | instskip(NEXT) | instid1(VALU_DEP_1)
	v_cvt_u32_f32_e32 v1, v1
	v_readfirstlane_b32 s7, v1
	v_lshl_add_u32 v1, v16, 3, v17
	s_delay_alu instid0(VALU_DEP_2) | instskip(NEXT) | instid1(VALU_DEP_1)
	s_mul_i32 s6, s6, s7
	v_and_b32_e32 v12, 63, v1
	s_mul_hi_u32 s6, s7, s6
	v_lshrrev_b32_e32 v70, 6, v1
	s_add_i32 s7, s7, s6
	s_delay_alu instid0(SALU_CYCLE_1) | instskip(SKIP_4) | instid1(SALU_CYCLE_1)
	s_mul_hi_u32 s18, s14, s7
	s_load_b64 s[6:7], s[4:5], 0x0
	s_mul_i32 s20, s18, s19
	s_add_i32 s5, s18, 1
	s_sub_i32 s4, s14, s20
	s_sub_i32 s20, s4, s19
	s_cmp_ge_u32 s4, s19
	s_cselect_b32 s5, s5, s18
	s_cselect_b32 s4, s20, s4
	s_add_i32 s20, s5, 1
	s_cmp_ge_u32 s4, s19
	v_cmp_ne_u32_e64 s4, 1, v0
	s_cselect_b32 s21, s20, s5
	s_mov_b32 s18, -1
	s_mul_i32 s5, s21, s19
	s_and_not1_b32 vcc_lo, exec_lo, s23
	s_sub_i32 s19, s14, s5
	s_delay_alu instid0(SALU_CYCLE_1)
	s_lshl_b32 s20, s19, 6
	s_cbranch_vccnz .LBB15_10
; %bb.8:
	v_mov_b32_e32 v1, 0
	s_mov_b32 s18, 0
	v_or_b32_e32 v2, s20, v12
	s_delay_alu instid0(VALU_DEP_1)
	v_ashrrev_i32_e32 v3, 31, v2
	s_cbranch_execz .LBB15_11
.LBB15_9:
	v_mov_b32_e32 v6, s18
	s_branch .LBB15_12
.LBB15_10:
                                        ; implicit-def: $vgpr0_vgpr1
	v_or_b32_e32 v2, s20, v12
	s_and_not1_b32 vcc_lo, exec_lo, s18
	s_delay_alu instid0(VALU_DEP_1)
	v_ashrrev_i32_e32 v3, 31, v2
	s_cbranch_vccnz .LBB15_9
.LBB15_11:
	v_mad_i64_i32 v[0:1], null, s16, v70, 0
	s_delay_alu instid0(VALU_DEP_2) | instskip(NEXT) | instid1(VALU_DEP_2)
	v_lshlrev_b64 v[4:5], 2, v[2:3]
	v_lshlrev_b64 v[0:1], 2, v[0:1]
	s_delay_alu instid0(VALU_DEP_1) | instskip(NEXT) | instid1(VALU_DEP_2)
	v_add_co_u32 v0, vcc_lo, s12, v0
	v_add_co_ci_u32_e32 v1, vcc_lo, s13, v1, vcc_lo
	s_delay_alu instid0(VALU_DEP_2) | instskip(NEXT) | instid1(VALU_DEP_2)
	v_add_co_u32 v0, vcc_lo, v0, v4
	v_add_co_ci_u32_e32 v1, vcc_lo, v1, v5, vcc_lo
	flat_load_b32 v0, v[0:1]
	s_waitcnt vmcnt(0) lgkmcnt(0)
	v_dual_mov_b32 v1, 0 :: v_dual_mul_f32 v6, s22, v0
.LBB15_12:
	s_load_b32 s18, s[0:1], 0x38
	s_lshl_b32 s21, s21, 8
	s_waitcnt lgkmcnt(0)
	s_ashr_i32 s19, s18, 31
	v_mul_lo_u32 v4, v1, s18
	v_mad_u64_u32 v[0:1], null, v70, s18, 0
	v_mul_lo_u32 v5, v70, s19
	s_delay_alu instid0(VALU_DEP_1) | instskip(NEXT) | instid1(VALU_DEP_1)
	v_add3_u32 v1, v1, v5, v4
	v_lshlrev_b64 v[4:5], 2, v[0:1]
	v_or_b32_e32 v0, s21, v12
	s_delay_alu instid0(VALU_DEP_1) | instskip(NEXT) | instid1(VALU_DEP_3)
	v_ashrrev_i32_e32 v1, 31, v0
	v_add_co_u32 v4, vcc_lo, s10, v4
	s_delay_alu instid0(VALU_DEP_4)
	v_add_co_ci_u32_e32 v5, vcc_lo, s11, v5, vcc_lo
	s_and_b32 vcc_lo, exec_lo, s3
	s_cbranch_vccnz .LBB15_17
; %bb.13:
	v_lshlrev_b64 v[7:8], 2, v[0:1]
	s_delay_alu instid0(VALU_DEP_1) | instskip(NEXT) | instid1(VALU_DEP_2)
	v_add_co_u32 v7, vcc_lo, v4, v7
	v_add_co_ci_u32_e32 v8, vcc_lo, v5, v8, vcc_lo
	s_clause 0x1
	flat_load_b32 v9, v[7:8]
	flat_load_b32 v8, v[7:8] offset:256
	s_waitcnt vmcnt(0) lgkmcnt(0)
	v_dual_mul_f32 v7, s22, v9 :: v_dual_mul_f32 v8, s22, v8
	s_and_b32 vcc_lo, exec_lo, s3
	s_cbranch_vccnz .LBB15_18
.LBB15_14:
	v_lshlrev_b64 v[9:10], 2, v[0:1]
	s_delay_alu instid0(VALU_DEP_1) | instskip(NEXT) | instid1(VALU_DEP_2)
	v_add_co_u32 v4, vcc_lo, v4, v9
	v_add_co_ci_u32_e32 v5, vcc_lo, v5, v10, vcc_lo
	s_clause 0x1
	flat_load_b32 v9, v[4:5] offset:512
	flat_load_b32 v4, v[4:5] offset:768
	s_waitcnt vmcnt(0) lgkmcnt(0)
	v_dual_mul_f32 v9, s22, v9 :: v_dual_mul_f32 v10, s22, v4
	v_add_nc_u32_e32 v11, 4, v70
	s_and_b32 vcc_lo, exec_lo, s4
	s_cbranch_vccnz .LBB15_19
.LBB15_15:
	v_mov_b32_e32 v5, 0
	s_mov_b32 s4, 0
	s_cbranch_execz .LBB15_20
; %bb.16:
	v_mov_b32_e32 v2, s4
	s_branch .LBB15_21
.LBB15_17:
	v_dual_mov_b32 v7, 0 :: v_dual_mov_b32 v8, 0
	s_and_b32 vcc_lo, exec_lo, s3
	s_cbranch_vccz .LBB15_14
.LBB15_18:
	v_dual_mov_b32 v9, 0 :: v_dual_mov_b32 v10, 0
	v_add_nc_u32_e32 v11, 4, v70
	s_and_b32 vcc_lo, exec_lo, s4
	s_cbranch_vccz .LBB15_15
.LBB15_19:
	s_mov_b32 s4, -1
                                        ; implicit-def: $vgpr4_vgpr5
.LBB15_20:
	s_delay_alu instid0(VALU_DEP_1) | instskip(SKIP_1) | instid1(VALU_DEP_2)
	v_mad_i64_i32 v[4:5], null, s16, v11, 0
	v_lshlrev_b64 v[2:3], 2, v[2:3]
	v_lshlrev_b64 v[4:5], 2, v[4:5]
	s_delay_alu instid0(VALU_DEP_1) | instskip(NEXT) | instid1(VALU_DEP_2)
	v_add_co_u32 v4, vcc_lo, s12, v4
	v_add_co_ci_u32_e32 v5, vcc_lo, s13, v5, vcc_lo
	s_delay_alu instid0(VALU_DEP_2) | instskip(NEXT) | instid1(VALU_DEP_2)
	v_add_co_u32 v2, vcc_lo, v4, v2
	v_add_co_ci_u32_e32 v3, vcc_lo, v5, v3, vcc_lo
	flat_load_b32 v2, v[2:3]
	s_waitcnt vmcnt(0) lgkmcnt(0)
	v_dual_mov_b32 v5, 0 :: v_dual_mul_f32 v2, s22, v2
.LBB15_21:
	scratch_store_b32 off, v2, off          ; 4-byte Folded Spill
	v_mul_lo_u32 v4, v5, s18
	v_mul_lo_u32 v5, v11, s19
	v_mad_u64_u32 v[2:3], null, v11, s18, 0
	s_delay_alu instid0(VALU_DEP_1) | instskip(NEXT) | instid1(VALU_DEP_1)
	v_add3_u32 v3, v3, v5, v4
	v_lshlrev_b64 v[2:3], 2, v[2:3]
	s_delay_alu instid0(VALU_DEP_1) | instskip(NEXT) | instid1(VALU_DEP_2)
	v_add_co_u32 v2, vcc_lo, s10, v2
	v_add_co_ci_u32_e32 v3, vcc_lo, s11, v3, vcc_lo
	s_and_b32 vcc_lo, exec_lo, s3
	s_cbranch_vccnz .LBB15_24
; %bb.22:
	v_lshlrev_b64 v[4:5], 2, v[0:1]
	s_delay_alu instid0(VALU_DEP_1) | instskip(NEXT) | instid1(VALU_DEP_2)
	v_add_co_u32 v4, vcc_lo, v2, v4
	v_add_co_ci_u32_e32 v5, vcc_lo, v3, v5, vcc_lo
	s_clause 0x1
	flat_load_b32 v11, v[4:5]
	flat_load_b32 v4, v[4:5] offset:256
	s_waitcnt vmcnt(0) lgkmcnt(0)
	v_dual_mul_f32 v5, s22, v11 :: v_dual_mul_f32 v4, s22, v4
	scratch_store_b32 off, v5, off offset:4 ; 4-byte Folded Spill
	s_and_b32 vcc_lo, exec_lo, s3
	scratch_store_b32 off, v4, off offset:8 ; 4-byte Folded Spill
	s_cbranch_vccnz .LBB15_25
.LBB15_23:
	v_lshlrev_b64 v[0:1], 2, v[0:1]
	s_delay_alu instid0(VALU_DEP_1) | instskip(NEXT) | instid1(VALU_DEP_2)
	v_add_co_u32 v0, vcc_lo, v2, v0
	v_add_co_ci_u32_e32 v1, vcc_lo, v3, v1, vcc_lo
	s_clause 0x1
	flat_load_b32 v2, v[0:1] offset:512
	flat_load_b32 v0, v[0:1] offset:768
	s_waitcnt vmcnt(0) lgkmcnt(0)
	v_dual_mul_f32 v1, s22, v2 :: v_dual_mul_f32 v0, s22, v0
	scratch_store_b32 off, v1, off offset:12 ; 4-byte Folded Spill
	s_branch .LBB15_26
.LBB15_24:
	v_mov_b32_e32 v4, 0
	scratch_store_b32 off, v4, off offset:4 ; 4-byte Folded Spill
	v_mov_b32_e32 v4, 0
	s_and_b32 vcc_lo, exec_lo, s3
	scratch_store_b32 off, v4, off offset:8 ; 4-byte Folded Spill
	s_cbranch_vccz .LBB15_23
.LBB15_25:
	v_mov_b32_e32 v0, 0
	scratch_store_b32 off, v0, off offset:12 ; 4-byte Folded Spill
	v_mov_b32_e32 v0, 0
.LBB15_26:
	scratch_store_b32 off, v0, off offset:16 ; 4-byte Folded Spill
	v_lshlrev_b32_e32 v0, 2, v70
	v_lshlrev_b32_e32 v74, 4, v16
	;; [unrolled: 1-line block ×3, first 2 shown]
	s_load_b32 s4, s[0:1], 0x8
	s_delay_alu instid0(VALU_DEP_3)
	v_lshl_add_u32 v76, v12, 4, v0
	ds_store_2addr_stride64_b32 v76, v7, v8 offset1:4
	ds_store_2addr_stride64_b32 v76, v9, v10 offset0:8 offset1:12
	ds_store_b32 v76, v6 offset:8192
	s_waitcnt lgkmcnt(0)
	s_waitcnt_vscnt null, 0x0
	s_barrier
	buffer_gl0_inv
	ds_load_b128 v[23:26], v74
	ds_load_b128 v[0:3], v204 offset:8192
	scratch_store_b32 off, v12, off offset:60 ; 4-byte Folded Spill
	ds_load_b128 v[12:15], v204 offset:8320
	ds_load_b128 v[8:11], v204 offset:8448
	;; [unrolled: 1-line block ×4, first 2 shown]
	s_cmp_lt_i32 s4, 9
	s_waitcnt lgkmcnt(3)
	v_add_f32_e32 v78, v14, v25
	v_dual_add_f32 v18, v1, v24 :: v_dual_add_f32 v151, v3, v26
	s_waitcnt lgkmcnt(2)
	v_dual_add_f32 v135, v11, v26 :: v_dual_add_f32 v148, v0, v23
	v_add_f32_e32 v129, v15, v26
	scratch_store_b32 off, v18, off offset:28 ; 4-byte Folded Spill
	v_dual_add_f32 v18, v13, v24 :: v_dual_add_f32 v149, v8, v23
	s_waitcnt lgkmcnt(0)
	v_dual_add_f32 v128, v2, v25 :: v_dual_add_f32 v87, v12, v27
	v_add_f32_e32 v85, v0, v27
	scratch_store_b32 off, v18, off offset:32 ; 4-byte Folded Spill
	v_add_f32_e32 v18, v9, v24
	v_dual_add_f32 v80, v10, v25 :: v_dual_add_f32 v91, v4, v27
	v_dual_add_f32 v130, v7, v26 :: v_dual_add_f32 v103, v14, v29
	scratch_store_b32 off, v18, off offset:36 ; 4-byte Folded Spill
	v_add_f32_e32 v18, v5, v24
	v_dual_add_f32 v86, v13, v28 :: v_dual_add_f32 v105, v10, v29
	v_dual_add_f32 v88, v9, v28 :: v_dual_add_f32 v107, v6, v29
	scratch_store_b32 off, v18, off offset:40 ; 4-byte Folded Spill
	v_add_f32_e32 v18, v4, v23
	v_dual_add_f32 v89, v8, v27 :: v_dual_add_f32 v90, v5, v28
	v_add_f32_e32 v100, v3, v30
	v_add_f32_e32 v102, v15, v30
	scratch_store_b32 off, v18, off offset:44 ; 4-byte Folded Spill
	ds_load_b128 v[31:34], v204 offset:8704
	ds_load_b128 v[35:38], v204 offset:8832
	v_add_f32_e32 v146, v12, v23
	v_add_f32_e32 v82, v6, v25
	;; [unrolled: 1-line block ×3, first 2 shown]
	v_dual_add_f32 v106, v7, v30 :: v_dual_add_f32 v101, v2, v29
	s_waitcnt lgkmcnt(1)
	v_add_f32_e32 v147, v32, v24
	s_waitcnt lgkmcnt(0)
	v_dual_add_f32 v18, v36, v24 :: v_dual_add_f32 v79, v37, v25
	v_add_f32_e32 v131, v34, v26
	v_dual_add_f32 v77, v33, v25 :: v_dual_add_f32 v132, v38, v26
	v_add_f32_e32 v95, v35, v27
	scratch_store_b32 off, v18, off offset:48 ; 4-byte Folded Spill
	v_add_f32_e32 v18, v35, v23
	v_dual_add_f32 v92, v32, v28 :: v_dual_add_f32 v109, v33, v29
	v_dual_add_f32 v93, v31, v27 :: v_dual_add_f32 v94, v36, v28
	v_add_f32_e32 v111, v37, v29
	scratch_store_b32 off, v18, off offset:52 ; 4-byte Folded Spill
	ds_load_b128 v[39:42], v204 offset:8960
	ds_load_b128 v[43:46], v204 offset:9088
	v_add_f32_e32 v144, v31, v23
	v_add_f32_e32 v84, v1, v28
	v_add_f32_e32 v108, v34, v30
	s_waitcnt lgkmcnt(1)
	v_dual_add_f32 v110, v38, v30 :: v_dual_add_f32 v145, v40, v24
	s_waitcnt lgkmcnt(0)
	v_dual_add_f32 v18, v44, v24 :: v_dual_add_f32 v83, v45, v25
	v_add_f32_e32 v139, v39, v23
	v_dual_add_f32 v136, v43, v23 :: v_dual_add_f32 v133, v42, v26
	scratch_store_b32 off, v18, off offset:56 ; 4-byte Folded Spill
	v_dual_add_f32 v81, v41, v25 :: v_dual_add_f32 v134, v46, v26
	v_dual_add_f32 v97, v39, v27 :: v_dual_add_f32 v96, v40, v28
	;; [unrolled: 1-line block ×3, first 2 shown]
	v_add_f32_e32 v115, v45, v29
	v_dual_add_f32 v99, v43, v27 :: v_dual_add_f32 v112, v42, v30
	v_add_f32_e32 v114, v46, v30
	ds_load_b128 v[23:26], v74 offset:1024
	ds_load_b128 v[27:30], v74 offset:1536
	s_waitcnt lgkmcnt(1)
	v_dual_add_f32 v116, v1, v24 :: v_dual_add_f32 v127, v15, v26
	v_dual_add_f32 v117, v0, v23 :: v_dual_add_f32 v118, v13, v24
	v_add_f32_e32 v153, v11, v26
	v_dual_add_f32 v119, v12, v23 :: v_dual_add_f32 v120, v9, v24
	v_add_f32_e32 v155, v7, v26
	;; [unrolled: 2-line block ×3, first 2 shown]
	v_add_f32_e32 v123, v4, v23
	v_add_f32_e32 v125, v32, v24
	v_dual_add_f32 v137, v31, v23 :: v_dual_add_f32 v138, v36, v24
	v_dual_add_f32 v159, v38, v26 :: v_dual_add_f32 v140, v35, v23
	v_add_f32_e32 v161, v42, v26
	v_dual_add_f32 v141, v40, v24 :: v_dual_add_f32 v142, v39, v23
	v_add_f32_e32 v163, v46, v26
	v_dual_add_f32 v143, v44, v24 :: v_dual_add_f32 v150, v43, v23
	s_waitcnt lgkmcnt(0)
	v_dual_add_f32 v167, v13, v28 :: v_dual_add_f32 v124, v3, v26
	v_dual_add_f32 v169, v9, v28 :: v_dual_add_f32 v126, v2, v25
	;; [unrolled: 1-line block ×9, first 2 shown]
	v_add_f32_e32 v185, v11, v30
	v_dual_add_f32 v165, v1, v28 :: v_dual_add_f32 v166, v0, v27
	v_dual_add_f32 v187, v7, v30 :: v_dual_add_f32 v168, v12, v27
	;; [unrolled: 1-line block ×6, first 2 shown]
	v_add_f32_e32 v178, v39, v27
	v_add_f32_e32 v180, v43, v27
	;; [unrolled: 1-line block ×10, first 2 shown]
	ds_load_b128 v[23:26], v74 offset:2048
	ds_load_b128 v[27:30], v74 offset:2560
	s_clause 0x1
	scratch_store_b32 off, v16, off offset:20
	scratch_store_b32 off, v17, off offset:24
	s_waitcnt lgkmcnt(1)
	v_dual_add_f32 v197, v1, v24 :: v_dual_add_f32 v198, v0, v23
	v_add_f32_e32 v217, v11, v26
	v_dual_add_f32 v199, v13, v24 :: v_dual_add_f32 v200, v12, v23
	v_add_f32_e32 v219, v7, v26
	v_dual_add_f32 v201, v9, v24 :: v_dual_add_f32 v202, v8, v23
	v_add_f32_e32 v221, v34, v26
	v_add_f32_e32 v203, v5, v24
	v_add_f32_e32 v71, v4, v23
	v_dual_add_f32 v205, v32, v24 :: v_dual_add_f32 v206, v31, v23
	v_add_f32_e32 v223, v38, v26
	v_dual_add_f32 v207, v36, v24 :: v_dual_add_f32 v208, v35, v23
	;; [unrolled: 2-line block ×4, first 2 shown]
	s_waitcnt lgkmcnt(0)
	v_add_f32_e32 v229, v1, v28
	v_dual_add_f32 v213, v3, v26 :: v_dual_add_f32 v214, v2, v25
	v_add_f32_e32 v231, v13, v28
	v_dual_add_f32 v215, v15, v26 :: v_dual_add_f32 v216, v14, v25
	v_dual_add_f32 v233, v9, v28 :: v_dual_add_f32 v218, v10, v25
	;; [unrolled: 1-line block ×15, first 2 shown]
	v_add_f32_e32 v246, v2, v29
	v_add_f32_e32 v248, v14, v29
	;; [unrolled: 1-line block ×8, first 2 shown]
	ds_load_b128 v[23:26], v74 offset:3072
	ds_load_b128 v[27:30], v74 offset:3584
	s_waitcnt lgkmcnt(1)
	v_add_f32_e32 v61, v3, v26
	v_add_f32_e32 v51, v0, v23
	v_dual_add_f32 v48, v12, v23 :: v_dual_add_f32 v21, v2, v25
	v_dual_add_f32 v50, v9, v24 :: v_dual_add_f32 v63, v10, v25
	;; [unrolled: 1-line block ×3, first 2 shown]
	v_add_f32_e32 v55, v4, v23
	v_dual_add_f32 v20, v31, v23 :: v_dual_add_f32 v67, v33, v25
	v_dual_add_f32 v58, v35, v23 :: v_dual_add_f32 v19, v42, v26
	v_add_f32_e32 v59, v39, v23
	v_dual_add_f32 v23, v43, v23 :: v_dual_add_f32 v62, v14, v25
	s_waitcnt lgkmcnt(0)
	v_dual_add_f32 v3, v3, v30 :: v_dual_add_f32 v16, v6, v25
	v_dual_add_f32 v0, v0, v27 :: v_dual_add_f32 v7, v7, v30
	v_dual_add_f32 v2, v2, v29 :: v_dual_add_f32 v31, v31, v27
	v_dual_add_f32 v12, v12, v27 :: v_dual_add_f32 v33, v33, v29
	v_dual_add_f32 v14, v14, v29 :: v_dual_add_f32 v35, v35, v27
	v_add_f32_e32 v8, v8, v27
	v_dual_add_f32 v10, v10, v29 :: v_dual_add_f32 v39, v39, v27
	v_add_f32_e32 v4, v4, v27
	v_dual_add_f32 v6, v6, v29 :: v_dual_add_f32 v27, v43, v27
	scratch_load_b32 v43, off, off offset:28 ; 4-byte Folded Reload
	v_add_f32_e32 v49, v1, v24
	v_add_f32_e32 v53, v13, v24
	v_dual_add_f32 v54, v5, v24 :: v_dual_add_f32 v17, v34, v26
	v_add_f32_e32 v57, v32, v24
	v_dual_add_f32 v56, v36, v24 :: v_dual_add_f32 v69, v37, v25
	v_add_f32_e32 v47, v40, v24
	v_add_f32_e32 v24, v44, v24
	v_dual_add_f32 v60, v15, v26 :: v_dual_add_f32 v1, v1, v28
	v_dual_add_f32 v22, v11, v26 :: v_dual_add_f32 v13, v13, v28
	;; [unrolled: 1-line block ×4, first 2 shown]
	v_add_f32_e32 v32, v32, v28
	v_add_f32_e32 v36, v36, v28
	;; [unrolled: 1-line block ×4, first 2 shown]
	v_min3_f32 v0, v0, v1, 0x7f7fffff
	v_dual_add_f32 v15, v15, v30 :: v_dual_add_f32 v66, v41, v25
	v_add_f32_e32 v11, v11, v30
	v_add_f32_e32 v37, v37, v29
	v_dual_add_f32 v41, v41, v29 :: v_dual_add_f32 v34, v34, v30
	v_dual_add_f32 v29, v45, v29 :: v_dual_add_f32 v38, v38, v30
	v_add_f32_e32 v42, v42, v30
	v_dual_add_f32 v30, v46, v30 :: v_dual_add_f32 v25, v45, v25
	s_waitcnt vmcnt(0)
	v_min3_f32 v43, v148, v43, 0x7f7fffff
	s_delay_alu instid0(VALU_DEP_1) | instskip(SKIP_3) | instid1(VALU_DEP_1)
	v_min3_f32 v151, v128, v151, v43
	scratch_load_b32 v43, off, off offset:32 ; 4-byte Folded Reload
	s_waitcnt vmcnt(0)
	v_min3_f32 v43, v146, v43, 0x7f7fffff
	v_min3_f32 v148, v78, v129, v43
	scratch_load_b32 v43, off, off offset:36 ; 4-byte Folded Reload
	s_waitcnt vmcnt(0)
	v_min3_f32 v43, v149, v43, 0x7f7fffff
	s_delay_alu instid0(VALU_DEP_1)
	v_min3_f32 v149, v80, v135, v43
	s_clause 0x1
	scratch_load_b32 v43, off, off offset:40
	scratch_load_b32 v44, off, off offset:44
	s_waitcnt vmcnt(0)
	v_min3_f32 v43, v44, v43, 0x7f7fffff
	s_delay_alu instid0(VALU_DEP_1) | instskip(SKIP_1) | instid1(VALU_DEP_1)
	v_min3_f32 v146, v82, v130, v43
	v_min3_f32 v43, v144, v147, 0x7f7fffff
	;; [unrolled: 1-line block ×3, first 2 shown]
	s_clause 0x1
	scratch_load_b32 v43, off, off offset:48
	scratch_load_b32 v44, off, off offset:52
	s_waitcnt vmcnt(0)
	v_min3_f32 v43, v44, v43, 0x7f7fffff
	s_delay_alu instid0(VALU_DEP_1) | instskip(SKIP_1) | instid1(VALU_DEP_1)
	v_min3_f32 v144, v79, v132, v43
	v_min3_f32 v43, v139, v145, 0x7f7fffff
	;; [unrolled: 1-line block ×3, first 2 shown]
	scratch_load_b32 v43, off, off offset:56 ; 4-byte Folded Reload
	s_waitcnt vmcnt(0)
	v_min3_f32 v43, v136, v43, 0x7f7fffff
	s_delay_alu instid0(VALU_DEP_1) | instskip(SKIP_1) | instid1(VALU_DEP_1)
	v_min3_f32 v139, v83, v134, v43
	v_min3_f32 v43, v85, v84, 0x7f7fffff
	;; [unrolled: 1-line block ×4, first 2 shown]
	s_delay_alu instid0(VALU_DEP_1) | instskip(SKIP_3) | instid1(VALU_DEP_3)
	v_min3_f32 v134, v103, v102, v43
	v_min3_f32 v43, v89, v88, 0x7f7fffff
	v_min3_f32 v88, v2, v3, v0
	v_min3_f32 v0, v12, v13, 0x7f7fffff
	v_min3_f32 v135, v105, v104, v43
	v_min3_f32 v43, v91, v90, 0x7f7fffff
	s_delay_alu instid0(VALU_DEP_3) | instskip(SKIP_1) | instid1(VALU_DEP_3)
	v_min3_f32 v86, v14, v15, v0
	v_min3_f32 v0, v8, v9, 0x7f7fffff
	v_min3_f32 v132, v107, v106, v43
	v_min3_f32 v43, v93, v92, 0x7f7fffff
	s_delay_alu instid0(VALU_DEP_3) | instskip(SKIP_1) | instid1(VALU_DEP_3)
	v_min3_f32 v85, v10, v11, v0
	v_min3_f32 v0, v4, v5, 0x7f7fffff
	v_min3_f32 v133, v109, v108, v43
	v_min3_f32 v43, v95, v94, 0x7f7fffff
	;; [unrolled: 5-line block ×6, first 2 shown]
	s_delay_alu instid0(VALU_DEP_3)
	v_min3_f32 v80, v29, v30, v0
	s_clause 0x1
	scratch_load_b32 v0, off, off offset:4
	scratch_load_b32 v1, off, off offset:8
	v_min3_f32 v127, v152, v127, v43
	v_min3_f32 v43, v121, v120, 0x7f7fffff
	s_delay_alu instid0(VALU_DEP_1) | instskip(SKIP_1) | instid1(VALU_DEP_1)
	v_min3_f32 v126, v154, v153, v43
	v_min3_f32 v43, v123, v122, 0x7f7fffff
	v_min3_f32 v124, v156, v155, v43
	v_min3_f32 v43, v137, v125, 0x7f7fffff
	s_delay_alu instid0(VALU_DEP_1) | instskip(SKIP_1) | instid1(VALU_DEP_1)
	v_min3_f32 v125, v158, v157, v43
	v_min3_f32 v43, v140, v138, 0x7f7fffff
	;; [unrolled: 5-line block ×19, first 2 shown]
	v_min3_f32 v87, v25, v26, v16
	s_waitcnt vmcnt(0)
	ds_store_2addr_stride64_b32 v76, v0, v1 offset0:16 offset1:20
	s_clause 0x1
	scratch_load_b32 v0, off, off offset:12
	scratch_load_b32 v1, off, off offset:16
	s_waitcnt vmcnt(0)
	ds_store_2addr_stride64_b32 v76, v0, v1 offset0:24 offset1:28
	scratch_load_b32 v0, off, off           ; 4-byte Folded Reload
	s_waitcnt vmcnt(0)
	ds_store_b32 v76, v0 offset:9216
	s_waitcnt lgkmcnt(0)
	s_waitcnt_vscnt null, 0x0
	s_barrier
	buffer_gl0_inv
	s_cbranch_scc1 .LBB15_44
; %bb.27:
	s_clause 0x2
	scratch_load_b32 v4, off, off offset:60
	scratch_load_b32 v203, off, off offset:24
	;; [unrolled: 1-line block ×3, first 2 shown]
	v_add_nc_u32_e32 v6, 12, v70
	s_lshl_b32 s5, s5, 6
	v_add_nc_u32_e32 v10, 8, v70
	v_or_b32_e32 v77, 0x2000, v76
	v_add_nc_u32_e32 v78, 0x2000, v204
	v_mad_i64_i32 v[0:1], null, v6, s16, 0
	s_delay_alu instid0(VALU_DEP_4) | instskip(SKIP_2) | instid1(VALU_DEP_4)
	v_mad_i64_i32 v[8:9], null, v10, s16, 0
	v_add_nc_u32_e32 v79, 0x2400, v76
	v_or_b32_e32 v111, 0x1000, v76
	v_lshlrev_b64 v[64:65], 2, v[0:1]
	s_delay_alu instid0(VALU_DEP_4)
	v_lshlrev_b64 v[70:71], 2, v[8:9]
	s_waitcnt vmcnt(2)
	v_lshl_or_b32 v2, s14, 6, v4
	v_add_nc_u32_e32 v0, s21, v4
	v_mad_i64_i32 v[4:5], null, v6, s18, 0
	v_mad_i64_i32 v[6:7], null, v10, s18, 0
	s_delay_alu instid0(VALU_DEP_4) | instskip(NEXT) | instid1(VALU_DEP_4)
	v_subrev_nc_u32_e32 v2, s5, v2
	v_ashrrev_i32_e32 v1, 31, v0
	s_waitcnt vmcnt(1)
	v_lshl_add_u32 v137, v203, 4, 0x2400
	s_waitcnt vmcnt(0)
	v_lshl_add_u32 v138, v202, 4, 0x1000
	v_lshlrev_b64 v[66:67], 2, v[4:5]
	v_ashrrev_i32_e32 v3, 31, v2
	v_lshlrev_b64 v[0:1], 2, v[0:1]
	v_lshlrev_b64 v[68:69], 2, v[6:7]
	s_add_i32 s14, s4, -8
	s_lshl_b64 s[4:5], s[16:17], 5
	v_lshlrev_b64 v[2:3], 2, v[2:3]
	s_delay_alu instid0(VALU_DEP_1) | instskip(NEXT) | instid1(VALU_DEP_2)
	v_add_co_u32 v140, vcc_lo, s12, v2
	v_add_co_ci_u32_e32 v141, vcc_lo, s13, v3, vcc_lo
	v_add_co_u32 v142, vcc_lo, s10, v0
	v_add_co_ci_u32_e32 v143, vcc_lo, s11, v1, vcc_lo
	s_lshl_b64 s[10:11], s[18:19], 5
	s_mov_b32 s12, 0
	s_branch .LBB15_30
.LBB15_28:                              ;   in Loop: Header=BB15_30 Depth=1
	v_add_co_u32 v0, vcc_lo, v142, v66
	v_add_co_ci_u32_e32 v1, vcc_lo, v143, v67, vcc_lo
	s_clause 0x1
	flat_load_b32 v11, v[0:1] offset:512
	flat_load_b32 v1, v[0:1] offset:768
	s_waitcnt vmcnt(0) lgkmcnt(0)
	v_dual_mul_f32 v0, s22, v11 :: v_dual_mul_f32 v1, s22, v1
.LBB15_29:                              ;   in Loop: Header=BB15_30 Depth=1
	ds_load_b128 v[93:96], v74
	ds_load_b128 v[154:157], v78
	ds_load_b128 v[158:161], v78 offset:128
	ds_load_b128 v[162:165], v78 offset:256
	;; [unrolled: 1-line block ×14, first 2 shown]
	v_add_co_u32 v140, vcc_lo, v140, s4
	v_add_co_ci_u32_e32 v141, vcc_lo, s5, v141, vcc_lo
	v_add_co_u32 v142, vcc_lo, v142, s10
	s_waitcnt lgkmcnt(14)
	v_dual_add_f32 v11, v155, v94 :: v_dual_add_f32 v14, v154, v93
	s_waitcnt lgkmcnt(13)
	v_dual_add_f32 v15, v159, v94 :: v_dual_add_f32 v18, v158, v93
	;; [unrolled: 2-line block ×3, first 2 shown]
	s_waitcnt lgkmcnt(11)
	v_add_f32_e32 v23, v167, v94
	v_min3_f32 v11, v14, v11, v28
	v_min3_f32 v14, v18, v15, v29
	v_add_f32_e32 v18, v166, v93
	v_min3_f32 v15, v22, v19, v32
	s_waitcnt lgkmcnt(10)
	v_dual_add_f32 v19, v171, v94 :: v_dual_add_f32 v22, v170, v93
	s_waitcnt lgkmcnt(9)
	v_dual_add_f32 v28, v175, v94 :: v_dual_add_f32 v29, v174, v93
	s_waitcnt lgkmcnt(8)
	v_add_f32_e32 v32, v179, v94
	s_waitcnt lgkmcnt(7)
	v_dual_add_f32 v34, v178, v93 :: v_dual_add_f32 v35, v183, v94
	s_waitcnt lgkmcnt(2)
	v_dual_add_f32 v38, v182, v93 :: v_dual_add_f32 v75, v163, v191
	v_min3_f32 v4, v18, v23, v4
	v_min3_f32 v18, v22, v19, v33
	;; [unrolled: 1-line block ×3, first 2 shown]
	s_delay_alu instid0(VALU_DEP_4)
	v_min3_f32 v23, v38, v35, v40
	v_dual_add_f32 v28, v155, v98 :: v_dual_add_f32 v33, v158, v97
	v_add_f32_e32 v29, v154, v97
	v_min3_f32 v22, v34, v32, v37
	v_dual_add_f32 v32, v159, v98 :: v_dual_add_f32 v35, v162, v97
	v_dual_add_f32 v34, v163, v98 :: v_dual_add_f32 v37, v166, v97
	v_dual_add_f32 v36, v167, v98 :: v_dual_add_f32 v39, v170, v97
	v_add_f32_e32 v38, v171, v98
	v_min3_f32 v5, v29, v28, v5
	v_min3_f32 v28, v33, v32, v41
	v_min3_f32 v29, v35, v34, v44
	v_add_f32_e32 v35, v174, v97
	v_min3_f32 v32, v37, v36, v45
	v_min3_f32 v33, v39, v38, v48
	v_dual_add_f32 v34, v175, v98 :: v_dual_add_f32 v37, v178, v97
	v_dual_add_f32 v36, v179, v98 :: v_dual_add_f32 v39, v182, v97
	v_dual_add_f32 v38, v183, v98 :: v_dual_add_f32 v41, v154, v101
	v_dual_add_f32 v40, v155, v102 :: v_dual_add_f32 v45, v158, v101
	v_add_f32_e32 v44, v159, v102
	v_min3_f32 v8, v35, v34, v8
	v_min3_f32 v34, v37, v36, v49
	v_min3_f32 v35, v39, v38, v52
	v_add_f32_e32 v39, v162, v101
	v_min3_f32 v36, v41, v40, v53
	v_min3_f32 v37, v45, v44, v56
	v_dual_add_f32 v38, v163, v102 :: v_dual_add_f32 v41, v166, v101
	;; [unrolled: 11-line block ×4, first 2 shown]
	v_dual_add_f32 v54, v175, v106 :: v_dual_add_f32 v57, v178, v105
	v_dual_add_f32 v56, v179, v106 :: v_dual_add_f32 v59, v182, v105
	v_add_f32_e32 v58, v183, v106
	v_dual_add_f32 v60, v155, v187 :: v_dual_add_f32 v61, v154, v186
	v_min3_f32 v13, v53, v52, v13
	v_min3_f32 v50, v55, v54, v50
	;; [unrolled: 1-line block ×5, first 2 shown]
	v_dual_add_f32 v54, v159, v187 :: v_dual_add_f32 v55, v158, v186
	v_dual_add_f32 v56, v163, v187 :: v_dual_add_f32 v57, v162, v186
	;; [unrolled: 1-line block ×5, first 2 shown]
	v_min3_f32 v16, v55, v54, v16
	v_min3_f32 v54, v57, v56, v81
	;; [unrolled: 1-line block ×5, first 2 shown]
	v_dual_add_f32 v58, v179, v187 :: v_dual_add_f32 v59, v178, v186
	v_dual_add_f32 v60, v183, v187 :: v_dual_add_f32 v61, v182, v186
	;; [unrolled: 1-line block ×4, first 2 shown]
	v_add_f32_e32 v80, v162, v190
	v_min3_f32 v17, v59, v58, v17
	v_min3_f32 v46, v61, v60, v46
	;; [unrolled: 1-line block ×5, first 2 shown]
	v_add_f32_e32 v75, v179, v191
	v_dual_add_f32 v60, v167, v191 :: v_dual_add_f32 v61, v166, v190
	v_dual_add_f32 v62, v171, v191 :: v_dual_add_f32 v63, v170, v190
	;; [unrolled: 1-line block ×4, first 2 shown]
	v_add_f32_e32 v82, v182, v190
	v_min3_f32 v20, v61, v60, v20
	v_min3_f32 v42, v63, v62, v42
	;; [unrolled: 1-line block ×4, first 2 shown]
	s_waitcnt lgkmcnt(1)
	v_add_f32_e32 v75, v163, v195
	v_min3_f32 v61, v82, v81, v88
	v_dual_add_f32 v62, v155, v195 :: v_dual_add_f32 v63, v154, v194
	v_dual_add_f32 v72, v159, v195 :: v_dual_add_f32 v73, v158, v194
	;; [unrolled: 1-line block ×4, first 2 shown]
	v_add_f32_e32 v84, v170, v194
	v_min3_f32 v21, v63, v62, v21
	v_min3_f32 v62, v73, v72, v89
	;; [unrolled: 1-line block ×3, first 2 shown]
	v_add_f32_e32 v75, v175, v195
	v_min3_f32 v72, v82, v81, v91
	v_min3_f32 v73, v84, v83, v92
	v_dual_add_f32 v80, v174, v194 :: v_dual_add_f32 v81, v179, v195
	v_dual_add_f32 v82, v178, v194 :: v_dual_add_f32 v83, v183, v195
	s_waitcnt lgkmcnt(0)
	v_dual_add_f32 v84, v182, v194 :: v_dual_add_f32 v85, v155, v199
	v_dual_add_f32 v86, v154, v198 :: v_dual_add_f32 v87, v159, v199
	v_add_f32_e32 v88, v158, v198
	v_min3_f32 v24, v80, v75, v24
	v_add_f32_e32 v75, v163, v199
	v_min3_f32 v26, v82, v81, v26
	v_min3_f32 v27, v84, v83, v27
	;; [unrolled: 1-line block ×4, first 2 shown]
	v_dual_add_f32 v80, v162, v198 :: v_dual_add_f32 v81, v167, v199
	v_dual_add_f32 v82, v166, v198 :: v_dual_add_f32 v83, v171, v199
	;; [unrolled: 1-line block ×4, first 2 shown]
	v_add_f32_e32 v88, v178, v198
	v_min3_f32 v25, v80, v75, v25
	v_add_f32_e32 v75, v183, v199
	v_min3_f32 v3, v82, v81, v3
	v_min3_f32 v6, v84, v83, v6
	;; [unrolled: 1-line block ×4, first 2 shown]
	v_dual_add_f32 v80, v182, v198 :: v_dual_add_f32 v83, v161, v96
	v_dual_add_f32 v81, v157, v96 :: v_dual_add_f32 v82, v156, v95
	;; [unrolled: 1-line block ×4, first 2 shown]
	v_add_f32_e32 v88, v168, v95
	v_min3_f32 v2, v80, v75, v2
	v_min3_f32 v151, v82, v81, v11
	v_add_f32_e32 v81, v185, v96
	v_min3_f32 v148, v84, v83, v14
	v_min3_f32 v146, v88, v87, v4
	v_dual_add_f32 v4, v173, v96 :: v_dual_add_f32 v11, v172, v95
	v_add_f32_e32 v14, v177, v96
	v_add_f32_e32 v75, v181, v96
	v_min3_f32 v149, v86, v85, v15
	v_add_f32_e32 v15, v176, v95
	v_dual_add_f32 v80, v180, v95 :: v_dual_add_f32 v83, v157, v100
	v_add_f32_e32 v82, v184, v95
	v_add_f32_e32 v84, v156, v99
	v_min3_f32 v147, v11, v4, v18
	v_min3_f32 v144, v15, v14, v19
	v_add_f32_e32 v15, v169, v100
	v_min3_f32 v145, v80, v75, v22
	v_min3_f32 v136, v84, v83, v5
	v_dual_add_f32 v4, v161, v100 :: v_dual_add_f32 v5, v160, v99
	v_add_f32_e32 v11, v165, v100
	v_min3_f32 v139, v82, v81, v23
	v_dual_add_f32 v14, v164, v99 :: v_dual_add_f32 v19, v173, v100
	v_dual_add_f32 v18, v168, v99 :: v_dual_add_f32 v23, v177, v100
	v_add_f32_e32 v75, v176, v99
	v_add_f32_e32 v22, v172, v99
	v_min3_f32 v134, v5, v4, v28
	v_min3_f32 v135, v14, v11, v29
	v_add_f32_e32 v4, v181, v100
	v_min3_f32 v130, v75, v23, v8
	v_dual_add_f32 v5, v180, v99 :: v_dual_add_f32 v8, v185, v100
	v_dual_add_f32 v11, v184, v99 :: v_dual_add_f32 v14, v157, v104
	v_min3_f32 v132, v18, v15, v32
	v_dual_add_f32 v15, v156, v103 :: v_dual_add_f32 v18, v161, v104
	v_add_f32_e32 v23, v164, v103
	s_delay_alu instid0(VALU_DEP_4)
	v_min3_f32 v128, v11, v8, v35
	v_add_f32_e32 v11, v177, v104
	v_min3_f32 v133, v22, v19, v33
	v_dual_add_f32 v19, v160, v103 :: v_dual_add_f32 v22, v165, v104
	v_min3_f32 v131, v5, v4, v34
	v_min3_f32 v129, v15, v14, v36
	v_add_f32_e32 v4, v169, v104
	s_delay_alu instid0(VALU_DEP_4)
	v_min3_f32 v127, v19, v18, v37
	v_min3_f32 v126, v23, v22, v9
	v_dual_add_f32 v5, v168, v103 :: v_dual_add_f32 v8, v173, v104
	v_add_f32_e32 v9, v172, v103
	v_dual_add_f32 v14, v176, v103 :: v_dual_add_f32 v15, v181, v104
	v_dual_add_f32 v18, v180, v103 :: v_dual_add_f32 v19, v185, v104
	v_add_f32_e32 v22, v184, v103
	v_min3_f32 v124, v5, v4, v38
	s_delay_alu instid0(VALU_DEP_4)
	v_min3_f32 v122, v14, v11, v40
	v_add_f32_e32 v11, v165, v108
	v_min3_f32 v123, v18, v15, v41
	v_min3_f32 v120, v22, v19, v12
	v_add_f32_e32 v4, v157, v108
	v_min3_f32 v125, v9, v8, v39
	v_dual_add_f32 v5, v156, v107 :: v_dual_add_f32 v8, v161, v108
	v_dual_add_f32 v9, v160, v107 :: v_dual_add_f32 v14, v169, v108
	v_add_f32_e32 v12, v164, v107
	v_dual_add_f32 v15, v168, v107 :: v_dual_add_f32 v18, v173, v108
	v_add_f32_e32 v19, v172, v107
	v_min3_f32 v121, v5, v4, v44
	v_add_f32_e32 v4, v177, v108
	v_min3_f32 v118, v9, v8, v45
	v_min3_f32 v119, v12, v11, v48
	v_min3_f32 v117, v15, v14, v49
	v_min3_f32 v116, v19, v18, v13
	v_dual_add_f32 v5, v176, v107 :: v_dual_add_f32 v8, v181, v108
	v_add_f32_e32 v9, v180, v107
	v_dual_add_f32 v11, v185, v108 :: v_dual_add_f32 v12, v184, v107
	v_dual_add_f32 v13, v157, v189 :: v_dual_add_f32 v14, v156, v188
	;; [unrolled: 1-line block ×3, first 2 shown]
	v_min3_f32 v114, v5, v4, v50
	s_delay_alu instid0(VALU_DEP_4)
	v_min3_f32 v112, v12, v11, v52
	v_add_f32_e32 v11, v173, v189
	v_min3_f32 v113, v14, v13, v53
	v_min3_f32 v109, v18, v15, v16
	v_add_f32_e32 v4, v165, v189
	v_min3_f32 v115, v9, v8, v51
	v_dual_add_f32 v5, v164, v188 :: v_dual_add_f32 v8, v169, v189
	v_add_f32_e32 v9, v168, v188
	v_dual_add_f32 v12, v172, v188 :: v_dual_add_f32 v13, v177, v189
	v_dual_add_f32 v14, v176, v188 :: v_dual_add_f32 v15, v181, v189
	v_add_f32_e32 v16, v180, v188
	v_min3_f32 v110, v5, v4, v54
	s_delay_alu instid0(VALU_DEP_4)
	v_min3_f32 v108, v12, v11, v56
	v_add_f32_e32 v11, v161, v193
	v_min3_f32 v106, v14, v13, v57
	v_min3_f32 v105, v16, v15, v17
	v_add_f32_e32 v4, v185, v189
	v_min3_f32 v107, v9, v8, v55
	v_dual_add_f32 v5, v184, v188 :: v_dual_add_f32 v8, v157, v193
	v_add_f32_e32 v9, v156, v192
	v_dual_add_f32 v12, v160, v192 :: v_dual_add_f32 v13, v165, v193
	v_dual_add_f32 v14, v164, v192 :: v_dual_add_f32 v15, v169, v193
	v_add_f32_e32 v16, v168, v192
	;; [unrolled: 13-line block ×6, first 2 shown]
	v_min3_f32 v83, v5, v4, v3
	v_min3_f32 v84, v9, v8, v6
	;; [unrolled: 1-line block ×5, first 2 shown]
	v_add_co_ci_u32_e32 v143, vcc_lo, s11, v143, vcc_lo
	s_add_i32 s12, s12, 8
	ds_store_b32 v79, v150
	ds_store_2addr_stride64_b32 v111, v152, v153 offset1:4
	ds_store_2addr_stride64_b32 v111, v0, v1 offset0:8 offset1:12
	s_cmp_ge_i32 s12, s14
	s_waitcnt lgkmcnt(0)
	s_barrier
	buffer_gl0_inv
	s_cbranch_scc1 .LBB15_45
.LBB15_30:                              ; =>This Inner Loop Header: Depth=1
	s_and_b32 vcc_lo, exec_lo, s3
	s_cbranch_vccnz .LBB15_34
; %bb.31:                               ;   in Loop: Header=BB15_30 Depth=1
	v_add_co_u32 v0, vcc_lo, v140, v70
	v_add_co_ci_u32_e32 v1, vcc_lo, v141, v71, vcc_lo
	flat_load_b32 v0, v[0:1]
	s_waitcnt vmcnt(0) lgkmcnt(0)
	v_mul_f32_e32 v150, s22, v0
	s_and_b32 vcc_lo, exec_lo, s3
	s_cbranch_vccnz .LBB15_35
.LBB15_32:                              ;   in Loop: Header=BB15_30 Depth=1
	v_add_co_u32 v0, vcc_lo, v142, v68
	v_add_co_ci_u32_e32 v1, vcc_lo, v143, v69, vcc_lo
	s_clause 0x1
	flat_load_b32 v2, v[0:1]
	flat_load_b32 v0, v[0:1] offset:256
	s_waitcnt vmcnt(0) lgkmcnt(0)
	v_dual_mul_f32 v152, s22, v2 :: v_dual_mul_f32 v153, s22, v0
	s_and_b32 vcc_lo, exec_lo, s3
	s_cbranch_vccnz .LBB15_36
.LBB15_33:                              ;   in Loop: Header=BB15_30 Depth=1
	v_add_co_u32 v0, vcc_lo, v142, v68
	v_add_co_ci_u32_e32 v1, vcc_lo, v143, v69, vcc_lo
	s_clause 0x1
	flat_load_b32 v2, v[0:1] offset:512
	flat_load_b32 v0, v[0:1] offset:768
	s_waitcnt vmcnt(0) lgkmcnt(0)
	v_dual_mul_f32 v154, s22, v2 :: v_dual_mul_f32 v155, s22, v0
	s_branch .LBB15_37
.LBB15_34:                              ;   in Loop: Header=BB15_30 Depth=1
	v_mov_b32_e32 v150, 0
	s_and_b32 vcc_lo, exec_lo, s3
	s_cbranch_vccz .LBB15_32
.LBB15_35:                              ;   in Loop: Header=BB15_30 Depth=1
	v_dual_mov_b32 v152, 0 :: v_dual_mov_b32 v153, 0
	s_and_b32 vcc_lo, exec_lo, s3
	s_cbranch_vccz .LBB15_33
.LBB15_36:                              ;   in Loop: Header=BB15_30 Depth=1
	v_dual_mov_b32 v154, 0 :: v_dual_mov_b32 v155, 0
.LBB15_37:                              ;   in Loop: Header=BB15_30 Depth=1
	ds_load_b128 v[32:35], v137
	ds_load_b128 v[28:31], v137 offset:128
	ds_load_b128 v[24:27], v137 offset:256
	;; [unrolled: 1-line block ×7, first 2 shown]
	ds_load_b128 v[60:63], v138
	ds_load_b128 v[56:59], v138 offset:512
	ds_load_b128 v[52:55], v138 offset:1024
	;; [unrolled: 1-line block ×7, first 2 shown]
	s_and_b32 vcc_lo, exec_lo, s3
	ds_store_b32 v77, v150
	ds_store_2addr_stride64_b32 v76, v152, v153 offset1:4
	ds_store_2addr_stride64_b32 v76, v154, v155 offset0:8 offset1:12
	s_waitcnt lgkmcnt(0)
	s_barrier
	buffer_gl0_inv
	s_cbranch_vccnz .LBB15_40
; %bb.38:                               ;   in Loop: Header=BB15_30 Depth=1
	v_add_co_u32 v152, vcc_lo, v140, v64
	v_add_co_ci_u32_e32 v153, vcc_lo, v141, v65, vcc_lo
	flat_load_b32 v72, v[152:153]
	s_waitcnt vmcnt(0) lgkmcnt(0)
	v_mul_f32_e32 v150, s22, v72
	s_and_b32 vcc_lo, exec_lo, s3
	s_cbranch_vccnz .LBB15_41
.LBB15_39:                              ;   in Loop: Header=BB15_30 Depth=1
	v_add_co_u32 v152, vcc_lo, v142, v66
	v_add_co_ci_u32_e32 v153, vcc_lo, v143, v67, vcc_lo
	s_clause 0x1
	flat_load_b32 v72, v[152:153]
	flat_load_b32 v73, v[152:153] offset:256
	s_waitcnt vmcnt(0) lgkmcnt(0)
	v_dual_mul_f32 v152, s22, v72 :: v_dual_mul_f32 v153, s22, v73
	s_branch .LBB15_42
.LBB15_40:                              ;   in Loop: Header=BB15_30 Depth=1
	v_mov_b32_e32 v150, 0
	s_and_b32 vcc_lo, exec_lo, s3
	s_cbranch_vccz .LBB15_39
.LBB15_41:                              ;   in Loop: Header=BB15_30 Depth=1
	v_dual_mov_b32 v152, 0 :: v_dual_mov_b32 v153, 0
.LBB15_42:                              ;   in Loop: Header=BB15_30 Depth=1
	v_dual_add_f32 v72, v33, v61 :: v_dual_add_f32 v73, v32, v60
	v_dual_add_f32 v75, v29, v61 :: v_dual_add_f32 v154, v28, v60
	;; [unrolled: 1-line block ×3, first 2 shown]
	s_delay_alu instid0(VALU_DEP_3) | instskip(SKIP_1) | instid1(VALU_DEP_4)
	v_min3_f32 v72, v73, v72, v151
	v_add_f32_e32 v151, v13, v61
	v_min3_f32 v73, v154, v75, v148
	v_add_f32_e32 v154, v12, v60
	v_min3_f32 v75, v156, v155, v149
	v_dual_add_f32 v148, v17, v61 :: v_dual_add_f32 v149, v16, v60
	v_dual_add_f32 v155, v9, v61 :: v_dual_add_f32 v156, v8, v60
	;; [unrolled: 1-line block ×4, first 2 shown]
	s_delay_alu instid0(VALU_DEP_4) | instskip(SKIP_2) | instid1(VALU_DEP_4)
	v_min3_f32 v146, v149, v148, v146
	v_min3_f32 v147, v154, v151, v147
	v_dual_add_f32 v148, v29, v57 :: v_dual_add_f32 v149, v28, v56
	v_min3_f32 v60, v60, v61, v139
	v_dual_add_f32 v61, v33, v57 :: v_dual_add_f32 v154, v24, v56
	v_add_f32_e32 v139, v32, v56
	v_add_f32_e32 v151, v25, v57
	v_min3_f32 v144, v156, v155, v144
	v_add_f32_e32 v156, v16, v56
	v_min3_f32 v145, v158, v157, v145
	v_dual_add_f32 v155, v17, v57 :: v_dual_add_f32 v158, v12, v56
	v_add_f32_e32 v157, v13, v57
	v_min3_f32 v61, v139, v61, v136
	v_min3_f32 v135, v154, v151, v135
	v_add_f32_e32 v136, v9, v57
	v_min3_f32 v134, v149, v148, v134
	v_dual_add_f32 v139, v8, v56 :: v_dual_add_f32 v148, v5, v57
	v_add_f32_e32 v149, v4, v56
	v_dual_add_f32 v57, v1, v57 :: v_dual_add_f32 v154, v32, v52
	v_dual_add_f32 v56, v0, v56 :: v_dual_add_f32 v151, v33, v53
	v_min3_f32 v132, v156, v155, v132
	v_dual_add_f32 v156, v28, v52 :: v_dual_add_f32 v155, v29, v53
	v_min3_f32 v130, v139, v136, v130
	s_delay_alu instid0(VALU_DEP_4)
	v_min3_f32 v56, v56, v57, v128
	v_min3_f32 v57, v154, v151, v129
	v_add_f32_e32 v154, v8, v52
	v_dual_add_f32 v128, v25, v53 :: v_dual_add_f32 v129, v24, v52
	v_dual_add_f32 v136, v17, v53 :: v_dual_add_f32 v139, v16, v52
	v_min3_f32 v131, v149, v148, v131
	v_add_f32_e32 v148, v13, v53
	v_min3_f32 v127, v156, v155, v127
	v_add_f32_e32 v149, v12, v52
	v_dual_add_f32 v151, v9, v53 :: v_dual_add_f32 v156, v4, v52
	v_dual_add_f32 v155, v5, v53 :: v_dual_add_f32 v52, v0, v52
	v_min3_f32 v126, v129, v128, v126
	v_min3_f32 v124, v139, v136, v124
	v_add_f32_e32 v53, v1, v53
	v_dual_add_f32 v128, v33, v49 :: v_dual_add_f32 v129, v32, v48
	v_dual_add_f32 v136, v29, v49 :: v_dual_add_f32 v139, v28, v48
	v_min3_f32 v125, v149, v148, v125
	v_add_f32_e32 v148, v25, v49
	v_min3_f32 v122, v154, v151, v122
	v_add_f32_e32 v149, v24, v48
	v_dual_add_f32 v151, v17, v49 :: v_dual_add_f32 v154, v16, v48
	v_min3_f32 v120, v52, v53, v120
	v_min3_f32 v121, v129, v128, v121
	;; [unrolled: 1-line block ×3, first 2 shown]
	v_dual_add_f32 v52, v13, v49 :: v_dual_add_f32 v53, v12, v48
	v_dual_add_f32 v128, v9, v49 :: v_dual_add_f32 v129, v8, v48
	v_dual_add_f32 v136, v5, v49 :: v_dual_add_f32 v139, v4, v48
	v_dual_add_f32 v49, v1, v49 :: v_dual_add_f32 v48, v0, v48
	v_min3_f32 v119, v149, v148, v119
	v_dual_add_f32 v148, v33, v45 :: v_dual_add_f32 v149, v32, v44
	v_min3_f32 v116, v53, v52, v116
	v_min3_f32 v114, v129, v128, v114
	v_min3_f32 v112, v48, v49, v112
	v_dual_add_f32 v48, v29, v45 :: v_dual_add_f32 v49, v28, v44
	v_dual_add_f32 v52, v25, v45 :: v_dual_add_f32 v53, v24, v44
	;; [unrolled: 1-line block ×3, first 2 shown]
	v_min3_f32 v115, v139, v136, v115
	v_add_f32_e32 v136, v13, v45
	v_min3_f32 v113, v149, v148, v113
	v_dual_add_f32 v139, v12, v44 :: v_dual_add_f32 v148, v9, v45
	v_add_f32_e32 v149, v8, v44
	v_min3_f32 v109, v49, v48, v109
	v_add_f32_e32 v48, v5, v45
	v_min3_f32 v110, v53, v52, v110
	v_min3_f32 v107, v129, v128, v107
	v_dual_add_f32 v49, v4, v44 :: v_dual_add_f32 v52, v33, v41
	v_dual_add_f32 v45, v1, v45 :: v_dual_add_f32 v44, v0, v44
	;; [unrolled: 1-line block ×3, first 2 shown]
	v_add_f32_e32 v129, v28, v40
	v_min3_f32 v108, v139, v136, v108
	v_dual_add_f32 v136, v25, v41 :: v_dual_add_f32 v139, v24, v40
	v_min3_f32 v105, v49, v48, v105
	v_min3_f32 v103, v44, v45, v103
	v_add_f32_e32 v44, v17, v41
	v_min3_f32 v104, v53, v52, v104
	v_min3_f32 v101, v129, v128, v101
	v_dual_add_f32 v45, v16, v40 :: v_dual_add_f32 v48, v13, v41
	v_dual_add_f32 v49, v12, v40 :: v_dual_add_f32 v52, v9, v41
	;; [unrolled: 1-line block ×3, first 2 shown]
	v_add_f32_e32 v129, v4, v40
	v_dual_add_f32 v41, v1, v41 :: v_dual_add_f32 v40, v0, v40
	v_min3_f32 v99, v45, v44, v99
	v_dual_add_f32 v44, v29, v37 :: v_dual_add_f32 v45, v28, v36
	v_min3_f32 v100, v49, v48, v100
	v_add_f32_e32 v48, v25, v37
	v_min3_f32 v96, v40, v41, v96
	v_dual_add_f32 v40, v33, v37 :: v_dual_add_f32 v41, v32, v36
	v_min3_f32 v97, v53, v52, v97
	v_min3_f32 v98, v129, v128, v98
	v_dual_add_f32 v49, v24, v36 :: v_dual_add_f32 v52, v17, v37
	v_dual_add_f32 v53, v16, v36 :: v_dual_add_f32 v128, v13, v37
	v_add_f32_e32 v129, v12, v36
	v_min3_f32 v95, v41, v40, v95
	v_add_f32_e32 v40, v9, v37
	v_min3_f32 v93, v45, v44, v93
	v_dual_add_f32 v41, v8, v36 :: v_dual_add_f32 v44, v5, v37
	v_add_f32_e32 v45, v4, v36
	v_dual_add_f32 v25, v25, v21 :: v_dual_add_f32 v16, v16, v20
	v_dual_add_f32 v17, v17, v21 :: v_dual_add_f32 v12, v12, v20
	;; [unrolled: 1-line block ×4, first 2 shown]
	v_add_f32_e32 v5, v5, v21
	v_min3_f32 v123, v156, v155, v123
	v_min3_f32 v117, v154, v151, v117
	;; [unrolled: 1-line block ×3, first 2 shown]
	v_dual_add_f32 v37, v1, v37 :: v_dual_add_f32 v32, v32, v20
	v_dual_add_f32 v36, v0, v36 :: v_dual_add_f32 v33, v33, v21
	;; [unrolled: 1-line block ×3, first 2 shown]
	v_add_f32_e32 v24, v24, v20
	v_min3_f32 v149, v16, v17, v83
	v_min3_f32 v151, v12, v13, v84
	;; [unrolled: 1-line block ×3, first 2 shown]
	v_dual_add_f32 v1, v1, v21 :: v_dual_add_f32 v8, v31, v63
	v_add_f32_e32 v0, v0, v20
	v_min3_f32 v155, v4, v5, v82
	v_dual_add_f32 v4, v35, v63 :: v_dual_add_f32 v5, v34, v62
	v_dual_add_f32 v12, v27, v63 :: v_dual_add_f32 v9, v30, v62
	;; [unrolled: 1-line block ×3, first 2 shown]
	v_add_f32_e32 v17, v18, v62
	v_min3_f32 v102, v139, v136, v102
	v_min3_f32 v139, v32, v33, v88
	;; [unrolled: 1-line block ×6, first 2 shown]
	v_add_f32_e32 v1, v15, v63
	v_dual_add_f32 v5, v14, v62 :: v_dual_add_f32 v8, v11, v63
	v_min3_f32 v32, v13, v12, v75
	v_dual_add_f32 v9, v10, v62 :: v_dual_add_f32 v20, v35, v59
	v_add_f32_e32 v12, v7, v63
	v_min3_f32 v4, v17, v16, v146
	v_dual_add_f32 v13, v6, v62 :: v_dual_add_f32 v16, v3, v63
	v_add_f32_e32 v17, v2, v62
	v_add_f32_e32 v21, v34, v58
	v_min3_f32 v133, v158, v157, v133
	v_min3_f32 v92, v129, v128, v92
	v_min3_f32 v128, v41, v40, v89
	v_min3_f32 v136, v36, v37, v87
	v_min3_f32 v25, v24, v25, v85
	v_min3_f32 v36, v9, v8, v144
	v_min3_f32 v37, v13, v12, v145
	v_min3_f32 v40, v17, v16, v60
	v_add_f32_e32 v8, v30, v58
	v_min3_f32 v33, v5, v1, v147
	v_min3_f32 v5, v21, v20, v61
	v_dual_add_f32 v1, v31, v59 :: v_dual_add_f32 v12, v26, v58
	v_dual_add_f32 v9, v27, v59 :: v_dual_add_f32 v16, v18, v58
	;; [unrolled: 1-line block ×4, first 2 shown]
	v_add_f32_e32 v21, v11, v59
	v_min3_f32 v94, v49, v48, v94
	v_min3_f32 v129, v45, v44, v90
	;; [unrolled: 1-line block ×6, first 2 shown]
	v_add_f32_e32 v1, v7, v59
	v_dual_add_f32 v9, v6, v58 :: v_dual_add_f32 v12, v3, v59
	v_dual_add_f32 v13, v2, v58 :: v_dual_add_f32 v16, v35, v55
	;; [unrolled: 1-line block ×3, first 2 shown]
	v_add_f32_e32 v58, v26, v54
	v_min3_f32 v8, v24, v21, v130
	v_dual_add_f32 v21, v30, v54 :: v_dual_add_f32 v24, v27, v55
	v_min3_f32 v91, v53, v52, v91
	v_min3_f32 v52, v13, v12, v56
	;; [unrolled: 1-line block ×3, first 2 shown]
	s_delay_alu instid0(VALU_DEP_4)
	v_min3_f32 v56, v21, v20, v127
	v_add_f32_e32 v12, v18, v54
	v_min3_f32 v49, v9, v1, v131
	v_min3_f32 v9, v58, v24, v126
	v_dual_add_f32 v1, v19, v55 :: v_dual_add_f32 v16, v14, v54
	v_dual_add_f32 v13, v15, v55 :: v_dual_add_f32 v20, v10, v54
	;; [unrolled: 1-line block ×5, first 2 shown]
	v_min3_f32 v54, v12, v1, v124
	v_min3_f32 v55, v16, v13, v125
	;; [unrolled: 1-line block ×4, first 2 shown]
	v_dual_add_f32 v1, v35, v51 :: v_dual_add_f32 v72, v14, v50
	v_dual_add_f32 v13, v34, v50 :: v_dual_add_f32 v16, v31, v51
	v_dual_add_f32 v17, v30, v50 :: v_dual_add_f32 v20, v27, v51
	v_dual_add_f32 v21, v26, v50 :: v_dual_add_f32 v24, v19, v51
	v_add_f32_e32 v63, v15, v51
	v_min3_f32 v12, v60, v59, v120
	v_min3_f32 v59, v13, v1, v121
	v_min3_f32 v60, v17, v16, v118
	v_add_f32_e32 v16, v10, v50
	v_min3_f32 v61, v21, v20, v119
	v_min3_f32 v62, v62, v24, v117
	v_min3_f32 v13, v72, v63, v116
	v_dual_add_f32 v1, v11, v51 :: v_dual_add_f32 v20, v6, v50
	v_dual_add_f32 v17, v7, v51 :: v_dual_add_f32 v24, v2, v50
	v_add_f32_e32 v21, v3, v51
	v_dual_add_f32 v72, v35, v47 :: v_dual_add_f32 v73, v34, v46
	v_dual_add_f32 v75, v31, v47 :: v_dual_add_f32 v86, v6, v46
	v_add_f32_e32 v81, v30, v46
	v_min3_f32 v50, v16, v1, v114
	v_min3_f32 v51, v20, v17, v115
	;; [unrolled: 1-line block ×3, first 2 shown]
	v_add_f32_e32 v1, v27, v47
	v_dual_add_f32 v17, v26, v46 :: v_dual_add_f32 v20, v19, v47
	v_add_f32_e32 v72, v14, v46
	v_min3_f32 v63, v24, v21, v112
	v_dual_add_f32 v21, v18, v46 :: v_dual_add_f32 v90, v35, v39
	v_min3_f32 v16, v81, v75, v109
	v_add_f32_e32 v24, v15, v47
	v_add_f32_e32 v73, v11, v47
	;; [unrolled: 1-line block ×3, first 2 shown]
	v_min3_f32 v82, v21, v20, v107
	v_add_f32_e32 v20, v2, v46
	v_min3_f32 v81, v17, v1, v110
	v_dual_add_f32 v1, v3, v47 :: v_dual_add_f32 v88, v18, v42
	v_add_f32_e32 v87, v19, v43
	v_add_f32_e32 v85, v7, v47
	v_min3_f32 v83, v72, v24, v108
	v_dual_add_f32 v21, v35, v43 :: v_dual_add_f32 v24, v34, v42
	v_min3_f32 v84, v75, v73, v106
	v_dual_add_f32 v72, v31, v43 :: v_dual_add_f32 v73, v30, v42
	v_min3_f32 v46, v20, v1, v103
	v_min3_f32 v20, v88, v87, v99
	v_dual_add_f32 v88, v3, v43 :: v_dual_add_f32 v89, v2, v42
	v_min3_f32 v17, v86, v85, v105
	v_dual_add_f32 v75, v27, v43 :: v_dual_add_f32 v86, v26, v42
	v_add_f32_e32 v1, v15, v43
	s_delay_alu instid0(VALU_DEP_4)
	v_min3_f32 v88, v89, v88, v96
	v_add_f32_e32 v96, v15, v39
	v_min3_f32 v85, v73, v72, v101
	v_add_f32_e32 v72, v10, v42
	v_min3_f32 v47, v24, v21, v104
	v_dual_add_f32 v24, v11, v43 :: v_dual_add_f32 v21, v14, v42
	v_add_f32_e32 v73, v7, v43
	v_add_f32_e32 v99, v34, v38
	;; [unrolled: 1-line block ×3, first 2 shown]
	s_delay_alu instid0(VALU_DEP_4)
	v_min3_f32 v43, v72, v24, v97
	v_add_f32_e32 v24, v30, v38
	v_min3_f32 v86, v86, v75, v102
	v_dual_add_f32 v75, v6, v42 :: v_dual_add_f32 v72, v27, v39
	v_add_f32_e32 v35, v35, v23
	v_add_f32_e32 v97, v14, v38
	;; [unrolled: 1-line block ×3, first 2 shown]
	s_delay_alu instid0(VALU_DEP_4)
	v_min3_f32 v87, v75, v73, v98
	v_dual_add_f32 v73, v26, v38 :: v_dual_add_f32 v98, v11, v39
	v_min3_f32 v42, v21, v1, v100
	v_add_f32_e32 v1, v31, v39
	v_min3_f32 v21, v99, v90, v95
	v_dual_add_f32 v75, v19, v39 :: v_dual_add_f32 v14, v14, v22
	v_add_f32_e32 v95, v18, v38
	v_min3_f32 v90, v73, v72, v94
	v_add_f32_e32 v72, v6, v38
	v_add_f32_e32 v18, v18, v22
	v_min3_f32 v89, v24, v1, v93
	v_add_f32_e32 v1, v7, v39
	v_add_f32_e32 v99, v10, v38
	;; [unrolled: 1-line block ×3, first 2 shown]
	v_min3_f32 v91, v95, v75, v91
	v_dual_add_f32 v39, v3, v39 :: v_dual_add_f32 v38, v2, v38
	v_add_f32_e32 v31, v31, v23
	v_add_f32_e32 v73, v30, v22
	;; [unrolled: 1-line block ×4, first 2 shown]
	v_min3_f32 v26, v72, v1, v129
	v_add_f32_e32 v1, v19, v23
	v_add_f32_e32 v11, v11, v23
	;; [unrolled: 1-line block ×3, first 2 shown]
	v_dual_add_f32 v23, v3, v23 :: v_dual_add_f32 v2, v2, v22
	v_min3_f32 v30, v34, v35, v139
	v_add_f32_e32 v34, v6, v22
	v_min3_f32 v92, v97, v96, v92
	v_min3_f32 v24, v99, v98, v128
	;; [unrolled: 1-line block ×10, first 2 shown]
	s_and_b32 vcc_lo, exec_lo, s3
	s_cbranch_vccz .LBB15_28
; %bb.43:                               ;   in Loop: Header=BB15_30 Depth=1
	v_dual_mov_b32 v0, 0 :: v_dual_mov_b32 v1, 0
	s_branch .LBB15_29
.LBB15_44:
	s_clause 0x1
	scratch_load_b32 v202, off, off offset:20
	scratch_load_b32 v203, off, off offset:24
.LBB15_45:
	ds_load_b128 v[32:35], v204 offset:9216
	ds_load_b128 v[60:63], v74 offset:4096
	s_clause 0x2
	s_load_b32 s4, s[0:1], 0x70
	s_load_b32 s3, s[0:1], 0x58
	s_load_b64 s[0:1], s[0:1], 0x78
	s_waitcnt vmcnt(1)
	v_add_nc_u32_e32 v111, s21, v202
	s_waitcnt vmcnt(0) lgkmcnt(0)
	v_dual_add_f32 v7, v32, v60 :: v_dual_add_nc_u32 v76, s20, v203
	v_add_f32_e32 v6, v33, v61
	s_delay_alu instid0(VALU_DEP_3) | instskip(SKIP_1) | instid1(VALU_DEP_4)
	v_mad_i64_i32 v[2:3], null, v111, s4, 0
	v_mad_i64_i32 v[4:5], null, v111, s3, 0
	v_dual_add_f32 v9, v34, v62 :: v_dual_add_nc_u32 v0, 8, v76
	v_add_f32_e32 v8, v35, v63
	v_min3_f32 v6, v7, v6, v151
	v_lshlrev_b64 v[2:3], 2, v[2:3]
	s_lshl_b64 s[0:1], s[0:1], 2
	v_lshlrev_b64 v[4:5], 2, v[4:5]
	s_add_u32 s0, s6, s0
	v_ashrrev_i32_e32 v77, 31, v76
	s_addc_u32 s1, s7, s1
	v_min3_f32 v6, v9, v8, v6
	v_add_co_u32 v137, vcc_lo, s0, v2
	v_add_co_ci_u32_e32 v138, vcc_lo, s1, v3, vcc_lo
	v_add_co_u32 v140, vcc_lo, s8, v4
	v_lshlrev_b64 v[66:67], 2, v[76:77]
	v_ashrrev_i32_e32 v1, 31, v0
	v_add_co_ci_u32_e32 v141, vcc_lo, s9, v5, vcc_lo
	v_max_f32_e32 v2, v6, v6
	s_mov_b32 vcc_lo, s2
	s_cbranch_vccz .LBB15_47
; %bb.46:
	v_add_co_u32 v3, vcc_lo, v137, v66
	s_delay_alu instid0(VALU_DEP_2)
	v_min_f32_e32 v5, 0, v2
	v_add_co_ci_u32_e32 v4, vcc_lo, v138, v67, vcc_lo
	s_mov_b32 s5, 0
	global_store_b32 v[3:4], v5, off
	s_branch .LBB15_48
.LBB15_47:
	s_mov_b32 s5, -1
.LBB15_48:
	ds_load_b128 v[28:31], v204 offset:9344
	ds_load_b128 v[24:27], v204 offset:9472
	v_lshlrev_b64 v[64:65], 2, v[0:1]
	s_and_not1_b32 vcc_lo, exec_lo, s5
	s_cbranch_vccnz .LBB15_50
; %bb.49:
	v_add_co_u32 v0, vcc_lo, v140, v66
	v_add_co_ci_u32_e32 v1, vcc_lo, v141, v67, vcc_lo
	flat_load_b32 v0, v[0:1]
	s_waitcnt vmcnt(0) lgkmcnt(0)
	v_mul_f32_e32 v3, s15, v0
	v_add_co_u32 v0, vcc_lo, v137, v66
	v_add_co_ci_u32_e32 v1, vcc_lo, v138, v67, vcc_lo
	s_delay_alu instid0(VALU_DEP_3)
	v_min_f32_e32 v4, v3, v2
	v_add_co_u32 v2, vcc_lo, v140, v64
	v_add_co_ci_u32_e32 v3, vcc_lo, v141, v65, vcc_lo
	global_store_b32 v[0:1], v4, off
	flat_load_b32 v0, v[2:3]
	s_waitcnt vmcnt(0) lgkmcnt(0)
	v_mul_f32_e32 v69, s15, v0
	s_branch .LBB15_51
.LBB15_50:
	v_mov_b32_e32 v69, s5
.LBB15_51:
	ds_load_b128 v[16:19], v204 offset:9728
	ds_load_b128 v[12:15], v204 offset:9856
	;; [unrolled: 1-line block ×10, first 2 shown]
	s_waitcnt lgkmcnt(10)
	v_dual_add_f32 v68, v25, v61 :: v_dual_add_f32 v73, v31, v63
	v_dual_add_f32 v70, v24, v60 :: v_dual_add_f32 v71, v29, v61
	ds_load_b128 v[20:23], v204 offset:9600
	ds_load_b128 v[4:7], v74 offset:7680
	v_dual_add_f32 v72, v28, v60 :: v_dual_add_f32 v75, v27, v63
	v_add_f32_e32 v74, v30, v62
	v_min3_f32 v68, v70, v68, v149
	v_dual_add_f32 v77, v26, v62 :: v_dual_add_nc_u32 v70, 16, v76
	s_delay_alu instid0(VALU_DEP_4) | instskip(NEXT) | instid1(VALU_DEP_4)
	v_min3_f32 v72, v72, v71, v148
	v_min_f32_e32 v73, v74, v73
	s_delay_alu instid0(VALU_DEP_3) | instskip(SKIP_2) | instid1(VALU_DEP_4)
	v_min3_f32 v75, v77, v75, v68
	v_add_nc_u32_e32 v68, 24, v76
	v_ashrrev_i32_e32 v71, 31, v70
	v_min3_f32 v77, v69, v73, v72
	v_add_co_u32 v73, vcc_lo, v137, v64
	v_add_co_ci_u32_e32 v74, vcc_lo, v138, v65, vcc_lo
	s_delay_alu instid0(VALU_DEP_4)
	v_lshlrev_b64 v[70:71], 2, v[70:71]
	v_ashrrev_i32_e32 v69, 31, v68
	v_max_f32_e32 v72, v75, v75
	s_mov_b32 vcc_lo, s2
	global_store_b32 v[73:74], v77, off
	s_cbranch_vccz .LBB15_54
; %bb.52:
	v_add_co_u32 v73, vcc_lo, v137, v70
	v_min_f32_e32 v75, 0, v72
	v_add_co_ci_u32_e32 v74, vcc_lo, v138, v71, vcc_lo
	s_mov_b32 s5, 0
	global_store_b32 v[73:74], v75, off
	v_lshlrev_b64 v[68:69], 2, v[68:69]
	s_cbranch_execz .LBB15_55
; %bb.53:
	v_mov_b32_e32 v73, s5
	s_branch .LBB15_56
.LBB15_54:
	s_mov_b32 s5, -1
	v_lshlrev_b64 v[68:69], 2, v[68:69]
.LBB15_55:
	v_add_co_u32 v73, vcc_lo, v140, v70
	v_add_co_ci_u32_e32 v74, vcc_lo, v141, v71, vcc_lo
	flat_load_b32 v73, v[73:74]
	s_waitcnt vmcnt(0) lgkmcnt(0)
	v_mul_f32_e32 v75, s15, v73
	v_add_co_u32 v73, vcc_lo, v137, v70
	v_add_co_ci_u32_e32 v74, vcc_lo, v138, v71, vcc_lo
	v_add_co_u32 v77, vcc_lo, v140, v68
	s_delay_alu instid0(VALU_DEP_4)
	v_min_f32_e32 v72, v75, v72
	v_add_co_ci_u32_e32 v78, vcc_lo, v141, v69, vcc_lo
	global_store_b32 v[73:74], v72, off
	flat_load_b32 v72, v[77:78]
	s_waitcnt vmcnt(0) lgkmcnt(0)
	v_mul_f32_e32 v73, s15, v72
.LBB15_56:
	s_waitcnt lgkmcnt(1)
	v_dual_add_f32 v72, v17, v61 :: v_dual_add_f32 v77, v20, v60
	v_dual_add_f32 v74, v16, v60 :: v_dual_add_f32 v75, v21, v61
	;; [unrolled: 1-line block ×4, first 2 shown]
	s_delay_alu instid0(VALU_DEP_3) | instskip(NEXT) | instid1(VALU_DEP_4)
	v_min3_f32 v72, v74, v72, v147
	v_min3_f32 v77, v77, v75, v146
	s_delay_alu instid0(VALU_DEP_4) | instskip(NEXT) | instid1(VALU_DEP_3)
	v_min_f32_e32 v78, v79, v78
	v_min3_f32 v142, v143, v142, v72
	v_add_nc_u32_e32 v74, 32, v76
	s_delay_alu instid0(VALU_DEP_3)
	v_min3_f32 v143, v73, v78, v77
	v_add_nc_u32_e32 v72, 40, v76
	v_add_co_u32 v78, vcc_lo, v137, v68
	v_max_f32_e32 v77, v142, v142
	v_ashrrev_i32_e32 v75, 31, v74
	v_add_co_ci_u32_e32 v79, vcc_lo, v138, v69, vcc_lo
	v_ashrrev_i32_e32 v73, 31, v72
	s_mov_b32 vcc_lo, s2
	s_delay_alu instid0(VALU_DEP_3)
	v_lshlrev_b64 v[74:75], 2, v[74:75]
	global_store_b32 v[78:79], v143, off
	s_cbranch_vccz .LBB15_59
; %bb.57:
	v_add_co_u32 v78, vcc_lo, v137, v74
	v_min_f32_e32 v142, 0, v77
	v_add_co_ci_u32_e32 v79, vcc_lo, v138, v75, vcc_lo
	s_mov_b32 s5, 0
	global_store_b32 v[78:79], v142, off
	v_lshlrev_b64 v[72:73], 2, v[72:73]
	s_cbranch_execz .LBB15_60
; %bb.58:
	v_mov_b32_e32 v77, s5
	s_branch .LBB15_61
.LBB15_59:
	s_mov_b32 s5, -1
	v_lshlrev_b64 v[72:73], 2, v[72:73]
.LBB15_60:
	v_add_co_u32 v78, vcc_lo, v140, v74
	v_add_co_ci_u32_e32 v79, vcc_lo, v141, v75, vcc_lo
	flat_load_b32 v78, v[78:79]
	s_waitcnt vmcnt(0) lgkmcnt(0)
	v_mul_f32_e32 v142, s15, v78
	v_add_co_u32 v78, vcc_lo, v137, v74
	v_add_co_ci_u32_e32 v79, vcc_lo, v138, v75, vcc_lo
	s_delay_alu instid0(VALU_DEP_3)
	v_min_f32_e32 v77, v142, v77
	v_add_co_u32 v142, vcc_lo, v140, v72
	v_add_co_ci_u32_e32 v143, vcc_lo, v141, v73, vcc_lo
	global_store_b32 v[78:79], v77, off
	flat_load_b32 v77, v[142:143]
	s_waitcnt vmcnt(0) lgkmcnt(0)
	v_mul_f32_e32 v77, s15, v77
.LBB15_61:
	v_dual_add_f32 v78, v9, v61 :: v_dual_add_f32 v79, v8, v60
	v_dual_add_f32 v142, v13, v61 :: v_dual_add_f32 v143, v12, v60
	v_add_f32_e32 v146, v15, v63
	v_dual_add_f32 v147, v11, v63 :: v_dual_add_f32 v148, v10, v62
	s_delay_alu instid0(VALU_DEP_4) | instskip(SKIP_2) | instid1(VALU_DEP_2)
	v_min3_f32 v79, v79, v78, v145
	v_dual_add_f32 v145, v14, v62 :: v_dual_add_nc_u32 v78, 48, v76
	v_min3_f32 v142, v143, v142, v144
	v_dual_min_f32 v143, v145, v146 :: v_dual_add_nc_u32 v76, 56, v76
	s_delay_alu instid0(VALU_DEP_4) | instskip(NEXT) | instid1(VALU_DEP_4)
	v_min3_f32 v145, v148, v147, v79
	v_ashrrev_i32_e32 v79, 31, v78
	s_delay_alu instid0(VALU_DEP_3) | instskip(SKIP_1) | instid1(VALU_DEP_3)
	v_min3_f32 v146, v77, v143, v142
	v_add_co_u32 v143, vcc_lo, v137, v72
	v_lshlrev_b64 v[78:79], 2, v[78:79]
	v_add_co_ci_u32_e32 v144, vcc_lo, v138, v73, vcc_lo
	v_ashrrev_i32_e32 v77, 31, v76
	v_max_f32_e32 v142, v145, v145
	s_mov_b32 vcc_lo, s2
	global_store_b32 v[143:144], v146, off
	s_cbranch_vccz .LBB15_64
; %bb.62:
	v_add_co_u32 v143, vcc_lo, v137, v78
	v_min_f32_e32 v145, 0, v142
	v_add_co_ci_u32_e32 v144, vcc_lo, v138, v79, vcc_lo
	s_mov_b32 s5, 0
	global_store_b32 v[143:144], v145, off
	v_lshlrev_b64 v[76:77], 2, v[76:77]
	s_cbranch_execz .LBB15_65
; %bb.63:
	v_mov_b32_e32 v140, s5
	s_branch .LBB15_66
.LBB15_64:
	s_mov_b32 s5, -1
	v_lshlrev_b64 v[76:77], 2, v[76:77]
.LBB15_65:
	v_add_co_u32 v143, vcc_lo, v140, v78
	v_add_co_ci_u32_e32 v144, vcc_lo, v141, v79, vcc_lo
	flat_load_b32 v143, v[143:144]
	s_waitcnt vmcnt(0) lgkmcnt(0)
	v_mul_f32_e32 v145, s15, v143
	v_add_co_u32 v143, vcc_lo, v137, v78
	v_add_co_ci_u32_e32 v144, vcc_lo, v138, v79, vcc_lo
	v_add_co_u32 v140, vcc_lo, v140, v76
	s_delay_alu instid0(VALU_DEP_4)
	v_min_f32_e32 v142, v145, v142
	v_add_co_ci_u32_e32 v141, vcc_lo, v141, v77, vcc_lo
	global_store_b32 v[143:144], v142, off
	flat_load_b32 v140, v[140:141]
	s_waitcnt vmcnt(0) lgkmcnt(0)
	v_mul_f32_e32 v140, s15, v140
.LBB15_66:
	v_dual_add_f32 v141, v33, v57 :: v_dual_add_f32 v142, v32, v56
	v_dual_add_f32 v61, v1, v61 :: v_dual_add_f32 v60, v0, v60
	v_add_co_u32 v137, vcc_lo, v137, v76
	s_delay_alu instid0(VALU_DEP_3) | instskip(SKIP_4) | instid1(VALU_DEP_4)
	v_min3_f32 v136, v142, v141, v136
	v_dual_add_f32 v142, v35, v59 :: v_dual_add_f32 v143, v34, v58
	v_dual_add_f32 v62, v2, v62 :: v_dual_add_nc_u32 v141, 32, v111
	v_min3_f32 v139, v60, v61, v139
	v_add_co_ci_u32_e32 v138, vcc_lo, v138, v77, vcc_lo
	v_min3_f32 v136, v143, v142, v136
	v_add_f32_e32 v63, v3, v63
	v_mad_i64_i32 v[60:61], null, v141, s4, 0
	s_delay_alu instid0(VALU_DEP_3) | instskip(NEXT) | instid1(VALU_DEP_3)
	v_max_f32_e32 v136, v136, v136
	v_min_f32_e32 v144, v62, v63
	v_mad_i64_i32 v[62:63], null, v141, s3, 0
	s_delay_alu instid0(VALU_DEP_4) | instskip(NEXT) | instid1(VALU_DEP_3)
	v_lshlrev_b64 v[60:61], 2, v[60:61]
	v_min3_f32 v139, v140, v144, v139
	s_delay_alu instid0(VALU_DEP_3) | instskip(NEXT) | instid1(VALU_DEP_3)
	v_lshlrev_b64 v[62:63], 2, v[62:63]
	v_add_co_u32 v60, vcc_lo, s0, v60
	s_delay_alu instid0(VALU_DEP_4)
	v_add_co_ci_u32_e32 v61, vcc_lo, s1, v61, vcc_lo
	global_store_b32 v[137:138], v139, off
	v_add_co_u32 v62, vcc_lo, s8, v62
	v_add_co_ci_u32_e32 v63, vcc_lo, s9, v63, vcc_lo
	s_mov_b32 vcc_lo, s2
	s_cbranch_vccz .LBB15_69
; %bb.67:
	v_add_co_u32 v137, vcc_lo, v60, v66
	v_min_f32_e32 v139, 0, v136
	v_add_co_ci_u32_e32 v138, vcc_lo, v61, v67, vcc_lo
	s_mov_b32 s5, 0
	global_store_b32 v[137:138], v139, off
	s_cbranch_execz .LBB15_70
; %bb.68:
	v_mov_b32_e32 v136, s5
	s_branch .LBB15_71
.LBB15_69:
	s_mov_b32 s5, -1
.LBB15_70:
	v_add_co_u32 v137, vcc_lo, v62, v66
	v_add_co_ci_u32_e32 v138, vcc_lo, v63, v67, vcc_lo
	flat_load_b32 v137, v[137:138]
	s_waitcnt vmcnt(0) lgkmcnt(0)
	v_mul_f32_e32 v139, s15, v137
	v_add_co_u32 v137, vcc_lo, v60, v66
	v_add_co_ci_u32_e32 v138, vcc_lo, v61, v67, vcc_lo
	s_delay_alu instid0(VALU_DEP_3)
	v_min_f32_e32 v136, v139, v136
	v_add_co_u32 v139, vcc_lo, v62, v64
	v_add_co_ci_u32_e32 v140, vcc_lo, v63, v65, vcc_lo
	global_store_b32 v[137:138], v136, off
	flat_load_b32 v136, v[139:140]
	s_waitcnt vmcnt(0) lgkmcnt(0)
	v_mul_f32_e32 v136, s15, v136
.LBB15_71:
	v_dual_add_f32 v137, v29, v57 :: v_dual_add_f32 v138, v28, v56
	v_dual_add_f32 v139, v25, v57 :: v_dual_add_f32 v140, v24, v56
	v_dual_add_f32 v141, v31, v59 :: v_dual_add_f32 v142, v30, v58
	s_delay_alu instid0(VALU_DEP_3) | instskip(SKIP_1) | instid1(VALU_DEP_4)
	v_min3_f32 v134, v138, v137, v134
	v_dual_add_f32 v137, v27, v59 :: v_dual_add_f32 v138, v26, v58
	v_min3_f32 v135, v140, v139, v135
	s_delay_alu instid0(VALU_DEP_4) | instskip(NEXT) | instid1(VALU_DEP_2)
	v_min_f32_e32 v139, v142, v141
	v_min3_f32 v137, v138, v137, v135
	v_add_co_u32 v135, vcc_lo, v60, v64
	s_delay_alu instid0(VALU_DEP_3) | instskip(SKIP_1) | instid1(VALU_DEP_4)
	v_min3_f32 v138, v136, v139, v134
	v_add_co_ci_u32_e32 v136, vcc_lo, v61, v65, vcc_lo
	v_max_f32_e32 v134, v137, v137
	s_mov_b32 vcc_lo, s2
	global_store_b32 v[135:136], v138, off
	s_cbranch_vccz .LBB15_74
; %bb.72:
	v_add_co_u32 v135, vcc_lo, v60, v70
	v_min_f32_e32 v137, 0, v134
	v_add_co_ci_u32_e32 v136, vcc_lo, v61, v71, vcc_lo
	s_mov_b32 s5, 0
	global_store_b32 v[135:136], v137, off
	s_cbranch_execz .LBB15_75
; %bb.73:
	v_mov_b32_e32 v134, s5
	s_branch .LBB15_76
.LBB15_74:
	s_mov_b32 s5, -1
.LBB15_75:
	v_add_co_u32 v135, vcc_lo, v62, v70
	v_add_co_ci_u32_e32 v136, vcc_lo, v63, v71, vcc_lo
	flat_load_b32 v135, v[135:136]
	s_waitcnt vmcnt(0) lgkmcnt(0)
	v_mul_f32_e32 v137, s15, v135
	v_add_co_u32 v135, vcc_lo, v60, v70
	v_add_co_ci_u32_e32 v136, vcc_lo, v61, v71, vcc_lo
	s_delay_alu instid0(VALU_DEP_3)
	v_min_f32_e32 v134, v137, v134
	v_add_co_u32 v137, vcc_lo, v62, v68
	v_add_co_ci_u32_e32 v138, vcc_lo, v63, v69, vcc_lo
	global_store_b32 v[135:136], v134, off
	flat_load_b32 v134, v[137:138]
	s_waitcnt vmcnt(0) lgkmcnt(0)
	v_mul_f32_e32 v134, s15, v134
.LBB15_76:
	v_dual_add_f32 v135, v21, v57 :: v_dual_add_f32 v136, v20, v56
	v_dual_add_f32 v137, v17, v57 :: v_dual_add_f32 v138, v16, v56
	v_dual_add_f32 v139, v23, v59 :: v_dual_add_f32 v140, v22, v58
	s_delay_alu instid0(VALU_DEP_3) | instskip(SKIP_1) | instid1(VALU_DEP_4)
	v_min3_f32 v132, v136, v135, v132
	v_dual_add_f32 v135, v19, v59 :: v_dual_add_f32 v136, v18, v58
	v_min3_f32 v133, v138, v137, v133
	s_delay_alu instid0(VALU_DEP_4) | instskip(NEXT) | instid1(VALU_DEP_2)
	v_min_f32_e32 v137, v140, v139
	v_min3_f32 v135, v136, v135, v133
	v_add_co_u32 v133, vcc_lo, v60, v68
	s_delay_alu instid0(VALU_DEP_3) | instskip(SKIP_1) | instid1(VALU_DEP_4)
	v_min3_f32 v136, v134, v137, v132
	v_add_co_ci_u32_e32 v134, vcc_lo, v61, v69, vcc_lo
	v_max_f32_e32 v132, v135, v135
	s_mov_b32 vcc_lo, s2
	global_store_b32 v[133:134], v136, off
	;; [unrolled: 47-line block ×3, first 2 shown]
	s_cbranch_vccz .LBB15_84
; %bb.82:
	v_add_co_u32 v131, vcc_lo, v60, v78
	v_min_f32_e32 v133, 0, v130
	v_add_co_ci_u32_e32 v132, vcc_lo, v61, v79, vcc_lo
	s_mov_b32 s5, 0
	global_store_b32 v[131:132], v133, off
	s_cbranch_execz .LBB15_85
; %bb.83:
	v_mov_b32_e32 v62, s5
	s_branch .LBB15_86
.LBB15_84:
	s_mov_b32 s5, -1
.LBB15_85:
	v_add_co_u32 v131, vcc_lo, v62, v78
	v_add_co_ci_u32_e32 v132, vcc_lo, v63, v79, vcc_lo
	flat_load_b32 v131, v[131:132]
	s_waitcnt vmcnt(0) lgkmcnt(0)
	v_mul_f32_e32 v133, s15, v131
	v_add_co_u32 v131, vcc_lo, v60, v78
	v_add_co_ci_u32_e32 v132, vcc_lo, v61, v79, vcc_lo
	v_add_co_u32 v62, vcc_lo, v62, v76
	s_delay_alu instid0(VALU_DEP_4)
	v_min_f32_e32 v130, v133, v130
	v_add_co_ci_u32_e32 v63, vcc_lo, v63, v77, vcc_lo
	global_store_b32 v[131:132], v130, off
	flat_load_b32 v62, v[62:63]
	s_waitcnt vmcnt(0) lgkmcnt(0)
	v_mul_f32_e32 v62, s15, v62
.LBB15_86:
	v_dual_add_f32 v63, v33, v53 :: v_dual_add_f32 v130, v32, v52
	v_dual_add_f32 v57, v1, v57 :: v_dual_add_f32 v56, v0, v56
	;; [unrolled: 1-line block ×3, first 2 shown]
	s_delay_alu instid0(VALU_DEP_3) | instskip(SKIP_1) | instid1(VALU_DEP_4)
	v_min3_f32 v63, v130, v63, v129
	v_add_nc_u32_e32 v129, 64, v111
	v_min3_f32 v128, v56, v57, v128
	v_dual_add_f32 v130, v35, v55 :: v_dual_add_f32 v131, v34, v54
	v_min_f32_e32 v132, v58, v59
	s_delay_alu instid0(VALU_DEP_4) | instskip(SKIP_1) | instid1(VALU_DEP_3)
	v_mad_i64_i32 v[56:57], null, v129, s4, 0
	v_mad_i64_i32 v[58:59], null, v129, s3, 0
	v_min3_f32 v128, v62, v132, v128
	v_add_co_u32 v62, vcc_lo, v60, v76
	v_min3_f32 v129, v131, v130, v63
	v_lshlrev_b64 v[56:57], 2, v[56:57]
	v_add_co_ci_u32_e32 v63, vcc_lo, v61, v77, vcc_lo
	v_lshlrev_b64 v[58:59], 2, v[58:59]
	s_delay_alu instid0(VALU_DEP_4) | instskip(NEXT) | instid1(VALU_DEP_4)
	v_max_f32_e32 v60, v129, v129
	v_add_co_u32 v56, vcc_lo, s0, v56
	v_add_co_ci_u32_e32 v57, vcc_lo, s1, v57, vcc_lo
	s_delay_alu instid0(VALU_DEP_4)
	v_add_co_u32 v58, vcc_lo, s8, v58
	v_add_co_ci_u32_e32 v59, vcc_lo, s9, v59, vcc_lo
	s_mov_b32 vcc_lo, s2
	global_store_b32 v[62:63], v128, off
	s_cbranch_vccz .LBB15_89
; %bb.87:
	v_add_co_u32 v61, vcc_lo, v56, v66
	v_min_f32_e32 v63, 0, v60
	v_add_co_ci_u32_e32 v62, vcc_lo, v57, v67, vcc_lo
	s_mov_b32 s5, 0
	global_store_b32 v[61:62], v63, off
	s_cbranch_execz .LBB15_90
; %bb.88:
	v_mov_b32_e32 v60, s5
	s_branch .LBB15_91
.LBB15_89:
	s_mov_b32 s5, -1
.LBB15_90:
	v_add_co_u32 v61, vcc_lo, v58, v66
	v_add_co_ci_u32_e32 v62, vcc_lo, v59, v67, vcc_lo
	flat_load_b32 v61, v[61:62]
	s_waitcnt vmcnt(0) lgkmcnt(0)
	v_mul_f32_e32 v63, s15, v61
	v_add_co_u32 v61, vcc_lo, v56, v66
	v_add_co_ci_u32_e32 v62, vcc_lo, v57, v67, vcc_lo
	v_add_co_u32 v128, vcc_lo, v58, v64
	s_delay_alu instid0(VALU_DEP_4)
	v_min_f32_e32 v60, v63, v60
	v_add_co_ci_u32_e32 v129, vcc_lo, v59, v65, vcc_lo
	global_store_b32 v[61:62], v60, off
	flat_load_b32 v60, v[128:129]
	s_waitcnt vmcnt(0) lgkmcnt(0)
	v_mul_f32_e32 v60, s15, v60
.LBB15_91:
	v_dual_add_f32 v61, v29, v53 :: v_dual_add_f32 v62, v28, v52
	v_dual_add_f32 v63, v25, v53 :: v_dual_add_f32 v128, v24, v52
	;; [unrolled: 1-line block ×3, first 2 shown]
	s_delay_alu instid0(VALU_DEP_3) | instskip(NEXT) | instid1(VALU_DEP_3)
	v_min3_f32 v61, v62, v61, v127
	v_min3_f32 v62, v128, v63, v126
	v_dual_add_f32 v63, v27, v55 :: v_dual_add_f32 v126, v26, v54
	s_delay_alu instid0(VALU_DEP_1) | instskip(SKIP_1) | instid1(VALU_DEP_1)
	v_min3_f32 v63, v126, v63, v62
	v_min_f32_e32 v127, v130, v129
	v_min3_f32 v126, v60, v127, v61
	s_delay_alu instid0(VALU_DEP_3)
	v_max_f32_e32 v60, v63, v63
	v_add_co_u32 v61, vcc_lo, v56, v64
	v_add_co_ci_u32_e32 v62, vcc_lo, v57, v65, vcc_lo
	s_mov_b32 vcc_lo, s2
	global_store_b32 v[61:62], v126, off
	s_cbranch_vccz .LBB15_94
; %bb.92:
	v_add_co_u32 v61, vcc_lo, v56, v70
	v_min_f32_e32 v63, 0, v60
	v_add_co_ci_u32_e32 v62, vcc_lo, v57, v71, vcc_lo
	s_mov_b32 s5, 0
	global_store_b32 v[61:62], v63, off
	s_cbranch_execz .LBB15_95
; %bb.93:
	v_mov_b32_e32 v60, s5
	s_branch .LBB15_96
.LBB15_94:
	s_mov_b32 s5, -1
.LBB15_95:
	v_add_co_u32 v61, vcc_lo, v58, v70
	v_add_co_ci_u32_e32 v62, vcc_lo, v59, v71, vcc_lo
	flat_load_b32 v61, v[61:62]
	s_waitcnt vmcnt(0) lgkmcnt(0)
	v_mul_f32_e32 v63, s15, v61
	v_add_co_u32 v61, vcc_lo, v56, v70
	v_add_co_ci_u32_e32 v62, vcc_lo, v57, v71, vcc_lo
	v_add_co_u32 v126, vcc_lo, v58, v68
	s_delay_alu instid0(VALU_DEP_4)
	v_min_f32_e32 v60, v63, v60
	v_add_co_ci_u32_e32 v127, vcc_lo, v59, v69, vcc_lo
	global_store_b32 v[61:62], v60, off
	flat_load_b32 v60, v[126:127]
	s_waitcnt vmcnt(0) lgkmcnt(0)
	v_mul_f32_e32 v60, s15, v60
.LBB15_96:
	v_dual_add_f32 v61, v21, v53 :: v_dual_add_f32 v62, v20, v52
	v_dual_add_f32 v63, v17, v53 :: v_dual_add_f32 v126, v16, v52
	;; [unrolled: 1-line block ×3, first 2 shown]
	s_delay_alu instid0(VALU_DEP_3) | instskip(SKIP_1) | instid1(VALU_DEP_4)
	v_min3_f32 v61, v62, v61, v124
	v_add_f32_e32 v124, v18, v54
	v_min3_f32 v62, v126, v63, v125
	v_add_f32_e32 v63, v19, v55
	v_min_f32_e32 v125, v128, v127
	s_delay_alu instid0(VALU_DEP_2) | instskip(NEXT) | instid1(VALU_DEP_2)
	v_min3_f32 v63, v124, v63, v62
	v_min3_f32 v124, v60, v125, v61
	v_add_co_u32 v61, vcc_lo, v56, v68
	v_add_co_ci_u32_e32 v62, vcc_lo, v57, v69, vcc_lo
	s_delay_alu instid0(VALU_DEP_4)
	v_max_f32_e32 v60, v63, v63
	s_mov_b32 vcc_lo, s2
	global_store_b32 v[61:62], v124, off
	s_cbranch_vccz .LBB15_99
; %bb.97:
	v_add_co_u32 v61, vcc_lo, v56, v74
	v_min_f32_e32 v63, 0, v60
	v_add_co_ci_u32_e32 v62, vcc_lo, v57, v75, vcc_lo
	s_mov_b32 s5, 0
	global_store_b32 v[61:62], v63, off
	s_cbranch_execz .LBB15_100
; %bb.98:
	v_mov_b32_e32 v60, s5
	s_branch .LBB15_101
.LBB15_99:
	s_mov_b32 s5, -1
.LBB15_100:
	v_add_co_u32 v61, vcc_lo, v58, v74
	v_add_co_ci_u32_e32 v62, vcc_lo, v59, v75, vcc_lo
	flat_load_b32 v61, v[61:62]
	s_waitcnt vmcnt(0) lgkmcnt(0)
	v_mul_f32_e32 v63, s15, v61
	v_add_co_u32 v61, vcc_lo, v56, v74
	v_add_co_ci_u32_e32 v62, vcc_lo, v57, v75, vcc_lo
	v_add_co_u32 v124, vcc_lo, v58, v72
	s_delay_alu instid0(VALU_DEP_4)
	v_min_f32_e32 v60, v63, v60
	v_add_co_ci_u32_e32 v125, vcc_lo, v59, v73, vcc_lo
	global_store_b32 v[61:62], v60, off
	flat_load_b32 v60, v[124:125]
	s_waitcnt vmcnt(0) lgkmcnt(0)
	v_mul_f32_e32 v60, s15, v60
.LBB15_101:
	v_dual_add_f32 v61, v13, v53 :: v_dual_add_f32 v62, v12, v52
	v_dual_add_f32 v63, v9, v53 :: v_dual_add_f32 v124, v8, v52
	;; [unrolled: 1-line block ×3, first 2 shown]
	s_delay_alu instid0(VALU_DEP_3) | instskip(SKIP_1) | instid1(VALU_DEP_4)
	v_min3_f32 v61, v62, v61, v122
	v_add_f32_e32 v122, v10, v54
	v_min3_f32 v62, v124, v63, v123
	v_add_f32_e32 v63, v11, v55
	s_delay_alu instid0(VALU_DEP_1) | instskip(SKIP_1) | instid1(VALU_DEP_1)
	v_min3_f32 v63, v122, v63, v62
	v_min_f32_e32 v123, v126, v125
	v_min3_f32 v122, v60, v123, v61
	s_delay_alu instid0(VALU_DEP_3)
	v_max_f32_e32 v60, v63, v63
	v_add_co_u32 v61, vcc_lo, v56, v72
	v_add_co_ci_u32_e32 v62, vcc_lo, v57, v73, vcc_lo
	s_mov_b32 vcc_lo, s2
	global_store_b32 v[61:62], v122, off
	s_cbranch_vccz .LBB15_104
; %bb.102:
	v_add_co_u32 v61, vcc_lo, v56, v78
	v_min_f32_e32 v63, 0, v60
	v_add_co_ci_u32_e32 v62, vcc_lo, v57, v79, vcc_lo
	s_mov_b32 s5, 0
	global_store_b32 v[61:62], v63, off
	s_cbranch_execz .LBB15_105
; %bb.103:
	v_mov_b32_e32 v58, s5
	s_branch .LBB15_106
.LBB15_104:
	s_mov_b32 s5, -1
.LBB15_105:
	v_add_co_u32 v61, vcc_lo, v58, v78
	v_add_co_ci_u32_e32 v62, vcc_lo, v59, v79, vcc_lo
	flat_load_b32 v61, v[61:62]
	s_waitcnt vmcnt(0) lgkmcnt(0)
	v_mul_f32_e32 v63, s15, v61
	v_add_co_u32 v61, vcc_lo, v56, v78
	v_add_co_ci_u32_e32 v62, vcc_lo, v57, v79, vcc_lo
	v_add_co_u32 v58, vcc_lo, v58, v76
	s_delay_alu instid0(VALU_DEP_4)
	v_min_f32_e32 v60, v63, v60
	v_add_co_ci_u32_e32 v59, vcc_lo, v59, v77, vcc_lo
	global_store_b32 v[61:62], v60, off
	flat_load_b32 v58, v[58:59]
	s_waitcnt vmcnt(0) lgkmcnt(0)
	v_mul_f32_e32 v58, s15, v58
.LBB15_106:
	v_dual_add_f32 v59, v33, v49 :: v_dual_add_f32 v60, v32, v48
	v_dual_add_f32 v53, v1, v53 :: v_dual_add_f32 v52, v0, v52
	;; [unrolled: 1-line block ×3, first 2 shown]
	s_delay_alu instid0(VALU_DEP_3) | instskip(SKIP_1) | instid1(VALU_DEP_4)
	v_min3_f32 v59, v60, v59, v121
	v_dual_add_f32 v63, v34, v50 :: v_dual_add_nc_u32 v60, 0x60, v111
	v_min3_f32 v61, v52, v53, v120
	s_delay_alu instid0(VALU_DEP_4) | instskip(SKIP_1) | instid1(VALU_DEP_4)
	v_min_f32_e32 v120, v54, v55
	v_add_f32_e32 v62, v35, v51
	v_mad_i64_i32 v[52:53], null, v60, s4, 0
	v_mad_i64_i32 v[54:55], null, v60, s3, 0
	s_delay_alu instid0(VALU_DEP_4)
	v_min3_f32 v61, v58, v120, v61
	v_add_co_u32 v58, vcc_lo, v56, v76
	v_min3_f32 v60, v63, v62, v59
	v_lshlrev_b64 v[52:53], 2, v[52:53]
	v_add_co_ci_u32_e32 v59, vcc_lo, v57, v77, vcc_lo
	v_lshlrev_b64 v[54:55], 2, v[54:55]
	s_delay_alu instid0(VALU_DEP_4) | instskip(NEXT) | instid1(VALU_DEP_4)
	v_max_f32_e32 v56, v60, v60
	v_add_co_u32 v52, vcc_lo, s0, v52
	v_add_co_ci_u32_e32 v53, vcc_lo, s1, v53, vcc_lo
	s_delay_alu instid0(VALU_DEP_4)
	v_add_co_u32 v54, vcc_lo, s8, v54
	v_add_co_ci_u32_e32 v55, vcc_lo, s9, v55, vcc_lo
	s_mov_b32 vcc_lo, s2
	global_store_b32 v[58:59], v61, off
	s_cbranch_vccz .LBB15_109
; %bb.107:
	v_add_co_u32 v57, vcc_lo, v52, v66
	v_min_f32_e32 v59, 0, v56
	v_add_co_ci_u32_e32 v58, vcc_lo, v53, v67, vcc_lo
	s_mov_b32 s5, 0
	global_store_b32 v[57:58], v59, off
	s_cbranch_execz .LBB15_110
; %bb.108:
	v_mov_b32_e32 v56, s5
	s_branch .LBB15_111
.LBB15_109:
	s_mov_b32 s5, -1
.LBB15_110:
	v_add_co_u32 v57, vcc_lo, v54, v66
	v_add_co_ci_u32_e32 v58, vcc_lo, v55, v67, vcc_lo
	flat_load_b32 v57, v[57:58]
	s_waitcnt vmcnt(0) lgkmcnt(0)
	v_mul_f32_e32 v59, s15, v57
	v_add_co_u32 v57, vcc_lo, v52, v66
	v_add_co_ci_u32_e32 v58, vcc_lo, v53, v67, vcc_lo
	s_delay_alu instid0(VALU_DEP_3)
	v_min_f32_e32 v56, v59, v56
	v_add_co_u32 v59, vcc_lo, v54, v64
	v_add_co_ci_u32_e32 v60, vcc_lo, v55, v65, vcc_lo
	global_store_b32 v[57:58], v56, off
	flat_load_b32 v56, v[59:60]
	s_waitcnt vmcnt(0) lgkmcnt(0)
	v_mul_f32_e32 v56, s15, v56
.LBB15_111:
	v_dual_add_f32 v57, v29, v49 :: v_dual_add_f32 v58, v28, v48
	v_dual_add_f32 v59, v25, v49 :: v_dual_add_f32 v60, v24, v48
	v_dual_add_f32 v61, v31, v51 :: v_dual_add_f32 v62, v30, v50
	s_delay_alu instid0(VALU_DEP_3) | instskip(NEXT) | instid1(VALU_DEP_3)
	v_min3_f32 v57, v58, v57, v118
	v_min3_f32 v58, v60, v59, v119
	v_dual_add_f32 v59, v27, v51 :: v_dual_add_f32 v60, v26, v50
	s_delay_alu instid0(VALU_DEP_1) | instskip(SKIP_1) | instid1(VALU_DEP_1)
	v_min3_f32 v59, v60, v59, v58
	v_min_f32_e32 v61, v62, v61
	v_min3_f32 v60, v56, v61, v57
	s_delay_alu instid0(VALU_DEP_3)
	v_max_f32_e32 v56, v59, v59
	v_add_co_u32 v57, vcc_lo, v52, v64
	v_add_co_ci_u32_e32 v58, vcc_lo, v53, v65, vcc_lo
	s_mov_b32 vcc_lo, s2
	global_store_b32 v[57:58], v60, off
	s_cbranch_vccz .LBB15_114
; %bb.112:
	v_add_co_u32 v57, vcc_lo, v52, v70
	v_min_f32_e32 v59, 0, v56
	v_add_co_ci_u32_e32 v58, vcc_lo, v53, v71, vcc_lo
	s_mov_b32 s5, 0
	global_store_b32 v[57:58], v59, off
	s_cbranch_execz .LBB15_115
; %bb.113:
	v_mov_b32_e32 v56, s5
	s_branch .LBB15_116
.LBB15_114:
	s_mov_b32 s5, -1
.LBB15_115:
	v_add_co_u32 v57, vcc_lo, v54, v70
	v_add_co_ci_u32_e32 v58, vcc_lo, v55, v71, vcc_lo
	flat_load_b32 v57, v[57:58]
	s_waitcnt vmcnt(0) lgkmcnt(0)
	v_mul_f32_e32 v59, s15, v57
	v_add_co_u32 v57, vcc_lo, v52, v70
	v_add_co_ci_u32_e32 v58, vcc_lo, v53, v71, vcc_lo
	s_delay_alu instid0(VALU_DEP_3)
	v_min_f32_e32 v56, v59, v56
	v_add_co_u32 v59, vcc_lo, v54, v68
	v_add_co_ci_u32_e32 v60, vcc_lo, v55, v69, vcc_lo
	global_store_b32 v[57:58], v56, off
	flat_load_b32 v56, v[59:60]
	s_waitcnt vmcnt(0) lgkmcnt(0)
	v_mul_f32_e32 v56, s15, v56
.LBB15_116:
	v_dual_add_f32 v57, v21, v49 :: v_dual_add_f32 v58, v20, v48
	v_dual_add_f32 v59, v17, v49 :: v_dual_add_f32 v60, v16, v48
	v_dual_add_f32 v61, v23, v51 :: v_dual_add_f32 v62, v22, v50
	s_delay_alu instid0(VALU_DEP_3) | instskip(NEXT) | instid1(VALU_DEP_3)
	v_min3_f32 v57, v58, v57, v117
	v_min3_f32 v58, v60, v59, v116
	v_dual_add_f32 v59, v19, v51 :: v_dual_add_f32 v60, v18, v50
	s_delay_alu instid0(VALU_DEP_1) | instskip(SKIP_1) | instid1(VALU_DEP_1)
	v_min3_f32 v59, v60, v59, v58
	v_min_f32_e32 v61, v62, v61
	v_min3_f32 v60, v56, v61, v57
	s_delay_alu instid0(VALU_DEP_3)
	v_max_f32_e32 v56, v59, v59
	;; [unrolled: 47-line block ×3, first 2 shown]
	v_add_co_u32 v57, vcc_lo, v52, v72
	v_add_co_ci_u32_e32 v58, vcc_lo, v53, v73, vcc_lo
	s_mov_b32 vcc_lo, s2
	global_store_b32 v[57:58], v60, off
	s_cbranch_vccz .LBB15_124
; %bb.122:
	v_add_co_u32 v57, vcc_lo, v52, v78
	v_min_f32_e32 v59, 0, v56
	v_add_co_ci_u32_e32 v58, vcc_lo, v53, v79, vcc_lo
	s_mov_b32 s5, 0
	global_store_b32 v[57:58], v59, off
	s_cbranch_execz .LBB15_125
; %bb.123:
	v_mov_b32_e32 v54, s5
	s_branch .LBB15_126
.LBB15_124:
	s_mov_b32 s5, -1
.LBB15_125:
	v_add_co_u32 v57, vcc_lo, v54, v78
	v_add_co_ci_u32_e32 v58, vcc_lo, v55, v79, vcc_lo
	flat_load_b32 v57, v[57:58]
	s_waitcnt vmcnt(0) lgkmcnt(0)
	v_mul_f32_e32 v59, s15, v57
	v_add_co_u32 v57, vcc_lo, v52, v78
	v_add_co_ci_u32_e32 v58, vcc_lo, v53, v79, vcc_lo
	v_add_co_u32 v54, vcc_lo, v54, v76
	s_delay_alu instid0(VALU_DEP_4)
	v_min_f32_e32 v56, v59, v56
	v_add_co_ci_u32_e32 v55, vcc_lo, v55, v77, vcc_lo
	global_store_b32 v[57:58], v56, off
	flat_load_b32 v54, v[54:55]
	s_waitcnt vmcnt(0) lgkmcnt(0)
	v_mul_f32_e32 v54, s15, v54
.LBB15_126:
	v_dual_add_f32 v55, v33, v45 :: v_dual_add_f32 v56, v32, v44
	v_dual_add_f32 v49, v1, v49 :: v_dual_add_f32 v48, v0, v48
	;; [unrolled: 1-line block ×3, first 2 shown]
	s_delay_alu instid0(VALU_DEP_3) | instskip(SKIP_1) | instid1(VALU_DEP_4)
	v_min3_f32 v55, v56, v55, v113
	v_dual_add_f32 v59, v34, v46 :: v_dual_add_nc_u32 v56, 0x80, v111
	v_min3_f32 v57, v48, v49, v112
	s_delay_alu instid0(VALU_DEP_4) | instskip(SKIP_1) | instid1(VALU_DEP_4)
	v_min_f32_e32 v60, v50, v51
	v_add_f32_e32 v58, v35, v47
	v_mad_i64_i32 v[48:49], null, v56, s4, 0
	v_mad_i64_i32 v[50:51], null, v56, s3, 0
	s_delay_alu instid0(VALU_DEP_4)
	v_min3_f32 v57, v54, v60, v57
	v_add_co_u32 v54, vcc_lo, v52, v76
	v_min3_f32 v56, v59, v58, v55
	v_lshlrev_b64 v[48:49], 2, v[48:49]
	v_add_co_ci_u32_e32 v55, vcc_lo, v53, v77, vcc_lo
	v_lshlrev_b64 v[50:51], 2, v[50:51]
	s_delay_alu instid0(VALU_DEP_4) | instskip(NEXT) | instid1(VALU_DEP_4)
	v_max_f32_e32 v52, v56, v56
	v_add_co_u32 v48, vcc_lo, s0, v48
	v_add_co_ci_u32_e32 v49, vcc_lo, s1, v49, vcc_lo
	s_delay_alu instid0(VALU_DEP_4)
	v_add_co_u32 v50, vcc_lo, s8, v50
	v_add_co_ci_u32_e32 v51, vcc_lo, s9, v51, vcc_lo
	s_mov_b32 vcc_lo, s2
	global_store_b32 v[54:55], v57, off
	s_cbranch_vccz .LBB15_129
; %bb.127:
	v_add_co_u32 v53, vcc_lo, v48, v66
	v_min_f32_e32 v55, 0, v52
	v_add_co_ci_u32_e32 v54, vcc_lo, v49, v67, vcc_lo
	s_mov_b32 s5, 0
	global_store_b32 v[53:54], v55, off
	s_cbranch_execz .LBB15_130
; %bb.128:
	v_mov_b32_e32 v52, s5
	s_branch .LBB15_131
.LBB15_129:
	s_mov_b32 s5, -1
.LBB15_130:
	v_add_co_u32 v53, vcc_lo, v50, v66
	v_add_co_ci_u32_e32 v54, vcc_lo, v51, v67, vcc_lo
	flat_load_b32 v53, v[53:54]
	s_waitcnt vmcnt(0) lgkmcnt(0)
	v_mul_f32_e32 v55, s15, v53
	v_add_co_u32 v53, vcc_lo, v48, v66
	v_add_co_ci_u32_e32 v54, vcc_lo, v49, v67, vcc_lo
	s_delay_alu instid0(VALU_DEP_3)
	v_min_f32_e32 v52, v55, v52
	v_add_co_u32 v55, vcc_lo, v50, v64
	v_add_co_ci_u32_e32 v56, vcc_lo, v51, v65, vcc_lo
	global_store_b32 v[53:54], v52, off
	flat_load_b32 v52, v[55:56]
	s_waitcnt vmcnt(0) lgkmcnt(0)
	v_mul_f32_e32 v52, s15, v52
.LBB15_131:
	v_dual_add_f32 v53, v29, v45 :: v_dual_add_f32 v54, v28, v44
	v_dual_add_f32 v55, v25, v45 :: v_dual_add_f32 v56, v24, v44
	v_dual_add_f32 v57, v31, v47 :: v_dual_add_f32 v58, v30, v46
	s_delay_alu instid0(VALU_DEP_3) | instskip(NEXT) | instid1(VALU_DEP_3)
	v_min3_f32 v53, v54, v53, v109
	v_min3_f32 v54, v56, v55, v110
	v_dual_add_f32 v55, v27, v47 :: v_dual_add_f32 v56, v26, v46
	s_delay_alu instid0(VALU_DEP_1) | instskip(SKIP_1) | instid1(VALU_DEP_1)
	v_min3_f32 v55, v56, v55, v54
	v_min_f32_e32 v57, v58, v57
	v_min3_f32 v56, v52, v57, v53
	s_delay_alu instid0(VALU_DEP_3)
	v_max_f32_e32 v52, v55, v55
	v_add_co_u32 v53, vcc_lo, v48, v64
	v_add_co_ci_u32_e32 v54, vcc_lo, v49, v65, vcc_lo
	s_mov_b32 vcc_lo, s2
	global_store_b32 v[53:54], v56, off
	s_cbranch_vccz .LBB15_134
; %bb.132:
	v_add_co_u32 v53, vcc_lo, v48, v70
	v_min_f32_e32 v55, 0, v52
	v_add_co_ci_u32_e32 v54, vcc_lo, v49, v71, vcc_lo
	s_mov_b32 s5, 0
	global_store_b32 v[53:54], v55, off
	s_cbranch_execz .LBB15_135
; %bb.133:
	v_mov_b32_e32 v52, s5
	s_branch .LBB15_136
.LBB15_134:
	s_mov_b32 s5, -1
.LBB15_135:
	v_add_co_u32 v53, vcc_lo, v50, v70
	v_add_co_ci_u32_e32 v54, vcc_lo, v51, v71, vcc_lo
	flat_load_b32 v53, v[53:54]
	s_waitcnt vmcnt(0) lgkmcnt(0)
	v_mul_f32_e32 v55, s15, v53
	v_add_co_u32 v53, vcc_lo, v48, v70
	v_add_co_ci_u32_e32 v54, vcc_lo, v49, v71, vcc_lo
	s_delay_alu instid0(VALU_DEP_3)
	v_min_f32_e32 v52, v55, v52
	v_add_co_u32 v55, vcc_lo, v50, v68
	v_add_co_ci_u32_e32 v56, vcc_lo, v51, v69, vcc_lo
	global_store_b32 v[53:54], v52, off
	flat_load_b32 v52, v[55:56]
	s_waitcnt vmcnt(0) lgkmcnt(0)
	v_mul_f32_e32 v52, s15, v52
.LBB15_136:
	v_dual_add_f32 v53, v21, v45 :: v_dual_add_f32 v54, v20, v44
	v_dual_add_f32 v55, v17, v45 :: v_dual_add_f32 v56, v16, v44
	v_dual_add_f32 v57, v23, v47 :: v_dual_add_f32 v58, v22, v46
	s_delay_alu instid0(VALU_DEP_3) | instskip(NEXT) | instid1(VALU_DEP_3)
	v_min3_f32 v53, v54, v53, v107
	v_min3_f32 v54, v56, v55, v108
	v_dual_add_f32 v55, v19, v47 :: v_dual_add_f32 v56, v18, v46
	s_delay_alu instid0(VALU_DEP_1) | instskip(SKIP_1) | instid1(VALU_DEP_1)
	v_min3_f32 v55, v56, v55, v54
	v_min_f32_e32 v57, v58, v57
	v_min3_f32 v56, v52, v57, v53
	s_delay_alu instid0(VALU_DEP_3)
	v_max_f32_e32 v52, v55, v55
	;; [unrolled: 47-line block ×3, first 2 shown]
	v_add_co_u32 v53, vcc_lo, v48, v72
	v_add_co_ci_u32_e32 v54, vcc_lo, v49, v73, vcc_lo
	s_mov_b32 vcc_lo, s2
	global_store_b32 v[53:54], v56, off
	s_cbranch_vccz .LBB15_144
; %bb.142:
	v_add_co_u32 v53, vcc_lo, v48, v78
	v_min_f32_e32 v55, 0, v52
	v_add_co_ci_u32_e32 v54, vcc_lo, v49, v79, vcc_lo
	s_mov_b32 s5, 0
	global_store_b32 v[53:54], v55, off
	s_cbranch_execz .LBB15_145
; %bb.143:
	v_mov_b32_e32 v50, s5
	s_branch .LBB15_146
.LBB15_144:
	s_mov_b32 s5, -1
.LBB15_145:
	v_add_co_u32 v53, vcc_lo, v50, v78
	v_add_co_ci_u32_e32 v54, vcc_lo, v51, v79, vcc_lo
	flat_load_b32 v53, v[53:54]
	s_waitcnt vmcnt(0) lgkmcnt(0)
	v_mul_f32_e32 v55, s15, v53
	v_add_co_u32 v53, vcc_lo, v48, v78
	v_add_co_ci_u32_e32 v54, vcc_lo, v49, v79, vcc_lo
	v_add_co_u32 v50, vcc_lo, v50, v76
	s_delay_alu instid0(VALU_DEP_4)
	v_min_f32_e32 v52, v55, v52
	v_add_co_ci_u32_e32 v51, vcc_lo, v51, v77, vcc_lo
	global_store_b32 v[53:54], v52, off
	flat_load_b32 v50, v[50:51]
	s_waitcnt vmcnt(0) lgkmcnt(0)
	v_mul_f32_e32 v50, s15, v50
.LBB15_146:
	v_dual_add_f32 v51, v33, v41 :: v_dual_add_f32 v52, v32, v40
	v_dual_add_f32 v45, v1, v45 :: v_dual_add_f32 v44, v0, v44
	;; [unrolled: 1-line block ×3, first 2 shown]
	s_delay_alu instid0(VALU_DEP_3) | instskip(SKIP_1) | instid1(VALU_DEP_4)
	v_min3_f32 v51, v52, v51, v104
	v_dual_add_f32 v55, v34, v42 :: v_dual_add_nc_u32 v52, 0xa0, v111
	v_min3_f32 v53, v44, v45, v103
	s_delay_alu instid0(VALU_DEP_4) | instskip(SKIP_1) | instid1(VALU_DEP_4)
	v_min_f32_e32 v56, v46, v47
	v_add_f32_e32 v54, v35, v43
	v_mad_i64_i32 v[44:45], null, v52, s4, 0
	v_mad_i64_i32 v[46:47], null, v52, s3, 0
	s_delay_alu instid0(VALU_DEP_4)
	v_min3_f32 v53, v50, v56, v53
	v_add_co_u32 v50, vcc_lo, v48, v76
	v_min3_f32 v52, v55, v54, v51
	v_lshlrev_b64 v[44:45], 2, v[44:45]
	v_add_co_ci_u32_e32 v51, vcc_lo, v49, v77, vcc_lo
	v_lshlrev_b64 v[46:47], 2, v[46:47]
	s_delay_alu instid0(VALU_DEP_4) | instskip(NEXT) | instid1(VALU_DEP_4)
	v_max_f32_e32 v48, v52, v52
	v_add_co_u32 v44, vcc_lo, s0, v44
	v_add_co_ci_u32_e32 v45, vcc_lo, s1, v45, vcc_lo
	s_delay_alu instid0(VALU_DEP_4)
	v_add_co_u32 v46, vcc_lo, s8, v46
	v_add_co_ci_u32_e32 v47, vcc_lo, s9, v47, vcc_lo
	s_mov_b32 vcc_lo, s2
	global_store_b32 v[50:51], v53, off
	s_cbranch_vccz .LBB15_149
; %bb.147:
	v_add_co_u32 v49, vcc_lo, v44, v66
	v_min_f32_e32 v51, 0, v48
	v_add_co_ci_u32_e32 v50, vcc_lo, v45, v67, vcc_lo
	s_mov_b32 s5, 0
	global_store_b32 v[49:50], v51, off
	s_cbranch_execz .LBB15_150
; %bb.148:
	v_mov_b32_e32 v48, s5
	s_branch .LBB15_151
.LBB15_149:
	s_mov_b32 s5, -1
.LBB15_150:
	v_add_co_u32 v49, vcc_lo, v46, v66
	v_add_co_ci_u32_e32 v50, vcc_lo, v47, v67, vcc_lo
	flat_load_b32 v49, v[49:50]
	s_waitcnt vmcnt(0) lgkmcnt(0)
	v_mul_f32_e32 v51, s15, v49
	v_add_co_u32 v49, vcc_lo, v44, v66
	v_add_co_ci_u32_e32 v50, vcc_lo, v45, v67, vcc_lo
	s_delay_alu instid0(VALU_DEP_3)
	v_min_f32_e32 v48, v51, v48
	v_add_co_u32 v51, vcc_lo, v46, v64
	v_add_co_ci_u32_e32 v52, vcc_lo, v47, v65, vcc_lo
	global_store_b32 v[49:50], v48, off
	flat_load_b32 v48, v[51:52]
	s_waitcnt vmcnt(0) lgkmcnt(0)
	v_mul_f32_e32 v48, s15, v48
.LBB15_151:
	v_dual_add_f32 v49, v29, v41 :: v_dual_add_f32 v50, v28, v40
	v_dual_add_f32 v51, v25, v41 :: v_dual_add_f32 v52, v24, v40
	v_dual_add_f32 v53, v31, v43 :: v_dual_add_f32 v54, v30, v42
	s_delay_alu instid0(VALU_DEP_3) | instskip(NEXT) | instid1(VALU_DEP_3)
	v_min3_f32 v49, v50, v49, v101
	v_min3_f32 v50, v52, v51, v102
	v_dual_add_f32 v51, v27, v43 :: v_dual_add_f32 v52, v26, v42
	s_delay_alu instid0(VALU_DEP_1) | instskip(SKIP_1) | instid1(VALU_DEP_1)
	v_min3_f32 v51, v52, v51, v50
	v_min_f32_e32 v53, v54, v53
	v_min3_f32 v52, v48, v53, v49
	s_delay_alu instid0(VALU_DEP_3)
	v_max_f32_e32 v48, v51, v51
	v_add_co_u32 v49, vcc_lo, v44, v64
	v_add_co_ci_u32_e32 v50, vcc_lo, v45, v65, vcc_lo
	s_mov_b32 vcc_lo, s2
	global_store_b32 v[49:50], v52, off
	s_cbranch_vccz .LBB15_154
; %bb.152:
	v_add_co_u32 v49, vcc_lo, v44, v70
	v_min_f32_e32 v51, 0, v48
	v_add_co_ci_u32_e32 v50, vcc_lo, v45, v71, vcc_lo
	s_mov_b32 s5, 0
	global_store_b32 v[49:50], v51, off
	s_cbranch_execz .LBB15_155
; %bb.153:
	v_mov_b32_e32 v48, s5
	s_branch .LBB15_156
.LBB15_154:
	s_mov_b32 s5, -1
.LBB15_155:
	v_add_co_u32 v49, vcc_lo, v46, v70
	v_add_co_ci_u32_e32 v50, vcc_lo, v47, v71, vcc_lo
	flat_load_b32 v49, v[49:50]
	s_waitcnt vmcnt(0) lgkmcnt(0)
	v_mul_f32_e32 v51, s15, v49
	v_add_co_u32 v49, vcc_lo, v44, v70
	v_add_co_ci_u32_e32 v50, vcc_lo, v45, v71, vcc_lo
	s_delay_alu instid0(VALU_DEP_3)
	v_min_f32_e32 v48, v51, v48
	v_add_co_u32 v51, vcc_lo, v46, v68
	v_add_co_ci_u32_e32 v52, vcc_lo, v47, v69, vcc_lo
	global_store_b32 v[49:50], v48, off
	flat_load_b32 v48, v[51:52]
	s_waitcnt vmcnt(0) lgkmcnt(0)
	v_mul_f32_e32 v48, s15, v48
.LBB15_156:
	v_dual_add_f32 v49, v21, v41 :: v_dual_add_f32 v50, v20, v40
	v_dual_add_f32 v51, v17, v41 :: v_dual_add_f32 v52, v16, v40
	v_dual_add_f32 v53, v23, v43 :: v_dual_add_f32 v54, v22, v42
	s_delay_alu instid0(VALU_DEP_3) | instskip(NEXT) | instid1(VALU_DEP_3)
	v_min3_f32 v49, v50, v49, v99
	v_min3_f32 v50, v52, v51, v100
	v_dual_add_f32 v51, v19, v43 :: v_dual_add_f32 v52, v18, v42
	s_delay_alu instid0(VALU_DEP_1) | instskip(SKIP_1) | instid1(VALU_DEP_1)
	v_min3_f32 v51, v52, v51, v50
	v_min_f32_e32 v53, v54, v53
	v_min3_f32 v52, v48, v53, v49
	s_delay_alu instid0(VALU_DEP_3)
	v_max_f32_e32 v48, v51, v51
	;; [unrolled: 47-line block ×3, first 2 shown]
	v_add_co_u32 v49, vcc_lo, v44, v72
	v_add_co_ci_u32_e32 v50, vcc_lo, v45, v73, vcc_lo
	s_mov_b32 vcc_lo, s2
	global_store_b32 v[49:50], v52, off
	s_cbranch_vccz .LBB15_164
; %bb.162:
	v_add_co_u32 v49, vcc_lo, v44, v78
	v_min_f32_e32 v51, 0, v48
	v_add_co_ci_u32_e32 v50, vcc_lo, v45, v79, vcc_lo
	s_mov_b32 s5, 0
	global_store_b32 v[49:50], v51, off
	s_cbranch_execz .LBB15_165
; %bb.163:
	v_mov_b32_e32 v46, s5
	s_branch .LBB15_166
.LBB15_164:
	s_mov_b32 s5, -1
.LBB15_165:
	v_add_co_u32 v49, vcc_lo, v46, v78
	v_add_co_ci_u32_e32 v50, vcc_lo, v47, v79, vcc_lo
	flat_load_b32 v49, v[49:50]
	s_waitcnt vmcnt(0) lgkmcnt(0)
	v_mul_f32_e32 v51, s15, v49
	v_add_co_u32 v49, vcc_lo, v44, v78
	v_add_co_ci_u32_e32 v50, vcc_lo, v45, v79, vcc_lo
	v_add_co_u32 v46, vcc_lo, v46, v76
	s_delay_alu instid0(VALU_DEP_4)
	v_min_f32_e32 v48, v51, v48
	v_add_co_ci_u32_e32 v47, vcc_lo, v47, v77, vcc_lo
	global_store_b32 v[49:50], v48, off
	flat_load_b32 v46, v[46:47]
	s_waitcnt vmcnt(0) lgkmcnt(0)
	v_mul_f32_e32 v46, s15, v46
.LBB15_166:
	v_dual_add_f32 v47, v33, v37 :: v_dual_add_f32 v48, v32, v36
	v_dual_add_f32 v41, v1, v41 :: v_dual_add_f32 v40, v0, v40
	;; [unrolled: 1-line block ×3, first 2 shown]
	s_delay_alu instid0(VALU_DEP_3) | instskip(SKIP_1) | instid1(VALU_DEP_4)
	v_min3_f32 v47, v48, v47, v95
	v_dual_add_f32 v51, v34, v38 :: v_dual_add_nc_u32 v48, 0xc0, v111
	v_min3_f32 v49, v40, v41, v96
	s_delay_alu instid0(VALU_DEP_4) | instskip(SKIP_1) | instid1(VALU_DEP_4)
	v_min_f32_e32 v52, v42, v43
	v_add_f32_e32 v50, v35, v39
	v_mad_i64_i32 v[40:41], null, v48, s4, 0
	v_mad_i64_i32 v[42:43], null, v48, s3, 0
	s_delay_alu instid0(VALU_DEP_4)
	v_min3_f32 v49, v46, v52, v49
	v_add_co_u32 v46, vcc_lo, v44, v76
	v_min3_f32 v48, v51, v50, v47
	v_lshlrev_b64 v[40:41], 2, v[40:41]
	v_add_co_ci_u32_e32 v47, vcc_lo, v45, v77, vcc_lo
	v_lshlrev_b64 v[42:43], 2, v[42:43]
	s_delay_alu instid0(VALU_DEP_4) | instskip(NEXT) | instid1(VALU_DEP_4)
	v_max_f32_e32 v44, v48, v48
	v_add_co_u32 v40, vcc_lo, s0, v40
	v_add_co_ci_u32_e32 v41, vcc_lo, s1, v41, vcc_lo
	s_delay_alu instid0(VALU_DEP_4)
	v_add_co_u32 v42, vcc_lo, s8, v42
	v_add_co_ci_u32_e32 v43, vcc_lo, s9, v43, vcc_lo
	s_mov_b32 vcc_lo, s2
	global_store_b32 v[46:47], v49, off
	s_cbranch_vccz .LBB15_169
; %bb.167:
	v_add_co_u32 v45, vcc_lo, v40, v66
	v_min_f32_e32 v47, 0, v44
	v_add_co_ci_u32_e32 v46, vcc_lo, v41, v67, vcc_lo
	s_mov_b32 s5, 0
	global_store_b32 v[45:46], v47, off
	s_cbranch_execz .LBB15_170
; %bb.168:
	v_mov_b32_e32 v44, s5
	s_branch .LBB15_171
.LBB15_169:
	s_mov_b32 s5, -1
.LBB15_170:
	v_add_co_u32 v45, vcc_lo, v42, v66
	v_add_co_ci_u32_e32 v46, vcc_lo, v43, v67, vcc_lo
	flat_load_b32 v45, v[45:46]
	s_waitcnt vmcnt(0) lgkmcnt(0)
	v_mul_f32_e32 v47, s15, v45
	v_add_co_u32 v45, vcc_lo, v40, v66
	v_add_co_ci_u32_e32 v46, vcc_lo, v41, v67, vcc_lo
	s_delay_alu instid0(VALU_DEP_3)
	v_min_f32_e32 v44, v47, v44
	v_add_co_u32 v47, vcc_lo, v42, v64
	v_add_co_ci_u32_e32 v48, vcc_lo, v43, v65, vcc_lo
	global_store_b32 v[45:46], v44, off
	flat_load_b32 v44, v[47:48]
	s_waitcnt vmcnt(0) lgkmcnt(0)
	v_mul_f32_e32 v44, s15, v44
.LBB15_171:
	v_dual_add_f32 v45, v29, v37 :: v_dual_add_f32 v46, v28, v36
	v_dual_add_f32 v47, v25, v37 :: v_dual_add_f32 v48, v24, v36
	v_dual_add_f32 v49, v31, v39 :: v_dual_add_f32 v50, v30, v38
	s_delay_alu instid0(VALU_DEP_3) | instskip(NEXT) | instid1(VALU_DEP_3)
	v_min3_f32 v45, v46, v45, v93
	v_min3_f32 v46, v48, v47, v94
	v_dual_add_f32 v47, v27, v39 :: v_dual_add_f32 v48, v26, v38
	s_delay_alu instid0(VALU_DEP_1) | instskip(SKIP_1) | instid1(VALU_DEP_1)
	v_min3_f32 v47, v48, v47, v46
	v_min_f32_e32 v49, v50, v49
	v_min3_f32 v48, v44, v49, v45
	s_delay_alu instid0(VALU_DEP_3)
	v_max_f32_e32 v44, v47, v47
	v_add_co_u32 v45, vcc_lo, v40, v64
	v_add_co_ci_u32_e32 v46, vcc_lo, v41, v65, vcc_lo
	s_mov_b32 vcc_lo, s2
	global_store_b32 v[45:46], v48, off
	s_cbranch_vccz .LBB15_174
; %bb.172:
	v_add_co_u32 v45, vcc_lo, v40, v70
	v_min_f32_e32 v47, 0, v44
	v_add_co_ci_u32_e32 v46, vcc_lo, v41, v71, vcc_lo
	s_mov_b32 s5, 0
	global_store_b32 v[45:46], v47, off
	s_cbranch_execz .LBB15_175
; %bb.173:
	v_mov_b32_e32 v44, s5
	s_branch .LBB15_176
.LBB15_174:
	s_mov_b32 s5, -1
.LBB15_175:
	v_add_co_u32 v45, vcc_lo, v42, v70
	v_add_co_ci_u32_e32 v46, vcc_lo, v43, v71, vcc_lo
	flat_load_b32 v45, v[45:46]
	s_waitcnt vmcnt(0) lgkmcnt(0)
	v_mul_f32_e32 v47, s15, v45
	v_add_co_u32 v45, vcc_lo, v40, v70
	v_add_co_ci_u32_e32 v46, vcc_lo, v41, v71, vcc_lo
	s_delay_alu instid0(VALU_DEP_3)
	v_min_f32_e32 v44, v47, v44
	v_add_co_u32 v47, vcc_lo, v42, v68
	v_add_co_ci_u32_e32 v48, vcc_lo, v43, v69, vcc_lo
	global_store_b32 v[45:46], v44, off
	flat_load_b32 v44, v[47:48]
	s_waitcnt vmcnt(0) lgkmcnt(0)
	v_mul_f32_e32 v44, s15, v44
.LBB15_176:
	v_dual_add_f32 v45, v21, v37 :: v_dual_add_f32 v46, v20, v36
	v_dual_add_f32 v47, v17, v37 :: v_dual_add_f32 v48, v16, v36
	v_dual_add_f32 v49, v23, v39 :: v_dual_add_f32 v50, v22, v38
	s_delay_alu instid0(VALU_DEP_3) | instskip(NEXT) | instid1(VALU_DEP_3)
	v_min3_f32 v45, v46, v45, v91
	v_min3_f32 v46, v48, v47, v92
	v_dual_add_f32 v47, v19, v39 :: v_dual_add_f32 v48, v18, v38
	s_delay_alu instid0(VALU_DEP_1) | instskip(SKIP_1) | instid1(VALU_DEP_1)
	v_min3_f32 v47, v48, v47, v46
	v_min_f32_e32 v49, v50, v49
	v_min3_f32 v48, v44, v49, v45
	s_delay_alu instid0(VALU_DEP_3)
	v_max_f32_e32 v44, v47, v47
	;; [unrolled: 47-line block ×3, first 2 shown]
	v_add_co_u32 v45, vcc_lo, v40, v72
	v_add_co_ci_u32_e32 v46, vcc_lo, v41, v73, vcc_lo
	s_mov_b32 vcc_lo, s2
	global_store_b32 v[45:46], v48, off
	s_cbranch_vccz .LBB15_184
; %bb.182:
	v_add_co_u32 v45, vcc_lo, v40, v78
	v_min_f32_e32 v47, 0, v44
	v_add_co_ci_u32_e32 v46, vcc_lo, v41, v79, vcc_lo
	s_mov_b32 s5, 0
	global_store_b32 v[45:46], v47, off
	s_cbranch_execz .LBB15_185
; %bb.183:
	v_mov_b32_e32 v42, s5
	s_branch .LBB15_186
.LBB15_184:
	s_mov_b32 s5, -1
.LBB15_185:
	v_add_co_u32 v45, vcc_lo, v42, v78
	v_add_co_ci_u32_e32 v46, vcc_lo, v43, v79, vcc_lo
	flat_load_b32 v45, v[45:46]
	s_waitcnt vmcnt(0) lgkmcnt(0)
	v_mul_f32_e32 v47, s15, v45
	v_add_co_u32 v45, vcc_lo, v40, v78
	v_add_co_ci_u32_e32 v46, vcc_lo, v41, v79, vcc_lo
	v_add_co_u32 v42, vcc_lo, v42, v76
	s_delay_alu instid0(VALU_DEP_4)
	v_min_f32_e32 v44, v47, v44
	v_add_co_ci_u32_e32 v43, vcc_lo, v43, v77, vcc_lo
	global_store_b32 v[45:46], v44, off
	flat_load_b32 v42, v[42:43]
	s_waitcnt vmcnt(0) lgkmcnt(0)
	v_mul_f32_e32 v42, s15, v42
.LBB15_186:
	v_dual_add_f32 v37, v1, v37 :: v_dual_add_f32 v36, v0, v36
	s_waitcnt lgkmcnt(0)
	v_dual_add_f32 v33, v33, v5 :: v_dual_add_f32 v32, v32, v4
	v_dual_add_f32 v38, v2, v38 :: v_dual_add_nc_u32 v43, 0xe0, v111
	s_delay_alu instid0(VALU_DEP_3) | instskip(SKIP_1) | instid1(VALU_DEP_4)
	v_min3_f32 v36, v36, v37, v87
	v_add_f32_e32 v39, v3, v39
	v_min3_f32 v37, v32, v33, v88
	s_delay_alu instid0(VALU_DEP_4) | instskip(SKIP_3) | instid1(VALU_DEP_4)
	v_mad_i64_i32 v[32:33], null, v43, s4, 0
	v_dual_add_f32 v44, v35, v7 :: v_dual_add_f32 v45, v34, v6
	v_mad_i64_i32 v[34:35], null, v43, s3, 0
	v_min_f32_e32 v38, v38, v39
	v_lshlrev_b64 v[32:33], 2, v[32:33]
	s_delay_alu instid0(VALU_DEP_4)
	v_min3_f32 v39, v45, v44, v37
	v_add_co_u32 v37, vcc_lo, v40, v76
	v_lshlrev_b64 v[34:35], 2, v[34:35]
	v_min3_f32 v42, v42, v38, v36
	v_add_co_ci_u32_e32 v38, vcc_lo, v41, v77, vcc_lo
	v_add_co_u32 v32, vcc_lo, s0, v32
	v_add_co_ci_u32_e32 v33, vcc_lo, s1, v33, vcc_lo
	v_add_co_u32 v34, vcc_lo, s8, v34
	v_add_co_ci_u32_e32 v35, vcc_lo, s9, v35, vcc_lo
	v_max_f32_e32 v36, v39, v39
	s_mov_b32 vcc_lo, s2
	global_store_b32 v[37:38], v42, off
	s_cbranch_vccz .LBB15_189
; %bb.187:
	v_add_co_u32 v37, vcc_lo, v32, v66
	v_min_f32_e32 v39, 0, v36
	v_add_co_ci_u32_e32 v38, vcc_lo, v33, v67, vcc_lo
	s_mov_b32 s0, 0
	global_store_b32 v[37:38], v39, off
	s_cbranch_execz .LBB15_190
; %bb.188:
	v_mov_b32_e32 v36, s0
	s_branch .LBB15_191
.LBB15_189:
	s_mov_b32 s0, -1
.LBB15_190:
	v_add_co_u32 v37, vcc_lo, v34, v66
	v_add_co_ci_u32_e32 v38, vcc_lo, v35, v67, vcc_lo
	flat_load_b32 v37, v[37:38]
	s_waitcnt vmcnt(0) lgkmcnt(0)
	v_mul_f32_e32 v39, s15, v37
	v_add_co_u32 v37, vcc_lo, v32, v66
	v_add_co_ci_u32_e32 v38, vcc_lo, v33, v67, vcc_lo
	s_delay_alu instid0(VALU_DEP_3)
	v_min_f32_e32 v36, v39, v36
	v_add_co_u32 v39, vcc_lo, v34, v64
	v_add_co_ci_u32_e32 v40, vcc_lo, v35, v65, vcc_lo
	global_store_b32 v[37:38], v36, off
	flat_load_b32 v36, v[39:40]
	s_waitcnt vmcnt(0) lgkmcnt(0)
	v_mul_f32_e32 v36, s15, v36
.LBB15_191:
	v_dual_add_f32 v25, v25, v5 :: v_dual_add_f32 v24, v24, v4
	v_dual_add_f32 v29, v29, v5 :: v_dual_add_f32 v28, v28, v4
	v_dual_add_f32 v31, v31, v7 :: v_dual_add_f32 v30, v30, v6
	s_delay_alu instid0(VALU_DEP_3) | instskip(SKIP_1) | instid1(VALU_DEP_4)
	v_min3_f32 v24, v24, v25, v85
	v_dual_add_f32 v25, v27, v7 :: v_dual_add_f32 v26, v26, v6
	v_min3_f32 v28, v28, v29, v86
	s_delay_alu instid0(VALU_DEP_2) | instskip(SKIP_3) | instid1(VALU_DEP_4)
	v_min3_f32 v24, v26, v25, v24
	v_min_f32_e32 v27, v30, v31
	v_add_co_u32 v25, vcc_lo, v32, v64
	v_add_co_ci_u32_e32 v26, vcc_lo, v33, v65, vcc_lo
	v_max_f32_e32 v24, v24, v24
	s_delay_alu instid0(VALU_DEP_4)
	v_min3_f32 v27, v36, v27, v28
	s_mov_b32 vcc_lo, s2
	global_store_b32 v[25:26], v27, off
	s_cbranch_vccz .LBB15_194
; %bb.192:
	v_add_co_u32 v25, vcc_lo, v32, v70
	v_min_f32_e32 v27, 0, v24
	v_add_co_ci_u32_e32 v26, vcc_lo, v33, v71, vcc_lo
	s_mov_b32 s0, 0
	global_store_b32 v[25:26], v27, off
	s_cbranch_execz .LBB15_195
; %bb.193:
	v_mov_b32_e32 v24, s0
	s_branch .LBB15_196
.LBB15_194:
	s_mov_b32 s0, -1
.LBB15_195:
	v_add_co_u32 v25, vcc_lo, v34, v70
	v_add_co_ci_u32_e32 v26, vcc_lo, v35, v71, vcc_lo
	flat_load_b32 v25, v[25:26]
	s_waitcnt vmcnt(0) lgkmcnt(0)
	v_mul_f32_e32 v27, s15, v25
	v_add_co_u32 v25, vcc_lo, v32, v70
	v_add_co_ci_u32_e32 v26, vcc_lo, v33, v71, vcc_lo
	s_delay_alu instid0(VALU_DEP_3)
	v_min_f32_e32 v24, v27, v24
	v_add_co_u32 v27, vcc_lo, v34, v68
	v_add_co_ci_u32_e32 v28, vcc_lo, v35, v69, vcc_lo
	global_store_b32 v[25:26], v24, off
	flat_load_b32 v24, v[27:28]
	s_waitcnt vmcnt(0) lgkmcnt(0)
	v_mul_f32_e32 v24, s15, v24
.LBB15_196:
	v_dual_add_f32 v17, v17, v5 :: v_dual_add_f32 v16, v16, v4
	v_dual_add_f32 v21, v21, v5 :: v_dual_add_f32 v20, v20, v4
	v_dual_add_f32 v23, v23, v7 :: v_dual_add_f32 v22, v22, v6
	s_delay_alu instid0(VALU_DEP_3) | instskip(SKIP_1) | instid1(VALU_DEP_4)
	v_min3_f32 v16, v16, v17, v84
	v_dual_add_f32 v17, v19, v7 :: v_dual_add_f32 v18, v18, v6
	v_min3_f32 v20, v20, v21, v83
	s_delay_alu instid0(VALU_DEP_2) | instskip(SKIP_3) | instid1(VALU_DEP_4)
	v_min3_f32 v16, v18, v17, v16
	v_min_f32_e32 v19, v22, v23
	v_add_co_u32 v17, vcc_lo, v32, v68
	v_add_co_ci_u32_e32 v18, vcc_lo, v33, v69, vcc_lo
	v_max_f32_e32 v16, v16, v16
	s_delay_alu instid0(VALU_DEP_4)
	v_min3_f32 v19, v24, v19, v20
	;; [unrolled: 47-line block ×3, first 2 shown]
	s_mov_b32 vcc_lo, s2
	global_store_b32 v[9:10], v11, off
	s_cbranch_vccz .LBB15_204
; %bb.202:
	v_add_co_u32 v9, vcc_lo, v32, v78
	v_min_f32_e32 v11, 0, v8
	v_add_co_ci_u32_e32 v10, vcc_lo, v33, v79, vcc_lo
	s_mov_b32 s0, 0
	global_store_b32 v[9:10], v11, off
	s_cbranch_execz .LBB15_205
; %bb.203:
	v_mov_b32_e32 v8, s0
	s_branch .LBB15_206
.LBB15_204:
	s_mov_b32 s0, -1
.LBB15_205:
	v_add_co_u32 v9, vcc_lo, v34, v78
	v_add_co_ci_u32_e32 v10, vcc_lo, v35, v79, vcc_lo
	flat_load_b32 v9, v[9:10]
	s_waitcnt vmcnt(0) lgkmcnt(0)
	v_mul_f32_e32 v11, s15, v9
	v_add_co_u32 v9, vcc_lo, v32, v78
	v_add_co_ci_u32_e32 v10, vcc_lo, v33, v79, vcc_lo
	s_delay_alu instid0(VALU_DEP_3)
	v_min_f32_e32 v8, v11, v8
	v_add_co_u32 v11, vcc_lo, v34, v76
	v_add_co_ci_u32_e32 v12, vcc_lo, v35, v77, vcc_lo
	global_store_b32 v[9:10], v8, off
	flat_load_b32 v8, v[11:12]
	s_waitcnt vmcnt(0) lgkmcnt(0)
	v_mul_f32_e32 v8, s15, v8
.LBB15_206:
	v_dual_add_f32 v3, v3, v7 :: v_dual_add_f32 v2, v2, v6
	v_dual_add_f32 v1, v1, v5 :: v_dual_add_f32 v0, v0, v4
	s_delay_alu instid0(VALU_DEP_2) | instskip(NEXT) | instid1(VALU_DEP_2)
	v_min_f32_e32 v2, v2, v3
	v_min3_f32 v0, v0, v1, v80
	s_delay_alu instid0(VALU_DEP_1)
	v_min3_f32 v2, v8, v2, v0
	v_add_co_u32 v0, vcc_lo, v32, v76
	v_add_co_ci_u32_e32 v1, vcc_lo, v33, v77, vcc_lo
	global_store_b32 v[0:1], v2, off
	s_nop 0
	s_sendmsg sendmsg(MSG_DEALLOC_VGPRS)
	s_endpgm
	.section	.rodata,"a",@progbits
	.p2align	6, 0x0
	.amdhsa_kernel _ZN12_GLOBAL__N_120geam_min_plus_kernelIf15HIP_vector_typeIfLj2EEfLi8ELi32ELi64ELi256ELi4ELi64ELi4ELi64ELi4ELc78ELc84ELb0ELb0ELb1EPKfKS4_KPfEEviiiT16_PT17_ilSA_ilS8_SA_ilPT18_ili26rocblas_geam_ex_operation_
		.amdhsa_group_segment_fixed_size 10240
		.amdhsa_private_segment_fixed_size 68
		.amdhsa_kernarg_size 136
		.amdhsa_user_sgpr_count 14
		.amdhsa_user_sgpr_dispatch_ptr 0
		.amdhsa_user_sgpr_queue_ptr 0
		.amdhsa_user_sgpr_kernarg_segment_ptr 1
		.amdhsa_user_sgpr_dispatch_id 0
		.amdhsa_user_sgpr_private_segment_size 0
		.amdhsa_wavefront_size32 1
		.amdhsa_uses_dynamic_stack 0
		.amdhsa_enable_private_segment 1
		.amdhsa_system_sgpr_workgroup_id_x 1
		.amdhsa_system_sgpr_workgroup_id_y 0
		.amdhsa_system_sgpr_workgroup_id_z 1
		.amdhsa_system_sgpr_workgroup_info 0
		.amdhsa_system_vgpr_workitem_id 1
		.amdhsa_next_free_vgpr 256
		.amdhsa_next_free_sgpr 25
		.amdhsa_reserve_vcc 1
		.amdhsa_float_round_mode_32 0
		.amdhsa_float_round_mode_16_64 0
		.amdhsa_float_denorm_mode_32 3
		.amdhsa_float_denorm_mode_16_64 3
		.amdhsa_dx10_clamp 1
		.amdhsa_ieee_mode 1
		.amdhsa_fp16_overflow 0
		.amdhsa_workgroup_processor_mode 1
		.amdhsa_memory_ordered 1
		.amdhsa_forward_progress 0
		.amdhsa_shared_vgpr_count 0
		.amdhsa_exception_fp_ieee_invalid_op 0
		.amdhsa_exception_fp_denorm_src 0
		.amdhsa_exception_fp_ieee_div_zero 0
		.amdhsa_exception_fp_ieee_overflow 0
		.amdhsa_exception_fp_ieee_underflow 0
		.amdhsa_exception_fp_ieee_inexact 0
		.amdhsa_exception_int_div_zero 0
	.end_amdhsa_kernel
	.section	.text._ZN12_GLOBAL__N_120geam_min_plus_kernelIf15HIP_vector_typeIfLj2EEfLi8ELi32ELi64ELi256ELi4ELi64ELi4ELi64ELi4ELc78ELc84ELb0ELb0ELb1EPKfKS4_KPfEEviiiT16_PT17_ilSA_ilS8_SA_ilPT18_ili26rocblas_geam_ex_operation_,"axG",@progbits,_ZN12_GLOBAL__N_120geam_min_plus_kernelIf15HIP_vector_typeIfLj2EEfLi8ELi32ELi64ELi256ELi4ELi64ELi4ELi64ELi4ELc78ELc84ELb0ELb0ELb1EPKfKS4_KPfEEviiiT16_PT17_ilSA_ilS8_SA_ilPT18_ili26rocblas_geam_ex_operation_,comdat
.Lfunc_end15:
	.size	_ZN12_GLOBAL__N_120geam_min_plus_kernelIf15HIP_vector_typeIfLj2EEfLi8ELi32ELi64ELi256ELi4ELi64ELi4ELi64ELi4ELc78ELc84ELb0ELb0ELb1EPKfKS4_KPfEEviiiT16_PT17_ilSA_ilS8_SA_ilPT18_ili26rocblas_geam_ex_operation_, .Lfunc_end15-_ZN12_GLOBAL__N_120geam_min_plus_kernelIf15HIP_vector_typeIfLj2EEfLi8ELi32ELi64ELi256ELi4ELi64ELi4ELi64ELi4ELc78ELc84ELb0ELb0ELb1EPKfKS4_KPfEEviiiT16_PT17_ilSA_ilS8_SA_ilPT18_ili26rocblas_geam_ex_operation_
                                        ; -- End function
	.section	.AMDGPU.csdata,"",@progbits
; Kernel info:
; codeLenInByte = 18168
; NumSgprs: 27
; NumVgprs: 256
; ScratchSize: 68
; MemoryBound: 0
; FloatMode: 240
; IeeeMode: 1
; LDSByteSize: 10240 bytes/workgroup (compile time only)
; SGPRBlocks: 3
; VGPRBlocks: 31
; NumSGPRsForWavesPerEU: 27
; NumVGPRsForWavesPerEU: 256
; Occupancy: 5
; WaveLimiterHint : 1
; COMPUTE_PGM_RSRC2:SCRATCH_EN: 1
; COMPUTE_PGM_RSRC2:USER_SGPR: 14
; COMPUTE_PGM_RSRC2:TRAP_HANDLER: 0
; COMPUTE_PGM_RSRC2:TGID_X_EN: 1
; COMPUTE_PGM_RSRC2:TGID_Y_EN: 0
; COMPUTE_PGM_RSRC2:TGID_Z_EN: 1
; COMPUTE_PGM_RSRC2:TIDIG_COMP_CNT: 1
	.section	.text._ZN12_GLOBAL__N_120geam_min_plus_kernelIf15HIP_vector_typeIfLj2EEfLi8ELi32ELi64ELi256ELi4ELi64ELi4ELi64ELi4ELc78ELc84ELb1ELb0ELb1EfKPKfKPfEEviiiT16_PT17_ilSA_ilS8_SA_ilPT18_ili26rocblas_geam_ex_operation_,"axG",@progbits,_ZN12_GLOBAL__N_120geam_min_plus_kernelIf15HIP_vector_typeIfLj2EEfLi8ELi32ELi64ELi256ELi4ELi64ELi4ELi64ELi4ELc78ELc84ELb1ELb0ELb1EfKPKfKPfEEviiiT16_PT17_ilSA_ilS8_SA_ilPT18_ili26rocblas_geam_ex_operation_,comdat
	.globl	_ZN12_GLOBAL__N_120geam_min_plus_kernelIf15HIP_vector_typeIfLj2EEfLi8ELi32ELi64ELi256ELi4ELi64ELi4ELi64ELi4ELc78ELc84ELb1ELb0ELb1EfKPKfKPfEEviiiT16_PT17_ilSA_ilS8_SA_ilPT18_ili26rocblas_geam_ex_operation_ ; -- Begin function _ZN12_GLOBAL__N_120geam_min_plus_kernelIf15HIP_vector_typeIfLj2EEfLi8ELi32ELi64ELi256ELi4ELi64ELi4ELi64ELi4ELc78ELc84ELb1ELb0ELb1EfKPKfKPfEEviiiT16_PT17_ilSA_ilS8_SA_ilPT18_ili26rocblas_geam_ex_operation_
	.p2align	8
	.type	_ZN12_GLOBAL__N_120geam_min_plus_kernelIf15HIP_vector_typeIfLj2EEfLi8ELi32ELi64ELi256ELi4ELi64ELi4ELi64ELi4ELc78ELc84ELb1ELb0ELb1EfKPKfKPfEEviiiT16_PT17_ilSA_ilS8_SA_ilPT18_ili26rocblas_geam_ex_operation_,@function
_ZN12_GLOBAL__N_120geam_min_plus_kernelIf15HIP_vector_typeIfLj2EEfLi8ELi32ELi64ELi256ELi4ELi64ELi4ELi64ELi4ELc78ELc84ELb1ELb0ELb1EfKPKfKPfEEviiiT16_PT17_ilSA_ilS8_SA_ilPT18_ili26rocblas_geam_ex_operation_: ; @_ZN12_GLOBAL__N_120geam_min_plus_kernelIf15HIP_vector_typeIfLj2EEfLi8ELi32ELi64ELi256ELi4ELi64ELi4ELi64ELi4ELc78ELc84ELb1ELb0ELb1EfKPKfKPfEEviiiT16_PT17_ilSA_ilS8_SA_ilPT18_ili26rocblas_geam_ex_operation_
; %bb.0:
	s_clause 0x1
	s_load_b64 s[8:9], s[0:1], 0x8
	s_load_b128 s[4:7], s[0:1], 0x20
	s_mov_b32 s16, s15
	s_mov_b32 s17, 0
	s_waitcnt lgkmcnt(0)
	v_cmp_eq_f32_e64 s2, s9, 0
	s_delay_alu instid0(VALU_DEP_1)
	s_and_b32 vcc_lo, exec_lo, s2
	s_cbranch_vccnz .LBB16_3
; %bb.1:
	s_load_b64 s[10:11], s[0:1], 0x10
	s_lshl_b64 s[12:13], s[16:17], 3
	s_waitcnt lgkmcnt(0)
	s_add_u32 s10, s10, s12
	s_addc_u32 s11, s11, s13
	s_lshl_b64 s[4:5], s[4:5], 2
	s_load_b64 s[10:11], s[10:11], 0x0
	s_waitcnt lgkmcnt(0)
	s_add_u32 s10, s10, s4
	s_addc_u32 s11, s11, s5
	s_and_not1_b32 vcc_lo, exec_lo, s2
	s_cbranch_vccnz .LBB16_4
.LBB16_2:
	s_mov_b64 s[12:13], 0
	s_and_not1_b32 vcc_lo, exec_lo, s17
	s_cbranch_vccz .LBB16_5
	s_branch .LBB16_6
.LBB16_3:
	s_mov_b64 s[10:11], 0
	s_and_not1_b32 vcc_lo, exec_lo, s2
	s_cbranch_vccz .LBB16_2
.LBB16_4:
	s_mov_b32 s17, -1
                                        ; implicit-def: $sgpr12_sgpr13
.LBB16_5:
	s_mov_b32 s17, 0
	s_load_b64 s[4:5], s[0:1], 0x38
	s_lshl_b64 s[2:3], s[16:17], 3
	s_delay_alu instid0(SALU_CYCLE_1) | instskip(SKIP_4) | instid1(SALU_CYCLE_1)
	s_add_u32 s2, s6, s2
	s_addc_u32 s3, s7, s3
	s_load_b64 s[2:3], s[2:3], 0x0
	s_waitcnt lgkmcnt(0)
	s_lshl_b64 s[4:5], s[4:5], 2
	s_add_u32 s12, s2, s4
	s_addc_u32 s13, s3, s5
.LBB16_6:
	s_clause 0x1
	s_load_b32 s3, s[0:1], 0x40
	s_load_b128 s[4:7], s[0:1], 0x58
	s_waitcnt lgkmcnt(0)
	v_cmp_eq_f32_e64 s2, s3, 0
	s_delay_alu instid0(VALU_DEP_1) | instskip(NEXT) | instid1(SALU_CYCLE_1)
	s_and_b32 s2, exec_lo, s2
	s_mov_b32 vcc_lo, s2
	s_cbranch_vccnz .LBB16_8
; %bb.7:
	s_load_b64 s[18:19], s[0:1], 0x48
	s_lshl_b64 s[20:21], s[16:17], 3
	s_waitcnt lgkmcnt(0)
	s_add_u32 s18, s18, s20
	s_addc_u32 s19, s19, s21
	s_lshl_b64 s[4:5], s[4:5], 2
	s_load_b64 s[18:19], s[18:19], 0x0
	s_waitcnt lgkmcnt(0)
	s_add_u32 s4, s18, s4
	s_addc_u32 s5, s19, s5
	s_branch .LBB16_9
.LBB16_8:
	s_mov_b64 s[4:5], 0
.LBB16_9:
	s_load_b32 s9, s[0:1], 0x0
	s_lshl_b64 s[20:21], s[16:17], 3
	v_and_b32_e32 v11, 0x3ff, v0
	s_add_u32 s6, s6, s20
	s_addc_u32 s7, s7, s21
	v_bfe_u32 v12, v0, 10, 10
	s_clause 0x1
	s_load_b32 s16, s[0:1], 0x18
	s_load_b32 s18, s[0:1], 0x30
	v_lshlrev_b32_e32 v177, 4, v11
	v_lshl_add_u32 v0, v12, 3, v11
	v_lshlrev_b32_e32 v74, 4, v12
	s_delay_alu instid0(VALU_DEP_2) | instskip(SKIP_3) | instid1(SALU_CYCLE_1)
	v_lshrrev_b32_e32 v23, 6, v0
	v_and_b32_e32 v8, 63, v0
	s_waitcnt lgkmcnt(0)
	s_add_i32 s9, s9, -1
	s_ashr_i32 s15, s9, 31
	s_delay_alu instid0(SALU_CYCLE_1) | instskip(NEXT) | instid1(SALU_CYCLE_1)
	s_lshr_b32 s15, s15, 26
	s_add_i32 s9, s9, s15
	v_mad_i64_i32 v[2:3], null, s18, v23, 0
	s_ashr_i32 s9, s9, 6
	s_delay_alu instid0(SALU_CYCLE_1) | instskip(SKIP_2) | instid1(VALU_DEP_2)
	s_add_i32 s15, s9, 1
	s_not_b32 s9, s9
	v_cvt_f32_u32_e32 v1, s15
	v_lshlrev_b64 v[2:3], 2, v[2:3]
	s_delay_alu instid0(VALU_DEP_2) | instskip(SKIP_2) | instid1(VALU_DEP_1)
	v_rcp_iflag_f32_e32 v1, v1
	s_waitcnt_depctr 0xfff
	v_mul_f32_e32 v1, 0x4f7ffffe, v1
	v_cvt_u32_f32_e32 v1, v1
	s_delay_alu instid0(VALU_DEP_1) | instskip(SKIP_1) | instid1(VALU_DEP_2)
	v_readfirstlane_b32 s17, v1
	v_mad_i64_i32 v[0:1], null, s16, v23, 0
	s_mul_i32 s9, s9, s17
	s_delay_alu instid0(SALU_CYCLE_1) | instskip(NEXT) | instid1(SALU_CYCLE_1)
	s_mul_hi_u32 s9, s17, s9
	s_add_i32 s17, s17, s9
	s_delay_alu instid0(VALU_DEP_1) | instskip(SKIP_1) | instid1(SALU_CYCLE_1)
	v_lshlrev_b64 v[0:1], 2, v[0:1]
	s_mul_hi_u32 s9, s14, s17
	s_mul_i32 s17, s9, s15
	s_add_i32 s19, s9, 1
	s_sub_i32 s17, s14, s17
	s_delay_alu instid0(VALU_DEP_1)
	v_add_co_u32 v9, vcc_lo, s10, v0
	s_sub_i32 s20, s17, s15
	s_cmp_ge_u32 s17, s15
	v_add_co_ci_u32_e32 v10, vcc_lo, s11, v1, vcc_lo
	s_cselect_b32 s9, s19, s9
	s_cselect_b32 s17, s20, s17
	s_add_i32 s19, s9, 1
	s_cmp_ge_u32 s17, s15
	v_add_co_u32 v0, vcc_lo, s12, v2
	s_cselect_b32 s9, s19, s9
	v_add_co_ci_u32_e32 v1, vcc_lo, s13, v3, vcc_lo
	s_mul_i32 s17, s9, s15
	s_lshl_b32 s15, s9, 8
	s_sub_i32 s9, s14, s17
	v_or_b32_e32 v4, s15, v8
	s_lshl_b32 s14, s9, 6
	s_cmp_lt_i32 s8, 9
	v_or_b32_e32 v6, s14, v8
	s_delay_alu instid0(VALU_DEP_2) | instskip(NEXT) | instid1(VALU_DEP_2)
	v_ashrrev_i32_e32 v5, 31, v4
	v_ashrrev_i32_e32 v7, 31, v6
	s_delay_alu instid0(VALU_DEP_2) | instskip(NEXT) | instid1(VALU_DEP_2)
	v_lshlrev_b64 v[16:17], 2, v[4:5]
	v_lshlrev_b64 v[18:19], 2, v[6:7]
	s_delay_alu instid0(VALU_DEP_2) | instskip(NEXT) | instid1(VALU_DEP_3)
	v_add_co_u32 v0, vcc_lo, v0, v16
	v_add_co_ci_u32_e32 v1, vcc_lo, v1, v17, vcc_lo
	s_delay_alu instid0(VALU_DEP_3) | instskip(NEXT) | instid1(VALU_DEP_4)
	v_add_co_u32 v2, vcc_lo, v9, v18
	v_add_co_ci_u32_e32 v3, vcc_lo, v10, v19, vcc_lo
	v_add_nc_u32_e32 v10, 4, v23
	s_clause 0x3
	flat_load_b32 v4, v[0:1]
	flat_load_b32 v5, v[0:1] offset:256
	flat_load_b32 v6, v[0:1] offset:512
	;; [unrolled: 1-line block ×3, first 2 shown]
	flat_load_b32 v9, v[2:3]
	s_load_b64 s[6:7], s[6:7], 0x0
	scratch_store_b32 off, v11, off         ; 4-byte Folded Spill
	v_mad_i64_i32 v[0:1], null, s18, v10, 0
	v_mad_i64_i32 v[2:3], null, s16, v10, 0
	v_lshlrev_b32_e32 v10, 2, v23
	s_delay_alu instid0(VALU_DEP_3) | instskip(NEXT) | instid1(VALU_DEP_2)
	v_lshlrev_b64 v[0:1], 2, v[0:1]
	v_lshl_add_u32 v76, v8, 4, v10
	s_delay_alu instid0(VALU_DEP_4) | instskip(NEXT) | instid1(VALU_DEP_3)
	v_lshlrev_b64 v[2:3], 2, v[2:3]
	v_add_co_u32 v0, vcc_lo, s12, v0
	s_delay_alu instid0(VALU_DEP_4) | instskip(NEXT) | instid1(VALU_DEP_3)
	v_add_co_ci_u32_e32 v1, vcc_lo, s13, v1, vcc_lo
	v_add_co_u32 v2, vcc_lo, s10, v2
	s_delay_alu instid0(VALU_DEP_4) | instskip(NEXT) | instid1(VALU_DEP_4)
	v_add_co_ci_u32_e32 v3, vcc_lo, s11, v3, vcc_lo
	v_add_co_u32 v0, vcc_lo, v0, v16
	s_delay_alu instid0(VALU_DEP_4) | instskip(NEXT) | instid1(VALU_DEP_4)
	v_add_co_ci_u32_e32 v1, vcc_lo, v1, v17, vcc_lo
	v_add_co_u32 v2, vcc_lo, v2, v18
	s_delay_alu instid0(VALU_DEP_4)
	v_add_co_ci_u32_e32 v3, vcc_lo, v3, v19, vcc_lo
	flat_load_b32 v8, v[0:1]
	scratch_store_b32 off, v12, off offset:4 ; 4-byte Folded Spill
	s_waitcnt vmcnt(0) lgkmcnt(0)
	scratch_store_b32 off, v8, off offset:8 ; 4-byte Folded Spill
	flat_load_b32 v8, v[0:1] offset:256
	s_waitcnt vmcnt(0) lgkmcnt(0)
	scratch_store_b32 off, v8, off offset:12 ; 4-byte Folded Spill
	s_clause 0x1
	flat_load_b32 v80, v[0:1] offset:512
	flat_load_b32 v25, v[0:1] offset:768
	flat_load_b32 v78, v[2:3]
	ds_store_2addr_stride64_b32 v76, v4, v5 offset1:4
	ds_store_2addr_stride64_b32 v76, v6, v7 offset0:8 offset1:12
	ds_store_b32 v76, v9 offset:8192
	s_waitcnt vmcnt(0) lgkmcnt(0)
	s_waitcnt_vscnt null, 0x0
	s_barrier
	buffer_gl0_inv
	ds_load_b128 v[26:29], v74
	ds_load_b128 v[0:3], v177 offset:8192
	ds_load_b128 v[12:15], v177 offset:8320
	;; [unrolled: 1-line block ×5, first 2 shown]
	s_waitcnt lgkmcnt(4)
	v_add_f32_e32 v20, v1, v27
	v_dual_add_f32 v150, v0, v26 :: v_dual_add_f32 v145, v3, v29
	s_waitcnt lgkmcnt(3)
	v_dual_add_f32 v146, v15, v29 :: v_dual_add_f32 v83, v14, v28
	scratch_store_b32 off, v20, off offset:16 ; 4-byte Folded Spill
	s_waitcnt lgkmcnt(2)
	v_dual_add_f32 v20, v13, v27 :: v_dual_add_f32 v149, v11, v29
	s_waitcnt lgkmcnt(0)
	v_add_f32_e32 v103, v3, v33
	v_add_f32_e32 v142, v7, v29
	v_dual_add_f32 v88, v0, v30 :: v_dual_add_f32 v107, v11, v33
	scratch_store_b32 off, v20, off offset:20 ; 4-byte Folded Spill
	v_add_f32_e32 v20, v12, v26
	v_dual_add_f32 v90, v12, v30 :: v_dual_add_f32 v109, v7, v33
	v_add_f32_e32 v92, v8, v30
	v_add_f32_e32 v94, v4, v30
	scratch_store_b32 off, v20, off offset:32 ; 4-byte Folded Spill
	v_add_f32_e32 v20, v9, v27
	v_add_f32_e32 v104, v2, v32
	;; [unrolled: 1-line block ×5, first 2 shown]
	scratch_store_b32 off, v20, off offset:24 ; 4-byte Folded Spill
	v_dual_add_f32 v20, v8, v26 :: v_dual_add_f32 v139, v1, v31
	v_add_f32_e32 v89, v13, v31
	v_add_f32_e32 v105, v15, v33
	;; [unrolled: 1-line block ×3, first 2 shown]
	scratch_store_b32 off, v20, off offset:36 ; 4-byte Folded Spill
	v_add_f32_e32 v20, v5, v27
	v_add_f32_e32 v93, v5, v31
	scratch_store_b32 off, v20, off offset:28 ; 4-byte Folded Spill
	v_add_f32_e32 v20, v4, v26
	scratch_store_b32 off, v20, off offset:40 ; 4-byte Folded Spill
	ds_load_b128 v[34:37], v177 offset:8704
	ds_load_b128 v[38:41], v177 offset:8832
	v_add_f32_e32 v148, v2, v28
	v_add_f32_e32 v134, v10, v28
	s_waitcnt lgkmcnt(1)
	v_dual_add_f32 v20, v35, v27 :: v_dual_add_f32 v111, v37, v33
	s_waitcnt lgkmcnt(0)
	v_add_f32_e32 v113, v41, v33
	v_add_f32_e32 v147, v37, v29
	;; [unrolled: 1-line block ×3, first 2 shown]
	scratch_store_b32 off, v20, off offset:44 ; 4-byte Folded Spill
	v_dual_add_f32 v20, v34, v26 :: v_dual_add_f32 v135, v40, v28
	v_dual_add_f32 v95, v35, v31 :: v_dual_add_f32 v96, v34, v30
	v_add_f32_e32 v97, v39, v31
	scratch_store_b32 off, v20, off offset:52 ; 4-byte Folded Spill
	v_add_f32_e32 v20, v39, v27
	v_add_f32_e32 v98, v38, v30
	;; [unrolled: 1-line block ×3, first 2 shown]
	scratch_store_b32 off, v20, off offset:48 ; 4-byte Folded Spill
	v_add_f32_e32 v20, v38, v26
	scratch_store_b32 off, v20, off offset:56 ; 4-byte Folded Spill
	ds_load_b128 v[42:45], v177 offset:8960
	ds_load_b128 v[46:49], v177 offset:9088
	v_add_f32_e32 v138, v6, v28
	v_add_f32_e32 v140, v36, v28
	;; [unrolled: 1-line block ×3, first 2 shown]
	s_waitcnt lgkmcnt(1)
	v_dual_add_f32 v20, v43, v27 :: v_dual_add_f32 v115, v45, v33
	s_waitcnt lgkmcnt(0)
	v_add_f32_e32 v117, v49, v33
	v_add_f32_e32 v144, v45, v29
	;; [unrolled: 1-line block ×3, first 2 shown]
	scratch_store_b32 off, v20, off offset:60 ; 4-byte Folded Spill
	v_dual_add_f32 v20, v42, v26 :: v_dual_add_f32 v143, v49, v29
	v_add_f32_e32 v137, v48, v28
	v_dual_add_f32 v99, v43, v31 :: v_dual_add_f32 v100, v42, v30
	scratch_store_b32 off, v20, off offset:68 ; 4-byte Folded Spill
	v_add_f32_e32 v20, v47, v27
	v_dual_add_f32 v101, v47, v31 :: v_dual_add_f32 v102, v46, v30
	v_add_f32_e32 v116, v44, v32
	v_add_f32_e32 v118, v48, v32
	scratch_store_b32 off, v20, off offset:64 ; 4-byte Folded Spill
	v_add_f32_e32 v20, v46, v26
	scratch_store_b32 off, v20, off offset:72 ; 4-byte Folded Spill
	ds_load_b128 v[26:29], v74 offset:1024
	ds_load_b128 v[30:33], v74 offset:1536
	s_waitcnt lgkmcnt(1)
	v_dual_add_f32 v119, v1, v27 :: v_dual_add_f32 v120, v0, v26
	v_add_f32_e32 v131, v2, v28
	v_dual_add_f32 v121, v13, v27 :: v_dual_add_f32 v122, v12, v26
	v_add_f32_e32 v133, v14, v28
	;; [unrolled: 2-line block ×5, first 2 shown]
	v_add_f32_e32 v129, v39, v27
	v_dual_add_f32 v151, v38, v26 :: v_dual_add_f32 v152, v43, v27
	s_waitcnt lgkmcnt(0)
	v_add_f32_e32 v181, v42, v30
	v_dual_add_f32 v153, v42, v26 :: v_dual_add_f32 v154, v47, v27
	v_add_f32_e32 v183, v46, v30
	v_dual_add_f32 v155, v46, v26 :: v_dual_add_f32 v130, v3, v29
	v_dual_add_f32 v185, v2, v32 :: v_dual_add_f32 v132, v15, v29
	;; [unrolled: 1-line block ×5, first 2 shown]
	v_add_f32_e32 v193, v36, v32
	v_dual_add_f32 v161, v36, v28 :: v_dual_add_f32 v162, v41, v29
	v_add_f32_e32 v195, v40, v32
	v_dual_add_f32 v163, v40, v28 :: v_dual_add_f32 v164, v45, v29
	;; [unrolled: 2-line block ×3, first 2 shown]
	v_dual_add_f32 v199, v48, v32 :: v_dual_add_f32 v168, v1, v31
	v_dual_add_f32 v169, v0, v30 :: v_dual_add_f32 v170, v13, v31
	;; [unrolled: 1-line block ×5, first 2 shown]
	v_add_f32_e32 v24, v34, v30
	v_dual_add_f32 v178, v39, v31 :: v_dual_add_f32 v179, v38, v30
	v_add_f32_e32 v180, v43, v31
	v_add_f32_e32 v182, v47, v31
	;; [unrolled: 1-line block ×10, first 2 shown]
	ds_load_b128 v[26:29], v74 offset:2048
	ds_load_b128 v[30:33], v74 offset:2560
	s_waitcnt lgkmcnt(0)
	v_dual_add_f32 v200, v1, v27 :: v_dual_add_f32 v235, v12, v30
	v_dual_add_f32 v201, v0, v26 :: v_dual_add_f32 v202, v13, v27
	v_add_f32_e32 v237, v8, v30
	v_dual_add_f32 v203, v12, v26 :: v_dual_add_f32 v204, v9, v27
	v_add_f32_e32 v239, v4, v30
	;; [unrolled: 2-line block ×12, first 2 shown]
	v_dual_add_f32 v225, v36, v28 :: v_dual_add_f32 v226, v41, v29
	v_dual_add_f32 v227, v40, v28 :: v_dual_add_f32 v228, v45, v29
	;; [unrolled: 1-line block ×5, first 2 shown]
	v_add_f32_e32 v236, v9, v31
	v_add_f32_e32 v238, v5, v31
	v_dual_add_f32 v240, v35, v31 :: v_dual_add_f32 v75, v41, v33
	v_add_f32_e32 v242, v39, v31
	v_add_f32_e32 v244, v43, v31
	;; [unrolled: 1-line block ×12, first 2 shown]
	ds_load_b128 v[26:29], v74 offset:3072
	ds_load_b128 v[30:33], v74 offset:3584
	s_waitcnt lgkmcnt(1)
	v_add_f32_e32 v55, v0, v26
	v_dual_add_f32 v58, v12, v26 :: v_dual_add_f32 v21, v45, v29
	v_add_f32_e32 v59, v8, v26
	v_add_f32_e32 v66, v4, v26
	;; [unrolled: 1-line block ×6, first 2 shown]
	s_waitcnt lgkmcnt(0)
	v_add_f32_e32 v0, v0, v30
	v_add_f32_e32 v12, v12, v30
	v_add_f32_e32 v8, v8, v30
	v_add_f32_e32 v4, v4, v30
	v_add_f32_e32 v34, v34, v30
	v_add_f32_e32 v38, v38, v30
	v_add_f32_e32 v42, v42, v30
	v_add_f32_e32 v30, v46, v30
	scratch_load_b32 v46, off, off offset:16 ; 4-byte Folded Reload
	v_add_f32_e32 v53, v1, v27
	v_add_f32_e32 v57, v13, v27
	;; [unrolled: 1-line block ×7, first 2 shown]
	v_dual_add_f32 v27, v47, v27 :: v_dual_add_f32 v82, v37, v29
	v_dual_add_f32 v43, v43, v31 :: v_dual_add_f32 v84, v36, v28
	v_add_f32_e32 v5, v5, v31
	v_add_f32_e32 v86, v41, v29
	;; [unrolled: 1-line block ×17, first 2 shown]
	v_dual_add_f32 v22, v44, v28 :: v_dual_add_f32 v7, v7, v33
	v_dual_add_f32 v28, v48, v28 :: v_dual_add_f32 v45, v45, v33
	;; [unrolled: 1-line block ×3, first 2 shown]
	v_add_f32_e32 v15, v15, v33
	v_add_f32_e32 v11, v11, v33
	;; [unrolled: 1-line block ×5, first 2 shown]
	v_min3_f32 v0, v0, v1, 0x7f7fffff
	v_add_f32_e32 v14, v14, v32
	v_add_f32_e32 v10, v10, v32
	;; [unrolled: 1-line block ×7, first 2 shown]
	v_min3_f32 v20, v20, v67, 0x7f7fffff
	v_add_f32_e32 v29, v49, v29
	s_waitcnt vmcnt(0)
	v_min3_f32 v46, v150, v46, 0x7f7fffff
	s_delay_alu instid0(VALU_DEP_1)
	v_min3_f32 v150, v148, v145, v46
	s_clause 0x1
	scratch_load_b32 v46, off, off offset:20
	scratch_load_b32 v47, off, off offset:32
	s_waitcnt vmcnt(0)
	v_min3_f32 v46, v47, v46, 0x7f7fffff
	s_delay_alu instid0(VALU_DEP_1)
	v_min3_f32 v148, v83, v146, v46
	s_clause 0x1
	scratch_load_b32 v46, off, off offset:24
	scratch_load_b32 v47, off, off offset:36
	;; [unrolled: 7-line block ×7, first 2 shown]
	s_waitcnt vmcnt(0)
	v_min3_f32 v46, v47, v46, 0x7f7fffff
	s_delay_alu instid0(VALU_DEP_1) | instskip(SKIP_1) | instid1(VALU_DEP_1)
	v_min3_f32 v138, v137, v143, v46
	v_min3_f32 v46, v88, v139, 0x7f7fffff
	v_min3_f32 v147, v104, v103, v46
	v_min3_f32 v46, v90, v89, 0x7f7fffff
	s_delay_alu instid0(VALU_DEP_1) | instskip(SKIP_1) | instid1(VALU_DEP_1)
	v_min3_f32 v143, v106, v105, v46
	v_min3_f32 v46, v92, v91, 0x7f7fffff
	;; [unrolled: 1-line block ×6, first 2 shown]
	s_delay_alu instid0(VALU_DEP_3) | instskip(SKIP_1) | instid1(VALU_DEP_3)
	v_min3_f32 v139, v110, v109, v46
	v_min3_f32 v46, v96, v95, 0x7f7fffff
	;; [unrolled: 1-line block ×17, first 2 shown]
	s_delay_alu instid0(VALU_DEP_4) | instskip(SKIP_1) | instid1(VALU_DEP_4)
	v_min3_f32 v137, v116, v115, v46
	v_min3_f32 v46, v102, v101, 0x7f7fffff
	v_min3_f32 v90, v36, v37, v0
	v_min3_f32 v0, v38, v39, 0x7f7fffff
	s_delay_alu instid0(VALU_DEP_3) | instskip(SKIP_1) | instid1(VALU_DEP_3)
	v_min3_f32 v134, v118, v117, v46
	v_min3_f32 v46, v120, v119, 0x7f7fffff
	v_min3_f32 v83, v40, v41, v0
	v_min3_f32 v0, v42, v43, 0x7f7fffff
	s_delay_alu instid0(VALU_DEP_3) | instskip(SKIP_1) | instid1(VALU_DEP_3)
	;; [unrolled: 5-line block ×3, first 2 shown]
	v_min3_f32 v132, v133, v132, v46
	v_min3_f32 v46, v124, v123, 0x7f7fffff
	;; [unrolled: 1-line block ×3, first 2 shown]
	s_clause 0x1
	scratch_load_b32 v0, off, off offset:8
	scratch_load_b32 v1, off, off offset:12
	s_waitcnt vmcnt(0)
	ds_store_2addr_stride64_b32 v76, v0, v1 offset0:16 offset1:20
	ds_store_2addr_stride64_b32 v76, v80, v25 offset0:24 offset1:28
	ds_store_b32 v76, v78 offset:9216
	v_min3_f32 v133, v157, v156, v46
	v_min3_f32 v46, v126, v125, 0x7f7fffff
	s_waitcnt lgkmcnt(0)
	s_waitcnt_vscnt null, 0x0
	s_barrier
	buffer_gl0_inv
	v_min3_f32 v130, v159, v158, v46
	v_min3_f32 v46, v128, v127, 0x7f7fffff
	s_delay_alu instid0(VALU_DEP_1) | instskip(SKIP_1) | instid1(VALU_DEP_1)
	v_min3_f32 v131, v161, v160, v46
	v_min3_f32 v46, v151, v129, 0x7f7fffff
	v_min3_f32 v128, v163, v162, v46
	v_min3_f32 v46, v153, v152, 0x7f7fffff
	s_delay_alu instid0(VALU_DEP_1) | instskip(SKIP_1) | instid1(VALU_DEP_1)
	v_min3_f32 v129, v165, v164, v46
	v_min3_f32 v46, v155, v154, 0x7f7fffff
	;; [unrolled: 5-line block ×16, first 2 shown]
	v_min3_f32 v97, v71, v69, v46
	v_min3_f32 v46, v70, v68, 0x7f7fffff
	s_delay_alu instid0(VALU_DEP_1)
	v_min3_f32 v98, v84, v82, v46
	s_cbranch_scc1 .LBB16_12
; %bb.10:
	s_clause 0x1
	scratch_load_b32 v176, off, off
	scratch_load_b32 v175, off, off offset:4
	v_add_nc_u32_e32 v8, 8, v23
	v_add_nc_u32_e32 v6, 12, v23
	v_add_co_u32 v81, vcc_lo, s10, v18
	v_add_co_ci_u32_e32 v82, vcc_lo, s11, v19, vcc_lo
	s_delay_alu instid0(VALU_DEP_4) | instskip(NEXT) | instid1(VALU_DEP_4)
	v_mad_i64_i32 v[0:1], null, v8, s18, 0
	v_mad_i64_i32 v[2:3], null, v6, s16, 0
	;; [unrolled: 1-line block ×4, first 2 shown]
	v_add_co_u32 v86, vcc_lo, s12, v16
	v_lshlrev_b64 v[64:65], 2, v[0:1]
	v_lshlrev_b64 v[66:67], 2, v[2:3]
	;; [unrolled: 1-line block ×3, first 2 shown]
	v_or_b32_e32 v72, 0x2000, v76
	v_lshlrev_b64 v[70:71], 2, v[6:7]
	v_add_nc_u32_e32 v78, 0x2000, v177
	v_add_nc_u32_e32 v73, 0x2400, v76
	v_or_b32_e32 v80, 0x1000, v76
	v_add_co_ci_u32_e32 v87, vcc_lo, s13, v17, vcc_lo
	s_ashr_i32 s17, s16, 31
	s_ashr_i32 s19, s18, 31
	s_add_i32 s20, s8, -8
	s_lshl_b64 s[8:9], s[18:19], 5
	s_lshl_b64 s[10:11], s[16:17], 5
	s_mov_b32 s12, 0
	s_waitcnt vmcnt(1)
	v_lshl_add_u32 v84, v176, 4, 0x2400
	s_waitcnt vmcnt(0)
	v_lshl_add_u32 v85, v175, 4, 0x1000
.LBB16_11:                              ; =>This Inner Loop Header: Depth=1
	v_add_co_u32 v0, vcc_lo, v81, v70
	v_add_co_ci_u32_e32 v1, vcc_lo, v82, v71, vcc_lo
	s_add_i32 s12, s12, 8
	s_delay_alu instid0(SALU_CYCLE_1)
	s_cmp_ge_i32 s12, s20
	flat_load_b32 v155, v[0:1]
	v_add_co_u32 v0, vcc_lo, v86, v64
	v_add_co_ci_u32_e32 v1, vcc_lo, v87, v65, vcc_lo
	s_clause 0x3
	flat_load_b32 v151, v[0:1]
	flat_load_b32 v152, v[0:1] offset:256
	flat_load_b32 v153, v[0:1] offset:512
	;; [unrolled: 1-line block ×3, first 2 shown]
	ds_load_b128 v[28:31], v84
	ds_load_b128 v[24:27], v84 offset:128
	ds_load_b128 v[20:23], v84 offset:256
	;; [unrolled: 1-line block ×7, first 2 shown]
	ds_load_b128 v[60:63], v85
	ds_load_b128 v[56:59], v85 offset:512
	ds_load_b128 v[52:55], v85 offset:1024
	;; [unrolled: 1-line block ×7, first 2 shown]
	s_waitcnt vmcnt(4) lgkmcnt(20)
	ds_store_b32 v72, v155
	s_waitcnt vmcnt(2) lgkmcnt(19)
	ds_store_2addr_stride64_b32 v76, v151, v152 offset1:4
	s_waitcnt vmcnt(0) lgkmcnt(18)
	ds_store_2addr_stride64_b32 v76, v153, v154 offset0:8 offset1:12
	s_waitcnt lgkmcnt(10)
	v_add_f32_e32 v75, v29, v61
	v_add_f32_e32 v77, v28, v60
	s_waitcnt lgkmcnt(0)
	s_barrier
	buffer_gl0_inv
	v_min3_f32 v150, v77, v75, v150
	v_add_f32_e32 v75, v25, v61
	v_add_f32_e32 v77, v24, v60
	s_delay_alu instid0(VALU_DEP_1) | instskip(SKIP_2) | instid1(VALU_DEP_1)
	v_min3_f32 v148, v77, v75, v148
	v_add_f32_e32 v75, v21, v61
	v_add_f32_e32 v77, v20, v60
	v_min3_f32 v149, v77, v75, v149
	v_add_f32_e32 v75, v17, v61
	v_add_f32_e32 v77, v16, v60
	s_delay_alu instid0(VALU_DEP_1) | instskip(SKIP_2) | instid1(VALU_DEP_1)
	v_min3_f32 v156, v77, v75, v145
	v_add_f32_e32 v75, v13, v61
	v_add_f32_e32 v77, v12, v60
	v_min3_f32 v157, v77, v75, v146
	v_add_f32_e32 v75, v9, v61
	v_add_f32_e32 v77, v8, v60
	s_delay_alu instid0(VALU_DEP_1) | instskip(SKIP_3) | instid1(VALU_DEP_2)
	v_min3_f32 v158, v77, v75, v141
	v_add_f32_e32 v75, v5, v61
	v_add_f32_e32 v77, v4, v60
	v_dual_add_f32 v61, v1, v61 :: v_dual_add_f32 v60, v0, v60
	v_min3_f32 v159, v77, v75, v142
	v_add_f32_e32 v75, v4, v36
	s_delay_alu instid0(VALU_DEP_3) | instskip(SKIP_1) | instid1(VALU_DEP_1)
	v_min3_f32 v160, v60, v61, v138
	v_dual_add_f32 v60, v29, v57 :: v_dual_add_f32 v61, v28, v56
	v_min3_f32 v146, v61, v60, v147
	v_dual_add_f32 v60, v25, v57 :: v_dual_add_f32 v61, v24, v56
	s_delay_alu instid0(VALU_DEP_1) | instskip(SKIP_1) | instid1(VALU_DEP_1)
	v_min3_f32 v145, v61, v60, v143
	v_dual_add_f32 v60, v21, v57 :: v_dual_add_f32 v61, v20, v56
	v_min3_f32 v143, v61, v60, v144
	v_dual_add_f32 v60, v17, v57 :: v_dual_add_f32 v61, v16, v56
	s_delay_alu instid0(VALU_DEP_1) | instskip(SKIP_1) | instid1(VALU_DEP_1)
	v_min3_f32 v142, v61, v60, v139
	v_dual_add_f32 v60, v13, v57 :: v_dual_add_f32 v61, v12, v56
	v_min3_f32 v141, v61, v60, v140
	v_dual_add_f32 v60, v9, v57 :: v_dual_add_f32 v61, v8, v56
	s_delay_alu instid0(VALU_DEP_1) | instskip(SKIP_2) | instid1(VALU_DEP_2)
	v_min3_f32 v140, v61, v60, v136
	v_dual_add_f32 v60, v5, v57 :: v_dual_add_f32 v61, v4, v56
	v_dual_add_f32 v57, v1, v57 :: v_dual_add_f32 v56, v0, v56
	v_min3_f32 v139, v61, v60, v137
	s_delay_alu instid0(VALU_DEP_2) | instskip(SKIP_1) | instid1(VALU_DEP_1)
	v_min3_f32 v138, v56, v57, v134
	v_dual_add_f32 v56, v29, v53 :: v_dual_add_f32 v57, v28, v52
	v_min3_f32 v137, v57, v56, v135
	v_dual_add_f32 v56, v25, v53 :: v_dual_add_f32 v57, v24, v52
	s_delay_alu instid0(VALU_DEP_1) | instskip(SKIP_1) | instid1(VALU_DEP_1)
	v_min3_f32 v136, v57, v56, v132
	v_dual_add_f32 v56, v21, v53 :: v_dual_add_f32 v57, v20, v52
	v_min3_f32 v135, v57, v56, v133
	v_dual_add_f32 v56, v17, v53 :: v_dual_add_f32 v57, v16, v52
	s_delay_alu instid0(VALU_DEP_1) | instskip(SKIP_1) | instid1(VALU_DEP_1)
	v_min3_f32 v134, v57, v56, v130
	v_dual_add_f32 v56, v13, v53 :: v_dual_add_f32 v57, v12, v52
	v_min3_f32 v133, v57, v56, v131
	v_dual_add_f32 v56, v9, v53 :: v_dual_add_f32 v57, v8, v52
	s_delay_alu instid0(VALU_DEP_1) | instskip(SKIP_2) | instid1(VALU_DEP_2)
	v_min3_f32 v132, v57, v56, v128
	v_dual_add_f32 v56, v5, v53 :: v_dual_add_f32 v57, v4, v52
	v_dual_add_f32 v53, v1, v53 :: v_dual_add_f32 v52, v0, v52
	v_min3_f32 v131, v57, v56, v129
	s_delay_alu instid0(VALU_DEP_2) | instskip(SKIP_1) | instid1(VALU_DEP_1)
	;; [unrolled: 20-line block ×3, first 2 shown]
	v_min3_f32 v121, v48, v49, v116
	v_dual_add_f32 v48, v29, v45 :: v_dual_add_f32 v49, v28, v44
	v_min3_f32 v120, v49, v48, v123
	v_dual_add_f32 v48, v25, v45 :: v_dual_add_f32 v49, v24, v44
	s_delay_alu instid0(VALU_DEP_1) | instskip(SKIP_1) | instid1(VALU_DEP_1)
	v_min3_f32 v119, v49, v48, v117
	v_dual_add_f32 v48, v21, v45 :: v_dual_add_f32 v49, v20, v44
	v_min3_f32 v117, v49, v48, v118
	v_dual_add_f32 v48, v17, v45 :: v_dual_add_f32 v49, v16, v44
	s_delay_alu instid0(VALU_DEP_1) | instskip(SKIP_1) | instid1(VALU_DEP_1)
	v_min3_f32 v116, v49, v48, v114
	v_dual_add_f32 v48, v13, v45 :: v_dual_add_f32 v49, v12, v44
	v_min3_f32 v115, v49, v48, v115
	v_dual_add_f32 v48, v9, v45 :: v_dual_add_f32 v49, v8, v44
	s_delay_alu instid0(VALU_DEP_1) | instskip(SKIP_2) | instid1(VALU_DEP_1)
	v_min3_f32 v114, v49, v48, v112
	v_dual_add_f32 v48, v5, v45 :: v_dual_add_f32 v49, v4, v44
	v_dual_add_f32 v45, v1, v45 :: v_dual_add_f32 v44, v0, v44
	v_min3_f32 v112, v44, v45, v110
	v_dual_add_f32 v44, v29, v41 :: v_dual_add_f32 v45, v28, v40
	s_delay_alu instid0(VALU_DEP_1) | instskip(SKIP_1) | instid1(VALU_DEP_1)
	v_min3_f32 v111, v45, v44, v111
	v_dual_add_f32 v44, v25, v41 :: v_dual_add_f32 v45, v24, v40
	v_min3_f32 v110, v45, v44, v108
	v_dual_add_f32 v44, v21, v41 :: v_dual_add_f32 v45, v20, v40
	s_delay_alu instid0(VALU_DEP_1) | instskip(SKIP_1) | instid1(VALU_DEP_1)
	v_min3_f32 v108, v45, v44, v109
	;; [unrolled: 5-line block ×3, first 2 shown]
	v_dual_add_f32 v44, v9, v41 :: v_dual_add_f32 v45, v8, v40
	v_min3_f32 v57, v45, v44, v104
	v_dual_add_f32 v44, v5, v41 :: v_dual_add_f32 v45, v4, v40
	v_dual_add_f32 v41, v1, v41 :: v_dual_add_f32 v40, v0, v40
	v_min3_f32 v113, v49, v48, v113
	v_add_f32_e32 v4, v4, v32
	s_delay_alu instid0(VALU_DEP_4) | instskip(NEXT) | instid1(VALU_DEP_4)
	v_min3_f32 v56, v45, v44, v105
	v_min3_f32 v53, v40, v41, v102
	v_dual_add_f32 v40, v29, v37 :: v_dual_add_f32 v41, v28, v36
	v_dual_add_f32 v29, v29, v33 :: v_dual_add_f32 v28, v28, v32
	s_delay_alu instid0(VALU_DEP_2) | instskip(SKIP_2) | instid1(VALU_DEP_2)
	v_min3_f32 v52, v41, v40, v103
	v_dual_add_f32 v40, v25, v37 :: v_dual_add_f32 v41, v24, v36
	v_dual_add_f32 v25, v25, v33 :: v_dual_add_f32 v24, v24, v32
	v_min3_f32 v49, v41, v40, v100
	v_dual_add_f32 v40, v21, v37 :: v_dual_add_f32 v41, v20, v36
	v_dual_add_f32 v21, v21, v33 :: v_dual_add_f32 v20, v20, v32
	s_delay_alu instid0(VALU_DEP_4) | instskip(NEXT) | instid1(VALU_DEP_3)
	v_min3_f32 v24, v24, v25, v91
	v_min3_f32 v48, v41, v40, v101
	v_dual_add_f32 v40, v17, v37 :: v_dual_add_f32 v41, v16, v36
	s_delay_alu instid0(VALU_DEP_4) | instskip(SKIP_1) | instid1(VALU_DEP_3)
	v_min3_f32 v20, v20, v21, v92
	v_dual_add_f32 v17, v17, v33 :: v_dual_add_f32 v16, v16, v32
	v_min3_f32 v45, v41, v40, v97
	v_dual_add_f32 v40, v13, v37 :: v_dual_add_f32 v41, v12, v36
	v_dual_add_f32 v13, v13, v33 :: v_dual_add_f32 v12, v12, v32
	s_delay_alu instid0(VALU_DEP_4) | instskip(NEXT) | instid1(VALU_DEP_3)
	v_min3_f32 v16, v16, v17, v89
	v_min3_f32 v44, v41, v40, v98
	v_dual_add_f32 v40, v9, v37 :: v_dual_add_f32 v41, v8, v36
	v_add_f32_e32 v36, v0, v36
	v_add_f32_e32 v0, v0, v32
	v_min3_f32 v28, v28, v29, v94
	v_min3_f32 v12, v12, v13, v90
	;; [unrolled: 1-line block ×3, first 2 shown]
	v_add_f32_e32 v40, v5, v37
	v_add_f32_e32 v37, v1, v37
	;; [unrolled: 1-line block ×4, first 2 shown]
	v_dual_add_f32 v9, v9, v33 :: v_dual_add_f32 v8, v8, v32
	s_delay_alu instid0(VALU_DEP_4) | instskip(NEXT) | instid1(VALU_DEP_4)
	v_min3_f32 v36, v36, v37, v93
	v_min3_f32 v4, v4, v5, v88
	s_delay_alu instid0(VALU_DEP_4) | instskip(SKIP_4) | instid1(VALU_DEP_3)
	v_min3_f32 v0, v0, v1, v99
	v_add_f32_e32 v1, v31, v63
	v_add_f32_e32 v5, v30, v62
	v_min3_f32 v8, v8, v9, v83
	v_min3_f32 v40, v75, v40, v96
	;; [unrolled: 1-line block ×3, first 2 shown]
	v_add_f32_e32 v1, v27, v63
	v_add_f32_e32 v5, v26, v62
	s_delay_alu instid0(VALU_DEP_1) | instskip(SKIP_2) | instid1(VALU_DEP_1)
	v_min3_f32 v93, v5, v1, v148
	v_add_f32_e32 v1, v23, v63
	v_add_f32_e32 v5, v22, v62
	v_min3_f32 v92, v5, v1, v149
	v_add_f32_e32 v1, v19, v63
	v_add_f32_e32 v5, v18, v62
	s_delay_alu instid0(VALU_DEP_1) | instskip(SKIP_2) | instid1(VALU_DEP_1)
	v_min3_f32 v91, v5, v1, v156
	v_add_f32_e32 v1, v15, v63
	v_add_f32_e32 v5, v14, v62
	v_min3_f32 v90, v5, v1, v157
	;; [unrolled: 7-line block ×27, first 2 shown]
	v_add_f32_e32 v1, v3, v39
	v_add_f32_e32 v5, v2, v38
	;; [unrolled: 1-line block ×3, first 2 shown]
	s_delay_alu instid0(VALU_DEP_2) | instskip(SKIP_2) | instid1(VALU_DEP_1)
	v_min3_f32 v166, v5, v1, v36
	v_add_f32_e32 v1, v31, v35
	v_add_f32_e32 v5, v30, v34
	v_min3_f32 v167, v5, v1, v28
	v_add_f32_e32 v1, v27, v35
	v_add_f32_e32 v5, v26, v34
	s_delay_alu instid0(VALU_DEP_1) | instskip(SKIP_2) | instid1(VALU_DEP_1)
	v_min3_f32 v168, v5, v1, v24
	v_add_f32_e32 v1, v23, v35
	v_add_f32_e32 v5, v22, v34
	v_min3_f32 v169, v5, v1, v20
	v_add_f32_e32 v1, v19, v35
	v_add_f32_e32 v5, v18, v34
	s_delay_alu instid0(VALU_DEP_1) | instskip(SKIP_2) | instid1(VALU_DEP_1)
	;; [unrolled: 7-line block ×3, first 2 shown]
	v_min3_f32 v172, v5, v1, v8
	v_add_f32_e32 v1, v7, v35
	v_add_f32_e32 v5, v6, v34
	v_min3_f32 v173, v5, v1, v4
	v_add_f32_e32 v1, v3, v35
	s_delay_alu instid0(VALU_DEP_1)
	v_min3_f32 v174, v2, v1, v0
	v_add_co_u32 v0, vcc_lo, v81, v66
	v_add_co_ci_u32_e32 v1, vcc_lo, v82, v67, vcc_lo
	flat_load_b32 v155, v[0:1]
	v_add_co_u32 v0, vcc_lo, v86, v68
	v_add_co_ci_u32_e32 v1, vcc_lo, v87, v69, vcc_lo
	s_clause 0x3
	flat_load_b32 v151, v[0:1]
	flat_load_b32 v152, v[0:1] offset:256
	flat_load_b32 v153, v[0:1] offset:512
	;; [unrolled: 1-line block ×3, first 2 shown]
	ds_load_b128 v[32:35], v78
	ds_load_b128 v[28:31], v78 offset:128
	ds_load_b128 v[24:27], v78 offset:256
	;; [unrolled: 1-line block ×7, first 2 shown]
	ds_load_b128 v[60:63], v74
	ds_load_b128 v[56:59], v74 offset:512
	ds_load_b128 v[52:55], v74 offset:1024
	;; [unrolled: 1-line block ×7, first 2 shown]
	v_add_co_u32 v86, vcc_lo, v86, s8
	v_add_co_ci_u32_e32 v87, vcc_lo, s9, v87, vcc_lo
	v_add_co_u32 v81, vcc_lo, v81, s10
	v_add_co_ci_u32_e32 v82, vcc_lo, s11, v82, vcc_lo
	s_waitcnt vmcnt(4) lgkmcnt(20)
	ds_store_b32 v73, v155
	s_waitcnt vmcnt(2) lgkmcnt(19)
	ds_store_2addr_stride64_b32 v80, v151, v152 offset1:4
	s_waitcnt vmcnt(0) lgkmcnt(18)
	ds_store_2addr_stride64_b32 v80, v153, v154 offset0:8 offset1:12
	s_waitcnt lgkmcnt(10)
	v_dual_add_f32 v108, v33, v61 :: v_dual_add_f32 v109, v32, v60
	s_waitcnt lgkmcnt(0)
	s_barrier
	buffer_gl0_inv
	v_min3_f32 v122, v109, v108, v94
	v_add_f32_e32 v94, v29, v61
	v_add_f32_e32 v108, v28, v60
	s_delay_alu instid0(VALU_DEP_1) | instskip(SKIP_1) | instid1(VALU_DEP_1)
	v_min3_f32 v124, v108, v94, v93
	v_dual_add_f32 v93, v25, v61 :: v_dual_add_f32 v94, v24, v60
	v_min3_f32 v125, v94, v93, v92
	v_dual_add_f32 v92, v21, v61 :: v_dual_add_f32 v93, v20, v60
	s_delay_alu instid0(VALU_DEP_1) | instskip(SKIP_1) | instid1(VALU_DEP_1)
	v_min3_f32 v126, v93, v92, v91
	v_dual_add_f32 v91, v17, v61 :: v_dual_add_f32 v92, v16, v60
	v_min3_f32 v127, v92, v91, v90
	v_dual_add_f32 v90, v9, v61 :: v_dual_add_f32 v91, v8, v60
	s_delay_alu instid0(VALU_DEP_1) | instskip(SKIP_2) | instid1(VALU_DEP_2)
	v_min3_f32 v128, v91, v90, v89
	v_dual_add_f32 v89, v5, v61 :: v_dual_add_f32 v90, v4, v60
	v_dual_add_f32 v61, v1, v61 :: v_dual_add_f32 v60, v0, v60
	v_min3_f32 v129, v90, v89, v88
	s_delay_alu instid0(VALU_DEP_2) | instskip(SKIP_1) | instid1(VALU_DEP_1)
	v_min3_f32 v132, v60, v61, v83
	v_dual_add_f32 v60, v33, v57 :: v_dual_add_f32 v61, v32, v56
	v_min3_f32 v121, v61, v60, v95
	v_dual_add_f32 v60, v29, v57 :: v_dual_add_f32 v61, v28, v56
	s_delay_alu instid0(VALU_DEP_1) | instskip(SKIP_1) | instid1(VALU_DEP_1)
	v_min3_f32 v120, v61, v60, v96
	v_dual_add_f32 v60, v25, v57 :: v_dual_add_f32 v61, v24, v56
	v_min3_f32 v119, v61, v60, v97
	v_dual_add_f32 v60, v21, v57 :: v_dual_add_f32 v61, v20, v56
	s_delay_alu instid0(VALU_DEP_1) | instskip(SKIP_1) | instid1(VALU_DEP_1)
	v_min3_f32 v118, v61, v60, v98
	v_dual_add_f32 v60, v17, v57 :: v_dual_add_f32 v61, v16, v56
	v_min3_f32 v117, v61, v60, v99
	v_dual_add_f32 v60, v9, v57 :: v_dual_add_f32 v61, v8, v56
	s_delay_alu instid0(VALU_DEP_1) | instskip(SKIP_2) | instid1(VALU_DEP_2)
	v_min3_f32 v116, v61, v60, v100
	v_dual_add_f32 v60, v5, v57 :: v_dual_add_f32 v61, v4, v56
	v_dual_add_f32 v57, v1, v57 :: v_dual_add_f32 v56, v0, v56
	v_min3_f32 v115, v61, v60, v101
	s_delay_alu instid0(VALU_DEP_2) | instskip(SKIP_1) | instid1(VALU_DEP_1)
	v_min3_f32 v114, v56, v57, v102
	v_dual_add_f32 v56, v33, v53 :: v_dual_add_f32 v57, v32, v52
	v_min3_f32 v113, v57, v56, v103
	v_dual_add_f32 v56, v29, v53 :: v_dual_add_f32 v57, v28, v52
	;; [unrolled: 20-line block ×5, first 2 shown]
	s_delay_alu instid0(VALU_DEP_1) | instskip(SKIP_1) | instid1(VALU_DEP_1)
	v_min3_f32 v88, v45, v44, v150
	v_dual_add_f32 v44, v25, v41 :: v_dual_add_f32 v45, v24, v40
	v_min3_f32 v83, v45, v44, v156
	v_dual_add_f32 v44, v21, v41 :: v_dual_add_f32 v45, v20, v40
	s_delay_alu instid0(VALU_DEP_1) | instskip(SKIP_1) | instid1(VALU_DEP_1)
	v_min3_f32 v61, v45, v44, v157
	v_dual_add_f32 v44, v17, v41 :: v_dual_add_f32 v45, v16, v40
	v_min3_f32 v60, v45, v44, v158
	v_dual_add_f32 v44, v9, v41 :: v_dual_add_f32 v45, v8, v40
	s_delay_alu instid0(VALU_DEP_1) | instskip(SKIP_2) | instid1(VALU_DEP_2)
	v_min3_f32 v57, v45, v44, v159
	v_dual_add_f32 v44, v5, v41 :: v_dual_add_f32 v45, v4, v40
	v_dual_add_f32 v41, v1, v41 :: v_dual_add_f32 v40, v0, v40
	v_min3_f32 v56, v45, v44, v160
	s_delay_alu instid0(VALU_DEP_2) | instskip(SKIP_2) | instid1(VALU_DEP_2)
	v_min3_f32 v53, v40, v41, v161
	v_dual_add_f32 v40, v33, v37 :: v_dual_add_f32 v41, v32, v36
	v_dual_add_f32 v33, v33, v13 :: v_dual_add_f32 v32, v32, v12
	v_min3_f32 v52, v41, v40, v75
	v_dual_add_f32 v40, v29, v37 :: v_dual_add_f32 v41, v28, v36
	v_add_f32_e32 v75, v4, v36
	v_add_f32_e32 v4, v4, v12
	v_min3_f32 v32, v32, v33, v167
	v_add_f32_e32 v29, v29, v13
	v_min3_f32 v49, v41, v40, v77
	v_dual_add_f32 v40, v25, v37 :: v_dual_add_f32 v41, v24, v36
	v_dual_add_f32 v28, v28, v12 :: v_dual_add_f32 v25, v25, v13
	v_add_f32_e32 v24, v24, v12
	s_delay_alu instid0(VALU_DEP_3) | instskip(SKIP_1) | instid1(VALU_DEP_4)
	v_min3_f32 v48, v41, v40, v79
	v_dual_add_f32 v40, v21, v37 :: v_dual_add_f32 v41, v20, v36
	v_min3_f32 v28, v28, v29, v168
	s_delay_alu instid0(VALU_DEP_4) | instskip(SKIP_1) | instid1(VALU_DEP_4)
	v_min3_f32 v24, v24, v25, v169
	v_dual_add_f32 v21, v21, v13 :: v_dual_add_f32 v20, v20, v12
	v_min3_f32 v45, v41, v40, v162
	v_dual_add_f32 v40, v17, v37 :: v_dual_add_f32 v41, v16, v36
	v_add_f32_e32 v17, v17, v13
	s_delay_alu instid0(VALU_DEP_4) | instskip(SKIP_1) | instid1(VALU_DEP_4)
	v_min3_f32 v20, v20, v21, v170
	v_add_f32_e32 v16, v16, v12
	v_min3_f32 v44, v41, v40, v163
	v_dual_add_f32 v40, v9, v37 :: v_dual_add_f32 v41, v8, v36
	v_add_f32_e32 v36, v0, v36
	v_add_f32_e32 v0, v0, v12
	v_min3_f32 v16, v16, v17, v171
	v_add_f32_e32 v9, v9, v13
	v_min3_f32 v41, v41, v40, v164
	v_add_f32_e32 v40, v5, v37
	v_add_f32_e32 v37, v1, v37
	;; [unrolled: 1-line block ×3, first 2 shown]
	v_dual_add_f32 v1, v1, v13 :: v_dual_add_f32 v8, v8, v12
	s_delay_alu instid0(VALU_DEP_4) | instskip(NEXT) | instid1(VALU_DEP_4)
	v_min3_f32 v40, v75, v40, v165
	v_min3_f32 v36, v36, v37, v166
	s_delay_alu instid0(VALU_DEP_4) | instskip(NEXT) | instid1(VALU_DEP_4)
	v_min3_f32 v4, v4, v5, v173
	v_min3_f32 v0, v0, v1, v174
	v_add_f32_e32 v1, v35, v63
	v_add_f32_e32 v5, v34, v62
	v_min3_f32 v8, v8, v9, v172
	s_delay_alu instid0(VALU_DEP_2) | instskip(SKIP_2) | instid1(VALU_DEP_1)
	v_min3_f32 v150, v5, v1, v122
	v_add_f32_e32 v1, v31, v63
	v_add_f32_e32 v5, v30, v62
	v_min3_f32 v148, v5, v1, v124
	v_add_f32_e32 v1, v27, v63
	v_add_f32_e32 v5, v26, v62
	s_delay_alu instid0(VALU_DEP_1) | instskip(SKIP_2) | instid1(VALU_DEP_1)
	v_min3_f32 v149, v5, v1, v125
	v_add_f32_e32 v1, v23, v63
	v_add_f32_e32 v5, v22, v62
	v_min3_f32 v145, v5, v1, v126
	v_add_f32_e32 v1, v19, v63
	v_add_f32_e32 v5, v18, v62
	s_delay_alu instid0(VALU_DEP_1) | instskip(SKIP_2) | instid1(VALU_DEP_1)
	;; [unrolled: 7-line block ×26, first 2 shown]
	v_min3_f32 v98, v5, v1, v44
	v_add_f32_e32 v1, v11, v39
	v_add_f32_e32 v5, v10, v38
	v_min3_f32 v95, v5, v1, v41
	v_add_f32_e32 v1, v7, v39
	v_add_f32_e32 v5, v6, v38
	s_delay_alu instid0(VALU_DEP_1) | instskip(SKIP_3) | instid1(VALU_DEP_2)
	v_min3_f32 v96, v5, v1, v40
	v_add_f32_e32 v1, v3, v39
	v_add_f32_e32 v5, v2, v38
	;; [unrolled: 1-line block ×3, first 2 shown]
	v_min3_f32 v93, v5, v1, v36
	v_add_f32_e32 v1, v35, v15
	v_add_f32_e32 v5, v34, v14
	s_delay_alu instid0(VALU_DEP_1) | instskip(SKIP_2) | instid1(VALU_DEP_1)
	v_min3_f32 v94, v5, v1, v32
	v_add_f32_e32 v1, v31, v15
	v_add_f32_e32 v5, v30, v14
	v_min3_f32 v91, v5, v1, v28
	v_add_f32_e32 v1, v27, v15
	v_add_f32_e32 v5, v26, v14
	s_delay_alu instid0(VALU_DEP_1) | instskip(SKIP_2) | instid1(VALU_DEP_1)
	v_min3_f32 v92, v5, v1, v24
	v_add_f32_e32 v1, v23, v15
	v_add_f32_e32 v5, v22, v14
	v_min3_f32 v89, v5, v1, v20
	v_add_f32_e32 v1, v19, v15
	v_add_f32_e32 v5, v18, v14
	s_delay_alu instid0(VALU_DEP_1) | instskip(SKIP_2) | instid1(VALU_DEP_1)
	v_min3_f32 v90, v5, v1, v16
	v_add_f32_e32 v1, v11, v15
	v_add_f32_e32 v5, v10, v14
	v_min3_f32 v83, v5, v1, v8
	v_add_f32_e32 v1, v7, v15
	v_add_f32_e32 v5, v6, v14
	s_delay_alu instid0(VALU_DEP_1) | instskip(SKIP_1) | instid1(VALU_DEP_1)
	v_min3_f32 v88, v5, v1, v4
	v_add_f32_e32 v1, v3, v15
	v_min3_f32 v99, v2, v1, v0
	s_cbranch_scc0 .LBB16_11
	s_branch .LBB16_13
.LBB16_12:
	s_clause 0x1
	scratch_load_b32 v175, off, off offset:4
	scratch_load_b32 v176, off, off
.LBB16_13:
	ds_load_b128 v[32:35], v177 offset:9216
	ds_load_b128 v[60:63], v74 offset:4096
	s_clause 0x2
	s_load_b32 s9, s[0:1], 0x68
	s_load_b32 s8, s[0:1], 0x50
	s_load_b64 s[0:1], s[0:1], 0x70
	s_waitcnt vmcnt(1)
	v_add_nc_u32_e32 v80, s15, v175
	s_waitcnt vmcnt(0) lgkmcnt(0)
	v_dual_add_f32 v9, v34, v62 :: v_dual_add_nc_u32 v76, s14, v176
	v_add_f32_e32 v7, v32, v60
	s_delay_alu instid0(VALU_DEP_3)
	v_mad_i64_i32 v[2:3], null, v80, s9, 0
	v_mad_i64_i32 v[4:5], null, v80, s8, 0
	v_add_f32_e32 v6, v33, v61
	v_add_f32_e32 v8, v35, v63
	s_lshl_b64 s[0:1], s[0:1], 2
	v_ashrrev_i32_e32 v77, 31, v76
	v_lshlrev_b64 v[2:3], 2, v[2:3]
	v_min3_f32 v6, v7, v6, v150
	v_lshlrev_b64 v[4:5], 2, v[4:5]
	s_add_u32 s0, s6, s0
	v_add_nc_u32_e32 v0, 8, v76
	s_addc_u32 s1, s7, s1
	v_min3_f32 v6, v9, v8, v6
	v_add_co_u32 v81, vcc_lo, s0, v2
	v_add_co_ci_u32_e32 v82, vcc_lo, s1, v3, vcc_lo
	v_add_co_u32 v84, vcc_lo, s4, v4
	v_lshlrev_b64 v[66:67], 2, v[76:77]
	v_ashrrev_i32_e32 v1, 31, v0
	v_add_co_ci_u32_e32 v85, vcc_lo, s5, v5, vcc_lo
	v_max_f32_e32 v2, v6, v6
	s_mov_b32 vcc_lo, s2
	s_cbranch_vccz .LBB16_15
; %bb.14:
	v_add_co_u32 v3, vcc_lo, v81, v66
	s_delay_alu instid0(VALU_DEP_2)
	v_min_f32_e32 v5, 0, v2
	v_add_co_ci_u32_e32 v4, vcc_lo, v82, v67, vcc_lo
	s_mov_b32 s6, 0
	global_store_b32 v[3:4], v5, off
	s_branch .LBB16_16
.LBB16_15:
	s_mov_b32 s6, -1
.LBB16_16:
	ds_load_b128 v[28:31], v177 offset:9344
	ds_load_b128 v[24:27], v177 offset:9472
	v_lshlrev_b64 v[64:65], 2, v[0:1]
	s_and_not1_b32 vcc_lo, exec_lo, s6
	s_cbranch_vccnz .LBB16_18
; %bb.17:
	v_add_co_u32 v0, vcc_lo, v84, v66
	v_add_co_ci_u32_e32 v1, vcc_lo, v85, v67, vcc_lo
	flat_load_b32 v0, v[0:1]
	s_waitcnt vmcnt(0) lgkmcnt(0)
	v_mul_f32_e32 v3, s3, v0
	v_add_co_u32 v0, vcc_lo, v81, v66
	v_add_co_ci_u32_e32 v1, vcc_lo, v82, v67, vcc_lo
	s_delay_alu instid0(VALU_DEP_3)
	v_min_f32_e32 v4, v3, v2
	v_add_co_u32 v2, vcc_lo, v84, v64
	v_add_co_ci_u32_e32 v3, vcc_lo, v85, v65, vcc_lo
	global_store_b32 v[0:1], v4, off
	flat_load_b32 v0, v[2:3]
	s_waitcnt vmcnt(0) lgkmcnt(0)
	v_mul_f32_e32 v69, s3, v0
	s_branch .LBB16_19
.LBB16_18:
	v_mov_b32_e32 v69, s6
.LBB16_19:
	ds_load_b128 v[16:19], v177 offset:9728
	ds_load_b128 v[12:15], v177 offset:9856
	;; [unrolled: 1-line block ×10, first 2 shown]
	s_waitcnt lgkmcnt(10)
	v_dual_add_f32 v68, v25, v61 :: v_dual_add_f32 v73, v31, v63
	v_dual_add_f32 v70, v24, v60 :: v_dual_add_f32 v71, v29, v61
	ds_load_b128 v[20:23], v177 offset:9600
	ds_load_b128 v[4:7], v74 offset:7680
	v_dual_add_f32 v72, v28, v60 :: v_dual_add_f32 v75, v27, v63
	v_add_f32_e32 v74, v30, v62
	v_min3_f32 v68, v70, v68, v149
	v_dual_add_f32 v77, v26, v62 :: v_dual_add_nc_u32 v70, 16, v76
	s_delay_alu instid0(VALU_DEP_4) | instskip(NEXT) | instid1(VALU_DEP_4)
	v_min3_f32 v72, v72, v71, v148
	v_min_f32_e32 v73, v74, v73
	s_delay_alu instid0(VALU_DEP_3) | instskip(SKIP_2) | instid1(VALU_DEP_4)
	v_min3_f32 v75, v77, v75, v68
	v_add_nc_u32_e32 v68, 24, v76
	v_ashrrev_i32_e32 v71, 31, v70
	v_min3_f32 v77, v69, v73, v72
	v_add_co_u32 v73, vcc_lo, v81, v64
	v_add_co_ci_u32_e32 v74, vcc_lo, v82, v65, vcc_lo
	s_delay_alu instid0(VALU_DEP_4)
	v_lshlrev_b64 v[70:71], 2, v[70:71]
	v_ashrrev_i32_e32 v69, 31, v68
	v_max_f32_e32 v72, v75, v75
	s_mov_b32 vcc_lo, s2
	global_store_b32 v[73:74], v77, off
	s_cbranch_vccz .LBB16_22
; %bb.20:
	v_add_co_u32 v73, vcc_lo, v81, v70
	v_min_f32_e32 v75, 0, v72
	v_add_co_ci_u32_e32 v74, vcc_lo, v82, v71, vcc_lo
	s_mov_b32 s6, 0
	global_store_b32 v[73:74], v75, off
	v_lshlrev_b64 v[68:69], 2, v[68:69]
	s_cbranch_execz .LBB16_23
; %bb.21:
	v_mov_b32_e32 v73, s6
	s_branch .LBB16_24
.LBB16_22:
	s_mov_b32 s6, -1
	v_lshlrev_b64 v[68:69], 2, v[68:69]
.LBB16_23:
	v_add_co_u32 v73, vcc_lo, v84, v70
	v_add_co_ci_u32_e32 v74, vcc_lo, v85, v71, vcc_lo
	flat_load_b32 v73, v[73:74]
	s_waitcnt vmcnt(0) lgkmcnt(0)
	v_mul_f32_e32 v75, s3, v73
	v_add_co_u32 v73, vcc_lo, v81, v70
	v_add_co_ci_u32_e32 v74, vcc_lo, v82, v71, vcc_lo
	v_add_co_u32 v77, vcc_lo, v84, v68
	s_delay_alu instid0(VALU_DEP_4)
	v_min_f32_e32 v72, v75, v72
	v_add_co_ci_u32_e32 v78, vcc_lo, v85, v69, vcc_lo
	global_store_b32 v[73:74], v72, off
	flat_load_b32 v72, v[77:78]
	s_waitcnt vmcnt(0) lgkmcnt(0)
	v_mul_f32_e32 v73, s3, v72
.LBB16_24:
	s_waitcnt lgkmcnt(1)
	v_dual_add_f32 v72, v17, v61 :: v_dual_add_f32 v77, v20, v60
	v_dual_add_f32 v74, v16, v60 :: v_dual_add_f32 v75, v21, v61
	;; [unrolled: 1-line block ×4, first 2 shown]
	s_delay_alu instid0(VALU_DEP_3) | instskip(NEXT) | instid1(VALU_DEP_4)
	v_min3_f32 v72, v74, v72, v146
	v_min3_f32 v77, v77, v75, v145
	s_delay_alu instid0(VALU_DEP_4) | instskip(NEXT) | instid1(VALU_DEP_3)
	v_min_f32_e32 v78, v79, v78
	v_min3_f32 v86, v87, v86, v72
	v_add_nc_u32_e32 v74, 32, v76
	s_delay_alu instid0(VALU_DEP_3)
	v_min3_f32 v87, v73, v78, v77
	v_add_nc_u32_e32 v72, 40, v76
	v_add_co_u32 v78, vcc_lo, v81, v68
	v_max_f32_e32 v77, v86, v86
	v_ashrrev_i32_e32 v75, 31, v74
	v_add_co_ci_u32_e32 v79, vcc_lo, v82, v69, vcc_lo
	v_ashrrev_i32_e32 v73, 31, v72
	s_mov_b32 vcc_lo, s2
	s_delay_alu instid0(VALU_DEP_3)
	v_lshlrev_b64 v[74:75], 2, v[74:75]
	global_store_b32 v[78:79], v87, off
	s_cbranch_vccz .LBB16_27
; %bb.25:
	v_add_co_u32 v78, vcc_lo, v81, v74
	v_min_f32_e32 v86, 0, v77
	v_add_co_ci_u32_e32 v79, vcc_lo, v82, v75, vcc_lo
	s_mov_b32 s6, 0
	global_store_b32 v[78:79], v86, off
	v_lshlrev_b64 v[72:73], 2, v[72:73]
	s_cbranch_execz .LBB16_28
; %bb.26:
	v_mov_b32_e32 v77, s6
	s_branch .LBB16_29
.LBB16_27:
	s_mov_b32 s6, -1
	v_lshlrev_b64 v[72:73], 2, v[72:73]
.LBB16_28:
	v_add_co_u32 v78, vcc_lo, v84, v74
	v_add_co_ci_u32_e32 v79, vcc_lo, v85, v75, vcc_lo
	flat_load_b32 v78, v[78:79]
	s_waitcnt vmcnt(0) lgkmcnt(0)
	v_mul_f32_e32 v86, s3, v78
	v_add_co_u32 v78, vcc_lo, v81, v74
	v_add_co_ci_u32_e32 v79, vcc_lo, v82, v75, vcc_lo
	s_delay_alu instid0(VALU_DEP_3)
	v_min_f32_e32 v77, v86, v77
	v_add_co_u32 v86, vcc_lo, v84, v72
	v_add_co_ci_u32_e32 v87, vcc_lo, v85, v73, vcc_lo
	global_store_b32 v[78:79], v77, off
	flat_load_b32 v77, v[86:87]
	s_waitcnt vmcnt(0) lgkmcnt(0)
	v_mul_f32_e32 v77, s3, v77
.LBB16_29:
	v_dual_add_f32 v78, v9, v61 :: v_dual_add_f32 v79, v8, v60
	v_dual_add_f32 v86, v13, v61 :: v_dual_add_f32 v87, v12, v60
	;; [unrolled: 1-line block ×3, first 2 shown]
	s_delay_alu instid0(VALU_DEP_3) | instskip(SKIP_4) | instid1(VALU_DEP_4)
	v_min3_f32 v79, v79, v78, v142
	v_add_f32_e32 v142, v14, v62
	v_add_f32_e32 v146, v11, v63
	v_add_nc_u32_e32 v78, 48, v76
	v_min3_f32 v86, v87, v86, v141
	v_dual_min_f32 v87, v142, v145 :: v_dual_add_nc_u32 v76, 56, v76
	s_delay_alu instid0(VALU_DEP_4) | instskip(NEXT) | instid1(VALU_DEP_4)
	v_min3_f32 v145, v148, v146, v79
	v_ashrrev_i32_e32 v79, 31, v78
	v_add_co_u32 v141, vcc_lo, v81, v72
	s_delay_alu instid0(VALU_DEP_4) | instskip(SKIP_1) | instid1(VALU_DEP_4)
	v_min3_f32 v87, v77, v87, v86
	v_add_co_ci_u32_e32 v142, vcc_lo, v82, v73, vcc_lo
	v_lshlrev_b64 v[78:79], 2, v[78:79]
	v_ashrrev_i32_e32 v77, 31, v76
	v_max_f32_e32 v86, v145, v145
	s_mov_b32 vcc_lo, s2
	global_store_b32 v[141:142], v87, off
	s_cbranch_vccz .LBB16_32
; %bb.30:
	v_add_co_u32 v141, vcc_lo, v81, v78
	v_min_f32_e32 v87, 0, v86
	v_add_co_ci_u32_e32 v142, vcc_lo, v82, v79, vcc_lo
	s_mov_b32 s6, 0
	global_store_b32 v[141:142], v87, off
	v_lshlrev_b64 v[76:77], 2, v[76:77]
	s_cbranch_execz .LBB16_33
; %bb.31:
	v_mov_b32_e32 v84, s6
	s_branch .LBB16_34
.LBB16_32:
	s_mov_b32 s6, -1
	v_lshlrev_b64 v[76:77], 2, v[76:77]
.LBB16_33:
	v_add_co_u32 v141, vcc_lo, v84, v78
	v_add_co_ci_u32_e32 v142, vcc_lo, v85, v79, vcc_lo
	flat_load_b32 v87, v[141:142]
	v_add_co_u32 v141, vcc_lo, v81, v78
	v_add_co_ci_u32_e32 v142, vcc_lo, v82, v79, vcc_lo
	v_add_co_u32 v84, vcc_lo, v84, v76
	v_add_co_ci_u32_e32 v85, vcc_lo, v85, v77, vcc_lo
	s_waitcnt vmcnt(0) lgkmcnt(0)
	v_mul_f32_e32 v87, s3, v87
	s_delay_alu instid0(VALU_DEP_1)
	v_min_f32_e32 v86, v87, v86
	global_store_b32 v[141:142], v86, off
	flat_load_b32 v84, v[84:85]
	s_waitcnt vmcnt(0) lgkmcnt(0)
	v_mul_f32_e32 v84, s3, v84
.LBB16_34:
	v_dual_add_f32 v85, v33, v57 :: v_dual_add_f32 v86, v32, v56
	v_dual_add_f32 v61, v1, v61 :: v_dual_add_f32 v60, v0, v60
	;; [unrolled: 1-line block ×3, first 2 shown]
	s_delay_alu instid0(VALU_DEP_3) | instskip(SKIP_1) | instid1(VALU_DEP_4)
	v_min3_f32 v85, v86, v85, v147
	v_add_nc_u32_e32 v86, 32, v80
	v_min3_f32 v87, v60, v61, v138
	v_dual_add_f32 v138, v35, v59 :: v_dual_add_f32 v141, v34, v58
	v_min_f32_e32 v142, v62, v63
	s_delay_alu instid0(VALU_DEP_4) | instskip(SKIP_1) | instid1(VALU_DEP_3)
	v_mad_i64_i32 v[60:61], null, v86, s9, 0
	v_mad_i64_i32 v[62:63], null, v86, s8, 0
	v_min3_f32 v87, v84, v142, v87
	v_add_co_u32 v84, vcc_lo, v81, v76
	v_min3_f32 v86, v141, v138, v85
	v_lshlrev_b64 v[60:61], 2, v[60:61]
	v_add_co_ci_u32_e32 v85, vcc_lo, v82, v77, vcc_lo
	v_lshlrev_b64 v[62:63], 2, v[62:63]
	s_delay_alu instid0(VALU_DEP_4) | instskip(NEXT) | instid1(VALU_DEP_4)
	v_max_f32_e32 v81, v86, v86
	v_add_co_u32 v60, vcc_lo, s0, v60
	v_add_co_ci_u32_e32 v61, vcc_lo, s1, v61, vcc_lo
	s_delay_alu instid0(VALU_DEP_4)
	v_add_co_u32 v62, vcc_lo, s4, v62
	v_add_co_ci_u32_e32 v63, vcc_lo, s5, v63, vcc_lo
	s_mov_b32 vcc_lo, s2
	global_store_b32 v[84:85], v87, off
	s_cbranch_vccz .LBB16_37
; %bb.35:
	v_add_co_u32 v84, vcc_lo, v60, v66
	v_min_f32_e32 v82, 0, v81
	v_add_co_ci_u32_e32 v85, vcc_lo, v61, v67, vcc_lo
	s_mov_b32 s6, 0
	global_store_b32 v[84:85], v82, off
	s_cbranch_execz .LBB16_38
; %bb.36:
	v_mov_b32_e32 v81, s6
	s_branch .LBB16_39
.LBB16_37:
	s_mov_b32 s6, -1
.LBB16_38:
	v_add_co_u32 v84, vcc_lo, v62, v66
	v_add_co_ci_u32_e32 v85, vcc_lo, v63, v67, vcc_lo
	flat_load_b32 v82, v[84:85]
	v_add_co_u32 v84, vcc_lo, v60, v66
	v_add_co_ci_u32_e32 v85, vcc_lo, v61, v67, vcc_lo
	s_waitcnt vmcnt(0) lgkmcnt(0)
	v_mul_f32_e32 v82, s3, v82
	s_delay_alu instid0(VALU_DEP_1)
	v_min_f32_e32 v86, v82, v81
	v_add_co_u32 v81, vcc_lo, v62, v64
	v_add_co_ci_u32_e32 v82, vcc_lo, v63, v65, vcc_lo
	global_store_b32 v[84:85], v86, off
	flat_load_b32 v81, v[81:82]
	s_waitcnt vmcnt(0) lgkmcnt(0)
	v_mul_f32_e32 v81, s3, v81
.LBB16_39:
	v_dual_add_f32 v82, v29, v57 :: v_dual_add_f32 v87, v31, v59
	v_dual_add_f32 v84, v28, v56 :: v_dual_add_f32 v85, v25, v57
	v_add_f32_e32 v86, v24, v56
	v_add_f32_e32 v138, v30, v58
	s_delay_alu instid0(VALU_DEP_3) | instskip(NEXT) | instid1(VALU_DEP_3)
	v_min3_f32 v82, v84, v82, v143
	v_min3_f32 v84, v86, v85, v144
	v_dual_add_f32 v85, v27, v59 :: v_dual_add_f32 v86, v26, v58
	s_delay_alu instid0(VALU_DEP_4) | instskip(NEXT) | instid1(VALU_DEP_2)
	v_min_f32_e32 v87, v138, v87
	v_min3_f32 v86, v86, v85, v84
	v_add_co_u32 v84, vcc_lo, v60, v64
	s_delay_alu instid0(VALU_DEP_3) | instskip(SKIP_1) | instid1(VALU_DEP_4)
	v_min3_f32 v82, v81, v87, v82
	v_add_co_ci_u32_e32 v85, vcc_lo, v61, v65, vcc_lo
	v_max_f32_e32 v81, v86, v86
	s_mov_b32 vcc_lo, s2
	global_store_b32 v[84:85], v82, off
	s_cbranch_vccz .LBB16_42
; %bb.40:
	v_add_co_u32 v84, vcc_lo, v60, v70
	v_min_f32_e32 v82, 0, v81
	v_add_co_ci_u32_e32 v85, vcc_lo, v61, v71, vcc_lo
	s_mov_b32 s6, 0
	global_store_b32 v[84:85], v82, off
	s_cbranch_execz .LBB16_43
; %bb.41:
	v_mov_b32_e32 v81, s6
	s_branch .LBB16_44
.LBB16_42:
	s_mov_b32 s6, -1
.LBB16_43:
	v_add_co_u32 v84, vcc_lo, v62, v70
	v_add_co_ci_u32_e32 v85, vcc_lo, v63, v71, vcc_lo
	flat_load_b32 v82, v[84:85]
	v_add_co_u32 v84, vcc_lo, v60, v70
	v_add_co_ci_u32_e32 v85, vcc_lo, v61, v71, vcc_lo
	s_waitcnt vmcnt(0) lgkmcnt(0)
	v_mul_f32_e32 v82, s3, v82
	s_delay_alu instid0(VALU_DEP_1)
	v_min_f32_e32 v86, v82, v81
	v_add_co_u32 v81, vcc_lo, v62, v68
	v_add_co_ci_u32_e32 v82, vcc_lo, v63, v69, vcc_lo
	global_store_b32 v[84:85], v86, off
	flat_load_b32 v81, v[81:82]
	s_waitcnt vmcnt(0) lgkmcnt(0)
	v_mul_f32_e32 v81, s3, v81
.LBB16_44:
	v_dual_add_f32 v82, v21, v57 :: v_dual_add_f32 v87, v23, v59
	v_dual_add_f32 v84, v20, v56 :: v_dual_add_f32 v85, v17, v57
	v_add_f32_e32 v86, v16, v56
	v_add_f32_e32 v138, v22, v58
	s_delay_alu instid0(VALU_DEP_3) | instskip(NEXT) | instid1(VALU_DEP_3)
	v_min3_f32 v82, v84, v82, v139
	v_min3_f32 v84, v86, v85, v140
	v_dual_add_f32 v85, v19, v59 :: v_dual_add_f32 v86, v18, v58
	s_delay_alu instid0(VALU_DEP_4) | instskip(NEXT) | instid1(VALU_DEP_2)
	v_min_f32_e32 v87, v138, v87
	v_min3_f32 v86, v86, v85, v84
	v_add_co_u32 v84, vcc_lo, v60, v68
	s_delay_alu instid0(VALU_DEP_3) | instskip(SKIP_1) | instid1(VALU_DEP_4)
	v_min3_f32 v82, v81, v87, v82
	v_add_co_ci_u32_e32 v85, vcc_lo, v61, v69, vcc_lo
	v_max_f32_e32 v81, v86, v86
	;; [unrolled: 48-line block ×3, first 2 shown]
	s_mov_b32 vcc_lo, s2
	global_store_b32 v[84:85], v82, off
	s_cbranch_vccz .LBB16_52
; %bb.50:
	v_add_co_u32 v84, vcc_lo, v60, v78
	v_min_f32_e32 v82, 0, v81
	v_add_co_ci_u32_e32 v85, vcc_lo, v61, v79, vcc_lo
	s_mov_b32 s6, 0
	global_store_b32 v[84:85], v82, off
	s_cbranch_execz .LBB16_53
; %bb.51:
	v_mov_b32_e32 v62, s6
	s_branch .LBB16_54
.LBB16_52:
	s_mov_b32 s6, -1
.LBB16_53:
	v_add_co_u32 v84, vcc_lo, v62, v78
	v_add_co_ci_u32_e32 v85, vcc_lo, v63, v79, vcc_lo
	flat_load_b32 v82, v[84:85]
	v_add_co_u32 v84, vcc_lo, v60, v78
	v_add_co_ci_u32_e32 v85, vcc_lo, v61, v79, vcc_lo
	v_add_co_u32 v62, vcc_lo, v62, v76
	v_add_co_ci_u32_e32 v63, vcc_lo, v63, v77, vcc_lo
	s_waitcnt vmcnt(0) lgkmcnt(0)
	v_mul_f32_e32 v82, s3, v82
	s_delay_alu instid0(VALU_DEP_1)
	v_min_f32_e32 v81, v82, v81
	global_store_b32 v[84:85], v81, off
	flat_load_b32 v62, v[62:63]
	s_waitcnt vmcnt(0) lgkmcnt(0)
	v_mul_f32_e32 v62, s3, v62
.LBB16_54:
	v_dual_add_f32 v63, v33, v53 :: v_dual_add_f32 v58, v2, v58
	v_dual_add_f32 v81, v32, v52 :: v_dual_add_f32 v84, v35, v55
	;; [unrolled: 1-line block ×3, first 2 shown]
	v_add_f32_e32 v59, v3, v59
	s_delay_alu instid0(VALU_DEP_3) | instskip(SKIP_4) | instid1(VALU_DEP_4)
	v_min3_f32 v63, v81, v63, v135
	v_add_nc_u32_e32 v81, 64, v80
	v_add_f32_e32 v85, v34, v54
	v_min3_f32 v82, v56, v57, v134
	v_min_f32_e32 v86, v58, v59
	v_mad_i64_i32 v[56:57], null, v81, s9, 0
	v_mad_i64_i32 v[58:59], null, v81, s8, 0
	s_delay_alu instid0(VALU_DEP_3)
	v_min3_f32 v82, v62, v86, v82
	v_add_co_u32 v62, vcc_lo, v60, v76
	v_min3_f32 v81, v85, v84, v63
	v_lshlrev_b64 v[56:57], 2, v[56:57]
	v_add_co_ci_u32_e32 v63, vcc_lo, v61, v77, vcc_lo
	v_lshlrev_b64 v[58:59], 2, v[58:59]
	s_delay_alu instid0(VALU_DEP_4) | instskip(NEXT) | instid1(VALU_DEP_4)
	v_max_f32_e32 v60, v81, v81
	v_add_co_u32 v56, vcc_lo, s0, v56
	v_add_co_ci_u32_e32 v57, vcc_lo, s1, v57, vcc_lo
	s_delay_alu instid0(VALU_DEP_4)
	v_add_co_u32 v58, vcc_lo, s4, v58
	v_add_co_ci_u32_e32 v59, vcc_lo, s5, v59, vcc_lo
	s_mov_b32 vcc_lo, s2
	global_store_b32 v[62:63], v82, off
	s_cbranch_vccz .LBB16_57
; %bb.55:
	v_add_co_u32 v61, vcc_lo, v56, v66
	v_min_f32_e32 v63, 0, v60
	v_add_co_ci_u32_e32 v62, vcc_lo, v57, v67, vcc_lo
	s_mov_b32 s6, 0
	global_store_b32 v[61:62], v63, off
	s_cbranch_execz .LBB16_58
; %bb.56:
	v_mov_b32_e32 v60, s6
	s_branch .LBB16_59
.LBB16_57:
	s_mov_b32 s6, -1
.LBB16_58:
	v_add_co_u32 v61, vcc_lo, v58, v66
	v_add_co_ci_u32_e32 v62, vcc_lo, v59, v67, vcc_lo
	flat_load_b32 v61, v[61:62]
	s_waitcnt vmcnt(0) lgkmcnt(0)
	v_mul_f32_e32 v63, s3, v61
	v_add_co_u32 v61, vcc_lo, v56, v66
	v_add_co_ci_u32_e32 v62, vcc_lo, v57, v67, vcc_lo
	v_add_co_u32 v81, vcc_lo, v58, v64
	s_delay_alu instid0(VALU_DEP_4)
	v_min_f32_e32 v60, v63, v60
	v_add_co_ci_u32_e32 v82, vcc_lo, v59, v65, vcc_lo
	global_store_b32 v[61:62], v60, off
	flat_load_b32 v60, v[81:82]
	s_waitcnt vmcnt(0) lgkmcnt(0)
	v_mul_f32_e32 v60, s3, v60
.LBB16_59:
	v_dual_add_f32 v61, v29, v53 :: v_dual_add_f32 v62, v28, v52
	v_dual_add_f32 v63, v25, v53 :: v_dual_add_f32 v82, v31, v55
	v_dual_add_f32 v81, v24, v52 :: v_dual_add_f32 v84, v30, v54
	s_delay_alu instid0(VALU_DEP_3) | instskip(NEXT) | instid1(VALU_DEP_2)
	v_min3_f32 v61, v62, v61, v132
	v_min3_f32 v62, v81, v63, v133
	s_delay_alu instid0(VALU_DEP_3) | instskip(SKIP_1) | instid1(VALU_DEP_1)
	v_dual_add_f32 v63, v27, v55 :: v_dual_min_f32 v82, v84, v82
	v_add_f32_e32 v81, v26, v54
	v_min3_f32 v63, v81, v63, v62
	s_delay_alu instid0(VALU_DEP_3) | instskip(SKIP_2) | instid1(VALU_DEP_4)
	v_min3_f32 v81, v60, v82, v61
	v_add_co_u32 v61, vcc_lo, v56, v64
	v_add_co_ci_u32_e32 v62, vcc_lo, v57, v65, vcc_lo
	v_max_f32_e32 v60, v63, v63
	s_mov_b32 vcc_lo, s2
	global_store_b32 v[61:62], v81, off
	s_cbranch_vccz .LBB16_62
; %bb.60:
	v_add_co_u32 v61, vcc_lo, v56, v70
	v_min_f32_e32 v63, 0, v60
	v_add_co_ci_u32_e32 v62, vcc_lo, v57, v71, vcc_lo
	s_mov_b32 s6, 0
	global_store_b32 v[61:62], v63, off
	s_cbranch_execz .LBB16_63
; %bb.61:
	v_mov_b32_e32 v60, s6
	s_branch .LBB16_64
.LBB16_62:
	s_mov_b32 s6, -1
.LBB16_63:
	v_add_co_u32 v61, vcc_lo, v58, v70
	v_add_co_ci_u32_e32 v62, vcc_lo, v59, v71, vcc_lo
	flat_load_b32 v61, v[61:62]
	s_waitcnt vmcnt(0) lgkmcnt(0)
	v_mul_f32_e32 v63, s3, v61
	v_add_co_u32 v61, vcc_lo, v56, v70
	v_add_co_ci_u32_e32 v62, vcc_lo, v57, v71, vcc_lo
	v_add_co_u32 v81, vcc_lo, v58, v68
	s_delay_alu instid0(VALU_DEP_4)
	v_min_f32_e32 v60, v63, v60
	v_add_co_ci_u32_e32 v82, vcc_lo, v59, v69, vcc_lo
	global_store_b32 v[61:62], v60, off
	flat_load_b32 v60, v[81:82]
	s_waitcnt vmcnt(0) lgkmcnt(0)
	v_mul_f32_e32 v60, s3, v60
.LBB16_64:
	v_dual_add_f32 v61, v21, v53 :: v_dual_add_f32 v62, v20, v52
	v_dual_add_f32 v63, v17, v53 :: v_dual_add_f32 v82, v23, v55
	v_dual_add_f32 v81, v16, v52 :: v_dual_add_f32 v84, v22, v54
	s_delay_alu instid0(VALU_DEP_3) | instskip(NEXT) | instid1(VALU_DEP_2)
	v_min3_f32 v61, v62, v61, v130
	v_min3_f32 v62, v81, v63, v131
	s_delay_alu instid0(VALU_DEP_3) | instskip(SKIP_1) | instid1(VALU_DEP_1)
	v_dual_add_f32 v63, v19, v55 :: v_dual_min_f32 v82, v84, v82
	v_add_f32_e32 v81, v18, v54
	v_min3_f32 v63, v81, v63, v62
	s_delay_alu instid0(VALU_DEP_3) | instskip(SKIP_2) | instid1(VALU_DEP_4)
	v_min3_f32 v81, v60, v82, v61
	v_add_co_u32 v61, vcc_lo, v56, v68
	v_add_co_ci_u32_e32 v62, vcc_lo, v57, v69, vcc_lo
	v_max_f32_e32 v60, v63, v63
	;; [unrolled: 47-line block ×3, first 2 shown]
	s_mov_b32 vcc_lo, s2
	global_store_b32 v[61:62], v81, off
	s_cbranch_vccz .LBB16_72
; %bb.70:
	v_add_co_u32 v61, vcc_lo, v56, v78
	v_min_f32_e32 v63, 0, v60
	v_add_co_ci_u32_e32 v62, vcc_lo, v57, v79, vcc_lo
	s_mov_b32 s6, 0
	global_store_b32 v[61:62], v63, off
	s_cbranch_execz .LBB16_73
; %bb.71:
	v_mov_b32_e32 v58, s6
	s_branch .LBB16_74
.LBB16_72:
	s_mov_b32 s6, -1
.LBB16_73:
	v_add_co_u32 v61, vcc_lo, v58, v78
	v_add_co_ci_u32_e32 v62, vcc_lo, v59, v79, vcc_lo
	flat_load_b32 v61, v[61:62]
	s_waitcnt vmcnt(0) lgkmcnt(0)
	v_mul_f32_e32 v63, s3, v61
	v_add_co_u32 v61, vcc_lo, v56, v78
	v_add_co_ci_u32_e32 v62, vcc_lo, v57, v79, vcc_lo
	v_add_co_u32 v58, vcc_lo, v58, v76
	s_delay_alu instid0(VALU_DEP_4)
	v_min_f32_e32 v60, v63, v60
	v_add_co_ci_u32_e32 v59, vcc_lo, v59, v77, vcc_lo
	global_store_b32 v[61:62], v60, off
	flat_load_b32 v58, v[58:59]
	s_waitcnt vmcnt(0) lgkmcnt(0)
	v_mul_f32_e32 v58, s3, v58
.LBB16_74:
	v_dual_add_f32 v59, v33, v49 :: v_dual_add_f32 v60, v32, v48
	v_dual_add_f32 v53, v1, v53 :: v_dual_add_f32 v52, v0, v52
	;; [unrolled: 1-line block ×3, first 2 shown]
	s_delay_alu instid0(VALU_DEP_3) | instskip(SKIP_1) | instid1(VALU_DEP_4)
	v_min3_f32 v59, v60, v59, v127
	v_add_nc_u32_e32 v60, 0x60, v80
	v_min3_f32 v61, v52, v53, v126
	v_dual_add_f32 v62, v35, v51 :: v_dual_add_f32 v63, v34, v50
	v_min_f32_e32 v81, v54, v55
	s_delay_alu instid0(VALU_DEP_4) | instskip(SKIP_1) | instid1(VALU_DEP_3)
	v_mad_i64_i32 v[52:53], null, v60, s9, 0
	v_mad_i64_i32 v[54:55], null, v60, s8, 0
	v_min3_f32 v61, v58, v81, v61
	v_add_co_u32 v58, vcc_lo, v56, v76
	v_min3_f32 v60, v63, v62, v59
	v_lshlrev_b64 v[52:53], 2, v[52:53]
	v_add_co_ci_u32_e32 v59, vcc_lo, v57, v77, vcc_lo
	v_lshlrev_b64 v[54:55], 2, v[54:55]
	s_delay_alu instid0(VALU_DEP_4) | instskip(NEXT) | instid1(VALU_DEP_4)
	v_max_f32_e32 v56, v60, v60
	v_add_co_u32 v52, vcc_lo, s0, v52
	v_add_co_ci_u32_e32 v53, vcc_lo, s1, v53, vcc_lo
	s_delay_alu instid0(VALU_DEP_4)
	v_add_co_u32 v54, vcc_lo, s4, v54
	v_add_co_ci_u32_e32 v55, vcc_lo, s5, v55, vcc_lo
	s_mov_b32 vcc_lo, s2
	global_store_b32 v[58:59], v61, off
	s_cbranch_vccz .LBB16_77
; %bb.75:
	v_add_co_u32 v57, vcc_lo, v52, v66
	v_min_f32_e32 v59, 0, v56
	v_add_co_ci_u32_e32 v58, vcc_lo, v53, v67, vcc_lo
	s_mov_b32 s6, 0
	global_store_b32 v[57:58], v59, off
	s_cbranch_execz .LBB16_78
; %bb.76:
	v_mov_b32_e32 v56, s6
	s_branch .LBB16_79
.LBB16_77:
	s_mov_b32 s6, -1
.LBB16_78:
	v_add_co_u32 v57, vcc_lo, v54, v66
	v_add_co_ci_u32_e32 v58, vcc_lo, v55, v67, vcc_lo
	flat_load_b32 v57, v[57:58]
	s_waitcnt vmcnt(0) lgkmcnt(0)
	v_mul_f32_e32 v59, s3, v57
	v_add_co_u32 v57, vcc_lo, v52, v66
	v_add_co_ci_u32_e32 v58, vcc_lo, v53, v67, vcc_lo
	s_delay_alu instid0(VALU_DEP_3)
	v_min_f32_e32 v56, v59, v56
	v_add_co_u32 v59, vcc_lo, v54, v64
	v_add_co_ci_u32_e32 v60, vcc_lo, v55, v65, vcc_lo
	global_store_b32 v[57:58], v56, off
	flat_load_b32 v56, v[59:60]
	s_waitcnt vmcnt(0) lgkmcnt(0)
	v_mul_f32_e32 v56, s3, v56
.LBB16_79:
	v_dual_add_f32 v57, v29, v49 :: v_dual_add_f32 v58, v28, v48
	v_dual_add_f32 v59, v25, v49 :: v_dual_add_f32 v60, v24, v48
	v_dual_add_f32 v61, v31, v51 :: v_dual_add_f32 v62, v30, v50
	s_delay_alu instid0(VALU_DEP_3) | instskip(NEXT) | instid1(VALU_DEP_3)
	v_min3_f32 v57, v58, v57, v124
	v_min3_f32 v58, v60, v59, v125
	v_dual_add_f32 v59, v27, v51 :: v_dual_add_f32 v60, v26, v50
	s_delay_alu instid0(VALU_DEP_1) | instskip(SKIP_1) | instid1(VALU_DEP_1)
	v_min3_f32 v59, v60, v59, v58
	v_min_f32_e32 v61, v62, v61
	v_min3_f32 v60, v56, v61, v57
	s_delay_alu instid0(VALU_DEP_3)
	v_max_f32_e32 v56, v59, v59
	v_add_co_u32 v57, vcc_lo, v52, v64
	v_add_co_ci_u32_e32 v58, vcc_lo, v53, v65, vcc_lo
	s_mov_b32 vcc_lo, s2
	global_store_b32 v[57:58], v60, off
	s_cbranch_vccz .LBB16_82
; %bb.80:
	v_add_co_u32 v57, vcc_lo, v52, v70
	v_min_f32_e32 v59, 0, v56
	v_add_co_ci_u32_e32 v58, vcc_lo, v53, v71, vcc_lo
	s_mov_b32 s6, 0
	global_store_b32 v[57:58], v59, off
	s_cbranch_execz .LBB16_83
; %bb.81:
	v_mov_b32_e32 v56, s6
	s_branch .LBB16_84
.LBB16_82:
	s_mov_b32 s6, -1
.LBB16_83:
	v_add_co_u32 v57, vcc_lo, v54, v70
	v_add_co_ci_u32_e32 v58, vcc_lo, v55, v71, vcc_lo
	flat_load_b32 v57, v[57:58]
	s_waitcnt vmcnt(0) lgkmcnt(0)
	v_mul_f32_e32 v59, s3, v57
	v_add_co_u32 v57, vcc_lo, v52, v70
	v_add_co_ci_u32_e32 v58, vcc_lo, v53, v71, vcc_lo
	s_delay_alu instid0(VALU_DEP_3)
	v_min_f32_e32 v56, v59, v56
	v_add_co_u32 v59, vcc_lo, v54, v68
	v_add_co_ci_u32_e32 v60, vcc_lo, v55, v69, vcc_lo
	global_store_b32 v[57:58], v56, off
	flat_load_b32 v56, v[59:60]
	s_waitcnt vmcnt(0) lgkmcnt(0)
	v_mul_f32_e32 v56, s3, v56
.LBB16_84:
	v_dual_add_f32 v57, v21, v49 :: v_dual_add_f32 v58, v20, v48
	v_dual_add_f32 v59, v17, v49 :: v_dual_add_f32 v60, v16, v48
	v_dual_add_f32 v61, v23, v51 :: v_dual_add_f32 v62, v22, v50
	s_delay_alu instid0(VALU_DEP_3) | instskip(NEXT) | instid1(VALU_DEP_3)
	v_min3_f32 v57, v58, v57, v121
	v_min3_f32 v58, v60, v59, v122
	v_dual_add_f32 v59, v19, v51 :: v_dual_add_f32 v60, v18, v50
	s_delay_alu instid0(VALU_DEP_1) | instskip(SKIP_1) | instid1(VALU_DEP_1)
	v_min3_f32 v59, v60, v59, v58
	v_min_f32_e32 v61, v62, v61
	v_min3_f32 v60, v56, v61, v57
	s_delay_alu instid0(VALU_DEP_3)
	v_max_f32_e32 v56, v59, v59
	;; [unrolled: 47-line block ×3, first 2 shown]
	v_add_co_u32 v57, vcc_lo, v52, v72
	v_add_co_ci_u32_e32 v58, vcc_lo, v53, v73, vcc_lo
	s_mov_b32 vcc_lo, s2
	global_store_b32 v[57:58], v60, off
	s_cbranch_vccz .LBB16_92
; %bb.90:
	v_add_co_u32 v57, vcc_lo, v52, v78
	v_min_f32_e32 v59, 0, v56
	v_add_co_ci_u32_e32 v58, vcc_lo, v53, v79, vcc_lo
	s_mov_b32 s6, 0
	global_store_b32 v[57:58], v59, off
	s_cbranch_execz .LBB16_93
; %bb.91:
	v_mov_b32_e32 v54, s6
	s_branch .LBB16_94
.LBB16_92:
	s_mov_b32 s6, -1
.LBB16_93:
	v_add_co_u32 v57, vcc_lo, v54, v78
	v_add_co_ci_u32_e32 v58, vcc_lo, v55, v79, vcc_lo
	flat_load_b32 v57, v[57:58]
	s_waitcnt vmcnt(0) lgkmcnt(0)
	v_mul_f32_e32 v59, s3, v57
	v_add_co_u32 v57, vcc_lo, v52, v78
	v_add_co_ci_u32_e32 v58, vcc_lo, v53, v79, vcc_lo
	v_add_co_u32 v54, vcc_lo, v54, v76
	s_delay_alu instid0(VALU_DEP_4)
	v_min_f32_e32 v56, v59, v56
	v_add_co_ci_u32_e32 v55, vcc_lo, v55, v77, vcc_lo
	global_store_b32 v[57:58], v56, off
	flat_load_b32 v54, v[54:55]
	s_waitcnt vmcnt(0) lgkmcnt(0)
	v_mul_f32_e32 v54, s3, v54
.LBB16_94:
	v_dual_add_f32 v55, v33, v45 :: v_dual_add_f32 v56, v32, v44
	v_dual_add_f32 v49, v1, v49 :: v_dual_add_f32 v48, v0, v48
	;; [unrolled: 1-line block ×3, first 2 shown]
	s_delay_alu instid0(VALU_DEP_3) | instskip(SKIP_1) | instid1(VALU_DEP_4)
	v_min3_f32 v55, v56, v55, v123
	v_add_nc_u32_e32 v56, 0x80, v80
	v_min3_f32 v57, v48, v49, v116
	v_dual_add_f32 v58, v35, v47 :: v_dual_add_f32 v59, v34, v46
	v_min_f32_e32 v60, v50, v51
	s_delay_alu instid0(VALU_DEP_4) | instskip(SKIP_1) | instid1(VALU_DEP_3)
	v_mad_i64_i32 v[48:49], null, v56, s9, 0
	v_mad_i64_i32 v[50:51], null, v56, s8, 0
	v_min3_f32 v57, v54, v60, v57
	v_add_co_u32 v54, vcc_lo, v52, v76
	v_min3_f32 v56, v59, v58, v55
	v_lshlrev_b64 v[48:49], 2, v[48:49]
	v_add_co_ci_u32_e32 v55, vcc_lo, v53, v77, vcc_lo
	v_lshlrev_b64 v[50:51], 2, v[50:51]
	s_delay_alu instid0(VALU_DEP_4) | instskip(NEXT) | instid1(VALU_DEP_4)
	v_max_f32_e32 v52, v56, v56
	v_add_co_u32 v48, vcc_lo, s0, v48
	v_add_co_ci_u32_e32 v49, vcc_lo, s1, v49, vcc_lo
	s_delay_alu instid0(VALU_DEP_4)
	v_add_co_u32 v50, vcc_lo, s4, v50
	v_add_co_ci_u32_e32 v51, vcc_lo, s5, v51, vcc_lo
	s_mov_b32 vcc_lo, s2
	global_store_b32 v[54:55], v57, off
	s_cbranch_vccz .LBB16_97
; %bb.95:
	v_add_co_u32 v53, vcc_lo, v48, v66
	v_min_f32_e32 v55, 0, v52
	v_add_co_ci_u32_e32 v54, vcc_lo, v49, v67, vcc_lo
	s_mov_b32 s6, 0
	global_store_b32 v[53:54], v55, off
	s_cbranch_execz .LBB16_98
; %bb.96:
	v_mov_b32_e32 v52, s6
	s_branch .LBB16_99
.LBB16_97:
	s_mov_b32 s6, -1
.LBB16_98:
	v_add_co_u32 v53, vcc_lo, v50, v66
	v_add_co_ci_u32_e32 v54, vcc_lo, v51, v67, vcc_lo
	flat_load_b32 v53, v[53:54]
	s_waitcnt vmcnt(0) lgkmcnt(0)
	v_mul_f32_e32 v55, s3, v53
	v_add_co_u32 v53, vcc_lo, v48, v66
	v_add_co_ci_u32_e32 v54, vcc_lo, v49, v67, vcc_lo
	s_delay_alu instid0(VALU_DEP_3)
	v_min_f32_e32 v52, v55, v52
	v_add_co_u32 v55, vcc_lo, v50, v64
	v_add_co_ci_u32_e32 v56, vcc_lo, v51, v65, vcc_lo
	global_store_b32 v[53:54], v52, off
	flat_load_b32 v52, v[55:56]
	s_waitcnt vmcnt(0) lgkmcnt(0)
	v_mul_f32_e32 v52, s3, v52
.LBB16_99:
	v_dual_add_f32 v53, v29, v45 :: v_dual_add_f32 v54, v28, v44
	v_dual_add_f32 v55, v25, v45 :: v_dual_add_f32 v56, v24, v44
	v_dual_add_f32 v57, v31, v47 :: v_dual_add_f32 v58, v30, v46
	s_delay_alu instid0(VALU_DEP_3) | instskip(NEXT) | instid1(VALU_DEP_3)
	v_min3_f32 v53, v54, v53, v117
	v_min3_f32 v54, v56, v55, v118
	v_dual_add_f32 v55, v27, v47 :: v_dual_add_f32 v56, v26, v46
	s_delay_alu instid0(VALU_DEP_1) | instskip(SKIP_1) | instid1(VALU_DEP_1)
	v_min3_f32 v55, v56, v55, v54
	v_min_f32_e32 v57, v58, v57
	v_min3_f32 v56, v52, v57, v53
	s_delay_alu instid0(VALU_DEP_3)
	v_max_f32_e32 v52, v55, v55
	v_add_co_u32 v53, vcc_lo, v48, v64
	v_add_co_ci_u32_e32 v54, vcc_lo, v49, v65, vcc_lo
	s_mov_b32 vcc_lo, s2
	global_store_b32 v[53:54], v56, off
	s_cbranch_vccz .LBB16_102
; %bb.100:
	v_add_co_u32 v53, vcc_lo, v48, v70
	v_min_f32_e32 v55, 0, v52
	v_add_co_ci_u32_e32 v54, vcc_lo, v49, v71, vcc_lo
	s_mov_b32 s6, 0
	global_store_b32 v[53:54], v55, off
	s_cbranch_execz .LBB16_103
; %bb.101:
	v_mov_b32_e32 v52, s6
	s_branch .LBB16_104
.LBB16_102:
	s_mov_b32 s6, -1
.LBB16_103:
	v_add_co_u32 v53, vcc_lo, v50, v70
	v_add_co_ci_u32_e32 v54, vcc_lo, v51, v71, vcc_lo
	flat_load_b32 v53, v[53:54]
	s_waitcnt vmcnt(0) lgkmcnt(0)
	v_mul_f32_e32 v55, s3, v53
	v_add_co_u32 v53, vcc_lo, v48, v70
	v_add_co_ci_u32_e32 v54, vcc_lo, v49, v71, vcc_lo
	s_delay_alu instid0(VALU_DEP_3)
	v_min_f32_e32 v52, v55, v52
	v_add_co_u32 v55, vcc_lo, v50, v68
	v_add_co_ci_u32_e32 v56, vcc_lo, v51, v69, vcc_lo
	global_store_b32 v[53:54], v52, off
	flat_load_b32 v52, v[55:56]
	s_waitcnt vmcnt(0) lgkmcnt(0)
	v_mul_f32_e32 v52, s3, v52
.LBB16_104:
	v_dual_add_f32 v53, v21, v45 :: v_dual_add_f32 v54, v20, v44
	v_dual_add_f32 v55, v17, v45 :: v_dual_add_f32 v56, v16, v44
	v_dual_add_f32 v57, v23, v47 :: v_dual_add_f32 v58, v22, v46
	s_delay_alu instid0(VALU_DEP_3) | instskip(NEXT) | instid1(VALU_DEP_3)
	v_min3_f32 v53, v54, v53, v114
	v_min3_f32 v54, v56, v55, v115
	v_dual_add_f32 v55, v19, v47 :: v_dual_add_f32 v56, v18, v46
	s_delay_alu instid0(VALU_DEP_1) | instskip(SKIP_1) | instid1(VALU_DEP_1)
	v_min3_f32 v55, v56, v55, v54
	v_min_f32_e32 v57, v58, v57
	v_min3_f32 v56, v52, v57, v53
	s_delay_alu instid0(VALU_DEP_3)
	v_max_f32_e32 v52, v55, v55
	;; [unrolled: 47-line block ×3, first 2 shown]
	v_add_co_u32 v53, vcc_lo, v48, v72
	v_add_co_ci_u32_e32 v54, vcc_lo, v49, v73, vcc_lo
	s_mov_b32 vcc_lo, s2
	global_store_b32 v[53:54], v56, off
	s_cbranch_vccz .LBB16_112
; %bb.110:
	v_add_co_u32 v53, vcc_lo, v48, v78
	v_min_f32_e32 v55, 0, v52
	v_add_co_ci_u32_e32 v54, vcc_lo, v49, v79, vcc_lo
	s_mov_b32 s6, 0
	global_store_b32 v[53:54], v55, off
	s_cbranch_execz .LBB16_113
; %bb.111:
	v_mov_b32_e32 v50, s6
	s_branch .LBB16_114
.LBB16_112:
	s_mov_b32 s6, -1
.LBB16_113:
	v_add_co_u32 v53, vcc_lo, v50, v78
	v_add_co_ci_u32_e32 v54, vcc_lo, v51, v79, vcc_lo
	flat_load_b32 v53, v[53:54]
	s_waitcnt vmcnt(0) lgkmcnt(0)
	v_mul_f32_e32 v55, s3, v53
	v_add_co_u32 v53, vcc_lo, v48, v78
	v_add_co_ci_u32_e32 v54, vcc_lo, v49, v79, vcc_lo
	v_add_co_u32 v50, vcc_lo, v50, v76
	s_delay_alu instid0(VALU_DEP_4)
	v_min_f32_e32 v52, v55, v52
	v_add_co_ci_u32_e32 v51, vcc_lo, v51, v77, vcc_lo
	global_store_b32 v[53:54], v52, off
	flat_load_b32 v50, v[50:51]
	s_waitcnt vmcnt(0) lgkmcnt(0)
	v_mul_f32_e32 v50, s3, v50
.LBB16_114:
	v_dual_add_f32 v51, v33, v41 :: v_dual_add_f32 v52, v32, v40
	v_dual_add_f32 v45, v1, v45 :: v_dual_add_f32 v44, v0, v44
	;; [unrolled: 1-line block ×3, first 2 shown]
	s_delay_alu instid0(VALU_DEP_3) | instskip(SKIP_1) | instid1(VALU_DEP_4)
	v_min3_f32 v51, v52, v51, v111
	v_add_nc_u32_e32 v52, 0xa0, v80
	v_min3_f32 v53, v44, v45, v110
	v_dual_add_f32 v54, v35, v43 :: v_dual_add_f32 v55, v34, v42
	v_min_f32_e32 v56, v46, v47
	s_delay_alu instid0(VALU_DEP_4) | instskip(SKIP_1) | instid1(VALU_DEP_3)
	v_mad_i64_i32 v[44:45], null, v52, s9, 0
	v_mad_i64_i32 v[46:47], null, v52, s8, 0
	v_min3_f32 v53, v50, v56, v53
	v_add_co_u32 v50, vcc_lo, v48, v76
	v_min3_f32 v52, v55, v54, v51
	v_lshlrev_b64 v[44:45], 2, v[44:45]
	v_add_co_ci_u32_e32 v51, vcc_lo, v49, v77, vcc_lo
	v_lshlrev_b64 v[46:47], 2, v[46:47]
	s_delay_alu instid0(VALU_DEP_4) | instskip(NEXT) | instid1(VALU_DEP_4)
	v_max_f32_e32 v48, v52, v52
	v_add_co_u32 v44, vcc_lo, s0, v44
	v_add_co_ci_u32_e32 v45, vcc_lo, s1, v45, vcc_lo
	s_delay_alu instid0(VALU_DEP_4)
	v_add_co_u32 v46, vcc_lo, s4, v46
	v_add_co_ci_u32_e32 v47, vcc_lo, s5, v47, vcc_lo
	s_mov_b32 vcc_lo, s2
	global_store_b32 v[50:51], v53, off
	s_cbranch_vccz .LBB16_117
; %bb.115:
	v_add_co_u32 v49, vcc_lo, v44, v66
	v_min_f32_e32 v51, 0, v48
	v_add_co_ci_u32_e32 v50, vcc_lo, v45, v67, vcc_lo
	s_mov_b32 s6, 0
	global_store_b32 v[49:50], v51, off
	s_cbranch_execz .LBB16_118
; %bb.116:
	v_mov_b32_e32 v48, s6
	s_branch .LBB16_119
.LBB16_117:
	s_mov_b32 s6, -1
.LBB16_118:
	v_add_co_u32 v49, vcc_lo, v46, v66
	v_add_co_ci_u32_e32 v50, vcc_lo, v47, v67, vcc_lo
	flat_load_b32 v49, v[49:50]
	s_waitcnt vmcnt(0) lgkmcnt(0)
	v_mul_f32_e32 v51, s3, v49
	v_add_co_u32 v49, vcc_lo, v44, v66
	v_add_co_ci_u32_e32 v50, vcc_lo, v45, v67, vcc_lo
	s_delay_alu instid0(VALU_DEP_3)
	v_min_f32_e32 v48, v51, v48
	v_add_co_u32 v51, vcc_lo, v46, v64
	v_add_co_ci_u32_e32 v52, vcc_lo, v47, v65, vcc_lo
	global_store_b32 v[49:50], v48, off
	flat_load_b32 v48, v[51:52]
	s_waitcnt vmcnt(0) lgkmcnt(0)
	v_mul_f32_e32 v48, s3, v48
.LBB16_119:
	v_dual_add_f32 v49, v29, v41 :: v_dual_add_f32 v50, v28, v40
	v_dual_add_f32 v51, v25, v41 :: v_dual_add_f32 v52, v24, v40
	v_dual_add_f32 v53, v31, v43 :: v_dual_add_f32 v54, v30, v42
	s_delay_alu instid0(VALU_DEP_3) | instskip(NEXT) | instid1(VALU_DEP_3)
	v_min3_f32 v49, v50, v49, v108
	v_min3_f32 v50, v52, v51, v109
	v_dual_add_f32 v51, v27, v43 :: v_dual_add_f32 v52, v26, v42
	s_delay_alu instid0(VALU_DEP_1) | instskip(SKIP_1) | instid1(VALU_DEP_1)
	v_min3_f32 v51, v52, v51, v50
	v_min_f32_e32 v53, v54, v53
	v_min3_f32 v52, v48, v53, v49
	s_delay_alu instid0(VALU_DEP_3)
	v_max_f32_e32 v48, v51, v51
	v_add_co_u32 v49, vcc_lo, v44, v64
	v_add_co_ci_u32_e32 v50, vcc_lo, v45, v65, vcc_lo
	s_mov_b32 vcc_lo, s2
	global_store_b32 v[49:50], v52, off
	s_cbranch_vccz .LBB16_122
; %bb.120:
	v_add_co_u32 v49, vcc_lo, v44, v70
	v_min_f32_e32 v51, 0, v48
	v_add_co_ci_u32_e32 v50, vcc_lo, v45, v71, vcc_lo
	s_mov_b32 s6, 0
	global_store_b32 v[49:50], v51, off
	s_cbranch_execz .LBB16_123
; %bb.121:
	v_mov_b32_e32 v48, s6
	s_branch .LBB16_124
.LBB16_122:
	s_mov_b32 s6, -1
.LBB16_123:
	v_add_co_u32 v49, vcc_lo, v46, v70
	v_add_co_ci_u32_e32 v50, vcc_lo, v47, v71, vcc_lo
	flat_load_b32 v49, v[49:50]
	s_waitcnt vmcnt(0) lgkmcnt(0)
	v_mul_f32_e32 v51, s3, v49
	v_add_co_u32 v49, vcc_lo, v44, v70
	v_add_co_ci_u32_e32 v50, vcc_lo, v45, v71, vcc_lo
	s_delay_alu instid0(VALU_DEP_3)
	v_min_f32_e32 v48, v51, v48
	v_add_co_u32 v51, vcc_lo, v46, v68
	v_add_co_ci_u32_e32 v52, vcc_lo, v47, v69, vcc_lo
	global_store_b32 v[49:50], v48, off
	flat_load_b32 v48, v[51:52]
	s_waitcnt vmcnt(0) lgkmcnt(0)
	v_mul_f32_e32 v48, s3, v48
.LBB16_124:
	v_dual_add_f32 v49, v21, v41 :: v_dual_add_f32 v50, v20, v40
	v_dual_add_f32 v51, v17, v41 :: v_dual_add_f32 v52, v16, v40
	v_dual_add_f32 v53, v23, v43 :: v_dual_add_f32 v54, v22, v42
	s_delay_alu instid0(VALU_DEP_3) | instskip(NEXT) | instid1(VALU_DEP_3)
	v_min3_f32 v49, v50, v49, v106
	v_min3_f32 v50, v52, v51, v107
	v_dual_add_f32 v51, v19, v43 :: v_dual_add_f32 v52, v18, v42
	s_delay_alu instid0(VALU_DEP_1) | instskip(SKIP_1) | instid1(VALU_DEP_1)
	v_min3_f32 v51, v52, v51, v50
	v_min_f32_e32 v53, v54, v53
	v_min3_f32 v52, v48, v53, v49
	s_delay_alu instid0(VALU_DEP_3)
	v_max_f32_e32 v48, v51, v51
	;; [unrolled: 47-line block ×3, first 2 shown]
	v_add_co_u32 v49, vcc_lo, v44, v72
	v_add_co_ci_u32_e32 v50, vcc_lo, v45, v73, vcc_lo
	s_mov_b32 vcc_lo, s2
	global_store_b32 v[49:50], v52, off
	s_cbranch_vccz .LBB16_132
; %bb.130:
	v_add_co_u32 v49, vcc_lo, v44, v78
	v_min_f32_e32 v51, 0, v48
	v_add_co_ci_u32_e32 v50, vcc_lo, v45, v79, vcc_lo
	s_mov_b32 s6, 0
	global_store_b32 v[49:50], v51, off
	s_cbranch_execz .LBB16_133
; %bb.131:
	v_mov_b32_e32 v46, s6
	s_branch .LBB16_134
.LBB16_132:
	s_mov_b32 s6, -1
.LBB16_133:
	v_add_co_u32 v49, vcc_lo, v46, v78
	v_add_co_ci_u32_e32 v50, vcc_lo, v47, v79, vcc_lo
	flat_load_b32 v49, v[49:50]
	s_waitcnt vmcnt(0) lgkmcnt(0)
	v_mul_f32_e32 v51, s3, v49
	v_add_co_u32 v49, vcc_lo, v44, v78
	v_add_co_ci_u32_e32 v50, vcc_lo, v45, v79, vcc_lo
	v_add_co_u32 v46, vcc_lo, v46, v76
	s_delay_alu instid0(VALU_DEP_4)
	v_min_f32_e32 v48, v51, v48
	v_add_co_ci_u32_e32 v47, vcc_lo, v47, v77, vcc_lo
	global_store_b32 v[49:50], v48, off
	flat_load_b32 v46, v[46:47]
	s_waitcnt vmcnt(0) lgkmcnt(0)
	v_mul_f32_e32 v46, s3, v46
.LBB16_134:
	v_dual_add_f32 v47, v33, v37 :: v_dual_add_f32 v48, v32, v36
	v_dual_add_f32 v41, v1, v41 :: v_dual_add_f32 v40, v0, v40
	;; [unrolled: 1-line block ×3, first 2 shown]
	s_delay_alu instid0(VALU_DEP_3) | instskip(SKIP_1) | instid1(VALU_DEP_4)
	v_min3_f32 v47, v48, v47, v103
	v_add_nc_u32_e32 v48, 0xc0, v80
	v_min3_f32 v49, v40, v41, v102
	v_dual_add_f32 v50, v35, v39 :: v_dual_add_f32 v51, v34, v38
	v_min_f32_e32 v52, v42, v43
	s_delay_alu instid0(VALU_DEP_4) | instskip(SKIP_1) | instid1(VALU_DEP_3)
	v_mad_i64_i32 v[40:41], null, v48, s9, 0
	v_mad_i64_i32 v[42:43], null, v48, s8, 0
	v_min3_f32 v49, v46, v52, v49
	v_add_co_u32 v46, vcc_lo, v44, v76
	v_min3_f32 v48, v51, v50, v47
	v_lshlrev_b64 v[40:41], 2, v[40:41]
	v_add_co_ci_u32_e32 v47, vcc_lo, v45, v77, vcc_lo
	v_lshlrev_b64 v[42:43], 2, v[42:43]
	s_delay_alu instid0(VALU_DEP_4) | instskip(NEXT) | instid1(VALU_DEP_4)
	v_max_f32_e32 v44, v48, v48
	v_add_co_u32 v40, vcc_lo, s0, v40
	v_add_co_ci_u32_e32 v41, vcc_lo, s1, v41, vcc_lo
	s_delay_alu instid0(VALU_DEP_4)
	v_add_co_u32 v42, vcc_lo, s4, v42
	v_add_co_ci_u32_e32 v43, vcc_lo, s5, v43, vcc_lo
	s_mov_b32 vcc_lo, s2
	global_store_b32 v[46:47], v49, off
	s_cbranch_vccz .LBB16_137
; %bb.135:
	v_add_co_u32 v45, vcc_lo, v40, v66
	v_min_f32_e32 v47, 0, v44
	v_add_co_ci_u32_e32 v46, vcc_lo, v41, v67, vcc_lo
	s_mov_b32 s6, 0
	global_store_b32 v[45:46], v47, off
	s_cbranch_execz .LBB16_138
; %bb.136:
	v_mov_b32_e32 v44, s6
	s_branch .LBB16_139
.LBB16_137:
	s_mov_b32 s6, -1
.LBB16_138:
	v_add_co_u32 v45, vcc_lo, v42, v66
	v_add_co_ci_u32_e32 v46, vcc_lo, v43, v67, vcc_lo
	flat_load_b32 v45, v[45:46]
	s_waitcnt vmcnt(0) lgkmcnt(0)
	v_mul_f32_e32 v47, s3, v45
	v_add_co_u32 v45, vcc_lo, v40, v66
	v_add_co_ci_u32_e32 v46, vcc_lo, v41, v67, vcc_lo
	s_delay_alu instid0(VALU_DEP_3)
	v_min_f32_e32 v44, v47, v44
	v_add_co_u32 v47, vcc_lo, v42, v64
	v_add_co_ci_u32_e32 v48, vcc_lo, v43, v65, vcc_lo
	global_store_b32 v[45:46], v44, off
	flat_load_b32 v44, v[47:48]
	s_waitcnt vmcnt(0) lgkmcnt(0)
	v_mul_f32_e32 v44, s3, v44
.LBB16_139:
	v_dual_add_f32 v45, v29, v37 :: v_dual_add_f32 v46, v28, v36
	v_dual_add_f32 v47, v25, v37 :: v_dual_add_f32 v48, v24, v36
	v_dual_add_f32 v49, v31, v39 :: v_dual_add_f32 v50, v30, v38
	s_delay_alu instid0(VALU_DEP_3) | instskip(NEXT) | instid1(VALU_DEP_3)
	v_min3_f32 v45, v46, v45, v100
	v_min3_f32 v46, v48, v47, v101
	v_dual_add_f32 v47, v27, v39 :: v_dual_add_f32 v48, v26, v38
	s_delay_alu instid0(VALU_DEP_1) | instskip(SKIP_1) | instid1(VALU_DEP_1)
	v_min3_f32 v47, v48, v47, v46
	v_min_f32_e32 v49, v50, v49
	v_min3_f32 v48, v44, v49, v45
	s_delay_alu instid0(VALU_DEP_3)
	v_max_f32_e32 v44, v47, v47
	v_add_co_u32 v45, vcc_lo, v40, v64
	v_add_co_ci_u32_e32 v46, vcc_lo, v41, v65, vcc_lo
	s_mov_b32 vcc_lo, s2
	global_store_b32 v[45:46], v48, off
	s_cbranch_vccz .LBB16_142
; %bb.140:
	v_add_co_u32 v45, vcc_lo, v40, v70
	v_min_f32_e32 v47, 0, v44
	v_add_co_ci_u32_e32 v46, vcc_lo, v41, v71, vcc_lo
	s_mov_b32 s6, 0
	global_store_b32 v[45:46], v47, off
	s_cbranch_execz .LBB16_143
; %bb.141:
	v_mov_b32_e32 v44, s6
	s_branch .LBB16_144
.LBB16_142:
	s_mov_b32 s6, -1
.LBB16_143:
	v_add_co_u32 v45, vcc_lo, v42, v70
	v_add_co_ci_u32_e32 v46, vcc_lo, v43, v71, vcc_lo
	flat_load_b32 v45, v[45:46]
	s_waitcnt vmcnt(0) lgkmcnt(0)
	v_mul_f32_e32 v47, s3, v45
	v_add_co_u32 v45, vcc_lo, v40, v70
	v_add_co_ci_u32_e32 v46, vcc_lo, v41, v71, vcc_lo
	s_delay_alu instid0(VALU_DEP_3)
	v_min_f32_e32 v44, v47, v44
	v_add_co_u32 v47, vcc_lo, v42, v68
	v_add_co_ci_u32_e32 v48, vcc_lo, v43, v69, vcc_lo
	global_store_b32 v[45:46], v44, off
	flat_load_b32 v44, v[47:48]
	s_waitcnt vmcnt(0) lgkmcnt(0)
	v_mul_f32_e32 v44, s3, v44
.LBB16_144:
	v_dual_add_f32 v45, v21, v37 :: v_dual_add_f32 v46, v20, v36
	v_dual_add_f32 v47, v17, v37 :: v_dual_add_f32 v48, v16, v36
	v_dual_add_f32 v49, v23, v39 :: v_dual_add_f32 v50, v22, v38
	s_delay_alu instid0(VALU_DEP_3) | instskip(NEXT) | instid1(VALU_DEP_3)
	v_min3_f32 v45, v46, v45, v97
	v_min3_f32 v46, v48, v47, v98
	v_dual_add_f32 v47, v19, v39 :: v_dual_add_f32 v48, v18, v38
	s_delay_alu instid0(VALU_DEP_1) | instskip(SKIP_1) | instid1(VALU_DEP_1)
	v_min3_f32 v47, v48, v47, v46
	v_min_f32_e32 v49, v50, v49
	v_min3_f32 v48, v44, v49, v45
	s_delay_alu instid0(VALU_DEP_3)
	v_max_f32_e32 v44, v47, v47
	v_add_co_u32 v45, vcc_lo, v40, v68
	v_add_co_ci_u32_e32 v46, vcc_lo, v41, v69, vcc_lo
	s_mov_b32 vcc_lo, s2
	global_store_b32 v[45:46], v48, off
	s_cbranch_vccz .LBB16_147
; %bb.145:
	v_add_co_u32 v45, vcc_lo, v40, v74
	v_min_f32_e32 v47, 0, v44
	v_add_co_ci_u32_e32 v46, vcc_lo, v41, v75, vcc_lo
	s_mov_b32 s6, 0
	global_store_b32 v[45:46], v47, off
	s_cbranch_execz .LBB16_148
; %bb.146:
	v_mov_b32_e32 v44, s6
	s_branch .LBB16_149
.LBB16_147:
	s_mov_b32 s6, -1
.LBB16_148:
	v_add_co_u32 v45, vcc_lo, v42, v74
	v_add_co_ci_u32_e32 v46, vcc_lo, v43, v75, vcc_lo
	flat_load_b32 v45, v[45:46]
	s_waitcnt vmcnt(0) lgkmcnt(0)
	v_mul_f32_e32 v47, s3, v45
	v_add_co_u32 v45, vcc_lo, v40, v74
	v_add_co_ci_u32_e32 v46, vcc_lo, v41, v75, vcc_lo
	s_delay_alu instid0(VALU_DEP_3)
	v_min_f32_e32 v44, v47, v44
	v_add_co_u32 v47, vcc_lo, v42, v72
	v_add_co_ci_u32_e32 v48, vcc_lo, v43, v73, vcc_lo
	global_store_b32 v[45:46], v44, off
	flat_load_b32 v44, v[47:48]
	s_waitcnt vmcnt(0) lgkmcnt(0)
	v_mul_f32_e32 v44, s3, v44
.LBB16_149:
	v_dual_add_f32 v45, v13, v37 :: v_dual_add_f32 v46, v12, v36
	v_dual_add_f32 v47, v9, v37 :: v_dual_add_f32 v48, v8, v36
	v_dual_add_f32 v49, v15, v39 :: v_dual_add_f32 v50, v14, v38
	s_delay_alu instid0(VALU_DEP_3) | instskip(NEXT) | instid1(VALU_DEP_3)
	v_min3_f32 v45, v46, v45, v95
	v_min3_f32 v46, v48, v47, v96
	v_dual_add_f32 v47, v11, v39 :: v_dual_add_f32 v48, v10, v38
	s_delay_alu instid0(VALU_DEP_1) | instskip(SKIP_1) | instid1(VALU_DEP_1)
	v_min3_f32 v47, v48, v47, v46
	v_min_f32_e32 v49, v50, v49
	v_min3_f32 v48, v44, v49, v45
	s_delay_alu instid0(VALU_DEP_3)
	v_max_f32_e32 v44, v47, v47
	v_add_co_u32 v45, vcc_lo, v40, v72
	v_add_co_ci_u32_e32 v46, vcc_lo, v41, v73, vcc_lo
	s_mov_b32 vcc_lo, s2
	global_store_b32 v[45:46], v48, off
	s_cbranch_vccz .LBB16_152
; %bb.150:
	v_add_co_u32 v45, vcc_lo, v40, v78
	v_min_f32_e32 v47, 0, v44
	v_add_co_ci_u32_e32 v46, vcc_lo, v41, v79, vcc_lo
	s_mov_b32 s6, 0
	global_store_b32 v[45:46], v47, off
	s_cbranch_execz .LBB16_153
; %bb.151:
	v_mov_b32_e32 v42, s6
	s_branch .LBB16_154
.LBB16_152:
	s_mov_b32 s6, -1
.LBB16_153:
	v_add_co_u32 v45, vcc_lo, v42, v78
	v_add_co_ci_u32_e32 v46, vcc_lo, v43, v79, vcc_lo
	flat_load_b32 v45, v[45:46]
	s_waitcnt vmcnt(0) lgkmcnt(0)
	v_mul_f32_e32 v47, s3, v45
	v_add_co_u32 v45, vcc_lo, v40, v78
	v_add_co_ci_u32_e32 v46, vcc_lo, v41, v79, vcc_lo
	v_add_co_u32 v42, vcc_lo, v42, v76
	s_delay_alu instid0(VALU_DEP_4)
	v_min_f32_e32 v44, v47, v44
	v_add_co_ci_u32_e32 v43, vcc_lo, v43, v77, vcc_lo
	global_store_b32 v[45:46], v44, off
	flat_load_b32 v42, v[42:43]
	s_waitcnt vmcnt(0) lgkmcnt(0)
	v_mul_f32_e32 v42, s3, v42
.LBB16_154:
	v_dual_add_f32 v37, v1, v37 :: v_dual_add_f32 v36, v0, v36
	s_waitcnt lgkmcnt(0)
	v_dual_add_f32 v33, v33, v5 :: v_dual_add_f32 v32, v32, v4
	v_dual_add_f32 v38, v2, v38 :: v_dual_add_nc_u32 v43, 0xe0, v80
	s_delay_alu instid0(VALU_DEP_3) | instskip(SKIP_1) | instid1(VALU_DEP_4)
	v_min3_f32 v36, v36, v37, v93
	v_add_f32_e32 v39, v3, v39
	v_min3_f32 v37, v32, v33, v94
	s_delay_alu instid0(VALU_DEP_4) | instskip(SKIP_3) | instid1(VALU_DEP_4)
	v_mad_i64_i32 v[32:33], null, v43, s9, 0
	v_dual_add_f32 v44, v35, v7 :: v_dual_add_f32 v45, v34, v6
	v_mad_i64_i32 v[34:35], null, v43, s8, 0
	v_min_f32_e32 v38, v38, v39
	v_lshlrev_b64 v[32:33], 2, v[32:33]
	s_delay_alu instid0(VALU_DEP_4)
	v_min3_f32 v39, v45, v44, v37
	v_add_co_u32 v37, vcc_lo, v40, v76
	v_lshlrev_b64 v[34:35], 2, v[34:35]
	v_min3_f32 v42, v42, v38, v36
	v_add_co_ci_u32_e32 v38, vcc_lo, v41, v77, vcc_lo
	v_add_co_u32 v32, vcc_lo, s0, v32
	v_add_co_ci_u32_e32 v33, vcc_lo, s1, v33, vcc_lo
	v_add_co_u32 v34, vcc_lo, s4, v34
	v_add_co_ci_u32_e32 v35, vcc_lo, s5, v35, vcc_lo
	v_max_f32_e32 v36, v39, v39
	s_mov_b32 vcc_lo, s2
	global_store_b32 v[37:38], v42, off
	s_cbranch_vccz .LBB16_157
; %bb.155:
	v_add_co_u32 v37, vcc_lo, v32, v66
	v_min_f32_e32 v39, 0, v36
	v_add_co_ci_u32_e32 v38, vcc_lo, v33, v67, vcc_lo
	s_mov_b32 s0, 0
	global_store_b32 v[37:38], v39, off
	s_cbranch_execz .LBB16_158
; %bb.156:
	v_mov_b32_e32 v36, s0
	s_branch .LBB16_159
.LBB16_157:
	s_mov_b32 s0, -1
.LBB16_158:
	v_add_co_u32 v37, vcc_lo, v34, v66
	v_add_co_ci_u32_e32 v38, vcc_lo, v35, v67, vcc_lo
	flat_load_b32 v37, v[37:38]
	s_waitcnt vmcnt(0) lgkmcnt(0)
	v_mul_f32_e32 v39, s3, v37
	v_add_co_u32 v37, vcc_lo, v32, v66
	v_add_co_ci_u32_e32 v38, vcc_lo, v33, v67, vcc_lo
	s_delay_alu instid0(VALU_DEP_3)
	v_min_f32_e32 v36, v39, v36
	v_add_co_u32 v39, vcc_lo, v34, v64
	v_add_co_ci_u32_e32 v40, vcc_lo, v35, v65, vcc_lo
	global_store_b32 v[37:38], v36, off
	flat_load_b32 v36, v[39:40]
	s_waitcnt vmcnt(0) lgkmcnt(0)
	v_mul_f32_e32 v36, s3, v36
.LBB16_159:
	v_dual_add_f32 v25, v25, v5 :: v_dual_add_f32 v24, v24, v4
	v_dual_add_f32 v29, v29, v5 :: v_dual_add_f32 v28, v28, v4
	v_dual_add_f32 v31, v31, v7 :: v_dual_add_f32 v30, v30, v6
	s_delay_alu instid0(VALU_DEP_3) | instskip(SKIP_1) | instid1(VALU_DEP_4)
	v_min3_f32 v24, v24, v25, v92
	v_dual_add_f32 v25, v27, v7 :: v_dual_add_f32 v26, v26, v6
	v_min3_f32 v28, v28, v29, v91
	s_delay_alu instid0(VALU_DEP_2) | instskip(SKIP_3) | instid1(VALU_DEP_4)
	v_min3_f32 v24, v26, v25, v24
	v_min_f32_e32 v27, v30, v31
	v_add_co_u32 v25, vcc_lo, v32, v64
	v_add_co_ci_u32_e32 v26, vcc_lo, v33, v65, vcc_lo
	v_max_f32_e32 v24, v24, v24
	s_delay_alu instid0(VALU_DEP_4)
	v_min3_f32 v27, v36, v27, v28
	s_mov_b32 vcc_lo, s2
	global_store_b32 v[25:26], v27, off
	s_cbranch_vccz .LBB16_162
; %bb.160:
	v_add_co_u32 v25, vcc_lo, v32, v70
	v_min_f32_e32 v27, 0, v24
	v_add_co_ci_u32_e32 v26, vcc_lo, v33, v71, vcc_lo
	s_mov_b32 s0, 0
	global_store_b32 v[25:26], v27, off
	s_cbranch_execz .LBB16_163
; %bb.161:
	v_mov_b32_e32 v24, s0
	s_branch .LBB16_164
.LBB16_162:
	s_mov_b32 s0, -1
.LBB16_163:
	v_add_co_u32 v25, vcc_lo, v34, v70
	v_add_co_ci_u32_e32 v26, vcc_lo, v35, v71, vcc_lo
	flat_load_b32 v25, v[25:26]
	s_waitcnt vmcnt(0) lgkmcnt(0)
	v_mul_f32_e32 v27, s3, v25
	v_add_co_u32 v25, vcc_lo, v32, v70
	v_add_co_ci_u32_e32 v26, vcc_lo, v33, v71, vcc_lo
	s_delay_alu instid0(VALU_DEP_3)
	v_min_f32_e32 v24, v27, v24
	v_add_co_u32 v27, vcc_lo, v34, v68
	v_add_co_ci_u32_e32 v28, vcc_lo, v35, v69, vcc_lo
	global_store_b32 v[25:26], v24, off
	flat_load_b32 v24, v[27:28]
	s_waitcnt vmcnt(0) lgkmcnt(0)
	v_mul_f32_e32 v24, s3, v24
.LBB16_164:
	v_dual_add_f32 v17, v17, v5 :: v_dual_add_f32 v16, v16, v4
	v_dual_add_f32 v21, v21, v5 :: v_dual_add_f32 v20, v20, v4
	v_dual_add_f32 v23, v23, v7 :: v_dual_add_f32 v22, v22, v6
	s_delay_alu instid0(VALU_DEP_3) | instskip(SKIP_1) | instid1(VALU_DEP_4)
	v_min3_f32 v16, v16, v17, v90
	v_dual_add_f32 v17, v19, v7 :: v_dual_add_f32 v18, v18, v6
	v_min3_f32 v20, v20, v21, v89
	s_delay_alu instid0(VALU_DEP_2) | instskip(SKIP_3) | instid1(VALU_DEP_4)
	v_min3_f32 v16, v18, v17, v16
	v_min_f32_e32 v19, v22, v23
	v_add_co_u32 v17, vcc_lo, v32, v68
	v_add_co_ci_u32_e32 v18, vcc_lo, v33, v69, vcc_lo
	v_max_f32_e32 v16, v16, v16
	s_delay_alu instid0(VALU_DEP_4)
	v_min3_f32 v19, v24, v19, v20
	;; [unrolled: 47-line block ×3, first 2 shown]
	s_mov_b32 vcc_lo, s2
	global_store_b32 v[9:10], v11, off
	s_cbranch_vccz .LBB16_172
; %bb.170:
	v_add_co_u32 v9, vcc_lo, v32, v78
	v_min_f32_e32 v11, 0, v8
	v_add_co_ci_u32_e32 v10, vcc_lo, v33, v79, vcc_lo
	s_mov_b32 s0, 0
	global_store_b32 v[9:10], v11, off
	s_cbranch_execz .LBB16_173
; %bb.171:
	v_mov_b32_e32 v8, s0
	s_branch .LBB16_174
.LBB16_172:
	s_mov_b32 s0, -1
.LBB16_173:
	v_add_co_u32 v9, vcc_lo, v34, v78
	v_add_co_ci_u32_e32 v10, vcc_lo, v35, v79, vcc_lo
	flat_load_b32 v9, v[9:10]
	s_waitcnt vmcnt(0) lgkmcnt(0)
	v_mul_f32_e32 v11, s3, v9
	v_add_co_u32 v9, vcc_lo, v32, v78
	v_add_co_ci_u32_e32 v10, vcc_lo, v33, v79, vcc_lo
	s_delay_alu instid0(VALU_DEP_3)
	v_min_f32_e32 v8, v11, v8
	v_add_co_u32 v11, vcc_lo, v34, v76
	v_add_co_ci_u32_e32 v12, vcc_lo, v35, v77, vcc_lo
	global_store_b32 v[9:10], v8, off
	flat_load_b32 v8, v[11:12]
	s_waitcnt vmcnt(0) lgkmcnt(0)
	v_mul_f32_e32 v8, s3, v8
.LBB16_174:
	v_dual_add_f32 v3, v3, v7 :: v_dual_add_f32 v2, v2, v6
	v_dual_add_f32 v1, v1, v5 :: v_dual_add_f32 v0, v0, v4
	s_delay_alu instid0(VALU_DEP_2) | instskip(NEXT) | instid1(VALU_DEP_2)
	v_min_f32_e32 v2, v2, v3
	v_min3_f32 v0, v0, v1, v99
	s_delay_alu instid0(VALU_DEP_1)
	v_min3_f32 v2, v8, v2, v0
	v_add_co_u32 v0, vcc_lo, v32, v76
	v_add_co_ci_u32_e32 v1, vcc_lo, v33, v77, vcc_lo
	global_store_b32 v[0:1], v2, off
	s_nop 0
	s_sendmsg sendmsg(MSG_DEALLOC_VGPRS)
	s_endpgm
	.section	.rodata,"a",@progbits
	.p2align	6, 0x0
	.amdhsa_kernel _ZN12_GLOBAL__N_120geam_min_plus_kernelIf15HIP_vector_typeIfLj2EEfLi8ELi32ELi64ELi256ELi4ELi64ELi4ELi64ELi4ELc78ELc84ELb1ELb0ELb1EfKPKfKPfEEviiiT16_PT17_ilSA_ilS8_SA_ilPT18_ili26rocblas_geam_ex_operation_
		.amdhsa_group_segment_fixed_size 10240
		.amdhsa_private_segment_fixed_size 80
		.amdhsa_kernarg_size 128
		.amdhsa_user_sgpr_count 14
		.amdhsa_user_sgpr_dispatch_ptr 0
		.amdhsa_user_sgpr_queue_ptr 0
		.amdhsa_user_sgpr_kernarg_segment_ptr 1
		.amdhsa_user_sgpr_dispatch_id 0
		.amdhsa_user_sgpr_private_segment_size 0
		.amdhsa_wavefront_size32 1
		.amdhsa_uses_dynamic_stack 0
		.amdhsa_enable_private_segment 1
		.amdhsa_system_sgpr_workgroup_id_x 1
		.amdhsa_system_sgpr_workgroup_id_y 0
		.amdhsa_system_sgpr_workgroup_id_z 1
		.amdhsa_system_sgpr_workgroup_info 0
		.amdhsa_system_vgpr_workitem_id 1
		.amdhsa_next_free_vgpr 256
		.amdhsa_next_free_sgpr 22
		.amdhsa_reserve_vcc 1
		.amdhsa_float_round_mode_32 0
		.amdhsa_float_round_mode_16_64 0
		.amdhsa_float_denorm_mode_32 3
		.amdhsa_float_denorm_mode_16_64 3
		.amdhsa_dx10_clamp 1
		.amdhsa_ieee_mode 1
		.amdhsa_fp16_overflow 0
		.amdhsa_workgroup_processor_mode 1
		.amdhsa_memory_ordered 1
		.amdhsa_forward_progress 0
		.amdhsa_shared_vgpr_count 0
		.amdhsa_exception_fp_ieee_invalid_op 0
		.amdhsa_exception_fp_denorm_src 0
		.amdhsa_exception_fp_ieee_div_zero 0
		.amdhsa_exception_fp_ieee_overflow 0
		.amdhsa_exception_fp_ieee_underflow 0
		.amdhsa_exception_fp_ieee_inexact 0
		.amdhsa_exception_int_div_zero 0
	.end_amdhsa_kernel
	.section	.text._ZN12_GLOBAL__N_120geam_min_plus_kernelIf15HIP_vector_typeIfLj2EEfLi8ELi32ELi64ELi256ELi4ELi64ELi4ELi64ELi4ELc78ELc84ELb1ELb0ELb1EfKPKfKPfEEviiiT16_PT17_ilSA_ilS8_SA_ilPT18_ili26rocblas_geam_ex_operation_,"axG",@progbits,_ZN12_GLOBAL__N_120geam_min_plus_kernelIf15HIP_vector_typeIfLj2EEfLi8ELi32ELi64ELi256ELi4ELi64ELi4ELi64ELi4ELc78ELc84ELb1ELb0ELb1EfKPKfKPfEEviiiT16_PT17_ilSA_ilS8_SA_ilPT18_ili26rocblas_geam_ex_operation_,comdat
.Lfunc_end16:
	.size	_ZN12_GLOBAL__N_120geam_min_plus_kernelIf15HIP_vector_typeIfLj2EEfLi8ELi32ELi64ELi256ELi4ELi64ELi4ELi64ELi4ELc78ELc84ELb1ELb0ELb1EfKPKfKPfEEviiiT16_PT17_ilSA_ilS8_SA_ilPT18_ili26rocblas_geam_ex_operation_, .Lfunc_end16-_ZN12_GLOBAL__N_120geam_min_plus_kernelIf15HIP_vector_typeIfLj2EEfLi8ELi32ELi64ELi256ELi4ELi64ELi4ELi64ELi4ELc78ELc84ELb1ELb0ELb1EfKPKfKPfEEviiiT16_PT17_ilSA_ilS8_SA_ilPT18_ili26rocblas_geam_ex_operation_
                                        ; -- End function
	.section	.AMDGPU.csdata,"",@progbits
; Kernel info:
; codeLenInByte = 17884
; NumSgprs: 24
; NumVgprs: 256
; ScratchSize: 80
; MemoryBound: 0
; FloatMode: 240
; IeeeMode: 1
; LDSByteSize: 10240 bytes/workgroup (compile time only)
; SGPRBlocks: 2
; VGPRBlocks: 31
; NumSGPRsForWavesPerEU: 24
; NumVGPRsForWavesPerEU: 256
; Occupancy: 5
; WaveLimiterHint : 1
; COMPUTE_PGM_RSRC2:SCRATCH_EN: 1
; COMPUTE_PGM_RSRC2:USER_SGPR: 14
; COMPUTE_PGM_RSRC2:TRAP_HANDLER: 0
; COMPUTE_PGM_RSRC2:TGID_X_EN: 1
; COMPUTE_PGM_RSRC2:TGID_Y_EN: 0
; COMPUTE_PGM_RSRC2:TGID_Z_EN: 1
; COMPUTE_PGM_RSRC2:TIDIG_COMP_CNT: 1
	.section	.text._ZN12_GLOBAL__N_120geam_min_plus_kernelIf15HIP_vector_typeIfLj2EEfLi8ELi32ELi64ELi256ELi4ELi64ELi4ELi64ELi4ELc78ELc84ELb0ELb0ELb1EfKPKfKPfEEviiiT16_PT17_ilSA_ilS8_SA_ilPT18_ili26rocblas_geam_ex_operation_,"axG",@progbits,_ZN12_GLOBAL__N_120geam_min_plus_kernelIf15HIP_vector_typeIfLj2EEfLi8ELi32ELi64ELi256ELi4ELi64ELi4ELi64ELi4ELc78ELc84ELb0ELb0ELb1EfKPKfKPfEEviiiT16_PT17_ilSA_ilS8_SA_ilPT18_ili26rocblas_geam_ex_operation_,comdat
	.globl	_ZN12_GLOBAL__N_120geam_min_plus_kernelIf15HIP_vector_typeIfLj2EEfLi8ELi32ELi64ELi256ELi4ELi64ELi4ELi64ELi4ELc78ELc84ELb0ELb0ELb1EfKPKfKPfEEviiiT16_PT17_ilSA_ilS8_SA_ilPT18_ili26rocblas_geam_ex_operation_ ; -- Begin function _ZN12_GLOBAL__N_120geam_min_plus_kernelIf15HIP_vector_typeIfLj2EEfLi8ELi32ELi64ELi256ELi4ELi64ELi4ELi64ELi4ELc78ELc84ELb0ELb0ELb1EfKPKfKPfEEviiiT16_PT17_ilSA_ilS8_SA_ilPT18_ili26rocblas_geam_ex_operation_
	.p2align	8
	.type	_ZN12_GLOBAL__N_120geam_min_plus_kernelIf15HIP_vector_typeIfLj2EEfLi8ELi32ELi64ELi256ELi4ELi64ELi4ELi64ELi4ELc78ELc84ELb0ELb0ELb1EfKPKfKPfEEviiiT16_PT17_ilSA_ilS8_SA_ilPT18_ili26rocblas_geam_ex_operation_,@function
_ZN12_GLOBAL__N_120geam_min_plus_kernelIf15HIP_vector_typeIfLj2EEfLi8ELi32ELi64ELi256ELi4ELi64ELi4ELi64ELi4ELc78ELc84ELb0ELb0ELb1EfKPKfKPfEEviiiT16_PT17_ilSA_ilS8_SA_ilPT18_ili26rocblas_geam_ex_operation_: ; @_ZN12_GLOBAL__N_120geam_min_plus_kernelIf15HIP_vector_typeIfLj2EEfLi8ELi32ELi64ELi256ELi4ELi64ELi4ELi64ELi4ELc78ELc84ELb0ELb0ELb1EfKPKfKPfEEviiiT16_PT17_ilSA_ilS8_SA_ilPT18_ili26rocblas_geam_ex_operation_
; %bb.0:
	s_clause 0x1
	s_load_b64 s[12:13], s[0:1], 0x8
	s_load_b128 s[4:7], s[0:1], 0x20
	s_mov_b32 s22, s15
	s_mov_b32 s23, 0
	s_waitcnt lgkmcnt(0)
	v_cmp_eq_f32_e64 s2, s13, 0
	s_delay_alu instid0(VALU_DEP_1)
	s_and_b32 vcc_lo, exec_lo, s2
	s_cbranch_vccnz .LBB17_3
; %bb.1:
	s_load_b64 s[8:9], s[0:1], 0x10
	s_lshl_b64 s[10:11], s[22:23], 3
	s_waitcnt lgkmcnt(0)
	s_add_u32 s8, s8, s10
	s_addc_u32 s9, s9, s11
	s_lshl_b64 s[4:5], s[4:5], 2
	s_load_b64 s[8:9], s[8:9], 0x0
	s_waitcnt lgkmcnt(0)
	s_add_u32 s16, s8, s4
	s_addc_u32 s17, s9, s5
	v_cndmask_b32_e64 v1, 0, 1, s2
	s_and_not1_b32 vcc_lo, exec_lo, s2
	s_delay_alu instid0(VALU_DEP_1)
	v_cmp_ne_u32_e64 s4, 1, v1
	s_cbranch_vccnz .LBB17_4
.LBB17_2:
	s_mov_b64 s[18:19], 0
	s_and_not1_b32 vcc_lo, exec_lo, s23
	s_cbranch_vccz .LBB17_5
	s_branch .LBB17_6
.LBB17_3:
	s_mov_b64 s[16:17], 0
	v_cndmask_b32_e64 v1, 0, 1, s2
	s_and_not1_b32 vcc_lo, exec_lo, s2
	s_delay_alu instid0(VALU_DEP_1)
	v_cmp_ne_u32_e64 s4, 1, v1
	s_cbranch_vccz .LBB17_2
.LBB17_4:
	s_mov_b32 s23, -1
                                        ; implicit-def: $sgpr18_sgpr19
.LBB17_5:
	s_mov_b32 s23, 0
	s_load_b64 s[8:9], s[0:1], 0x38
	s_lshl_b64 s[2:3], s[22:23], 3
	s_delay_alu instid0(SALU_CYCLE_1) | instskip(SKIP_4) | instid1(SALU_CYCLE_1)
	s_add_u32 s2, s6, s2
	s_addc_u32 s3, s7, s3
	s_load_b64 s[2:3], s[2:3], 0x0
	s_waitcnt lgkmcnt(0)
	s_lshl_b64 s[6:7], s[8:9], 2
	s_add_u32 s18, s2, s6
	s_addc_u32 s19, s3, s7
.LBB17_6:
	s_clause 0x1
	s_load_b32 s15, s[0:1], 0x40
	s_load_b128 s[8:11], s[0:1], 0x58
	s_waitcnt lgkmcnt(0)
	v_cmp_eq_f32_e64 s2, s15, 0
	s_delay_alu instid0(VALU_DEP_1) | instskip(NEXT) | instid1(SALU_CYCLE_1)
	s_and_b32 s2, exec_lo, s2
	s_mov_b32 vcc_lo, s2
	s_cbranch_vccnz .LBB17_8
; %bb.7:
	s_load_b64 s[6:7], s[0:1], 0x48
	s_lshl_b64 s[20:21], s[22:23], 3
	s_waitcnt lgkmcnt(0)
	s_add_u32 s6, s6, s20
	s_addc_u32 s7, s7, s21
	s_lshl_b64 s[8:9], s[8:9], 2
	s_load_b64 s[6:7], s[6:7], 0x0
	s_waitcnt lgkmcnt(0)
	s_add_u32 s6, s6, s8
	s_addc_u32 s7, s7, s9
	s_branch .LBB17_9
.LBB17_8:
	s_mov_b64 s[6:7], 0
.LBB17_9:
	s_clause 0x1
	s_load_b32 s20, s[0:1], 0x18
	s_load_b32 s3, s[0:1], 0x0
	s_lshl_b64 s[8:9], s[22:23], 3
	v_and_b32_e32 v17, 0x3ff, v0
	v_bfe_u32 v16, v0, 10, 10
	s_delay_alu instid0(VALU_DEP_1) | instskip(NEXT) | instid1(VALU_DEP_1)
	v_lshl_add_u32 v0, v16, 3, v17
	v_lshrrev_b32_e32 v70, 6, v0
	v_and_b32_e32 v12, 63, v0
	s_waitcnt lgkmcnt(0)
	s_ashr_i32 s21, s20, 31
	s_add_u32 s8, s10, s8
	s_addc_u32 s9, s11, s9
	s_add_i32 s3, s3, -1
	s_load_b64 s[8:9], s[8:9], 0x0
	s_ashr_i32 s5, s3, 31
	s_delay_alu instid0(SALU_CYCLE_1) | instskip(NEXT) | instid1(SALU_CYCLE_1)
	s_lshr_b32 s5, s5, 26
	s_add_i32 s3, s3, s5
	s_delay_alu instid0(SALU_CYCLE_1) | instskip(NEXT) | instid1(SALU_CYCLE_1)
	s_ashr_i32 s3, s3, 6
	s_add_i32 s5, s3, 1
	s_not_b32 s3, s3
	v_cvt_f32_u32_e32 v1, s5
	s_delay_alu instid0(VALU_DEP_1) | instskip(SKIP_2) | instid1(VALU_DEP_1)
	v_rcp_iflag_f32_e32 v1, v1
	s_waitcnt_depctr 0xfff
	v_mul_f32_e32 v1, 0x4f7ffffe, v1
	v_cvt_u32_f32_e32 v1, v1
	s_delay_alu instid0(VALU_DEP_1) | instskip(NEXT) | instid1(VALU_DEP_1)
	v_readfirstlane_b32 s10, v1
	s_mul_i32 s3, s3, s10
	s_delay_alu instid0(SALU_CYCLE_1) | instskip(NEXT) | instid1(SALU_CYCLE_1)
	s_mul_hi_u32 s3, s10, s3
	s_add_i32 s10, s10, s3
	s_delay_alu instid0(SALU_CYCLE_1) | instskip(NEXT) | instid1(SALU_CYCLE_1)
	s_mul_hi_u32 s3, s14, s10
	s_mul_i32 s10, s3, s5
	s_add_i32 s11, s3, 1
	s_sub_i32 s10, s14, s10
	s_delay_alu instid0(SALU_CYCLE_1)
	s_sub_i32 s22, s10, s5
	s_cmp_ge_u32 s10, s5
	s_cselect_b32 s3, s11, s3
	s_cselect_b32 s10, s22, s10
	s_add_i32 s11, s3, 1
	s_cmp_ge_u32 s10, s5
	s_mov_b32 s10, -1
	s_cselect_b32 s3, s11, s3
	s_and_b32 vcc_lo, exec_lo, s4
	s_mul_i32 s5, s3, s5
	s_delay_alu instid0(SALU_CYCLE_1) | instskip(NEXT) | instid1(SALU_CYCLE_1)
	s_sub_i32 s11, s14, s5
	s_lshl_b32 s22, s11, 6
	s_cbranch_vccnz .LBB17_11
; %bb.10:
	v_mov_b32_e32 v1, 0
	s_mov_b32 s10, 0
	s_branch .LBB17_12
.LBB17_11:
                                        ; implicit-def: $vgpr0_vgpr1
.LBB17_12:
	v_or_b32_e32 v2, s22, v12
	v_cmp_neq_f32_e64 s24, s13, 0
	s_and_not1_b32 vcc_lo, exec_lo, s10
	s_delay_alu instid0(VALU_DEP_2)
	v_ashrrev_i32_e32 v3, 31, v2
	s_cbranch_vccnz .LBB17_14
; %bb.13:
	v_mad_i64_i32 v[0:1], null, s20, v70, 0
	s_delay_alu instid0(VALU_DEP_2) | instskip(NEXT) | instid1(VALU_DEP_2)
	v_lshlrev_b64 v[4:5], 2, v[2:3]
	v_lshlrev_b64 v[0:1], 2, v[0:1]
	s_delay_alu instid0(VALU_DEP_1) | instskip(NEXT) | instid1(VALU_DEP_2)
	v_add_co_u32 v0, vcc_lo, s16, v0
	v_add_co_ci_u32_e32 v1, vcc_lo, s17, v1, vcc_lo
	s_delay_alu instid0(VALU_DEP_2) | instskip(NEXT) | instid1(VALU_DEP_2)
	v_add_co_u32 v0, vcc_lo, v0, v4
	v_add_co_ci_u32_e32 v1, vcc_lo, v1, v5, vcc_lo
	flat_load_b32 v0, v[0:1]
	s_waitcnt vmcnt(0) lgkmcnt(0)
	v_dual_mov_b32 v1, 0 :: v_dual_mul_f32 v6, s13, v0
	s_branch .LBB17_15
.LBB17_14:
	v_mov_b32_e32 v6, s10
.LBB17_15:
	s_load_b32 s10, s[0:1], 0x30
	s_lshl_b32 s23, s3, 8
	v_cndmask_b32_e64 v7, 0, 1, s24
	s_delay_alu instid0(VALU_DEP_1)
	v_cmp_ne_u32_e64 s3, 1, v7
	s_waitcnt lgkmcnt(0)
	s_ashr_i32 s11, s10, 31
	v_mul_lo_u32 v4, v1, s10
	v_mad_u64_u32 v[0:1], null, v70, s10, 0
	v_mul_lo_u32 v5, v70, s11
	s_delay_alu instid0(VALU_DEP_1) | instskip(NEXT) | instid1(VALU_DEP_1)
	v_add3_u32 v1, v1, v5, v4
	v_lshlrev_b64 v[4:5], 2, v[0:1]
	v_or_b32_e32 v0, s23, v12
	s_delay_alu instid0(VALU_DEP_1) | instskip(NEXT) | instid1(VALU_DEP_3)
	v_ashrrev_i32_e32 v1, 31, v0
	v_add_co_u32 v4, vcc_lo, s18, v4
	s_delay_alu instid0(VALU_DEP_4)
	v_add_co_ci_u32_e32 v5, vcc_lo, s19, v5, vcc_lo
	s_and_not1_b32 vcc_lo, exec_lo, s24
	s_cbranch_vccnz .LBB17_20
; %bb.16:
	v_lshlrev_b64 v[7:8], 2, v[0:1]
	s_delay_alu instid0(VALU_DEP_1) | instskip(NEXT) | instid1(VALU_DEP_2)
	v_add_co_u32 v7, vcc_lo, v4, v7
	v_add_co_ci_u32_e32 v8, vcc_lo, v5, v8, vcc_lo
	s_clause 0x1
	flat_load_b32 v9, v[7:8]
	flat_load_b32 v8, v[7:8] offset:256
	s_waitcnt vmcnt(0) lgkmcnt(0)
	v_dual_mul_f32 v7, s13, v9 :: v_dual_mul_f32 v8, s13, v8
	s_and_b32 vcc_lo, exec_lo, s3
	s_cbranch_vccnz .LBB17_21
.LBB17_17:
	v_lshlrev_b64 v[9:10], 2, v[0:1]
	s_delay_alu instid0(VALU_DEP_1) | instskip(NEXT) | instid1(VALU_DEP_2)
	v_add_co_u32 v4, vcc_lo, v4, v9
	v_add_co_ci_u32_e32 v5, vcc_lo, v5, v10, vcc_lo
	s_clause 0x1
	flat_load_b32 v9, v[4:5] offset:512
	flat_load_b32 v4, v[4:5] offset:768
	s_waitcnt vmcnt(0) lgkmcnt(0)
	v_dual_mul_f32 v9, s13, v9 :: v_dual_mul_f32 v10, s13, v4
	v_add_nc_u32_e32 v11, 4, v70
	s_and_b32 vcc_lo, exec_lo, s4
	s_cbranch_vccnz .LBB17_22
.LBB17_18:
	v_mov_b32_e32 v5, 0
	s_mov_b32 s4, 0
	s_cbranch_execz .LBB17_23
; %bb.19:
	v_mov_b32_e32 v2, s4
	s_branch .LBB17_24
.LBB17_20:
	v_dual_mov_b32 v7, 0 :: v_dual_mov_b32 v8, 0
	s_and_b32 vcc_lo, exec_lo, s3
	s_cbranch_vccz .LBB17_17
.LBB17_21:
	v_dual_mov_b32 v9, 0 :: v_dual_mov_b32 v10, 0
	v_add_nc_u32_e32 v11, 4, v70
	s_and_b32 vcc_lo, exec_lo, s4
	s_cbranch_vccz .LBB17_18
.LBB17_22:
	s_mov_b32 s4, -1
                                        ; implicit-def: $vgpr4_vgpr5
.LBB17_23:
	s_delay_alu instid0(VALU_DEP_1) | instskip(SKIP_1) | instid1(VALU_DEP_2)
	v_mad_i64_i32 v[4:5], null, s20, v11, 0
	v_lshlrev_b64 v[2:3], 2, v[2:3]
	v_lshlrev_b64 v[4:5], 2, v[4:5]
	s_delay_alu instid0(VALU_DEP_1) | instskip(NEXT) | instid1(VALU_DEP_2)
	v_add_co_u32 v4, vcc_lo, s16, v4
	v_add_co_ci_u32_e32 v5, vcc_lo, s17, v5, vcc_lo
	s_delay_alu instid0(VALU_DEP_2) | instskip(NEXT) | instid1(VALU_DEP_2)
	v_add_co_u32 v2, vcc_lo, v4, v2
	v_add_co_ci_u32_e32 v3, vcc_lo, v5, v3, vcc_lo
	flat_load_b32 v2, v[2:3]
	s_waitcnt vmcnt(0) lgkmcnt(0)
	v_dual_mov_b32 v5, 0 :: v_dual_mul_f32 v2, s13, v2
.LBB17_24:
	scratch_store_b32 off, v2, off          ; 4-byte Folded Spill
	v_mul_lo_u32 v4, v5, s10
	v_mul_lo_u32 v5, v11, s11
	v_mad_u64_u32 v[2:3], null, v11, s10, 0
	s_delay_alu instid0(VALU_DEP_1) | instskip(NEXT) | instid1(VALU_DEP_1)
	v_add3_u32 v3, v3, v5, v4
	v_lshlrev_b64 v[2:3], 2, v[2:3]
	s_delay_alu instid0(VALU_DEP_1) | instskip(NEXT) | instid1(VALU_DEP_2)
	v_add_co_u32 v2, vcc_lo, s18, v2
	v_add_co_ci_u32_e32 v3, vcc_lo, s19, v3, vcc_lo
	s_and_b32 vcc_lo, exec_lo, s3
	s_cbranch_vccnz .LBB17_27
; %bb.25:
	v_lshlrev_b64 v[4:5], 2, v[0:1]
	s_delay_alu instid0(VALU_DEP_1) | instskip(NEXT) | instid1(VALU_DEP_2)
	v_add_co_u32 v4, vcc_lo, v2, v4
	v_add_co_ci_u32_e32 v5, vcc_lo, v3, v5, vcc_lo
	s_clause 0x1
	flat_load_b32 v11, v[4:5]
	flat_load_b32 v4, v[4:5] offset:256
	s_waitcnt vmcnt(0) lgkmcnt(0)
	v_dual_mul_f32 v5, s13, v11 :: v_dual_mul_f32 v4, s13, v4
	scratch_store_b32 off, v5, off offset:4 ; 4-byte Folded Spill
	s_and_b32 vcc_lo, exec_lo, s3
	scratch_store_b32 off, v4, off offset:8 ; 4-byte Folded Spill
	s_cbranch_vccnz .LBB17_28
.LBB17_26:
	v_lshlrev_b64 v[0:1], 2, v[0:1]
	s_delay_alu instid0(VALU_DEP_1) | instskip(NEXT) | instid1(VALU_DEP_2)
	v_add_co_u32 v0, vcc_lo, v2, v0
	v_add_co_ci_u32_e32 v1, vcc_lo, v3, v1, vcc_lo
	s_clause 0x1
	flat_load_b32 v2, v[0:1] offset:512
	flat_load_b32 v0, v[0:1] offset:768
	s_waitcnt vmcnt(0) lgkmcnt(0)
	v_dual_mul_f32 v1, s13, v2 :: v_dual_mul_f32 v0, s13, v0
	scratch_store_b32 off, v1, off offset:12 ; 4-byte Folded Spill
	s_branch .LBB17_29
.LBB17_27:
	v_mov_b32_e32 v4, 0
	scratch_store_b32 off, v4, off offset:4 ; 4-byte Folded Spill
	v_mov_b32_e32 v4, 0
	s_and_b32 vcc_lo, exec_lo, s3
	scratch_store_b32 off, v4, off offset:8 ; 4-byte Folded Spill
	s_cbranch_vccz .LBB17_26
.LBB17_28:
	v_mov_b32_e32 v0, 0
	scratch_store_b32 off, v0, off offset:12 ; 4-byte Folded Spill
	v_mov_b32_e32 v0, 0
.LBB17_29:
	scratch_store_b32 off, v0, off offset:16 ; 4-byte Folded Spill
	v_lshlrev_b32_e32 v0, 2, v70
	v_lshlrev_b32_e32 v74, 4, v16
	;; [unrolled: 1-line block ×3, first 2 shown]
	s_cmp_lt_i32 s12, 9
	s_delay_alu instid0(VALU_DEP_3)
	v_lshl_add_u32 v76, v12, 4, v0
	ds_store_2addr_stride64_b32 v76, v7, v8 offset1:4
	ds_store_2addr_stride64_b32 v76, v9, v10 offset0:8 offset1:12
	ds_store_b32 v76, v6 offset:8192
	s_waitcnt lgkmcnt(0)
	s_waitcnt_vscnt null, 0x0
	s_barrier
	buffer_gl0_inv
	ds_load_b128 v[23:26], v74
	ds_load_b128 v[0:3], v204 offset:8192
	scratch_store_b32 off, v12, off offset:60 ; 4-byte Folded Spill
	ds_load_b128 v[12:15], v204 offset:8320
	ds_load_b128 v[8:11], v204 offset:8448
	;; [unrolled: 1-line block ×4, first 2 shown]
	s_waitcnt lgkmcnt(3)
	v_add_f32_e32 v78, v14, v25
	v_dual_add_f32 v18, v1, v24 :: v_dual_add_f32 v151, v3, v26
	s_waitcnt lgkmcnt(2)
	v_dual_add_f32 v135, v11, v26 :: v_dual_add_f32 v148, v0, v23
	v_add_f32_e32 v129, v15, v26
	scratch_store_b32 off, v18, off offset:28 ; 4-byte Folded Spill
	v_dual_add_f32 v18, v13, v24 :: v_dual_add_f32 v149, v8, v23
	s_waitcnt lgkmcnt(0)
	v_dual_add_f32 v128, v2, v25 :: v_dual_add_f32 v87, v12, v27
	v_add_f32_e32 v85, v0, v27
	scratch_store_b32 off, v18, off offset:32 ; 4-byte Folded Spill
	v_add_f32_e32 v18, v9, v24
	v_dual_add_f32 v80, v10, v25 :: v_dual_add_f32 v91, v4, v27
	v_dual_add_f32 v130, v7, v26 :: v_dual_add_f32 v103, v14, v29
	scratch_store_b32 off, v18, off offset:36 ; 4-byte Folded Spill
	v_add_f32_e32 v18, v5, v24
	v_dual_add_f32 v86, v13, v28 :: v_dual_add_f32 v105, v10, v29
	v_dual_add_f32 v88, v9, v28 :: v_dual_add_f32 v107, v6, v29
	scratch_store_b32 off, v18, off offset:40 ; 4-byte Folded Spill
	v_add_f32_e32 v18, v4, v23
	v_dual_add_f32 v89, v8, v27 :: v_dual_add_f32 v90, v5, v28
	v_add_f32_e32 v100, v3, v30
	v_add_f32_e32 v102, v15, v30
	scratch_store_b32 off, v18, off offset:44 ; 4-byte Folded Spill
	ds_load_b128 v[31:34], v204 offset:8704
	ds_load_b128 v[35:38], v204 offset:8832
	v_add_f32_e32 v146, v12, v23
	v_add_f32_e32 v82, v6, v25
	;; [unrolled: 1-line block ×3, first 2 shown]
	v_dual_add_f32 v106, v7, v30 :: v_dual_add_f32 v101, v2, v29
	s_waitcnt lgkmcnt(1)
	v_add_f32_e32 v147, v32, v24
	s_waitcnt lgkmcnt(0)
	v_dual_add_f32 v18, v36, v24 :: v_dual_add_f32 v79, v37, v25
	v_add_f32_e32 v131, v34, v26
	v_dual_add_f32 v77, v33, v25 :: v_dual_add_f32 v132, v38, v26
	v_add_f32_e32 v95, v35, v27
	scratch_store_b32 off, v18, off offset:48 ; 4-byte Folded Spill
	v_add_f32_e32 v18, v35, v23
	v_dual_add_f32 v92, v32, v28 :: v_dual_add_f32 v109, v33, v29
	v_dual_add_f32 v93, v31, v27 :: v_dual_add_f32 v94, v36, v28
	v_add_f32_e32 v111, v37, v29
	scratch_store_b32 off, v18, off offset:52 ; 4-byte Folded Spill
	ds_load_b128 v[39:42], v204 offset:8960
	ds_load_b128 v[43:46], v204 offset:9088
	v_add_f32_e32 v144, v31, v23
	v_add_f32_e32 v84, v1, v28
	v_add_f32_e32 v108, v34, v30
	s_waitcnt lgkmcnt(1)
	v_dual_add_f32 v110, v38, v30 :: v_dual_add_f32 v145, v40, v24
	s_waitcnt lgkmcnt(0)
	v_dual_add_f32 v18, v44, v24 :: v_dual_add_f32 v83, v45, v25
	v_add_f32_e32 v139, v39, v23
	v_dual_add_f32 v136, v43, v23 :: v_dual_add_f32 v133, v42, v26
	scratch_store_b32 off, v18, off offset:56 ; 4-byte Folded Spill
	v_dual_add_f32 v81, v41, v25 :: v_dual_add_f32 v134, v46, v26
	v_dual_add_f32 v97, v39, v27 :: v_dual_add_f32 v96, v40, v28
	;; [unrolled: 1-line block ×3, first 2 shown]
	v_add_f32_e32 v115, v45, v29
	v_dual_add_f32 v99, v43, v27 :: v_dual_add_f32 v112, v42, v30
	v_add_f32_e32 v114, v46, v30
	ds_load_b128 v[23:26], v74 offset:1024
	ds_load_b128 v[27:30], v74 offset:1536
	s_waitcnt lgkmcnt(1)
	v_dual_add_f32 v116, v1, v24 :: v_dual_add_f32 v127, v15, v26
	v_dual_add_f32 v117, v0, v23 :: v_dual_add_f32 v118, v13, v24
	v_add_f32_e32 v153, v11, v26
	v_dual_add_f32 v119, v12, v23 :: v_dual_add_f32 v120, v9, v24
	v_add_f32_e32 v155, v7, v26
	;; [unrolled: 2-line block ×3, first 2 shown]
	v_add_f32_e32 v123, v4, v23
	v_add_f32_e32 v125, v32, v24
	v_dual_add_f32 v137, v31, v23 :: v_dual_add_f32 v138, v36, v24
	v_dual_add_f32 v159, v38, v26 :: v_dual_add_f32 v140, v35, v23
	v_add_f32_e32 v161, v42, v26
	v_dual_add_f32 v141, v40, v24 :: v_dual_add_f32 v142, v39, v23
	v_add_f32_e32 v163, v46, v26
	v_dual_add_f32 v143, v44, v24 :: v_dual_add_f32 v150, v43, v23
	s_waitcnt lgkmcnt(0)
	v_dual_add_f32 v167, v13, v28 :: v_dual_add_f32 v124, v3, v26
	v_dual_add_f32 v169, v9, v28 :: v_dual_add_f32 v126, v2, v25
	;; [unrolled: 1-line block ×9, first 2 shown]
	v_add_f32_e32 v185, v11, v30
	v_dual_add_f32 v165, v1, v28 :: v_dual_add_f32 v166, v0, v27
	v_dual_add_f32 v187, v7, v30 :: v_dual_add_f32 v168, v12, v27
	;; [unrolled: 1-line block ×6, first 2 shown]
	v_add_f32_e32 v178, v39, v27
	v_add_f32_e32 v180, v43, v27
	;; [unrolled: 1-line block ×10, first 2 shown]
	ds_load_b128 v[23:26], v74 offset:2048
	ds_load_b128 v[27:30], v74 offset:2560
	s_clause 0x1
	scratch_store_b32 off, v16, off offset:20
	scratch_store_b32 off, v17, off offset:24
	s_waitcnt lgkmcnt(1)
	v_dual_add_f32 v197, v1, v24 :: v_dual_add_f32 v198, v0, v23
	v_add_f32_e32 v217, v11, v26
	v_dual_add_f32 v199, v13, v24 :: v_dual_add_f32 v200, v12, v23
	v_add_f32_e32 v219, v7, v26
	;; [unrolled: 2-line block ×3, first 2 shown]
	v_add_f32_e32 v203, v5, v24
	v_add_f32_e32 v71, v4, v23
	v_dual_add_f32 v205, v32, v24 :: v_dual_add_f32 v206, v31, v23
	v_add_f32_e32 v223, v38, v26
	v_dual_add_f32 v207, v36, v24 :: v_dual_add_f32 v208, v35, v23
	;; [unrolled: 2-line block ×4, first 2 shown]
	s_waitcnt lgkmcnt(0)
	v_add_f32_e32 v229, v1, v28
	v_dual_add_f32 v213, v3, v26 :: v_dual_add_f32 v214, v2, v25
	v_add_f32_e32 v231, v13, v28
	v_dual_add_f32 v215, v15, v26 :: v_dual_add_f32 v216, v14, v25
	v_dual_add_f32 v233, v9, v28 :: v_dual_add_f32 v218, v10, v25
	;; [unrolled: 1-line block ×15, first 2 shown]
	v_add_f32_e32 v246, v2, v29
	v_add_f32_e32 v248, v14, v29
	;; [unrolled: 1-line block ×8, first 2 shown]
	ds_load_b128 v[23:26], v74 offset:3072
	ds_load_b128 v[27:30], v74 offset:3584
	s_waitcnt lgkmcnt(1)
	v_add_f32_e32 v61, v3, v26
	v_add_f32_e32 v51, v0, v23
	v_dual_add_f32 v48, v12, v23 :: v_dual_add_f32 v21, v14, v25
	v_dual_add_f32 v50, v9, v24 :: v_dual_add_f32 v63, v10, v25
	;; [unrolled: 1-line block ×4, first 2 shown]
	v_add_f32_e32 v55, v4, v23
	v_dual_add_f32 v56, v31, v23 :: v_dual_add_f32 v67, v33, v25
	v_dual_add_f32 v20, v35, v23 :: v_dual_add_f32 v19, v42, v26
	v_add_f32_e32 v59, v39, v23
	v_add_f32_e32 v23, v43, v23
	;; [unrolled: 1-line block ×3, first 2 shown]
	s_waitcnt lgkmcnt(0)
	v_dual_add_f32 v22, v11, v26 :: v_dual_add_f32 v9, v9, v28
	v_dual_add_f32 v16, v6, v25 :: v_dual_add_f32 v3, v3, v30
	;; [unrolled: 1-line block ×7, first 2 shown]
	v_add_f32_e32 v8, v8, v27
	v_dual_add_f32 v10, v10, v29 :: v_dual_add_f32 v39, v39, v27
	v_add_f32_e32 v4, v4, v27
	v_dual_add_f32 v6, v6, v29 :: v_dual_add_f32 v27, v43, v27
	scratch_load_b32 v43, off, off offset:28 ; 4-byte Folded Reload
	v_add_f32_e32 v49, v1, v24
	v_add_f32_e32 v53, v13, v24
	;; [unrolled: 1-line block ×3, first 2 shown]
	v_dual_add_f32 v58, v36, v24 :: v_dual_add_f32 v69, v37, v25
	v_add_f32_e32 v47, v40, v24
	v_add_f32_e32 v24, v44, v24
	v_dual_add_f32 v60, v2, v25 :: v_dual_add_f32 v1, v1, v28
	v_add_f32_e32 v13, v13, v28
	v_add_f32_e32 v32, v32, v28
	;; [unrolled: 1-line block ×5, first 2 shown]
	v_dual_add_f32 v2, v2, v29 :: v_dual_add_f32 v7, v7, v30
	v_min3_f32 v0, v0, v1, 0x7f7fffff
	v_dual_add_f32 v66, v41, v25 :: v_dual_add_f32 v15, v15, v30
	v_add_f32_e32 v37, v37, v29
	v_dual_add_f32 v41, v41, v29 :: v_dual_add_f32 v34, v34, v30
	v_dual_add_f32 v29, v45, v29 :: v_dual_add_f32 v38, v38, v30
	v_add_f32_e32 v42, v42, v30
	v_dual_add_f32 v30, v46, v30 :: v_dual_add_f32 v25, v45, v25
	s_waitcnt vmcnt(0)
	v_min3_f32 v43, v148, v43, 0x7f7fffff
	s_delay_alu instid0(VALU_DEP_1) | instskip(SKIP_3) | instid1(VALU_DEP_1)
	v_min3_f32 v151, v128, v151, v43
	scratch_load_b32 v43, off, off offset:32 ; 4-byte Folded Reload
	s_waitcnt vmcnt(0)
	v_min3_f32 v43, v146, v43, 0x7f7fffff
	v_min3_f32 v148, v78, v129, v43
	scratch_load_b32 v43, off, off offset:36 ; 4-byte Folded Reload
	s_waitcnt vmcnt(0)
	v_min3_f32 v43, v149, v43, 0x7f7fffff
	s_delay_alu instid0(VALU_DEP_1)
	v_min3_f32 v149, v80, v135, v43
	s_clause 0x1
	scratch_load_b32 v43, off, off offset:40
	scratch_load_b32 v44, off, off offset:44
	s_waitcnt vmcnt(0)
	v_min3_f32 v43, v44, v43, 0x7f7fffff
	s_delay_alu instid0(VALU_DEP_1) | instskip(SKIP_1) | instid1(VALU_DEP_1)
	v_min3_f32 v146, v82, v130, v43
	v_min3_f32 v43, v144, v147, 0x7f7fffff
	;; [unrolled: 1-line block ×3, first 2 shown]
	s_clause 0x1
	scratch_load_b32 v43, off, off offset:48
	scratch_load_b32 v44, off, off offset:52
	s_waitcnt vmcnt(0)
	v_min3_f32 v43, v44, v43, 0x7f7fffff
	s_delay_alu instid0(VALU_DEP_1) | instskip(SKIP_1) | instid1(VALU_DEP_1)
	v_min3_f32 v144, v79, v132, v43
	v_min3_f32 v43, v139, v145, 0x7f7fffff
	;; [unrolled: 1-line block ×3, first 2 shown]
	scratch_load_b32 v43, off, off offset:56 ; 4-byte Folded Reload
	s_waitcnt vmcnt(0)
	v_min3_f32 v43, v136, v43, 0x7f7fffff
	s_delay_alu instid0(VALU_DEP_1) | instskip(SKIP_1) | instid1(VALU_DEP_1)
	v_min3_f32 v139, v83, v134, v43
	v_min3_f32 v43, v85, v84, 0x7f7fffff
	;; [unrolled: 1-line block ×4, first 2 shown]
	s_delay_alu instid0(VALU_DEP_1) | instskip(SKIP_3) | instid1(VALU_DEP_3)
	v_min3_f32 v134, v103, v102, v43
	v_min3_f32 v43, v89, v88, 0x7f7fffff
	;; [unrolled: 1-line block ×6, first 2 shown]
	s_delay_alu instid0(VALU_DEP_3) | instskip(SKIP_1) | instid1(VALU_DEP_3)
	v_min3_f32 v86, v14, v15, v0
	v_min3_f32 v0, v8, v9, 0x7f7fffff
	v_min3_f32 v132, v107, v106, v43
	v_min3_f32 v43, v93, v92, 0x7f7fffff
	s_delay_alu instid0(VALU_DEP_3) | instskip(SKIP_1) | instid1(VALU_DEP_3)
	v_min3_f32 v85, v10, v11, v0
	v_min3_f32 v0, v4, v5, 0x7f7fffff
	v_min3_f32 v133, v109, v108, v43
	v_min3_f32 v43, v95, v94, 0x7f7fffff
	;; [unrolled: 5-line block ×6, first 2 shown]
	s_delay_alu instid0(VALU_DEP_3)
	v_min3_f32 v80, v29, v30, v0
	s_clause 0x1
	scratch_load_b32 v0, off, off offset:4
	scratch_load_b32 v1, off, off offset:8
	v_min3_f32 v127, v152, v127, v43
	v_min3_f32 v43, v121, v120, 0x7f7fffff
	s_delay_alu instid0(VALU_DEP_1) | instskip(SKIP_1) | instid1(VALU_DEP_1)
	v_min3_f32 v126, v154, v153, v43
	v_min3_f32 v43, v123, v122, 0x7f7fffff
	v_min3_f32 v124, v156, v155, v43
	v_min3_f32 v43, v137, v125, 0x7f7fffff
	s_delay_alu instid0(VALU_DEP_1) | instskip(SKIP_1) | instid1(VALU_DEP_1)
	v_min3_f32 v125, v158, v157, v43
	v_min3_f32 v43, v140, v138, 0x7f7fffff
	;; [unrolled: 5-line block ×19, first 2 shown]
	v_min3_f32 v87, v25, v26, v16
	s_waitcnt vmcnt(0)
	ds_store_2addr_stride64_b32 v76, v0, v1 offset0:16 offset1:20
	s_clause 0x1
	scratch_load_b32 v0, off, off offset:12
	scratch_load_b32 v1, off, off offset:16
	s_waitcnt vmcnt(0)
	ds_store_2addr_stride64_b32 v76, v0, v1 offset0:24 offset1:28
	scratch_load_b32 v0, off, off           ; 4-byte Folded Reload
	s_waitcnt vmcnt(0)
	ds_store_b32 v76, v0 offset:9216
	s_waitcnt lgkmcnt(0)
	s_waitcnt_vscnt null, 0x0
	s_barrier
	buffer_gl0_inv
	s_cbranch_scc1 .LBB17_47
; %bb.30:
	s_clause 0x2
	scratch_load_b32 v4, off, off offset:60
	scratch_load_b32 v203, off, off offset:24
	;; [unrolled: 1-line block ×3, first 2 shown]
	v_add_nc_u32_e32 v6, 12, v70
	s_lshl_b32 s4, s5, 6
	v_add_nc_u32_e32 v10, 8, v70
	v_or_b32_e32 v77, 0x2000, v76
	v_add_nc_u32_e32 v78, 0x2000, v204
	v_mad_i64_i32 v[0:1], null, v6, s20, 0
	s_delay_alu instid0(VALU_DEP_4) | instskip(SKIP_3) | instid1(VALU_DEP_4)
	v_mad_i64_i32 v[8:9], null, v10, s20, 0
	v_add_nc_u32_e32 v79, 0x2400, v76
	v_or_b32_e32 v111, 0x1000, v76
	s_add_i32 s12, s12, -8
	v_lshlrev_b64 v[64:65], 2, v[0:1]
	s_delay_alu instid0(VALU_DEP_4)
	v_lshlrev_b64 v[70:71], 2, v[8:9]
	s_waitcnt vmcnt(2)
	v_lshl_or_b32 v2, s14, 6, v4
	v_add_nc_u32_e32 v0, s23, v4
	v_mad_i64_i32 v[4:5], null, v6, s10, 0
	v_mad_i64_i32 v[6:7], null, v10, s10, 0
	s_delay_alu instid0(VALU_DEP_4) | instskip(NEXT) | instid1(VALU_DEP_4)
	v_subrev_nc_u32_e32 v2, s4, v2
	v_ashrrev_i32_e32 v1, 31, v0
	s_waitcnt vmcnt(1)
	v_lshl_add_u32 v137, v203, 4, 0x2400
	s_waitcnt vmcnt(0)
	v_lshl_add_u32 v138, v202, 4, 0x1000
	v_lshlrev_b64 v[66:67], 2, v[4:5]
	v_ashrrev_i32_e32 v3, 31, v2
	v_lshlrev_b64 v[0:1], 2, v[0:1]
	v_lshlrev_b64 v[68:69], 2, v[6:7]
	s_lshl_b64 s[4:5], s[20:21], 5
	s_lshl_b64 s[10:11], s[10:11], 5
	v_lshlrev_b64 v[2:3], 2, v[2:3]
	s_mov_b32 s14, 0
	s_delay_alu instid0(VALU_DEP_1) | instskip(NEXT) | instid1(VALU_DEP_2)
	v_add_co_u32 v140, vcc_lo, s16, v2
	v_add_co_ci_u32_e32 v141, vcc_lo, s17, v3, vcc_lo
	v_add_co_u32 v142, vcc_lo, s18, v0
	v_add_co_ci_u32_e32 v143, vcc_lo, s19, v1, vcc_lo
	s_branch .LBB17_33
.LBB17_31:                              ;   in Loop: Header=BB17_33 Depth=1
	v_add_co_u32 v0, vcc_lo, v142, v66
	v_add_co_ci_u32_e32 v1, vcc_lo, v143, v67, vcc_lo
	s_clause 0x1
	flat_load_b32 v11, v[0:1] offset:512
	flat_load_b32 v1, v[0:1] offset:768
	s_waitcnt vmcnt(0) lgkmcnt(0)
	v_dual_mul_f32 v0, s13, v11 :: v_dual_mul_f32 v1, s13, v1
.LBB17_32:                              ;   in Loop: Header=BB17_33 Depth=1
	ds_load_b128 v[93:96], v74
	ds_load_b128 v[154:157], v78
	ds_load_b128 v[158:161], v78 offset:128
	ds_load_b128 v[162:165], v78 offset:256
	;; [unrolled: 1-line block ×14, first 2 shown]
	v_add_co_u32 v140, vcc_lo, v140, s4
	v_add_co_ci_u32_e32 v141, vcc_lo, s5, v141, vcc_lo
	v_add_co_u32 v142, vcc_lo, v142, s10
	s_waitcnt lgkmcnt(14)
	v_dual_add_f32 v11, v155, v94 :: v_dual_add_f32 v14, v154, v93
	s_waitcnt lgkmcnt(13)
	v_dual_add_f32 v15, v159, v94 :: v_dual_add_f32 v18, v158, v93
	;; [unrolled: 2-line block ×3, first 2 shown]
	s_waitcnt lgkmcnt(11)
	v_add_f32_e32 v23, v167, v94
	v_min3_f32 v11, v14, v11, v28
	v_min3_f32 v14, v18, v15, v29
	v_add_f32_e32 v18, v166, v93
	v_min3_f32 v15, v22, v19, v32
	s_waitcnt lgkmcnt(10)
	v_dual_add_f32 v19, v171, v94 :: v_dual_add_f32 v22, v170, v93
	s_waitcnt lgkmcnt(9)
	v_dual_add_f32 v28, v175, v94 :: v_dual_add_f32 v29, v174, v93
	s_waitcnt lgkmcnt(8)
	v_add_f32_e32 v32, v179, v94
	s_waitcnt lgkmcnt(7)
	v_dual_add_f32 v34, v178, v93 :: v_dual_add_f32 v35, v183, v94
	s_waitcnt lgkmcnt(2)
	v_dual_add_f32 v38, v182, v93 :: v_dual_add_f32 v75, v163, v191
	v_min3_f32 v4, v18, v23, v4
	v_min3_f32 v18, v22, v19, v33
	v_min3_f32 v19, v29, v28, v36
	s_delay_alu instid0(VALU_DEP_4)
	v_min3_f32 v23, v38, v35, v40
	v_dual_add_f32 v28, v155, v98 :: v_dual_add_f32 v33, v158, v97
	v_add_f32_e32 v29, v154, v97
	v_min3_f32 v22, v34, v32, v37
	v_dual_add_f32 v32, v159, v98 :: v_dual_add_f32 v35, v162, v97
	v_dual_add_f32 v34, v163, v98 :: v_dual_add_f32 v37, v166, v97
	v_dual_add_f32 v36, v167, v98 :: v_dual_add_f32 v39, v170, v97
	v_add_f32_e32 v38, v171, v98
	v_min3_f32 v5, v29, v28, v5
	v_min3_f32 v28, v33, v32, v41
	v_min3_f32 v29, v35, v34, v44
	v_add_f32_e32 v35, v174, v97
	v_min3_f32 v32, v37, v36, v45
	v_min3_f32 v33, v39, v38, v48
	v_dual_add_f32 v34, v175, v98 :: v_dual_add_f32 v37, v178, v97
	v_dual_add_f32 v36, v179, v98 :: v_dual_add_f32 v39, v182, v97
	v_dual_add_f32 v38, v183, v98 :: v_dual_add_f32 v41, v154, v101
	v_dual_add_f32 v40, v155, v102 :: v_dual_add_f32 v45, v158, v101
	v_add_f32_e32 v44, v159, v102
	v_min3_f32 v8, v35, v34, v8
	v_min3_f32 v34, v37, v36, v49
	v_min3_f32 v35, v39, v38, v52
	v_add_f32_e32 v39, v162, v101
	v_min3_f32 v36, v41, v40, v53
	v_min3_f32 v37, v45, v44, v56
	v_dual_add_f32 v38, v163, v102 :: v_dual_add_f32 v41, v166, v101
	;; [unrolled: 11-line block ×4, first 2 shown]
	v_dual_add_f32 v54, v175, v106 :: v_dual_add_f32 v57, v178, v105
	v_dual_add_f32 v56, v179, v106 :: v_dual_add_f32 v59, v182, v105
	v_add_f32_e32 v58, v183, v106
	v_dual_add_f32 v60, v155, v187 :: v_dual_add_f32 v61, v154, v186
	v_min3_f32 v13, v53, v52, v13
	v_min3_f32 v50, v55, v54, v50
	;; [unrolled: 1-line block ×5, first 2 shown]
	v_dual_add_f32 v54, v159, v187 :: v_dual_add_f32 v55, v158, v186
	v_dual_add_f32 v56, v163, v187 :: v_dual_add_f32 v57, v162, v186
	;; [unrolled: 1-line block ×5, first 2 shown]
	v_min3_f32 v16, v55, v54, v16
	v_min3_f32 v54, v57, v56, v81
	;; [unrolled: 1-line block ×5, first 2 shown]
	v_dual_add_f32 v58, v179, v187 :: v_dual_add_f32 v59, v178, v186
	v_dual_add_f32 v60, v183, v187 :: v_dual_add_f32 v61, v182, v186
	;; [unrolled: 1-line block ×4, first 2 shown]
	v_add_f32_e32 v80, v162, v190
	v_min3_f32 v17, v59, v58, v17
	v_min3_f32 v46, v61, v60, v46
	;; [unrolled: 1-line block ×5, first 2 shown]
	v_add_f32_e32 v75, v179, v191
	v_dual_add_f32 v60, v167, v191 :: v_dual_add_f32 v61, v166, v190
	v_dual_add_f32 v62, v171, v191 :: v_dual_add_f32 v63, v170, v190
	;; [unrolled: 1-line block ×4, first 2 shown]
	v_add_f32_e32 v82, v182, v190
	v_min3_f32 v20, v61, v60, v20
	v_min3_f32 v42, v63, v62, v42
	;; [unrolled: 1-line block ×4, first 2 shown]
	s_waitcnt lgkmcnt(1)
	v_add_f32_e32 v75, v163, v195
	v_min3_f32 v61, v82, v81, v88
	v_dual_add_f32 v62, v155, v195 :: v_dual_add_f32 v63, v154, v194
	v_dual_add_f32 v72, v159, v195 :: v_dual_add_f32 v73, v158, v194
	v_dual_add_f32 v80, v162, v194 :: v_dual_add_f32 v81, v167, v195
	v_dual_add_f32 v82, v166, v194 :: v_dual_add_f32 v83, v171, v195
	v_add_f32_e32 v84, v170, v194
	v_min3_f32 v21, v63, v62, v21
	v_min3_f32 v62, v73, v72, v89
	;; [unrolled: 1-line block ×3, first 2 shown]
	v_add_f32_e32 v75, v175, v195
	v_min3_f32 v72, v82, v81, v91
	v_min3_f32 v73, v84, v83, v92
	v_dual_add_f32 v80, v174, v194 :: v_dual_add_f32 v81, v179, v195
	v_dual_add_f32 v82, v178, v194 :: v_dual_add_f32 v83, v183, v195
	s_waitcnt lgkmcnt(0)
	v_dual_add_f32 v84, v182, v194 :: v_dual_add_f32 v85, v155, v199
	v_dual_add_f32 v86, v154, v198 :: v_dual_add_f32 v87, v159, v199
	v_add_f32_e32 v88, v158, v198
	v_min3_f32 v24, v80, v75, v24
	v_add_f32_e32 v75, v163, v199
	v_min3_f32 v26, v82, v81, v26
	v_min3_f32 v27, v84, v83, v27
	;; [unrolled: 1-line block ×4, first 2 shown]
	v_dual_add_f32 v80, v162, v198 :: v_dual_add_f32 v81, v167, v199
	v_dual_add_f32 v82, v166, v198 :: v_dual_add_f32 v83, v171, v199
	;; [unrolled: 1-line block ×4, first 2 shown]
	v_add_f32_e32 v88, v178, v198
	v_min3_f32 v25, v80, v75, v25
	v_add_f32_e32 v75, v183, v199
	v_min3_f32 v3, v82, v81, v3
	v_min3_f32 v6, v84, v83, v6
	;; [unrolled: 1-line block ×4, first 2 shown]
	v_dual_add_f32 v80, v182, v198 :: v_dual_add_f32 v83, v161, v96
	v_dual_add_f32 v81, v157, v96 :: v_dual_add_f32 v82, v156, v95
	;; [unrolled: 1-line block ×4, first 2 shown]
	v_add_f32_e32 v88, v168, v95
	v_min3_f32 v2, v80, v75, v2
	v_min3_f32 v151, v82, v81, v11
	v_add_f32_e32 v81, v185, v96
	v_min3_f32 v148, v84, v83, v14
	v_min3_f32 v146, v88, v87, v4
	v_dual_add_f32 v4, v173, v96 :: v_dual_add_f32 v11, v172, v95
	v_add_f32_e32 v14, v177, v96
	v_add_f32_e32 v75, v181, v96
	v_min3_f32 v149, v86, v85, v15
	v_add_f32_e32 v15, v176, v95
	v_dual_add_f32 v80, v180, v95 :: v_dual_add_f32 v83, v157, v100
	v_add_f32_e32 v82, v184, v95
	v_add_f32_e32 v84, v156, v99
	v_min3_f32 v147, v11, v4, v18
	v_min3_f32 v144, v15, v14, v19
	v_add_f32_e32 v15, v169, v100
	v_min3_f32 v145, v80, v75, v22
	v_min3_f32 v136, v84, v83, v5
	v_dual_add_f32 v4, v161, v100 :: v_dual_add_f32 v5, v160, v99
	v_add_f32_e32 v11, v165, v100
	v_min3_f32 v139, v82, v81, v23
	v_dual_add_f32 v14, v164, v99 :: v_dual_add_f32 v19, v173, v100
	v_dual_add_f32 v18, v168, v99 :: v_dual_add_f32 v23, v177, v100
	v_add_f32_e32 v75, v176, v99
	v_add_f32_e32 v22, v172, v99
	v_min3_f32 v134, v5, v4, v28
	v_min3_f32 v135, v14, v11, v29
	v_add_f32_e32 v4, v181, v100
	v_min3_f32 v130, v75, v23, v8
	v_dual_add_f32 v5, v180, v99 :: v_dual_add_f32 v8, v185, v100
	v_dual_add_f32 v11, v184, v99 :: v_dual_add_f32 v14, v157, v104
	v_min3_f32 v132, v18, v15, v32
	v_dual_add_f32 v15, v156, v103 :: v_dual_add_f32 v18, v161, v104
	v_add_f32_e32 v23, v164, v103
	s_delay_alu instid0(VALU_DEP_4)
	v_min3_f32 v128, v11, v8, v35
	v_add_f32_e32 v11, v177, v104
	v_min3_f32 v133, v22, v19, v33
	v_dual_add_f32 v19, v160, v103 :: v_dual_add_f32 v22, v165, v104
	v_min3_f32 v131, v5, v4, v34
	v_min3_f32 v129, v15, v14, v36
	v_add_f32_e32 v4, v169, v104
	s_delay_alu instid0(VALU_DEP_4)
	v_min3_f32 v127, v19, v18, v37
	v_min3_f32 v126, v23, v22, v9
	v_dual_add_f32 v5, v168, v103 :: v_dual_add_f32 v8, v173, v104
	v_add_f32_e32 v9, v172, v103
	v_dual_add_f32 v14, v176, v103 :: v_dual_add_f32 v15, v181, v104
	v_dual_add_f32 v18, v180, v103 :: v_dual_add_f32 v19, v185, v104
	v_add_f32_e32 v22, v184, v103
	v_min3_f32 v124, v5, v4, v38
	s_delay_alu instid0(VALU_DEP_4)
	v_min3_f32 v122, v14, v11, v40
	v_add_f32_e32 v11, v165, v108
	v_min3_f32 v123, v18, v15, v41
	v_min3_f32 v120, v22, v19, v12
	v_add_f32_e32 v4, v157, v108
	v_min3_f32 v125, v9, v8, v39
	v_dual_add_f32 v5, v156, v107 :: v_dual_add_f32 v8, v161, v108
	v_dual_add_f32 v9, v160, v107 :: v_dual_add_f32 v14, v169, v108
	v_add_f32_e32 v12, v164, v107
	v_dual_add_f32 v15, v168, v107 :: v_dual_add_f32 v18, v173, v108
	v_add_f32_e32 v19, v172, v107
	v_min3_f32 v121, v5, v4, v44
	v_add_f32_e32 v4, v177, v108
	v_min3_f32 v118, v9, v8, v45
	v_min3_f32 v119, v12, v11, v48
	;; [unrolled: 1-line block ×4, first 2 shown]
	v_dual_add_f32 v5, v176, v107 :: v_dual_add_f32 v8, v181, v108
	v_add_f32_e32 v9, v180, v107
	v_dual_add_f32 v11, v185, v108 :: v_dual_add_f32 v12, v184, v107
	v_dual_add_f32 v13, v157, v189 :: v_dual_add_f32 v14, v156, v188
	;; [unrolled: 1-line block ×3, first 2 shown]
	v_min3_f32 v114, v5, v4, v50
	s_delay_alu instid0(VALU_DEP_4)
	v_min3_f32 v112, v12, v11, v52
	v_add_f32_e32 v11, v173, v189
	v_min3_f32 v113, v14, v13, v53
	v_min3_f32 v109, v18, v15, v16
	v_add_f32_e32 v4, v165, v189
	v_min3_f32 v115, v9, v8, v51
	v_dual_add_f32 v5, v164, v188 :: v_dual_add_f32 v8, v169, v189
	v_add_f32_e32 v9, v168, v188
	v_dual_add_f32 v12, v172, v188 :: v_dual_add_f32 v13, v177, v189
	v_dual_add_f32 v14, v176, v188 :: v_dual_add_f32 v15, v181, v189
	v_add_f32_e32 v16, v180, v188
	v_min3_f32 v110, v5, v4, v54
	s_delay_alu instid0(VALU_DEP_4)
	v_min3_f32 v108, v12, v11, v56
	v_add_f32_e32 v11, v161, v193
	v_min3_f32 v106, v14, v13, v57
	v_min3_f32 v105, v16, v15, v17
	v_add_f32_e32 v4, v185, v189
	v_min3_f32 v107, v9, v8, v55
	v_dual_add_f32 v5, v184, v188 :: v_dual_add_f32 v8, v157, v193
	v_add_f32_e32 v9, v156, v192
	v_dual_add_f32 v12, v160, v192 :: v_dual_add_f32 v13, v165, v193
	v_dual_add_f32 v14, v164, v192 :: v_dual_add_f32 v15, v169, v193
	v_add_f32_e32 v16, v168, v192
	;; [unrolled: 13-line block ×6, first 2 shown]
	v_min3_f32 v83, v5, v4, v3
	v_min3_f32 v84, v9, v8, v6
	;; [unrolled: 1-line block ×5, first 2 shown]
	v_add_co_ci_u32_e32 v143, vcc_lo, s11, v143, vcc_lo
	s_add_i32 s14, s14, 8
	ds_store_b32 v79, v150
	ds_store_2addr_stride64_b32 v111, v152, v153 offset1:4
	ds_store_2addr_stride64_b32 v111, v0, v1 offset0:8 offset1:12
	s_cmp_ge_i32 s14, s12
	s_waitcnt lgkmcnt(0)
	s_barrier
	buffer_gl0_inv
	s_cbranch_scc1 .LBB17_48
.LBB17_33:                              ; =>This Inner Loop Header: Depth=1
	s_and_b32 vcc_lo, exec_lo, s3
	s_cbranch_vccnz .LBB17_37
; %bb.34:                               ;   in Loop: Header=BB17_33 Depth=1
	v_add_co_u32 v0, vcc_lo, v140, v70
	v_add_co_ci_u32_e32 v1, vcc_lo, v141, v71, vcc_lo
	flat_load_b32 v0, v[0:1]
	s_waitcnt vmcnt(0) lgkmcnt(0)
	v_mul_f32_e32 v150, s13, v0
	s_and_b32 vcc_lo, exec_lo, s3
	s_cbranch_vccnz .LBB17_38
.LBB17_35:                              ;   in Loop: Header=BB17_33 Depth=1
	v_add_co_u32 v0, vcc_lo, v142, v68
	v_add_co_ci_u32_e32 v1, vcc_lo, v143, v69, vcc_lo
	s_clause 0x1
	flat_load_b32 v2, v[0:1]
	flat_load_b32 v0, v[0:1] offset:256
	s_waitcnt vmcnt(0) lgkmcnt(0)
	v_dual_mul_f32 v152, s13, v2 :: v_dual_mul_f32 v153, s13, v0
	s_and_b32 vcc_lo, exec_lo, s3
	s_cbranch_vccnz .LBB17_39
.LBB17_36:                              ;   in Loop: Header=BB17_33 Depth=1
	v_add_co_u32 v0, vcc_lo, v142, v68
	v_add_co_ci_u32_e32 v1, vcc_lo, v143, v69, vcc_lo
	s_clause 0x1
	flat_load_b32 v2, v[0:1] offset:512
	flat_load_b32 v0, v[0:1] offset:768
	s_waitcnt vmcnt(0) lgkmcnt(0)
	v_dual_mul_f32 v154, s13, v2 :: v_dual_mul_f32 v155, s13, v0
	s_branch .LBB17_40
.LBB17_37:                              ;   in Loop: Header=BB17_33 Depth=1
	v_mov_b32_e32 v150, 0
	s_and_b32 vcc_lo, exec_lo, s3
	s_cbranch_vccz .LBB17_35
.LBB17_38:                              ;   in Loop: Header=BB17_33 Depth=1
	v_dual_mov_b32 v152, 0 :: v_dual_mov_b32 v153, 0
	s_and_b32 vcc_lo, exec_lo, s3
	s_cbranch_vccz .LBB17_36
.LBB17_39:                              ;   in Loop: Header=BB17_33 Depth=1
	v_dual_mov_b32 v154, 0 :: v_dual_mov_b32 v155, 0
.LBB17_40:                              ;   in Loop: Header=BB17_33 Depth=1
	ds_load_b128 v[32:35], v137
	ds_load_b128 v[28:31], v137 offset:128
	ds_load_b128 v[24:27], v137 offset:256
	;; [unrolled: 1-line block ×7, first 2 shown]
	ds_load_b128 v[60:63], v138
	ds_load_b128 v[56:59], v138 offset:512
	ds_load_b128 v[52:55], v138 offset:1024
	;; [unrolled: 1-line block ×7, first 2 shown]
	s_and_b32 vcc_lo, exec_lo, s3
	ds_store_b32 v77, v150
	ds_store_2addr_stride64_b32 v76, v152, v153 offset1:4
	ds_store_2addr_stride64_b32 v76, v154, v155 offset0:8 offset1:12
	s_waitcnt lgkmcnt(0)
	s_barrier
	buffer_gl0_inv
	s_cbranch_vccnz .LBB17_43
; %bb.41:                               ;   in Loop: Header=BB17_33 Depth=1
	v_add_co_u32 v152, vcc_lo, v140, v64
	v_add_co_ci_u32_e32 v153, vcc_lo, v141, v65, vcc_lo
	flat_load_b32 v72, v[152:153]
	s_waitcnt vmcnt(0) lgkmcnt(0)
	v_mul_f32_e32 v150, s13, v72
	s_and_b32 vcc_lo, exec_lo, s3
	s_cbranch_vccnz .LBB17_44
.LBB17_42:                              ;   in Loop: Header=BB17_33 Depth=1
	v_add_co_u32 v152, vcc_lo, v142, v66
	v_add_co_ci_u32_e32 v153, vcc_lo, v143, v67, vcc_lo
	s_clause 0x1
	flat_load_b32 v72, v[152:153]
	flat_load_b32 v73, v[152:153] offset:256
	s_waitcnt vmcnt(0) lgkmcnt(0)
	v_dual_mul_f32 v152, s13, v72 :: v_dual_mul_f32 v153, s13, v73
	s_branch .LBB17_45
.LBB17_43:                              ;   in Loop: Header=BB17_33 Depth=1
	v_mov_b32_e32 v150, 0
	s_and_b32 vcc_lo, exec_lo, s3
	s_cbranch_vccz .LBB17_42
.LBB17_44:                              ;   in Loop: Header=BB17_33 Depth=1
	v_dual_mov_b32 v152, 0 :: v_dual_mov_b32 v153, 0
.LBB17_45:                              ;   in Loop: Header=BB17_33 Depth=1
	v_dual_add_f32 v72, v33, v61 :: v_dual_add_f32 v73, v32, v60
	v_dual_add_f32 v75, v29, v61 :: v_dual_add_f32 v154, v28, v60
	;; [unrolled: 1-line block ×3, first 2 shown]
	s_delay_alu instid0(VALU_DEP_3) | instskip(SKIP_1) | instid1(VALU_DEP_4)
	v_min3_f32 v72, v73, v72, v151
	v_add_f32_e32 v151, v13, v61
	v_min3_f32 v73, v154, v75, v148
	v_add_f32_e32 v154, v12, v60
	v_min3_f32 v75, v156, v155, v149
	v_dual_add_f32 v148, v17, v61 :: v_dual_add_f32 v149, v16, v60
	v_dual_add_f32 v155, v9, v61 :: v_dual_add_f32 v156, v8, v60
	;; [unrolled: 1-line block ×4, first 2 shown]
	s_delay_alu instid0(VALU_DEP_4) | instskip(SKIP_2) | instid1(VALU_DEP_4)
	v_min3_f32 v146, v149, v148, v146
	v_min3_f32 v147, v154, v151, v147
	v_dual_add_f32 v148, v29, v57 :: v_dual_add_f32 v149, v28, v56
	v_min3_f32 v60, v60, v61, v139
	v_dual_add_f32 v61, v33, v57 :: v_dual_add_f32 v154, v24, v56
	v_add_f32_e32 v139, v32, v56
	v_add_f32_e32 v151, v25, v57
	v_min3_f32 v144, v156, v155, v144
	v_add_f32_e32 v156, v16, v56
	v_min3_f32 v145, v158, v157, v145
	v_dual_add_f32 v155, v17, v57 :: v_dual_add_f32 v158, v12, v56
	v_add_f32_e32 v157, v13, v57
	v_min3_f32 v61, v139, v61, v136
	v_min3_f32 v135, v154, v151, v135
	v_add_f32_e32 v136, v9, v57
	v_min3_f32 v134, v149, v148, v134
	v_dual_add_f32 v139, v8, v56 :: v_dual_add_f32 v148, v5, v57
	v_add_f32_e32 v149, v4, v56
	v_dual_add_f32 v57, v1, v57 :: v_dual_add_f32 v154, v32, v52
	v_dual_add_f32 v56, v0, v56 :: v_dual_add_f32 v151, v33, v53
	v_min3_f32 v132, v156, v155, v132
	v_dual_add_f32 v156, v28, v52 :: v_dual_add_f32 v155, v29, v53
	v_min3_f32 v130, v139, v136, v130
	s_delay_alu instid0(VALU_DEP_4)
	v_min3_f32 v56, v56, v57, v128
	v_min3_f32 v57, v154, v151, v129
	v_add_f32_e32 v154, v8, v52
	v_dual_add_f32 v128, v25, v53 :: v_dual_add_f32 v129, v24, v52
	v_dual_add_f32 v136, v17, v53 :: v_dual_add_f32 v139, v16, v52
	v_min3_f32 v131, v149, v148, v131
	v_add_f32_e32 v148, v13, v53
	v_min3_f32 v127, v156, v155, v127
	v_add_f32_e32 v149, v12, v52
	v_dual_add_f32 v151, v9, v53 :: v_dual_add_f32 v156, v4, v52
	v_dual_add_f32 v155, v5, v53 :: v_dual_add_f32 v52, v0, v52
	v_min3_f32 v126, v129, v128, v126
	v_min3_f32 v124, v139, v136, v124
	v_add_f32_e32 v53, v1, v53
	v_dual_add_f32 v128, v33, v49 :: v_dual_add_f32 v129, v32, v48
	v_dual_add_f32 v136, v29, v49 :: v_dual_add_f32 v139, v28, v48
	v_min3_f32 v125, v149, v148, v125
	v_add_f32_e32 v148, v25, v49
	v_min3_f32 v122, v154, v151, v122
	v_add_f32_e32 v149, v24, v48
	v_dual_add_f32 v151, v17, v49 :: v_dual_add_f32 v154, v16, v48
	v_min3_f32 v120, v52, v53, v120
	v_min3_f32 v121, v129, v128, v121
	;; [unrolled: 1-line block ×3, first 2 shown]
	v_dual_add_f32 v52, v13, v49 :: v_dual_add_f32 v53, v12, v48
	v_dual_add_f32 v128, v9, v49 :: v_dual_add_f32 v129, v8, v48
	;; [unrolled: 1-line block ×4, first 2 shown]
	v_min3_f32 v119, v149, v148, v119
	v_dual_add_f32 v148, v33, v45 :: v_dual_add_f32 v149, v32, v44
	v_min3_f32 v116, v53, v52, v116
	v_min3_f32 v114, v129, v128, v114
	;; [unrolled: 1-line block ×3, first 2 shown]
	v_dual_add_f32 v48, v29, v45 :: v_dual_add_f32 v49, v28, v44
	v_dual_add_f32 v52, v25, v45 :: v_dual_add_f32 v53, v24, v44
	;; [unrolled: 1-line block ×3, first 2 shown]
	v_min3_f32 v115, v139, v136, v115
	v_add_f32_e32 v136, v13, v45
	v_min3_f32 v113, v149, v148, v113
	v_dual_add_f32 v139, v12, v44 :: v_dual_add_f32 v148, v9, v45
	v_add_f32_e32 v149, v8, v44
	v_min3_f32 v109, v49, v48, v109
	v_add_f32_e32 v48, v5, v45
	v_min3_f32 v110, v53, v52, v110
	v_min3_f32 v107, v129, v128, v107
	v_dual_add_f32 v49, v4, v44 :: v_dual_add_f32 v52, v33, v41
	v_dual_add_f32 v45, v1, v45 :: v_dual_add_f32 v44, v0, v44
	;; [unrolled: 1-line block ×3, first 2 shown]
	v_add_f32_e32 v129, v28, v40
	v_min3_f32 v108, v139, v136, v108
	v_dual_add_f32 v136, v25, v41 :: v_dual_add_f32 v139, v24, v40
	v_min3_f32 v105, v49, v48, v105
	v_min3_f32 v103, v44, v45, v103
	v_add_f32_e32 v44, v17, v41
	v_min3_f32 v104, v53, v52, v104
	v_min3_f32 v101, v129, v128, v101
	v_dual_add_f32 v45, v16, v40 :: v_dual_add_f32 v48, v13, v41
	v_dual_add_f32 v49, v12, v40 :: v_dual_add_f32 v52, v9, v41
	;; [unrolled: 1-line block ×3, first 2 shown]
	v_add_f32_e32 v129, v4, v40
	v_dual_add_f32 v41, v1, v41 :: v_dual_add_f32 v40, v0, v40
	v_min3_f32 v99, v45, v44, v99
	v_dual_add_f32 v44, v29, v37 :: v_dual_add_f32 v45, v28, v36
	v_min3_f32 v100, v49, v48, v100
	v_add_f32_e32 v48, v25, v37
	v_min3_f32 v96, v40, v41, v96
	v_dual_add_f32 v40, v33, v37 :: v_dual_add_f32 v41, v32, v36
	v_min3_f32 v97, v53, v52, v97
	v_min3_f32 v98, v129, v128, v98
	v_dual_add_f32 v49, v24, v36 :: v_dual_add_f32 v52, v17, v37
	v_dual_add_f32 v53, v16, v36 :: v_dual_add_f32 v128, v13, v37
	v_add_f32_e32 v129, v12, v36
	v_min3_f32 v95, v41, v40, v95
	v_add_f32_e32 v40, v9, v37
	v_min3_f32 v93, v45, v44, v93
	v_dual_add_f32 v41, v8, v36 :: v_dual_add_f32 v44, v5, v37
	v_add_f32_e32 v45, v4, v36
	v_dual_add_f32 v25, v25, v21 :: v_dual_add_f32 v16, v16, v20
	v_dual_add_f32 v17, v17, v21 :: v_dual_add_f32 v12, v12, v20
	v_dual_add_f32 v13, v13, v21 :: v_dual_add_f32 v8, v8, v20
	v_dual_add_f32 v9, v9, v21 :: v_dual_add_f32 v4, v4, v20
	v_add_f32_e32 v5, v5, v21
	v_min3_f32 v123, v156, v155, v123
	v_min3_f32 v117, v154, v151, v117
	;; [unrolled: 1-line block ×3, first 2 shown]
	v_dual_add_f32 v37, v1, v37 :: v_dual_add_f32 v32, v32, v20
	v_dual_add_f32 v36, v0, v36 :: v_dual_add_f32 v33, v33, v21
	;; [unrolled: 1-line block ×3, first 2 shown]
	v_add_f32_e32 v24, v24, v20
	v_min3_f32 v149, v16, v17, v83
	v_min3_f32 v151, v12, v13, v84
	;; [unrolled: 1-line block ×3, first 2 shown]
	v_dual_add_f32 v1, v1, v21 :: v_dual_add_f32 v8, v31, v63
	v_add_f32_e32 v0, v0, v20
	v_min3_f32 v155, v4, v5, v82
	v_dual_add_f32 v4, v35, v63 :: v_dual_add_f32 v5, v34, v62
	v_dual_add_f32 v12, v27, v63 :: v_dual_add_f32 v9, v30, v62
	;; [unrolled: 1-line block ×3, first 2 shown]
	v_add_f32_e32 v17, v18, v62
	v_min3_f32 v102, v139, v136, v102
	v_min3_f32 v139, v32, v33, v88
	;; [unrolled: 1-line block ×6, first 2 shown]
	v_add_f32_e32 v1, v15, v63
	v_dual_add_f32 v5, v14, v62 :: v_dual_add_f32 v8, v11, v63
	v_min3_f32 v32, v13, v12, v75
	v_dual_add_f32 v9, v10, v62 :: v_dual_add_f32 v20, v35, v59
	v_add_f32_e32 v12, v7, v63
	v_min3_f32 v4, v17, v16, v146
	v_dual_add_f32 v13, v6, v62 :: v_dual_add_f32 v16, v3, v63
	v_add_f32_e32 v17, v2, v62
	v_add_f32_e32 v21, v34, v58
	v_min3_f32 v133, v158, v157, v133
	v_min3_f32 v92, v129, v128, v92
	;; [unrolled: 1-line block ×8, first 2 shown]
	v_add_f32_e32 v8, v30, v58
	v_min3_f32 v33, v5, v1, v147
	v_min3_f32 v5, v21, v20, v61
	v_dual_add_f32 v1, v31, v59 :: v_dual_add_f32 v12, v26, v58
	v_dual_add_f32 v9, v27, v59 :: v_dual_add_f32 v16, v18, v58
	;; [unrolled: 1-line block ×4, first 2 shown]
	v_add_f32_e32 v21, v11, v59
	v_min3_f32 v94, v49, v48, v94
	v_min3_f32 v129, v45, v44, v90
	;; [unrolled: 1-line block ×6, first 2 shown]
	v_add_f32_e32 v1, v7, v59
	v_dual_add_f32 v9, v6, v58 :: v_dual_add_f32 v12, v3, v59
	v_dual_add_f32 v13, v2, v58 :: v_dual_add_f32 v16, v35, v55
	;; [unrolled: 1-line block ×3, first 2 shown]
	v_add_f32_e32 v58, v26, v54
	v_min3_f32 v8, v24, v21, v130
	v_dual_add_f32 v21, v30, v54 :: v_dual_add_f32 v24, v27, v55
	v_min3_f32 v91, v53, v52, v91
	v_min3_f32 v52, v13, v12, v56
	;; [unrolled: 1-line block ×3, first 2 shown]
	s_delay_alu instid0(VALU_DEP_4)
	v_min3_f32 v56, v21, v20, v127
	v_add_f32_e32 v12, v18, v54
	v_min3_f32 v49, v9, v1, v131
	v_min3_f32 v9, v58, v24, v126
	v_dual_add_f32 v1, v19, v55 :: v_dual_add_f32 v16, v14, v54
	v_dual_add_f32 v13, v15, v55 :: v_dual_add_f32 v20, v10, v54
	;; [unrolled: 1-line block ×5, first 2 shown]
	v_min3_f32 v54, v12, v1, v124
	v_min3_f32 v55, v16, v13, v125
	;; [unrolled: 1-line block ×4, first 2 shown]
	v_dual_add_f32 v1, v35, v51 :: v_dual_add_f32 v72, v14, v50
	v_dual_add_f32 v13, v34, v50 :: v_dual_add_f32 v16, v31, v51
	;; [unrolled: 1-line block ×4, first 2 shown]
	v_add_f32_e32 v63, v15, v51
	v_min3_f32 v12, v60, v59, v120
	v_min3_f32 v59, v13, v1, v121
	;; [unrolled: 1-line block ×3, first 2 shown]
	v_add_f32_e32 v16, v10, v50
	v_min3_f32 v61, v21, v20, v119
	v_min3_f32 v62, v62, v24, v117
	;; [unrolled: 1-line block ×3, first 2 shown]
	v_dual_add_f32 v1, v11, v51 :: v_dual_add_f32 v20, v6, v50
	v_dual_add_f32 v17, v7, v51 :: v_dual_add_f32 v24, v2, v50
	v_add_f32_e32 v21, v3, v51
	v_dual_add_f32 v72, v35, v47 :: v_dual_add_f32 v73, v34, v46
	v_dual_add_f32 v75, v31, v47 :: v_dual_add_f32 v86, v6, v46
	v_add_f32_e32 v81, v30, v46
	v_min3_f32 v50, v16, v1, v114
	v_min3_f32 v51, v20, v17, v115
	v_min3_f32 v80, v73, v72, v113
	v_add_f32_e32 v1, v27, v47
	v_dual_add_f32 v17, v26, v46 :: v_dual_add_f32 v20, v19, v47
	v_add_f32_e32 v72, v14, v46
	v_min3_f32 v63, v24, v21, v112
	v_dual_add_f32 v21, v18, v46 :: v_dual_add_f32 v90, v35, v39
	v_min3_f32 v16, v81, v75, v109
	v_add_f32_e32 v24, v15, v47
	v_add_f32_e32 v73, v11, v47
	;; [unrolled: 1-line block ×3, first 2 shown]
	v_min3_f32 v82, v21, v20, v107
	v_add_f32_e32 v20, v2, v46
	v_min3_f32 v81, v17, v1, v110
	v_dual_add_f32 v1, v3, v47 :: v_dual_add_f32 v88, v18, v42
	v_add_f32_e32 v87, v19, v43
	v_add_f32_e32 v85, v7, v47
	v_min3_f32 v83, v72, v24, v108
	v_dual_add_f32 v21, v35, v43 :: v_dual_add_f32 v24, v34, v42
	v_min3_f32 v84, v75, v73, v106
	v_dual_add_f32 v72, v31, v43 :: v_dual_add_f32 v73, v30, v42
	v_min3_f32 v46, v20, v1, v103
	v_min3_f32 v20, v88, v87, v99
	v_dual_add_f32 v88, v3, v43 :: v_dual_add_f32 v89, v2, v42
	v_min3_f32 v17, v86, v85, v105
	v_dual_add_f32 v75, v27, v43 :: v_dual_add_f32 v86, v26, v42
	v_add_f32_e32 v1, v15, v43
	s_delay_alu instid0(VALU_DEP_4)
	v_min3_f32 v88, v89, v88, v96
	v_add_f32_e32 v96, v15, v39
	v_min3_f32 v85, v73, v72, v101
	v_add_f32_e32 v72, v10, v42
	v_min3_f32 v47, v24, v21, v104
	v_dual_add_f32 v24, v11, v43 :: v_dual_add_f32 v21, v14, v42
	v_add_f32_e32 v73, v7, v43
	v_add_f32_e32 v99, v34, v38
	;; [unrolled: 1-line block ×3, first 2 shown]
	s_delay_alu instid0(VALU_DEP_4)
	v_min3_f32 v43, v72, v24, v97
	v_add_f32_e32 v24, v30, v38
	v_min3_f32 v86, v86, v75, v102
	v_dual_add_f32 v75, v6, v42 :: v_dual_add_f32 v72, v27, v39
	v_add_f32_e32 v35, v35, v23
	v_add_f32_e32 v97, v14, v38
	;; [unrolled: 1-line block ×3, first 2 shown]
	s_delay_alu instid0(VALU_DEP_4)
	v_min3_f32 v87, v75, v73, v98
	v_dual_add_f32 v73, v26, v38 :: v_dual_add_f32 v98, v11, v39
	v_min3_f32 v42, v21, v1, v100
	v_add_f32_e32 v1, v31, v39
	v_min3_f32 v21, v99, v90, v95
	v_dual_add_f32 v75, v19, v39 :: v_dual_add_f32 v14, v14, v22
	v_add_f32_e32 v95, v18, v38
	v_min3_f32 v90, v73, v72, v94
	v_add_f32_e32 v72, v6, v38
	v_add_f32_e32 v18, v18, v22
	v_min3_f32 v89, v24, v1, v93
	v_add_f32_e32 v1, v7, v39
	v_add_f32_e32 v99, v10, v38
	;; [unrolled: 1-line block ×3, first 2 shown]
	v_min3_f32 v91, v95, v75, v91
	v_dual_add_f32 v39, v3, v39 :: v_dual_add_f32 v38, v2, v38
	v_add_f32_e32 v31, v31, v23
	v_add_f32_e32 v73, v30, v22
	;; [unrolled: 1-line block ×4, first 2 shown]
	v_min3_f32 v26, v72, v1, v129
	v_add_f32_e32 v1, v19, v23
	v_add_f32_e32 v11, v11, v23
	;; [unrolled: 1-line block ×3, first 2 shown]
	v_dual_add_f32 v23, v3, v23 :: v_dual_add_f32 v2, v2, v22
	v_min3_f32 v30, v34, v35, v139
	v_add_f32_e32 v34, v6, v22
	v_min3_f32 v92, v97, v96, v92
	v_min3_f32 v24, v99, v98, v128
	;; [unrolled: 1-line block ×10, first 2 shown]
	s_and_b32 vcc_lo, exec_lo, s3
	s_cbranch_vccz .LBB17_31
; %bb.46:                               ;   in Loop: Header=BB17_33 Depth=1
	v_dual_mov_b32 v0, 0 :: v_dual_mov_b32 v1, 0
	s_branch .LBB17_32
.LBB17_47:
	s_clause 0x1
	scratch_load_b32 v202, off, off offset:20
	scratch_load_b32 v203, off, off offset:24
.LBB17_48:
	ds_load_b128 v[32:35], v204 offset:9216
	ds_load_b128 v[60:63], v74 offset:4096
	s_clause 0x2
	s_load_b32 s4, s[0:1], 0x68
	s_load_b32 s3, s[0:1], 0x50
	s_load_b64 s[0:1], s[0:1], 0x70
	s_waitcnt vmcnt(1)
	v_add_nc_u32_e32 v111, s23, v202
	s_waitcnt vmcnt(0) lgkmcnt(0)
	v_dual_add_f32 v7, v32, v60 :: v_dual_add_nc_u32 v76, s22, v203
	v_add_f32_e32 v6, v33, v61
	s_delay_alu instid0(VALU_DEP_3) | instskip(SKIP_1) | instid1(VALU_DEP_4)
	v_mad_i64_i32 v[2:3], null, v111, s4, 0
	v_mad_i64_i32 v[4:5], null, v111, s3, 0
	v_dual_add_f32 v9, v34, v62 :: v_dual_add_nc_u32 v0, 8, v76
	v_add_f32_e32 v8, v35, v63
	v_min3_f32 v6, v7, v6, v151
	v_lshlrev_b64 v[2:3], 2, v[2:3]
	s_lshl_b64 s[0:1], s[0:1], 2
	v_lshlrev_b64 v[4:5], 2, v[4:5]
	s_add_u32 s0, s8, s0
	v_ashrrev_i32_e32 v77, 31, v76
	s_addc_u32 s1, s9, s1
	v_min3_f32 v6, v9, v8, v6
	v_add_co_u32 v137, vcc_lo, s0, v2
	v_add_co_ci_u32_e32 v138, vcc_lo, s1, v3, vcc_lo
	v_add_co_u32 v140, vcc_lo, s6, v4
	v_lshlrev_b64 v[66:67], 2, v[76:77]
	v_ashrrev_i32_e32 v1, 31, v0
	v_add_co_ci_u32_e32 v141, vcc_lo, s7, v5, vcc_lo
	v_max_f32_e32 v2, v6, v6
	s_mov_b32 vcc_lo, s2
	s_cbranch_vccz .LBB17_50
; %bb.49:
	v_add_co_u32 v3, vcc_lo, v137, v66
	s_delay_alu instid0(VALU_DEP_2)
	v_min_f32_e32 v5, 0, v2
	v_add_co_ci_u32_e32 v4, vcc_lo, v138, v67, vcc_lo
	s_mov_b32 s5, 0
	global_store_b32 v[3:4], v5, off
	s_branch .LBB17_51
.LBB17_50:
	s_mov_b32 s5, -1
.LBB17_51:
	ds_load_b128 v[28:31], v204 offset:9344
	ds_load_b128 v[24:27], v204 offset:9472
	v_lshlrev_b64 v[64:65], 2, v[0:1]
	s_and_not1_b32 vcc_lo, exec_lo, s5
	s_cbranch_vccnz .LBB17_53
; %bb.52:
	v_add_co_u32 v0, vcc_lo, v140, v66
	v_add_co_ci_u32_e32 v1, vcc_lo, v141, v67, vcc_lo
	flat_load_b32 v0, v[0:1]
	s_waitcnt vmcnt(0) lgkmcnt(0)
	v_mul_f32_e32 v3, s15, v0
	v_add_co_u32 v0, vcc_lo, v137, v66
	v_add_co_ci_u32_e32 v1, vcc_lo, v138, v67, vcc_lo
	s_delay_alu instid0(VALU_DEP_3)
	v_min_f32_e32 v4, v3, v2
	v_add_co_u32 v2, vcc_lo, v140, v64
	v_add_co_ci_u32_e32 v3, vcc_lo, v141, v65, vcc_lo
	global_store_b32 v[0:1], v4, off
	flat_load_b32 v0, v[2:3]
	s_waitcnt vmcnt(0) lgkmcnt(0)
	v_mul_f32_e32 v69, s15, v0
	s_branch .LBB17_54
.LBB17_53:
	v_mov_b32_e32 v69, s5
.LBB17_54:
	ds_load_b128 v[16:19], v204 offset:9728
	ds_load_b128 v[12:15], v204 offset:9856
	;; [unrolled: 1-line block ×10, first 2 shown]
	s_waitcnt lgkmcnt(10)
	v_dual_add_f32 v68, v25, v61 :: v_dual_add_f32 v73, v31, v63
	v_dual_add_f32 v70, v24, v60 :: v_dual_add_f32 v71, v29, v61
	ds_load_b128 v[20:23], v204 offset:9600
	ds_load_b128 v[4:7], v74 offset:7680
	v_dual_add_f32 v72, v28, v60 :: v_dual_add_f32 v75, v27, v63
	v_add_f32_e32 v74, v30, v62
	v_min3_f32 v68, v70, v68, v149
	v_dual_add_f32 v77, v26, v62 :: v_dual_add_nc_u32 v70, 16, v76
	s_delay_alu instid0(VALU_DEP_4) | instskip(NEXT) | instid1(VALU_DEP_4)
	v_min3_f32 v72, v72, v71, v148
	v_min_f32_e32 v73, v74, v73
	s_delay_alu instid0(VALU_DEP_3) | instskip(SKIP_2) | instid1(VALU_DEP_4)
	v_min3_f32 v75, v77, v75, v68
	v_add_nc_u32_e32 v68, 24, v76
	v_ashrrev_i32_e32 v71, 31, v70
	v_min3_f32 v77, v69, v73, v72
	v_add_co_u32 v73, vcc_lo, v137, v64
	v_add_co_ci_u32_e32 v74, vcc_lo, v138, v65, vcc_lo
	s_delay_alu instid0(VALU_DEP_4)
	v_lshlrev_b64 v[70:71], 2, v[70:71]
	v_ashrrev_i32_e32 v69, 31, v68
	v_max_f32_e32 v72, v75, v75
	s_mov_b32 vcc_lo, s2
	global_store_b32 v[73:74], v77, off
	s_cbranch_vccz .LBB17_57
; %bb.55:
	v_add_co_u32 v73, vcc_lo, v137, v70
	v_min_f32_e32 v75, 0, v72
	v_add_co_ci_u32_e32 v74, vcc_lo, v138, v71, vcc_lo
	s_mov_b32 s5, 0
	global_store_b32 v[73:74], v75, off
	v_lshlrev_b64 v[68:69], 2, v[68:69]
	s_cbranch_execz .LBB17_58
; %bb.56:
	v_mov_b32_e32 v73, s5
	s_branch .LBB17_59
.LBB17_57:
	s_mov_b32 s5, -1
	v_lshlrev_b64 v[68:69], 2, v[68:69]
.LBB17_58:
	v_add_co_u32 v73, vcc_lo, v140, v70
	v_add_co_ci_u32_e32 v74, vcc_lo, v141, v71, vcc_lo
	flat_load_b32 v73, v[73:74]
	s_waitcnt vmcnt(0) lgkmcnt(0)
	v_mul_f32_e32 v75, s15, v73
	v_add_co_u32 v73, vcc_lo, v137, v70
	v_add_co_ci_u32_e32 v74, vcc_lo, v138, v71, vcc_lo
	v_add_co_u32 v77, vcc_lo, v140, v68
	s_delay_alu instid0(VALU_DEP_4)
	v_min_f32_e32 v72, v75, v72
	v_add_co_ci_u32_e32 v78, vcc_lo, v141, v69, vcc_lo
	global_store_b32 v[73:74], v72, off
	flat_load_b32 v72, v[77:78]
	s_waitcnt vmcnt(0) lgkmcnt(0)
	v_mul_f32_e32 v73, s15, v72
.LBB17_59:
	s_waitcnt lgkmcnt(1)
	v_dual_add_f32 v72, v17, v61 :: v_dual_add_f32 v77, v20, v60
	v_dual_add_f32 v74, v16, v60 :: v_dual_add_f32 v75, v21, v61
	;; [unrolled: 1-line block ×4, first 2 shown]
	s_delay_alu instid0(VALU_DEP_3) | instskip(NEXT) | instid1(VALU_DEP_4)
	v_min3_f32 v72, v74, v72, v147
	v_min3_f32 v77, v77, v75, v146
	s_delay_alu instid0(VALU_DEP_4) | instskip(NEXT) | instid1(VALU_DEP_3)
	v_min_f32_e32 v78, v79, v78
	v_min3_f32 v142, v143, v142, v72
	v_add_nc_u32_e32 v74, 32, v76
	s_delay_alu instid0(VALU_DEP_3)
	v_min3_f32 v143, v73, v78, v77
	v_add_nc_u32_e32 v72, 40, v76
	v_add_co_u32 v78, vcc_lo, v137, v68
	v_max_f32_e32 v77, v142, v142
	v_ashrrev_i32_e32 v75, 31, v74
	v_add_co_ci_u32_e32 v79, vcc_lo, v138, v69, vcc_lo
	v_ashrrev_i32_e32 v73, 31, v72
	s_mov_b32 vcc_lo, s2
	s_delay_alu instid0(VALU_DEP_3)
	v_lshlrev_b64 v[74:75], 2, v[74:75]
	global_store_b32 v[78:79], v143, off
	s_cbranch_vccz .LBB17_62
; %bb.60:
	v_add_co_u32 v78, vcc_lo, v137, v74
	v_min_f32_e32 v142, 0, v77
	v_add_co_ci_u32_e32 v79, vcc_lo, v138, v75, vcc_lo
	s_mov_b32 s5, 0
	global_store_b32 v[78:79], v142, off
	v_lshlrev_b64 v[72:73], 2, v[72:73]
	s_cbranch_execz .LBB17_63
; %bb.61:
	v_mov_b32_e32 v77, s5
	s_branch .LBB17_64
.LBB17_62:
	s_mov_b32 s5, -1
	v_lshlrev_b64 v[72:73], 2, v[72:73]
.LBB17_63:
	v_add_co_u32 v78, vcc_lo, v140, v74
	v_add_co_ci_u32_e32 v79, vcc_lo, v141, v75, vcc_lo
	flat_load_b32 v78, v[78:79]
	s_waitcnt vmcnt(0) lgkmcnt(0)
	v_mul_f32_e32 v142, s15, v78
	v_add_co_u32 v78, vcc_lo, v137, v74
	v_add_co_ci_u32_e32 v79, vcc_lo, v138, v75, vcc_lo
	s_delay_alu instid0(VALU_DEP_3)
	v_min_f32_e32 v77, v142, v77
	v_add_co_u32 v142, vcc_lo, v140, v72
	v_add_co_ci_u32_e32 v143, vcc_lo, v141, v73, vcc_lo
	global_store_b32 v[78:79], v77, off
	flat_load_b32 v77, v[142:143]
	s_waitcnt vmcnt(0) lgkmcnt(0)
	v_mul_f32_e32 v77, s15, v77
.LBB17_64:
	v_dual_add_f32 v78, v9, v61 :: v_dual_add_f32 v79, v8, v60
	v_dual_add_f32 v142, v13, v61 :: v_dual_add_f32 v143, v12, v60
	v_add_f32_e32 v146, v15, v63
	v_dual_add_f32 v147, v11, v63 :: v_dual_add_f32 v148, v10, v62
	s_delay_alu instid0(VALU_DEP_4) | instskip(SKIP_2) | instid1(VALU_DEP_2)
	v_min3_f32 v79, v79, v78, v145
	v_dual_add_f32 v145, v14, v62 :: v_dual_add_nc_u32 v78, 48, v76
	v_min3_f32 v142, v143, v142, v144
	v_dual_min_f32 v143, v145, v146 :: v_dual_add_nc_u32 v76, 56, v76
	s_delay_alu instid0(VALU_DEP_4) | instskip(NEXT) | instid1(VALU_DEP_4)
	v_min3_f32 v145, v148, v147, v79
	v_ashrrev_i32_e32 v79, 31, v78
	s_delay_alu instid0(VALU_DEP_3) | instskip(SKIP_1) | instid1(VALU_DEP_3)
	v_min3_f32 v146, v77, v143, v142
	v_add_co_u32 v143, vcc_lo, v137, v72
	v_lshlrev_b64 v[78:79], 2, v[78:79]
	v_add_co_ci_u32_e32 v144, vcc_lo, v138, v73, vcc_lo
	v_ashrrev_i32_e32 v77, 31, v76
	v_max_f32_e32 v142, v145, v145
	s_mov_b32 vcc_lo, s2
	global_store_b32 v[143:144], v146, off
	s_cbranch_vccz .LBB17_67
; %bb.65:
	v_add_co_u32 v143, vcc_lo, v137, v78
	v_min_f32_e32 v145, 0, v142
	v_add_co_ci_u32_e32 v144, vcc_lo, v138, v79, vcc_lo
	s_mov_b32 s5, 0
	global_store_b32 v[143:144], v145, off
	v_lshlrev_b64 v[76:77], 2, v[76:77]
	s_cbranch_execz .LBB17_68
; %bb.66:
	v_mov_b32_e32 v140, s5
	s_branch .LBB17_69
.LBB17_67:
	s_mov_b32 s5, -1
	v_lshlrev_b64 v[76:77], 2, v[76:77]
.LBB17_68:
	v_add_co_u32 v143, vcc_lo, v140, v78
	v_add_co_ci_u32_e32 v144, vcc_lo, v141, v79, vcc_lo
	flat_load_b32 v143, v[143:144]
	s_waitcnt vmcnt(0) lgkmcnt(0)
	v_mul_f32_e32 v145, s15, v143
	v_add_co_u32 v143, vcc_lo, v137, v78
	v_add_co_ci_u32_e32 v144, vcc_lo, v138, v79, vcc_lo
	v_add_co_u32 v140, vcc_lo, v140, v76
	s_delay_alu instid0(VALU_DEP_4)
	v_min_f32_e32 v142, v145, v142
	v_add_co_ci_u32_e32 v141, vcc_lo, v141, v77, vcc_lo
	global_store_b32 v[143:144], v142, off
	flat_load_b32 v140, v[140:141]
	s_waitcnt vmcnt(0) lgkmcnt(0)
	v_mul_f32_e32 v140, s15, v140
.LBB17_69:
	v_dual_add_f32 v141, v33, v57 :: v_dual_add_f32 v142, v32, v56
	v_dual_add_f32 v61, v1, v61 :: v_dual_add_f32 v60, v0, v60
	v_add_co_u32 v137, vcc_lo, v137, v76
	s_delay_alu instid0(VALU_DEP_3) | instskip(SKIP_4) | instid1(VALU_DEP_4)
	v_min3_f32 v136, v142, v141, v136
	v_dual_add_f32 v142, v35, v59 :: v_dual_add_f32 v143, v34, v58
	v_dual_add_f32 v62, v2, v62 :: v_dual_add_nc_u32 v141, 32, v111
	v_min3_f32 v139, v60, v61, v139
	v_add_co_ci_u32_e32 v138, vcc_lo, v138, v77, vcc_lo
	v_min3_f32 v136, v143, v142, v136
	v_add_f32_e32 v63, v3, v63
	v_mad_i64_i32 v[60:61], null, v141, s4, 0
	s_delay_alu instid0(VALU_DEP_3) | instskip(NEXT) | instid1(VALU_DEP_3)
	v_max_f32_e32 v136, v136, v136
	v_min_f32_e32 v144, v62, v63
	v_mad_i64_i32 v[62:63], null, v141, s3, 0
	s_delay_alu instid0(VALU_DEP_4) | instskip(NEXT) | instid1(VALU_DEP_3)
	v_lshlrev_b64 v[60:61], 2, v[60:61]
	v_min3_f32 v139, v140, v144, v139
	s_delay_alu instid0(VALU_DEP_3) | instskip(NEXT) | instid1(VALU_DEP_3)
	v_lshlrev_b64 v[62:63], 2, v[62:63]
	v_add_co_u32 v60, vcc_lo, s0, v60
	s_delay_alu instid0(VALU_DEP_4)
	v_add_co_ci_u32_e32 v61, vcc_lo, s1, v61, vcc_lo
	global_store_b32 v[137:138], v139, off
	v_add_co_u32 v62, vcc_lo, s6, v62
	v_add_co_ci_u32_e32 v63, vcc_lo, s7, v63, vcc_lo
	s_mov_b32 vcc_lo, s2
	s_cbranch_vccz .LBB17_72
; %bb.70:
	v_add_co_u32 v137, vcc_lo, v60, v66
	v_min_f32_e32 v139, 0, v136
	v_add_co_ci_u32_e32 v138, vcc_lo, v61, v67, vcc_lo
	s_mov_b32 s5, 0
	global_store_b32 v[137:138], v139, off
	s_cbranch_execz .LBB17_73
; %bb.71:
	v_mov_b32_e32 v136, s5
	s_branch .LBB17_74
.LBB17_72:
	s_mov_b32 s5, -1
.LBB17_73:
	v_add_co_u32 v137, vcc_lo, v62, v66
	v_add_co_ci_u32_e32 v138, vcc_lo, v63, v67, vcc_lo
	flat_load_b32 v137, v[137:138]
	s_waitcnt vmcnt(0) lgkmcnt(0)
	v_mul_f32_e32 v139, s15, v137
	v_add_co_u32 v137, vcc_lo, v60, v66
	v_add_co_ci_u32_e32 v138, vcc_lo, v61, v67, vcc_lo
	s_delay_alu instid0(VALU_DEP_3)
	v_min_f32_e32 v136, v139, v136
	v_add_co_u32 v139, vcc_lo, v62, v64
	v_add_co_ci_u32_e32 v140, vcc_lo, v63, v65, vcc_lo
	global_store_b32 v[137:138], v136, off
	flat_load_b32 v136, v[139:140]
	s_waitcnt vmcnt(0) lgkmcnt(0)
	v_mul_f32_e32 v136, s15, v136
.LBB17_74:
	v_dual_add_f32 v137, v29, v57 :: v_dual_add_f32 v138, v28, v56
	v_dual_add_f32 v139, v25, v57 :: v_dual_add_f32 v140, v24, v56
	v_dual_add_f32 v141, v31, v59 :: v_dual_add_f32 v142, v30, v58
	s_delay_alu instid0(VALU_DEP_3) | instskip(SKIP_1) | instid1(VALU_DEP_4)
	v_min3_f32 v134, v138, v137, v134
	v_dual_add_f32 v137, v27, v59 :: v_dual_add_f32 v138, v26, v58
	v_min3_f32 v135, v140, v139, v135
	s_delay_alu instid0(VALU_DEP_4) | instskip(NEXT) | instid1(VALU_DEP_2)
	v_min_f32_e32 v139, v142, v141
	v_min3_f32 v137, v138, v137, v135
	v_add_co_u32 v135, vcc_lo, v60, v64
	s_delay_alu instid0(VALU_DEP_3) | instskip(SKIP_1) | instid1(VALU_DEP_4)
	v_min3_f32 v138, v136, v139, v134
	v_add_co_ci_u32_e32 v136, vcc_lo, v61, v65, vcc_lo
	v_max_f32_e32 v134, v137, v137
	s_mov_b32 vcc_lo, s2
	global_store_b32 v[135:136], v138, off
	s_cbranch_vccz .LBB17_77
; %bb.75:
	v_add_co_u32 v135, vcc_lo, v60, v70
	v_min_f32_e32 v137, 0, v134
	v_add_co_ci_u32_e32 v136, vcc_lo, v61, v71, vcc_lo
	s_mov_b32 s5, 0
	global_store_b32 v[135:136], v137, off
	s_cbranch_execz .LBB17_78
; %bb.76:
	v_mov_b32_e32 v134, s5
	s_branch .LBB17_79
.LBB17_77:
	s_mov_b32 s5, -1
.LBB17_78:
	v_add_co_u32 v135, vcc_lo, v62, v70
	v_add_co_ci_u32_e32 v136, vcc_lo, v63, v71, vcc_lo
	flat_load_b32 v135, v[135:136]
	s_waitcnt vmcnt(0) lgkmcnt(0)
	v_mul_f32_e32 v137, s15, v135
	v_add_co_u32 v135, vcc_lo, v60, v70
	v_add_co_ci_u32_e32 v136, vcc_lo, v61, v71, vcc_lo
	s_delay_alu instid0(VALU_DEP_3)
	v_min_f32_e32 v134, v137, v134
	v_add_co_u32 v137, vcc_lo, v62, v68
	v_add_co_ci_u32_e32 v138, vcc_lo, v63, v69, vcc_lo
	global_store_b32 v[135:136], v134, off
	flat_load_b32 v134, v[137:138]
	s_waitcnt vmcnt(0) lgkmcnt(0)
	v_mul_f32_e32 v134, s15, v134
.LBB17_79:
	v_dual_add_f32 v135, v21, v57 :: v_dual_add_f32 v136, v20, v56
	v_dual_add_f32 v137, v17, v57 :: v_dual_add_f32 v138, v16, v56
	v_dual_add_f32 v139, v23, v59 :: v_dual_add_f32 v140, v22, v58
	s_delay_alu instid0(VALU_DEP_3) | instskip(SKIP_1) | instid1(VALU_DEP_4)
	v_min3_f32 v132, v136, v135, v132
	v_dual_add_f32 v135, v19, v59 :: v_dual_add_f32 v136, v18, v58
	v_min3_f32 v133, v138, v137, v133
	s_delay_alu instid0(VALU_DEP_4) | instskip(NEXT) | instid1(VALU_DEP_2)
	v_min_f32_e32 v137, v140, v139
	v_min3_f32 v135, v136, v135, v133
	v_add_co_u32 v133, vcc_lo, v60, v68
	s_delay_alu instid0(VALU_DEP_3) | instskip(SKIP_1) | instid1(VALU_DEP_4)
	v_min3_f32 v136, v134, v137, v132
	v_add_co_ci_u32_e32 v134, vcc_lo, v61, v69, vcc_lo
	v_max_f32_e32 v132, v135, v135
	s_mov_b32 vcc_lo, s2
	global_store_b32 v[133:134], v136, off
	;; [unrolled: 47-line block ×3, first 2 shown]
	s_cbranch_vccz .LBB17_87
; %bb.85:
	v_add_co_u32 v131, vcc_lo, v60, v78
	v_min_f32_e32 v133, 0, v130
	v_add_co_ci_u32_e32 v132, vcc_lo, v61, v79, vcc_lo
	s_mov_b32 s5, 0
	global_store_b32 v[131:132], v133, off
	s_cbranch_execz .LBB17_88
; %bb.86:
	v_mov_b32_e32 v62, s5
	s_branch .LBB17_89
.LBB17_87:
	s_mov_b32 s5, -1
.LBB17_88:
	v_add_co_u32 v131, vcc_lo, v62, v78
	v_add_co_ci_u32_e32 v132, vcc_lo, v63, v79, vcc_lo
	flat_load_b32 v131, v[131:132]
	s_waitcnt vmcnt(0) lgkmcnt(0)
	v_mul_f32_e32 v133, s15, v131
	v_add_co_u32 v131, vcc_lo, v60, v78
	v_add_co_ci_u32_e32 v132, vcc_lo, v61, v79, vcc_lo
	v_add_co_u32 v62, vcc_lo, v62, v76
	s_delay_alu instid0(VALU_DEP_4)
	v_min_f32_e32 v130, v133, v130
	v_add_co_ci_u32_e32 v63, vcc_lo, v63, v77, vcc_lo
	global_store_b32 v[131:132], v130, off
	flat_load_b32 v62, v[62:63]
	s_waitcnt vmcnt(0) lgkmcnt(0)
	v_mul_f32_e32 v62, s15, v62
.LBB17_89:
	v_dual_add_f32 v63, v33, v53 :: v_dual_add_f32 v130, v32, v52
	v_dual_add_f32 v57, v1, v57 :: v_dual_add_f32 v56, v0, v56
	;; [unrolled: 1-line block ×3, first 2 shown]
	s_delay_alu instid0(VALU_DEP_3) | instskip(SKIP_1) | instid1(VALU_DEP_4)
	v_min3_f32 v63, v130, v63, v129
	v_add_nc_u32_e32 v129, 64, v111
	v_min3_f32 v128, v56, v57, v128
	v_dual_add_f32 v130, v35, v55 :: v_dual_add_f32 v131, v34, v54
	v_min_f32_e32 v132, v58, v59
	s_delay_alu instid0(VALU_DEP_4) | instskip(SKIP_1) | instid1(VALU_DEP_3)
	v_mad_i64_i32 v[56:57], null, v129, s4, 0
	v_mad_i64_i32 v[58:59], null, v129, s3, 0
	v_min3_f32 v128, v62, v132, v128
	v_add_co_u32 v62, vcc_lo, v60, v76
	v_min3_f32 v129, v131, v130, v63
	v_lshlrev_b64 v[56:57], 2, v[56:57]
	v_add_co_ci_u32_e32 v63, vcc_lo, v61, v77, vcc_lo
	v_lshlrev_b64 v[58:59], 2, v[58:59]
	s_delay_alu instid0(VALU_DEP_4) | instskip(NEXT) | instid1(VALU_DEP_4)
	v_max_f32_e32 v60, v129, v129
	v_add_co_u32 v56, vcc_lo, s0, v56
	v_add_co_ci_u32_e32 v57, vcc_lo, s1, v57, vcc_lo
	s_delay_alu instid0(VALU_DEP_4)
	v_add_co_u32 v58, vcc_lo, s6, v58
	v_add_co_ci_u32_e32 v59, vcc_lo, s7, v59, vcc_lo
	s_mov_b32 vcc_lo, s2
	global_store_b32 v[62:63], v128, off
	s_cbranch_vccz .LBB17_92
; %bb.90:
	v_add_co_u32 v61, vcc_lo, v56, v66
	v_min_f32_e32 v63, 0, v60
	v_add_co_ci_u32_e32 v62, vcc_lo, v57, v67, vcc_lo
	s_mov_b32 s5, 0
	global_store_b32 v[61:62], v63, off
	s_cbranch_execz .LBB17_93
; %bb.91:
	v_mov_b32_e32 v60, s5
	s_branch .LBB17_94
.LBB17_92:
	s_mov_b32 s5, -1
.LBB17_93:
	v_add_co_u32 v61, vcc_lo, v58, v66
	v_add_co_ci_u32_e32 v62, vcc_lo, v59, v67, vcc_lo
	flat_load_b32 v61, v[61:62]
	s_waitcnt vmcnt(0) lgkmcnt(0)
	v_mul_f32_e32 v63, s15, v61
	v_add_co_u32 v61, vcc_lo, v56, v66
	v_add_co_ci_u32_e32 v62, vcc_lo, v57, v67, vcc_lo
	v_add_co_u32 v128, vcc_lo, v58, v64
	s_delay_alu instid0(VALU_DEP_4)
	v_min_f32_e32 v60, v63, v60
	v_add_co_ci_u32_e32 v129, vcc_lo, v59, v65, vcc_lo
	global_store_b32 v[61:62], v60, off
	flat_load_b32 v60, v[128:129]
	s_waitcnt vmcnt(0) lgkmcnt(0)
	v_mul_f32_e32 v60, s15, v60
.LBB17_94:
	v_dual_add_f32 v61, v29, v53 :: v_dual_add_f32 v62, v28, v52
	v_dual_add_f32 v63, v25, v53 :: v_dual_add_f32 v128, v24, v52
	;; [unrolled: 1-line block ×3, first 2 shown]
	s_delay_alu instid0(VALU_DEP_3) | instskip(NEXT) | instid1(VALU_DEP_3)
	v_min3_f32 v61, v62, v61, v127
	v_min3_f32 v62, v128, v63, v126
	v_dual_add_f32 v63, v27, v55 :: v_dual_add_f32 v126, v26, v54
	s_delay_alu instid0(VALU_DEP_1) | instskip(SKIP_1) | instid1(VALU_DEP_1)
	v_min3_f32 v63, v126, v63, v62
	v_min_f32_e32 v127, v130, v129
	v_min3_f32 v126, v60, v127, v61
	s_delay_alu instid0(VALU_DEP_3)
	v_max_f32_e32 v60, v63, v63
	v_add_co_u32 v61, vcc_lo, v56, v64
	v_add_co_ci_u32_e32 v62, vcc_lo, v57, v65, vcc_lo
	s_mov_b32 vcc_lo, s2
	global_store_b32 v[61:62], v126, off
	s_cbranch_vccz .LBB17_97
; %bb.95:
	v_add_co_u32 v61, vcc_lo, v56, v70
	v_min_f32_e32 v63, 0, v60
	v_add_co_ci_u32_e32 v62, vcc_lo, v57, v71, vcc_lo
	s_mov_b32 s5, 0
	global_store_b32 v[61:62], v63, off
	s_cbranch_execz .LBB17_98
; %bb.96:
	v_mov_b32_e32 v60, s5
	s_branch .LBB17_99
.LBB17_97:
	s_mov_b32 s5, -1
.LBB17_98:
	v_add_co_u32 v61, vcc_lo, v58, v70
	v_add_co_ci_u32_e32 v62, vcc_lo, v59, v71, vcc_lo
	flat_load_b32 v61, v[61:62]
	s_waitcnt vmcnt(0) lgkmcnt(0)
	v_mul_f32_e32 v63, s15, v61
	v_add_co_u32 v61, vcc_lo, v56, v70
	v_add_co_ci_u32_e32 v62, vcc_lo, v57, v71, vcc_lo
	v_add_co_u32 v126, vcc_lo, v58, v68
	s_delay_alu instid0(VALU_DEP_4)
	v_min_f32_e32 v60, v63, v60
	v_add_co_ci_u32_e32 v127, vcc_lo, v59, v69, vcc_lo
	global_store_b32 v[61:62], v60, off
	flat_load_b32 v60, v[126:127]
	s_waitcnt vmcnt(0) lgkmcnt(0)
	v_mul_f32_e32 v60, s15, v60
.LBB17_99:
	v_dual_add_f32 v61, v21, v53 :: v_dual_add_f32 v62, v20, v52
	v_dual_add_f32 v63, v17, v53 :: v_dual_add_f32 v126, v16, v52
	v_dual_add_f32 v127, v23, v55 :: v_dual_add_f32 v128, v22, v54
	s_delay_alu instid0(VALU_DEP_3) | instskip(SKIP_1) | instid1(VALU_DEP_4)
	v_min3_f32 v61, v62, v61, v124
	v_add_f32_e32 v124, v18, v54
	v_min3_f32 v62, v126, v63, v125
	v_add_f32_e32 v63, v19, v55
	v_min_f32_e32 v125, v128, v127
	s_delay_alu instid0(VALU_DEP_2) | instskip(NEXT) | instid1(VALU_DEP_2)
	v_min3_f32 v63, v124, v63, v62
	v_min3_f32 v124, v60, v125, v61
	v_add_co_u32 v61, vcc_lo, v56, v68
	v_add_co_ci_u32_e32 v62, vcc_lo, v57, v69, vcc_lo
	s_delay_alu instid0(VALU_DEP_4)
	v_max_f32_e32 v60, v63, v63
	s_mov_b32 vcc_lo, s2
	global_store_b32 v[61:62], v124, off
	s_cbranch_vccz .LBB17_102
; %bb.100:
	v_add_co_u32 v61, vcc_lo, v56, v74
	v_min_f32_e32 v63, 0, v60
	v_add_co_ci_u32_e32 v62, vcc_lo, v57, v75, vcc_lo
	s_mov_b32 s5, 0
	global_store_b32 v[61:62], v63, off
	s_cbranch_execz .LBB17_103
; %bb.101:
	v_mov_b32_e32 v60, s5
	s_branch .LBB17_104
.LBB17_102:
	s_mov_b32 s5, -1
.LBB17_103:
	v_add_co_u32 v61, vcc_lo, v58, v74
	v_add_co_ci_u32_e32 v62, vcc_lo, v59, v75, vcc_lo
	flat_load_b32 v61, v[61:62]
	s_waitcnt vmcnt(0) lgkmcnt(0)
	v_mul_f32_e32 v63, s15, v61
	v_add_co_u32 v61, vcc_lo, v56, v74
	v_add_co_ci_u32_e32 v62, vcc_lo, v57, v75, vcc_lo
	v_add_co_u32 v124, vcc_lo, v58, v72
	s_delay_alu instid0(VALU_DEP_4)
	v_min_f32_e32 v60, v63, v60
	v_add_co_ci_u32_e32 v125, vcc_lo, v59, v73, vcc_lo
	global_store_b32 v[61:62], v60, off
	flat_load_b32 v60, v[124:125]
	s_waitcnt vmcnt(0) lgkmcnt(0)
	v_mul_f32_e32 v60, s15, v60
.LBB17_104:
	v_dual_add_f32 v61, v13, v53 :: v_dual_add_f32 v62, v12, v52
	v_dual_add_f32 v63, v9, v53 :: v_dual_add_f32 v124, v8, v52
	;; [unrolled: 1-line block ×3, first 2 shown]
	s_delay_alu instid0(VALU_DEP_3) | instskip(SKIP_1) | instid1(VALU_DEP_4)
	v_min3_f32 v61, v62, v61, v122
	v_add_f32_e32 v122, v10, v54
	v_min3_f32 v62, v124, v63, v123
	v_add_f32_e32 v63, v11, v55
	s_delay_alu instid0(VALU_DEP_1) | instskip(SKIP_1) | instid1(VALU_DEP_1)
	v_min3_f32 v63, v122, v63, v62
	v_min_f32_e32 v123, v126, v125
	v_min3_f32 v122, v60, v123, v61
	s_delay_alu instid0(VALU_DEP_3)
	v_max_f32_e32 v60, v63, v63
	v_add_co_u32 v61, vcc_lo, v56, v72
	v_add_co_ci_u32_e32 v62, vcc_lo, v57, v73, vcc_lo
	s_mov_b32 vcc_lo, s2
	global_store_b32 v[61:62], v122, off
	s_cbranch_vccz .LBB17_107
; %bb.105:
	v_add_co_u32 v61, vcc_lo, v56, v78
	v_min_f32_e32 v63, 0, v60
	v_add_co_ci_u32_e32 v62, vcc_lo, v57, v79, vcc_lo
	s_mov_b32 s5, 0
	global_store_b32 v[61:62], v63, off
	s_cbranch_execz .LBB17_108
; %bb.106:
	v_mov_b32_e32 v58, s5
	s_branch .LBB17_109
.LBB17_107:
	s_mov_b32 s5, -1
.LBB17_108:
	v_add_co_u32 v61, vcc_lo, v58, v78
	v_add_co_ci_u32_e32 v62, vcc_lo, v59, v79, vcc_lo
	flat_load_b32 v61, v[61:62]
	s_waitcnt vmcnt(0) lgkmcnt(0)
	v_mul_f32_e32 v63, s15, v61
	v_add_co_u32 v61, vcc_lo, v56, v78
	v_add_co_ci_u32_e32 v62, vcc_lo, v57, v79, vcc_lo
	v_add_co_u32 v58, vcc_lo, v58, v76
	s_delay_alu instid0(VALU_DEP_4)
	v_min_f32_e32 v60, v63, v60
	v_add_co_ci_u32_e32 v59, vcc_lo, v59, v77, vcc_lo
	global_store_b32 v[61:62], v60, off
	flat_load_b32 v58, v[58:59]
	s_waitcnt vmcnt(0) lgkmcnt(0)
	v_mul_f32_e32 v58, s15, v58
.LBB17_109:
	v_dual_add_f32 v59, v33, v49 :: v_dual_add_f32 v60, v32, v48
	v_dual_add_f32 v53, v1, v53 :: v_dual_add_f32 v52, v0, v52
	;; [unrolled: 1-line block ×3, first 2 shown]
	s_delay_alu instid0(VALU_DEP_3) | instskip(SKIP_1) | instid1(VALU_DEP_4)
	v_min3_f32 v59, v60, v59, v121
	v_dual_add_f32 v63, v34, v50 :: v_dual_add_nc_u32 v60, 0x60, v111
	v_min3_f32 v61, v52, v53, v120
	s_delay_alu instid0(VALU_DEP_4) | instskip(SKIP_1) | instid1(VALU_DEP_4)
	v_min_f32_e32 v120, v54, v55
	v_add_f32_e32 v62, v35, v51
	v_mad_i64_i32 v[52:53], null, v60, s4, 0
	v_mad_i64_i32 v[54:55], null, v60, s3, 0
	s_delay_alu instid0(VALU_DEP_4)
	v_min3_f32 v61, v58, v120, v61
	v_add_co_u32 v58, vcc_lo, v56, v76
	v_min3_f32 v60, v63, v62, v59
	v_lshlrev_b64 v[52:53], 2, v[52:53]
	v_add_co_ci_u32_e32 v59, vcc_lo, v57, v77, vcc_lo
	v_lshlrev_b64 v[54:55], 2, v[54:55]
	s_delay_alu instid0(VALU_DEP_4) | instskip(NEXT) | instid1(VALU_DEP_4)
	v_max_f32_e32 v56, v60, v60
	v_add_co_u32 v52, vcc_lo, s0, v52
	v_add_co_ci_u32_e32 v53, vcc_lo, s1, v53, vcc_lo
	s_delay_alu instid0(VALU_DEP_4)
	v_add_co_u32 v54, vcc_lo, s6, v54
	v_add_co_ci_u32_e32 v55, vcc_lo, s7, v55, vcc_lo
	s_mov_b32 vcc_lo, s2
	global_store_b32 v[58:59], v61, off
	s_cbranch_vccz .LBB17_112
; %bb.110:
	v_add_co_u32 v57, vcc_lo, v52, v66
	v_min_f32_e32 v59, 0, v56
	v_add_co_ci_u32_e32 v58, vcc_lo, v53, v67, vcc_lo
	s_mov_b32 s5, 0
	global_store_b32 v[57:58], v59, off
	s_cbranch_execz .LBB17_113
; %bb.111:
	v_mov_b32_e32 v56, s5
	s_branch .LBB17_114
.LBB17_112:
	s_mov_b32 s5, -1
.LBB17_113:
	v_add_co_u32 v57, vcc_lo, v54, v66
	v_add_co_ci_u32_e32 v58, vcc_lo, v55, v67, vcc_lo
	flat_load_b32 v57, v[57:58]
	s_waitcnt vmcnt(0) lgkmcnt(0)
	v_mul_f32_e32 v59, s15, v57
	v_add_co_u32 v57, vcc_lo, v52, v66
	v_add_co_ci_u32_e32 v58, vcc_lo, v53, v67, vcc_lo
	s_delay_alu instid0(VALU_DEP_3)
	v_min_f32_e32 v56, v59, v56
	v_add_co_u32 v59, vcc_lo, v54, v64
	v_add_co_ci_u32_e32 v60, vcc_lo, v55, v65, vcc_lo
	global_store_b32 v[57:58], v56, off
	flat_load_b32 v56, v[59:60]
	s_waitcnt vmcnt(0) lgkmcnt(0)
	v_mul_f32_e32 v56, s15, v56
.LBB17_114:
	v_dual_add_f32 v57, v29, v49 :: v_dual_add_f32 v58, v28, v48
	v_dual_add_f32 v59, v25, v49 :: v_dual_add_f32 v60, v24, v48
	v_dual_add_f32 v61, v31, v51 :: v_dual_add_f32 v62, v30, v50
	s_delay_alu instid0(VALU_DEP_3) | instskip(NEXT) | instid1(VALU_DEP_3)
	v_min3_f32 v57, v58, v57, v118
	v_min3_f32 v58, v60, v59, v119
	v_dual_add_f32 v59, v27, v51 :: v_dual_add_f32 v60, v26, v50
	s_delay_alu instid0(VALU_DEP_1) | instskip(SKIP_1) | instid1(VALU_DEP_1)
	v_min3_f32 v59, v60, v59, v58
	v_min_f32_e32 v61, v62, v61
	v_min3_f32 v60, v56, v61, v57
	s_delay_alu instid0(VALU_DEP_3)
	v_max_f32_e32 v56, v59, v59
	v_add_co_u32 v57, vcc_lo, v52, v64
	v_add_co_ci_u32_e32 v58, vcc_lo, v53, v65, vcc_lo
	s_mov_b32 vcc_lo, s2
	global_store_b32 v[57:58], v60, off
	s_cbranch_vccz .LBB17_117
; %bb.115:
	v_add_co_u32 v57, vcc_lo, v52, v70
	v_min_f32_e32 v59, 0, v56
	v_add_co_ci_u32_e32 v58, vcc_lo, v53, v71, vcc_lo
	s_mov_b32 s5, 0
	global_store_b32 v[57:58], v59, off
	s_cbranch_execz .LBB17_118
; %bb.116:
	v_mov_b32_e32 v56, s5
	s_branch .LBB17_119
.LBB17_117:
	s_mov_b32 s5, -1
.LBB17_118:
	v_add_co_u32 v57, vcc_lo, v54, v70
	v_add_co_ci_u32_e32 v58, vcc_lo, v55, v71, vcc_lo
	flat_load_b32 v57, v[57:58]
	s_waitcnt vmcnt(0) lgkmcnt(0)
	v_mul_f32_e32 v59, s15, v57
	v_add_co_u32 v57, vcc_lo, v52, v70
	v_add_co_ci_u32_e32 v58, vcc_lo, v53, v71, vcc_lo
	s_delay_alu instid0(VALU_DEP_3)
	v_min_f32_e32 v56, v59, v56
	v_add_co_u32 v59, vcc_lo, v54, v68
	v_add_co_ci_u32_e32 v60, vcc_lo, v55, v69, vcc_lo
	global_store_b32 v[57:58], v56, off
	flat_load_b32 v56, v[59:60]
	s_waitcnt vmcnt(0) lgkmcnt(0)
	v_mul_f32_e32 v56, s15, v56
.LBB17_119:
	v_dual_add_f32 v57, v21, v49 :: v_dual_add_f32 v58, v20, v48
	v_dual_add_f32 v59, v17, v49 :: v_dual_add_f32 v60, v16, v48
	v_dual_add_f32 v61, v23, v51 :: v_dual_add_f32 v62, v22, v50
	s_delay_alu instid0(VALU_DEP_3) | instskip(NEXT) | instid1(VALU_DEP_3)
	v_min3_f32 v57, v58, v57, v117
	v_min3_f32 v58, v60, v59, v116
	v_dual_add_f32 v59, v19, v51 :: v_dual_add_f32 v60, v18, v50
	s_delay_alu instid0(VALU_DEP_1) | instskip(SKIP_1) | instid1(VALU_DEP_1)
	v_min3_f32 v59, v60, v59, v58
	v_min_f32_e32 v61, v62, v61
	v_min3_f32 v60, v56, v61, v57
	s_delay_alu instid0(VALU_DEP_3)
	v_max_f32_e32 v56, v59, v59
	;; [unrolled: 47-line block ×3, first 2 shown]
	v_add_co_u32 v57, vcc_lo, v52, v72
	v_add_co_ci_u32_e32 v58, vcc_lo, v53, v73, vcc_lo
	s_mov_b32 vcc_lo, s2
	global_store_b32 v[57:58], v60, off
	s_cbranch_vccz .LBB17_127
; %bb.125:
	v_add_co_u32 v57, vcc_lo, v52, v78
	v_min_f32_e32 v59, 0, v56
	v_add_co_ci_u32_e32 v58, vcc_lo, v53, v79, vcc_lo
	s_mov_b32 s5, 0
	global_store_b32 v[57:58], v59, off
	s_cbranch_execz .LBB17_128
; %bb.126:
	v_mov_b32_e32 v54, s5
	s_branch .LBB17_129
.LBB17_127:
	s_mov_b32 s5, -1
.LBB17_128:
	v_add_co_u32 v57, vcc_lo, v54, v78
	v_add_co_ci_u32_e32 v58, vcc_lo, v55, v79, vcc_lo
	flat_load_b32 v57, v[57:58]
	s_waitcnt vmcnt(0) lgkmcnt(0)
	v_mul_f32_e32 v59, s15, v57
	v_add_co_u32 v57, vcc_lo, v52, v78
	v_add_co_ci_u32_e32 v58, vcc_lo, v53, v79, vcc_lo
	v_add_co_u32 v54, vcc_lo, v54, v76
	s_delay_alu instid0(VALU_DEP_4)
	v_min_f32_e32 v56, v59, v56
	v_add_co_ci_u32_e32 v55, vcc_lo, v55, v77, vcc_lo
	global_store_b32 v[57:58], v56, off
	flat_load_b32 v54, v[54:55]
	s_waitcnt vmcnt(0) lgkmcnt(0)
	v_mul_f32_e32 v54, s15, v54
.LBB17_129:
	v_dual_add_f32 v55, v33, v45 :: v_dual_add_f32 v56, v32, v44
	v_dual_add_f32 v49, v1, v49 :: v_dual_add_f32 v48, v0, v48
	;; [unrolled: 1-line block ×3, first 2 shown]
	s_delay_alu instid0(VALU_DEP_3) | instskip(SKIP_1) | instid1(VALU_DEP_4)
	v_min3_f32 v55, v56, v55, v113
	v_dual_add_f32 v59, v34, v46 :: v_dual_add_nc_u32 v56, 0x80, v111
	v_min3_f32 v57, v48, v49, v112
	s_delay_alu instid0(VALU_DEP_4) | instskip(SKIP_1) | instid1(VALU_DEP_4)
	v_min_f32_e32 v60, v50, v51
	v_add_f32_e32 v58, v35, v47
	v_mad_i64_i32 v[48:49], null, v56, s4, 0
	v_mad_i64_i32 v[50:51], null, v56, s3, 0
	s_delay_alu instid0(VALU_DEP_4)
	v_min3_f32 v57, v54, v60, v57
	v_add_co_u32 v54, vcc_lo, v52, v76
	v_min3_f32 v56, v59, v58, v55
	v_lshlrev_b64 v[48:49], 2, v[48:49]
	v_add_co_ci_u32_e32 v55, vcc_lo, v53, v77, vcc_lo
	v_lshlrev_b64 v[50:51], 2, v[50:51]
	s_delay_alu instid0(VALU_DEP_4) | instskip(NEXT) | instid1(VALU_DEP_4)
	v_max_f32_e32 v52, v56, v56
	v_add_co_u32 v48, vcc_lo, s0, v48
	v_add_co_ci_u32_e32 v49, vcc_lo, s1, v49, vcc_lo
	s_delay_alu instid0(VALU_DEP_4)
	v_add_co_u32 v50, vcc_lo, s6, v50
	v_add_co_ci_u32_e32 v51, vcc_lo, s7, v51, vcc_lo
	s_mov_b32 vcc_lo, s2
	global_store_b32 v[54:55], v57, off
	s_cbranch_vccz .LBB17_132
; %bb.130:
	v_add_co_u32 v53, vcc_lo, v48, v66
	v_min_f32_e32 v55, 0, v52
	v_add_co_ci_u32_e32 v54, vcc_lo, v49, v67, vcc_lo
	s_mov_b32 s5, 0
	global_store_b32 v[53:54], v55, off
	s_cbranch_execz .LBB17_133
; %bb.131:
	v_mov_b32_e32 v52, s5
	s_branch .LBB17_134
.LBB17_132:
	s_mov_b32 s5, -1
.LBB17_133:
	v_add_co_u32 v53, vcc_lo, v50, v66
	v_add_co_ci_u32_e32 v54, vcc_lo, v51, v67, vcc_lo
	flat_load_b32 v53, v[53:54]
	s_waitcnt vmcnt(0) lgkmcnt(0)
	v_mul_f32_e32 v55, s15, v53
	v_add_co_u32 v53, vcc_lo, v48, v66
	v_add_co_ci_u32_e32 v54, vcc_lo, v49, v67, vcc_lo
	s_delay_alu instid0(VALU_DEP_3)
	v_min_f32_e32 v52, v55, v52
	v_add_co_u32 v55, vcc_lo, v50, v64
	v_add_co_ci_u32_e32 v56, vcc_lo, v51, v65, vcc_lo
	global_store_b32 v[53:54], v52, off
	flat_load_b32 v52, v[55:56]
	s_waitcnt vmcnt(0) lgkmcnt(0)
	v_mul_f32_e32 v52, s15, v52
.LBB17_134:
	v_dual_add_f32 v53, v29, v45 :: v_dual_add_f32 v54, v28, v44
	v_dual_add_f32 v55, v25, v45 :: v_dual_add_f32 v56, v24, v44
	v_dual_add_f32 v57, v31, v47 :: v_dual_add_f32 v58, v30, v46
	s_delay_alu instid0(VALU_DEP_3) | instskip(NEXT) | instid1(VALU_DEP_3)
	v_min3_f32 v53, v54, v53, v109
	v_min3_f32 v54, v56, v55, v110
	v_dual_add_f32 v55, v27, v47 :: v_dual_add_f32 v56, v26, v46
	s_delay_alu instid0(VALU_DEP_1) | instskip(SKIP_1) | instid1(VALU_DEP_1)
	v_min3_f32 v55, v56, v55, v54
	v_min_f32_e32 v57, v58, v57
	v_min3_f32 v56, v52, v57, v53
	s_delay_alu instid0(VALU_DEP_3)
	v_max_f32_e32 v52, v55, v55
	v_add_co_u32 v53, vcc_lo, v48, v64
	v_add_co_ci_u32_e32 v54, vcc_lo, v49, v65, vcc_lo
	s_mov_b32 vcc_lo, s2
	global_store_b32 v[53:54], v56, off
	s_cbranch_vccz .LBB17_137
; %bb.135:
	v_add_co_u32 v53, vcc_lo, v48, v70
	v_min_f32_e32 v55, 0, v52
	v_add_co_ci_u32_e32 v54, vcc_lo, v49, v71, vcc_lo
	s_mov_b32 s5, 0
	global_store_b32 v[53:54], v55, off
	s_cbranch_execz .LBB17_138
; %bb.136:
	v_mov_b32_e32 v52, s5
	s_branch .LBB17_139
.LBB17_137:
	s_mov_b32 s5, -1
.LBB17_138:
	v_add_co_u32 v53, vcc_lo, v50, v70
	v_add_co_ci_u32_e32 v54, vcc_lo, v51, v71, vcc_lo
	flat_load_b32 v53, v[53:54]
	s_waitcnt vmcnt(0) lgkmcnt(0)
	v_mul_f32_e32 v55, s15, v53
	v_add_co_u32 v53, vcc_lo, v48, v70
	v_add_co_ci_u32_e32 v54, vcc_lo, v49, v71, vcc_lo
	s_delay_alu instid0(VALU_DEP_3)
	v_min_f32_e32 v52, v55, v52
	v_add_co_u32 v55, vcc_lo, v50, v68
	v_add_co_ci_u32_e32 v56, vcc_lo, v51, v69, vcc_lo
	global_store_b32 v[53:54], v52, off
	flat_load_b32 v52, v[55:56]
	s_waitcnt vmcnt(0) lgkmcnt(0)
	v_mul_f32_e32 v52, s15, v52
.LBB17_139:
	v_dual_add_f32 v53, v21, v45 :: v_dual_add_f32 v54, v20, v44
	v_dual_add_f32 v55, v17, v45 :: v_dual_add_f32 v56, v16, v44
	v_dual_add_f32 v57, v23, v47 :: v_dual_add_f32 v58, v22, v46
	s_delay_alu instid0(VALU_DEP_3) | instskip(NEXT) | instid1(VALU_DEP_3)
	v_min3_f32 v53, v54, v53, v107
	v_min3_f32 v54, v56, v55, v108
	v_dual_add_f32 v55, v19, v47 :: v_dual_add_f32 v56, v18, v46
	s_delay_alu instid0(VALU_DEP_1) | instskip(SKIP_1) | instid1(VALU_DEP_1)
	v_min3_f32 v55, v56, v55, v54
	v_min_f32_e32 v57, v58, v57
	v_min3_f32 v56, v52, v57, v53
	s_delay_alu instid0(VALU_DEP_3)
	v_max_f32_e32 v52, v55, v55
	;; [unrolled: 47-line block ×3, first 2 shown]
	v_add_co_u32 v53, vcc_lo, v48, v72
	v_add_co_ci_u32_e32 v54, vcc_lo, v49, v73, vcc_lo
	s_mov_b32 vcc_lo, s2
	global_store_b32 v[53:54], v56, off
	s_cbranch_vccz .LBB17_147
; %bb.145:
	v_add_co_u32 v53, vcc_lo, v48, v78
	v_min_f32_e32 v55, 0, v52
	v_add_co_ci_u32_e32 v54, vcc_lo, v49, v79, vcc_lo
	s_mov_b32 s5, 0
	global_store_b32 v[53:54], v55, off
	s_cbranch_execz .LBB17_148
; %bb.146:
	v_mov_b32_e32 v50, s5
	s_branch .LBB17_149
.LBB17_147:
	s_mov_b32 s5, -1
.LBB17_148:
	v_add_co_u32 v53, vcc_lo, v50, v78
	v_add_co_ci_u32_e32 v54, vcc_lo, v51, v79, vcc_lo
	flat_load_b32 v53, v[53:54]
	s_waitcnt vmcnt(0) lgkmcnt(0)
	v_mul_f32_e32 v55, s15, v53
	v_add_co_u32 v53, vcc_lo, v48, v78
	v_add_co_ci_u32_e32 v54, vcc_lo, v49, v79, vcc_lo
	v_add_co_u32 v50, vcc_lo, v50, v76
	s_delay_alu instid0(VALU_DEP_4)
	v_min_f32_e32 v52, v55, v52
	v_add_co_ci_u32_e32 v51, vcc_lo, v51, v77, vcc_lo
	global_store_b32 v[53:54], v52, off
	flat_load_b32 v50, v[50:51]
	s_waitcnt vmcnt(0) lgkmcnt(0)
	v_mul_f32_e32 v50, s15, v50
.LBB17_149:
	v_dual_add_f32 v51, v33, v41 :: v_dual_add_f32 v52, v32, v40
	v_dual_add_f32 v45, v1, v45 :: v_dual_add_f32 v44, v0, v44
	;; [unrolled: 1-line block ×3, first 2 shown]
	s_delay_alu instid0(VALU_DEP_3) | instskip(SKIP_1) | instid1(VALU_DEP_4)
	v_min3_f32 v51, v52, v51, v104
	v_dual_add_f32 v55, v34, v42 :: v_dual_add_nc_u32 v52, 0xa0, v111
	v_min3_f32 v53, v44, v45, v103
	s_delay_alu instid0(VALU_DEP_4) | instskip(SKIP_1) | instid1(VALU_DEP_4)
	v_min_f32_e32 v56, v46, v47
	v_add_f32_e32 v54, v35, v43
	v_mad_i64_i32 v[44:45], null, v52, s4, 0
	v_mad_i64_i32 v[46:47], null, v52, s3, 0
	s_delay_alu instid0(VALU_DEP_4)
	v_min3_f32 v53, v50, v56, v53
	v_add_co_u32 v50, vcc_lo, v48, v76
	v_min3_f32 v52, v55, v54, v51
	v_lshlrev_b64 v[44:45], 2, v[44:45]
	v_add_co_ci_u32_e32 v51, vcc_lo, v49, v77, vcc_lo
	v_lshlrev_b64 v[46:47], 2, v[46:47]
	s_delay_alu instid0(VALU_DEP_4) | instskip(NEXT) | instid1(VALU_DEP_4)
	v_max_f32_e32 v48, v52, v52
	v_add_co_u32 v44, vcc_lo, s0, v44
	v_add_co_ci_u32_e32 v45, vcc_lo, s1, v45, vcc_lo
	s_delay_alu instid0(VALU_DEP_4)
	v_add_co_u32 v46, vcc_lo, s6, v46
	v_add_co_ci_u32_e32 v47, vcc_lo, s7, v47, vcc_lo
	s_mov_b32 vcc_lo, s2
	global_store_b32 v[50:51], v53, off
	s_cbranch_vccz .LBB17_152
; %bb.150:
	v_add_co_u32 v49, vcc_lo, v44, v66
	v_min_f32_e32 v51, 0, v48
	v_add_co_ci_u32_e32 v50, vcc_lo, v45, v67, vcc_lo
	s_mov_b32 s5, 0
	global_store_b32 v[49:50], v51, off
	s_cbranch_execz .LBB17_153
; %bb.151:
	v_mov_b32_e32 v48, s5
	s_branch .LBB17_154
.LBB17_152:
	s_mov_b32 s5, -1
.LBB17_153:
	v_add_co_u32 v49, vcc_lo, v46, v66
	v_add_co_ci_u32_e32 v50, vcc_lo, v47, v67, vcc_lo
	flat_load_b32 v49, v[49:50]
	s_waitcnt vmcnt(0) lgkmcnt(0)
	v_mul_f32_e32 v51, s15, v49
	v_add_co_u32 v49, vcc_lo, v44, v66
	v_add_co_ci_u32_e32 v50, vcc_lo, v45, v67, vcc_lo
	s_delay_alu instid0(VALU_DEP_3)
	v_min_f32_e32 v48, v51, v48
	v_add_co_u32 v51, vcc_lo, v46, v64
	v_add_co_ci_u32_e32 v52, vcc_lo, v47, v65, vcc_lo
	global_store_b32 v[49:50], v48, off
	flat_load_b32 v48, v[51:52]
	s_waitcnt vmcnt(0) lgkmcnt(0)
	v_mul_f32_e32 v48, s15, v48
.LBB17_154:
	v_dual_add_f32 v49, v29, v41 :: v_dual_add_f32 v50, v28, v40
	v_dual_add_f32 v51, v25, v41 :: v_dual_add_f32 v52, v24, v40
	v_dual_add_f32 v53, v31, v43 :: v_dual_add_f32 v54, v30, v42
	s_delay_alu instid0(VALU_DEP_3) | instskip(NEXT) | instid1(VALU_DEP_3)
	v_min3_f32 v49, v50, v49, v101
	v_min3_f32 v50, v52, v51, v102
	v_dual_add_f32 v51, v27, v43 :: v_dual_add_f32 v52, v26, v42
	s_delay_alu instid0(VALU_DEP_1) | instskip(SKIP_1) | instid1(VALU_DEP_1)
	v_min3_f32 v51, v52, v51, v50
	v_min_f32_e32 v53, v54, v53
	v_min3_f32 v52, v48, v53, v49
	s_delay_alu instid0(VALU_DEP_3)
	v_max_f32_e32 v48, v51, v51
	v_add_co_u32 v49, vcc_lo, v44, v64
	v_add_co_ci_u32_e32 v50, vcc_lo, v45, v65, vcc_lo
	s_mov_b32 vcc_lo, s2
	global_store_b32 v[49:50], v52, off
	s_cbranch_vccz .LBB17_157
; %bb.155:
	v_add_co_u32 v49, vcc_lo, v44, v70
	v_min_f32_e32 v51, 0, v48
	v_add_co_ci_u32_e32 v50, vcc_lo, v45, v71, vcc_lo
	s_mov_b32 s5, 0
	global_store_b32 v[49:50], v51, off
	s_cbranch_execz .LBB17_158
; %bb.156:
	v_mov_b32_e32 v48, s5
	s_branch .LBB17_159
.LBB17_157:
	s_mov_b32 s5, -1
.LBB17_158:
	v_add_co_u32 v49, vcc_lo, v46, v70
	v_add_co_ci_u32_e32 v50, vcc_lo, v47, v71, vcc_lo
	flat_load_b32 v49, v[49:50]
	s_waitcnt vmcnt(0) lgkmcnt(0)
	v_mul_f32_e32 v51, s15, v49
	v_add_co_u32 v49, vcc_lo, v44, v70
	v_add_co_ci_u32_e32 v50, vcc_lo, v45, v71, vcc_lo
	s_delay_alu instid0(VALU_DEP_3)
	v_min_f32_e32 v48, v51, v48
	v_add_co_u32 v51, vcc_lo, v46, v68
	v_add_co_ci_u32_e32 v52, vcc_lo, v47, v69, vcc_lo
	global_store_b32 v[49:50], v48, off
	flat_load_b32 v48, v[51:52]
	s_waitcnt vmcnt(0) lgkmcnt(0)
	v_mul_f32_e32 v48, s15, v48
.LBB17_159:
	v_dual_add_f32 v49, v21, v41 :: v_dual_add_f32 v50, v20, v40
	v_dual_add_f32 v51, v17, v41 :: v_dual_add_f32 v52, v16, v40
	v_dual_add_f32 v53, v23, v43 :: v_dual_add_f32 v54, v22, v42
	s_delay_alu instid0(VALU_DEP_3) | instskip(NEXT) | instid1(VALU_DEP_3)
	v_min3_f32 v49, v50, v49, v99
	v_min3_f32 v50, v52, v51, v100
	v_dual_add_f32 v51, v19, v43 :: v_dual_add_f32 v52, v18, v42
	s_delay_alu instid0(VALU_DEP_1) | instskip(SKIP_1) | instid1(VALU_DEP_1)
	v_min3_f32 v51, v52, v51, v50
	v_min_f32_e32 v53, v54, v53
	v_min3_f32 v52, v48, v53, v49
	s_delay_alu instid0(VALU_DEP_3)
	v_max_f32_e32 v48, v51, v51
	;; [unrolled: 47-line block ×3, first 2 shown]
	v_add_co_u32 v49, vcc_lo, v44, v72
	v_add_co_ci_u32_e32 v50, vcc_lo, v45, v73, vcc_lo
	s_mov_b32 vcc_lo, s2
	global_store_b32 v[49:50], v52, off
	s_cbranch_vccz .LBB17_167
; %bb.165:
	v_add_co_u32 v49, vcc_lo, v44, v78
	v_min_f32_e32 v51, 0, v48
	v_add_co_ci_u32_e32 v50, vcc_lo, v45, v79, vcc_lo
	s_mov_b32 s5, 0
	global_store_b32 v[49:50], v51, off
	s_cbranch_execz .LBB17_168
; %bb.166:
	v_mov_b32_e32 v46, s5
	s_branch .LBB17_169
.LBB17_167:
	s_mov_b32 s5, -1
.LBB17_168:
	v_add_co_u32 v49, vcc_lo, v46, v78
	v_add_co_ci_u32_e32 v50, vcc_lo, v47, v79, vcc_lo
	flat_load_b32 v49, v[49:50]
	s_waitcnt vmcnt(0) lgkmcnt(0)
	v_mul_f32_e32 v51, s15, v49
	v_add_co_u32 v49, vcc_lo, v44, v78
	v_add_co_ci_u32_e32 v50, vcc_lo, v45, v79, vcc_lo
	v_add_co_u32 v46, vcc_lo, v46, v76
	s_delay_alu instid0(VALU_DEP_4)
	v_min_f32_e32 v48, v51, v48
	v_add_co_ci_u32_e32 v47, vcc_lo, v47, v77, vcc_lo
	global_store_b32 v[49:50], v48, off
	flat_load_b32 v46, v[46:47]
	s_waitcnt vmcnt(0) lgkmcnt(0)
	v_mul_f32_e32 v46, s15, v46
.LBB17_169:
	v_dual_add_f32 v47, v33, v37 :: v_dual_add_f32 v48, v32, v36
	v_dual_add_f32 v41, v1, v41 :: v_dual_add_f32 v40, v0, v40
	;; [unrolled: 1-line block ×3, first 2 shown]
	s_delay_alu instid0(VALU_DEP_3) | instskip(SKIP_1) | instid1(VALU_DEP_4)
	v_min3_f32 v47, v48, v47, v95
	v_dual_add_f32 v51, v34, v38 :: v_dual_add_nc_u32 v48, 0xc0, v111
	v_min3_f32 v49, v40, v41, v96
	s_delay_alu instid0(VALU_DEP_4) | instskip(SKIP_1) | instid1(VALU_DEP_4)
	v_min_f32_e32 v52, v42, v43
	v_add_f32_e32 v50, v35, v39
	v_mad_i64_i32 v[40:41], null, v48, s4, 0
	v_mad_i64_i32 v[42:43], null, v48, s3, 0
	s_delay_alu instid0(VALU_DEP_4)
	v_min3_f32 v49, v46, v52, v49
	v_add_co_u32 v46, vcc_lo, v44, v76
	v_min3_f32 v48, v51, v50, v47
	v_lshlrev_b64 v[40:41], 2, v[40:41]
	v_add_co_ci_u32_e32 v47, vcc_lo, v45, v77, vcc_lo
	v_lshlrev_b64 v[42:43], 2, v[42:43]
	s_delay_alu instid0(VALU_DEP_4) | instskip(NEXT) | instid1(VALU_DEP_4)
	v_max_f32_e32 v44, v48, v48
	v_add_co_u32 v40, vcc_lo, s0, v40
	v_add_co_ci_u32_e32 v41, vcc_lo, s1, v41, vcc_lo
	s_delay_alu instid0(VALU_DEP_4)
	v_add_co_u32 v42, vcc_lo, s6, v42
	v_add_co_ci_u32_e32 v43, vcc_lo, s7, v43, vcc_lo
	s_mov_b32 vcc_lo, s2
	global_store_b32 v[46:47], v49, off
	s_cbranch_vccz .LBB17_172
; %bb.170:
	v_add_co_u32 v45, vcc_lo, v40, v66
	v_min_f32_e32 v47, 0, v44
	v_add_co_ci_u32_e32 v46, vcc_lo, v41, v67, vcc_lo
	s_mov_b32 s5, 0
	global_store_b32 v[45:46], v47, off
	s_cbranch_execz .LBB17_173
; %bb.171:
	v_mov_b32_e32 v44, s5
	s_branch .LBB17_174
.LBB17_172:
	s_mov_b32 s5, -1
.LBB17_173:
	v_add_co_u32 v45, vcc_lo, v42, v66
	v_add_co_ci_u32_e32 v46, vcc_lo, v43, v67, vcc_lo
	flat_load_b32 v45, v[45:46]
	s_waitcnt vmcnt(0) lgkmcnt(0)
	v_mul_f32_e32 v47, s15, v45
	v_add_co_u32 v45, vcc_lo, v40, v66
	v_add_co_ci_u32_e32 v46, vcc_lo, v41, v67, vcc_lo
	s_delay_alu instid0(VALU_DEP_3)
	v_min_f32_e32 v44, v47, v44
	v_add_co_u32 v47, vcc_lo, v42, v64
	v_add_co_ci_u32_e32 v48, vcc_lo, v43, v65, vcc_lo
	global_store_b32 v[45:46], v44, off
	flat_load_b32 v44, v[47:48]
	s_waitcnt vmcnt(0) lgkmcnt(0)
	v_mul_f32_e32 v44, s15, v44
.LBB17_174:
	v_dual_add_f32 v45, v29, v37 :: v_dual_add_f32 v46, v28, v36
	v_dual_add_f32 v47, v25, v37 :: v_dual_add_f32 v48, v24, v36
	v_dual_add_f32 v49, v31, v39 :: v_dual_add_f32 v50, v30, v38
	s_delay_alu instid0(VALU_DEP_3) | instskip(NEXT) | instid1(VALU_DEP_3)
	v_min3_f32 v45, v46, v45, v93
	v_min3_f32 v46, v48, v47, v94
	v_dual_add_f32 v47, v27, v39 :: v_dual_add_f32 v48, v26, v38
	s_delay_alu instid0(VALU_DEP_1) | instskip(SKIP_1) | instid1(VALU_DEP_1)
	v_min3_f32 v47, v48, v47, v46
	v_min_f32_e32 v49, v50, v49
	v_min3_f32 v48, v44, v49, v45
	s_delay_alu instid0(VALU_DEP_3)
	v_max_f32_e32 v44, v47, v47
	v_add_co_u32 v45, vcc_lo, v40, v64
	v_add_co_ci_u32_e32 v46, vcc_lo, v41, v65, vcc_lo
	s_mov_b32 vcc_lo, s2
	global_store_b32 v[45:46], v48, off
	s_cbranch_vccz .LBB17_177
; %bb.175:
	v_add_co_u32 v45, vcc_lo, v40, v70
	v_min_f32_e32 v47, 0, v44
	v_add_co_ci_u32_e32 v46, vcc_lo, v41, v71, vcc_lo
	s_mov_b32 s5, 0
	global_store_b32 v[45:46], v47, off
	s_cbranch_execz .LBB17_178
; %bb.176:
	v_mov_b32_e32 v44, s5
	s_branch .LBB17_179
.LBB17_177:
	s_mov_b32 s5, -1
.LBB17_178:
	v_add_co_u32 v45, vcc_lo, v42, v70
	v_add_co_ci_u32_e32 v46, vcc_lo, v43, v71, vcc_lo
	flat_load_b32 v45, v[45:46]
	s_waitcnt vmcnt(0) lgkmcnt(0)
	v_mul_f32_e32 v47, s15, v45
	v_add_co_u32 v45, vcc_lo, v40, v70
	v_add_co_ci_u32_e32 v46, vcc_lo, v41, v71, vcc_lo
	s_delay_alu instid0(VALU_DEP_3)
	v_min_f32_e32 v44, v47, v44
	v_add_co_u32 v47, vcc_lo, v42, v68
	v_add_co_ci_u32_e32 v48, vcc_lo, v43, v69, vcc_lo
	global_store_b32 v[45:46], v44, off
	flat_load_b32 v44, v[47:48]
	s_waitcnt vmcnt(0) lgkmcnt(0)
	v_mul_f32_e32 v44, s15, v44
.LBB17_179:
	v_dual_add_f32 v45, v21, v37 :: v_dual_add_f32 v46, v20, v36
	v_dual_add_f32 v47, v17, v37 :: v_dual_add_f32 v48, v16, v36
	v_dual_add_f32 v49, v23, v39 :: v_dual_add_f32 v50, v22, v38
	s_delay_alu instid0(VALU_DEP_3) | instskip(NEXT) | instid1(VALU_DEP_3)
	v_min3_f32 v45, v46, v45, v91
	v_min3_f32 v46, v48, v47, v92
	v_dual_add_f32 v47, v19, v39 :: v_dual_add_f32 v48, v18, v38
	s_delay_alu instid0(VALU_DEP_1) | instskip(SKIP_1) | instid1(VALU_DEP_1)
	v_min3_f32 v47, v48, v47, v46
	v_min_f32_e32 v49, v50, v49
	v_min3_f32 v48, v44, v49, v45
	s_delay_alu instid0(VALU_DEP_3)
	v_max_f32_e32 v44, v47, v47
	;; [unrolled: 47-line block ×3, first 2 shown]
	v_add_co_u32 v45, vcc_lo, v40, v72
	v_add_co_ci_u32_e32 v46, vcc_lo, v41, v73, vcc_lo
	s_mov_b32 vcc_lo, s2
	global_store_b32 v[45:46], v48, off
	s_cbranch_vccz .LBB17_187
; %bb.185:
	v_add_co_u32 v45, vcc_lo, v40, v78
	v_min_f32_e32 v47, 0, v44
	v_add_co_ci_u32_e32 v46, vcc_lo, v41, v79, vcc_lo
	s_mov_b32 s5, 0
	global_store_b32 v[45:46], v47, off
	s_cbranch_execz .LBB17_188
; %bb.186:
	v_mov_b32_e32 v42, s5
	s_branch .LBB17_189
.LBB17_187:
	s_mov_b32 s5, -1
.LBB17_188:
	v_add_co_u32 v45, vcc_lo, v42, v78
	v_add_co_ci_u32_e32 v46, vcc_lo, v43, v79, vcc_lo
	flat_load_b32 v45, v[45:46]
	s_waitcnt vmcnt(0) lgkmcnt(0)
	v_mul_f32_e32 v47, s15, v45
	v_add_co_u32 v45, vcc_lo, v40, v78
	v_add_co_ci_u32_e32 v46, vcc_lo, v41, v79, vcc_lo
	v_add_co_u32 v42, vcc_lo, v42, v76
	s_delay_alu instid0(VALU_DEP_4)
	v_min_f32_e32 v44, v47, v44
	v_add_co_ci_u32_e32 v43, vcc_lo, v43, v77, vcc_lo
	global_store_b32 v[45:46], v44, off
	flat_load_b32 v42, v[42:43]
	s_waitcnt vmcnt(0) lgkmcnt(0)
	v_mul_f32_e32 v42, s15, v42
.LBB17_189:
	v_dual_add_f32 v37, v1, v37 :: v_dual_add_f32 v36, v0, v36
	s_waitcnt lgkmcnt(0)
	v_dual_add_f32 v33, v33, v5 :: v_dual_add_f32 v32, v32, v4
	v_dual_add_f32 v38, v2, v38 :: v_dual_add_nc_u32 v43, 0xe0, v111
	s_delay_alu instid0(VALU_DEP_3) | instskip(SKIP_1) | instid1(VALU_DEP_4)
	v_min3_f32 v36, v36, v37, v87
	v_add_f32_e32 v39, v3, v39
	v_min3_f32 v37, v32, v33, v88
	s_delay_alu instid0(VALU_DEP_4) | instskip(SKIP_3) | instid1(VALU_DEP_4)
	v_mad_i64_i32 v[32:33], null, v43, s4, 0
	v_dual_add_f32 v44, v35, v7 :: v_dual_add_f32 v45, v34, v6
	v_mad_i64_i32 v[34:35], null, v43, s3, 0
	v_min_f32_e32 v38, v38, v39
	v_lshlrev_b64 v[32:33], 2, v[32:33]
	s_delay_alu instid0(VALU_DEP_4)
	v_min3_f32 v39, v45, v44, v37
	v_add_co_u32 v37, vcc_lo, v40, v76
	v_lshlrev_b64 v[34:35], 2, v[34:35]
	v_min3_f32 v42, v42, v38, v36
	v_add_co_ci_u32_e32 v38, vcc_lo, v41, v77, vcc_lo
	v_add_co_u32 v32, vcc_lo, s0, v32
	v_add_co_ci_u32_e32 v33, vcc_lo, s1, v33, vcc_lo
	v_add_co_u32 v34, vcc_lo, s6, v34
	v_add_co_ci_u32_e32 v35, vcc_lo, s7, v35, vcc_lo
	v_max_f32_e32 v36, v39, v39
	s_mov_b32 vcc_lo, s2
	global_store_b32 v[37:38], v42, off
	s_cbranch_vccz .LBB17_192
; %bb.190:
	v_add_co_u32 v37, vcc_lo, v32, v66
	v_min_f32_e32 v39, 0, v36
	v_add_co_ci_u32_e32 v38, vcc_lo, v33, v67, vcc_lo
	s_mov_b32 s0, 0
	global_store_b32 v[37:38], v39, off
	s_cbranch_execz .LBB17_193
; %bb.191:
	v_mov_b32_e32 v36, s0
	s_branch .LBB17_194
.LBB17_192:
	s_mov_b32 s0, -1
.LBB17_193:
	v_add_co_u32 v37, vcc_lo, v34, v66
	v_add_co_ci_u32_e32 v38, vcc_lo, v35, v67, vcc_lo
	flat_load_b32 v37, v[37:38]
	s_waitcnt vmcnt(0) lgkmcnt(0)
	v_mul_f32_e32 v39, s15, v37
	v_add_co_u32 v37, vcc_lo, v32, v66
	v_add_co_ci_u32_e32 v38, vcc_lo, v33, v67, vcc_lo
	s_delay_alu instid0(VALU_DEP_3)
	v_min_f32_e32 v36, v39, v36
	v_add_co_u32 v39, vcc_lo, v34, v64
	v_add_co_ci_u32_e32 v40, vcc_lo, v35, v65, vcc_lo
	global_store_b32 v[37:38], v36, off
	flat_load_b32 v36, v[39:40]
	s_waitcnt vmcnt(0) lgkmcnt(0)
	v_mul_f32_e32 v36, s15, v36
.LBB17_194:
	v_dual_add_f32 v25, v25, v5 :: v_dual_add_f32 v24, v24, v4
	v_dual_add_f32 v29, v29, v5 :: v_dual_add_f32 v28, v28, v4
	v_dual_add_f32 v31, v31, v7 :: v_dual_add_f32 v30, v30, v6
	s_delay_alu instid0(VALU_DEP_3) | instskip(SKIP_1) | instid1(VALU_DEP_4)
	v_min3_f32 v24, v24, v25, v85
	v_dual_add_f32 v25, v27, v7 :: v_dual_add_f32 v26, v26, v6
	v_min3_f32 v28, v28, v29, v86
	s_delay_alu instid0(VALU_DEP_2) | instskip(SKIP_3) | instid1(VALU_DEP_4)
	v_min3_f32 v24, v26, v25, v24
	v_min_f32_e32 v27, v30, v31
	v_add_co_u32 v25, vcc_lo, v32, v64
	v_add_co_ci_u32_e32 v26, vcc_lo, v33, v65, vcc_lo
	v_max_f32_e32 v24, v24, v24
	s_delay_alu instid0(VALU_DEP_4)
	v_min3_f32 v27, v36, v27, v28
	s_mov_b32 vcc_lo, s2
	global_store_b32 v[25:26], v27, off
	s_cbranch_vccz .LBB17_197
; %bb.195:
	v_add_co_u32 v25, vcc_lo, v32, v70
	v_min_f32_e32 v27, 0, v24
	v_add_co_ci_u32_e32 v26, vcc_lo, v33, v71, vcc_lo
	s_mov_b32 s0, 0
	global_store_b32 v[25:26], v27, off
	s_cbranch_execz .LBB17_198
; %bb.196:
	v_mov_b32_e32 v24, s0
	s_branch .LBB17_199
.LBB17_197:
	s_mov_b32 s0, -1
.LBB17_198:
	v_add_co_u32 v25, vcc_lo, v34, v70
	v_add_co_ci_u32_e32 v26, vcc_lo, v35, v71, vcc_lo
	flat_load_b32 v25, v[25:26]
	s_waitcnt vmcnt(0) lgkmcnt(0)
	v_mul_f32_e32 v27, s15, v25
	v_add_co_u32 v25, vcc_lo, v32, v70
	v_add_co_ci_u32_e32 v26, vcc_lo, v33, v71, vcc_lo
	s_delay_alu instid0(VALU_DEP_3)
	v_min_f32_e32 v24, v27, v24
	v_add_co_u32 v27, vcc_lo, v34, v68
	v_add_co_ci_u32_e32 v28, vcc_lo, v35, v69, vcc_lo
	global_store_b32 v[25:26], v24, off
	flat_load_b32 v24, v[27:28]
	s_waitcnt vmcnt(0) lgkmcnt(0)
	v_mul_f32_e32 v24, s15, v24
.LBB17_199:
	v_dual_add_f32 v17, v17, v5 :: v_dual_add_f32 v16, v16, v4
	v_dual_add_f32 v21, v21, v5 :: v_dual_add_f32 v20, v20, v4
	v_dual_add_f32 v23, v23, v7 :: v_dual_add_f32 v22, v22, v6
	s_delay_alu instid0(VALU_DEP_3) | instskip(SKIP_1) | instid1(VALU_DEP_4)
	v_min3_f32 v16, v16, v17, v84
	v_dual_add_f32 v17, v19, v7 :: v_dual_add_f32 v18, v18, v6
	v_min3_f32 v20, v20, v21, v83
	s_delay_alu instid0(VALU_DEP_2) | instskip(SKIP_3) | instid1(VALU_DEP_4)
	v_min3_f32 v16, v18, v17, v16
	v_min_f32_e32 v19, v22, v23
	v_add_co_u32 v17, vcc_lo, v32, v68
	v_add_co_ci_u32_e32 v18, vcc_lo, v33, v69, vcc_lo
	v_max_f32_e32 v16, v16, v16
	s_delay_alu instid0(VALU_DEP_4)
	v_min3_f32 v19, v24, v19, v20
	;; [unrolled: 47-line block ×3, first 2 shown]
	s_mov_b32 vcc_lo, s2
	global_store_b32 v[9:10], v11, off
	s_cbranch_vccz .LBB17_207
; %bb.205:
	v_add_co_u32 v9, vcc_lo, v32, v78
	v_min_f32_e32 v11, 0, v8
	v_add_co_ci_u32_e32 v10, vcc_lo, v33, v79, vcc_lo
	s_mov_b32 s0, 0
	global_store_b32 v[9:10], v11, off
	s_cbranch_execz .LBB17_208
; %bb.206:
	v_mov_b32_e32 v8, s0
	s_branch .LBB17_209
.LBB17_207:
	s_mov_b32 s0, -1
.LBB17_208:
	v_add_co_u32 v9, vcc_lo, v34, v78
	v_add_co_ci_u32_e32 v10, vcc_lo, v35, v79, vcc_lo
	flat_load_b32 v9, v[9:10]
	s_waitcnt vmcnt(0) lgkmcnt(0)
	v_mul_f32_e32 v11, s15, v9
	v_add_co_u32 v9, vcc_lo, v32, v78
	v_add_co_ci_u32_e32 v10, vcc_lo, v33, v79, vcc_lo
	s_delay_alu instid0(VALU_DEP_3)
	v_min_f32_e32 v8, v11, v8
	v_add_co_u32 v11, vcc_lo, v34, v76
	v_add_co_ci_u32_e32 v12, vcc_lo, v35, v77, vcc_lo
	global_store_b32 v[9:10], v8, off
	flat_load_b32 v8, v[11:12]
	s_waitcnt vmcnt(0) lgkmcnt(0)
	v_mul_f32_e32 v8, s15, v8
.LBB17_209:
	v_dual_add_f32 v3, v3, v7 :: v_dual_add_f32 v2, v2, v6
	v_dual_add_f32 v1, v1, v5 :: v_dual_add_f32 v0, v0, v4
	s_delay_alu instid0(VALU_DEP_2) | instskip(NEXT) | instid1(VALU_DEP_2)
	v_min_f32_e32 v2, v2, v3
	v_min3_f32 v0, v0, v1, v80
	s_delay_alu instid0(VALU_DEP_1)
	v_min3_f32 v2, v8, v2, v0
	v_add_co_u32 v0, vcc_lo, v32, v76
	v_add_co_ci_u32_e32 v1, vcc_lo, v33, v77, vcc_lo
	global_store_b32 v[0:1], v2, off
	s_nop 0
	s_sendmsg sendmsg(MSG_DEALLOC_VGPRS)
	s_endpgm
	.section	.rodata,"a",@progbits
	.p2align	6, 0x0
	.amdhsa_kernel _ZN12_GLOBAL__N_120geam_min_plus_kernelIf15HIP_vector_typeIfLj2EEfLi8ELi32ELi64ELi256ELi4ELi64ELi4ELi64ELi4ELc78ELc84ELb0ELb0ELb1EfKPKfKPfEEviiiT16_PT17_ilSA_ilS8_SA_ilPT18_ili26rocblas_geam_ex_operation_
		.amdhsa_group_segment_fixed_size 10240
		.amdhsa_private_segment_fixed_size 68
		.amdhsa_kernarg_size 128
		.amdhsa_user_sgpr_count 14
		.amdhsa_user_sgpr_dispatch_ptr 0
		.amdhsa_user_sgpr_queue_ptr 0
		.amdhsa_user_sgpr_kernarg_segment_ptr 1
		.amdhsa_user_sgpr_dispatch_id 0
		.amdhsa_user_sgpr_private_segment_size 0
		.amdhsa_wavefront_size32 1
		.amdhsa_uses_dynamic_stack 0
		.amdhsa_enable_private_segment 1
		.amdhsa_system_sgpr_workgroup_id_x 1
		.amdhsa_system_sgpr_workgroup_id_y 0
		.amdhsa_system_sgpr_workgroup_id_z 1
		.amdhsa_system_sgpr_workgroup_info 0
		.amdhsa_system_vgpr_workitem_id 1
		.amdhsa_next_free_vgpr 256
		.amdhsa_next_free_sgpr 25
		.amdhsa_reserve_vcc 1
		.amdhsa_float_round_mode_32 0
		.amdhsa_float_round_mode_16_64 0
		.amdhsa_float_denorm_mode_32 3
		.amdhsa_float_denorm_mode_16_64 3
		.amdhsa_dx10_clamp 1
		.amdhsa_ieee_mode 1
		.amdhsa_fp16_overflow 0
		.amdhsa_workgroup_processor_mode 1
		.amdhsa_memory_ordered 1
		.amdhsa_forward_progress 0
		.amdhsa_shared_vgpr_count 0
		.amdhsa_exception_fp_ieee_invalid_op 0
		.amdhsa_exception_fp_denorm_src 0
		.amdhsa_exception_fp_ieee_div_zero 0
		.amdhsa_exception_fp_ieee_overflow 0
		.amdhsa_exception_fp_ieee_underflow 0
		.amdhsa_exception_fp_ieee_inexact 0
		.amdhsa_exception_int_div_zero 0
	.end_amdhsa_kernel
	.section	.text._ZN12_GLOBAL__N_120geam_min_plus_kernelIf15HIP_vector_typeIfLj2EEfLi8ELi32ELi64ELi256ELi4ELi64ELi4ELi64ELi4ELc78ELc84ELb0ELb0ELb1EfKPKfKPfEEviiiT16_PT17_ilSA_ilS8_SA_ilPT18_ili26rocblas_geam_ex_operation_,"axG",@progbits,_ZN12_GLOBAL__N_120geam_min_plus_kernelIf15HIP_vector_typeIfLj2EEfLi8ELi32ELi64ELi256ELi4ELi64ELi4ELi64ELi4ELc78ELc84ELb0ELb0ELb1EfKPKfKPfEEviiiT16_PT17_ilSA_ilS8_SA_ilPT18_ili26rocblas_geam_ex_operation_,comdat
.Lfunc_end17:
	.size	_ZN12_GLOBAL__N_120geam_min_plus_kernelIf15HIP_vector_typeIfLj2EEfLi8ELi32ELi64ELi256ELi4ELi64ELi4ELi64ELi4ELc78ELc84ELb0ELb0ELb1EfKPKfKPfEEviiiT16_PT17_ilSA_ilS8_SA_ilPT18_ili26rocblas_geam_ex_operation_, .Lfunc_end17-_ZN12_GLOBAL__N_120geam_min_plus_kernelIf15HIP_vector_typeIfLj2EEfLi8ELi32ELi64ELi256ELi4ELi64ELi4ELi64ELi4ELc78ELc84ELb0ELb0ELb1EfKPKfKPfEEviiiT16_PT17_ilSA_ilS8_SA_ilPT18_ili26rocblas_geam_ex_operation_
                                        ; -- End function
	.section	.AMDGPU.csdata,"",@progbits
; Kernel info:
; codeLenInByte = 18188
; NumSgprs: 27
; NumVgprs: 256
; ScratchSize: 68
; MemoryBound: 0
; FloatMode: 240
; IeeeMode: 1
; LDSByteSize: 10240 bytes/workgroup (compile time only)
; SGPRBlocks: 3
; VGPRBlocks: 31
; NumSGPRsForWavesPerEU: 27
; NumVGPRsForWavesPerEU: 256
; Occupancy: 5
; WaveLimiterHint : 1
; COMPUTE_PGM_RSRC2:SCRATCH_EN: 1
; COMPUTE_PGM_RSRC2:USER_SGPR: 14
; COMPUTE_PGM_RSRC2:TRAP_HANDLER: 0
; COMPUTE_PGM_RSRC2:TGID_X_EN: 1
; COMPUTE_PGM_RSRC2:TGID_Y_EN: 0
; COMPUTE_PGM_RSRC2:TGID_Z_EN: 1
; COMPUTE_PGM_RSRC2:TIDIG_COMP_CNT: 1
	.section	.text._ZN12_GLOBAL__N_120geam_min_plus_kernelIf15HIP_vector_typeIfLj2EEfLi8ELi32ELi64ELi256ELi4ELi64ELi4ELi64ELi4ELc78ELc84ELb0ELb1ELb1EPKfKS4_KPfEEviiiT16_PT17_ilSA_ilS8_SA_ilPT18_ili26rocblas_geam_ex_operation_,"axG",@progbits,_ZN12_GLOBAL__N_120geam_min_plus_kernelIf15HIP_vector_typeIfLj2EEfLi8ELi32ELi64ELi256ELi4ELi64ELi4ELi64ELi4ELc78ELc84ELb0ELb1ELb1EPKfKS4_KPfEEviiiT16_PT17_ilSA_ilS8_SA_ilPT18_ili26rocblas_geam_ex_operation_,comdat
	.globl	_ZN12_GLOBAL__N_120geam_min_plus_kernelIf15HIP_vector_typeIfLj2EEfLi8ELi32ELi64ELi256ELi4ELi64ELi4ELi64ELi4ELc78ELc84ELb0ELb1ELb1EPKfKS4_KPfEEviiiT16_PT17_ilSA_ilS8_SA_ilPT18_ili26rocblas_geam_ex_operation_ ; -- Begin function _ZN12_GLOBAL__N_120geam_min_plus_kernelIf15HIP_vector_typeIfLj2EEfLi8ELi32ELi64ELi256ELi4ELi64ELi4ELi64ELi4ELc78ELc84ELb0ELb1ELb1EPKfKS4_KPfEEviiiT16_PT17_ilSA_ilS8_SA_ilPT18_ili26rocblas_geam_ex_operation_
	.p2align	8
	.type	_ZN12_GLOBAL__N_120geam_min_plus_kernelIf15HIP_vector_typeIfLj2EEfLi8ELi32ELi64ELi256ELi4ELi64ELi4ELi64ELi4ELc78ELc84ELb0ELb1ELb1EPKfKS4_KPfEEviiiT16_PT17_ilSA_ilS8_SA_ilPT18_ili26rocblas_geam_ex_operation_,@function
_ZN12_GLOBAL__N_120geam_min_plus_kernelIf15HIP_vector_typeIfLj2EEfLi8ELi32ELi64ELi256ELi4ELi64ELi4ELi64ELi4ELc78ELc84ELb0ELb1ELb1EPKfKS4_KPfEEviiiT16_PT17_ilSA_ilS8_SA_ilPT18_ili26rocblas_geam_ex_operation_: ; @_ZN12_GLOBAL__N_120geam_min_plus_kernelIf15HIP_vector_typeIfLj2EEfLi8ELi32ELi64ELi256ELi4ELi64ELi4ELi64ELi4ELc78ELc84ELb0ELb1ELb1EPKfKS4_KPfEEviiiT16_PT17_ilSA_ilS8_SA_ilPT18_ili26rocblas_geam_ex_operation_
; %bb.0:
	s_clause 0x1
	s_load_b128 s[16:19], s[0:1], 0x10
	s_load_b128 s[4:7], s[0:1], 0x28
	s_mov_b32 s2, s15
	s_mov_b32 s3, 0
	s_mov_b64 s[22:23], 0
	s_lshl_b64 s[20:21], s[2:3], 2
	s_waitcnt lgkmcnt(0)
	s_add_u32 s8, s16, s20
	s_addc_u32 s9, s17, s21
	s_load_b32 s25, s[8:9], 0x0
	s_clause 0x1
	s_load_b128 s[8:11], s[0:1], 0x40
	s_load_b64 s[12:13], s[0:1], 0x50
	s_waitcnt lgkmcnt(0)
	v_cmp_eq_f32_e64 s26, s25, 0
	v_cmp_neq_f32_e64 s16, s25, 0
	s_add_u32 s10, s10, s20
	s_addc_u32 s11, s11, s21
	s_mov_b64 s[20:21], 0
	s_and_b32 vcc_lo, exec_lo, s26
	s_cbranch_vccnz .LBB18_2
; %bb.1:
	s_lshl_b64 s[22:23], s[2:3], 3
	s_delay_alu instid0(SALU_CYCLE_1)
	s_add_u32 s18, s18, s22
	s_addc_u32 s19, s19, s23
	s_lshl_b64 s[4:5], s[4:5], 2
	s_load_b64 s[18:19], s[18:19], 0x0
	s_waitcnt lgkmcnt(0)
	s_add_u32 s22, s18, s4
	s_addc_u32 s23, s19, s5
.LBB18_2:
	s_load_b32 s15, s[10:11], 0x0
	s_and_not1_b32 vcc_lo, exec_lo, s16
	s_cbranch_vccnz .LBB18_4
; %bb.3:
	s_lshl_b64 s[4:5], s[2:3], 3
	s_delay_alu instid0(SALU_CYCLE_1)
	s_add_u32 s4, s6, s4
	s_addc_u32 s5, s7, s5
	s_lshl_b64 s[6:7], s[8:9], 2
	s_load_b64 s[4:5], s[4:5], 0x0
	s_waitcnt lgkmcnt(0)
	s_add_u32 s20, s4, s6
	s_addc_u32 s21, s5, s7
.LBB18_4:
	s_load_b128 s[4:7], s[0:1], 0x60
	s_waitcnt lgkmcnt(0)
	v_cmp_eq_f32_e64 s8, s15, 0
	v_cmp_neq_f32_e64 s24, s15, 0
	s_delay_alu instid0(VALU_DEP_2)
	s_and_b32 vcc_lo, exec_lo, s8
	s_cbranch_vccnz .LBB18_6
; %bb.5:
	s_lshl_b64 s[8:9], s[2:3], 3
	s_delay_alu instid0(SALU_CYCLE_1)
	s_add_u32 s8, s12, s8
	s_addc_u32 s9, s13, s9
	s_lshl_b64 s[4:5], s[4:5], 2
	s_load_b64 s[8:9], s[8:9], 0x0
	s_waitcnt lgkmcnt(0)
	s_add_u32 s10, s8, s4
	s_addc_u32 s11, s9, s5
	s_branch .LBB18_7
.LBB18_6:
	s_mov_b64 s[10:11], 0
.LBB18_7:
	s_clause 0x1
	s_load_b32 s8, s[0:1], 0x20
	s_load_b128 s[16:19], s[0:1], 0x0
	s_lshl_b64 s[2:3], s[2:3], 3
	v_and_b32_e32 v24, 0x3ff, v0
	v_bfe_u32 v25, v0, 10, 10
	s_waitcnt lgkmcnt(0)
	s_ashr_i32 s9, s8, 31
	s_add_u32 s4, s6, s2
	s_addc_u32 s5, s7, s3
	s_add_i32 s2, s16, -1
	s_delay_alu instid0(SALU_CYCLE_1) | instskip(NEXT) | instid1(SALU_CYCLE_1)
	s_ashr_i32 s3, s2, 31
	s_lshr_b32 s3, s3, 26
	s_delay_alu instid0(SALU_CYCLE_1) | instskip(NEXT) | instid1(SALU_CYCLE_1)
	s_add_i32 s3, s2, s3
	s_ashr_i32 s3, s3, 6
	s_delay_alu instid0(SALU_CYCLE_1) | instskip(SKIP_2) | instid1(VALU_DEP_1)
	s_add_i32 s6, s3, 1
	s_not_b32 s3, s3
	v_cvt_f32_u32_e32 v1, s6
	v_rcp_iflag_f32_e32 v1, v1
	s_waitcnt_depctr 0xfff
	v_mul_f32_e32 v1, 0x4f7ffffe, v1
	s_delay_alu instid0(VALU_DEP_1) | instskip(NEXT) | instid1(VALU_DEP_1)
	v_cvt_u32_f32_e32 v1, v1
	v_readfirstlane_b32 s7, v1
	v_lshl_add_u32 v1, v25, 3, v24
	s_delay_alu instid0(VALU_DEP_2) | instskip(NEXT) | instid1(VALU_DEP_1)
	s_mul_i32 s3, s3, s7
	v_and_b32_e32 v0, 63, v1
	s_mul_hi_u32 s3, s7, s3
	v_lshrrev_b32_e32 v72, 6, v1
	s_add_i32 s7, s7, s3
	s_delay_alu instid0(SALU_CYCLE_1) | instskip(NEXT) | instid1(SALU_CYCLE_1)
	s_mul_hi_u32 s3, s14, s7
	s_mul_i32 s7, s3, s6
	s_add_i32 s12, s3, 1
	s_sub_i32 s7, s14, s7
	s_delay_alu instid0(SALU_CYCLE_1)
	s_sub_i32 s13, s7, s6
	s_cmp_ge_u32 s7, s6
	s_cselect_b32 s3, s12, s3
	s_cselect_b32 s7, s13, s7
	s_add_i32 s12, s3, 1
	s_cmp_ge_u32 s7, s6
	s_cselect_b32 s3, s12, s3
	s_load_b64 s[12:13], s[4:5], 0x0
	s_mul_i32 s6, s3, s6
	s_add_i32 s27, s18, -1
	s_sub_i32 s6, s14, s6
	v_min_i32_e32 v2, s27, v72
	s_lshl_b32 s14, s6, 6
	v_cmp_le_i32_e64 s6, s18, v72
	v_or_b32_e32 v1, s14, v0
	s_delay_alu instid0(VALU_DEP_3) | instskip(NEXT) | instid1(VALU_DEP_2)
	v_ashrrev_i32_e32 v3, 31, v2
	v_cmp_le_i32_e32 vcc_lo, s16, v1
	v_min_i32_e32 v20, s2, v1
                                        ; implicit-def: $vgpr1
	s_or_b32 s4, vcc_lo, s6
	s_delay_alu instid0(VALU_DEP_1) | instskip(SKIP_1) | instid1(SALU_CYCLE_1)
	v_ashrrev_i32_e32 v21, 31, v20
	s_or_b32 s2, s26, s4
	s_xor_b32 s2, s2, -1
	s_delay_alu instid0(SALU_CYCLE_1) | instskip(NEXT) | instid1(SALU_CYCLE_1)
	s_and_saveexec_b32 s5, s2
	s_xor_b32 s5, exec_lo, s5
	s_cbranch_execz .LBB18_9
; %bb.8:
	v_mad_i64_i32 v[4:5], null, s8, v2, 0
	v_lshlrev_b64 v[6:7], 2, v[20:21]
	s_delay_alu instid0(VALU_DEP_2) | instskip(NEXT) | instid1(VALU_DEP_1)
	v_lshlrev_b64 v[4:5], 2, v[4:5]
	v_add_co_u32 v1, s2, s22, v4
	s_delay_alu instid0(VALU_DEP_1) | instskip(NEXT) | instid1(VALU_DEP_2)
	v_add_co_ci_u32_e64 v5, s2, s23, v5, s2
	v_add_co_u32 v4, s2, v1, v6
	s_delay_alu instid0(VALU_DEP_1)
	v_add_co_ci_u32_e64 v5, s2, v5, v7, s2
	flat_load_b32 v1, v[4:5]
	s_waitcnt vmcnt(0) lgkmcnt(0)
	v_mul_f32_e32 v1, s25, v1
.LBB18_9:
	s_and_not1_saveexec_b32 s2, s5
; %bb.10:
	v_cndmask_b32_e64 v1, 0, 0x7f7fffff, s4
; %bb.11:
	s_or_b32 exec_lo, exec_lo, s2
	s_load_b32 s28, s[0:1], 0x38
	s_lshl_b32 s19, s3, 8
	s_delay_alu instid0(SALU_CYCLE_1) | instskip(NEXT) | instid1(VALU_DEP_1)
	v_or_b32_e32 v22, s19, v0
	v_cmp_le_i32_e64 s2, s17, v22
	v_ashrrev_i32_e32 v23, 31, v22
	s_delay_alu instid0(VALU_DEP_2)
	s_or_b32 s4, s2, s6
	s_waitcnt lgkmcnt(0)
	s_ashr_i32 s29, s28, 31
	v_mul_lo_u32 v5, v3, s28
	v_mad_u64_u32 v[3:4], null, v2, s28, 0
	v_mul_lo_u32 v2, v2, s29
	s_delay_alu instid0(VALU_DEP_1) | instskip(SKIP_1) | instid1(VALU_DEP_2)
	v_add3_u32 v4, v4, v2, v5
	v_cndmask_b32_e64 v2, 0, 0x7f7fffff, s4
	v_lshlrev_b64 v[3:4], 2, v[3:4]
	s_delay_alu instid0(VALU_DEP_1) | instskip(NEXT) | instid1(VALU_DEP_1)
	v_add_co_u32 v6, s3, s20, v3
	v_add_co_ci_u32_e64 v7, s3, s21, v4, s3
	s_or_b32 s3, s26, s4
	s_delay_alu instid0(SALU_CYCLE_1) | instskip(NEXT) | instid1(SALU_CYCLE_1)
	s_xor_b32 s3, s3, -1
	s_and_saveexec_b32 s4, s3
	s_cbranch_execz .LBB18_13
; %bb.12:
	v_lshlrev_b64 v[2:3], 2, v[22:23]
	s_delay_alu instid0(VALU_DEP_1) | instskip(NEXT) | instid1(VALU_DEP_1)
	v_add_co_u32 v2, s3, v6, v2
	v_add_co_ci_u32_e64 v3, s3, v7, v3, s3
	flat_load_b32 v2, v[2:3]
	s_waitcnt vmcnt(0) lgkmcnt(0)
	v_mul_f32_e32 v2, s25, v2
.LBB18_13:
	s_or_b32 exec_lo, exec_lo, s4
	v_or_b32_e32 v3, 64, v22
	s_delay_alu instid0(VALU_DEP_1) | instskip(NEXT) | instid1(VALU_DEP_1)
	v_cmp_le_i32_e64 s3, s17, v3
	s_or_b32 s4, s3, s6
	s_delay_alu instid0(SALU_CYCLE_1) | instskip(SKIP_1) | instid1(SALU_CYCLE_1)
	v_cndmask_b32_e64 v3, 0, 0x7f7fffff, s4
	s_or_b32 s4, s26, s4
	s_xor_b32 s4, s4, -1
	s_delay_alu instid0(SALU_CYCLE_1)
	s_and_saveexec_b32 s5, s4
	s_cbranch_execz .LBB18_15
; %bb.14:
	v_lshlrev_b64 v[3:4], 2, v[22:23]
	s_delay_alu instid0(VALU_DEP_1) | instskip(NEXT) | instid1(VALU_DEP_1)
	v_add_co_u32 v3, s4, v6, v3
	v_add_co_ci_u32_e64 v4, s4, v7, v4, s4
	flat_load_b32 v3, v[3:4] offset:256
	s_waitcnt vmcnt(0) lgkmcnt(0)
	v_mul_f32_e32 v3, s25, v3
.LBB18_15:
	s_or_b32 exec_lo, exec_lo, s5
	v_or_b32_e32 v4, 0x80, v22
	s_delay_alu instid0(VALU_DEP_1) | instskip(NEXT) | instid1(VALU_DEP_1)
	v_cmp_le_i32_e64 s4, s17, v4
	s_or_b32 s5, s4, s6
	s_delay_alu instid0(SALU_CYCLE_1) | instskip(SKIP_1) | instid1(SALU_CYCLE_1)
	v_cndmask_b32_e64 v4, 0, 0x7f7fffff, s5
	s_or_b32 s5, s26, s5
	s_xor_b32 s5, s5, -1
	s_delay_alu instid0(SALU_CYCLE_1)
	s_and_saveexec_b32 s7, s5
	s_cbranch_execz .LBB18_17
; %bb.16:
	v_lshlrev_b64 v[4:5], 2, v[22:23]
	s_delay_alu instid0(VALU_DEP_1) | instskip(NEXT) | instid1(VALU_DEP_1)
	v_add_co_u32 v4, s5, v6, v4
	v_add_co_ci_u32_e64 v5, s5, v7, v5, s5
	flat_load_b32 v4, v[4:5] offset:512
	s_waitcnt vmcnt(0) lgkmcnt(0)
	v_mul_f32_e32 v4, s25, v4
.LBB18_17:
	;; [unrolled: 21-line block ×3, first 2 shown]
	s_or_b32 exec_lo, exec_lo, s7
	v_add_nc_u32_e32 v6, 4, v72
                                        ; implicit-def: $vgpr8
                                        ; kill: killed $vgpr8
	s_delay_alu instid0(VALU_DEP_1) | instskip(SKIP_1) | instid1(VALU_DEP_2)
	v_cmp_le_i32_e64 s6, s18, v6
	v_min_i32_e32 v6, s27, v6
	s_or_b32 s30, vcc_lo, s6
	s_delay_alu instid0(VALU_DEP_1) | instskip(SKIP_1) | instid1(SALU_CYCLE_1)
	v_ashrrev_i32_e32 v7, 31, v6
	s_or_b32 s7, s26, s30
	s_xor_b32 s7, s7, -1
	s_delay_alu instid0(SALU_CYCLE_1) | instskip(NEXT) | instid1(SALU_CYCLE_1)
	s_and_saveexec_b32 s31, s7
	s_xor_b32 s31, exec_lo, s31
	s_cbranch_execz .LBB18_21
; %bb.20:
	v_mad_i64_i32 v[8:9], null, s8, v6, 0
	v_lshlrev_b64 v[10:11], 2, v[20:21]
	s_delay_alu instid0(VALU_DEP_2) | instskip(NEXT) | instid1(VALU_DEP_1)
	v_lshlrev_b64 v[8:9], 2, v[8:9]
	v_add_co_u32 v8, s7, s22, v8
	s_delay_alu instid0(VALU_DEP_1) | instskip(NEXT) | instid1(VALU_DEP_2)
	v_add_co_ci_u32_e64 v9, s7, s23, v9, s7
	v_add_co_u32 v8, s7, v8, v10
	s_delay_alu instid0(VALU_DEP_1)
	v_add_co_ci_u32_e64 v9, s7, v9, v11, s7
	flat_load_b32 v8, v[8:9]
	s_waitcnt vmcnt(0) lgkmcnt(0)
	v_mul_f32_e32 v8, s25, v8
	scratch_store_b32 off, v8, off          ; 4-byte Folded Spill
.LBB18_21:
	s_and_not1_saveexec_b32 s7, s31
	s_cbranch_execz .LBB18_23
; %bb.22:
	v_cndmask_b32_e64 v8, 0, 0x7f7fffff, s30
	scratch_store_b32 off, v8, off          ; 4-byte Folded Spill
.LBB18_23:
	s_or_b32 exec_lo, exec_lo, s7
	v_mul_lo_u32 v9, v7, s28
	v_mul_lo_u32 v10, v6, s29
	v_mad_u64_u32 v[7:8], null, v6, s28, 0
	s_delay_alu instid0(VALU_DEP_1) | instskip(NEXT) | instid1(VALU_DEP_1)
	v_add3_u32 v8, v8, v10, v9
	v_lshlrev_b64 v[6:7], 2, v[7:8]
	s_delay_alu instid0(VALU_DEP_1) | instskip(NEXT) | instid1(VALU_DEP_1)
	v_add_co_u32 v6, s7, s20, v6
	v_add_co_ci_u32_e64 v7, s7, s21, v7, s7
	s_or_b32 s7, s2, s6
	s_delay_alu instid0(SALU_CYCLE_1) | instskip(SKIP_1) | instid1(SALU_CYCLE_1)
	v_cndmask_b32_e64 v150, 0, 0x7f7fffff, s7
	s_or_b32 s7, s26, s7
	s_xor_b32 s7, s7, -1
	s_delay_alu instid0(SALU_CYCLE_1)
	s_and_saveexec_b32 s29, s7
	s_cbranch_execz .LBB18_25
; %bb.24:
	v_lshlrev_b64 v[8:9], 2, v[22:23]
	s_delay_alu instid0(VALU_DEP_1) | instskip(NEXT) | instid1(VALU_DEP_1)
	v_add_co_u32 v8, s7, v6, v8
	v_add_co_ci_u32_e64 v9, s7, v7, v9, s7
	flat_load_b32 v8, v[8:9]
	s_waitcnt vmcnt(0) lgkmcnt(0)
	v_mul_f32_e32 v150, s25, v8
.LBB18_25:
	s_or_b32 exec_lo, exec_lo, s29
	s_or_b32 s7, s3, s6
	s_delay_alu instid0(SALU_CYCLE_1) | instskip(SKIP_1) | instid1(SALU_CYCLE_1)
	v_cndmask_b32_e64 v26, 0, 0x7f7fffff, s7
	s_or_b32 s7, s26, s7
	s_xor_b32 s7, s7, -1
	s_delay_alu instid0(SALU_CYCLE_1)
	s_and_saveexec_b32 s29, s7
	s_cbranch_execz .LBB18_27
; %bb.26:
	v_lshlrev_b64 v[8:9], 2, v[22:23]
	s_delay_alu instid0(VALU_DEP_1) | instskip(NEXT) | instid1(VALU_DEP_1)
	v_add_co_u32 v8, s7, v6, v8
	v_add_co_ci_u32_e64 v9, s7, v7, v9, s7
	flat_load_b32 v8, v[8:9] offset:256
	s_waitcnt vmcnt(0) lgkmcnt(0)
	v_mul_f32_e32 v26, s25, v8
.LBB18_27:
	s_or_b32 exec_lo, exec_lo, s29
	s_or_b32 s7, s4, s6
	s_delay_alu instid0(SALU_CYCLE_1) | instskip(SKIP_1) | instid1(SALU_CYCLE_1)
	v_cndmask_b32_e64 v27, 0, 0x7f7fffff, s7
	s_or_b32 s7, s26, s7
	s_xor_b32 s7, s7, -1
	s_delay_alu instid0(SALU_CYCLE_1)
	s_and_saveexec_b32 s29, s7
	s_cbranch_execz .LBB18_29
; %bb.28:
	v_lshlrev_b64 v[8:9], 2, v[22:23]
	s_delay_alu instid0(VALU_DEP_1) | instskip(NEXT) | instid1(VALU_DEP_1)
	v_add_co_u32 v8, s7, v6, v8
	v_add_co_ci_u32_e64 v9, s7, v7, v9, s7
	flat_load_b32 v8, v[8:9] offset:512
	s_waitcnt vmcnt(0) lgkmcnt(0)
	v_mul_f32_e32 v27, s25, v8
.LBB18_29:
	;; [unrolled: 18-line block ×3, first 2 shown]
	s_or_b32 exec_lo, exec_lo, s7
	v_lshlrev_b32_e32 v6, 2, v72
	v_lshlrev_b32_e32 v73, 4, v25
	;; [unrolled: 1-line block ×3, first 2 shown]
	s_cmp_lt_i32 s18, 9
	s_delay_alu instid0(VALU_DEP_3)
	v_lshl_add_u32 v75, v0, 4, v6
	ds_store_2addr_stride64_b32 v75, v2, v3 offset1:4
	ds_store_b32 v75, v1 offset:8192
	ds_store_2addr_stride64_b32 v75, v4, v5 offset0:8 offset1:12
	s_waitcnt lgkmcnt(0)
	s_waitcnt_vscnt null, 0x0
	s_barrier
	buffer_gl0_inv
	ds_load_b128 v[51:54], v73
	ds_load_b128 v[0:3], v74 offset:8192
	ds_load_b128 v[12:15], v74 offset:8320
	;; [unrolled: 1-line block ×5, first 2 shown]
	s_waitcnt lgkmcnt(4)
	v_dual_add_f32 v16, v1, v52 :: v_dual_add_f32 v147, v3, v54
	v_add_f32_e32 v141, v2, v53
	s_waitcnt lgkmcnt(3)
	v_add_f32_e32 v145, v15, v54
	s_waitcnt lgkmcnt(0)
	v_add_f32_e32 v134, v0, v82
	scratch_store_b32 off, v16, off offset:12 ; 4-byte Folded Spill
	v_dual_add_f32 v16, v13, v52 :: v_dual_add_f32 v135, v12, v82
	v_add_f32_e32 v106, v2, v84
	v_add_f32_e32 v143, v10, v53
	;; [unrolled: 1-line block ×3, first 2 shown]
	scratch_store_b32 off, v16, off offset:16 ; 4-byte Folded Spill
	v_add_f32_e32 v16, v12, v51
	v_add_f32_e32 v136, v8, v82
	;; [unrolled: 1-line block ×5, first 2 shown]
	scratch_store_b32 off, v16, off offset:28 ; 4-byte Folded Spill
	v_add_f32_e32 v16, v9, v52
	scratch_store_b32 off, v16, off offset:20 ; 4-byte Folded Spill
	v_add_f32_e32 v16, v8, v51
	;; [unrolled: 2-line block ×4, first 2 shown]
	scratch_store_b32 off, v16, off offset:36 ; 4-byte Folded Spill
	ds_load_b128 v[86:89], v74 offset:8704
	ds_load_b128 v[90:93], v74 offset:8832
	s_waitcnt lgkmcnt(0)
	v_dual_add_f32 v16, v87, v52 :: v_dual_add_f32 v139, v92, v53
	v_add_f32_e32 v132, v90, v82
	v_add_f32_e32 v114, v88, v84
	;; [unrolled: 1-line block ×3, first 2 shown]
	scratch_store_b32 off, v16, off offset:40 ; 4-byte Folded Spill
	v_add_f32_e32 v16, v86, v51
	scratch_store_b32 off, v16, off offset:48 ; 4-byte Folded Spill
	v_add_f32_e32 v16, v91, v52
	scratch_store_b32 off, v16, off offset:44 ; 4-byte Folded Spill
	v_add_f32_e32 v16, v90, v51
	scratch_store_b32 off, v16, off offset:52 ; 4-byte Folded Spill
	ds_load_b128 v[94:97], v74 offset:8960
	ds_load_b128 v[16:19], v74 offset:9088
	v_add_f32_e32 v146, v0, v51
	v_add_f32_e32 v142, v14, v53
	;; [unrolled: 1-line block ×4, first 2 shown]
	s_waitcnt lgkmcnt(1)
	v_dual_add_f32 v29, v95, v52 :: v_dual_add_f32 v140, v96, v53
	v_dual_add_f32 v133, v94, v82 :: v_dual_add_f32 v118, v96, v84
	s_waitcnt lgkmcnt(0)
	v_add_f32_e32 v84, v18, v84
	scratch_store_b32 off, v29, off offset:56 ; 4-byte Folded Spill
	v_add_f32_e32 v29, v94, v51
	scratch_store_b32 off, v29, off offset:64 ; 4-byte Folded Spill
	;; [unrolled: 2-line block ×21, first 2 shown]
	ds_load_b128 v[98:101], v73 offset:1024
	ds_load_b128 v[102:105], v73 offset:1536
	v_add_f32_e32 v131, v3, v85
	v_add_f32_e32 v107, v15, v85
	;; [unrolled: 1-line block ×7, first 2 shown]
	s_waitcnt lgkmcnt(1)
	v_dual_add_f32 v85, v19, v85 :: v_dual_add_f32 v154, v16, v98
	v_dual_add_f32 v119, v1, v99 :: v_dual_add_f32 v128, v3, v101
	v_dual_add_f32 v120, v0, v98 :: v_dual_add_f32 v121, v13, v99
	v_add_f32_e32 v130, v15, v101
	v_dual_add_f32 v122, v12, v98 :: v_dual_add_f32 v123, v9, v99
	v_add_f32_e32 v156, v11, v101
	v_dual_add_f32 v124, v8, v98 :: v_dual_add_f32 v125, v5, v99
	;; [unrolled: 2-line block ×3, first 2 shown]
	v_dual_add_f32 v160, v89, v101 :: v_dual_add_f32 v51, v86, v98
	v_add_f32_e32 v162, v93, v101
	v_add_f32_e32 v54, v91, v99
	;; [unrolled: 1-line block ×4, first 2 shown]
	v_dual_add_f32 v152, v94, v98 :: v_dual_add_f32 v53, v17, v99
	v_dual_add_f32 v166, v19, v101 :: v_dual_add_f32 v129, v2, v100
	;; [unrolled: 1-line block ×3, first 2 shown]
	s_waitcnt lgkmcnt(0)
	v_dual_add_f32 v168, v1, v103 :: v_dual_add_f32 v157, v10, v100
	v_dual_add_f32 v170, v13, v103 :: v_dual_add_f32 v159, v6, v100
	;; [unrolled: 1-line block ×16, first 2 shown]
	v_add_f32_e32 v189, v10, v104
	v_add_f32_e32 v191, v6, v104
	;; [unrolled: 1-line block ×6, first 2 shown]
	ds_load_b128 v[98:101], v73 offset:2048
	ds_load_b128 v[102:105], v73 offset:2560
	s_clause 0x1
	scratch_store_b32 off, v24, off offset:4
	scratch_store_b32 off, v25, off offset:8
	v_min3_f32 v51, v51, v127, 0x7f7fffff
	s_delay_alu instid0(VALU_DEP_1)
	v_min3_f32 v127, v161, v160, v51
	v_min3_f32 v51, v52, v54, 0x7f7fffff
	s_waitcnt lgkmcnt(1)
	v_dual_add_f32 v200, v1, v99 :: v_dual_add_f32 v201, v0, v98
	v_add_f32_e32 v214, v17, v99
	v_dual_add_f32 v202, v13, v99 :: v_dual_add_f32 v203, v12, v98
	v_add_f32_e32 v216, v3, v101
	;; [unrolled: 2-line block ×6, first 2 shown]
	v_dual_add_f32 v212, v95, v99 :: v_dual_add_f32 v213, v94, v98
	v_dual_add_f32 v226, v93, v101 :: v_dual_add_f32 v215, v16, v98
	;; [unrolled: 1-line block ×4, first 2 shown]
	s_waitcnt lgkmcnt(0)
	v_dual_add_f32 v232, v1, v103 :: v_dual_add_f32 v221, v10, v100
	v_dual_add_f32 v234, v13, v103 :: v_dual_add_f32 v223, v6, v100
	;; [unrolled: 1-line block ×13, first 2 shown]
	v_add_f32_e32 v30, v92, v104
	v_dual_add_f32 v247, v16, v102 :: v_dual_add_f32 v34, v18, v104
	v_add_f32_e32 v249, v2, v104
	v_add_f32_e32 v251, v14, v104
	;; [unrolled: 1-line block ×5, first 2 shown]
	v_dual_add_f32 v29, v93, v105 :: v_dual_add_f32 v32, v96, v104
	v_add_f32_e32 v31, v97, v105
	v_add_f32_e32 v33, v19, v105
	ds_load_b128 v[98:101], v73 offset:3072
	ds_load_b128 v[102:105], v73 offset:3584
	s_waitcnt lgkmcnt(1)
	v_add_f32_e32 v46, v94, v98
	v_dual_add_f32 v43, v86, v98 :: v_dual_add_f32 v62, v88, v100
	v_dual_add_f32 v49, v3, v101 :: v_dual_add_f32 v68, v18, v100
	s_waitcnt lgkmcnt(0)
	v_dual_add_f32 v3, v3, v105 :: v_dual_add_f32 v76, v86, v102
	scratch_load_b32 v86, off, off offset:12 ; 4-byte Folded Reload
	v_add_f32_e32 v42, v87, v99
	v_add_f32_e32 v69, v87, v103
	v_dual_add_f32 v37, v13, v99 :: v_dual_add_f32 v50, v2, v100
	v_dual_add_f32 v13, v13, v103 :: v_dual_add_f32 v78, v88, v104
	;; [unrolled: 1-line block ×8, first 2 shown]
	v_add_f32_e32 v12, v12, v102
	v_add_f32_e32 v6, v6, v104
	v_min3_f32 v0, v0, v1, 0x7f7fffff
	v_dual_add_f32 v39, v9, v99 :: v_dual_add_f32 v56, v14, v100
	v_dual_add_f32 v40, v8, v98 :: v_dual_add_f32 v61, v89, v101
	;; [unrolled: 1-line block ×6, first 2 shown]
	v_min3_f32 v89, v2, v3, v0
	v_min3_f32 v0, v12, v13, 0x7f7fffff
	v_dual_add_f32 v24, v5, v99 :: v_dual_add_f32 v41, v4, v98
	v_dual_add_f32 v58, v10, v100 :: v_dual_add_f32 v65, v97, v101
	;; [unrolled: 1-line block ×6, first 2 shown]
	v_add_f32_e32 v79, v91, v103
	v_add_f32_e32 v81, v93, v105
	;; [unrolled: 1-line block ×5, first 2 shown]
	v_dual_add_f32 v47, v17, v99 :: v_dual_add_f32 v66, v96, v100
	v_add_f32_e32 v153, v97, v105
	v_add_f32_e32 v17, v17, v103
	;; [unrolled: 1-line block ×3, first 2 shown]
	v_dual_add_f32 v45, v90, v98 :: v_dual_add_f32 v64, v92, v100
	v_min3_f32 v24, v41, v24, 0x7f7fffff
	v_add_f32_e32 v44, v91, v99
	s_delay_alu instid0(VALU_DEP_2) | instskip(SKIP_1) | instid1(VALU_DEP_1)
	v_min3_f32 v94, v60, v59, v24
	v_min3_f32 v24, v43, v42, 0x7f7fffff
	;; [unrolled: 1-line block ×3, first 2 shown]
	s_delay_alu instid0(VALU_DEP_4) | instskip(NEXT) | instid1(VALU_DEP_1)
	v_min3_f32 v24, v45, v44, 0x7f7fffff
	v_min3_f32 v92, v64, v63, v24
	;; [unrolled: 1-line block ×3, first 2 shown]
	s_delay_alu instid0(VALU_DEP_1) | instskip(SKIP_1) | instid1(VALU_DEP_1)
	v_min3_f32 v91, v66, v65, v24
	v_min3_f32 v24, v48, v47, 0x7f7fffff
	;; [unrolled: 1-line block ×3, first 2 shown]
	s_waitcnt vmcnt(0)
	v_min3_f32 v86, v146, v86, 0x7f7fffff
	s_delay_alu instid0(VALU_DEP_1)
	v_min3_f32 v147, v141, v147, v86
	s_clause 0x1
	scratch_load_b32 v86, off, off offset:16
	scratch_load_b32 v87, off, off offset:28
	s_waitcnt vmcnt(0)
	v_min3_f32 v86, v87, v86, 0x7f7fffff
	s_delay_alu instid0(VALU_DEP_1)
	v_min3_f32 v146, v142, v145, v86
	s_clause 0x1
	scratch_load_b32 v86, off, off offset:20
	scratch_load_b32 v87, off, off offset:32
	;; [unrolled: 7-line block ×3, first 2 shown]
	s_waitcnt vmcnt(0)
	v_min3_f32 v86, v87, v86, 0x7f7fffff
	scratch_load_b32 v87, off, off offset:72 ; 4-byte Folded Reload
	s_waitcnt vmcnt(0)
	v_min3_f32 v144, v137, v87, v86
	s_clause 0x1
	scratch_load_b32 v86, off, off offset:40
	scratch_load_b32 v87, off, off offset:48
	s_waitcnt vmcnt(0)
	v_min3_f32 v86, v87, v86, 0x7f7fffff
	scratch_load_b32 v87, off, off offset:76 ; 4-byte Folded Reload
	s_waitcnt vmcnt(0)
	v_min3_f32 v143, v138, v87, v86
	s_clause 0x1
	scratch_load_b32 v86, off, off offset:44
	scratch_load_b32 v87, off, off offset:52
	;; [unrolled: 8-line block ×4, first 2 shown]
	s_waitcnt vmcnt(0)
	v_min3_f32 v86, v87, v86, 0x7f7fffff
	s_clause 0x1
	scratch_load_b32 v87, off, off offset:88
	scratch_load_b32 v88, off, off offset:124
	s_waitcnt vmcnt(0)
	v_min3_f32 v140, v88, v87, v86
	scratch_load_b32 v86, off, off offset:92 ; 4-byte Folded Reload
	v_min3_f32 v88, v14, v15, v0
	v_min3_f32 v0, v8, v9, 0x7f7fffff
	s_waitcnt vmcnt(0)
	v_min3_f32 v86, v134, v86, 0x7f7fffff
	s_delay_alu instid0(VALU_DEP_1) | instskip(SKIP_3) | instid1(VALU_DEP_1)
	v_min3_f32 v139, v106, v131, v86
	scratch_load_b32 v86, off, off offset:96 ; 4-byte Folded Reload
	s_waitcnt vmcnt(0)
	v_min3_f32 v86, v135, v86, 0x7f7fffff
	v_min3_f32 v138, v108, v107, v86
	scratch_load_b32 v86, off, off offset:100 ; 4-byte Folded Reload
	s_waitcnt vmcnt(0)
	v_min3_f32 v86, v136, v86, 0x7f7fffff
	s_delay_alu instid0(VALU_DEP_1)
	v_min3_f32 v137, v110, v109, v86
	s_clause 0x1
	scratch_load_b32 v86, off, off offset:104
	scratch_load_b32 v87, off, off offset:128
	s_waitcnt vmcnt(0)
	v_min3_f32 v86, v87, v86, 0x7f7fffff
	s_delay_alu instid0(VALU_DEP_1)
	v_min3_f32 v136, v112, v111, v86
	s_clause 0x1
	scratch_load_b32 v86, off, off offset:108
	scratch_load_b32 v87, off, off offset:132
	s_waitcnt vmcnt(0)
	v_min3_f32 v86, v87, v86, 0x7f7fffff
	v_min3_f32 v87, v10, v11, v0
	;; [unrolled: 1-line block ×3, first 2 shown]
	s_delay_alu instid0(VALU_DEP_3) | instskip(SKIP_3) | instid1(VALU_DEP_1)
	v_min3_f32 v135, v114, v83, v86
	scratch_load_b32 v83, off, off offset:112 ; 4-byte Folded Reload
	s_waitcnt vmcnt(0)
	v_min3_f32 v83, v132, v83, 0x7f7fffff
	v_min3_f32 v134, v116, v115, v83
	scratch_load_b32 v83, off, off offset:116 ; 4-byte Folded Reload
	s_waitcnt vmcnt(0)
	v_min3_f32 v83, v133, v83, 0x7f7fffff
	s_delay_alu instid0(VALU_DEP_1)
	v_min3_f32 v133, v118, v117, v83
	s_clause 0x1
	scratch_load_b32 v83, off, off offset:120
	scratch_load_b32 v86, off, off offset:136
	ds_store_2addr_stride64_b32 v75, v150, v26 offset0:16 offset1:20
	ds_store_2addr_stride64_b32 v75, v27, v28 offset0:24 offset1:28
	s_waitcnt vmcnt(0)
	v_min3_f32 v83, v86, v83, 0x7f7fffff
	v_min3_f32 v86, v6, v7, v0
	;; [unrolled: 1-line block ×3, first 2 shown]
	s_delay_alu instid0(VALU_DEP_3) | instskip(SKIP_1) | instid1(VALU_DEP_3)
	v_min3_f32 v132, v84, v85, v83
	v_min3_f32 v83, v120, v119, 0x7f7fffff
	;; [unrolled: 1-line block ×4, first 2 shown]
	s_delay_alu instid0(VALU_DEP_3) | instskip(SKIP_1) | instid1(VALU_DEP_3)
	v_min3_f32 v131, v129, v128, v83
	v_min3_f32 v83, v122, v121, 0x7f7fffff
	;; [unrolled: 1-line block ×4, first 2 shown]
	s_delay_alu instid0(VALU_DEP_3) | instskip(SKIP_1) | instid1(VALU_DEP_1)
	v_min3_f32 v130, v155, v130, v83
	v_min3_f32 v83, v124, v123, 0x7f7fffff
	;; [unrolled: 1-line block ×6, first 2 shown]
	s_delay_alu instid0(VALU_DEP_3) | instskip(SKIP_2) | instid1(VALU_DEP_4)
	v_min3_f32 v128, v159, v158, v83
	v_min3_f32 v83, v148, v153, v0
	v_min3_f32 v0, v16, v17, 0x7f7fffff
	v_min3_f32 v125, v165, v164, v51
	v_min3_f32 v51, v154, v53, 0x7f7fffff
	s_delay_alu instid0(VALU_DEP_3) | instskip(SKIP_3) | instid1(VALU_DEP_1)
	v_min3_f32 v82, v18, v19, v0
	scratch_load_b32 v0, off, off           ; 4-byte Folded Reload
	v_min3_f32 v124, v167, v166, v51
	v_min3_f32 v51, v169, v168, 0x7f7fffff
	v_min3_f32 v123, v185, v184, v51
	v_min3_f32 v51, v171, v170, 0x7f7fffff
	s_delay_alu instid0(VALU_DEP_1) | instskip(SKIP_1) | instid1(VALU_DEP_1)
	v_min3_f32 v122, v187, v186, v51
	v_min3_f32 v51, v173, v172, 0x7f7fffff
	v_min3_f32 v121, v189, v188, v51
	v_min3_f32 v51, v175, v174, 0x7f7fffff
	s_delay_alu instid0(VALU_DEP_1) | instskip(SKIP_1) | instid1(VALU_DEP_1)
	;; [unrolled: 5-line block ×13, first 2 shown]
	v_min3_f32 v96, v56, v55, v29
	v_min3_f32 v29, v40, v39, 0x7f7fffff
	;; [unrolled: 1-line block ×3, first 2 shown]
	s_waitcnt vmcnt(0)
	ds_store_b32 v75, v0 offset:9216
	s_waitcnt lgkmcnt(0)
	s_waitcnt_vscnt null, 0x0
	s_barrier
	buffer_gl0_inv
	s_cbranch_scc1 .LBB18_54
; %bb.32:
	s_clause 0x1
	scratch_load_b32 v200, off, off offset:4
	scratch_load_b32 v201, off, off offset:8
	v_add_nc_u32_e32 v4, 12, v72
	v_add_nc_u32_e32 v6, 8, v72
	v_lshlrev_b64 v[0:1], 2, v[20:21]
	v_lshlrev_b64 v[68:69], 2, v[22:23]
	v_or_b32_e32 v76, 0x2000, v75
	v_mad_i64_i32 v[2:3], null, v4, s8, 0
	v_mad_i64_i32 v[4:5], null, v6, s8, 0
	v_add_co_u32 v80, s6, s22, v0
	v_add_nc_u32_e32 v77, 0x2000, v74
	v_add_nc_u32_e32 v78, 0x2400, v75
	v_lshlrev_b64 v[64:65], 2, v[2:3]
	v_or_b32_e32 v79, 0x1000, v75
	v_lshlrev_b64 v[66:67], 2, v[4:5]
	v_add_co_ci_u32_e64 v81, s6, s23, v1, s6
	s_add_i32 s22, s18, -8
	s_lshl_b64 s[8:9], s[8:9], 5
	s_mov_b32 s23, 0
	s_waitcnt vmcnt(1)
	v_lshl_add_u32 v105, v200, 4, 0x2400
	s_waitcnt vmcnt(0)
	v_lshl_add_u32 v113, v201, 4, 0x1000
	s_branch .LBB18_34
.LBB18_33:                              ;   in Loop: Header=BB18_34 Depth=1
	s_or_b32 exec_lo, exec_lo, s7
	ds_load_b128 v[94:97], v73
	ds_load_b128 v[152:155], v77
	ds_load_b128 v[156:159], v77 offset:128
	ds_load_b128 v[160:163], v77 offset:256
	;; [unrolled: 1-line block ×14, first 2 shown]
	v_add_co_u32 v80, s6, v80, s8
	s_delay_alu instid0(VALU_DEP_1)
	v_add_co_ci_u32_e64 v81, s6, s9, v81, s6
	s_add_i32 s23, s23, 8
	ds_store_b32 v78, v148
	ds_store_2addr_stride64_b32 v79, v149, v150 offset1:4
	ds_store_2addr_stride64_b32 v79, v151, v0 offset0:8 offset1:12
	s_waitcnt lgkmcnt(17)
	v_dual_add_f32 v11, v153, v95 :: v_dual_add_f32 v14, v152, v94
	s_waitcnt lgkmcnt(16)
	v_dual_add_f32 v15, v157, v95 :: v_dual_add_f32 v18, v156, v94
	;; [unrolled: 2-line block ×3, first 2 shown]
	s_waitcnt lgkmcnt(14)
	v_add_f32_e32 v23, v165, v95
	v_min3_f32 v11, v14, v11, v25
	v_min3_f32 v14, v18, v15, v28
	v_add_f32_e32 v18, v164, v94
	v_min3_f32 v15, v22, v19, v29
	s_waitcnt lgkmcnt(13)
	v_dual_add_f32 v19, v169, v95 :: v_dual_add_f32 v22, v168, v94
	s_waitcnt lgkmcnt(12)
	v_dual_add_f32 v25, v173, v95 :: v_dual_add_f32 v28, v172, v94
	;; [unrolled: 2-line block ×4, first 2 shown]
	v_min3_f32 v1, v18, v23, v1
	v_min3_f32 v18, v22, v19, v32
	;; [unrolled: 1-line block ×5, first 2 shown]
	s_waitcnt lgkmcnt(9)
	v_dual_add_f32 v25, v153, v99 :: v_dual_add_f32 v28, v152, v98
	v_dual_add_f32 v29, v157, v99 :: v_dual_add_f32 v32, v156, v98
	;; [unrolled: 1-line block ×5, first 2 shown]
	v_min3_f32 v4, v28, v25, v4
	v_min3_f32 v25, v32, v29, v40
	;; [unrolled: 1-line block ×5, first 2 shown]
	v_dual_add_f32 v33, v173, v99 :: v_dual_add_f32 v34, v172, v98
	v_dual_add_f32 v35, v177, v99 :: v_dual_add_f32 v36, v176, v98
	;; [unrolled: 1-line block ×3, first 2 shown]
	s_waitcnt lgkmcnt(8)
	v_dual_add_f32 v39, v153, v107 :: v_dual_add_f32 v40, v152, v106
	v_dual_add_f32 v41, v157, v107 :: v_dual_add_f32 v44, v156, v106
	v_min3_f32 v5, v34, v33, v5
	v_min3_f32 v33, v36, v35, v48
	;; [unrolled: 1-line block ×5, first 2 shown]
	v_dual_add_f32 v37, v161, v107 :: v_dual_add_f32 v38, v160, v106
	v_dual_add_f32 v39, v165, v107 :: v_dual_add_f32 v40, v164, v106
	;; [unrolled: 1-line block ×5, first 2 shown]
	v_min3_f32 v8, v38, v37, v8
	v_min3_f32 v37, v40, v39, v54
	;; [unrolled: 1-line block ×5, first 2 shown]
	v_dual_add_f32 v41, v181, v107 :: v_dual_add_f32 v44, v180, v106
	s_waitcnt lgkmcnt(7)
	v_dual_add_f32 v45, v153, v115 :: v_dual_add_f32 v48, v152, v114
	v_dual_add_f32 v49, v157, v115 :: v_dual_add_f32 v52, v156, v114
	;; [unrolled: 1-line block ×4, first 2 shown]
	v_min3_f32 v9, v44, v41, v9
	v_min3_f32 v41, v48, v45, v58
	;; [unrolled: 1-line block ×5, first 2 shown]
	v_dual_add_f32 v49, v169, v115 :: v_dual_add_f32 v52, v168, v114
	v_dual_add_f32 v53, v173, v115 :: v_dual_add_f32 v54, v172, v114
	;; [unrolled: 1-line block ×4, first 2 shown]
	s_waitcnt lgkmcnt(6)
	v_dual_add_f32 v59, v153, v185 :: v_dual_add_f32 v60, v152, v184
	v_min3_f32 v12, v52, v49, v12
	v_min3_f32 v49, v54, v53, v50
	;; [unrolled: 1-line block ×5, first 2 shown]
	v_dual_add_f32 v53, v157, v185 :: v_dual_add_f32 v54, v156, v184
	v_dual_add_f32 v55, v161, v185 :: v_dual_add_f32 v56, v160, v184
	;; [unrolled: 1-line block ×5, first 2 shown]
	v_min3_f32 v13, v54, v53, v13
	v_min3_f32 v53, v56, v55, v82
	;; [unrolled: 1-line block ×5, first 2 shown]
	v_dual_add_f32 v57, v177, v185 :: v_dual_add_f32 v58, v176, v184
	v_dual_add_f32 v59, v181, v185 :: v_dual_add_f32 v60, v180, v184
	s_waitcnt lgkmcnt(5)
	v_dual_add_f32 v61, v153, v189 :: v_dual_add_f32 v62, v152, v188
	v_dual_add_f32 v63, v157, v189 :: v_dual_add_f32 v70, v156, v188
	;; [unrolled: 1-line block ×3, first 2 shown]
	v_min3_f32 v16, v58, v57, v16
	v_min3_f32 v46, v60, v59, v46
	;; [unrolled: 1-line block ×4, first 2 shown]
	v_dual_add_f32 v59, v165, v189 :: v_dual_add_f32 v60, v164, v188
	v_dual_add_f32 v61, v169, v189 :: v_dual_add_f32 v62, v168, v188
	;; [unrolled: 1-line block ×4, first 2 shown]
	v_min3_f32 v58, v82, v71, v87
	v_dual_add_f32 v71, v177, v189 :: v_dual_add_f32 v82, v176, v188
	v_min3_f32 v17, v60, v59, v17
	v_min3_f32 v42, v62, v61, v42
	;; [unrolled: 1-line block ×4, first 2 shown]
	s_waitcnt lgkmcnt(4)
	v_dual_add_f32 v61, v153, v193 :: v_dual_add_f32 v62, v152, v192
	v_dual_add_f32 v63, v157, v193 :: v_dual_add_f32 v70, v156, v192
	;; [unrolled: 1-line block ×4, first 2 shown]
	v_min3_f32 v59, v82, v71, v88
	v_dual_add_f32 v71, v161, v193 :: v_dual_add_f32 v82, v160, v192
	v_min3_f32 v20, v62, v61, v20
	v_min3_f32 v61, v70, v63, v90
	v_min3_f32 v63, v84, v83, v92
	v_min3_f32 v70, v86, v85, v93
	v_dual_add_f32 v83, v177, v193 :: v_dual_add_f32 v84, v176, v192
	v_dual_add_f32 v85, v181, v193 :: v_dual_add_f32 v86, v180, v192
	s_waitcnt lgkmcnt(3)
	v_dual_add_f32 v89, v157, v197 :: v_dual_add_f32 v90, v156, v196
	v_min3_f32 v62, v82, v71, v91
	v_dual_add_f32 v71, v173, v193 :: v_dual_add_f32 v82, v172, v192
	v_dual_add_f32 v87, v153, v197 :: v_dual_add_f32 v88, v152, v196
	v_min3_f32 v26, v84, v83, v26
	v_min3_f32 v27, v86, v85, v27
	v_min3_f32 v31, v90, v89, v31
	v_dual_add_f32 v83, v165, v197 :: v_dual_add_f32 v84, v164, v196
	v_dual_add_f32 v85, v169, v197 :: v_dual_add_f32 v86, v168, v196
	;; [unrolled: 1-line block ×3, first 2 shown]
	v_min3_f32 v21, v82, v71, v21
	v_min3_f32 v30, v88, v87, v30
	v_dual_add_f32 v71, v161, v197 :: v_dual_add_f32 v82, v160, v196
	v_dual_add_f32 v87, v173, v197 :: v_dual_add_f32 v88, v172, v196
	v_min3_f32 v3, v84, v83, v3
	v_min3_f32 v6, v86, v85, v6
	;; [unrolled: 1-line block ×3, first 2 shown]
	v_dual_add_f32 v83, v155, v97 :: v_dual_add_f32 v84, v154, v96
	v_dual_add_f32 v85, v159, v97 :: v_dual_add_f32 v86, v158, v96
	;; [unrolled: 1-line block ×3, first 2 shown]
	v_min3_f32 v24, v82, v71, v24
	v_min3_f32 v7, v88, v87, v7
	v_dual_add_f32 v71, v181, v197 :: v_dual_add_f32 v82, v180, v196
	v_dual_add_f32 v87, v163, v97 :: v_dual_add_f32 v88, v162, v96
	v_min3_f32 v147, v84, v83, v11
	v_min3_f32 v146, v86, v85, v14
	;; [unrolled: 1-line block ×3, first 2 shown]
	v_add_f32_e32 v1, v171, v97
	v_dual_add_f32 v11, v170, v96 :: v_dual_add_f32 v14, v175, v97
	v_dual_add_f32 v83, v183, v97 :: v_dual_add_f32 v86, v154, v100
	v_add_f32_e32 v85, v155, v101
	v_min3_f32 v2, v82, v71, v2
	v_min3_f32 v145, v88, v87, v15
	v_add_f32_e32 v15, v174, v96
	v_dual_add_f32 v71, v179, v97 :: v_dual_add_f32 v84, v182, v96
	v_add_f32_e32 v82, v178, v96
	v_min3_f32 v143, v11, v1, v18
	v_min3_f32 v139, v86, v85, v4
	v_dual_add_f32 v1, v159, v101 :: v_dual_add_f32 v4, v158, v100
	v_min3_f32 v142, v15, v14, v19
	v_add_f32_e32 v14, v162, v100
	v_min3_f32 v141, v82, v71, v22
	v_min3_f32 v140, v84, v83, v23
	v_dual_add_f32 v11, v163, v101 :: v_dual_add_f32 v18, v166, v100
	v_dual_add_f32 v15, v167, v101 :: v_dual_add_f32 v22, v170, v100
	v_add_f32_e32 v19, v171, v101
	v_add_f32_e32 v23, v175, v101
	;; [unrolled: 1-line block ×3, first 2 shown]
	v_min3_f32 v138, v4, v1, v25
	v_dual_add_f32 v1, v179, v101 :: v_dual_add_f32 v4, v178, v100
	v_min3_f32 v137, v14, v11, v28
	v_min3_f32 v136, v18, v15, v29
	;; [unrolled: 1-line block ×3, first 2 shown]
	v_dual_add_f32 v11, v182, v100 :: v_dual_add_f32 v22, v163, v109
	v_dual_add_f32 v14, v155, v109 :: v_dual_add_f32 v15, v154, v108
	;; [unrolled: 1-line block ×3, first 2 shown]
	v_min3_f32 v133, v4, v1, v33
	v_add_f32_e32 v4, v166, v108
	v_min3_f32 v134, v71, v23, v5
	v_add_f32_e32 v5, v183, v101
	v_add_f32_e32 v23, v162, v108
	v_min3_f32 v131, v15, v14, v35
	v_min3_f32 v130, v19, v18, v36
	v_dual_add_f32 v1, v167, v109 :: v_dual_add_f32 v18, v178, v108
	s_delay_alu instid0(VALU_DEP_4)
	v_min3_f32 v129, v23, v22, v8
	v_add_f32_e32 v8, v170, v108
	v_add_f32_e32 v14, v174, v108
	v_min3_f32 v132, v11, v5, v34
	v_dual_add_f32 v5, v171, v109 :: v_dual_add_f32 v22, v182, v108
	v_add_f32_e32 v11, v175, v109
	v_add_f32_e32 v15, v179, v109
	;; [unrolled: 1-line block ×3, first 2 shown]
	v_min3_f32 v128, v4, v1, v37
	v_min3_f32 v127, v8, v5, v38
	v_dual_add_f32 v1, v155, v117 :: v_dual_add_f32 v4, v154, v116
	v_min3_f32 v126, v14, v11, v39
	v_dual_add_f32 v5, v159, v117 :: v_dual_add_f32 v8, v158, v116
	;; [unrolled: 2-line block ×3, first 2 shown]
	v_dual_add_f32 v18, v171, v117 :: v_dual_add_f32 v11, v162, v116
	s_cmp_ge_i32 s23, s22
	s_waitcnt lgkmcnt(0)
	s_delay_alu instid0(VALU_DEP_2)
	v_min3_f32 v120, v15, v14, v48
	v_add_f32_e32 v14, v154, v186
	v_min3_f32 v122, v8, v5, v44
	v_add_f32_e32 v8, v178, v116
	;; [unrolled: 2-line block ×4, first 2 shown]
	v_add_f32_e32 v9, v163, v117
	v_add_f32_e32 v5, v179, v117
	;; [unrolled: 1-line block ×4, first 2 shown]
	v_min3_f32 v119, v19, v18, v12
	v_add_f32_e32 v12, v155, v187
	v_add_f32_e32 v18, v158, v186
	v_min3_f32 v118, v4, v1, v49
	v_dual_add_f32 v1, v163, v187 :: v_dual_add_f32 v4, v162, v186
	s_delay_alu instid0(VALU_DEP_4)
	v_min3_f32 v115, v14, v12, v52
	v_add_f32_e32 v12, v175, v187
	v_min3_f32 v121, v11, v9, v45
	v_add_f32_e32 v9, v183, v117
	v_min3_f32 v117, v8, v5, v50
	v_dual_add_f32 v5, v167, v187 :: v_dual_add_f32 v8, v166, v186
	v_dual_add_f32 v14, v179, v187 :: v_dual_add_f32 v11, v182, v116
	v_min3_f32 v112, v4, v1, v53
	v_add_f32_e32 v1, v183, v187
	s_delay_alu instid0(VALU_DEP_4)
	v_min3_f32 v111, v8, v5, v54
	v_dual_add_f32 v5, v155, v191 :: v_dual_add_f32 v8, v154, v190
	v_min3_f32 v114, v18, v15, v13
	v_add_f32_e32 v15, v178, v186
	v_add_f32_e32 v13, v174, v186
	;; [unrolled: 1-line block ×3, first 2 shown]
	v_min3_f32 v106, v8, v5, v47
	v_add_f32_e32 v5, v175, v191
	v_min3_f32 v108, v15, v14, v16
	v_dual_add_f32 v14, v167, v191 :: v_dual_add_f32 v15, v166, v190
	v_add_f32_e32 v8, v174, v190
	v_min3_f32 v116, v11, v9, v51
	v_add_f32_e32 v9, v171, v187
	v_add_f32_e32 v11, v170, v186
	v_min3_f32 v102, v15, v14, v17
	v_add_f32_e32 v14, v155, v195
	v_min3_f32 v109, v13, v12, v56
	v_dual_add_f32 v12, v163, v191 :: v_dual_add_f32 v13, v162, v190
	v_add_f32_e32 v15, v154, v194
	v_min3_f32 v100, v8, v5, v43
	v_add_f32_e32 v8, v162, v194
	v_min3_f32 v107, v4, v1, v46
	v_dual_add_f32 v1, v171, v191 :: v_dual_add_f32 v4, v170, v190
	v_min3_f32 v103, v13, v12, v58
	v_add_f32_e32 v12, v183, v191
	v_min3_f32 v97, v15, v14, v20
	v_add_f32_e32 v14, v175, v195
	;; [unrolled: 2-line block ×4, first 2 shown]
	v_add_f32_e32 v15, v174, v194
	v_add_f32_e32 v13, v182, v190
	;; [unrolled: 1-line block ×5, first 2 shown]
	v_min3_f32 v92, v15, v14, v21
	v_dual_add_f32 v14, v163, v199 :: v_dual_add_f32 v15, v162, v198
	s_delay_alu instid0(VALU_DEP_4)
	v_min3_f32 v95, v8, v5, v62
	v_add_f32_e32 v8, v182, v194
	v_min3_f32 v104, v11, v9, v57
	v_add_f32_e32 v9, v179, v191
	;; [unrolled: 2-line block ×3, first 2 shown]
	v_min3_f32 v98, v13, v12, v60
	v_dual_add_f32 v12, v171, v195 :: v_dual_add_f32 v13, v170, v194
	v_add_f32_e32 v11, v178, v190
	v_min3_f32 v96, v4, v1, v61
	v_dual_add_f32 v1, v179, v195 :: v_dual_add_f32 v4, v178, v194
	s_delay_alu instid0(VALU_DEP_4) | instskip(SKIP_2) | instid1(VALU_DEP_4)
	v_min3_f32 v93, v13, v12, v70
	v_dual_add_f32 v12, v159, v199 :: v_dual_add_f32 v13, v158, v198
	v_add_f32_e32 v5, v183, v195
	v_min3_f32 v91, v4, v1, v26
	v_dual_add_f32 v1, v167, v199 :: v_dual_add_f32 v4, v166, v198
	s_delay_alu instid0(VALU_DEP_4)
	v_min3_f32 v88, v13, v12, v31
	v_add_f32_e32 v12, v179, v199
	v_min3_f32 v99, v11, v9, v59
	v_add_f32_e32 v9, v167, v195
	v_add_f32_e32 v11, v166, v194
	v_min3_f32 v90, v8, v5, v27
	v_dual_add_f32 v5, v171, v199 :: v_dual_add_f32 v8, v170, v198
	v_add_f32_e32 v13, v178, v198
	s_delay_alu instid0(VALU_DEP_4)
	v_min3_f32 v94, v11, v9, v63
	v_add_f32_e32 v9, v155, v199
	v_add_f32_e32 v11, v154, v198
	;; [unrolled: 1-line block ×3, first 2 shown]
	v_min3_f32 v86, v4, v1, v3
	v_min3_f32 v85, v8, v5, v6
	;; [unrolled: 1-line block ×4, first 2 shown]
	v_add_f32_e32 v9, v175, v199
	v_add_f32_e32 v11, v174, v198
	v_min3_f32 v82, v15, v14, v2
	s_barrier
	buffer_gl0_inv
	v_min3_f32 v84, v11, v9, v7
	s_cbranch_scc1 .LBB18_55
.LBB18_34:                              ; =>This Inner Loop Header: Depth=1
	v_add_nc_u32_e32 v148, s23, v72
	s_delay_alu instid0(VALU_DEP_1) | instskip(NEXT) | instid1(VALU_DEP_1)
	v_add_nc_u32_e32 v0, 8, v148
	v_cmp_le_i32_e64 s6, s18, v0
	s_delay_alu instid0(VALU_DEP_1) | instskip(NEXT) | instid1(SALU_CYCLE_1)
	s_or_b32 s7, vcc_lo, s6
	v_cndmask_b32_e64 v149, 0, 0x7f7fffff, s7
	s_or_b32 s7, s26, s7
	s_delay_alu instid0(SALU_CYCLE_1) | instskip(NEXT) | instid1(SALU_CYCLE_1)
	s_xor_b32 s7, s7, -1
	s_and_saveexec_b32 s29, s7
	s_cbranch_execz .LBB18_36
; %bb.35:                               ;   in Loop: Header=BB18_34 Depth=1
	v_add_co_u32 v1, s7, v80, v66
	s_delay_alu instid0(VALU_DEP_1)
	v_add_co_ci_u32_e64 v2, s7, v81, v67, s7
	flat_load_b32 v1, v[1:2]
	s_waitcnt vmcnt(0) lgkmcnt(0)
	v_mul_f32_e32 v149, s25, v1
.LBB18_36:                              ;   in Loop: Header=BB18_34 Depth=1
	s_or_b32 exec_lo, exec_lo, s29
	v_min_i32_e32 v2, s27, v0
	s_delay_alu instid0(VALU_DEP_1) | instskip(NEXT) | instid1(VALU_DEP_1)
	v_mad_i64_i32 v[0:1], null, v2, s28, 0
	v_lshlrev_b64 v[0:1], 2, v[0:1]
	s_delay_alu instid0(VALU_DEP_1) | instskip(NEXT) | instid1(VALU_DEP_1)
	v_add_co_u32 v0, s7, s20, v0
	v_add_co_ci_u32_e64 v1, s7, s21, v1, s7
	s_or_b32 s7, s2, s6
	s_delay_alu instid0(SALU_CYCLE_1) | instskip(SKIP_1) | instid1(SALU_CYCLE_1)
	v_cndmask_b32_e64 v150, 0, 0x7f7fffff, s7
	s_or_b32 s7, s26, s7
	s_xor_b32 s7, s7, -1
	s_delay_alu instid0(SALU_CYCLE_1)
	s_and_saveexec_b32 s29, s7
	s_cbranch_execz .LBB18_38
; %bb.37:                               ;   in Loop: Header=BB18_34 Depth=1
	v_add_co_u32 v2, s7, v0, v68
	s_delay_alu instid0(VALU_DEP_1)
	v_add_co_ci_u32_e64 v3, s7, v1, v69, s7
	flat_load_b32 v2, v[2:3]
	s_waitcnt vmcnt(0) lgkmcnt(0)
	v_mul_f32_e32 v150, s25, v2
.LBB18_38:                              ;   in Loop: Header=BB18_34 Depth=1
	s_or_b32 exec_lo, exec_lo, s29
	s_or_b32 s7, s3, s6
	s_delay_alu instid0(SALU_CYCLE_1) | instskip(SKIP_1) | instid1(SALU_CYCLE_1)
	v_cndmask_b32_e64 v151, 0, 0x7f7fffff, s7
	s_or_b32 s7, s26, s7
	s_xor_b32 s7, s7, -1
	s_delay_alu instid0(SALU_CYCLE_1)
	s_and_saveexec_b32 s29, s7
	s_cbranch_execz .LBB18_40
; %bb.39:                               ;   in Loop: Header=BB18_34 Depth=1
	v_add_co_u32 v2, s7, v0, v68
	s_delay_alu instid0(VALU_DEP_1)
	v_add_co_ci_u32_e64 v3, s7, v1, v69, s7
	flat_load_b32 v2, v[2:3] offset:256
	s_waitcnt vmcnt(0) lgkmcnt(0)
	v_mul_f32_e32 v151, s25, v2
.LBB18_40:                              ;   in Loop: Header=BB18_34 Depth=1
	s_or_b32 exec_lo, exec_lo, s29
	s_or_b32 s7, s4, s6
	s_delay_alu instid0(SALU_CYCLE_1) | instskip(SKIP_1) | instid1(SALU_CYCLE_1)
	v_cndmask_b32_e64 v152, 0, 0x7f7fffff, s7
	s_or_b32 s7, s26, s7
	s_xor_b32 s7, s7, -1
	s_delay_alu instid0(SALU_CYCLE_1)
	s_and_saveexec_b32 s29, s7
	s_cbranch_execz .LBB18_42
; %bb.41:                               ;   in Loop: Header=BB18_34 Depth=1
	v_add_co_u32 v2, s7, v0, v68
	s_delay_alu instid0(VALU_DEP_1)
	v_add_co_ci_u32_e64 v3, s7, v1, v69, s7
	flat_load_b32 v2, v[2:3] offset:512
	s_waitcnt vmcnt(0) lgkmcnt(0)
	v_mul_f32_e32 v152, s25, v2
.LBB18_42:                              ;   in Loop: Header=BB18_34 Depth=1
	;; [unrolled: 17-line block ×3, first 2 shown]
	s_or_b32 exec_lo, exec_lo, s7
	ds_load_b128 v[32:35], v105
	ds_load_b128 v[28:31], v105 offset:128
	ds_load_b128 v[24:27], v105 offset:256
	;; [unrolled: 1-line block ×7, first 2 shown]
	ds_load_b128 v[60:63], v113
	ds_load_b128 v[56:59], v113 offset:512
	ds_load_b128 v[52:55], v113 offset:1024
	;; [unrolled: 1-line block ×7, first 2 shown]
	v_add_nc_u32_e32 v154, 12, v148
	ds_store_b32 v76, v149
	ds_store_2addr_stride64_b32 v75, v150, v151 offset1:4
	ds_store_2addr_stride64_b32 v75, v152, v153 offset0:8 offset1:12
	s_waitcnt lgkmcnt(0)
	s_barrier
	buffer_gl0_inv
	v_cmp_le_i32_e64 s6, s18, v154
	s_delay_alu instid0(VALU_DEP_1) | instskip(NEXT) | instid1(SALU_CYCLE_1)
	s_or_b32 s7, vcc_lo, s6
	v_cndmask_b32_e64 v148, 0, 0x7f7fffff, s7
	s_or_b32 s7, s26, s7
	s_delay_alu instid0(SALU_CYCLE_1) | instskip(NEXT) | instid1(SALU_CYCLE_1)
	s_xor_b32 s7, s7, -1
	s_and_saveexec_b32 s29, s7
	s_cbranch_execz .LBB18_46
; %bb.45:                               ;   in Loop: Header=BB18_34 Depth=1
	v_add_co_u32 v148, s7, v80, v64
	s_delay_alu instid0(VALU_DEP_1)
	v_add_co_ci_u32_e64 v149, s7, v81, v65, s7
	flat_load_b32 v70, v[148:149]
	s_waitcnt vmcnt(0) lgkmcnt(0)
	v_mul_f32_e32 v148, s25, v70
.LBB18_46:                              ;   in Loop: Header=BB18_34 Depth=1
	s_or_b32 exec_lo, exec_lo, s29
	v_min_i32_e32 v70, s27, v154
	s_delay_alu instid0(VALU_DEP_1) | instskip(NEXT) | instid1(VALU_DEP_1)
	v_mad_i64_i32 v[149:150], null, v70, s28, 0
	v_lshlrev_b64 v[149:150], 2, v[149:150]
	s_delay_alu instid0(VALU_DEP_1) | instskip(NEXT) | instid1(VALU_DEP_1)
	v_add_co_u32 v152, s7, s20, v149
	v_add_co_ci_u32_e64 v153, s7, s21, v150, s7
	s_or_b32 s7, s2, s6
	s_delay_alu instid0(SALU_CYCLE_1) | instskip(SKIP_1) | instid1(SALU_CYCLE_1)
	v_cndmask_b32_e64 v149, 0, 0x7f7fffff, s7
	s_or_b32 s7, s26, s7
	s_xor_b32 s7, s7, -1
	s_delay_alu instid0(SALU_CYCLE_1)
	s_and_saveexec_b32 s29, s7
	s_cbranch_execz .LBB18_48
; %bb.47:                               ;   in Loop: Header=BB18_34 Depth=1
	v_add_co_u32 v149, s7, v152, v68
	s_delay_alu instid0(VALU_DEP_1)
	v_add_co_ci_u32_e64 v150, s7, v153, v69, s7
	flat_load_b32 v70, v[149:150]
	s_waitcnt vmcnt(0) lgkmcnt(0)
	v_mul_f32_e32 v149, s25, v70
.LBB18_48:                              ;   in Loop: Header=BB18_34 Depth=1
	s_or_b32 exec_lo, exec_lo, s29
	s_or_b32 s7, s3, s6
	s_delay_alu instid0(SALU_CYCLE_1) | instskip(SKIP_1) | instid1(SALU_CYCLE_1)
	v_cndmask_b32_e64 v150, 0, 0x7f7fffff, s7
	s_or_b32 s7, s26, s7
	s_xor_b32 s7, s7, -1
	s_delay_alu instid0(SALU_CYCLE_1)
	s_and_saveexec_b32 s29, s7
	s_cbranch_execz .LBB18_50
; %bb.49:                               ;   in Loop: Header=BB18_34 Depth=1
	v_add_co_u32 v150, s7, v152, v68
	s_delay_alu instid0(VALU_DEP_1)
	v_add_co_ci_u32_e64 v151, s7, v153, v69, s7
	flat_load_b32 v70, v[150:151] offset:256
	s_waitcnt vmcnt(0) lgkmcnt(0)
	v_mul_f32_e32 v150, s25, v70
.LBB18_50:                              ;   in Loop: Header=BB18_34 Depth=1
	s_or_b32 exec_lo, exec_lo, s29
	s_or_b32 s7, s4, s6
	s_delay_alu instid0(SALU_CYCLE_1) | instskip(SKIP_1) | instid1(SALU_CYCLE_1)
	v_cndmask_b32_e64 v151, 0, 0x7f7fffff, s7
	s_or_b32 s7, s26, s7
	s_xor_b32 s7, s7, -1
	s_delay_alu instid0(SALU_CYCLE_1)
	s_and_saveexec_b32 s29, s7
	s_cbranch_execz .LBB18_52
; %bb.51:                               ;   in Loop: Header=BB18_34 Depth=1
	v_add_co_u32 v154, s7, v152, v68
	s_delay_alu instid0(VALU_DEP_1)
	v_add_co_ci_u32_e64 v155, s7, v153, v69, s7
	flat_load_b32 v70, v[154:155] offset:512
	s_waitcnt vmcnt(0) lgkmcnt(0)
	v_mul_f32_e32 v151, s25, v70
.LBB18_52:                              ;   in Loop: Header=BB18_34 Depth=1
	s_or_b32 exec_lo, exec_lo, s29
	v_dual_add_f32 v70, v33, v61 :: v_dual_add_f32 v71, v32, v60
	v_dual_add_f32 v154, v29, v61 :: v_dual_add_f32 v155, v28, v60
	;; [unrolled: 1-line block ×3, first 2 shown]
	s_delay_alu instid0(VALU_DEP_3) | instskip(SKIP_1) | instid1(VALU_DEP_4)
	v_min3_f32 v70, v71, v70, v147
	v_add_f32_e32 v147, v16, v60
	v_min3_f32 v71, v155, v154, v146
	v_add_f32_e32 v146, v17, v61
	v_min3_f32 v145, v157, v156, v145
	v_dual_add_f32 v154, v13, v61 :: v_dual_add_f32 v155, v12, v60
	v_dual_add_f32 v156, v9, v61 :: v_dual_add_f32 v157, v8, v60
	;; [unrolled: 1-line block ×4, first 2 shown]
	v_min3_f32 v144, v147, v146, v144
	v_min3_f32 v143, v155, v154, v143
	v_dual_add_f32 v146, v29, v57 :: v_dual_add_f32 v147, v28, v56
	s_delay_alu instid0(VALU_DEP_4)
	v_min3_f32 v60, v60, v61, v140
	v_dual_add_f32 v61, v33, v57 :: v_dual_add_f32 v140, v32, v56
	v_dual_add_f32 v154, v25, v57 :: v_dual_add_f32 v155, v24, v56
	v_min3_f32 v142, v157, v156, v142
	v_min3_f32 v141, v159, v158, v141
	v_dual_add_f32 v156, v17, v57 :: v_dual_add_f32 v157, v16, v56
	v_dual_add_f32 v158, v13, v57 :: v_dual_add_f32 v159, v12, v56
	v_min3_f32 v61, v140, v61, v139
	v_min3_f32 v138, v147, v146, v138
	;; [unrolled: 1-line block ×3, first 2 shown]
	v_dual_add_f32 v139, v9, v57 :: v_dual_add_f32 v140, v8, v56
	v_dual_add_f32 v146, v5, v57 :: v_dual_add_f32 v147, v4, v56
	;; [unrolled: 1-line block ×4, first 2 shown]
	v_min3_f32 v136, v157, v156, v136
	v_dual_add_f32 v156, v29, v53 :: v_dual_add_f32 v157, v28, v52
	v_min3_f32 v134, v140, v139, v134
	v_min3_f32 v56, v56, v57, v132
	;; [unrolled: 1-line block ×3, first 2 shown]
	v_dual_add_f32 v131, v25, v53 :: v_dual_add_f32 v132, v24, v52
	v_dual_add_f32 v139, v17, v53 :: v_dual_add_f32 v140, v16, v52
	v_min3_f32 v133, v147, v146, v133
	v_min3_f32 v130, v157, v156, v130
	v_dual_add_f32 v146, v13, v53 :: v_dual_add_f32 v147, v12, v52
	v_dual_add_f32 v154, v9, v53 :: v_dual_add_f32 v155, v8, v52
	v_dual_add_f32 v156, v5, v53 :: v_dual_add_f32 v157, v4, v52
	v_min3_f32 v129, v132, v131, v129
	v_min3_f32 v128, v140, v139, v128
	v_dual_add_f32 v53, v1, v53 :: v_dual_add_f32 v52, v0, v52
	;; [unrolled: 5-line block ×3, first 2 shown]
	v_dual_add_f32 v154, v17, v49 :: v_dual_add_f32 v155, v16, v48
	v_min3_f32 v124, v52, v53, v124
	v_min3_f32 v123, v132, v131, v123
	;; [unrolled: 1-line block ×3, first 2 shown]
	v_dual_add_f32 v52, v13, v49 :: v_dual_add_f32 v53, v12, v48
	v_dual_add_f32 v131, v9, v49 :: v_dual_add_f32 v132, v8, v48
	v_dual_add_f32 v139, v5, v49 :: v_dual_add_f32 v140, v4, v48
	v_dual_add_f32 v49, v1, v49 :: v_dual_add_f32 v48, v0, v48
	v_min3_f32 v121, v147, v146, v121
	v_dual_add_f32 v146, v33, v45 :: v_dual_add_f32 v147, v32, v44
	v_min3_f32 v119, v53, v52, v119
	v_min3_f32 v118, v132, v131, v118
	;; [unrolled: 1-line block ×3, first 2 shown]
	v_dual_add_f32 v48, v29, v45 :: v_dual_add_f32 v49, v28, v44
	v_dual_add_f32 v52, v25, v45 :: v_dual_add_f32 v53, v24, v44
	;; [unrolled: 1-line block ×3, first 2 shown]
	v_min3_f32 v117, v140, v139, v117
	v_min3_f32 v115, v147, v146, v115
	v_dual_add_f32 v139, v13, v45 :: v_dual_add_f32 v140, v12, v44
	v_dual_add_f32 v146, v9, v45 :: v_dual_add_f32 v147, v8, v44
	v_min3_f32 v114, v49, v48, v114
	v_min3_f32 v112, v53, v52, v112
	;; [unrolled: 1-line block ×3, first 2 shown]
	v_dual_add_f32 v48, v5, v45 :: v_dual_add_f32 v49, v4, v44
	v_dual_add_f32 v45, v1, v45 :: v_dual_add_f32 v44, v0, v44
	v_dual_add_f32 v52, v33, v41 :: v_dual_add_f32 v53, v32, v40
	v_dual_add_f32 v131, v29, v41 :: v_dual_add_f32 v132, v28, v40
	v_min3_f32 v110, v140, v139, v110
	v_dual_add_f32 v139, v25, v41 :: v_dual_add_f32 v140, v24, v40
	v_min3_f32 v108, v49, v48, v108
	v_min3_f32 v107, v44, v45, v107
	;; [unrolled: 1-line block ×4, first 2 shown]
	v_dual_add_f32 v44, v17, v41 :: v_dual_add_f32 v45, v16, v40
	v_dual_add_f32 v48, v13, v41 :: v_dual_add_f32 v49, v12, v40
	;; [unrolled: 1-line block ×5, first 2 shown]
	v_min3_f32 v102, v45, v44, v102
	v_dual_add_f32 v44, v29, v37 :: v_dual_add_f32 v45, v28, v36
	v_min3_f32 v100, v53, v52, v100
	s_delay_alu instid0(VALU_DEP_4) | instskip(SKIP_4) | instid1(VALU_DEP_4)
	v_min3_f32 v98, v40, v41, v98
	v_dual_add_f32 v40, v33, v37 :: v_dual_add_f32 v41, v32, v36
	v_min3_f32 v99, v132, v131, v99
	v_dual_add_f32 v52, v17, v37 :: v_dual_add_f32 v53, v16, v36
	v_dual_add_f32 v131, v13, v37 :: v_dual_add_f32 v132, v12, v36
	v_min3_f32 v97, v41, v40, v97
	v_min3_f32 v96, v45, v44, v96
	v_dual_add_f32 v40, v9, v37 :: v_dual_add_f32 v41, v8, v36
	v_dual_add_f32 v44, v5, v37 :: v_dual_add_f32 v45, v4, v36
	v_dual_add_f32 v17, v17, v21 :: v_dual_add_f32 v16, v16, v20
	v_dual_add_f32 v13, v13, v21 :: v_dual_add_f32 v12, v12, v20
	v_dual_add_f32 v9, v9, v21 :: v_dual_add_f32 v8, v8, v20
	v_dual_add_f32 v5, v5, v21 :: v_dual_add_f32 v4, v4, v20
	v_min3_f32 v125, v157, v156, v125
	v_min3_f32 v120, v155, v154, v120
	;; [unrolled: 1-line block ×4, first 2 shown]
	v_dual_add_f32 v48, v25, v37 :: v_dual_add_f32 v49, v24, v36
	v_dual_add_f32 v37, v1, v37 :: v_dual_add_f32 v36, v0, v36
	v_dual_add_f32 v29, v29, v21 :: v_dual_add_f32 v28, v28, v20
	v_dual_add_f32 v25, v25, v21 :: v_dual_add_f32 v24, v24, v20
	v_min3_f32 v147, v16, v17, v86
	v_min3_f32 v154, v12, v13, v85
	;; [unrolled: 1-line block ×4, first 2 shown]
	v_dual_add_f32 v1, v1, v21 :: v_dual_add_f32 v0, v0, v20
	v_dual_add_f32 v4, v35, v63 :: v_dual_add_f32 v5, v34, v62
	v_dual_add_f32 v8, v31, v63 :: v_dual_add_f32 v9, v30, v62
	v_dual_add_f32 v12, v27, v63 :: v_dual_add_f32 v13, v26, v62
	v_dual_add_f32 v16, v19, v63 :: v_dual_add_f32 v17, v18, v62
	v_dual_add_f32 v33, v33, v21 :: v_dual_add_f32 v32, v32, v20
	v_min3_f32 v146, v28, v29, v88
	v_min3_f32 v24, v24, v25, v87
	;; [unrolled: 1-line block ×7, first 2 shown]
	v_dual_add_f32 v4, v15, v63 :: v_dual_add_f32 v5, v14, v62
	v_dual_add_f32 v8, v11, v63 :: v_dual_add_f32 v9, v10, v62
	;; [unrolled: 1-line block ×5, first 2 shown]
	v_min3_f32 v135, v159, v158, v135
	v_min3_f32 v103, v140, v139, v103
	;; [unrolled: 1-line block ×10, first 2 shown]
	v_dual_add_f32 v5, v31, v59 :: v_dual_add_f32 v8, v30, v58
	v_dual_add_f32 v9, v27, v59 :: v_dual_add_f32 v12, v26, v58
	;; [unrolled: 1-line block ×5, first 2 shown]
	v_min3_f32 v93, v132, v131, v93
	v_min3_f32 v131, v41, v40, v92
	;; [unrolled: 1-line block ×8, first 2 shown]
	v_dual_add_f32 v8, v7, v59 :: v_dual_add_f32 v9, v6, v58
	v_dual_add_f32 v12, v3, v59 :: v_dual_add_f32 v13, v2, v58
	;; [unrolled: 1-line block ×4, first 2 shown]
	v_min3_f32 v94, v53, v52, v94
	v_dual_add_f32 v58, v27, v55 :: v_dual_add_f32 v59, v26, v54
	v_min3_f32 v48, v9, v8, v133
	v_min3_f32 v49, v13, v12, v56
	;; [unrolled: 1-line block ×4, first 2 shown]
	v_dual_add_f32 v9, v19, v55 :: v_dual_add_f32 v12, v18, v54
	v_dual_add_f32 v13, v15, v55 :: v_dual_add_f32 v16, v14, v54
	;; [unrolled: 1-line block ×4, first 2 shown]
	v_add_f32_e32 v57, v6, v54
	v_min3_f32 v8, v59, v58, v129
	v_dual_add_f32 v58, v3, v55 :: v_dual_add_f32 v59, v2, v54
	v_min3_f32 v54, v12, v9, v128
	v_add_f32_e32 v12, v35, v51
	v_min3_f32 v55, v16, v13, v127
	v_min3_f32 v56, v20, v17, v126
	;; [unrolled: 1-line block ×3, first 2 shown]
	v_dual_add_f32 v13, v34, v50 :: v_dual_add_f32 v16, v31, v51
	v_dual_add_f32 v17, v30, v50 :: v_dual_add_f32 v20, v27, v51
	v_add_f32_e32 v21, v26, v50
	v_dual_add_f32 v61, v19, v51 :: v_dual_add_f32 v70, v14, v50
	v_add_f32_e32 v63, v15, v51
	v_min3_f32 v9, v59, v58, v124
	v_min3_f32 v58, v13, v12, v123
	;; [unrolled: 1-line block ×3, first 2 shown]
	v_add_f32_e32 v16, v10, v50
	v_min3_f32 v60, v21, v20, v121
	v_min3_f32 v61, v62, v61, v120
	;; [unrolled: 1-line block ×3, first 2 shown]
	v_dual_add_f32 v13, v11, v51 :: v_dual_add_f32 v20, v6, v50
	v_dual_add_f32 v17, v7, v51 :: v_dual_add_f32 v62, v2, v50
	;; [unrolled: 1-line block ×5, first 2 shown]
	v_min3_f32 v50, v16, v13, v118
	v_min3_f32 v51, v20, v17, v117
	;; [unrolled: 1-line block ×5, first 2 shown]
	v_dual_add_f32 v16, v27, v47 :: v_dual_add_f32 v17, v26, v46
	v_dual_add_f32 v20, v19, v47 :: v_dual_add_f32 v21, v18, v46
	;; [unrolled: 1-line block ×4, first 2 shown]
	v_add_f32_e32 v87, v7, v47
	v_min3_f32 v82, v17, v16, v112
	v_min3_f32 v83, v21, v20, v111
	v_add_f32_e32 v20, v2, v46
	v_min3_f32 v84, v71, v70, v110
	v_min3_f32 v16, v88, v87, v108
	v_dual_add_f32 v17, v3, v47 :: v_dual_add_f32 v88, v26, v42
	v_dual_add_f32 v21, v35, v43 :: v_dual_add_f32 v90, v18, v42
	;; [unrolled: 1-line block ×3, first 2 shown]
	v_add_f32_e32 v71, v30, v42
	v_add_f32_e32 v87, v27, v43
	;; [unrolled: 1-line block ×3, first 2 shown]
	v_min3_f32 v85, v86, v85, v109
	v_min3_f32 v46, v20, v17, v107
	;; [unrolled: 1-line block ×3, first 2 shown]
	v_add_f32_e32 v20, v15, v43
	v_min3_f32 v47, v47, v21, v106
	v_min3_f32 v17, v90, v89, v102
	v_dual_add_f32 v21, v14, v42 :: v_dual_add_f32 v70, v11, v43
	v_dual_add_f32 v71, v10, v42 :: v_dual_add_f32 v90, v3, v43
	;; [unrolled: 1-line block ×3, first 2 shown]
	v_add_f32_e32 v91, v2, v42
	v_add_f32_e32 v102, v34, v38
	v_min3_f32 v87, v88, v87, v103
	v_add_f32_e32 v88, v7, v43
	v_min3_f32 v42, v21, v20, v101
	v_min3_f32 v43, v71, v70, v100
	;; [unrolled: 1-line block ×3, first 2 shown]
	v_add_f32_e32 v92, v19, v39
	v_min3_f32 v88, v89, v88, v99
	v_min3_f32 v89, v91, v90, v98
	v_dual_add_f32 v21, v31, v39 :: v_dual_add_f32 v70, v30, v38
	v_dual_add_f32 v71, v27, v39 :: v_dual_add_f32 v34, v34, v22
	;; [unrolled: 1-line block ×4, first 2 shown]
	v_add_f32_e32 v35, v35, v23
	v_add_f32_e32 v99, v14, v38
	;; [unrolled: 1-line block ×3, first 2 shown]
	v_min3_f32 v91, v91, v71, v95
	v_min3_f32 v92, v97, v92, v94
	v_add_f32_e32 v71, v6, v38
	v_add_f32_e32 v38, v2, v38
	v_min3_f32 v90, v70, v21, v96
	v_add_f32_e32 v70, v7, v39
	v_dual_add_f32 v39, v3, v39 :: v_dual_add_f32 v94, v30, v22
	v_dual_add_f32 v31, v31, v23 :: v_dual_add_f32 v18, v18, v22
	;; [unrolled: 1-line block ×3, first 2 shown]
	v_add_f32_e32 v96, v26, v22
	v_min3_f32 v30, v34, v35, v140
	v_dual_add_f32 v19, v19, v23 :: v_dual_add_f32 v10, v10, v22
	v_dual_add_f32 v15, v15, v23 :: v_dual_add_f32 v2, v2, v22
	v_add_f32_e32 v11, v11, v23
	v_dual_add_f32 v34, v7, v23 :: v_dual_add_f32 v35, v6, v22
	v_add_f32_e32 v23, v3, v23
	s_or_b32 s6, s5, s6
	v_min3_f32 v93, v99, v98, v93
	v_min3_f32 v21, v101, v100, v131
	;; [unrolled: 1-line block ×11, first 2 shown]
	v_cndmask_b32_e64 v0, 0, 0x7f7fffff, s6
	s_or_b32 s6, s26, s6
	s_delay_alu instid0(SALU_CYCLE_1) | instskip(NEXT) | instid1(SALU_CYCLE_1)
	s_xor_b32 s6, s6, -1
	s_and_saveexec_b32 s7, s6
	s_cbranch_execz .LBB18_33
; %bb.53:                               ;   in Loop: Header=BB18_34 Depth=1
	v_add_co_u32 v14, s6, v152, v68
	s_delay_alu instid0(VALU_DEP_1)
	v_add_co_ci_u32_e64 v15, s6, v153, v69, s6
	flat_load_b32 v0, v[14:15] offset:768
	s_waitcnt vmcnt(0) lgkmcnt(0)
	v_mul_f32_e32 v0, s25, v0
	s_branch .LBB18_33
.LBB18_54:
	s_clause 0x1
	scratch_load_b32 v200, off, off offset:4
	scratch_load_b32 v201, off, off offset:8
.LBB18_55:
	s_clause 0x2
	s_load_b32 s18, s[0:1], 0x58
	s_load_b32 s9, s[0:1], 0x70
	s_load_b64 s[0:1], s[0:1], 0x78
	s_waitcnt vmcnt(0)
	v_add_nc_u32_e32 v113, s19, v201
	ds_load_b128 v[32:35], v74 offset:9216
	ds_load_b128 v[28:31], v74 offset:9344
	ds_load_b128 v[24:27], v74 offset:9472
	ds_load_b128 v[20:23], v74 offset:9600
	ds_load_b128 v[16:19], v74 offset:9728
	ds_load_b128 v[12:15], v74 offset:9856
	ds_load_b128 v[8:11], v74 offset:9984
	ds_load_b128 v[0:3], v74 offset:10112
	ds_load_b128 v[60:63], v73 offset:4096
	ds_load_b128 v[56:59], v73 offset:4608
	ds_load_b128 v[52:55], v73 offset:5120
	ds_load_b128 v[48:51], v73 offset:5632
	ds_load_b128 v[44:47], v73 offset:6144
	ds_load_b128 v[40:43], v73 offset:6656
	ds_load_b128 v[36:39], v73 offset:7168
	ds_load_b128 v[4:7], v73 offset:7680
	v_add_nc_u32_e32 v64, s14, v200
	v_cmp_gt_i32_e64 s8, s17, v113
	v_cndmask_b32_e64 v105, 0, 1, s24
	s_waitcnt lgkmcnt(0)
	v_mad_i64_i32 v[65:66], null, v113, s18, 0
	v_mad_i64_i32 v[67:68], null, v113, s9, 0
	s_lshl_b64 s[0:1], s[0:1], 2
	s_delay_alu instid0(SALU_CYCLE_1) | instskip(SKIP_1) | instid1(VALU_DEP_2)
	s_add_u32 s12, s12, s0
	s_addc_u32 s13, s13, s1
	v_lshlrev_b64 v[65:66], 2, v[65:66]
	v_cmp_gt_i32_e64 s0, s16, v64
	s_delay_alu instid0(VALU_DEP_3) | instskip(NEXT) | instid1(VALU_DEP_2)
	v_lshlrev_b64 v[67:68], 2, v[67:68]
	s_and_b32 s2, s0, s8
	s_delay_alu instid0(VALU_DEP_3) | instskip(NEXT) | instid1(VALU_DEP_4)
	v_add_co_u32 v150, vcc_lo, s10, v65
	v_add_co_ci_u32_e32 v151, vcc_lo, s11, v66, vcc_lo
	s_delay_alu instid0(VALU_DEP_3) | instskip(NEXT) | instid1(VALU_DEP_4)
	v_add_co_u32 v148, vcc_lo, s12, v67
	v_add_co_ci_u32_e32 v149, vcc_lo, s13, v68, vcc_lo
	v_ashrrev_i32_e32 v65, 31, v64
	s_and_saveexec_b32 s1, s2
	s_cbranch_execz .LBB18_60
; %bb.56:
	s_delay_alu instid0(VALU_DEP_1)
	v_lshlrev_b64 v[66:67], 2, v[64:65]
	s_and_not1_b32 vcc_lo, exec_lo, s24
	s_cbranch_vccnz .LBB18_58
; %bb.57:
	s_delay_alu instid0(VALU_DEP_1) | instskip(NEXT) | instid1(VALU_DEP_2)
	v_add_co_u32 v68, vcc_lo, v150, v66
	v_add_co_ci_u32_e32 v69, vcc_lo, v151, v67, vcc_lo
	flat_load_b32 v68, v[68:69]
	s_waitcnt vmcnt(0) lgkmcnt(0)
	v_mul_f32_e32 v68, s15, v68
	s_branch .LBB18_59
.LBB18_58:
	v_mov_b32_e32 v68, 0
.LBB18_59:
	v_dual_add_f32 v69, v33, v61 :: v_dual_add_f32 v70, v32, v60
	v_dual_add_f32 v71, v35, v63 :: v_dual_add_f32 v72, v34, v62
	v_add_co_u32 v66, vcc_lo, v148, v66
	s_delay_alu instid0(VALU_DEP_3) | instskip(SKIP_1) | instid1(VALU_DEP_4)
	v_min3_f32 v69, v70, v69, v147
	v_add_co_ci_u32_e32 v67, vcc_lo, v149, v67, vcc_lo
	v_min_f32_e32 v70, v72, v71
	s_delay_alu instid0(VALU_DEP_1)
	v_min3_f32 v68, v68, v70, v69
	global_store_b32 v[66:67], v68, off
.LBB18_60:
	s_or_b32 exec_lo, exec_lo, s1
	v_add_nc_u32_e32 v66, 8, v64
	s_delay_alu instid0(VALU_DEP_1) | instskip(SKIP_1) | instid1(VALU_DEP_2)
	v_cmp_gt_i32_e64 s1, s16, v66
	v_ashrrev_i32_e32 v67, 31, v66
	s_and_b32 s3, s1, s8
	s_delay_alu instid0(SALU_CYCLE_1)
	s_and_saveexec_b32 s2, s3
	s_cbranch_execz .LBB18_65
; %bb.61:
	v_cmp_ne_u32_e32 vcc_lo, 1, v105
	v_lshlrev_b64 v[68:69], 2, v[66:67]
	s_cbranch_vccnz .LBB18_63
; %bb.62:
	s_delay_alu instid0(VALU_DEP_1) | instskip(NEXT) | instid1(VALU_DEP_2)
	v_add_co_u32 v70, vcc_lo, v150, v68
	v_add_co_ci_u32_e32 v71, vcc_lo, v151, v69, vcc_lo
	flat_load_b32 v70, v[70:71]
	s_waitcnt vmcnt(0) lgkmcnt(0)
	v_mul_f32_e32 v70, s15, v70
	s_branch .LBB18_64
.LBB18_63:
	v_mov_b32_e32 v70, 0
.LBB18_64:
	v_dual_add_f32 v71, v29, v61 :: v_dual_add_f32 v72, v28, v60
	v_dual_add_f32 v73, v31, v63 :: v_dual_add_f32 v74, v30, v62
	s_delay_alu instid0(VALU_DEP_4) | instskip(NEXT) | instid1(VALU_DEP_3)
	v_add_co_u32 v68, vcc_lo, v148, v68
	v_min3_f32 v71, v72, v71, v146
	v_add_co_ci_u32_e32 v69, vcc_lo, v149, v69, vcc_lo
	s_delay_alu instid0(VALU_DEP_4) | instskip(NEXT) | instid1(VALU_DEP_1)
	v_min_f32_e32 v72, v74, v73
	v_min3_f32 v70, v70, v72, v71
	global_store_b32 v[68:69], v70, off
.LBB18_65:
	s_or_b32 exec_lo, exec_lo, s2
	v_add_nc_u32_e32 v68, 16, v64
	s_delay_alu instid0(VALU_DEP_1) | instskip(SKIP_1) | instid1(VALU_DEP_2)
	v_cmp_gt_i32_e64 s2, s16, v68
	v_ashrrev_i32_e32 v69, 31, v68
	s_and_b32 s4, s2, s8
	s_delay_alu instid0(SALU_CYCLE_1)
	s_and_saveexec_b32 s3, s4
	s_cbranch_execz .LBB18_70
; %bb.66:
	v_cmp_ne_u32_e32 vcc_lo, 1, v105
	v_lshlrev_b64 v[70:71], 2, v[68:69]
	s_cbranch_vccnz .LBB18_68
; %bb.67:
	s_delay_alu instid0(VALU_DEP_1) | instskip(NEXT) | instid1(VALU_DEP_2)
	v_add_co_u32 v72, vcc_lo, v150, v70
	v_add_co_ci_u32_e32 v73, vcc_lo, v151, v71, vcc_lo
	flat_load_b32 v72, v[72:73]
	s_waitcnt vmcnt(0) lgkmcnt(0)
	v_mul_f32_e32 v72, s15, v72
	s_branch .LBB18_69
.LBB18_68:
	v_mov_b32_e32 v72, 0
.LBB18_69:
	v_dual_add_f32 v73, v25, v61 :: v_dual_add_f32 v74, v24, v60
	v_dual_add_f32 v75, v27, v63 :: v_dual_add_f32 v76, v26, v62
	s_delay_alu instid0(VALU_DEP_4) | instskip(NEXT) | instid1(VALU_DEP_3)
	v_add_co_u32 v70, vcc_lo, v148, v70
	v_min3_f32 v73, v74, v73, v145
	v_add_co_ci_u32_e32 v71, vcc_lo, v149, v71, vcc_lo
	s_delay_alu instid0(VALU_DEP_4) | instskip(NEXT) | instid1(VALU_DEP_1)
	v_min_f32_e32 v74, v76, v75
	v_min3_f32 v72, v72, v74, v73
	global_store_b32 v[70:71], v72, off
.LBB18_70:
	;; [unrolled: 35-line block ×4, first 2 shown]
	s_or_b32 exec_lo, exec_lo, s5
	v_add_nc_u32_e32 v74, 40, v64
	s_delay_alu instid0(VALU_DEP_1) | instskip(SKIP_1) | instid1(VALU_DEP_2)
	v_cmp_gt_i32_e64 s5, s16, v74
	v_ashrrev_i32_e32 v75, 31, v74
	s_and_b32 s7, s5, s8
	s_delay_alu instid0(SALU_CYCLE_1)
	s_and_saveexec_b32 s6, s7
	s_cbranch_execz .LBB18_85
; %bb.81:
	v_cmp_ne_u32_e32 vcc_lo, 1, v105
	v_lshlrev_b64 v[76:77], 2, v[74:75]
	s_cbranch_vccnz .LBB18_83
; %bb.82:
	s_delay_alu instid0(VALU_DEP_1) | instskip(NEXT) | instid1(VALU_DEP_2)
	v_add_co_u32 v78, vcc_lo, v150, v76
	v_add_co_ci_u32_e32 v79, vcc_lo, v151, v77, vcc_lo
	flat_load_b32 v78, v[78:79]
	s_waitcnt vmcnt(0) lgkmcnt(0)
	v_mul_f32_e32 v78, s15, v78
	s_branch .LBB18_84
.LBB18_83:
	v_mov_b32_e32 v78, 0
.LBB18_84:
	v_dual_add_f32 v79, v13, v61 :: v_dual_add_f32 v80, v12, v60
	v_add_f32_e32 v81, v15, v63
	v_add_f32_e32 v143, v14, v62
	v_add_co_u32 v76, vcc_lo, v148, v76
	s_delay_alu instid0(VALU_DEP_4) | instskip(SKIP_1) | instid1(VALU_DEP_4)
	v_min3_f32 v79, v80, v79, v142
	v_add_co_ci_u32_e32 v77, vcc_lo, v149, v77, vcc_lo
	v_min_f32_e32 v80, v143, v81
	s_delay_alu instid0(VALU_DEP_1)
	v_min3_f32 v78, v78, v80, v79
	global_store_b32 v[76:77], v78, off
.LBB18_85:
	s_or_b32 exec_lo, exec_lo, s6
	v_add_nc_u32_e32 v76, 48, v64
	s_delay_alu instid0(VALU_DEP_1) | instskip(SKIP_1) | instid1(VALU_DEP_2)
	v_cmp_gt_i32_e64 s6, s16, v76
	v_ashrrev_i32_e32 v77, 31, v76
	s_and_b32 s14, s6, s8
	s_delay_alu instid0(SALU_CYCLE_1)
	s_and_saveexec_b32 s7, s14
	s_cbranch_execz .LBB18_90
; %bb.86:
	v_cmp_ne_u32_e32 vcc_lo, 1, v105
	v_lshlrev_b64 v[78:79], 2, v[76:77]
	s_cbranch_vccnz .LBB18_88
; %bb.87:
	s_delay_alu instid0(VALU_DEP_1) | instskip(NEXT) | instid1(VALU_DEP_2)
	v_add_co_u32 v80, vcc_lo, v150, v78
	v_add_co_ci_u32_e32 v81, vcc_lo, v151, v79, vcc_lo
	flat_load_b32 v80, v[80:81]
	s_waitcnt vmcnt(0) lgkmcnt(0)
	v_mul_f32_e32 v80, s15, v80
	s_branch .LBB18_89
.LBB18_88:
	v_mov_b32_e32 v80, 0
.LBB18_89:
	v_dual_add_f32 v81, v9, v61 :: v_dual_add_f32 v142, v8, v60
	v_dual_add_f32 v143, v11, v63 :: v_dual_add_f32 v144, v10, v62
	s_delay_alu instid0(VALU_DEP_4) | instskip(NEXT) | instid1(VALU_DEP_3)
	v_add_co_u32 v78, vcc_lo, v148, v78
	v_min3_f32 v81, v142, v81, v141
	v_add_co_ci_u32_e32 v79, vcc_lo, v149, v79, vcc_lo
	s_delay_alu instid0(VALU_DEP_4) | instskip(NEXT) | instid1(VALU_DEP_1)
	v_min_f32_e32 v141, v144, v143
	v_min3_f32 v80, v80, v141, v81
	global_store_b32 v[78:79], v80, off
.LBB18_90:
	s_or_b32 exec_lo, exec_lo, s7
	v_add_nc_u32_e32 v78, 56, v64
	s_delay_alu instid0(VALU_DEP_1) | instskip(SKIP_1) | instid1(VALU_DEP_2)
	v_cmp_gt_i32_e64 s7, s16, v78
	v_ashrrev_i32_e32 v79, 31, v78
	s_and_b32 s14, s7, s8
	s_delay_alu instid0(SALU_CYCLE_1)
	s_and_saveexec_b32 s8, s14
	s_cbranch_execz .LBB18_95
; %bb.91:
	v_cmp_ne_u32_e32 vcc_lo, 1, v105
	v_lshlrev_b64 v[80:81], 2, v[78:79]
	s_cbranch_vccnz .LBB18_93
; %bb.92:
	s_delay_alu instid0(VALU_DEP_1) | instskip(NEXT) | instid1(VALU_DEP_2)
	v_add_co_u32 v141, vcc_lo, v150, v80
	v_add_co_ci_u32_e32 v142, vcc_lo, v151, v81, vcc_lo
	flat_load_b32 v141, v[141:142]
	s_waitcnt vmcnt(0) lgkmcnt(0)
	v_mul_f32_e32 v141, s15, v141
	s_branch .LBB18_94
.LBB18_93:
	v_mov_b32_e32 v141, 0
.LBB18_94:
	v_dual_add_f32 v61, v1, v61 :: v_dual_add_f32 v60, v0, v60
	v_dual_add_f32 v63, v3, v63 :: v_dual_add_f32 v62, v2, v62
	s_delay_alu instid0(VALU_DEP_2) | instskip(NEXT) | instid1(VALU_DEP_2)
	v_min3_f32 v60, v60, v61, v140
	v_min_f32_e32 v61, v62, v63
	s_delay_alu instid0(VALU_DEP_1)
	v_min3_f32 v62, v141, v61, v60
	v_add_co_u32 v60, vcc_lo, v148, v80
	v_add_co_ci_u32_e32 v61, vcc_lo, v149, v81, vcc_lo
	global_store_b32 v[60:61], v62, off
.LBB18_95:
	s_or_b32 exec_lo, exec_lo, s8
	v_add_nc_u32_e32 v80, 32, v113
	s_delay_alu instid0(VALU_DEP_1) | instskip(SKIP_2) | instid1(VALU_DEP_3)
	v_mad_i64_i32 v[60:61], null, v80, s18, 0
	v_mad_i64_i32 v[62:63], null, v80, s9, 0
	v_cmp_gt_i32_e64 s8, s17, v80
	v_lshlrev_b64 v[60:61], 2, v[60:61]
	s_delay_alu instid0(VALU_DEP_2) | instskip(NEXT) | instid1(VALU_DEP_3)
	s_and_b32 s16, s0, s8
	v_lshlrev_b64 v[62:63], 2, v[62:63]
	s_delay_alu instid0(VALU_DEP_2) | instskip(NEXT) | instid1(VALU_DEP_3)
	v_add_co_u32 v80, vcc_lo, s10, v60
	v_add_co_ci_u32_e32 v81, vcc_lo, s11, v61, vcc_lo
	s_delay_alu instid0(VALU_DEP_3) | instskip(NEXT) | instid1(VALU_DEP_4)
	v_add_co_u32 v62, vcc_lo, s12, v62
	v_add_co_ci_u32_e32 v63, vcc_lo, s13, v63, vcc_lo
	s_and_saveexec_b32 s14, s16
	s_cbranch_execnz .LBB18_103
; %bb.96:
	s_or_b32 exec_lo, exec_lo, s14
	s_and_b32 s16, s1, s8
	s_delay_alu instid0(SALU_CYCLE_1)
	s_and_saveexec_b32 s14, s16
	s_cbranch_execnz .LBB18_107
.LBB18_97:
	s_or_b32 exec_lo, exec_lo, s14
	s_and_b32 s16, s2, s8
	s_delay_alu instid0(SALU_CYCLE_1)
	s_and_saveexec_b32 s14, s16
	s_cbranch_execnz .LBB18_111
.LBB18_98:
	s_or_b32 exec_lo, exec_lo, s14
	s_and_b32 s16, s3, s8
	s_delay_alu instid0(SALU_CYCLE_1)
	s_and_saveexec_b32 s14, s16
	s_cbranch_execnz .LBB18_115
.LBB18_99:
	s_or_b32 exec_lo, exec_lo, s14
	s_and_b32 s16, s4, s8
	s_delay_alu instid0(SALU_CYCLE_1)
	s_and_saveexec_b32 s14, s16
	s_cbranch_execnz .LBB18_119
.LBB18_100:
	s_or_b32 exec_lo, exec_lo, s14
	s_and_b32 s16, s5, s8
	s_delay_alu instid0(SALU_CYCLE_1)
	s_and_saveexec_b32 s14, s16
	s_cbranch_execnz .LBB18_123
.LBB18_101:
	s_or_b32 exec_lo, exec_lo, s14
	s_and_b32 s16, s6, s8
	s_delay_alu instid0(SALU_CYCLE_1)
	s_and_saveexec_b32 s14, s16
	s_cbranch_execnz .LBB18_127
.LBB18_102:
	s_or_b32 exec_lo, exec_lo, s14
	s_and_b32 s14, s7, s8
	s_delay_alu instid0(SALU_CYCLE_1)
	s_and_saveexec_b32 s8, s14
	s_cbranch_execnz .LBB18_131
	s_branch .LBB18_135
.LBB18_103:
	v_cmp_ne_u32_e32 vcc_lo, 1, v105
	v_lshlrev_b64 v[60:61], 2, v[64:65]
	s_cbranch_vccnz .LBB18_105
; %bb.104:
	s_delay_alu instid0(VALU_DEP_1) | instskip(NEXT) | instid1(VALU_DEP_2)
	v_add_co_u32 v140, vcc_lo, v80, v60
	v_add_co_ci_u32_e32 v141, vcc_lo, v81, v61, vcc_lo
	flat_load_b32 v140, v[140:141]
	s_waitcnt vmcnt(0) lgkmcnt(0)
	v_mul_f32_e32 v140, s15, v140
	s_branch .LBB18_106
.LBB18_105:
	v_mov_b32_e32 v140, 0
.LBB18_106:
	v_dual_add_f32 v141, v33, v57 :: v_dual_add_f32 v142, v32, v56
	v_dual_add_f32 v143, v35, v59 :: v_dual_add_f32 v144, v34, v58
	s_delay_alu instid0(VALU_DEP_4) | instskip(NEXT) | instid1(VALU_DEP_3)
	v_add_co_u32 v60, vcc_lo, v62, v60
	v_min3_f32 v139, v142, v141, v139
	v_add_co_ci_u32_e32 v61, vcc_lo, v63, v61, vcc_lo
	s_delay_alu instid0(VALU_DEP_4) | instskip(NEXT) | instid1(VALU_DEP_1)
	v_min_f32_e32 v141, v144, v143
	v_min3_f32 v139, v140, v141, v139
	global_store_b32 v[60:61], v139, off
	s_or_b32 exec_lo, exec_lo, s14
	s_and_b32 s16, s1, s8
	s_delay_alu instid0(SALU_CYCLE_1)
	s_and_saveexec_b32 s14, s16
	s_cbranch_execz .LBB18_97
.LBB18_107:
	v_cmp_ne_u32_e32 vcc_lo, 1, v105
	v_lshlrev_b64 v[60:61], 2, v[66:67]
	s_cbranch_vccnz .LBB18_109
; %bb.108:
	s_delay_alu instid0(VALU_DEP_1) | instskip(NEXT) | instid1(VALU_DEP_2)
	v_add_co_u32 v139, vcc_lo, v80, v60
	v_add_co_ci_u32_e32 v140, vcc_lo, v81, v61, vcc_lo
	flat_load_b32 v139, v[139:140]
	s_waitcnt vmcnt(0) lgkmcnt(0)
	v_mul_f32_e32 v139, s15, v139
	s_branch .LBB18_110
.LBB18_109:
	v_mov_b32_e32 v139, 0
.LBB18_110:
	v_dual_add_f32 v140, v29, v57 :: v_dual_add_f32 v141, v28, v56
	v_dual_add_f32 v142, v31, v59 :: v_dual_add_f32 v143, v30, v58
	s_delay_alu instid0(VALU_DEP_4) | instskip(NEXT) | instid1(VALU_DEP_3)
	v_add_co_u32 v60, vcc_lo, v62, v60
	v_min3_f32 v138, v141, v140, v138
	v_add_co_ci_u32_e32 v61, vcc_lo, v63, v61, vcc_lo
	s_delay_alu instid0(VALU_DEP_4) | instskip(NEXT) | instid1(VALU_DEP_1)
	v_min_f32_e32 v140, v143, v142
	v_min3_f32 v138, v139, v140, v138
	global_store_b32 v[60:61], v138, off
	s_or_b32 exec_lo, exec_lo, s14
	s_and_b32 s16, s2, s8
	s_delay_alu instid0(SALU_CYCLE_1)
	s_and_saveexec_b32 s14, s16
	s_cbranch_execz .LBB18_98
.LBB18_111:
	v_cmp_ne_u32_e32 vcc_lo, 1, v105
	v_lshlrev_b64 v[60:61], 2, v[68:69]
	s_cbranch_vccnz .LBB18_113
; %bb.112:
	s_delay_alu instid0(VALU_DEP_1) | instskip(NEXT) | instid1(VALU_DEP_2)
	v_add_co_u32 v138, vcc_lo, v80, v60
	v_add_co_ci_u32_e32 v139, vcc_lo, v81, v61, vcc_lo
	flat_load_b32 v138, v[138:139]
	s_waitcnt vmcnt(0) lgkmcnt(0)
	v_mul_f32_e32 v138, s15, v138
	s_branch .LBB18_114
.LBB18_113:
	v_mov_b32_e32 v138, 0
.LBB18_114:
	v_dual_add_f32 v139, v25, v57 :: v_dual_add_f32 v140, v24, v56
	v_dual_add_f32 v141, v27, v59 :: v_dual_add_f32 v142, v26, v58
	s_delay_alu instid0(VALU_DEP_4) | instskip(NEXT) | instid1(VALU_DEP_3)
	v_add_co_u32 v60, vcc_lo, v62, v60
	v_min3_f32 v137, v140, v139, v137
	v_add_co_ci_u32_e32 v61, vcc_lo, v63, v61, vcc_lo
	s_delay_alu instid0(VALU_DEP_4) | instskip(NEXT) | instid1(VALU_DEP_1)
	v_min_f32_e32 v139, v142, v141
	v_min3_f32 v137, v138, v139, v137
	global_store_b32 v[60:61], v137, off
	s_or_b32 exec_lo, exec_lo, s14
	s_and_b32 s16, s3, s8
	s_delay_alu instid0(SALU_CYCLE_1)
	s_and_saveexec_b32 s14, s16
	s_cbranch_execz .LBB18_99
.LBB18_115:
	v_cmp_ne_u32_e32 vcc_lo, 1, v105
	v_lshlrev_b64 v[60:61], 2, v[70:71]
	s_cbranch_vccnz .LBB18_117
; %bb.116:
	s_delay_alu instid0(VALU_DEP_1) | instskip(NEXT) | instid1(VALU_DEP_2)
	v_add_co_u32 v137, vcc_lo, v80, v60
	v_add_co_ci_u32_e32 v138, vcc_lo, v81, v61, vcc_lo
	flat_load_b32 v137, v[137:138]
	s_waitcnt vmcnt(0) lgkmcnt(0)
	v_mul_f32_e32 v137, s15, v137
	s_branch .LBB18_118
.LBB18_117:
	v_mov_b32_e32 v137, 0
.LBB18_118:
	v_dual_add_f32 v138, v21, v57 :: v_dual_add_f32 v139, v20, v56
	v_dual_add_f32 v140, v23, v59 :: v_dual_add_f32 v141, v22, v58
	s_delay_alu instid0(VALU_DEP_4) | instskip(NEXT) | instid1(VALU_DEP_3)
	v_add_co_u32 v60, vcc_lo, v62, v60
	v_min3_f32 v136, v139, v138, v136
	v_add_co_ci_u32_e32 v61, vcc_lo, v63, v61, vcc_lo
	s_delay_alu instid0(VALU_DEP_4) | instskip(NEXT) | instid1(VALU_DEP_1)
	v_min_f32_e32 v138, v141, v140
	v_min3_f32 v136, v137, v138, v136
	global_store_b32 v[60:61], v136, off
	s_or_b32 exec_lo, exec_lo, s14
	s_and_b32 s16, s4, s8
	s_delay_alu instid0(SALU_CYCLE_1)
	s_and_saveexec_b32 s14, s16
	s_cbranch_execz .LBB18_100
.LBB18_119:
	v_cmp_ne_u32_e32 vcc_lo, 1, v105
	v_lshlrev_b64 v[60:61], 2, v[72:73]
	s_cbranch_vccnz .LBB18_121
; %bb.120:
	s_delay_alu instid0(VALU_DEP_1) | instskip(NEXT) | instid1(VALU_DEP_2)
	v_add_co_u32 v136, vcc_lo, v80, v60
	v_add_co_ci_u32_e32 v137, vcc_lo, v81, v61, vcc_lo
	flat_load_b32 v136, v[136:137]
	s_waitcnt vmcnt(0) lgkmcnt(0)
	v_mul_f32_e32 v136, s15, v136
	s_branch .LBB18_122
.LBB18_121:
	v_mov_b32_e32 v136, 0
.LBB18_122:
	v_dual_add_f32 v137, v17, v57 :: v_dual_add_f32 v138, v16, v56
	v_dual_add_f32 v139, v19, v59 :: v_dual_add_f32 v140, v18, v58
	s_delay_alu instid0(VALU_DEP_4) | instskip(NEXT) | instid1(VALU_DEP_3)
	v_add_co_u32 v60, vcc_lo, v62, v60
	v_min3_f32 v135, v138, v137, v135
	v_add_co_ci_u32_e32 v61, vcc_lo, v63, v61, vcc_lo
	s_delay_alu instid0(VALU_DEP_4) | instskip(NEXT) | instid1(VALU_DEP_1)
	v_min_f32_e32 v137, v140, v139
	v_min3_f32 v135, v136, v137, v135
	global_store_b32 v[60:61], v135, off
	s_or_b32 exec_lo, exec_lo, s14
	s_and_b32 s16, s5, s8
	s_delay_alu instid0(SALU_CYCLE_1)
	s_and_saveexec_b32 s14, s16
	s_cbranch_execz .LBB18_101
.LBB18_123:
	v_cmp_ne_u32_e32 vcc_lo, 1, v105
	v_lshlrev_b64 v[60:61], 2, v[74:75]
	s_cbranch_vccnz .LBB18_125
; %bb.124:
	s_delay_alu instid0(VALU_DEP_1) | instskip(NEXT) | instid1(VALU_DEP_2)
	v_add_co_u32 v135, vcc_lo, v80, v60
	v_add_co_ci_u32_e32 v136, vcc_lo, v81, v61, vcc_lo
	flat_load_b32 v135, v[135:136]
	s_waitcnt vmcnt(0) lgkmcnt(0)
	v_mul_f32_e32 v135, s15, v135
	s_branch .LBB18_126
.LBB18_125:
	v_mov_b32_e32 v135, 0
.LBB18_126:
	v_dual_add_f32 v136, v13, v57 :: v_dual_add_f32 v137, v12, v56
	v_dual_add_f32 v138, v15, v59 :: v_dual_add_f32 v139, v14, v58
	s_delay_alu instid0(VALU_DEP_4) | instskip(NEXT) | instid1(VALU_DEP_3)
	v_add_co_u32 v60, vcc_lo, v62, v60
	v_min3_f32 v134, v137, v136, v134
	v_add_co_ci_u32_e32 v61, vcc_lo, v63, v61, vcc_lo
	s_delay_alu instid0(VALU_DEP_4) | instskip(NEXT) | instid1(VALU_DEP_1)
	v_min_f32_e32 v136, v139, v138
	v_min3_f32 v134, v135, v136, v134
	global_store_b32 v[60:61], v134, off
	s_or_b32 exec_lo, exec_lo, s14
	s_and_b32 s16, s6, s8
	s_delay_alu instid0(SALU_CYCLE_1)
	s_and_saveexec_b32 s14, s16
	s_cbranch_execz .LBB18_102
.LBB18_127:
	v_cmp_ne_u32_e32 vcc_lo, 1, v105
	v_lshlrev_b64 v[60:61], 2, v[76:77]
	s_cbranch_vccnz .LBB18_129
; %bb.128:
	s_delay_alu instid0(VALU_DEP_1) | instskip(NEXT) | instid1(VALU_DEP_2)
	v_add_co_u32 v134, vcc_lo, v80, v60
	v_add_co_ci_u32_e32 v135, vcc_lo, v81, v61, vcc_lo
	flat_load_b32 v134, v[134:135]
	s_waitcnt vmcnt(0) lgkmcnt(0)
	v_mul_f32_e32 v134, s15, v134
	s_branch .LBB18_130
.LBB18_129:
	v_mov_b32_e32 v134, 0
.LBB18_130:
	v_dual_add_f32 v135, v9, v57 :: v_dual_add_f32 v136, v8, v56
	v_dual_add_f32 v137, v11, v59 :: v_dual_add_f32 v138, v10, v58
	s_delay_alu instid0(VALU_DEP_4) | instskip(NEXT) | instid1(VALU_DEP_3)
	v_add_co_u32 v60, vcc_lo, v62, v60
	v_min3_f32 v133, v136, v135, v133
	v_add_co_ci_u32_e32 v61, vcc_lo, v63, v61, vcc_lo
	s_delay_alu instid0(VALU_DEP_4) | instskip(NEXT) | instid1(VALU_DEP_1)
	v_min_f32_e32 v135, v138, v137
	v_min3_f32 v133, v134, v135, v133
	global_store_b32 v[60:61], v133, off
	s_or_b32 exec_lo, exec_lo, s14
	s_and_b32 s14, s7, s8
	s_delay_alu instid0(SALU_CYCLE_1)
	s_and_saveexec_b32 s8, s14
	s_cbranch_execz .LBB18_135
.LBB18_131:
	v_cmp_ne_u32_e32 vcc_lo, 1, v105
	v_lshlrev_b64 v[60:61], 2, v[78:79]
	s_cbranch_vccnz .LBB18_133
; %bb.132:
	s_delay_alu instid0(VALU_DEP_1) | instskip(NEXT) | instid1(VALU_DEP_2)
	v_add_co_u32 v80, vcc_lo, v80, v60
	v_add_co_ci_u32_e32 v81, vcc_lo, v81, v61, vcc_lo
	flat_load_b32 v80, v[80:81]
	s_waitcnt vmcnt(0) lgkmcnt(0)
	v_mul_f32_e32 v80, s15, v80
	s_branch .LBB18_134
.LBB18_133:
	v_mov_b32_e32 v80, 0
.LBB18_134:
	v_dual_add_f32 v57, v1, v57 :: v_dual_add_f32 v56, v0, v56
	v_dual_add_f32 v59, v3, v59 :: v_dual_add_f32 v58, v2, v58
	s_delay_alu instid0(VALU_DEP_2) | instskip(NEXT) | instid1(VALU_DEP_2)
	v_min3_f32 v56, v56, v57, v132
	v_min_f32_e32 v57, v58, v59
	s_delay_alu instid0(VALU_DEP_1)
	v_min3_f32 v58, v80, v57, v56
	v_add_co_u32 v56, vcc_lo, v62, v60
	v_add_co_ci_u32_e32 v57, vcc_lo, v63, v61, vcc_lo
	global_store_b32 v[56:57], v58, off
.LBB18_135:
	s_or_b32 exec_lo, exec_lo, s8
	v_add_nc_u32_e32 v60, 64, v113
	s_delay_alu instid0(VALU_DEP_1) | instskip(SKIP_2) | instid1(VALU_DEP_3)
	v_mad_i64_i32 v[56:57], null, v60, s18, 0
	v_mad_i64_i32 v[58:59], null, v60, s9, 0
	v_cmp_gt_i32_e64 s8, s17, v60
	v_lshlrev_b64 v[56:57], 2, v[56:57]
	s_delay_alu instid0(VALU_DEP_2) | instskip(NEXT) | instid1(VALU_DEP_3)
	s_and_b32 s16, s0, s8
	v_lshlrev_b64 v[58:59], 2, v[58:59]
	s_delay_alu instid0(VALU_DEP_2) | instskip(NEXT) | instid1(VALU_DEP_3)
	v_add_co_u32 v60, vcc_lo, s10, v56
	v_add_co_ci_u32_e32 v61, vcc_lo, s11, v57, vcc_lo
	s_delay_alu instid0(VALU_DEP_3) | instskip(NEXT) | instid1(VALU_DEP_4)
	v_add_co_u32 v58, vcc_lo, s12, v58
	v_add_co_ci_u32_e32 v59, vcc_lo, s13, v59, vcc_lo
	s_and_saveexec_b32 s14, s16
	s_cbranch_execnz .LBB18_143
; %bb.136:
	s_or_b32 exec_lo, exec_lo, s14
	s_and_b32 s16, s1, s8
	s_delay_alu instid0(SALU_CYCLE_1)
	s_and_saveexec_b32 s14, s16
	s_cbranch_execnz .LBB18_147
.LBB18_137:
	s_or_b32 exec_lo, exec_lo, s14
	s_and_b32 s16, s2, s8
	s_delay_alu instid0(SALU_CYCLE_1)
	s_and_saveexec_b32 s14, s16
	s_cbranch_execnz .LBB18_151
.LBB18_138:
	s_or_b32 exec_lo, exec_lo, s14
	s_and_b32 s16, s3, s8
	s_delay_alu instid0(SALU_CYCLE_1)
	s_and_saveexec_b32 s14, s16
	s_cbranch_execnz .LBB18_155
.LBB18_139:
	s_or_b32 exec_lo, exec_lo, s14
	s_and_b32 s16, s4, s8
	s_delay_alu instid0(SALU_CYCLE_1)
	s_and_saveexec_b32 s14, s16
	s_cbranch_execnz .LBB18_159
.LBB18_140:
	s_or_b32 exec_lo, exec_lo, s14
	s_and_b32 s16, s5, s8
	s_delay_alu instid0(SALU_CYCLE_1)
	s_and_saveexec_b32 s14, s16
	s_cbranch_execnz .LBB18_163
.LBB18_141:
	s_or_b32 exec_lo, exec_lo, s14
	s_and_b32 s16, s6, s8
	s_delay_alu instid0(SALU_CYCLE_1)
	s_and_saveexec_b32 s14, s16
	s_cbranch_execnz .LBB18_167
.LBB18_142:
	s_or_b32 exec_lo, exec_lo, s14
	s_and_b32 s14, s7, s8
	s_delay_alu instid0(SALU_CYCLE_1)
	s_and_saveexec_b32 s8, s14
	s_cbranch_execnz .LBB18_171
	s_branch .LBB18_175
.LBB18_143:
	v_cmp_ne_u32_e32 vcc_lo, 1, v105
	v_lshlrev_b64 v[56:57], 2, v[64:65]
	s_cbranch_vccnz .LBB18_145
; %bb.144:
	s_delay_alu instid0(VALU_DEP_1) | instskip(NEXT) | instid1(VALU_DEP_2)
	v_add_co_u32 v62, vcc_lo, v60, v56
	v_add_co_ci_u32_e32 v63, vcc_lo, v61, v57, vcc_lo
	flat_load_b32 v62, v[62:63]
	s_waitcnt vmcnt(0) lgkmcnt(0)
	v_mul_f32_e32 v62, s15, v62
	s_branch .LBB18_146
.LBB18_145:
	v_mov_b32_e32 v62, 0
.LBB18_146:
	v_dual_add_f32 v63, v33, v53 :: v_dual_add_f32 v80, v32, v52
	v_dual_add_f32 v81, v35, v55 :: v_dual_add_f32 v132, v34, v54
	s_delay_alu instid0(VALU_DEP_4) | instskip(NEXT) | instid1(VALU_DEP_3)
	v_add_co_u32 v56, vcc_lo, v58, v56
	v_min3_f32 v63, v80, v63, v131
	v_add_co_ci_u32_e32 v57, vcc_lo, v59, v57, vcc_lo
	s_delay_alu instid0(VALU_DEP_4) | instskip(NEXT) | instid1(VALU_DEP_1)
	v_min_f32_e32 v80, v132, v81
	v_min3_f32 v62, v62, v80, v63
	global_store_b32 v[56:57], v62, off
	s_or_b32 exec_lo, exec_lo, s14
	s_and_b32 s16, s1, s8
	s_delay_alu instid0(SALU_CYCLE_1)
	s_and_saveexec_b32 s14, s16
	s_cbranch_execz .LBB18_137
.LBB18_147:
	v_cmp_ne_u32_e32 vcc_lo, 1, v105
	v_lshlrev_b64 v[56:57], 2, v[66:67]
	s_cbranch_vccnz .LBB18_149
; %bb.148:
	s_delay_alu instid0(VALU_DEP_1) | instskip(NEXT) | instid1(VALU_DEP_2)
	v_add_co_u32 v62, vcc_lo, v60, v56
	v_add_co_ci_u32_e32 v63, vcc_lo, v61, v57, vcc_lo
	flat_load_b32 v62, v[62:63]
	s_waitcnt vmcnt(0) lgkmcnt(0)
	v_mul_f32_e32 v62, s15, v62
	s_branch .LBB18_150
.LBB18_149:
	v_mov_b32_e32 v62, 0
.LBB18_150:
	v_dual_add_f32 v63, v29, v53 :: v_dual_add_f32 v80, v28, v52
	v_add_f32_e32 v81, v31, v55
	v_add_f32_e32 v131, v30, v54
	v_add_co_u32 v56, vcc_lo, v58, v56
	s_delay_alu instid0(VALU_DEP_4) | instskip(SKIP_1) | instid1(VALU_DEP_4)
	v_min3_f32 v63, v80, v63, v130
	v_add_co_ci_u32_e32 v57, vcc_lo, v59, v57, vcc_lo
	v_min_f32_e32 v80, v131, v81
	s_delay_alu instid0(VALU_DEP_1) | instskip(SKIP_3) | instid1(SALU_CYCLE_1)
	v_min3_f32 v62, v62, v80, v63
	global_store_b32 v[56:57], v62, off
	s_or_b32 exec_lo, exec_lo, s14
	s_and_b32 s16, s2, s8
	s_and_saveexec_b32 s14, s16
	s_cbranch_execz .LBB18_138
.LBB18_151:
	v_cmp_ne_u32_e32 vcc_lo, 1, v105
	v_lshlrev_b64 v[56:57], 2, v[68:69]
	s_cbranch_vccnz .LBB18_153
; %bb.152:
	s_delay_alu instid0(VALU_DEP_1) | instskip(NEXT) | instid1(VALU_DEP_2)
	v_add_co_u32 v62, vcc_lo, v60, v56
	v_add_co_ci_u32_e32 v63, vcc_lo, v61, v57, vcc_lo
	flat_load_b32 v62, v[62:63]
	s_waitcnt vmcnt(0) lgkmcnt(0)
	v_mul_f32_e32 v62, s15, v62
	s_branch .LBB18_154
.LBB18_153:
	v_mov_b32_e32 v62, 0
.LBB18_154:
	v_dual_add_f32 v63, v25, v53 :: v_dual_add_f32 v80, v24, v52
	v_dual_add_f32 v81, v27, v55 :: v_dual_add_f32 v130, v26, v54
	s_delay_alu instid0(VALU_DEP_4) | instskip(NEXT) | instid1(VALU_DEP_3)
	v_add_co_u32 v56, vcc_lo, v58, v56
	v_min3_f32 v63, v80, v63, v129
	v_add_co_ci_u32_e32 v57, vcc_lo, v59, v57, vcc_lo
	s_delay_alu instid0(VALU_DEP_4) | instskip(NEXT) | instid1(VALU_DEP_1)
	v_min_f32_e32 v80, v130, v81
	v_min3_f32 v62, v62, v80, v63
	global_store_b32 v[56:57], v62, off
	s_or_b32 exec_lo, exec_lo, s14
	s_and_b32 s16, s3, s8
	s_delay_alu instid0(SALU_CYCLE_1)
	s_and_saveexec_b32 s14, s16
	s_cbranch_execz .LBB18_139
.LBB18_155:
	v_cmp_ne_u32_e32 vcc_lo, 1, v105
	v_lshlrev_b64 v[56:57], 2, v[70:71]
	s_cbranch_vccnz .LBB18_157
; %bb.156:
	s_delay_alu instid0(VALU_DEP_1) | instskip(NEXT) | instid1(VALU_DEP_2)
	v_add_co_u32 v62, vcc_lo, v60, v56
	v_add_co_ci_u32_e32 v63, vcc_lo, v61, v57, vcc_lo
	flat_load_b32 v62, v[62:63]
	s_waitcnt vmcnt(0) lgkmcnt(0)
	v_mul_f32_e32 v62, s15, v62
	s_branch .LBB18_158
.LBB18_157:
	v_mov_b32_e32 v62, 0
.LBB18_158:
	v_dual_add_f32 v63, v21, v53 :: v_dual_add_f32 v80, v20, v52
	v_add_f32_e32 v81, v23, v55
	v_add_f32_e32 v129, v22, v54
	v_add_co_u32 v56, vcc_lo, v58, v56
	s_delay_alu instid0(VALU_DEP_4) | instskip(SKIP_1) | instid1(VALU_DEP_4)
	v_min3_f32 v63, v80, v63, v128
	v_add_co_ci_u32_e32 v57, vcc_lo, v59, v57, vcc_lo
	v_min_f32_e32 v80, v129, v81
	s_delay_alu instid0(VALU_DEP_1) | instskip(SKIP_3) | instid1(SALU_CYCLE_1)
	v_min3_f32 v62, v62, v80, v63
	global_store_b32 v[56:57], v62, off
	s_or_b32 exec_lo, exec_lo, s14
	s_and_b32 s16, s4, s8
	s_and_saveexec_b32 s14, s16
	s_cbranch_execz .LBB18_140
.LBB18_159:
	v_cmp_ne_u32_e32 vcc_lo, 1, v105
	v_lshlrev_b64 v[56:57], 2, v[72:73]
	s_cbranch_vccnz .LBB18_161
; %bb.160:
	s_delay_alu instid0(VALU_DEP_1) | instskip(NEXT) | instid1(VALU_DEP_2)
	v_add_co_u32 v62, vcc_lo, v60, v56
	v_add_co_ci_u32_e32 v63, vcc_lo, v61, v57, vcc_lo
	flat_load_b32 v62, v[62:63]
	s_waitcnt vmcnt(0) lgkmcnt(0)
	v_mul_f32_e32 v62, s15, v62
	s_branch .LBB18_162
.LBB18_161:
	v_mov_b32_e32 v62, 0
.LBB18_162:
	v_dual_add_f32 v63, v17, v53 :: v_dual_add_f32 v80, v16, v52
	v_dual_add_f32 v81, v19, v55 :: v_dual_add_f32 v128, v18, v54
	s_delay_alu instid0(VALU_DEP_4) | instskip(NEXT) | instid1(VALU_DEP_3)
	v_add_co_u32 v56, vcc_lo, v58, v56
	v_min3_f32 v63, v80, v63, v127
	v_add_co_ci_u32_e32 v57, vcc_lo, v59, v57, vcc_lo
	s_delay_alu instid0(VALU_DEP_4) | instskip(NEXT) | instid1(VALU_DEP_1)
	v_min_f32_e32 v80, v128, v81
	v_min3_f32 v62, v62, v80, v63
	global_store_b32 v[56:57], v62, off
	s_or_b32 exec_lo, exec_lo, s14
	s_and_b32 s16, s5, s8
	s_delay_alu instid0(SALU_CYCLE_1)
	s_and_saveexec_b32 s14, s16
	s_cbranch_execz .LBB18_141
.LBB18_163:
	v_cmp_ne_u32_e32 vcc_lo, 1, v105
	v_lshlrev_b64 v[56:57], 2, v[74:75]
	s_cbranch_vccnz .LBB18_165
; %bb.164:
	s_delay_alu instid0(VALU_DEP_1) | instskip(NEXT) | instid1(VALU_DEP_2)
	v_add_co_u32 v62, vcc_lo, v60, v56
	v_add_co_ci_u32_e32 v63, vcc_lo, v61, v57, vcc_lo
	flat_load_b32 v62, v[62:63]
	s_waitcnt vmcnt(0) lgkmcnt(0)
	v_mul_f32_e32 v62, s15, v62
	s_branch .LBB18_166
.LBB18_165:
	v_mov_b32_e32 v62, 0
.LBB18_166:
	v_dual_add_f32 v63, v13, v53 :: v_dual_add_f32 v80, v12, v52
	v_add_f32_e32 v81, v15, v55
	v_add_f32_e32 v127, v14, v54
	v_add_co_u32 v56, vcc_lo, v58, v56
	s_delay_alu instid0(VALU_DEP_4) | instskip(SKIP_1) | instid1(VALU_DEP_4)
	v_min3_f32 v63, v80, v63, v126
	v_add_co_ci_u32_e32 v57, vcc_lo, v59, v57, vcc_lo
	v_min_f32_e32 v80, v127, v81
	s_delay_alu instid0(VALU_DEP_1) | instskip(SKIP_3) | instid1(SALU_CYCLE_1)
	v_min3_f32 v62, v62, v80, v63
	global_store_b32 v[56:57], v62, off
	s_or_b32 exec_lo, exec_lo, s14
	s_and_b32 s16, s6, s8
	s_and_saveexec_b32 s14, s16
	s_cbranch_execz .LBB18_142
.LBB18_167:
	v_cmp_ne_u32_e32 vcc_lo, 1, v105
	v_lshlrev_b64 v[56:57], 2, v[76:77]
	s_cbranch_vccnz .LBB18_169
; %bb.168:
	s_delay_alu instid0(VALU_DEP_1) | instskip(NEXT) | instid1(VALU_DEP_2)
	v_add_co_u32 v62, vcc_lo, v60, v56
	v_add_co_ci_u32_e32 v63, vcc_lo, v61, v57, vcc_lo
	flat_load_b32 v62, v[62:63]
	s_waitcnt vmcnt(0) lgkmcnt(0)
	v_mul_f32_e32 v62, s15, v62
	s_branch .LBB18_170
.LBB18_169:
	v_mov_b32_e32 v62, 0
.LBB18_170:
	v_dual_add_f32 v63, v9, v53 :: v_dual_add_f32 v80, v8, v52
	v_dual_add_f32 v81, v11, v55 :: v_dual_add_f32 v126, v10, v54
	s_delay_alu instid0(VALU_DEP_4) | instskip(NEXT) | instid1(VALU_DEP_3)
	v_add_co_u32 v56, vcc_lo, v58, v56
	v_min3_f32 v63, v80, v63, v125
	v_add_co_ci_u32_e32 v57, vcc_lo, v59, v57, vcc_lo
	s_delay_alu instid0(VALU_DEP_4) | instskip(NEXT) | instid1(VALU_DEP_1)
	v_min_f32_e32 v80, v126, v81
	v_min3_f32 v62, v62, v80, v63
	global_store_b32 v[56:57], v62, off
	s_or_b32 exec_lo, exec_lo, s14
	s_and_b32 s14, s7, s8
	s_delay_alu instid0(SALU_CYCLE_1)
	s_and_saveexec_b32 s8, s14
	s_cbranch_execz .LBB18_175
.LBB18_171:
	v_cmp_ne_u32_e32 vcc_lo, 1, v105
	v_lshlrev_b64 v[56:57], 2, v[78:79]
	s_cbranch_vccnz .LBB18_173
; %bb.172:
	s_delay_alu instid0(VALU_DEP_1) | instskip(NEXT) | instid1(VALU_DEP_2)
	v_add_co_u32 v60, vcc_lo, v60, v56
	v_add_co_ci_u32_e32 v61, vcc_lo, v61, v57, vcc_lo
	flat_load_b32 v60, v[60:61]
	s_waitcnt vmcnt(0) lgkmcnt(0)
	v_mul_f32_e32 v60, s15, v60
	s_branch .LBB18_174
.LBB18_173:
	v_mov_b32_e32 v60, 0
.LBB18_174:
	v_dual_add_f32 v53, v1, v53 :: v_dual_add_f32 v52, v0, v52
	v_dual_add_f32 v55, v3, v55 :: v_dual_add_f32 v54, v2, v54
	s_delay_alu instid0(VALU_DEP_2) | instskip(NEXT) | instid1(VALU_DEP_2)
	v_min3_f32 v52, v52, v53, v124
	v_min_f32_e32 v53, v54, v55
	s_delay_alu instid0(VALU_DEP_1)
	v_min3_f32 v54, v60, v53, v52
	v_add_co_u32 v52, vcc_lo, v58, v56
	v_add_co_ci_u32_e32 v53, vcc_lo, v59, v57, vcc_lo
	global_store_b32 v[52:53], v54, off
.LBB18_175:
	s_or_b32 exec_lo, exec_lo, s8
	v_add_nc_u32_e32 v56, 0x60, v113
	s_delay_alu instid0(VALU_DEP_1) | instskip(SKIP_2) | instid1(VALU_DEP_3)
	v_mad_i64_i32 v[52:53], null, v56, s18, 0
	v_mad_i64_i32 v[54:55], null, v56, s9, 0
	v_cmp_gt_i32_e64 s8, s17, v56
	v_lshlrev_b64 v[52:53], 2, v[52:53]
	s_delay_alu instid0(VALU_DEP_2) | instskip(NEXT) | instid1(VALU_DEP_3)
	s_and_b32 s16, s0, s8
	v_lshlrev_b64 v[54:55], 2, v[54:55]
	s_delay_alu instid0(VALU_DEP_2) | instskip(NEXT) | instid1(VALU_DEP_3)
	v_add_co_u32 v56, vcc_lo, s10, v52
	v_add_co_ci_u32_e32 v57, vcc_lo, s11, v53, vcc_lo
	s_delay_alu instid0(VALU_DEP_3) | instskip(NEXT) | instid1(VALU_DEP_4)
	v_add_co_u32 v54, vcc_lo, s12, v54
	v_add_co_ci_u32_e32 v55, vcc_lo, s13, v55, vcc_lo
	s_and_saveexec_b32 s14, s16
	s_cbranch_execnz .LBB18_183
; %bb.176:
	s_or_b32 exec_lo, exec_lo, s14
	s_and_b32 s16, s1, s8
	s_delay_alu instid0(SALU_CYCLE_1)
	s_and_saveexec_b32 s14, s16
	s_cbranch_execnz .LBB18_187
.LBB18_177:
	s_or_b32 exec_lo, exec_lo, s14
	s_and_b32 s16, s2, s8
	s_delay_alu instid0(SALU_CYCLE_1)
	s_and_saveexec_b32 s14, s16
	s_cbranch_execnz .LBB18_191
.LBB18_178:
	s_or_b32 exec_lo, exec_lo, s14
	s_and_b32 s16, s3, s8
	s_delay_alu instid0(SALU_CYCLE_1)
	s_and_saveexec_b32 s14, s16
	s_cbranch_execnz .LBB18_195
.LBB18_179:
	s_or_b32 exec_lo, exec_lo, s14
	s_and_b32 s16, s4, s8
	s_delay_alu instid0(SALU_CYCLE_1)
	s_and_saveexec_b32 s14, s16
	s_cbranch_execnz .LBB18_199
.LBB18_180:
	s_or_b32 exec_lo, exec_lo, s14
	s_and_b32 s16, s5, s8
	s_delay_alu instid0(SALU_CYCLE_1)
	s_and_saveexec_b32 s14, s16
	s_cbranch_execnz .LBB18_203
.LBB18_181:
	s_or_b32 exec_lo, exec_lo, s14
	s_and_b32 s16, s6, s8
	s_delay_alu instid0(SALU_CYCLE_1)
	s_and_saveexec_b32 s14, s16
	s_cbranch_execnz .LBB18_207
.LBB18_182:
	s_or_b32 exec_lo, exec_lo, s14
	s_and_b32 s14, s7, s8
	s_delay_alu instid0(SALU_CYCLE_1)
	s_and_saveexec_b32 s8, s14
	s_cbranch_execnz .LBB18_211
	s_branch .LBB18_215
.LBB18_183:
	v_cmp_ne_u32_e32 vcc_lo, 1, v105
	v_lshlrev_b64 v[52:53], 2, v[64:65]
	s_cbranch_vccnz .LBB18_185
; %bb.184:
	s_delay_alu instid0(VALU_DEP_1) | instskip(NEXT) | instid1(VALU_DEP_2)
	v_add_co_u32 v58, vcc_lo, v56, v52
	v_add_co_ci_u32_e32 v59, vcc_lo, v57, v53, vcc_lo
	flat_load_b32 v58, v[58:59]
	s_waitcnt vmcnt(0) lgkmcnt(0)
	v_mul_f32_e32 v58, s15, v58
	s_branch .LBB18_186
.LBB18_185:
	v_mov_b32_e32 v58, 0
.LBB18_186:
	v_dual_add_f32 v59, v33, v49 :: v_dual_add_f32 v60, v32, v48
	v_dual_add_f32 v61, v35, v51 :: v_dual_add_f32 v62, v34, v50
	s_delay_alu instid0(VALU_DEP_4) | instskip(NEXT) | instid1(VALU_DEP_3)
	v_add_co_u32 v52, vcc_lo, v54, v52
	v_min3_f32 v59, v60, v59, v123
	v_add_co_ci_u32_e32 v53, vcc_lo, v55, v53, vcc_lo
	s_delay_alu instid0(VALU_DEP_4) | instskip(NEXT) | instid1(VALU_DEP_1)
	v_min_f32_e32 v60, v62, v61
	v_min3_f32 v58, v58, v60, v59
	global_store_b32 v[52:53], v58, off
	s_or_b32 exec_lo, exec_lo, s14
	s_and_b32 s16, s1, s8
	s_delay_alu instid0(SALU_CYCLE_1)
	s_and_saveexec_b32 s14, s16
	s_cbranch_execz .LBB18_177
.LBB18_187:
	v_cmp_ne_u32_e32 vcc_lo, 1, v105
	v_lshlrev_b64 v[52:53], 2, v[66:67]
	s_cbranch_vccnz .LBB18_189
; %bb.188:
	s_delay_alu instid0(VALU_DEP_1) | instskip(NEXT) | instid1(VALU_DEP_2)
	v_add_co_u32 v58, vcc_lo, v56, v52
	v_add_co_ci_u32_e32 v59, vcc_lo, v57, v53, vcc_lo
	flat_load_b32 v58, v[58:59]
	s_waitcnt vmcnt(0) lgkmcnt(0)
	v_mul_f32_e32 v58, s15, v58
	s_branch .LBB18_190
.LBB18_189:
	v_mov_b32_e32 v58, 0
.LBB18_190:
	v_dual_add_f32 v59, v29, v49 :: v_dual_add_f32 v60, v28, v48
	v_dual_add_f32 v61, v31, v51 :: v_dual_add_f32 v62, v30, v50
	s_delay_alu instid0(VALU_DEP_4) | instskip(NEXT) | instid1(VALU_DEP_3)
	v_add_co_u32 v52, vcc_lo, v54, v52
	v_min3_f32 v59, v60, v59, v122
	v_add_co_ci_u32_e32 v53, vcc_lo, v55, v53, vcc_lo
	s_delay_alu instid0(VALU_DEP_4) | instskip(NEXT) | instid1(VALU_DEP_1)
	v_min_f32_e32 v60, v62, v61
	v_min3_f32 v58, v58, v60, v59
	global_store_b32 v[52:53], v58, off
	s_or_b32 exec_lo, exec_lo, s14
	s_and_b32 s16, s2, s8
	s_delay_alu instid0(SALU_CYCLE_1)
	s_and_saveexec_b32 s14, s16
	s_cbranch_execz .LBB18_178
.LBB18_191:
	v_cmp_ne_u32_e32 vcc_lo, 1, v105
	v_lshlrev_b64 v[52:53], 2, v[68:69]
	s_cbranch_vccnz .LBB18_193
; %bb.192:
	s_delay_alu instid0(VALU_DEP_1) | instskip(NEXT) | instid1(VALU_DEP_2)
	v_add_co_u32 v58, vcc_lo, v56, v52
	v_add_co_ci_u32_e32 v59, vcc_lo, v57, v53, vcc_lo
	flat_load_b32 v58, v[58:59]
	s_waitcnt vmcnt(0) lgkmcnt(0)
	v_mul_f32_e32 v58, s15, v58
	s_branch .LBB18_194
.LBB18_193:
	v_mov_b32_e32 v58, 0
.LBB18_194:
	v_dual_add_f32 v59, v25, v49 :: v_dual_add_f32 v60, v24, v48
	v_dual_add_f32 v61, v27, v51 :: v_dual_add_f32 v62, v26, v50
	s_delay_alu instid0(VALU_DEP_4) | instskip(NEXT) | instid1(VALU_DEP_3)
	v_add_co_u32 v52, vcc_lo, v54, v52
	v_min3_f32 v59, v60, v59, v121
	v_add_co_ci_u32_e32 v53, vcc_lo, v55, v53, vcc_lo
	s_delay_alu instid0(VALU_DEP_4) | instskip(NEXT) | instid1(VALU_DEP_1)
	v_min_f32_e32 v60, v62, v61
	v_min3_f32 v58, v58, v60, v59
	global_store_b32 v[52:53], v58, off
	s_or_b32 exec_lo, exec_lo, s14
	s_and_b32 s16, s3, s8
	s_delay_alu instid0(SALU_CYCLE_1)
	s_and_saveexec_b32 s14, s16
	s_cbranch_execz .LBB18_179
.LBB18_195:
	v_cmp_ne_u32_e32 vcc_lo, 1, v105
	v_lshlrev_b64 v[52:53], 2, v[70:71]
	s_cbranch_vccnz .LBB18_197
; %bb.196:
	s_delay_alu instid0(VALU_DEP_1) | instskip(NEXT) | instid1(VALU_DEP_2)
	v_add_co_u32 v58, vcc_lo, v56, v52
	v_add_co_ci_u32_e32 v59, vcc_lo, v57, v53, vcc_lo
	flat_load_b32 v58, v[58:59]
	s_waitcnt vmcnt(0) lgkmcnt(0)
	v_mul_f32_e32 v58, s15, v58
	s_branch .LBB18_198
.LBB18_197:
	v_mov_b32_e32 v58, 0
.LBB18_198:
	v_dual_add_f32 v59, v21, v49 :: v_dual_add_f32 v60, v20, v48
	v_dual_add_f32 v61, v23, v51 :: v_dual_add_f32 v62, v22, v50
	s_delay_alu instid0(VALU_DEP_4) | instskip(NEXT) | instid1(VALU_DEP_3)
	v_add_co_u32 v52, vcc_lo, v54, v52
	v_min3_f32 v59, v60, v59, v120
	v_add_co_ci_u32_e32 v53, vcc_lo, v55, v53, vcc_lo
	s_delay_alu instid0(VALU_DEP_4) | instskip(NEXT) | instid1(VALU_DEP_1)
	v_min_f32_e32 v60, v62, v61
	v_min3_f32 v58, v58, v60, v59
	global_store_b32 v[52:53], v58, off
	s_or_b32 exec_lo, exec_lo, s14
	s_and_b32 s16, s4, s8
	s_delay_alu instid0(SALU_CYCLE_1)
	s_and_saveexec_b32 s14, s16
	s_cbranch_execz .LBB18_180
.LBB18_199:
	v_cmp_ne_u32_e32 vcc_lo, 1, v105
	v_lshlrev_b64 v[52:53], 2, v[72:73]
	s_cbranch_vccnz .LBB18_201
; %bb.200:
	s_delay_alu instid0(VALU_DEP_1) | instskip(NEXT) | instid1(VALU_DEP_2)
	v_add_co_u32 v58, vcc_lo, v56, v52
	v_add_co_ci_u32_e32 v59, vcc_lo, v57, v53, vcc_lo
	flat_load_b32 v58, v[58:59]
	s_waitcnt vmcnt(0) lgkmcnt(0)
	v_mul_f32_e32 v58, s15, v58
	s_branch .LBB18_202
.LBB18_201:
	v_mov_b32_e32 v58, 0
.LBB18_202:
	v_dual_add_f32 v59, v17, v49 :: v_dual_add_f32 v60, v16, v48
	v_dual_add_f32 v61, v19, v51 :: v_dual_add_f32 v62, v18, v50
	s_delay_alu instid0(VALU_DEP_4) | instskip(NEXT) | instid1(VALU_DEP_3)
	v_add_co_u32 v52, vcc_lo, v54, v52
	v_min3_f32 v59, v60, v59, v119
	v_add_co_ci_u32_e32 v53, vcc_lo, v55, v53, vcc_lo
	s_delay_alu instid0(VALU_DEP_4) | instskip(NEXT) | instid1(VALU_DEP_1)
	v_min_f32_e32 v60, v62, v61
	v_min3_f32 v58, v58, v60, v59
	global_store_b32 v[52:53], v58, off
	s_or_b32 exec_lo, exec_lo, s14
	s_and_b32 s16, s5, s8
	s_delay_alu instid0(SALU_CYCLE_1)
	s_and_saveexec_b32 s14, s16
	s_cbranch_execz .LBB18_181
.LBB18_203:
	v_cmp_ne_u32_e32 vcc_lo, 1, v105
	v_lshlrev_b64 v[52:53], 2, v[74:75]
	s_cbranch_vccnz .LBB18_205
; %bb.204:
	s_delay_alu instid0(VALU_DEP_1) | instskip(NEXT) | instid1(VALU_DEP_2)
	v_add_co_u32 v58, vcc_lo, v56, v52
	v_add_co_ci_u32_e32 v59, vcc_lo, v57, v53, vcc_lo
	flat_load_b32 v58, v[58:59]
	s_waitcnt vmcnt(0) lgkmcnt(0)
	v_mul_f32_e32 v58, s15, v58
	s_branch .LBB18_206
.LBB18_205:
	v_mov_b32_e32 v58, 0
.LBB18_206:
	v_dual_add_f32 v59, v13, v49 :: v_dual_add_f32 v60, v12, v48
	v_dual_add_f32 v61, v15, v51 :: v_dual_add_f32 v62, v14, v50
	s_delay_alu instid0(VALU_DEP_4) | instskip(NEXT) | instid1(VALU_DEP_3)
	v_add_co_u32 v52, vcc_lo, v54, v52
	v_min3_f32 v59, v60, v59, v118
	v_add_co_ci_u32_e32 v53, vcc_lo, v55, v53, vcc_lo
	s_delay_alu instid0(VALU_DEP_4) | instskip(NEXT) | instid1(VALU_DEP_1)
	v_min_f32_e32 v60, v62, v61
	v_min3_f32 v58, v58, v60, v59
	global_store_b32 v[52:53], v58, off
	s_or_b32 exec_lo, exec_lo, s14
	s_and_b32 s16, s6, s8
	s_delay_alu instid0(SALU_CYCLE_1)
	s_and_saveexec_b32 s14, s16
	s_cbranch_execz .LBB18_182
.LBB18_207:
	v_cmp_ne_u32_e32 vcc_lo, 1, v105
	v_lshlrev_b64 v[52:53], 2, v[76:77]
	s_cbranch_vccnz .LBB18_209
; %bb.208:
	s_delay_alu instid0(VALU_DEP_1) | instskip(NEXT) | instid1(VALU_DEP_2)
	v_add_co_u32 v58, vcc_lo, v56, v52
	v_add_co_ci_u32_e32 v59, vcc_lo, v57, v53, vcc_lo
	flat_load_b32 v58, v[58:59]
	s_waitcnt vmcnt(0) lgkmcnt(0)
	v_mul_f32_e32 v58, s15, v58
	s_branch .LBB18_210
.LBB18_209:
	v_mov_b32_e32 v58, 0
.LBB18_210:
	v_dual_add_f32 v59, v9, v49 :: v_dual_add_f32 v60, v8, v48
	v_dual_add_f32 v61, v11, v51 :: v_dual_add_f32 v62, v10, v50
	s_delay_alu instid0(VALU_DEP_4) | instskip(NEXT) | instid1(VALU_DEP_3)
	v_add_co_u32 v52, vcc_lo, v54, v52
	v_min3_f32 v59, v60, v59, v117
	v_add_co_ci_u32_e32 v53, vcc_lo, v55, v53, vcc_lo
	s_delay_alu instid0(VALU_DEP_4) | instskip(NEXT) | instid1(VALU_DEP_1)
	v_min_f32_e32 v60, v62, v61
	v_min3_f32 v58, v58, v60, v59
	global_store_b32 v[52:53], v58, off
	s_or_b32 exec_lo, exec_lo, s14
	s_and_b32 s14, s7, s8
	s_delay_alu instid0(SALU_CYCLE_1)
	s_and_saveexec_b32 s8, s14
	s_cbranch_execz .LBB18_215
.LBB18_211:
	v_cmp_ne_u32_e32 vcc_lo, 1, v105
	v_lshlrev_b64 v[52:53], 2, v[78:79]
	s_cbranch_vccnz .LBB18_213
; %bb.212:
	s_delay_alu instid0(VALU_DEP_1) | instskip(NEXT) | instid1(VALU_DEP_2)
	v_add_co_u32 v56, vcc_lo, v56, v52
	v_add_co_ci_u32_e32 v57, vcc_lo, v57, v53, vcc_lo
	flat_load_b32 v56, v[56:57]
	s_waitcnt vmcnt(0) lgkmcnt(0)
	v_mul_f32_e32 v56, s15, v56
	s_branch .LBB18_214
.LBB18_213:
	v_mov_b32_e32 v56, 0
.LBB18_214:
	v_dual_add_f32 v49, v1, v49 :: v_dual_add_f32 v48, v0, v48
	v_dual_add_f32 v51, v3, v51 :: v_dual_add_f32 v50, v2, v50
	s_delay_alu instid0(VALU_DEP_2) | instskip(NEXT) | instid1(VALU_DEP_2)
	v_min3_f32 v48, v48, v49, v116
	v_min_f32_e32 v49, v50, v51
	s_delay_alu instid0(VALU_DEP_1)
	v_min3_f32 v50, v56, v49, v48
	v_add_co_u32 v48, vcc_lo, v54, v52
	v_add_co_ci_u32_e32 v49, vcc_lo, v55, v53, vcc_lo
	global_store_b32 v[48:49], v50, off
.LBB18_215:
	s_or_b32 exec_lo, exec_lo, s8
	v_add_nc_u32_e32 v52, 0x80, v113
	s_delay_alu instid0(VALU_DEP_1) | instskip(SKIP_2) | instid1(VALU_DEP_3)
	v_mad_i64_i32 v[48:49], null, v52, s18, 0
	v_mad_i64_i32 v[50:51], null, v52, s9, 0
	v_cmp_gt_i32_e64 s8, s17, v52
	v_lshlrev_b64 v[48:49], 2, v[48:49]
	s_delay_alu instid0(VALU_DEP_2) | instskip(NEXT) | instid1(VALU_DEP_3)
	s_and_b32 s16, s0, s8
	v_lshlrev_b64 v[50:51], 2, v[50:51]
	s_delay_alu instid0(VALU_DEP_2) | instskip(NEXT) | instid1(VALU_DEP_3)
	v_add_co_u32 v52, vcc_lo, s10, v48
	v_add_co_ci_u32_e32 v53, vcc_lo, s11, v49, vcc_lo
	s_delay_alu instid0(VALU_DEP_3) | instskip(NEXT) | instid1(VALU_DEP_4)
	v_add_co_u32 v50, vcc_lo, s12, v50
	v_add_co_ci_u32_e32 v51, vcc_lo, s13, v51, vcc_lo
	s_and_saveexec_b32 s14, s16
	s_cbranch_execnz .LBB18_223
; %bb.216:
	s_or_b32 exec_lo, exec_lo, s14
	s_and_b32 s16, s1, s8
	s_delay_alu instid0(SALU_CYCLE_1)
	s_and_saveexec_b32 s14, s16
	s_cbranch_execnz .LBB18_227
.LBB18_217:
	s_or_b32 exec_lo, exec_lo, s14
	s_and_b32 s16, s2, s8
	s_delay_alu instid0(SALU_CYCLE_1)
	s_and_saveexec_b32 s14, s16
	s_cbranch_execnz .LBB18_231
.LBB18_218:
	s_or_b32 exec_lo, exec_lo, s14
	s_and_b32 s16, s3, s8
	s_delay_alu instid0(SALU_CYCLE_1)
	s_and_saveexec_b32 s14, s16
	s_cbranch_execnz .LBB18_235
.LBB18_219:
	s_or_b32 exec_lo, exec_lo, s14
	s_and_b32 s16, s4, s8
	s_delay_alu instid0(SALU_CYCLE_1)
	s_and_saveexec_b32 s14, s16
	s_cbranch_execnz .LBB18_239
.LBB18_220:
	s_or_b32 exec_lo, exec_lo, s14
	s_and_b32 s16, s5, s8
	s_delay_alu instid0(SALU_CYCLE_1)
	s_and_saveexec_b32 s14, s16
	s_cbranch_execnz .LBB18_243
.LBB18_221:
	s_or_b32 exec_lo, exec_lo, s14
	s_and_b32 s16, s6, s8
	s_delay_alu instid0(SALU_CYCLE_1)
	s_and_saveexec_b32 s14, s16
	s_cbranch_execnz .LBB18_247
.LBB18_222:
	s_or_b32 exec_lo, exec_lo, s14
	s_and_b32 s14, s7, s8
	s_delay_alu instid0(SALU_CYCLE_1)
	s_and_saveexec_b32 s8, s14
	s_cbranch_execnz .LBB18_251
	s_branch .LBB18_255
.LBB18_223:
	v_cmp_ne_u32_e32 vcc_lo, 1, v105
	v_lshlrev_b64 v[48:49], 2, v[64:65]
	s_cbranch_vccnz .LBB18_225
; %bb.224:
	s_delay_alu instid0(VALU_DEP_1) | instskip(NEXT) | instid1(VALU_DEP_2)
	v_add_co_u32 v54, vcc_lo, v52, v48
	v_add_co_ci_u32_e32 v55, vcc_lo, v53, v49, vcc_lo
	flat_load_b32 v54, v[54:55]
	s_waitcnt vmcnt(0) lgkmcnt(0)
	v_mul_f32_e32 v54, s15, v54
	s_branch .LBB18_226
.LBB18_225:
	v_mov_b32_e32 v54, 0
.LBB18_226:
	v_dual_add_f32 v55, v33, v45 :: v_dual_add_f32 v56, v32, v44
	v_dual_add_f32 v57, v35, v47 :: v_dual_add_f32 v58, v34, v46
	s_delay_alu instid0(VALU_DEP_4) | instskip(NEXT) | instid1(VALU_DEP_3)
	v_add_co_u32 v48, vcc_lo, v50, v48
	v_min3_f32 v55, v56, v55, v115
	v_add_co_ci_u32_e32 v49, vcc_lo, v51, v49, vcc_lo
	s_delay_alu instid0(VALU_DEP_4) | instskip(NEXT) | instid1(VALU_DEP_1)
	v_min_f32_e32 v56, v58, v57
	v_min3_f32 v54, v54, v56, v55
	global_store_b32 v[48:49], v54, off
	s_or_b32 exec_lo, exec_lo, s14
	s_and_b32 s16, s1, s8
	s_delay_alu instid0(SALU_CYCLE_1)
	s_and_saveexec_b32 s14, s16
	s_cbranch_execz .LBB18_217
.LBB18_227:
	v_cmp_ne_u32_e32 vcc_lo, 1, v105
	v_lshlrev_b64 v[48:49], 2, v[66:67]
	s_cbranch_vccnz .LBB18_229
; %bb.228:
	s_delay_alu instid0(VALU_DEP_1) | instskip(NEXT) | instid1(VALU_DEP_2)
	v_add_co_u32 v54, vcc_lo, v52, v48
	v_add_co_ci_u32_e32 v55, vcc_lo, v53, v49, vcc_lo
	flat_load_b32 v54, v[54:55]
	s_waitcnt vmcnt(0) lgkmcnt(0)
	v_mul_f32_e32 v54, s15, v54
	s_branch .LBB18_230
.LBB18_229:
	v_mov_b32_e32 v54, 0
.LBB18_230:
	v_dual_add_f32 v55, v29, v45 :: v_dual_add_f32 v56, v28, v44
	v_dual_add_f32 v57, v31, v47 :: v_dual_add_f32 v58, v30, v46
	s_delay_alu instid0(VALU_DEP_4) | instskip(NEXT) | instid1(VALU_DEP_3)
	v_add_co_u32 v48, vcc_lo, v50, v48
	v_min3_f32 v55, v56, v55, v114
	v_add_co_ci_u32_e32 v49, vcc_lo, v51, v49, vcc_lo
	s_delay_alu instid0(VALU_DEP_4) | instskip(NEXT) | instid1(VALU_DEP_1)
	v_min_f32_e32 v56, v58, v57
	v_min3_f32 v54, v54, v56, v55
	global_store_b32 v[48:49], v54, off
	s_or_b32 exec_lo, exec_lo, s14
	s_and_b32 s16, s2, s8
	s_delay_alu instid0(SALU_CYCLE_1)
	s_and_saveexec_b32 s14, s16
	s_cbranch_execz .LBB18_218
.LBB18_231:
	v_cmp_ne_u32_e32 vcc_lo, 1, v105
	v_lshlrev_b64 v[48:49], 2, v[68:69]
	s_cbranch_vccnz .LBB18_233
; %bb.232:
	s_delay_alu instid0(VALU_DEP_1) | instskip(NEXT) | instid1(VALU_DEP_2)
	v_add_co_u32 v54, vcc_lo, v52, v48
	v_add_co_ci_u32_e32 v55, vcc_lo, v53, v49, vcc_lo
	flat_load_b32 v54, v[54:55]
	s_waitcnt vmcnt(0) lgkmcnt(0)
	v_mul_f32_e32 v54, s15, v54
	s_branch .LBB18_234
.LBB18_233:
	v_mov_b32_e32 v54, 0
.LBB18_234:
	v_dual_add_f32 v55, v25, v45 :: v_dual_add_f32 v56, v24, v44
	v_dual_add_f32 v57, v27, v47 :: v_dual_add_f32 v58, v26, v46
	s_delay_alu instid0(VALU_DEP_4) | instskip(NEXT) | instid1(VALU_DEP_3)
	v_add_co_u32 v48, vcc_lo, v50, v48
	v_min3_f32 v55, v56, v55, v112
	v_add_co_ci_u32_e32 v49, vcc_lo, v51, v49, vcc_lo
	s_delay_alu instid0(VALU_DEP_4) | instskip(NEXT) | instid1(VALU_DEP_1)
	v_min_f32_e32 v56, v58, v57
	v_min3_f32 v54, v54, v56, v55
	global_store_b32 v[48:49], v54, off
	s_or_b32 exec_lo, exec_lo, s14
	s_and_b32 s16, s3, s8
	s_delay_alu instid0(SALU_CYCLE_1)
	s_and_saveexec_b32 s14, s16
	s_cbranch_execz .LBB18_219
.LBB18_235:
	v_cmp_ne_u32_e32 vcc_lo, 1, v105
	v_lshlrev_b64 v[48:49], 2, v[70:71]
	s_cbranch_vccnz .LBB18_237
; %bb.236:
	s_delay_alu instid0(VALU_DEP_1) | instskip(NEXT) | instid1(VALU_DEP_2)
	v_add_co_u32 v54, vcc_lo, v52, v48
	v_add_co_ci_u32_e32 v55, vcc_lo, v53, v49, vcc_lo
	flat_load_b32 v54, v[54:55]
	s_waitcnt vmcnt(0) lgkmcnt(0)
	v_mul_f32_e32 v54, s15, v54
	s_branch .LBB18_238
.LBB18_237:
	v_mov_b32_e32 v54, 0
.LBB18_238:
	v_dual_add_f32 v55, v21, v45 :: v_dual_add_f32 v56, v20, v44
	v_dual_add_f32 v57, v23, v47 :: v_dual_add_f32 v58, v22, v46
	s_delay_alu instid0(VALU_DEP_4) | instskip(NEXT) | instid1(VALU_DEP_3)
	v_add_co_u32 v48, vcc_lo, v50, v48
	v_min3_f32 v55, v56, v55, v111
	v_add_co_ci_u32_e32 v49, vcc_lo, v51, v49, vcc_lo
	s_delay_alu instid0(VALU_DEP_4) | instskip(NEXT) | instid1(VALU_DEP_1)
	v_min_f32_e32 v56, v58, v57
	v_min3_f32 v54, v54, v56, v55
	global_store_b32 v[48:49], v54, off
	s_or_b32 exec_lo, exec_lo, s14
	s_and_b32 s16, s4, s8
	s_delay_alu instid0(SALU_CYCLE_1)
	s_and_saveexec_b32 s14, s16
	s_cbranch_execz .LBB18_220
.LBB18_239:
	v_cmp_ne_u32_e32 vcc_lo, 1, v105
	v_lshlrev_b64 v[48:49], 2, v[72:73]
	s_cbranch_vccnz .LBB18_241
; %bb.240:
	s_delay_alu instid0(VALU_DEP_1) | instskip(NEXT) | instid1(VALU_DEP_2)
	v_add_co_u32 v54, vcc_lo, v52, v48
	v_add_co_ci_u32_e32 v55, vcc_lo, v53, v49, vcc_lo
	flat_load_b32 v54, v[54:55]
	s_waitcnt vmcnt(0) lgkmcnt(0)
	v_mul_f32_e32 v54, s15, v54
	s_branch .LBB18_242
.LBB18_241:
	v_mov_b32_e32 v54, 0
.LBB18_242:
	v_dual_add_f32 v55, v17, v45 :: v_dual_add_f32 v56, v16, v44
	v_dual_add_f32 v57, v19, v47 :: v_dual_add_f32 v58, v18, v46
	s_delay_alu instid0(VALU_DEP_4) | instskip(NEXT) | instid1(VALU_DEP_3)
	v_add_co_u32 v48, vcc_lo, v50, v48
	v_min3_f32 v55, v56, v55, v110
	v_add_co_ci_u32_e32 v49, vcc_lo, v51, v49, vcc_lo
	s_delay_alu instid0(VALU_DEP_4) | instskip(NEXT) | instid1(VALU_DEP_1)
	v_min_f32_e32 v56, v58, v57
	v_min3_f32 v54, v54, v56, v55
	global_store_b32 v[48:49], v54, off
	s_or_b32 exec_lo, exec_lo, s14
	s_and_b32 s16, s5, s8
	s_delay_alu instid0(SALU_CYCLE_1)
	s_and_saveexec_b32 s14, s16
	s_cbranch_execz .LBB18_221
.LBB18_243:
	v_cmp_ne_u32_e32 vcc_lo, 1, v105
	v_lshlrev_b64 v[48:49], 2, v[74:75]
	s_cbranch_vccnz .LBB18_245
; %bb.244:
	s_delay_alu instid0(VALU_DEP_1) | instskip(NEXT) | instid1(VALU_DEP_2)
	v_add_co_u32 v54, vcc_lo, v52, v48
	v_add_co_ci_u32_e32 v55, vcc_lo, v53, v49, vcc_lo
	flat_load_b32 v54, v[54:55]
	s_waitcnt vmcnt(0) lgkmcnt(0)
	v_mul_f32_e32 v54, s15, v54
	s_branch .LBB18_246
.LBB18_245:
	v_mov_b32_e32 v54, 0
.LBB18_246:
	v_dual_add_f32 v55, v13, v45 :: v_dual_add_f32 v56, v12, v44
	v_dual_add_f32 v57, v15, v47 :: v_dual_add_f32 v58, v14, v46
	s_delay_alu instid0(VALU_DEP_4) | instskip(NEXT) | instid1(VALU_DEP_3)
	v_add_co_u32 v48, vcc_lo, v50, v48
	v_min3_f32 v55, v56, v55, v109
	v_add_co_ci_u32_e32 v49, vcc_lo, v51, v49, vcc_lo
	s_delay_alu instid0(VALU_DEP_4) | instskip(NEXT) | instid1(VALU_DEP_1)
	v_min_f32_e32 v56, v58, v57
	v_min3_f32 v54, v54, v56, v55
	global_store_b32 v[48:49], v54, off
	s_or_b32 exec_lo, exec_lo, s14
	s_and_b32 s16, s6, s8
	s_delay_alu instid0(SALU_CYCLE_1)
	s_and_saveexec_b32 s14, s16
	s_cbranch_execz .LBB18_222
.LBB18_247:
	v_cmp_ne_u32_e32 vcc_lo, 1, v105
	v_lshlrev_b64 v[48:49], 2, v[76:77]
	s_cbranch_vccnz .LBB18_249
; %bb.248:
	s_delay_alu instid0(VALU_DEP_1) | instskip(NEXT) | instid1(VALU_DEP_2)
	v_add_co_u32 v54, vcc_lo, v52, v48
	v_add_co_ci_u32_e32 v55, vcc_lo, v53, v49, vcc_lo
	flat_load_b32 v54, v[54:55]
	s_waitcnt vmcnt(0) lgkmcnt(0)
	v_mul_f32_e32 v54, s15, v54
	s_branch .LBB18_250
.LBB18_249:
	v_mov_b32_e32 v54, 0
.LBB18_250:
	v_dual_add_f32 v55, v9, v45 :: v_dual_add_f32 v56, v8, v44
	v_dual_add_f32 v57, v11, v47 :: v_dual_add_f32 v58, v10, v46
	s_delay_alu instid0(VALU_DEP_4) | instskip(NEXT) | instid1(VALU_DEP_3)
	v_add_co_u32 v48, vcc_lo, v50, v48
	v_min3_f32 v55, v56, v55, v108
	v_add_co_ci_u32_e32 v49, vcc_lo, v51, v49, vcc_lo
	s_delay_alu instid0(VALU_DEP_4) | instskip(NEXT) | instid1(VALU_DEP_1)
	v_min_f32_e32 v56, v58, v57
	v_min3_f32 v54, v54, v56, v55
	global_store_b32 v[48:49], v54, off
	s_or_b32 exec_lo, exec_lo, s14
	s_and_b32 s14, s7, s8
	s_delay_alu instid0(SALU_CYCLE_1)
	s_and_saveexec_b32 s8, s14
	s_cbranch_execz .LBB18_255
.LBB18_251:
	v_cmp_ne_u32_e32 vcc_lo, 1, v105
	v_lshlrev_b64 v[48:49], 2, v[78:79]
	s_cbranch_vccnz .LBB18_253
; %bb.252:
	s_delay_alu instid0(VALU_DEP_1) | instskip(NEXT) | instid1(VALU_DEP_2)
	v_add_co_u32 v52, vcc_lo, v52, v48
	v_add_co_ci_u32_e32 v53, vcc_lo, v53, v49, vcc_lo
	flat_load_b32 v52, v[52:53]
	s_waitcnt vmcnt(0) lgkmcnt(0)
	v_mul_f32_e32 v52, s15, v52
	s_branch .LBB18_254
.LBB18_253:
	v_mov_b32_e32 v52, 0
.LBB18_254:
	v_dual_add_f32 v45, v1, v45 :: v_dual_add_f32 v44, v0, v44
	v_dual_add_f32 v47, v3, v47 :: v_dual_add_f32 v46, v2, v46
	s_delay_alu instid0(VALU_DEP_2) | instskip(NEXT) | instid1(VALU_DEP_2)
	v_min3_f32 v44, v44, v45, v107
	v_min_f32_e32 v45, v46, v47
	s_delay_alu instid0(VALU_DEP_1)
	v_min3_f32 v46, v52, v45, v44
	v_add_co_u32 v44, vcc_lo, v50, v48
	v_add_co_ci_u32_e32 v45, vcc_lo, v51, v49, vcc_lo
	global_store_b32 v[44:45], v46, off
.LBB18_255:
	s_or_b32 exec_lo, exec_lo, s8
	v_add_nc_u32_e32 v48, 0xa0, v113
	s_delay_alu instid0(VALU_DEP_1) | instskip(SKIP_2) | instid1(VALU_DEP_3)
	v_mad_i64_i32 v[44:45], null, v48, s18, 0
	v_mad_i64_i32 v[46:47], null, v48, s9, 0
	v_cmp_gt_i32_e64 s8, s17, v48
	v_lshlrev_b64 v[44:45], 2, v[44:45]
	s_delay_alu instid0(VALU_DEP_2) | instskip(NEXT) | instid1(VALU_DEP_3)
	s_and_b32 s16, s0, s8
	v_lshlrev_b64 v[46:47], 2, v[46:47]
	s_delay_alu instid0(VALU_DEP_2) | instskip(NEXT) | instid1(VALU_DEP_3)
	v_add_co_u32 v48, vcc_lo, s10, v44
	v_add_co_ci_u32_e32 v49, vcc_lo, s11, v45, vcc_lo
	s_delay_alu instid0(VALU_DEP_3) | instskip(NEXT) | instid1(VALU_DEP_4)
	v_add_co_u32 v46, vcc_lo, s12, v46
	v_add_co_ci_u32_e32 v47, vcc_lo, s13, v47, vcc_lo
	s_and_saveexec_b32 s14, s16
	s_cbranch_execnz .LBB18_263
; %bb.256:
	s_or_b32 exec_lo, exec_lo, s14
	s_and_b32 s16, s1, s8
	s_delay_alu instid0(SALU_CYCLE_1)
	s_and_saveexec_b32 s14, s16
	s_cbranch_execnz .LBB18_267
.LBB18_257:
	s_or_b32 exec_lo, exec_lo, s14
	s_and_b32 s16, s2, s8
	s_delay_alu instid0(SALU_CYCLE_1)
	s_and_saveexec_b32 s14, s16
	s_cbranch_execnz .LBB18_271
.LBB18_258:
	s_or_b32 exec_lo, exec_lo, s14
	s_and_b32 s16, s3, s8
	s_delay_alu instid0(SALU_CYCLE_1)
	s_and_saveexec_b32 s14, s16
	s_cbranch_execnz .LBB18_275
.LBB18_259:
	s_or_b32 exec_lo, exec_lo, s14
	s_and_b32 s16, s4, s8
	s_delay_alu instid0(SALU_CYCLE_1)
	s_and_saveexec_b32 s14, s16
	s_cbranch_execnz .LBB18_279
.LBB18_260:
	s_or_b32 exec_lo, exec_lo, s14
	s_and_b32 s16, s5, s8
	s_delay_alu instid0(SALU_CYCLE_1)
	s_and_saveexec_b32 s14, s16
	s_cbranch_execnz .LBB18_283
.LBB18_261:
	s_or_b32 exec_lo, exec_lo, s14
	s_and_b32 s16, s6, s8
	s_delay_alu instid0(SALU_CYCLE_1)
	s_and_saveexec_b32 s14, s16
	s_cbranch_execnz .LBB18_287
.LBB18_262:
	s_or_b32 exec_lo, exec_lo, s14
	s_and_b32 s14, s7, s8
	s_delay_alu instid0(SALU_CYCLE_1)
	s_and_saveexec_b32 s8, s14
	s_cbranch_execnz .LBB18_291
	s_branch .LBB18_295
.LBB18_263:
	v_cmp_ne_u32_e32 vcc_lo, 1, v105
	v_lshlrev_b64 v[44:45], 2, v[64:65]
	s_cbranch_vccnz .LBB18_265
; %bb.264:
	s_delay_alu instid0(VALU_DEP_1) | instskip(NEXT) | instid1(VALU_DEP_2)
	v_add_co_u32 v50, vcc_lo, v48, v44
	v_add_co_ci_u32_e32 v51, vcc_lo, v49, v45, vcc_lo
	flat_load_b32 v50, v[50:51]
	s_waitcnt vmcnt(0) lgkmcnt(0)
	v_mul_f32_e32 v50, s15, v50
	s_branch .LBB18_266
.LBB18_265:
	v_mov_b32_e32 v50, 0
.LBB18_266:
	v_dual_add_f32 v51, v33, v41 :: v_dual_add_f32 v52, v32, v40
	v_dual_add_f32 v53, v35, v43 :: v_dual_add_f32 v54, v34, v42
	s_delay_alu instid0(VALU_DEP_4) | instskip(NEXT) | instid1(VALU_DEP_3)
	v_add_co_u32 v44, vcc_lo, v46, v44
	v_min3_f32 v51, v52, v51, v106
	v_add_co_ci_u32_e32 v45, vcc_lo, v47, v45, vcc_lo
	s_delay_alu instid0(VALU_DEP_4) | instskip(NEXT) | instid1(VALU_DEP_1)
	v_min_f32_e32 v52, v54, v53
	v_min3_f32 v50, v50, v52, v51
	global_store_b32 v[44:45], v50, off
	s_or_b32 exec_lo, exec_lo, s14
	s_and_b32 s16, s1, s8
	s_delay_alu instid0(SALU_CYCLE_1)
	s_and_saveexec_b32 s14, s16
	s_cbranch_execz .LBB18_257
.LBB18_267:
	v_cmp_ne_u32_e32 vcc_lo, 1, v105
	v_lshlrev_b64 v[44:45], 2, v[66:67]
	s_cbranch_vccnz .LBB18_269
; %bb.268:
	s_delay_alu instid0(VALU_DEP_1) | instskip(NEXT) | instid1(VALU_DEP_2)
	v_add_co_u32 v50, vcc_lo, v48, v44
	v_add_co_ci_u32_e32 v51, vcc_lo, v49, v45, vcc_lo
	flat_load_b32 v50, v[50:51]
	s_waitcnt vmcnt(0) lgkmcnt(0)
	v_mul_f32_e32 v50, s15, v50
	s_branch .LBB18_270
.LBB18_269:
	v_mov_b32_e32 v50, 0
.LBB18_270:
	v_dual_add_f32 v51, v29, v41 :: v_dual_add_f32 v52, v28, v40
	v_dual_add_f32 v53, v31, v43 :: v_dual_add_f32 v54, v30, v42
	s_delay_alu instid0(VALU_DEP_4) | instskip(NEXT) | instid1(VALU_DEP_3)
	v_add_co_u32 v44, vcc_lo, v46, v44
	v_min3_f32 v51, v52, v51, v104
	v_add_co_ci_u32_e32 v45, vcc_lo, v47, v45, vcc_lo
	s_delay_alu instid0(VALU_DEP_4) | instskip(NEXT) | instid1(VALU_DEP_1)
	v_min_f32_e32 v52, v54, v53
	v_min3_f32 v50, v50, v52, v51
	global_store_b32 v[44:45], v50, off
	s_or_b32 exec_lo, exec_lo, s14
	s_and_b32 s16, s2, s8
	s_delay_alu instid0(SALU_CYCLE_1)
	s_and_saveexec_b32 s14, s16
	s_cbranch_execz .LBB18_258
.LBB18_271:
	v_cmp_ne_u32_e32 vcc_lo, 1, v105
	v_lshlrev_b64 v[44:45], 2, v[68:69]
	s_cbranch_vccnz .LBB18_273
; %bb.272:
	s_delay_alu instid0(VALU_DEP_1) | instskip(NEXT) | instid1(VALU_DEP_2)
	v_add_co_u32 v50, vcc_lo, v48, v44
	v_add_co_ci_u32_e32 v51, vcc_lo, v49, v45, vcc_lo
	flat_load_b32 v50, v[50:51]
	s_waitcnt vmcnt(0) lgkmcnt(0)
	v_mul_f32_e32 v50, s15, v50
	s_branch .LBB18_274
.LBB18_273:
	v_mov_b32_e32 v50, 0
.LBB18_274:
	v_dual_add_f32 v51, v25, v41 :: v_dual_add_f32 v52, v24, v40
	v_dual_add_f32 v53, v27, v43 :: v_dual_add_f32 v54, v26, v42
	s_delay_alu instid0(VALU_DEP_4) | instskip(NEXT) | instid1(VALU_DEP_3)
	v_add_co_u32 v44, vcc_lo, v46, v44
	v_min3_f32 v51, v52, v51, v103
	v_add_co_ci_u32_e32 v45, vcc_lo, v47, v45, vcc_lo
	s_delay_alu instid0(VALU_DEP_4) | instskip(NEXT) | instid1(VALU_DEP_1)
	v_min_f32_e32 v52, v54, v53
	v_min3_f32 v50, v50, v52, v51
	global_store_b32 v[44:45], v50, off
	s_or_b32 exec_lo, exec_lo, s14
	s_and_b32 s16, s3, s8
	s_delay_alu instid0(SALU_CYCLE_1)
	s_and_saveexec_b32 s14, s16
	s_cbranch_execz .LBB18_259
.LBB18_275:
	v_cmp_ne_u32_e32 vcc_lo, 1, v105
	v_lshlrev_b64 v[44:45], 2, v[70:71]
	s_cbranch_vccnz .LBB18_277
; %bb.276:
	s_delay_alu instid0(VALU_DEP_1) | instskip(NEXT) | instid1(VALU_DEP_2)
	v_add_co_u32 v50, vcc_lo, v48, v44
	v_add_co_ci_u32_e32 v51, vcc_lo, v49, v45, vcc_lo
	flat_load_b32 v50, v[50:51]
	s_waitcnt vmcnt(0) lgkmcnt(0)
	v_mul_f32_e32 v50, s15, v50
	s_branch .LBB18_278
.LBB18_277:
	v_mov_b32_e32 v50, 0
.LBB18_278:
	v_dual_add_f32 v51, v21, v41 :: v_dual_add_f32 v52, v20, v40
	v_dual_add_f32 v53, v23, v43 :: v_dual_add_f32 v54, v22, v42
	s_delay_alu instid0(VALU_DEP_4) | instskip(NEXT) | instid1(VALU_DEP_3)
	v_add_co_u32 v44, vcc_lo, v46, v44
	v_min3_f32 v51, v52, v51, v102
	v_add_co_ci_u32_e32 v45, vcc_lo, v47, v45, vcc_lo
	s_delay_alu instid0(VALU_DEP_4) | instskip(NEXT) | instid1(VALU_DEP_1)
	v_min_f32_e32 v52, v54, v53
	v_min3_f32 v50, v50, v52, v51
	global_store_b32 v[44:45], v50, off
	s_or_b32 exec_lo, exec_lo, s14
	s_and_b32 s16, s4, s8
	s_delay_alu instid0(SALU_CYCLE_1)
	s_and_saveexec_b32 s14, s16
	s_cbranch_execz .LBB18_260
.LBB18_279:
	v_cmp_ne_u32_e32 vcc_lo, 1, v105
	v_lshlrev_b64 v[44:45], 2, v[72:73]
	s_cbranch_vccnz .LBB18_281
; %bb.280:
	s_delay_alu instid0(VALU_DEP_1) | instskip(NEXT) | instid1(VALU_DEP_2)
	v_add_co_u32 v50, vcc_lo, v48, v44
	v_add_co_ci_u32_e32 v51, vcc_lo, v49, v45, vcc_lo
	flat_load_b32 v50, v[50:51]
	s_waitcnt vmcnt(0) lgkmcnt(0)
	v_mul_f32_e32 v50, s15, v50
	s_branch .LBB18_282
.LBB18_281:
	v_mov_b32_e32 v50, 0
.LBB18_282:
	v_dual_add_f32 v51, v17, v41 :: v_dual_add_f32 v52, v16, v40
	v_dual_add_f32 v53, v19, v43 :: v_dual_add_f32 v54, v18, v42
	s_delay_alu instid0(VALU_DEP_4) | instskip(NEXT) | instid1(VALU_DEP_3)
	v_add_co_u32 v44, vcc_lo, v46, v44
	v_min3_f32 v51, v52, v51, v101
	v_add_co_ci_u32_e32 v45, vcc_lo, v47, v45, vcc_lo
	s_delay_alu instid0(VALU_DEP_4) | instskip(NEXT) | instid1(VALU_DEP_1)
	v_min_f32_e32 v52, v54, v53
	v_min3_f32 v50, v50, v52, v51
	global_store_b32 v[44:45], v50, off
	s_or_b32 exec_lo, exec_lo, s14
	s_and_b32 s16, s5, s8
	s_delay_alu instid0(SALU_CYCLE_1)
	s_and_saveexec_b32 s14, s16
	s_cbranch_execz .LBB18_261
.LBB18_283:
	v_cmp_ne_u32_e32 vcc_lo, 1, v105
	v_lshlrev_b64 v[44:45], 2, v[74:75]
	s_cbranch_vccnz .LBB18_285
; %bb.284:
	s_delay_alu instid0(VALU_DEP_1) | instskip(NEXT) | instid1(VALU_DEP_2)
	v_add_co_u32 v50, vcc_lo, v48, v44
	v_add_co_ci_u32_e32 v51, vcc_lo, v49, v45, vcc_lo
	flat_load_b32 v50, v[50:51]
	s_waitcnt vmcnt(0) lgkmcnt(0)
	v_mul_f32_e32 v50, s15, v50
	s_branch .LBB18_286
.LBB18_285:
	v_mov_b32_e32 v50, 0
.LBB18_286:
	v_dual_add_f32 v51, v13, v41 :: v_dual_add_f32 v52, v12, v40
	v_dual_add_f32 v53, v15, v43 :: v_dual_add_f32 v54, v14, v42
	s_delay_alu instid0(VALU_DEP_4) | instskip(NEXT) | instid1(VALU_DEP_3)
	v_add_co_u32 v44, vcc_lo, v46, v44
	v_min3_f32 v51, v52, v51, v100
	v_add_co_ci_u32_e32 v45, vcc_lo, v47, v45, vcc_lo
	s_delay_alu instid0(VALU_DEP_4) | instskip(NEXT) | instid1(VALU_DEP_1)
	v_min_f32_e32 v52, v54, v53
	v_min3_f32 v50, v50, v52, v51
	global_store_b32 v[44:45], v50, off
	s_or_b32 exec_lo, exec_lo, s14
	s_and_b32 s16, s6, s8
	s_delay_alu instid0(SALU_CYCLE_1)
	s_and_saveexec_b32 s14, s16
	s_cbranch_execz .LBB18_262
.LBB18_287:
	v_cmp_ne_u32_e32 vcc_lo, 1, v105
	v_lshlrev_b64 v[44:45], 2, v[76:77]
	s_cbranch_vccnz .LBB18_289
; %bb.288:
	s_delay_alu instid0(VALU_DEP_1) | instskip(NEXT) | instid1(VALU_DEP_2)
	v_add_co_u32 v50, vcc_lo, v48, v44
	v_add_co_ci_u32_e32 v51, vcc_lo, v49, v45, vcc_lo
	flat_load_b32 v50, v[50:51]
	s_waitcnt vmcnt(0) lgkmcnt(0)
	v_mul_f32_e32 v50, s15, v50
	s_branch .LBB18_290
.LBB18_289:
	v_mov_b32_e32 v50, 0
.LBB18_290:
	v_dual_add_f32 v51, v9, v41 :: v_dual_add_f32 v52, v8, v40
	v_dual_add_f32 v53, v11, v43 :: v_dual_add_f32 v54, v10, v42
	s_delay_alu instid0(VALU_DEP_4) | instskip(NEXT) | instid1(VALU_DEP_3)
	v_add_co_u32 v44, vcc_lo, v46, v44
	v_min3_f32 v51, v52, v51, v99
	v_add_co_ci_u32_e32 v45, vcc_lo, v47, v45, vcc_lo
	s_delay_alu instid0(VALU_DEP_4) | instskip(NEXT) | instid1(VALU_DEP_1)
	v_min_f32_e32 v52, v54, v53
	v_min3_f32 v50, v50, v52, v51
	global_store_b32 v[44:45], v50, off
	s_or_b32 exec_lo, exec_lo, s14
	s_and_b32 s14, s7, s8
	s_delay_alu instid0(SALU_CYCLE_1)
	s_and_saveexec_b32 s8, s14
	s_cbranch_execz .LBB18_295
.LBB18_291:
	v_cmp_ne_u32_e32 vcc_lo, 1, v105
	v_lshlrev_b64 v[44:45], 2, v[78:79]
	s_cbranch_vccnz .LBB18_293
; %bb.292:
	s_delay_alu instid0(VALU_DEP_1) | instskip(NEXT) | instid1(VALU_DEP_2)
	v_add_co_u32 v48, vcc_lo, v48, v44
	v_add_co_ci_u32_e32 v49, vcc_lo, v49, v45, vcc_lo
	flat_load_b32 v48, v[48:49]
	s_waitcnt vmcnt(0) lgkmcnt(0)
	v_mul_f32_e32 v48, s15, v48
	s_branch .LBB18_294
.LBB18_293:
	v_mov_b32_e32 v48, 0
.LBB18_294:
	v_dual_add_f32 v41, v1, v41 :: v_dual_add_f32 v40, v0, v40
	v_dual_add_f32 v43, v3, v43 :: v_dual_add_f32 v42, v2, v42
	s_delay_alu instid0(VALU_DEP_2) | instskip(NEXT) | instid1(VALU_DEP_2)
	v_min3_f32 v40, v40, v41, v98
	v_min_f32_e32 v41, v42, v43
	s_delay_alu instid0(VALU_DEP_1)
	v_min3_f32 v42, v48, v41, v40
	v_add_co_u32 v40, vcc_lo, v46, v44
	v_add_co_ci_u32_e32 v41, vcc_lo, v47, v45, vcc_lo
	global_store_b32 v[40:41], v42, off
.LBB18_295:
	s_or_b32 exec_lo, exec_lo, s8
	v_add_nc_u32_e32 v44, 0xc0, v113
	s_delay_alu instid0(VALU_DEP_1) | instskip(SKIP_2) | instid1(VALU_DEP_3)
	v_mad_i64_i32 v[40:41], null, v44, s18, 0
	v_mad_i64_i32 v[42:43], null, v44, s9, 0
	v_cmp_gt_i32_e64 s8, s17, v44
	v_lshlrev_b64 v[40:41], 2, v[40:41]
	s_delay_alu instid0(VALU_DEP_2) | instskip(NEXT) | instid1(VALU_DEP_3)
	s_and_b32 s16, s0, s8
	v_lshlrev_b64 v[42:43], 2, v[42:43]
	s_delay_alu instid0(VALU_DEP_2) | instskip(NEXT) | instid1(VALU_DEP_3)
	v_add_co_u32 v44, vcc_lo, s10, v40
	v_add_co_ci_u32_e32 v45, vcc_lo, s11, v41, vcc_lo
	s_delay_alu instid0(VALU_DEP_3) | instskip(NEXT) | instid1(VALU_DEP_4)
	v_add_co_u32 v42, vcc_lo, s12, v42
	v_add_co_ci_u32_e32 v43, vcc_lo, s13, v43, vcc_lo
	s_and_saveexec_b32 s14, s16
	s_cbranch_execnz .LBB18_303
; %bb.296:
	s_or_b32 exec_lo, exec_lo, s14
	s_and_b32 s16, s1, s8
	s_delay_alu instid0(SALU_CYCLE_1)
	s_and_saveexec_b32 s14, s16
	s_cbranch_execnz .LBB18_307
.LBB18_297:
	s_or_b32 exec_lo, exec_lo, s14
	s_and_b32 s16, s2, s8
	s_delay_alu instid0(SALU_CYCLE_1)
	s_and_saveexec_b32 s14, s16
	s_cbranch_execnz .LBB18_311
.LBB18_298:
	s_or_b32 exec_lo, exec_lo, s14
	s_and_b32 s16, s3, s8
	s_delay_alu instid0(SALU_CYCLE_1)
	s_and_saveexec_b32 s14, s16
	s_cbranch_execnz .LBB18_315
.LBB18_299:
	s_or_b32 exec_lo, exec_lo, s14
	s_and_b32 s16, s4, s8
	s_delay_alu instid0(SALU_CYCLE_1)
	s_and_saveexec_b32 s14, s16
	s_cbranch_execnz .LBB18_319
.LBB18_300:
	s_or_b32 exec_lo, exec_lo, s14
	s_and_b32 s16, s5, s8
	s_delay_alu instid0(SALU_CYCLE_1)
	s_and_saveexec_b32 s14, s16
	s_cbranch_execnz .LBB18_323
.LBB18_301:
	s_or_b32 exec_lo, exec_lo, s14
	s_and_b32 s16, s6, s8
	s_delay_alu instid0(SALU_CYCLE_1)
	s_and_saveexec_b32 s14, s16
	s_cbranch_execnz .LBB18_327
.LBB18_302:
	s_or_b32 exec_lo, exec_lo, s14
	s_and_b32 s14, s7, s8
	s_delay_alu instid0(SALU_CYCLE_1)
	s_and_saveexec_b32 s8, s14
	s_cbranch_execnz .LBB18_331
	s_branch .LBB18_335
.LBB18_303:
	v_cmp_ne_u32_e32 vcc_lo, 1, v105
	v_lshlrev_b64 v[40:41], 2, v[64:65]
	s_cbranch_vccnz .LBB18_305
; %bb.304:
	s_delay_alu instid0(VALU_DEP_1) | instskip(NEXT) | instid1(VALU_DEP_2)
	v_add_co_u32 v46, vcc_lo, v44, v40
	v_add_co_ci_u32_e32 v47, vcc_lo, v45, v41, vcc_lo
	flat_load_b32 v46, v[46:47]
	s_waitcnt vmcnt(0) lgkmcnt(0)
	v_mul_f32_e32 v46, s15, v46
	s_branch .LBB18_306
.LBB18_305:
	v_mov_b32_e32 v46, 0
.LBB18_306:
	v_dual_add_f32 v47, v33, v37 :: v_dual_add_f32 v48, v32, v36
	v_dual_add_f32 v49, v35, v39 :: v_dual_add_f32 v50, v34, v38
	s_delay_alu instid0(VALU_DEP_4) | instskip(NEXT) | instid1(VALU_DEP_3)
	v_add_co_u32 v40, vcc_lo, v42, v40
	v_min3_f32 v47, v48, v47, v97
	v_add_co_ci_u32_e32 v41, vcc_lo, v43, v41, vcc_lo
	s_delay_alu instid0(VALU_DEP_4) | instskip(NEXT) | instid1(VALU_DEP_1)
	v_min_f32_e32 v48, v50, v49
	v_min3_f32 v46, v46, v48, v47
	global_store_b32 v[40:41], v46, off
	s_or_b32 exec_lo, exec_lo, s14
	s_and_b32 s16, s1, s8
	s_delay_alu instid0(SALU_CYCLE_1)
	s_and_saveexec_b32 s14, s16
	s_cbranch_execz .LBB18_297
.LBB18_307:
	v_cmp_ne_u32_e32 vcc_lo, 1, v105
	v_lshlrev_b64 v[40:41], 2, v[66:67]
	s_cbranch_vccnz .LBB18_309
; %bb.308:
	s_delay_alu instid0(VALU_DEP_1) | instskip(NEXT) | instid1(VALU_DEP_2)
	v_add_co_u32 v46, vcc_lo, v44, v40
	v_add_co_ci_u32_e32 v47, vcc_lo, v45, v41, vcc_lo
	flat_load_b32 v46, v[46:47]
	s_waitcnt vmcnt(0) lgkmcnt(0)
	v_mul_f32_e32 v46, s15, v46
	s_branch .LBB18_310
.LBB18_309:
	v_mov_b32_e32 v46, 0
.LBB18_310:
	v_dual_add_f32 v47, v29, v37 :: v_dual_add_f32 v48, v28, v36
	v_dual_add_f32 v49, v31, v39 :: v_dual_add_f32 v50, v30, v38
	s_delay_alu instid0(VALU_DEP_4) | instskip(NEXT) | instid1(VALU_DEP_3)
	v_add_co_u32 v40, vcc_lo, v42, v40
	v_min3_f32 v47, v48, v47, v96
	v_add_co_ci_u32_e32 v41, vcc_lo, v43, v41, vcc_lo
	s_delay_alu instid0(VALU_DEP_4) | instskip(NEXT) | instid1(VALU_DEP_1)
	v_min_f32_e32 v48, v50, v49
	v_min3_f32 v46, v46, v48, v47
	global_store_b32 v[40:41], v46, off
	s_or_b32 exec_lo, exec_lo, s14
	s_and_b32 s16, s2, s8
	s_delay_alu instid0(SALU_CYCLE_1)
	s_and_saveexec_b32 s14, s16
	s_cbranch_execz .LBB18_298
.LBB18_311:
	v_cmp_ne_u32_e32 vcc_lo, 1, v105
	v_lshlrev_b64 v[40:41], 2, v[68:69]
	s_cbranch_vccnz .LBB18_313
; %bb.312:
	s_delay_alu instid0(VALU_DEP_1) | instskip(NEXT) | instid1(VALU_DEP_2)
	v_add_co_u32 v46, vcc_lo, v44, v40
	v_add_co_ci_u32_e32 v47, vcc_lo, v45, v41, vcc_lo
	flat_load_b32 v46, v[46:47]
	s_waitcnt vmcnt(0) lgkmcnt(0)
	v_mul_f32_e32 v46, s15, v46
	s_branch .LBB18_314
.LBB18_313:
	v_mov_b32_e32 v46, 0
.LBB18_314:
	v_dual_add_f32 v47, v25, v37 :: v_dual_add_f32 v48, v24, v36
	v_dual_add_f32 v49, v27, v39 :: v_dual_add_f32 v50, v26, v38
	s_delay_alu instid0(VALU_DEP_4) | instskip(NEXT) | instid1(VALU_DEP_3)
	v_add_co_u32 v40, vcc_lo, v42, v40
	v_min3_f32 v47, v48, v47, v95
	v_add_co_ci_u32_e32 v41, vcc_lo, v43, v41, vcc_lo
	s_delay_alu instid0(VALU_DEP_4) | instskip(NEXT) | instid1(VALU_DEP_1)
	v_min_f32_e32 v48, v50, v49
	v_min3_f32 v46, v46, v48, v47
	global_store_b32 v[40:41], v46, off
	s_or_b32 exec_lo, exec_lo, s14
	s_and_b32 s16, s3, s8
	s_delay_alu instid0(SALU_CYCLE_1)
	s_and_saveexec_b32 s14, s16
	s_cbranch_execz .LBB18_299
.LBB18_315:
	v_cmp_ne_u32_e32 vcc_lo, 1, v105
	v_lshlrev_b64 v[40:41], 2, v[70:71]
	s_cbranch_vccnz .LBB18_317
; %bb.316:
	s_delay_alu instid0(VALU_DEP_1) | instskip(NEXT) | instid1(VALU_DEP_2)
	v_add_co_u32 v46, vcc_lo, v44, v40
	v_add_co_ci_u32_e32 v47, vcc_lo, v45, v41, vcc_lo
	flat_load_b32 v46, v[46:47]
	s_waitcnt vmcnt(0) lgkmcnt(0)
	v_mul_f32_e32 v46, s15, v46
	s_branch .LBB18_318
.LBB18_317:
	v_mov_b32_e32 v46, 0
.LBB18_318:
	v_dual_add_f32 v47, v21, v37 :: v_dual_add_f32 v48, v20, v36
	v_dual_add_f32 v49, v23, v39 :: v_dual_add_f32 v50, v22, v38
	s_delay_alu instid0(VALU_DEP_4) | instskip(NEXT) | instid1(VALU_DEP_3)
	v_add_co_u32 v40, vcc_lo, v42, v40
	v_min3_f32 v47, v48, v47, v94
	v_add_co_ci_u32_e32 v41, vcc_lo, v43, v41, vcc_lo
	s_delay_alu instid0(VALU_DEP_4) | instskip(NEXT) | instid1(VALU_DEP_1)
	v_min_f32_e32 v48, v50, v49
	v_min3_f32 v46, v46, v48, v47
	global_store_b32 v[40:41], v46, off
	s_or_b32 exec_lo, exec_lo, s14
	s_and_b32 s16, s4, s8
	s_delay_alu instid0(SALU_CYCLE_1)
	s_and_saveexec_b32 s14, s16
	s_cbranch_execz .LBB18_300
.LBB18_319:
	v_cmp_ne_u32_e32 vcc_lo, 1, v105
	v_lshlrev_b64 v[40:41], 2, v[72:73]
	s_cbranch_vccnz .LBB18_321
; %bb.320:
	s_delay_alu instid0(VALU_DEP_1) | instskip(NEXT) | instid1(VALU_DEP_2)
	v_add_co_u32 v46, vcc_lo, v44, v40
	v_add_co_ci_u32_e32 v47, vcc_lo, v45, v41, vcc_lo
	flat_load_b32 v46, v[46:47]
	s_waitcnt vmcnt(0) lgkmcnt(0)
	v_mul_f32_e32 v46, s15, v46
	s_branch .LBB18_322
.LBB18_321:
	v_mov_b32_e32 v46, 0
.LBB18_322:
	v_dual_add_f32 v47, v17, v37 :: v_dual_add_f32 v48, v16, v36
	v_dual_add_f32 v49, v19, v39 :: v_dual_add_f32 v50, v18, v38
	s_delay_alu instid0(VALU_DEP_4) | instskip(NEXT) | instid1(VALU_DEP_3)
	v_add_co_u32 v40, vcc_lo, v42, v40
	v_min3_f32 v47, v48, v47, v93
	v_add_co_ci_u32_e32 v41, vcc_lo, v43, v41, vcc_lo
	s_delay_alu instid0(VALU_DEP_4) | instskip(NEXT) | instid1(VALU_DEP_1)
	v_min_f32_e32 v48, v50, v49
	v_min3_f32 v46, v46, v48, v47
	global_store_b32 v[40:41], v46, off
	s_or_b32 exec_lo, exec_lo, s14
	s_and_b32 s16, s5, s8
	s_delay_alu instid0(SALU_CYCLE_1)
	s_and_saveexec_b32 s14, s16
	s_cbranch_execz .LBB18_301
.LBB18_323:
	v_cmp_ne_u32_e32 vcc_lo, 1, v105
	v_lshlrev_b64 v[40:41], 2, v[74:75]
	s_cbranch_vccnz .LBB18_325
; %bb.324:
	s_delay_alu instid0(VALU_DEP_1) | instskip(NEXT) | instid1(VALU_DEP_2)
	v_add_co_u32 v46, vcc_lo, v44, v40
	v_add_co_ci_u32_e32 v47, vcc_lo, v45, v41, vcc_lo
	flat_load_b32 v46, v[46:47]
	s_waitcnt vmcnt(0) lgkmcnt(0)
	v_mul_f32_e32 v46, s15, v46
	s_branch .LBB18_326
.LBB18_325:
	v_mov_b32_e32 v46, 0
.LBB18_326:
	v_dual_add_f32 v47, v13, v37 :: v_dual_add_f32 v48, v12, v36
	v_dual_add_f32 v49, v15, v39 :: v_dual_add_f32 v50, v14, v38
	s_delay_alu instid0(VALU_DEP_4) | instskip(NEXT) | instid1(VALU_DEP_3)
	v_add_co_u32 v40, vcc_lo, v42, v40
	v_min3_f32 v47, v48, v47, v92
	v_add_co_ci_u32_e32 v41, vcc_lo, v43, v41, vcc_lo
	s_delay_alu instid0(VALU_DEP_4) | instskip(NEXT) | instid1(VALU_DEP_1)
	v_min_f32_e32 v48, v50, v49
	v_min3_f32 v46, v46, v48, v47
	global_store_b32 v[40:41], v46, off
	s_or_b32 exec_lo, exec_lo, s14
	s_and_b32 s16, s6, s8
	s_delay_alu instid0(SALU_CYCLE_1)
	s_and_saveexec_b32 s14, s16
	s_cbranch_execz .LBB18_302
.LBB18_327:
	v_cmp_ne_u32_e32 vcc_lo, 1, v105
	v_lshlrev_b64 v[40:41], 2, v[76:77]
	s_cbranch_vccnz .LBB18_329
; %bb.328:
	s_delay_alu instid0(VALU_DEP_1) | instskip(NEXT) | instid1(VALU_DEP_2)
	v_add_co_u32 v46, vcc_lo, v44, v40
	v_add_co_ci_u32_e32 v47, vcc_lo, v45, v41, vcc_lo
	flat_load_b32 v46, v[46:47]
	s_waitcnt vmcnt(0) lgkmcnt(0)
	v_mul_f32_e32 v46, s15, v46
	s_branch .LBB18_330
.LBB18_329:
	v_mov_b32_e32 v46, 0
.LBB18_330:
	v_dual_add_f32 v47, v9, v37 :: v_dual_add_f32 v48, v8, v36
	v_dual_add_f32 v49, v11, v39 :: v_dual_add_f32 v50, v10, v38
	s_delay_alu instid0(VALU_DEP_4) | instskip(NEXT) | instid1(VALU_DEP_3)
	v_add_co_u32 v40, vcc_lo, v42, v40
	v_min3_f32 v47, v48, v47, v91
	v_add_co_ci_u32_e32 v41, vcc_lo, v43, v41, vcc_lo
	s_delay_alu instid0(VALU_DEP_4) | instskip(NEXT) | instid1(VALU_DEP_1)
	v_min_f32_e32 v48, v50, v49
	v_min3_f32 v46, v46, v48, v47
	global_store_b32 v[40:41], v46, off
	s_or_b32 exec_lo, exec_lo, s14
	s_and_b32 s14, s7, s8
	s_delay_alu instid0(SALU_CYCLE_1)
	s_and_saveexec_b32 s8, s14
	s_cbranch_execz .LBB18_335
.LBB18_331:
	v_cmp_ne_u32_e32 vcc_lo, 1, v105
	v_lshlrev_b64 v[40:41], 2, v[78:79]
	s_cbranch_vccnz .LBB18_333
; %bb.332:
	s_delay_alu instid0(VALU_DEP_1) | instskip(NEXT) | instid1(VALU_DEP_2)
	v_add_co_u32 v44, vcc_lo, v44, v40
	v_add_co_ci_u32_e32 v45, vcc_lo, v45, v41, vcc_lo
	flat_load_b32 v44, v[44:45]
	s_waitcnt vmcnt(0) lgkmcnt(0)
	v_mul_f32_e32 v44, s15, v44
	s_branch .LBB18_334
.LBB18_333:
	v_mov_b32_e32 v44, 0
.LBB18_334:
	v_dual_add_f32 v37, v1, v37 :: v_dual_add_f32 v36, v0, v36
	v_dual_add_f32 v39, v3, v39 :: v_dual_add_f32 v38, v2, v38
	s_delay_alu instid0(VALU_DEP_2) | instskip(NEXT) | instid1(VALU_DEP_2)
	v_min3_f32 v36, v36, v37, v90
	v_min_f32_e32 v37, v38, v39
	s_delay_alu instid0(VALU_DEP_1)
	v_min3_f32 v38, v44, v37, v36
	v_add_co_u32 v36, vcc_lo, v42, v40
	v_add_co_ci_u32_e32 v37, vcc_lo, v43, v41, vcc_lo
	global_store_b32 v[36:37], v38, off
.LBB18_335:
	s_or_b32 exec_lo, exec_lo, s8
	v_add_nc_u32_e32 v40, 0xe0, v113
	s_delay_alu instid0(VALU_DEP_1) | instskip(SKIP_2) | instid1(VALU_DEP_3)
	v_mad_i64_i32 v[36:37], null, v40, s18, 0
	v_mad_i64_i32 v[38:39], null, v40, s9, 0
	v_cmp_gt_i32_e64 s8, s17, v40
	v_lshlrev_b64 v[36:37], 2, v[36:37]
	s_delay_alu instid0(VALU_DEP_2) | instskip(NEXT) | instid1(VALU_DEP_3)
	s_and_b32 s9, s0, s8
	v_lshlrev_b64 v[38:39], 2, v[38:39]
	s_delay_alu instid0(VALU_DEP_2) | instskip(NEXT) | instid1(VALU_DEP_3)
	v_add_co_u32 v40, vcc_lo, s10, v36
	v_add_co_ci_u32_e32 v41, vcc_lo, s11, v37, vcc_lo
	s_delay_alu instid0(VALU_DEP_3) | instskip(NEXT) | instid1(VALU_DEP_4)
	v_add_co_u32 v38, vcc_lo, s12, v38
	v_add_co_ci_u32_e32 v39, vcc_lo, s13, v39, vcc_lo
	s_and_saveexec_b32 s0, s9
	s_cbranch_execnz .LBB18_344
; %bb.336:
	s_or_b32 exec_lo, exec_lo, s0
	s_and_b32 s1, s1, s8
	s_delay_alu instid0(SALU_CYCLE_1)
	s_and_saveexec_b32 s0, s1
	s_cbranch_execnz .LBB18_348
.LBB18_337:
	s_or_b32 exec_lo, exec_lo, s0
	s_and_b32 s1, s2, s8
	s_delay_alu instid0(SALU_CYCLE_1)
	s_and_saveexec_b32 s0, s1
	s_cbranch_execnz .LBB18_352
.LBB18_338:
	s_or_b32 exec_lo, exec_lo, s0
	s_and_b32 s1, s3, s8
	s_delay_alu instid0(SALU_CYCLE_1)
	s_and_saveexec_b32 s0, s1
	s_cbranch_execnz .LBB18_356
.LBB18_339:
	s_or_b32 exec_lo, exec_lo, s0
	s_and_b32 s1, s4, s8
	s_delay_alu instid0(SALU_CYCLE_1)
	s_and_saveexec_b32 s0, s1
	s_cbranch_execnz .LBB18_360
.LBB18_340:
	s_or_b32 exec_lo, exec_lo, s0
	s_and_b32 s1, s5, s8
	s_delay_alu instid0(SALU_CYCLE_1)
	s_and_saveexec_b32 s0, s1
	s_cbranch_execnz .LBB18_364
.LBB18_341:
	s_or_b32 exec_lo, exec_lo, s0
	s_and_b32 s1, s6, s8
	s_delay_alu instid0(SALU_CYCLE_1)
	s_and_saveexec_b32 s0, s1
	s_cbranch_execnz .LBB18_368
.LBB18_342:
	s_or_b32 exec_lo, exec_lo, s0
	s_and_b32 s0, s7, s8
	s_delay_alu instid0(SALU_CYCLE_1)
	s_and_saveexec_b32 s1, s0
	s_cbranch_execnz .LBB18_372
.LBB18_343:
	s_nop 0
	s_sendmsg sendmsg(MSG_DEALLOC_VGPRS)
	s_endpgm
.LBB18_344:
	v_cmp_ne_u32_e32 vcc_lo, 1, v105
	v_lshlrev_b64 v[36:37], 2, v[64:65]
	s_cbranch_vccnz .LBB18_346
; %bb.345:
	s_delay_alu instid0(VALU_DEP_1) | instskip(NEXT) | instid1(VALU_DEP_2)
	v_add_co_u32 v42, vcc_lo, v40, v36
	v_add_co_ci_u32_e32 v43, vcc_lo, v41, v37, vcc_lo
	flat_load_b32 v42, v[42:43]
	s_waitcnt vmcnt(0) lgkmcnt(0)
	v_mul_f32_e32 v42, s15, v42
	s_branch .LBB18_347
.LBB18_346:
	v_mov_b32_e32 v42, 0
.LBB18_347:
	v_dual_add_f32 v33, v33, v5 :: v_dual_add_f32 v32, v32, v4
	v_dual_add_f32 v35, v35, v7 :: v_dual_add_f32 v34, v34, v6
	s_delay_alu instid0(VALU_DEP_2) | instskip(NEXT) | instid1(VALU_DEP_2)
	v_min3_f32 v32, v32, v33, v89
	v_min_f32_e32 v33, v34, v35
	s_delay_alu instid0(VALU_DEP_1)
	v_min3_f32 v34, v42, v33, v32
	v_add_co_u32 v32, vcc_lo, v38, v36
	v_add_co_ci_u32_e32 v33, vcc_lo, v39, v37, vcc_lo
	global_store_b32 v[32:33], v34, off
	s_or_b32 exec_lo, exec_lo, s0
	s_and_b32 s1, s1, s8
	s_delay_alu instid0(SALU_CYCLE_1)
	s_and_saveexec_b32 s0, s1
	s_cbranch_execz .LBB18_337
.LBB18_348:
	v_cmp_ne_u32_e32 vcc_lo, 1, v105
	v_lshlrev_b64 v[32:33], 2, v[66:67]
	s_cbranch_vccnz .LBB18_350
; %bb.349:
	s_delay_alu instid0(VALU_DEP_1) | instskip(NEXT) | instid1(VALU_DEP_2)
	v_add_co_u32 v34, vcc_lo, v40, v32
	v_add_co_ci_u32_e32 v35, vcc_lo, v41, v33, vcc_lo
	flat_load_b32 v34, v[34:35]
	s_waitcnt vmcnt(0) lgkmcnt(0)
	v_mul_f32_e32 v34, s15, v34
	s_branch .LBB18_351
.LBB18_350:
	v_mov_b32_e32 v34, 0
.LBB18_351:
	v_dual_add_f32 v29, v29, v5 :: v_dual_add_f32 v28, v28, v4
	v_dual_add_f32 v31, v31, v7 :: v_dual_add_f32 v30, v30, v6
	s_delay_alu instid0(VALU_DEP_2) | instskip(NEXT) | instid1(VALU_DEP_2)
	v_min3_f32 v28, v28, v29, v88
	v_min_f32_e32 v29, v30, v31
	s_delay_alu instid0(VALU_DEP_1)
	v_min3_f32 v30, v34, v29, v28
	v_add_co_u32 v28, vcc_lo, v38, v32
	v_add_co_ci_u32_e32 v29, vcc_lo, v39, v33, vcc_lo
	global_store_b32 v[28:29], v30, off
	s_or_b32 exec_lo, exec_lo, s0
	s_and_b32 s1, s2, s8
	s_delay_alu instid0(SALU_CYCLE_1)
	s_and_saveexec_b32 s0, s1
	s_cbranch_execz .LBB18_338
.LBB18_352:
	v_cmp_ne_u32_e32 vcc_lo, 1, v105
	v_lshlrev_b64 v[28:29], 2, v[68:69]
	s_cbranch_vccnz .LBB18_354
; %bb.353:
	s_delay_alu instid0(VALU_DEP_1) | instskip(NEXT) | instid1(VALU_DEP_2)
	v_add_co_u32 v30, vcc_lo, v40, v28
	v_add_co_ci_u32_e32 v31, vcc_lo, v41, v29, vcc_lo
	flat_load_b32 v30, v[30:31]
	s_waitcnt vmcnt(0) lgkmcnt(0)
	v_mul_f32_e32 v30, s15, v30
	s_branch .LBB18_355
.LBB18_354:
	v_mov_b32_e32 v30, 0
.LBB18_355:
	v_dual_add_f32 v25, v25, v5 :: v_dual_add_f32 v24, v24, v4
	v_dual_add_f32 v27, v27, v7 :: v_dual_add_f32 v26, v26, v6
	s_delay_alu instid0(VALU_DEP_2) | instskip(NEXT) | instid1(VALU_DEP_2)
	v_min3_f32 v24, v24, v25, v87
	v_min_f32_e32 v25, v26, v27
	s_delay_alu instid0(VALU_DEP_1)
	v_min3_f32 v26, v30, v25, v24
	v_add_co_u32 v24, vcc_lo, v38, v28
	v_add_co_ci_u32_e32 v25, vcc_lo, v39, v29, vcc_lo
	global_store_b32 v[24:25], v26, off
	s_or_b32 exec_lo, exec_lo, s0
	s_and_b32 s1, s3, s8
	s_delay_alu instid0(SALU_CYCLE_1)
	s_and_saveexec_b32 s0, s1
	s_cbranch_execz .LBB18_339
.LBB18_356:
	v_cmp_ne_u32_e32 vcc_lo, 1, v105
	v_lshlrev_b64 v[24:25], 2, v[70:71]
	s_cbranch_vccnz .LBB18_358
; %bb.357:
	s_delay_alu instid0(VALU_DEP_1) | instskip(NEXT) | instid1(VALU_DEP_2)
	v_add_co_u32 v26, vcc_lo, v40, v24
	v_add_co_ci_u32_e32 v27, vcc_lo, v41, v25, vcc_lo
	flat_load_b32 v26, v[26:27]
	s_waitcnt vmcnt(0) lgkmcnt(0)
	v_mul_f32_e32 v26, s15, v26
	s_branch .LBB18_359
.LBB18_358:
	v_mov_b32_e32 v26, 0
.LBB18_359:
	v_dual_add_f32 v21, v21, v5 :: v_dual_add_f32 v20, v20, v4
	v_dual_add_f32 v23, v23, v7 :: v_dual_add_f32 v22, v22, v6
	s_delay_alu instid0(VALU_DEP_2) | instskip(NEXT) | instid1(VALU_DEP_2)
	v_min3_f32 v20, v20, v21, v86
	v_min_f32_e32 v21, v22, v23
	s_delay_alu instid0(VALU_DEP_1)
	v_min3_f32 v22, v26, v21, v20
	v_add_co_u32 v20, vcc_lo, v38, v24
	v_add_co_ci_u32_e32 v21, vcc_lo, v39, v25, vcc_lo
	global_store_b32 v[20:21], v22, off
	s_or_b32 exec_lo, exec_lo, s0
	s_and_b32 s1, s4, s8
	s_delay_alu instid0(SALU_CYCLE_1)
	s_and_saveexec_b32 s0, s1
	s_cbranch_execz .LBB18_340
.LBB18_360:
	v_cmp_ne_u32_e32 vcc_lo, 1, v105
	v_lshlrev_b64 v[20:21], 2, v[72:73]
	s_cbranch_vccnz .LBB18_362
; %bb.361:
	s_delay_alu instid0(VALU_DEP_1) | instskip(NEXT) | instid1(VALU_DEP_2)
	v_add_co_u32 v22, vcc_lo, v40, v20
	v_add_co_ci_u32_e32 v23, vcc_lo, v41, v21, vcc_lo
	flat_load_b32 v22, v[22:23]
	s_waitcnt vmcnt(0) lgkmcnt(0)
	v_mul_f32_e32 v22, s15, v22
	s_branch .LBB18_363
.LBB18_362:
	v_mov_b32_e32 v22, 0
.LBB18_363:
	v_dual_add_f32 v17, v17, v5 :: v_dual_add_f32 v16, v16, v4
	v_dual_add_f32 v19, v19, v7 :: v_dual_add_f32 v18, v18, v6
	s_delay_alu instid0(VALU_DEP_2) | instskip(NEXT) | instid1(VALU_DEP_2)
	v_min3_f32 v16, v16, v17, v85
	v_min_f32_e32 v17, v18, v19
	s_delay_alu instid0(VALU_DEP_1)
	v_min3_f32 v18, v22, v17, v16
	v_add_co_u32 v16, vcc_lo, v38, v20
	v_add_co_ci_u32_e32 v17, vcc_lo, v39, v21, vcc_lo
	global_store_b32 v[16:17], v18, off
	s_or_b32 exec_lo, exec_lo, s0
	s_and_b32 s1, s5, s8
	s_delay_alu instid0(SALU_CYCLE_1)
	s_and_saveexec_b32 s0, s1
	s_cbranch_execz .LBB18_341
.LBB18_364:
	v_cmp_ne_u32_e32 vcc_lo, 1, v105
	v_lshlrev_b64 v[16:17], 2, v[74:75]
	s_cbranch_vccnz .LBB18_366
; %bb.365:
	s_delay_alu instid0(VALU_DEP_1) | instskip(NEXT) | instid1(VALU_DEP_2)
	v_add_co_u32 v18, vcc_lo, v40, v16
	v_add_co_ci_u32_e32 v19, vcc_lo, v41, v17, vcc_lo
	flat_load_b32 v18, v[18:19]
	s_waitcnt vmcnt(0) lgkmcnt(0)
	v_mul_f32_e32 v18, s15, v18
	s_branch .LBB18_367
.LBB18_366:
	v_mov_b32_e32 v18, 0
.LBB18_367:
	v_dual_add_f32 v13, v13, v5 :: v_dual_add_f32 v12, v12, v4
	v_dual_add_f32 v15, v15, v7 :: v_dual_add_f32 v14, v14, v6
	s_delay_alu instid0(VALU_DEP_2) | instskip(NEXT) | instid1(VALU_DEP_2)
	v_min3_f32 v12, v12, v13, v84
	v_min_f32_e32 v13, v14, v15
	s_delay_alu instid0(VALU_DEP_1)
	v_min3_f32 v14, v18, v13, v12
	v_add_co_u32 v12, vcc_lo, v38, v16
	v_add_co_ci_u32_e32 v13, vcc_lo, v39, v17, vcc_lo
	global_store_b32 v[12:13], v14, off
	s_or_b32 exec_lo, exec_lo, s0
	s_and_b32 s1, s6, s8
	s_delay_alu instid0(SALU_CYCLE_1)
	s_and_saveexec_b32 s0, s1
	s_cbranch_execz .LBB18_342
.LBB18_368:
	v_cmp_ne_u32_e32 vcc_lo, 1, v105
	v_lshlrev_b64 v[12:13], 2, v[76:77]
	s_cbranch_vccnz .LBB18_370
; %bb.369:
	s_delay_alu instid0(VALU_DEP_1) | instskip(NEXT) | instid1(VALU_DEP_2)
	v_add_co_u32 v14, vcc_lo, v40, v12
	v_add_co_ci_u32_e32 v15, vcc_lo, v41, v13, vcc_lo
	flat_load_b32 v14, v[14:15]
	s_waitcnt vmcnt(0) lgkmcnt(0)
	v_mul_f32_e32 v14, s15, v14
	s_branch .LBB18_371
.LBB18_370:
	v_mov_b32_e32 v14, 0
.LBB18_371:
	v_dual_add_f32 v9, v9, v5 :: v_dual_add_f32 v8, v8, v4
	v_dual_add_f32 v11, v11, v7 :: v_dual_add_f32 v10, v10, v6
	s_delay_alu instid0(VALU_DEP_2) | instskip(NEXT) | instid1(VALU_DEP_2)
	v_min3_f32 v8, v8, v9, v83
	v_min_f32_e32 v9, v10, v11
	s_delay_alu instid0(VALU_DEP_1)
	v_min3_f32 v10, v14, v9, v8
	v_add_co_u32 v8, vcc_lo, v38, v12
	v_add_co_ci_u32_e32 v9, vcc_lo, v39, v13, vcc_lo
	global_store_b32 v[8:9], v10, off
	s_or_b32 exec_lo, exec_lo, s0
	s_and_b32 s0, s7, s8
	s_delay_alu instid0(SALU_CYCLE_1)
	s_and_saveexec_b32 s1, s0
	s_cbranch_execz .LBB18_343
.LBB18_372:
	v_cmp_ne_u32_e32 vcc_lo, 1, v105
	v_lshlrev_b64 v[8:9], 2, v[78:79]
	s_cbranch_vccnz .LBB18_374
; %bb.373:
	s_delay_alu instid0(VALU_DEP_1) | instskip(NEXT) | instid1(VALU_DEP_2)
	v_add_co_u32 v10, vcc_lo, v40, v8
	v_add_co_ci_u32_e32 v11, vcc_lo, v41, v9, vcc_lo
	flat_load_b32 v10, v[10:11]
	s_waitcnt vmcnt(0) lgkmcnt(0)
	v_mul_f32_e32 v10, s15, v10
	s_branch .LBB18_375
.LBB18_374:
	v_mov_b32_e32 v10, 0
.LBB18_375:
	v_dual_add_f32 v1, v1, v5 :: v_dual_add_f32 v0, v0, v4
	v_dual_add_f32 v3, v3, v7 :: v_dual_add_f32 v2, v2, v6
	s_delay_alu instid0(VALU_DEP_2) | instskip(NEXT) | instid1(VALU_DEP_2)
	v_min3_f32 v0, v0, v1, v82
	v_min_f32_e32 v1, v2, v3
	s_delay_alu instid0(VALU_DEP_1)
	v_min3_f32 v2, v10, v1, v0
	v_add_co_u32 v0, vcc_lo, v38, v8
	v_add_co_ci_u32_e32 v1, vcc_lo, v39, v9, vcc_lo
	global_store_b32 v[0:1], v2, off
	s_nop 0
	s_sendmsg sendmsg(MSG_DEALLOC_VGPRS)
	s_endpgm
	.section	.rodata,"a",@progbits
	.p2align	6, 0x0
	.amdhsa_kernel _ZN12_GLOBAL__N_120geam_min_plus_kernelIf15HIP_vector_typeIfLj2EEfLi8ELi32ELi64ELi256ELi4ELi64ELi4ELi64ELi4ELc78ELc84ELb0ELb1ELb1EPKfKS4_KPfEEviiiT16_PT17_ilSA_ilS8_SA_ilPT18_ili26rocblas_geam_ex_operation_
		.amdhsa_group_segment_fixed_size 10240
		.amdhsa_private_segment_fixed_size 144
		.amdhsa_kernarg_size 136
		.amdhsa_user_sgpr_count 14
		.amdhsa_user_sgpr_dispatch_ptr 0
		.amdhsa_user_sgpr_queue_ptr 0
		.amdhsa_user_sgpr_kernarg_segment_ptr 1
		.amdhsa_user_sgpr_dispatch_id 0
		.amdhsa_user_sgpr_private_segment_size 0
		.amdhsa_wavefront_size32 1
		.amdhsa_uses_dynamic_stack 0
		.amdhsa_enable_private_segment 1
		.amdhsa_system_sgpr_workgroup_id_x 1
		.amdhsa_system_sgpr_workgroup_id_y 0
		.amdhsa_system_sgpr_workgroup_id_z 1
		.amdhsa_system_sgpr_workgroup_info 0
		.amdhsa_system_vgpr_workitem_id 1
		.amdhsa_next_free_vgpr 256
		.amdhsa_next_free_sgpr 32
		.amdhsa_reserve_vcc 1
		.amdhsa_float_round_mode_32 0
		.amdhsa_float_round_mode_16_64 0
		.amdhsa_float_denorm_mode_32 3
		.amdhsa_float_denorm_mode_16_64 3
		.amdhsa_dx10_clamp 1
		.amdhsa_ieee_mode 1
		.amdhsa_fp16_overflow 0
		.amdhsa_workgroup_processor_mode 1
		.amdhsa_memory_ordered 1
		.amdhsa_forward_progress 0
		.amdhsa_shared_vgpr_count 0
		.amdhsa_exception_fp_ieee_invalid_op 0
		.amdhsa_exception_fp_denorm_src 0
		.amdhsa_exception_fp_ieee_div_zero 0
		.amdhsa_exception_fp_ieee_overflow 0
		.amdhsa_exception_fp_ieee_underflow 0
		.amdhsa_exception_fp_ieee_inexact 0
		.amdhsa_exception_int_div_zero 0
	.end_amdhsa_kernel
	.section	.text._ZN12_GLOBAL__N_120geam_min_plus_kernelIf15HIP_vector_typeIfLj2EEfLi8ELi32ELi64ELi256ELi4ELi64ELi4ELi64ELi4ELc78ELc84ELb0ELb1ELb1EPKfKS4_KPfEEviiiT16_PT17_ilSA_ilS8_SA_ilPT18_ili26rocblas_geam_ex_operation_,"axG",@progbits,_ZN12_GLOBAL__N_120geam_min_plus_kernelIf15HIP_vector_typeIfLj2EEfLi8ELi32ELi64ELi256ELi4ELi64ELi4ELi64ELi4ELc78ELc84ELb0ELb1ELb1EPKfKS4_KPfEEviiiT16_PT17_ilSA_ilS8_SA_ilPT18_ili26rocblas_geam_ex_operation_,comdat
.Lfunc_end18:
	.size	_ZN12_GLOBAL__N_120geam_min_plus_kernelIf15HIP_vector_typeIfLj2EEfLi8ELi32ELi64ELi256ELi4ELi64ELi4ELi64ELi4ELc78ELc84ELb0ELb1ELb1EPKfKS4_KPfEEviiiT16_PT17_ilSA_ilS8_SA_ilPT18_ili26rocblas_geam_ex_operation_, .Lfunc_end18-_ZN12_GLOBAL__N_120geam_min_plus_kernelIf15HIP_vector_typeIfLj2EEfLi8ELi32ELi64ELi256ELi4ELi64ELi4ELi64ELi4ELc78ELc84ELb0ELb1ELb1EPKfKS4_KPfEEviiiT16_PT17_ilSA_ilS8_SA_ilPT18_ili26rocblas_geam_ex_operation_
                                        ; -- End function
	.section	.AMDGPU.csdata,"",@progbits
; Kernel info:
; codeLenInByte = 21864
; NumSgprs: 34
; NumVgprs: 256
; ScratchSize: 144
; MemoryBound: 0
; FloatMode: 240
; IeeeMode: 1
; LDSByteSize: 10240 bytes/workgroup (compile time only)
; SGPRBlocks: 4
; VGPRBlocks: 31
; NumSGPRsForWavesPerEU: 34
; NumVGPRsForWavesPerEU: 256
; Occupancy: 5
; WaveLimiterHint : 1
; COMPUTE_PGM_RSRC2:SCRATCH_EN: 1
; COMPUTE_PGM_RSRC2:USER_SGPR: 14
; COMPUTE_PGM_RSRC2:TRAP_HANDLER: 0
; COMPUTE_PGM_RSRC2:TGID_X_EN: 1
; COMPUTE_PGM_RSRC2:TGID_Y_EN: 0
; COMPUTE_PGM_RSRC2:TGID_Z_EN: 1
; COMPUTE_PGM_RSRC2:TIDIG_COMP_CNT: 1
	.section	.text._ZN12_GLOBAL__N_120geam_min_plus_kernelIf15HIP_vector_typeIfLj2EEfLi8ELi32ELi64ELi256ELi4ELi64ELi4ELi64ELi4ELc78ELc84ELb1ELb1ELb1EfKPKfKPfEEviiiT16_PT17_ilSA_ilS8_SA_ilPT18_ili26rocblas_geam_ex_operation_,"axG",@progbits,_ZN12_GLOBAL__N_120geam_min_plus_kernelIf15HIP_vector_typeIfLj2EEfLi8ELi32ELi64ELi256ELi4ELi64ELi4ELi64ELi4ELc78ELc84ELb1ELb1ELb1EfKPKfKPfEEviiiT16_PT17_ilSA_ilS8_SA_ilPT18_ili26rocblas_geam_ex_operation_,comdat
	.globl	_ZN12_GLOBAL__N_120geam_min_plus_kernelIf15HIP_vector_typeIfLj2EEfLi8ELi32ELi64ELi256ELi4ELi64ELi4ELi64ELi4ELc78ELc84ELb1ELb1ELb1EfKPKfKPfEEviiiT16_PT17_ilSA_ilS8_SA_ilPT18_ili26rocblas_geam_ex_operation_ ; -- Begin function _ZN12_GLOBAL__N_120geam_min_plus_kernelIf15HIP_vector_typeIfLj2EEfLi8ELi32ELi64ELi256ELi4ELi64ELi4ELi64ELi4ELc78ELc84ELb1ELb1ELb1EfKPKfKPfEEviiiT16_PT17_ilSA_ilS8_SA_ilPT18_ili26rocblas_geam_ex_operation_
	.p2align	8
	.type	_ZN12_GLOBAL__N_120geam_min_plus_kernelIf15HIP_vector_typeIfLj2EEfLi8ELi32ELi64ELi256ELi4ELi64ELi4ELi64ELi4ELc78ELc84ELb1ELb1ELb1EfKPKfKPfEEviiiT16_PT17_ilSA_ilS8_SA_ilPT18_ili26rocblas_geam_ex_operation_,@function
_ZN12_GLOBAL__N_120geam_min_plus_kernelIf15HIP_vector_typeIfLj2EEfLi8ELi32ELi64ELi256ELi4ELi64ELi4ELi64ELi4ELc78ELc84ELb1ELb1ELb1EfKPKfKPfEEviiiT16_PT17_ilSA_ilS8_SA_ilPT18_ili26rocblas_geam_ex_operation_: ; @_ZN12_GLOBAL__N_120geam_min_plus_kernelIf15HIP_vector_typeIfLj2EEfLi8ELi32ELi64ELi256ELi4ELi64ELi4ELi64ELi4ELc78ELc84ELb1ELb1ELb1EfKPKfKPfEEviiiT16_PT17_ilSA_ilS8_SA_ilPT18_ili26rocblas_geam_ex_operation_
; %bb.0:
	s_clause 0x1
	s_load_b128 s[16:19], s[0:1], 0x0
	s_load_b128 s[4:7], s[0:1], 0x20
	s_mov_b32 s2, s15
	s_mov_b32 s3, 0
	s_waitcnt lgkmcnt(0)
	v_cmp_eq_f32_e64 s10, s19, 0
	s_delay_alu instid0(VALU_DEP_1)
	s_and_b32 vcc_lo, exec_lo, s10
	s_cbranch_vccnz .LBB19_3
; %bb.1:
	s_load_b64 s[8:9], s[0:1], 0x10
	s_lshl_b64 s[12:13], s[2:3], 3
	s_waitcnt lgkmcnt(0)
	s_add_u32 s8, s8, s12
	s_addc_u32 s9, s9, s13
	s_lshl_b64 s[4:5], s[4:5], 2
	s_load_b64 s[8:9], s[8:9], 0x0
	s_waitcnt lgkmcnt(0)
	s_add_u32 s8, s8, s4
	s_addc_u32 s9, s9, s5
	s_and_not1_b32 vcc_lo, exec_lo, s10
	s_cbranch_vccnz .LBB19_4
.LBB19_2:
	s_mov_b64 s[20:21], 0
	s_and_not1_b32 vcc_lo, exec_lo, s3
	s_cbranch_vccz .LBB19_5
	s_branch .LBB19_6
.LBB19_3:
	s_mov_b64 s[8:9], 0
	s_and_not1_b32 vcc_lo, exec_lo, s10
	s_cbranch_vccz .LBB19_2
.LBB19_4:
	s_mov_b32 s3, -1
                                        ; implicit-def: $sgpr20_sgpr21
.LBB19_5:
	s_mov_b32 s3, 0
	s_load_b64 s[10:11], s[0:1], 0x38
	s_lshl_b64 s[4:5], s[2:3], 3
	s_delay_alu instid0(SALU_CYCLE_1) | instskip(SKIP_4) | instid1(SALU_CYCLE_1)
	s_add_u32 s4, s6, s4
	s_addc_u32 s5, s7, s5
	s_load_b64 s[4:5], s[4:5], 0x0
	s_waitcnt lgkmcnt(0)
	s_lshl_b64 s[6:7], s[10:11], 2
	s_add_u32 s20, s4, s6
	s_addc_u32 s21, s5, s7
.LBB19_6:
	s_clause 0x1
	s_load_b32 s19, s[0:1], 0x40
	s_load_b128 s[4:7], s[0:1], 0x58
	s_waitcnt lgkmcnt(0)
	v_cmp_eq_f32_e64 s10, s19, 0
	v_cmp_neq_f32_e64 s24, s19, 0
	s_delay_alu instid0(VALU_DEP_2)
	s_and_b32 vcc_lo, exec_lo, s10
	s_cbranch_vccnz .LBB19_8
; %bb.7:
	s_load_b64 s[10:11], s[0:1], 0x48
	s_lshl_b64 s[12:13], s[2:3], 3
	s_waitcnt lgkmcnt(0)
	s_add_u32 s10, s10, s12
	s_addc_u32 s11, s11, s13
	s_lshl_b64 s[4:5], s[4:5], 2
	s_load_b64 s[10:11], s[10:11], 0x0
	s_waitcnt lgkmcnt(0)
	s_add_u32 s10, s10, s4
	s_addc_u32 s11, s11, s5
	s_branch .LBB19_9
.LBB19_8:
	s_mov_b64 s[10:11], 0
.LBB19_9:
	s_load_b32 s22, s[0:1], 0x18
	s_lshl_b64 s[2:3], s[2:3], 3
	v_and_b32_e32 v24, 0x3ff, v0
	v_bfe_u32 v29, v0, 10, 10
	v_mov_b32_e32 v2, 0x7f7fffff
	s_delay_alu instid0(VALU_DEP_2) | instskip(NEXT) | instid1(VALU_DEP_1)
	v_lshl_add_u32 v0, v29, 3, v24
	v_lshrrev_b32_e32 v74, 6, v0
	s_waitcnt lgkmcnt(0)
	s_ashr_i32 s23, s22, 31
	s_add_u32 s4, s6, s2
	s_addc_u32 s5, s7, s3
	s_add_i32 s2, s16, -1
	s_delay_alu instid0(SALU_CYCLE_1) | instskip(NEXT) | instid1(SALU_CYCLE_1)
	s_ashr_i32 s3, s2, 31
	s_lshr_b32 s3, s3, 26
	s_delay_alu instid0(SALU_CYCLE_1) | instskip(NEXT) | instid1(SALU_CYCLE_1)
	s_add_i32 s2, s2, s3
	s_ashr_i32 s2, s2, 6
	s_delay_alu instid0(SALU_CYCLE_1) | instskip(SKIP_2) | instid1(VALU_DEP_1)
	s_add_i32 s6, s2, 1
	s_not_b32 s2, s2
	v_cvt_f32_u32_e32 v1, s6
	v_rcp_iflag_f32_e32 v1, v1
	s_waitcnt_depctr 0xfff
	v_mul_f32_e32 v1, 0x4f7ffffe, v1
	s_delay_alu instid0(VALU_DEP_1) | instskip(NEXT) | instid1(VALU_DEP_1)
	v_cvt_u32_f32_e32 v1, v1
	v_readfirstlane_b32 s3, v1
	v_dual_mov_b32 v0, 0x7f7fffff :: v_dual_and_b32 v1, 63, v0
	s_delay_alu instid0(VALU_DEP_2) | instskip(NEXT) | instid1(SALU_CYCLE_1)
	s_mul_i32 s2, s2, s3
	s_mul_hi_u32 s2, s3, s2
	s_delay_alu instid0(SALU_CYCLE_1) | instskip(NEXT) | instid1(SALU_CYCLE_1)
	s_add_i32 s3, s3, s2
	s_mul_hi_u32 s2, s14, s3
	s_delay_alu instid0(SALU_CYCLE_1) | instskip(SKIP_2) | instid1(SALU_CYCLE_1)
	s_mul_i32 s3, s2, s6
	s_add_i32 s7, s2, 1
	s_sub_i32 s3, s14, s3
	s_sub_i32 s12, s3, s6
	s_cmp_ge_u32 s3, s6
	s_cselect_b32 s2, s7, s2
	s_cselect_b32 s3, s12, s3
	s_add_i32 s7, s2, 1
	s_cmp_ge_u32 s3, s6
	s_load_b64 s[12:13], s[4:5], 0x0
	s_cselect_b32 s3, s7, s2
	s_delay_alu instid0(SALU_CYCLE_1) | instskip(SKIP_2) | instid1(SALU_CYCLE_1)
	s_mul_i32 s2, s3, s6
	v_cmp_le_i32_e64 s6, s18, v74
	s_sub_i32 s2, s14, s2
	s_lshl_b32 s25, s2, 6
	s_delay_alu instid0(SALU_CYCLE_1) | instskip(NEXT) | instid1(VALU_DEP_1)
	v_or_b32_e32 v20, s25, v1
	v_cmp_le_i32_e32 vcc_lo, s16, v20
	v_ashrrev_i32_e32 v21, 31, v20
	s_or_b32 s2, vcc_lo, s6
	s_delay_alu instid0(SALU_CYCLE_1) | instskip(NEXT) | instid1(SALU_CYCLE_1)
	s_xor_b32 s2, s2, -1
	s_and_saveexec_b32 s4, s2
	s_cbranch_execz .LBB19_11
; %bb.10:
	v_mad_i64_i32 v[2:3], null, s22, v74, 0
	v_lshlrev_b64 v[4:5], 2, v[20:21]
	s_delay_alu instid0(VALU_DEP_2) | instskip(NEXT) | instid1(VALU_DEP_1)
	v_lshlrev_b64 v[2:3], 2, v[2:3]
	v_add_co_u32 v2, s2, s8, v2
	s_delay_alu instid0(VALU_DEP_1) | instskip(NEXT) | instid1(VALU_DEP_2)
	v_add_co_ci_u32_e64 v3, s2, s9, v3, s2
	v_add_co_u32 v2, s2, v2, v4
	s_delay_alu instid0(VALU_DEP_1)
	v_add_co_ci_u32_e64 v3, s2, v3, v5, s2
	flat_load_b32 v2, v[2:3]
.LBB19_11:
	s_or_b32 exec_lo, exec_lo, s4
	s_load_b32 s14, s[0:1], 0x30
	s_lshl_b32 s26, s3, 8
	s_delay_alu instid0(SALU_CYCLE_1) | instskip(NEXT) | instid1(VALU_DEP_1)
	v_or_b32_e32 v22, s26, v1
	v_cmp_le_i32_e64 s2, s17, v22
	v_ashrrev_i32_e32 v23, 31, v22
	s_waitcnt lgkmcnt(0)
	v_mad_i64_i32 v[3:4], null, v74, s14, 0
	s_delay_alu instid0(VALU_DEP_1) | instskip(NEXT) | instid1(VALU_DEP_1)
	v_lshlrev_b64 v[3:4], 2, v[3:4]
	v_add_co_u32 v6, s3, s20, v3
	s_delay_alu instid0(VALU_DEP_1) | instskip(SKIP_1) | instid1(SALU_CYCLE_1)
	v_add_co_ci_u32_e64 v7, s3, s21, v4, s3
	s_or_b32 s3, s2, s6
	s_xor_b32 s3, s3, -1
	s_delay_alu instid0(SALU_CYCLE_1)
	s_and_saveexec_b32 s4, s3
	s_cbranch_execz .LBB19_13
; %bb.12:
	v_lshlrev_b64 v[3:4], 2, v[22:23]
	s_delay_alu instid0(VALU_DEP_1) | instskip(NEXT) | instid1(VALU_DEP_1)
	v_add_co_u32 v3, s3, v6, v3
	v_add_co_ci_u32_e64 v4, s3, v7, v4, s3
	flat_load_b32 v0, v[3:4]
.LBB19_13:
	s_or_b32 exec_lo, exec_lo, s4
	v_or_b32_e32 v3, 64, v22
	v_mov_b32_e32 v4, 0x7f7fffff
	s_delay_alu instid0(VALU_DEP_2) | instskip(SKIP_1) | instid1(VALU_DEP_2)
	v_cmp_le_i32_e64 s3, s17, v3
	v_mov_b32_e32 v3, 0x7f7fffff
	s_or_b32 s4, s3, s6
	s_delay_alu instid0(SALU_CYCLE_1) | instskip(NEXT) | instid1(SALU_CYCLE_1)
	s_xor_b32 s4, s4, -1
	s_and_saveexec_b32 s5, s4
	s_cbranch_execz .LBB19_15
; %bb.14:
	v_lshlrev_b64 v[4:5], 2, v[22:23]
	s_delay_alu instid0(VALU_DEP_1) | instskip(NEXT) | instid1(VALU_DEP_1)
	v_add_co_u32 v4, s4, v6, v4
	v_add_co_ci_u32_e64 v5, s4, v7, v5, s4
	flat_load_b32 v4, v[4:5] offset:256
.LBB19_15:
	s_or_b32 exec_lo, exec_lo, s5
	v_or_b32_e32 v5, 0x80, v22
	s_ashr_i32 s15, s14, 31
	s_delay_alu instid0(VALU_DEP_1) | instskip(NEXT) | instid1(VALU_DEP_1)
	v_cmp_le_i32_e64 s4, s17, v5
	s_or_b32 s5, s4, s6
	s_delay_alu instid0(SALU_CYCLE_1) | instskip(NEXT) | instid1(SALU_CYCLE_1)
	s_xor_b32 s5, s5, -1
	s_and_saveexec_b32 s7, s5
	s_cbranch_execz .LBB19_17
; %bb.16:
	v_lshlrev_b64 v[8:9], 2, v[22:23]
	s_delay_alu instid0(VALU_DEP_1) | instskip(NEXT) | instid1(VALU_DEP_1)
	v_add_co_u32 v8, s5, v6, v8
	v_add_co_ci_u32_e64 v9, s5, v7, v9, s5
	flat_load_b32 v3, v[8:9] offset:512
.LBB19_17:
	s_or_b32 exec_lo, exec_lo, s7
	v_or_b32_e32 v5, 0xc0, v22
	v_mov_b32_e32 v152, 0x7f7fffff
	s_delay_alu instid0(VALU_DEP_2) | instskip(SKIP_1) | instid1(VALU_DEP_2)
	v_cmp_le_i32_e64 s5, s17, v5
	v_mov_b32_e32 v5, 0x7f7fffff
	s_or_b32 s6, s5, s6
	s_delay_alu instid0(SALU_CYCLE_1) | instskip(NEXT) | instid1(SALU_CYCLE_1)
	s_xor_b32 s6, s6, -1
	s_and_saveexec_b32 s7, s6
	s_cbranch_execz .LBB19_19
; %bb.18:
	v_lshlrev_b64 v[8:9], 2, v[22:23]
	s_delay_alu instid0(VALU_DEP_1) | instskip(NEXT) | instid1(VALU_DEP_1)
	v_add_co_u32 v5, s6, v6, v8
	v_add_co_ci_u32_e64 v6, s6, v7, v9, s6
	flat_load_b32 v5, v[5:6] offset:768
.LBB19_19:
	s_or_b32 exec_lo, exec_lo, s7
	v_add_nc_u32_e32 v6, 4, v74
	s_delay_alu instid0(VALU_DEP_1) | instskip(NEXT) | instid1(VALU_DEP_1)
	v_cmp_le_i32_e64 s6, s18, v6
	s_or_b32 s7, vcc_lo, s6
	s_delay_alu instid0(SALU_CYCLE_1) | instskip(NEXT) | instid1(SALU_CYCLE_1)
	s_xor_b32 s7, s7, -1
	s_and_saveexec_b32 s27, s7
	s_cbranch_execz .LBB19_21
; %bb.20:
	v_mad_i64_i32 v[7:8], null, s22, v6, 0
	v_lshlrev_b64 v[9:10], 2, v[20:21]
	s_delay_alu instid0(VALU_DEP_2) | instskip(NEXT) | instid1(VALU_DEP_1)
	v_lshlrev_b64 v[7:8], 2, v[7:8]
	v_add_co_u32 v7, s7, s8, v7
	s_delay_alu instid0(VALU_DEP_1) | instskip(NEXT) | instid1(VALU_DEP_2)
	v_add_co_ci_u32_e64 v8, s7, s9, v8, s7
	v_add_co_u32 v7, s7, v7, v9
	s_delay_alu instid0(VALU_DEP_1)
	v_add_co_ci_u32_e64 v8, s7, v8, v10, s7
	flat_load_b32 v152, v[7:8]
.LBB19_21:
	s_or_b32 exec_lo, exec_lo, s27
	v_mad_i64_i32 v[7:8], null, v6, s14, 0
	v_dual_mov_b32 v25, 0x7f7fffff :: v_dual_mov_b32 v26, 0x7f7fffff
	s_delay_alu instid0(VALU_DEP_2) | instskip(NEXT) | instid1(VALU_DEP_1)
	v_lshlrev_b64 v[6:7], 2, v[7:8]
	v_add_co_u32 v6, s7, s20, v6
	s_delay_alu instid0(VALU_DEP_1) | instskip(SKIP_1) | instid1(SALU_CYCLE_1)
	v_add_co_ci_u32_e64 v7, s7, s21, v7, s7
	s_or_b32 s7, s2, s6
	s_xor_b32 s7, s7, -1
	s_delay_alu instid0(SALU_CYCLE_1)
	s_and_saveexec_b32 s27, s7
	s_cbranch_execz .LBB19_23
; %bb.22:
	v_lshlrev_b64 v[8:9], 2, v[22:23]
	s_delay_alu instid0(VALU_DEP_1) | instskip(NEXT) | instid1(VALU_DEP_1)
	v_add_co_u32 v8, s7, v6, v8
	v_add_co_ci_u32_e64 v9, s7, v7, v9, s7
	flat_load_b32 v26, v[8:9]
.LBB19_23:
	s_or_b32 exec_lo, exec_lo, s27
	s_or_b32 s7, s3, s6
	s_delay_alu instid0(SALU_CYCLE_1) | instskip(NEXT) | instid1(SALU_CYCLE_1)
	s_xor_b32 s7, s7, -1
	s_and_saveexec_b32 s27, s7
	s_cbranch_execz .LBB19_25
; %bb.24:
	v_lshlrev_b64 v[8:9], 2, v[22:23]
	s_delay_alu instid0(VALU_DEP_1) | instskip(NEXT) | instid1(VALU_DEP_1)
	v_add_co_u32 v8, s7, v6, v8
	v_add_co_ci_u32_e64 v9, s7, v7, v9, s7
	flat_load_b32 v25, v[8:9] offset:256
.LBB19_25:
	s_or_b32 exec_lo, exec_lo, s27
	v_dual_mov_b32 v27, 0x7f7fffff :: v_dual_mov_b32 v28, 0x7f7fffff
	s_or_b32 s7, s4, s6
	s_delay_alu instid0(SALU_CYCLE_1) | instskip(NEXT) | instid1(SALU_CYCLE_1)
	s_xor_b32 s7, s7, -1
	s_and_saveexec_b32 s27, s7
	s_cbranch_execz .LBB19_27
; %bb.26:
	v_lshlrev_b64 v[8:9], 2, v[22:23]
	s_delay_alu instid0(VALU_DEP_1) | instskip(NEXT) | instid1(VALU_DEP_1)
	v_add_co_u32 v8, s7, v6, v8
	v_add_co_ci_u32_e64 v9, s7, v7, v9, s7
	flat_load_b32 v28, v[8:9] offset:512
.LBB19_27:
	s_or_b32 exec_lo, exec_lo, s27
	s_or_b32 s6, s5, s6
	s_delay_alu instid0(SALU_CYCLE_1) | instskip(NEXT) | instid1(SALU_CYCLE_1)
	s_xor_b32 s6, s6, -1
	s_and_saveexec_b32 s7, s6
	s_cbranch_execz .LBB19_29
; %bb.28:
	v_lshlrev_b64 v[8:9], 2, v[22:23]
	s_delay_alu instid0(VALU_DEP_1) | instskip(NEXT) | instid1(VALU_DEP_1)
	v_add_co_u32 v6, s6, v6, v8
	v_add_co_ci_u32_e64 v7, s6, v7, v9, s6
	flat_load_b32 v27, v[6:7] offset:768
.LBB19_29:
	s_or_b32 exec_lo, exec_lo, s7
	v_lshlrev_b32_e32 v6, 2, v74
	v_lshlrev_b32_e32 v75, 4, v29
	;; [unrolled: 1-line block ×3, first 2 shown]
	s_cmp_lt_i32 s18, 9
	s_delay_alu instid0(VALU_DEP_3)
	v_lshl_add_u32 v77, v1, 4, v6
	s_waitcnt vmcnt(0) lgkmcnt(0)
	ds_store_2addr_stride64_b32 v77, v0, v4 offset1:4
	ds_store_b32 v77, v2 offset:8192
	ds_store_2addr_stride64_b32 v77, v3, v5 offset0:8 offset1:12
	s_waitcnt lgkmcnt(0)
	s_barrier
	buffer_gl0_inv
	ds_load_b128 v[51:54], v75
	ds_load_b128 v[0:3], v76 offset:8192
	ds_load_b128 v[12:15], v76 offset:8320
	;; [unrolled: 1-line block ×5, first 2 shown]
	s_waitcnt lgkmcnt(4)
	v_dual_add_f32 v151, v3, v54 :: v_dual_add_f32 v16, v1, v52
	s_waitcnt lgkmcnt(2)
	v_add_f32_e32 v149, v11, v54
	v_add_f32_e32 v143, v14, v53
	s_waitcnt lgkmcnt(1)
	v_add_f32_e32 v147, v6, v53
	s_waitcnt lgkmcnt(0)
	v_add_f32_e32 v131, v2, v84
	scratch_store_b32 off, v16, off offset:8 ; 4-byte Folded Spill
	v_dual_add_f32 v16, v0, v51 :: v_dual_add_f32 v107, v15, v85
	v_add_f32_e32 v135, v12, v82
	v_add_f32_e32 v109, v11, v85
	;; [unrolled: 1-line block ×3, first 2 shown]
	scratch_store_b32 off, v16, off offset:24 ; 4-byte Folded Spill
	v_add_f32_e32 v16, v13, v52
	scratch_store_b32 off, v16, off offset:12 ; 4-byte Folded Spill
	v_add_f32_e32 v16, v12, v51
	scratch_store_b32 off, v16, off offset:28 ; 4-byte Folded Spill
	v_add_f32_e32 v16, v9, v52
	scratch_store_b32 off, v16, off offset:16 ; 4-byte Folded Spill
	v_add_f32_e32 v16, v8, v51
	scratch_store_b32 off, v16, off offset:32 ; 4-byte Folded Spill
	v_add_f32_e32 v16, v5, v52
	scratch_store_b32 off, v16, off offset:20 ; 4-byte Folded Spill
	v_add_f32_e32 v16, v4, v51
	scratch_store_b32 off, v16, off offset:36 ; 4-byte Folded Spill
	ds_load_b128 v[86:89], v76 offset:8704
	ds_load_b128 v[90:93], v76 offset:8832
	v_add_f32_e32 v132, v3, v85
	s_waitcnt lgkmcnt(1)
	v_dual_add_f32 v16, v87, v52 :: v_dual_add_f32 v113, v89, v85
	v_add_f32_e32 v137, v88, v53
	s_waitcnt lgkmcnt(0)
	v_add_f32_e32 v115, v93, v85
	scratch_store_b32 off, v16, off offset:40 ; 4-byte Folded Spill
	v_add_f32_e32 v16, v86, v51
	scratch_store_b32 off, v16, off offset:48 ; 4-byte Folded Spill
	;; [unrolled: 2-line block ×4, first 2 shown]
	ds_load_b128 v[94:97], v76 offset:8960
	ds_load_b128 v[16:19], v76 offset:9088
	s_waitcnt lgkmcnt(1)
	v_dual_add_f32 v30, v95, v52 :: v_dual_add_f32 v117, v97, v85
	s_waitcnt lgkmcnt(0)
	v_add_f32_e32 v85, v19, v85
	v_add_f32_e32 v139, v96, v53
	;; [unrolled: 1-line block ×3, first 2 shown]
	scratch_store_b32 off, v30, off offset:56 ; 4-byte Folded Spill
	v_add_f32_e32 v30, v94, v51
	scratch_store_b32 off, v30, off offset:64 ; 4-byte Folded Spill
	v_add_f32_e32 v30, v17, v52
	;; [unrolled: 2-line block ×20, first 2 shown]
	scratch_store_b32 off, v30, off offset:136 ; 4-byte Folded Spill
	ds_load_b128 v[98:101], v75 offset:1024
	ds_load_b128 v[102:105], v75 offset:1536
	v_add_f32_e32 v150, v2, v53
	v_add_f32_e32 v148, v15, v54
	;; [unrolled: 1-line block ×8, first 2 shown]
	s_waitcnt lgkmcnt(1)
	v_dual_add_f32 v114, v88, v84 :: v_dual_add_f32 v119, v1, v99
	s_waitcnt lgkmcnt(0)
	v_add_f32_e32 v181, v94, v102
	v_dual_add_f32 v120, v0, v98 :: v_dual_add_f32 v189, v10, v104
	v_dual_add_f32 v121, v13, v99 :: v_dual_add_f32 v122, v12, v98
	v_add_f32_e32 v191, v6, v104
	v_dual_add_f32 v123, v9, v99 :: v_dual_add_f32 v124, v8, v98
	v_add_f32_e32 v199, v18, v104
	;; [unrolled: 2-line block ×3, first 2 shown]
	v_dual_add_f32 v51, v86, v98 :: v_dual_add_f32 v54, v91, v99
	v_dual_add_f32 v197, v96, v104 :: v_dual_add_f32 v52, v90, v98
	;; [unrolled: 1-line block ×18, first 2 shown]
	v_add_f32_e32 v180, v95, v103
	v_dual_add_f32 v182, v17, v103 :: v_dual_add_f32 v183, v16, v102
	v_dual_add_f32 v184, v3, v105 :: v_dual_add_f32 v185, v2, v104
	v_dual_add_f32 v186, v15, v105 :: v_dual_add_f32 v187, v14, v104
	v_add_f32_e32 v188, v11, v105
	v_add_f32_e32 v190, v7, v105
	v_dual_add_f32 v192, v89, v105 :: v_dual_add_f32 v193, v88, v104
	v_dual_add_f32 v194, v93, v105 :: v_dual_add_f32 v195, v92, v104
	v_add_f32_e32 v196, v97, v105
	v_add_f32_e32 v198, v19, v105
	ds_load_b128 v[98:101], v75 offset:2048
	ds_load_b128 v[102:105], v75 offset:2560
	s_clause 0x1
	scratch_store_b32 off, v24, off
	scratch_store_b32 off, v29, off offset:4
	v_add_f32_e32 v110, v10, v84
	v_add_f32_e32 v106, v6, v84
	;; [unrolled: 1-line block ×5, first 2 shown]
	v_min3_f32 v51, v51, v127, 0x7f7fffff
	s_waitcnt lgkmcnt(1)
	v_dual_add_f32 v205, v8, v98 :: v_dual_add_f32 v200, v1, v99
	s_waitcnt lgkmcnt(0)
	v_add_f32_e32 v33, v19, v105
	v_dual_add_f32 v201, v0, v98 :: v_dual_add_f32 v202, v13, v99
	v_dual_add_f32 v203, v12, v98 :: v_dual_add_f32 v204, v9, v99
	;; [unrolled: 1-line block ×5, first 2 shown]
	v_add_f32_e32 v31, v97, v105
	v_dual_add_f32 v211, v90, v98 :: v_dual_add_f32 v212, v95, v99
	v_dual_add_f32 v213, v94, v98 :: v_dual_add_f32 v214, v17, v99
	;; [unrolled: 1-line block ×23, first 2 shown]
	v_add_f32_e32 v73, v88, v104
	v_add_f32_e32 v30, v92, v104
	;; [unrolled: 1-line block ×4, first 2 shown]
	ds_load_b128 v[98:101], v75 offset:3072
	ds_load_b128 v[102:105], v75 offset:3584
	v_min3_f32 v127, v161, v160, v51
	v_min3_f32 v51, v52, v54, 0x7f7fffff
	s_waitcnt lgkmcnt(1)
	v_add_f32_e32 v47, v87, v99
	s_waitcnt lgkmcnt(0)
	v_dual_add_f32 v61, v86, v98 :: v_dual_add_f32 v70, v87, v103
	v_add_f32_e32 v71, v86, v102
	s_clause 0x1
	scratch_load_b32 v86, off, off offset:8
	scratch_load_b32 v87, off, off offset:24
	v_add_f32_e32 v41, v90, v98
	v_add_f32_e32 v35, v1, v99
	;; [unrolled: 1-line block ×16, first 2 shown]
	v_dual_add_f32 v13, v13, v103 :: v_dual_add_f32 v50, v2, v100
	v_add_f32_e32 v56, v14, v100
	v_add_f32_e32 v58, v10, v100
	;; [unrolled: 1-line block ×3, first 2 shown]
	v_dual_add_f32 v2, v2, v104 :: v_dual_add_f32 v15, v15, v105
	v_dual_add_f32 v14, v14, v104 :: v_dual_add_f32 v9, v9, v103
	v_add_f32_e32 v10, v10, v104
	v_add_f32_e32 v6, v6, v104
	;; [unrolled: 1-line block ×6, first 2 shown]
	v_dual_add_f32 v44, v17, v99 :: v_dual_add_f32 v11, v11, v105
	v_add_f32_e32 v5, v5, v103
	v_add_f32_e32 v80, v91, v103
	;; [unrolled: 1-line block ×3, first 2 shown]
	v_dual_add_f32 v17, v17, v103 :: v_dual_add_f32 v36, v0, v98
	v_add_f32_e32 v38, v12, v98
	v_add_f32_e32 v40, v8, v98
	;; [unrolled: 1-line block ×16, first 2 shown]
	v_min3_f32 v0, v0, v1, 0x7f7fffff
	v_add_f32_e32 v78, v89, v105
	v_dual_add_f32 v141, v97, v105 :: v_dual_add_f32 v24, v91, v99
	v_add_f32_e32 v42, v95, v99
	s_delay_alu instid0(VALU_DEP_4) | instskip(SKIP_4) | instid1(VALU_DEP_4)
	v_min3_f32 v89, v2, v3, v0
	v_min3_f32 v0, v12, v13, 0x7f7fffff
	v_add_f32_e32 v7, v7, v105
	v_add_f32_e32 v112, v93, v105
	v_min3_f32 v24, v41, v24, 0x7f7fffff
	v_min3_f32 v88, v14, v15, v0
	;; [unrolled: 1-line block ×3, first 2 shown]
	s_delay_alu instid0(VALU_DEP_3) | instskip(SKIP_1) | instid1(VALU_DEP_1)
	v_min3_f32 v92, v65, v64, v24
	v_min3_f32 v24, v43, v42, 0x7f7fffff
	;; [unrolled: 1-line block ×4, first 2 shown]
	s_delay_alu instid0(VALU_DEP_1) | instskip(SKIP_2) | instid1(VALU_DEP_1)
	v_min3_f32 v90, v69, v68, v24
	s_waitcnt vmcnt(0)
	v_min3_f32 v86, v87, v86, 0x7f7fffff
	v_min3_f32 v151, v150, v151, v86
	s_clause 0x1
	scratch_load_b32 v86, off, off offset:12
	scratch_load_b32 v87, off, off offset:28
	s_waitcnt vmcnt(0)
	v_min3_f32 v86, v87, v86, 0x7f7fffff
	s_delay_alu instid0(VALU_DEP_1)
	v_min3_f32 v150, v143, v148, v86
	s_clause 0x1
	scratch_load_b32 v86, off, off offset:16
	scratch_load_b32 v87, off, off offset:32
	s_waitcnt vmcnt(0)
	v_min3_f32 v86, v87, v86, 0x7f7fffff
	s_delay_alu instid0(VALU_DEP_1)
	v_min3_f32 v149, v146, v149, v86
	s_clause 0x1
	scratch_load_b32 v86, off, off offset:20
	scratch_load_b32 v87, off, off offset:36
	s_waitcnt vmcnt(0)
	v_min3_f32 v86, v87, v86, 0x7f7fffff
	scratch_load_b32 v87, off, off offset:72 ; 4-byte Folded Reload
	s_waitcnt vmcnt(0)
	v_min3_f32 v148, v147, v87, v86
	s_clause 0x1
	scratch_load_b32 v86, off, off offset:40
	scratch_load_b32 v87, off, off offset:48
	s_waitcnt vmcnt(0)
	v_min3_f32 v86, v87, v86, 0x7f7fffff
	scratch_load_b32 v87, off, off offset:76 ; 4-byte Folded Reload
	s_waitcnt vmcnt(0)
	;; [unrolled: 8-line block ×5, first 2 shown]
	v_min3_f32 v140, v140, v87, v86
	scratch_load_b32 v86, off, off offset:92 ; 4-byte Folded Reload
	s_waitcnt vmcnt(0)
	v_min3_f32 v86, v134, v86, 0x7f7fffff
	s_delay_alu instid0(VALU_DEP_1) | instskip(SKIP_3) | instid1(VALU_DEP_1)
	v_min3_f32 v139, v131, v132, v86
	scratch_load_b32 v86, off, off offset:96 ; 4-byte Folded Reload
	s_waitcnt vmcnt(0)
	v_min3_f32 v86, v135, v86, 0x7f7fffff
	v_min3_f32 v138, v108, v107, v86
	scratch_load_b32 v86, off, off offset:100 ; 4-byte Folded Reload
	s_waitcnt vmcnt(0)
	v_min3_f32 v86, v136, v86, 0x7f7fffff
	s_delay_alu instid0(VALU_DEP_1)
	v_min3_f32 v137, v110, v109, v86
	s_clause 0x1
	scratch_load_b32 v86, off, off offset:104
	scratch_load_b32 v87, off, off offset:124
	s_waitcnt vmcnt(0)
	v_min3_f32 v86, v87, v86, 0x7f7fffff
	s_delay_alu instid0(VALU_DEP_1)
	v_min3_f32 v136, v106, v111, v86
	s_clause 0x1
	scratch_load_b32 v86, off, off offset:108
	scratch_load_b32 v87, off, off offset:128
	;; [unrolled: 7-line block ×3, first 2 shown]
	s_waitcnt vmcnt(0)
	v_min3_f32 v86, v87, v86, 0x7f7fffff
	s_delay_alu instid0(VALU_DEP_1) | instskip(SKIP_3) | instid1(VALU_DEP_1)
	v_min3_f32 v134, v116, v115, v86
	scratch_load_b32 v86, off, off offset:116 ; 4-byte Folded Reload
	s_waitcnt vmcnt(0)
	v_min3_f32 v86, v133, v86, 0x7f7fffff
	v_min3_f32 v133, v118, v117, v86
	s_clause 0x1
	scratch_load_b32 v86, off, off offset:120
	scratch_load_b32 v87, off, off offset:136
	ds_store_2addr_stride64_b32 v77, v26, v25 offset0:16 offset1:20
	ds_store_2addr_stride64_b32 v77, v28, v27 offset0:24 offset1:28
	ds_store_b32 v77, v152 offset:9216
	s_waitcnt vmcnt(0) lgkmcnt(0)
	s_waitcnt_vscnt null, 0x0
	s_barrier
	buffer_gl0_inv
	v_min3_f32 v86, v87, v86, 0x7f7fffff
	v_min3_f32 v87, v10, v11, v0
	;; [unrolled: 1-line block ×3, first 2 shown]
	s_delay_alu instid0(VALU_DEP_3) | instskip(SKIP_1) | instid1(VALU_DEP_3)
	v_min3_f32 v132, v84, v85, v86
	v_min3_f32 v84, v120, v119, 0x7f7fffff
	;; [unrolled: 1-line block ×4, first 2 shown]
	s_delay_alu instid0(VALU_DEP_3) | instskip(SKIP_1) | instid1(VALU_DEP_3)
	v_min3_f32 v131, v129, v128, v84
	v_min3_f32 v84, v122, v121, 0x7f7fffff
	;; [unrolled: 1-line block ×4, first 2 shown]
	s_delay_alu instid0(VALU_DEP_3) | instskip(SKIP_1) | instid1(VALU_DEP_1)
	v_min3_f32 v130, v155, v130, v84
	v_min3_f32 v84, v124, v123, 0x7f7fffff
	;; [unrolled: 1-line block ×6, first 2 shown]
	s_delay_alu instid0(VALU_DEP_3) | instskip(SKIP_1) | instid1(VALU_DEP_3)
	v_min3_f32 v128, v159, v158, v84
	v_min3_f32 v84, v142, v112, v0
	;; [unrolled: 1-line block ×5, first 2 shown]
	s_delay_alu instid0(VALU_DEP_2) | instskip(SKIP_1) | instid1(VALU_DEP_3)
	v_min3_f32 v124, v167, v166, v51
	v_min3_f32 v51, v169, v168, 0x7f7fffff
	;; [unrolled: 1-line block ×4, first 2 shown]
	s_delay_alu instid0(VALU_DEP_3) | instskip(SKIP_1) | instid1(VALU_DEP_3)
	v_min3_f32 v123, v185, v184, v51
	v_min3_f32 v51, v171, v170, 0x7f7fffff
	;; [unrolled: 1-line block ×3, first 2 shown]
	s_delay_alu instid0(VALU_DEP_2) | instskip(SKIP_1) | instid1(VALU_DEP_1)
	v_min3_f32 v122, v187, v186, v51
	v_min3_f32 v51, v173, v172, 0x7f7fffff
	v_min3_f32 v121, v189, v188, v51
	v_min3_f32 v51, v175, v174, 0x7f7fffff
	s_delay_alu instid0(VALU_DEP_1) | instskip(SKIP_1) | instid1(VALU_DEP_1)
	v_min3_f32 v120, v191, v190, v51
	v_min3_f32 v51, v177, v176, 0x7f7fffff
	v_min3_f32 v119, v193, v192, v51
	v_min3_f32 v51, v179, v178, 0x7f7fffff
	s_delay_alu instid0(VALU_DEP_1) | instskip(SKIP_1) | instid1(VALU_DEP_1)
	;; [unrolled: 5-line block ×13, first 2 shown]
	v_min3_f32 v94, v60, v59, v29
	v_min3_f32 v29, v61, v47, 0x7f7fffff
	;; [unrolled: 1-line block ×3, first 2 shown]
	s_cbranch_scc1 .LBB19_52
; %bb.30:
	s_clause 0x1
	scratch_load_b32 v205, off, off
	scratch_load_b32 v206, off, off offset:4
	v_lshlrev_b64 v[0:1], 2, v[20:21]
	v_add_nc_u32_e32 v6, 8, v74
	v_add_nc_u32_e32 v10, 12, v74
	v_or_b32_e32 v78, 0x2000, v77
	v_add_nc_u32_e32 v79, 0x2000, v76
	v_add_nc_u32_e32 v80, 0x2400, v77
	v_add_co_u32 v105, s6, s8, v0
	v_mad_i64_i32 v[2:3], null, v6, s22, 0
	v_mad_i64_i32 v[4:5], null, v6, s14, 0
	;; [unrolled: 1-line block ×4, first 2 shown]
	v_add_co_ci_u32_e64 v112, s6, s9, v1, s6
	v_lshlrev_b64 v[0:1], 2, v[22:23]
	v_lshlrev_b64 v[64:65], 2, v[2:3]
	;; [unrolled: 1-line block ×5, first 2 shown]
	v_or_b32_e32 v81, 0x1000, v77
	v_add_co_u32 v144, s6, s20, v0
	s_delay_alu instid0(VALU_DEP_1)
	v_add_co_ci_u32_e64 v145, s6, s21, v1, s6
	s_add_i32 s27, s18, -8
	s_lshl_b64 s[8:9], s[22:23], 5
	s_lshl_b64 s[14:15], s[14:15], 5
	s_mov_b32 s20, 0
	s_waitcnt vmcnt(1)
	v_lshl_add_u32 v141, v205, 4, 0x2400
	s_waitcnt vmcnt(0)
	v_lshl_add_u32 v142, v206, 4, 0x1000
	s_branch .LBB19_32
.LBB19_31:                              ;   in Loop: Header=BB19_32 Depth=1
	s_or_b32 exec_lo, exec_lo, s7
	ds_load_b128 v[93:96], v75
	ds_load_b128 v[157:160], v79
	ds_load_b128 v[161:164], v79 offset:128
	ds_load_b128 v[165:168], v79 offset:256
	;; [unrolled: 1-line block ×14, first 2 shown]
	v_add_co_u32 v105, s6, v105, s8
	s_delay_alu instid0(VALU_DEP_1)
	v_add_co_ci_u32_e64 v112, s6, s9, v112, s6
	v_add_co_u32 v144, s6, v144, s14
	s_waitcnt lgkmcnt(14)
	v_dual_add_f32 v11, v158, v94 :: v_dual_add_f32 v14, v157, v93
	s_waitcnt lgkmcnt(13)
	v_dual_add_f32 v15, v162, v94 :: v_dual_add_f32 v18, v161, v93
	;; [unrolled: 2-line block ×3, first 2 shown]
	s_waitcnt lgkmcnt(11)
	v_add_f32_e32 v23, v170, v94
	v_min3_f32 v11, v14, v11, v24
	v_min3_f32 v14, v18, v15, v25
	v_add_f32_e32 v18, v169, v93
	v_min3_f32 v15, v22, v19, v28
	s_waitcnt lgkmcnt(10)
	v_dual_add_f32 v19, v174, v94 :: v_dual_add_f32 v22, v173, v93
	s_waitcnt lgkmcnt(9)
	v_dual_add_f32 v24, v178, v94 :: v_dual_add_f32 v25, v177, v93
	s_waitcnt lgkmcnt(8)
	v_add_f32_e32 v28, v182, v94
	s_waitcnt lgkmcnt(7)
	v_dual_add_f32 v34, v181, v93 :: v_dual_add_f32 v35, v186, v94
	v_add_f32_e32 v38, v185, v93
	v_min3_f32 v0, v18, v23, v0
	v_min3_f32 v18, v22, v19, v29
	v_min3_f32 v19, v25, v24, v32
	s_waitcnt lgkmcnt(6)
	v_dual_add_f32 v24, v158, v98 :: v_dual_add_f32 v29, v161, v97
	v_min3_f32 v23, v38, v35, v36
	v_add_f32_e32 v25, v157, v97
	v_min3_f32 v22, v34, v28, v33
	v_dual_add_f32 v28, v162, v98 :: v_dual_add_f32 v33, v165, v97
	v_dual_add_f32 v32, v166, v98 :: v_dual_add_f32 v35, v169, v97
	v_add_f32_e32 v34, v170, v98
	v_add_f32_e32 v36, v174, v98
	;; [unrolled: 1-line block ×3, first 2 shown]
	v_min3_f32 v1, v25, v24, v1
	v_min3_f32 v24, v29, v28, v37
	;; [unrolled: 1-line block ×3, first 2 shown]
	v_dual_add_f32 v32, v178, v98 :: v_dual_add_f32 v37, v185, v97
	v_add_f32_e32 v33, v177, v97
	v_min3_f32 v28, v35, v34, v41
	s_waitcnt lgkmcnt(5)
	v_dual_add_f32 v34, v182, v98 :: v_dual_add_f32 v39, v157, v101
	v_add_f32_e32 v35, v181, v97
	v_min3_f32 v29, v38, v36, v44
	v_dual_add_f32 v36, v186, v98 :: v_dual_add_f32 v41, v161, v101
	v_add_f32_e32 v38, v158, v102
	v_add_f32_e32 v40, v162, v102
	v_min3_f32 v4, v33, v32, v4
	v_min3_f32 v32, v35, v34, v45
	;; [unrolled: 1-line block ×3, first 2 shown]
	v_dual_add_f32 v36, v166, v102 :: v_dual_add_f32 v37, v165, v101
	v_min3_f32 v34, v39, v38, v49
	v_dual_add_f32 v38, v170, v102 :: v_dual_add_f32 v45, v177, v101
	v_add_f32_e32 v39, v169, v101
	v_min3_f32 v35, v41, v40, v52
	v_dual_add_f32 v40, v174, v102 :: v_dual_add_f32 v49, v181, v101
	v_dual_add_f32 v41, v173, v101 :: v_dual_add_f32 v44, v178, v102
	v_add_f32_e32 v48, v182, v102
	v_min3_f32 v5, v37, v36, v5
	v_min3_f32 v36, v39, v38, v53
	s_delay_alu instid0(VALU_DEP_4)
	v_min3_f32 v37, v41, v40, v54
	v_dual_add_f32 v40, v186, v102 :: v_dual_add_f32 v41, v185, v101
	v_min3_f32 v38, v45, v44, v55
	s_waitcnt lgkmcnt(4)
	v_dual_add_f32 v44, v158, v107 :: v_dual_add_f32 v45, v157, v106
	v_dual_add_f32 v52, v166, v107 :: v_dual_add_f32 v53, v165, v106
	;; [unrolled: 1-line block ×3, first 2 shown]
	v_min3_f32 v8, v41, v40, v8
	s_delay_alu instid0(VALU_DEP_4) | instskip(NEXT) | instid1(VALU_DEP_4)
	v_min3_f32 v40, v45, v44, v57
	v_min3_f32 v44, v53, v52, v59
	s_waitcnt lgkmcnt(3)
	v_add_f32_e32 v59, v157, v189
	v_min3_f32 v39, v49, v48, v56
	v_dual_add_f32 v48, v162, v107 :: v_dual_add_f32 v49, v161, v106
	v_min3_f32 v45, v55, v54, v60
	v_dual_add_f32 v52, v178, v107 :: v_dual_add_f32 v53, v177, v106
	v_dual_add_f32 v54, v182, v107 :: v_dual_add_f32 v55, v181, v106
	s_delay_alu instid0(VALU_DEP_4) | instskip(SKIP_4) | instid1(VALU_DEP_4)
	v_min3_f32 v41, v49, v48, v58
	v_dual_add_f32 v48, v174, v107 :: v_dual_add_f32 v49, v173, v106
	v_dual_add_f32 v56, v186, v107 :: v_dual_add_f32 v57, v185, v106
	v_add_f32_e32 v58, v158, v190
	v_add_f32_e32 v60, v178, v190
	v_min3_f32 v9, v49, v48, v9
	v_min3_f32 v48, v53, v52, v50
	;; [unrolled: 1-line block ×4, first 2 shown]
	v_dual_add_f32 v52, v162, v190 :: v_dual_add_f32 v57, v169, v189
	v_dual_add_f32 v53, v161, v189 :: v_dual_add_f32 v54, v166, v190
	v_add_f32_e32 v55, v165, v189
	v_min3_f32 v51, v59, v58, v62
	v_dual_add_f32 v59, v173, v189 :: v_dual_add_f32 v56, v170, v190
	v_dual_add_f32 v61, v177, v189 :: v_dual_add_f32 v58, v174, v190
	v_min3_f32 v12, v53, v52, v12
	v_min3_f32 v52, v55, v54, v63
	s_delay_alu instid0(VALU_DEP_4)
	v_min3_f32 v53, v57, v56, v82
	v_add_f32_e32 v57, v181, v189
	v_min3_f32 v54, v59, v58, v83
	v_add_f32_e32 v56, v182, v190
	s_waitcnt lgkmcnt(2)
	v_dual_add_f32 v58, v186, v190 :: v_dual_add_f32 v63, v161, v193
	v_add_f32_e32 v59, v185, v189
	v_min3_f32 v55, v61, v60, v84
	v_dual_add_f32 v60, v158, v194 :: v_dual_add_f32 v73, v165, v193
	v_dual_add_f32 v61, v157, v193 :: v_dual_add_f32 v62, v162, v194
	v_add_f32_e32 v72, v166, v194
	v_min3_f32 v13, v57, v56, v13
	v_min3_f32 v46, v59, v58, v46
	s_delay_alu instid0(VALU_DEP_4)
	v_min3_f32 v47, v61, v60, v47
	v_add_f32_e32 v61, v173, v193
	v_min3_f32 v57, v73, v72, v86
	v_dual_add_f32 v58, v170, v194 :: v_dual_add_f32 v59, v169, v193
	v_min3_f32 v56, v63, v62, v85
	v_dual_add_f32 v63, v177, v193 :: v_dual_add_f32 v60, v174, v194
	v_dual_add_f32 v73, v181, v193 :: v_dual_add_f32 v62, v178, v194
	;; [unrolled: 1-line block ×3, first 2 shown]
	v_add_f32_e32 v82, v186, v194
	v_min3_f32 v16, v59, v58, v16
	v_min3_f32 v42, v61, v60, v42
	;; [unrolled: 1-line block ×3, first 2 shown]
	s_waitcnt lgkmcnt(1)
	v_add_f32_e32 v63, v161, v197
	v_min3_f32 v59, v83, v82, v88
	v_dual_add_f32 v60, v158, v198 :: v_dual_add_f32 v61, v157, v197
	v_min3_f32 v58, v73, v72, v87
	v_dual_add_f32 v73, v165, v197 :: v_dual_add_f32 v62, v162, v198
	v_dual_add_f32 v83, v169, v197 :: v_dual_add_f32 v72, v166, v198
	v_dual_add_f32 v85, v173, v197 :: v_dual_add_f32 v82, v170, v198
	v_add_f32_e32 v84, v174, v198
	v_min3_f32 v17, v61, v60, v17
	v_min3_f32 v60, v63, v62, v89
	;; [unrolled: 1-line block ×3, first 2 shown]
	v_dual_add_f32 v72, v178, v198 :: v_dual_add_f32 v73, v177, v197
	v_min3_f32 v62, v83, v82, v91
	s_waitcnt lgkmcnt(0)
	v_dual_add_f32 v82, v182, v198 :: v_dual_add_f32 v87, v157, v201
	v_add_f32_e32 v83, v181, v197
	v_min3_f32 v63, v85, v84, v92
	v_dual_add_f32 v84, v186, v198 :: v_dual_add_f32 v89, v161, v201
	v_dual_add_f32 v85, v185, v197 :: v_dual_add_f32 v86, v158, v202
	v_add_f32_e32 v88, v162, v202
	v_min3_f32 v20, v73, v72, v20
	v_min3_f32 v26, v83, v82, v26
	v_add_f32_e32 v83, v169, v201
	v_min3_f32 v27, v85, v84, v27
	v_min3_f32 v31, v89, v88, v31
	v_dual_add_f32 v72, v166, v202 :: v_dual_add_f32 v85, v173, v201
	v_add_f32_e32 v73, v165, v201
	v_min3_f32 v30, v87, v86, v30
	v_dual_add_f32 v82, v170, v202 :: v_dual_add_f32 v87, v177, v201
	v_dual_add_f32 v84, v174, v202 :: v_dual_add_f32 v89, v181, v201
	v_add_f32_e32 v86, v178, v202
	v_add_f32_e32 v88, v182, v202
	v_min3_f32 v21, v73, v72, v21
	v_min3_f32 v3, v83, v82, v3
	;; [unrolled: 1-line block ×3, first 2 shown]
	v_dual_add_f32 v72, v186, v202 :: v_dual_add_f32 v73, v185, v201
	v_min3_f32 v7, v87, v86, v7
	v_dual_add_f32 v82, v160, v96 :: v_dual_add_f32 v83, v159, v95
	v_dual_add_f32 v84, v164, v96 :: v_dual_add_f32 v85, v163, v95
	;; [unrolled: 1-line block ×3, first 2 shown]
	v_min3_f32 v10, v89, v88, v10
	v_dual_add_f32 v88, v172, v96 :: v_dual_add_f32 v89, v171, v95
	v_min3_f32 v2, v73, v72, v2
	v_min3_f32 v151, v83, v82, v11
	v_add_f32_e32 v83, v187, v95
	v_add_f32_e32 v11, v175, v95
	v_min3_f32 v148, v89, v88, v0
	v_dual_add_f32 v0, v176, v96 :: v_dual_add_f32 v73, v183, v95
	v_min3_f32 v149, v87, v86, v15
	v_add_f32_e32 v15, v179, v95
	v_min3_f32 v150, v85, v84, v14
	v_dual_add_f32 v85, v159, v99 :: v_dual_add_f32 v14, v180, v96
	v_add_f32_e32 v84, v160, v100
	v_add_f32_e32 v72, v184, v96
	;; [unrolled: 1-line block ×3, first 2 shown]
	v_min3_f32 v147, v11, v0, v18
	v_add_f32_e32 v0, v164, v100
	v_min3_f32 v139, v85, v84, v1
	v_add_f32_e32 v1, v163, v99
	v_min3_f32 v146, v15, v14, v19
	v_dual_add_f32 v11, v168, v100 :: v_dual_add_f32 v14, v167, v99
	v_dual_add_f32 v15, v172, v100 :: v_dual_add_f32 v18, v171, v99
	s_delay_alu instid0(VALU_DEP_4) | instskip(SKIP_1) | instid1(VALU_DEP_4)
	v_min3_f32 v138, v1, v0, v24
	v_add_f32_e32 v0, v184, v100
	v_min3_f32 v137, v14, v11, v25
	v_add_f32_e32 v1, v183, v99
	;; [unrolled: 2-line block ×3, first 2 shown]
	v_add_f32_e32 v11, v187, v99
	v_min3_f32 v140, v83, v82, v23
	v_add_f32_e32 v23, v180, v100
	v_dual_add_f32 v19, v176, v100 :: v_dual_add_f32 v22, v175, v99
	v_min3_f32 v136, v18, v15, v28
	v_add_f32_e32 v14, v160, v104
	s_delay_alu instid0(VALU_DEP_4)
	v_min3_f32 v134, v72, v23, v4
	v_dual_add_f32 v4, v188, v100 :: v_dual_add_f32 v23, v167, v103
	v_min3_f32 v133, v1, v0, v32
	v_dual_add_f32 v1, v171, v103 :: v_dual_add_f32 v0, v172, v104
	;; [unrolled: 2-line block ×3, first 2 shown]
	v_add_f32_e32 v19, v163, v103
	s_delay_alu instid0(VALU_DEP_4)
	v_min3_f32 v128, v1, v0, v36
	v_dual_add_f32 v0, v160, v109 :: v_dual_add_f32 v1, v159, v108
	v_add_f32_e32 v22, v168, v104
	v_min3_f32 v132, v11, v4, v33
	v_add_f32_e32 v11, v180, v104
	v_add_f32_e32 v4, v176, v104
	v_min3_f32 v123, v1, v0, v40
	v_dual_add_f32 v0, v180, v109 :: v_dual_add_f32 v1, v179, v108
	v_min3_f32 v129, v23, v22, v5
	v_add_f32_e32 v5, v175, v103
	v_min3_f32 v131, v15, v14, v34
	v_dual_add_f32 v14, v179, v103 :: v_dual_add_f32 v15, v184, v104
	v_add_f32_e32 v22, v187, v103
	v_min3_f32 v118, v1, v0, v48
	v_add_f32_e32 v1, v167, v191
	v_min3_f32 v130, v19, v18, v35
	v_dual_add_f32 v18, v183, v103 :: v_dual_add_f32 v19, v188, v104
	v_min3_f32 v126, v14, v11, v38
	v_dual_add_f32 v14, v172, v109 :: v_dual_add_f32 v11, v167, v108
	s_delay_alu instid0(VALU_DEP_3) | instskip(SKIP_4) | instid1(VALU_DEP_4)
	v_min3_f32 v125, v18, v15, v39
	v_add_f32_e32 v15, v171, v108
	v_min3_f32 v124, v22, v19, v8
	v_dual_add_f32 v18, v176, v109 :: v_dual_add_f32 v19, v175, v108
	v_add_f32_e32 v8, v168, v109
	v_min3_f32 v120, v15, v14, v45
	v_dual_add_f32 v15, v164, v192 :: v_dual_add_f32 v14, v159, v191
	s_delay_alu instid0(VALU_DEP_4) | instskip(SKIP_4) | instid1(VALU_DEP_4)
	v_min3_f32 v119, v19, v18, v9
	v_add_f32_e32 v18, v163, v191
	v_min3_f32 v121, v11, v8, v44
	v_dual_add_f32 v8, v188, v109 :: v_dual_add_f32 v9, v187, v108
	v_add_f32_e32 v11, v160, v192
	v_min3_f32 v114, v18, v15, v12
	v_add_f32_e32 v15, v183, v191
	v_min3_f32 v127, v5, v4, v37
	v_dual_add_f32 v4, v164, v109 :: v_dual_add_f32 v5, v163, v108
	v_min3_f32 v116, v9, v8, v50
	v_add_f32_e32 v0, v168, v192
	v_dual_add_f32 v8, v176, v192 :: v_dual_add_f32 v9, v175, v191
	s_delay_alu instid0(VALU_DEP_4) | instskip(SKIP_4) | instid1(VALU_DEP_4)
	v_min3_f32 v122, v5, v4, v41
	v_dual_add_f32 v4, v184, v109 :: v_dual_add_f32 v5, v183, v108
	v_min3_f32 v115, v14, v11, v51
	v_dual_add_f32 v11, v180, v192 :: v_dual_add_f32 v12, v179, v191
	v_add_f32_e32 v14, v184, v192
	v_min3_f32 v117, v5, v4, v49
	v_dual_add_f32 v4, v172, v192 :: v_dual_add_f32 v5, v171, v191
	v_min3_f32 v113, v1, v0, v52
	v_min3_f32 v110, v9, v8, v54
	v_dual_add_f32 v0, v188, v192 :: v_dual_add_f32 v1, v187, v191
	s_delay_alu instid0(VALU_DEP_4)
	v_min3_f32 v111, v5, v4, v53
	v_dual_add_f32 v4, v160, v196 :: v_dual_add_f32 v5, v159, v195
	v_dual_add_f32 v8, v164, v196 :: v_dual_add_f32 v9, v163, v195
	v_min3_f32 v109, v12, v11, v55
	v_dual_add_f32 v11, v168, v196 :: v_dual_add_f32 v12, v167, v195
	v_add_co_ci_u32_e64 v145, s6, s15, v145, s6
	s_delay_alu instid0(VALU_DEP_4)
	v_min3_f32 v104, v9, v8, v56
	v_add_f32_e32 v9, v183, v195
	v_min3_f32 v106, v5, v4, v47
	v_add_f32_e32 v5, v179, v195
	v_min3_f32 v107, v1, v0, v46
	v_add_f32_e32 v1, v175, v195
	v_min3_f32 v108, v15, v14, v13
	v_dual_add_f32 v13, v172, v196 :: v_dual_add_f32 v14, v171, v195
	v_min3_f32 v103, v12, v11, v57
	v_add_f32_e32 v0, v176, v196
	v_add_f32_e32 v4, v180, v196
	v_add_f32_e32 v8, v184, v196
	v_min3_f32 v102, v14, v13, v16
	v_dual_add_f32 v11, v188, v196 :: v_dual_add_f32 v12, v187, v195
	v_dual_add_f32 v13, v160, v200 :: v_dual_add_f32 v14, v159, v199
	s_delay_alu instid0(VALU_DEP_4) | instskip(SKIP_1) | instid1(VALU_DEP_4)
	v_min3_f32 v99, v9, v8, v58
	v_add_f32_e32 v8, v172, v200
	v_min3_f32 v98, v12, v11, v59
	v_add_f32_e32 v9, v171, v199
	v_min3_f32 v100, v5, v4, v43
	v_min3_f32 v97, v14, v13, v17
	v_dual_add_f32 v4, v168, v200 :: v_dual_add_f32 v5, v167, v199
	v_min3_f32 v101, v1, v0, v42
	v_dual_add_f32 v0, v164, v200 :: v_dual_add_f32 v1, v163, v199
	v_dual_add_f32 v11, v176, v200 :: v_dual_add_f32 v12, v175, v199
	;; [unrolled: 1-line block ×3, first 2 shown]
	v_min3_f32 v94, v9, v8, v62
	v_add_f32_e32 v8, v160, v204
	s_delay_alu instid0(VALU_DEP_4)
	v_min3_f32 v93, v12, v11, v63
	v_add_f32_e32 v9, v159, v203
	v_min3_f32 v95, v5, v4, v61
	v_min3_f32 v92, v14, v13, v20
	v_dual_add_f32 v4, v188, v200 :: v_dual_add_f32 v5, v187, v199
	v_min3_f32 v96, v1, v0, v60
	v_dual_add_f32 v0, v184, v200 :: v_dual_add_f32 v1, v183, v199
	v_dual_add_f32 v11, v164, v204 :: v_dual_add_f32 v12, v163, v203
	;; [unrolled: 1-line block ×3, first 2 shown]
	v_min3_f32 v89, v9, v8, v30
	v_add_f32_e32 v8, v180, v204
	s_delay_alu instid0(VALU_DEP_4)
	v_min3_f32 v88, v12, v11, v31
	v_add_f32_e32 v9, v179, v203
	v_min3_f32 v90, v5, v4, v27
	v_min3_f32 v87, v14, v13, v21
	v_dual_add_f32 v4, v176, v204 :: v_dual_add_f32 v5, v175, v203
	v_min3_f32 v91, v1, v0, v26
	v_dual_add_f32 v0, v172, v204 :: v_dual_add_f32 v1, v171, v203
	v_dual_add_f32 v11, v184, v204 :: v_dual_add_f32 v12, v183, v203
	;; [unrolled: 1-line block ×3, first 2 shown]
	s_delay_alu instid0(VALU_DEP_3)
	v_min3_f32 v86, v1, v0, v3
	v_min3_f32 v85, v5, v4, v6
	;; [unrolled: 1-line block ×5, first 2 shown]
	s_add_i32 s20, s20, 8
	s_waitcnt vmcnt(0)
	ds_store_b32 v80, v152
	ds_store_2addr_stride64_b32 v81, v154, v153 offset1:4
	ds_store_2addr_stride64_b32 v81, v156, v155 offset0:8 offset1:12
	s_cmp_ge_i32 s20, s27
	s_waitcnt lgkmcnt(0)
	s_barrier
	buffer_gl0_inv
	s_cbranch_scc1 .LBB19_53
.LBB19_32:                              ; =>This Inner Loop Header: Depth=1
	v_dual_mov_b32 v154, 0x7f7fffff :: v_dual_add_nc_u32 v153, s20, v74
	s_delay_alu instid0(VALU_DEP_1) | instskip(NEXT) | instid1(VALU_DEP_1)
	v_dual_mov_b32 v155, 0x7f7fffff :: v_dual_add_nc_u32 v0, 8, v153
	v_cmp_le_i32_e64 s6, s18, v0
	s_delay_alu instid0(VALU_DEP_1) | instskip(NEXT) | instid1(SALU_CYCLE_1)
	s_or_b32 s7, vcc_lo, s6
	s_xor_b32 s7, s7, -1
	s_delay_alu instid0(SALU_CYCLE_1)
	s_and_saveexec_b32 s21, s7
	s_cbranch_execz .LBB19_34
; %bb.33:                               ;   in Loop: Header=BB19_32 Depth=1
	v_add_co_u32 v0, s7, v105, v64
	s_delay_alu instid0(VALU_DEP_1)
	v_add_co_ci_u32_e64 v1, s7, v112, v65, s7
	flat_load_b32 v155, v[0:1]
.LBB19_34:                              ;   in Loop: Header=BB19_32 Depth=1
	s_or_b32 exec_lo, exec_lo, s21
	s_or_b32 s7, s2, s6
	s_delay_alu instid0(SALU_CYCLE_1) | instskip(NEXT) | instid1(SALU_CYCLE_1)
	s_xor_b32 s7, s7, -1
	s_and_saveexec_b32 s21, s7
	s_cbranch_execz .LBB19_36
; %bb.35:                               ;   in Loop: Header=BB19_32 Depth=1
	v_add_co_u32 v0, s7, v144, v66
	s_delay_alu instid0(VALU_DEP_1)
	v_add_co_ci_u32_e64 v1, s7, v145, v67, s7
	flat_load_b32 v154, v[0:1]
.LBB19_36:                              ;   in Loop: Header=BB19_32 Depth=1
	s_or_b32 exec_lo, exec_lo, s21
	v_dual_mov_b32 v156, 0x7f7fffff :: v_dual_mov_b32 v157, 0x7f7fffff
	s_or_b32 s7, s3, s6
	s_delay_alu instid0(SALU_CYCLE_1) | instskip(NEXT) | instid1(SALU_CYCLE_1)
	s_xor_b32 s7, s7, -1
	s_and_saveexec_b32 s21, s7
	s_cbranch_execz .LBB19_38
; %bb.37:                               ;   in Loop: Header=BB19_32 Depth=1
	v_add_co_u32 v0, s7, v144, v66
	s_delay_alu instid0(VALU_DEP_1)
	v_add_co_ci_u32_e64 v1, s7, v145, v67, s7
	flat_load_b32 v157, v[0:1] offset:256
.LBB19_38:                              ;   in Loop: Header=BB19_32 Depth=1
	s_or_b32 exec_lo, exec_lo, s21
	s_or_b32 s7, s4, s6
	s_delay_alu instid0(SALU_CYCLE_1) | instskip(NEXT) | instid1(SALU_CYCLE_1)
	s_xor_b32 s7, s7, -1
	s_and_saveexec_b32 s21, s7
	s_cbranch_execz .LBB19_40
; %bb.39:                               ;   in Loop: Header=BB19_32 Depth=1
	v_add_co_u32 v0, s7, v144, v66
	s_delay_alu instid0(VALU_DEP_1)
	v_add_co_ci_u32_e64 v1, s7, v145, v67, s7
	flat_load_b32 v156, v[0:1] offset:512
.LBB19_40:                              ;   in Loop: Header=BB19_32 Depth=1
	s_or_b32 exec_lo, exec_lo, s21
	v_mov_b32_e32 v152, 0x7f7fffff
	v_mov_b32_e32 v158, 0x7f7fffff
	s_or_b32 s6, s5, s6
	s_delay_alu instid0(SALU_CYCLE_1) | instskip(NEXT) | instid1(SALU_CYCLE_1)
	s_xor_b32 s6, s6, -1
	s_and_saveexec_b32 s7, s6
	s_cbranch_execz .LBB19_42
; %bb.41:                               ;   in Loop: Header=BB19_32 Depth=1
	v_add_co_u32 v0, s6, v144, v66
	s_delay_alu instid0(VALU_DEP_1)
	v_add_co_ci_u32_e64 v1, s6, v145, v67, s6
	flat_load_b32 v158, v[0:1] offset:768
.LBB19_42:                              ;   in Loop: Header=BB19_32 Depth=1
	s_or_b32 exec_lo, exec_lo, s7
	ds_load_b128 v[32:35], v141
	ds_load_b128 v[28:31], v141 offset:128
	ds_load_b128 v[24:27], v141 offset:256
	;; [unrolled: 1-line block ×7, first 2 shown]
	ds_load_b128 v[60:63], v142
	ds_load_b128 v[56:59], v142 offset:512
	ds_load_b128 v[52:55], v142 offset:1024
	ds_load_b128 v[48:51], v142 offset:1536
	ds_load_b128 v[44:47], v142 offset:2048
	ds_load_b128 v[40:43], v142 offset:2560
	ds_load_b128 v[36:39], v142 offset:3072
	ds_load_b128 v[20:23], v142 offset:3584
	v_add_nc_u32_e32 v72, 12, v153
	s_waitcnt vmcnt(0) lgkmcnt(16)
	ds_store_b32 v78, v155
	ds_store_2addr_stride64_b32 v77, v154, v157 offset1:4
	ds_store_2addr_stride64_b32 v77, v156, v158 offset0:8 offset1:12
	s_waitcnt lgkmcnt(0)
	s_barrier
	buffer_gl0_inv
	v_cmp_le_i32_e64 s6, s18, v72
	s_delay_alu instid0(VALU_DEP_1) | instskip(NEXT) | instid1(SALU_CYCLE_1)
	s_or_b32 s7, vcc_lo, s6
	s_xor_b32 s7, s7, -1
	s_delay_alu instid0(SALU_CYCLE_1)
	s_and_saveexec_b32 s21, s7
	s_cbranch_execz .LBB19_44
; %bb.43:                               ;   in Loop: Header=BB19_32 Depth=1
	v_add_co_u32 v152, s7, v105, v70
	s_delay_alu instid0(VALU_DEP_1)
	v_add_co_ci_u32_e64 v153, s7, v112, v71, s7
	flat_load_b32 v152, v[152:153]
.LBB19_44:                              ;   in Loop: Header=BB19_32 Depth=1
	s_or_b32 exec_lo, exec_lo, s21
	v_dual_mov_b32 v153, 0x7f7fffff :: v_dual_mov_b32 v154, 0x7f7fffff
	s_or_b32 s7, s2, s6
	s_delay_alu instid0(SALU_CYCLE_1) | instskip(NEXT) | instid1(SALU_CYCLE_1)
	s_xor_b32 s7, s7, -1
	s_and_saveexec_b32 s21, s7
	s_cbranch_execz .LBB19_46
; %bb.45:                               ;   in Loop: Header=BB19_32 Depth=1
	v_add_co_u32 v154, s7, v144, v68
	s_delay_alu instid0(VALU_DEP_1)
	v_add_co_ci_u32_e64 v155, s7, v145, v69, s7
	flat_load_b32 v154, v[154:155]
.LBB19_46:                              ;   in Loop: Header=BB19_32 Depth=1
	s_or_b32 exec_lo, exec_lo, s21
	s_or_b32 s7, s3, s6
	s_delay_alu instid0(SALU_CYCLE_1) | instskip(NEXT) | instid1(SALU_CYCLE_1)
	s_xor_b32 s7, s7, -1
	s_and_saveexec_b32 s21, s7
	s_cbranch_execz .LBB19_48
; %bb.47:                               ;   in Loop: Header=BB19_32 Depth=1
	v_add_co_u32 v155, s7, v144, v68
	s_delay_alu instid0(VALU_DEP_1)
	v_add_co_ci_u32_e64 v156, s7, v145, v69, s7
	flat_load_b32 v153, v[155:156] offset:256
.LBB19_48:                              ;   in Loop: Header=BB19_32 Depth=1
	s_or_b32 exec_lo, exec_lo, s21
	v_dual_mov_b32 v155, 0x7f7fffff :: v_dual_mov_b32 v156, 0x7f7fffff
	s_or_b32 s7, s4, s6
	s_delay_alu instid0(SALU_CYCLE_1) | instskip(NEXT) | instid1(SALU_CYCLE_1)
	s_xor_b32 s7, s7, -1
	s_and_saveexec_b32 s21, s7
	s_cbranch_execz .LBB19_50
; %bb.49:                               ;   in Loop: Header=BB19_32 Depth=1
	v_add_co_u32 v156, s7, v144, v68
	s_delay_alu instid0(VALU_DEP_1)
	v_add_co_ci_u32_e64 v157, s7, v145, v69, s7
	flat_load_b32 v156, v[156:157] offset:512
.LBB19_50:                              ;   in Loop: Header=BB19_32 Depth=1
	s_or_b32 exec_lo, exec_lo, s21
	v_dual_add_f32 v72, v33, v61 :: v_dual_add_f32 v73, v32, v60
	v_dual_add_f32 v157, v29, v61 :: v_dual_add_f32 v158, v28, v60
	;; [unrolled: 1-line block ×3, first 2 shown]
	s_delay_alu instid0(VALU_DEP_3) | instskip(SKIP_1) | instid1(VALU_DEP_4)
	v_min3_f32 v72, v73, v72, v151
	v_add_f32_e32 v151, v16, v60
	v_min3_f32 v73, v158, v157, v150
	v_add_f32_e32 v150, v17, v61
	v_min3_f32 v149, v160, v159, v149
	v_dual_add_f32 v157, v13, v61 :: v_dual_add_f32 v158, v12, v60
	v_dual_add_f32 v159, v9, v61 :: v_dual_add_f32 v160, v8, v60
	v_dual_add_f32 v161, v5, v61 :: v_dual_add_f32 v162, v4, v60
	v_dual_add_f32 v61, v1, v61 :: v_dual_add_f32 v60, v0, v60
	v_min3_f32 v148, v151, v150, v148
	v_min3_f32 v147, v158, v157, v147
	v_dual_add_f32 v150, v29, v57 :: v_dual_add_f32 v151, v28, v56
	s_delay_alu instid0(VALU_DEP_4)
	v_min3_f32 v60, v60, v61, v140
	v_dual_add_f32 v61, v33, v57 :: v_dual_add_f32 v140, v32, v56
	v_dual_add_f32 v157, v25, v57 :: v_dual_add_f32 v158, v24, v56
	v_min3_f32 v146, v160, v159, v146
	v_min3_f32 v143, v162, v161, v143
	v_dual_add_f32 v159, v17, v57 :: v_dual_add_f32 v160, v16, v56
	v_dual_add_f32 v161, v13, v57 :: v_dual_add_f32 v162, v12, v56
	v_min3_f32 v61, v140, v61, v139
	v_min3_f32 v138, v151, v150, v138
	v_min3_f32 v137, v158, v157, v137
	v_dual_add_f32 v139, v9, v57 :: v_dual_add_f32 v140, v8, v56
	v_dual_add_f32 v150, v5, v57 :: v_dual_add_f32 v151, v4, v56
	;; [unrolled: 1-line block ×4, first 2 shown]
	v_min3_f32 v136, v160, v159, v136
	v_dual_add_f32 v159, v29, v53 :: v_dual_add_f32 v160, v28, v52
	v_min3_f32 v134, v140, v139, v134
	v_min3_f32 v56, v56, v57, v132
	;; [unrolled: 1-line block ×3, first 2 shown]
	v_dual_add_f32 v131, v25, v53 :: v_dual_add_f32 v132, v24, v52
	v_dual_add_f32 v139, v17, v53 :: v_dual_add_f32 v140, v16, v52
	v_min3_f32 v133, v151, v150, v133
	v_min3_f32 v130, v160, v159, v130
	v_dual_add_f32 v150, v13, v53 :: v_dual_add_f32 v151, v12, v52
	v_dual_add_f32 v157, v9, v53 :: v_dual_add_f32 v158, v8, v52
	v_dual_add_f32 v159, v5, v53 :: v_dual_add_f32 v160, v4, v52
	v_min3_f32 v129, v132, v131, v129
	v_min3_f32 v128, v140, v139, v128
	v_dual_add_f32 v53, v1, v53 :: v_dual_add_f32 v52, v0, v52
	v_dual_add_f32 v131, v33, v49 :: v_dual_add_f32 v132, v32, v48
	v_dual_add_f32 v139, v29, v49 :: v_dual_add_f32 v140, v28, v48
	v_min3_f32 v127, v151, v150, v127
	v_min3_f32 v126, v158, v157, v126
	v_dual_add_f32 v150, v25, v49 :: v_dual_add_f32 v151, v24, v48
	v_dual_add_f32 v157, v17, v49 :: v_dual_add_f32 v158, v16, v48
	v_min3_f32 v124, v52, v53, v124
	v_min3_f32 v123, v132, v131, v123
	;; [unrolled: 1-line block ×3, first 2 shown]
	v_dual_add_f32 v52, v13, v49 :: v_dual_add_f32 v53, v12, v48
	v_dual_add_f32 v131, v9, v49 :: v_dual_add_f32 v132, v8, v48
	;; [unrolled: 1-line block ×4, first 2 shown]
	v_min3_f32 v121, v151, v150, v121
	v_dual_add_f32 v150, v33, v45 :: v_dual_add_f32 v151, v32, v44
	v_min3_f32 v119, v53, v52, v119
	v_min3_f32 v118, v132, v131, v118
	;; [unrolled: 1-line block ×3, first 2 shown]
	v_dual_add_f32 v48, v29, v45 :: v_dual_add_f32 v49, v28, v44
	v_dual_add_f32 v52, v25, v45 :: v_dual_add_f32 v53, v24, v44
	;; [unrolled: 1-line block ×3, first 2 shown]
	v_min3_f32 v117, v140, v139, v117
	v_min3_f32 v115, v151, v150, v115
	v_dual_add_f32 v139, v13, v45 :: v_dual_add_f32 v140, v12, v44
	v_dual_add_f32 v150, v9, v45 :: v_dual_add_f32 v151, v8, v44
	v_min3_f32 v114, v49, v48, v114
	v_min3_f32 v113, v53, v52, v113
	;; [unrolled: 1-line block ×3, first 2 shown]
	v_dual_add_f32 v48, v5, v45 :: v_dual_add_f32 v49, v4, v44
	v_dual_add_f32 v45, v1, v45 :: v_dual_add_f32 v44, v0, v44
	;; [unrolled: 1-line block ×4, first 2 shown]
	v_min3_f32 v110, v140, v139, v110
	v_dual_add_f32 v139, v25, v41 :: v_dual_add_f32 v140, v24, v40
	v_min3_f32 v108, v49, v48, v108
	v_min3_f32 v107, v44, v45, v107
	;; [unrolled: 1-line block ×4, first 2 shown]
	v_dual_add_f32 v44, v17, v41 :: v_dual_add_f32 v45, v16, v40
	v_dual_add_f32 v48, v13, v41 :: v_dual_add_f32 v49, v12, v40
	;; [unrolled: 1-line block ×5, first 2 shown]
	v_min3_f32 v102, v45, v44, v102
	v_dual_add_f32 v44, v29, v37 :: v_dual_add_f32 v45, v28, v36
	v_min3_f32 v100, v53, v52, v100
	s_delay_alu instid0(VALU_DEP_4) | instskip(SKIP_4) | instid1(VALU_DEP_4)
	v_min3_f32 v98, v40, v41, v98
	v_dual_add_f32 v40, v33, v37 :: v_dual_add_f32 v41, v32, v36
	v_min3_f32 v99, v132, v131, v99
	v_dual_add_f32 v52, v17, v37 :: v_dual_add_f32 v53, v16, v36
	v_dual_add_f32 v131, v13, v37 :: v_dual_add_f32 v132, v12, v36
	v_min3_f32 v97, v41, v40, v97
	v_min3_f32 v96, v45, v44, v96
	v_dual_add_f32 v40, v9, v37 :: v_dual_add_f32 v41, v8, v36
	v_dual_add_f32 v44, v5, v37 :: v_dual_add_f32 v45, v4, v36
	;; [unrolled: 1-line block ×6, first 2 shown]
	v_min3_f32 v125, v160, v159, v125
	v_min3_f32 v120, v158, v157, v120
	;; [unrolled: 1-line block ×3, first 2 shown]
	v_dual_add_f32 v48, v25, v37 :: v_dual_add_f32 v49, v24, v36
	v_dual_add_f32 v37, v1, v37 :: v_dual_add_f32 v36, v0, v36
	;; [unrolled: 1-line block ×4, first 2 shown]
	v_min3_f32 v157, v16, v17, v86
	v_min3_f32 v158, v12, v13, v85
	;; [unrolled: 1-line block ×4, first 2 shown]
	v_dual_add_f32 v1, v1, v21 :: v_dual_add_f32 v0, v0, v20
	v_dual_add_f32 v4, v35, v63 :: v_dual_add_f32 v5, v34, v62
	;; [unrolled: 1-line block ×5, first 2 shown]
	v_min3_f32 v135, v162, v161, v135
	v_min3_f32 v109, v151, v150, v109
	v_dual_add_f32 v33, v33, v21 :: v_dual_add_f32 v32, v32, v20
	v_min3_f32 v150, v28, v29, v88
	v_min3_f32 v151, v24, v25, v87
	v_min3_f32 v161, v0, v1, v82
	v_min3_f32 v24, v5, v4, v72
	v_min3_f32 v25, v9, v8, v73
	v_min3_f32 v28, v13, v12, v149
	v_min3_f32 v0, v17, v16, v148
	v_dual_add_f32 v1, v15, v63 :: v_dual_add_f32 v4, v14, v62
	v_dual_add_f32 v5, v11, v63 :: v_dual_add_f32 v8, v10, v62
	;; [unrolled: 1-line block ×5, first 2 shown]
	v_min3_f32 v103, v140, v139, v103
	v_min3_f32 v139, v36, v37, v90
	;; [unrolled: 1-line block ×8, first 2 shown]
	v_dual_add_f32 v4, v31, v59 :: v_dual_add_f32 v5, v30, v58
	v_dual_add_f32 v8, v27, v59 :: v_dual_add_f32 v9, v26, v58
	;; [unrolled: 1-line block ×4, first 2 shown]
	v_min3_f32 v93, v132, v131, v93
	v_min3_f32 v131, v41, v40, v92
	;; [unrolled: 1-line block ×3, first 2 shown]
	v_dual_add_f32 v20, v11, v59 :: v_dual_add_f32 v21, v10, v58
	v_min3_f32 v37, v5, v4, v138
	v_min3_f32 v40, v9, v8, v137
	;; [unrolled: 1-line block ×4, first 2 shown]
	v_dual_add_f32 v5, v7, v59 :: v_dual_add_f32 v8, v6, v58
	v_dual_add_f32 v9, v3, v59 :: v_dual_add_f32 v12, v2, v58
	v_dual_add_f32 v13, v35, v55 :: v_dual_add_f32 v16, v34, v54
	v_min3_f32 v95, v49, v48, v95
	v_min3_f32 v94, v53, v52, v94
	;; [unrolled: 1-line block ×3, first 2 shown]
	v_dual_add_f32 v17, v31, v55 :: v_dual_add_f32 v20, v30, v54
	v_dual_add_f32 v21, v27, v55 :: v_dual_add_f32 v58, v2, v54
	v_add_f32_e32 v53, v26, v54
	v_min3_f32 v45, v8, v5, v133
	v_add_f32_e32 v8, v19, v55
	v_min3_f32 v48, v12, v9, v56
	v_min3_f32 v49, v16, v13, v57
	v_dual_add_f32 v9, v18, v54 :: v_dual_add_f32 v12, v15, v55
	v_dual_add_f32 v13, v14, v54 :: v_dual_add_f32 v16, v11, v55
	v_min3_f32 v52, v20, v17, v130
	v_min3_f32 v5, v53, v21, v129
	v_dual_add_f32 v17, v10, v54 :: v_dual_add_f32 v20, v7, v55
	v_add_f32_e32 v21, v6, v54
	v_add_f32_e32 v57, v3, v55
	v_min3_f32 v53, v9, v8, v128
	v_min3_f32 v54, v13, v12, v127
	v_dual_add_f32 v12, v34, v50 :: v_dual_add_f32 v9, v35, v51
	v_min3_f32 v55, v17, v16, v126
	v_add_f32_e32 v16, v30, v50
	v_min3_f32 v8, v58, v57, v124
	v_add_f32_e32 v13, v31, v51
	v_dual_add_f32 v17, v27, v51 :: v_dual_add_f32 v60, v18, v50
	v_min3_f32 v57, v12, v9, v123
	v_add_f32_e32 v12, v11, v51
	v_min3_f32 v56, v21, v20, v125
	v_dual_add_f32 v20, v26, v50 :: v_dual_add_f32 v21, v19, v51
	v_dual_add_f32 v62, v14, v50 :: v_dual_add_f32 v61, v15, v51
	v_min3_f32 v58, v16, v13, v122
	s_delay_alu instid0(VALU_DEP_3)
	v_min3_f32 v59, v20, v17, v121
	v_dual_add_f32 v13, v10, v50 :: v_dual_add_f32 v16, v7, v51
	v_dual_add_f32 v17, v6, v50 :: v_dual_add_f32 v20, v3, v51
	v_min3_f32 v60, v60, v21, v120
	v_add_f32_e32 v21, v2, v50
	v_dual_add_f32 v63, v34, v46 :: v_dual_add_f32 v72, v31, v47
	v_add_f32_e32 v73, v30, v46
	v_min3_f32 v50, v13, v12, v118
	v_min3_f32 v51, v17, v16, v117
	v_dual_add_f32 v13, v27, v47 :: v_dual_add_f32 v16, v26, v46
	v_min3_f32 v9, v62, v61, v119
	v_add_f32_e32 v62, v35, v47
	v_min3_f32 v61, v21, v20, v116
	v_dual_add_f32 v20, v18, v46 :: v_dual_add_f32 v17, v19, v47
	v_dual_add_f32 v21, v15, v47 :: v_dual_add_f32 v84, v10, v46
	s_delay_alu instid0(VALU_DEP_4)
	v_min3_f32 v62, v63, v62, v115
	v_min3_f32 v63, v16, v13, v113
	v_add_f32_e32 v16, v3, v47
	v_min3_f32 v12, v73, v72, v114
	v_dual_add_f32 v72, v14, v46 :: v_dual_add_f32 v73, v11, v47
	v_dual_add_f32 v86, v6, v46 :: v_dual_add_f32 v85, v7, v47
	v_min3_f32 v82, v20, v17, v111
	s_delay_alu instid0(VALU_DEP_3)
	v_min3_f32 v83, v72, v21, v110
	v_dual_add_f32 v17, v2, v46 :: v_dual_add_f32 v20, v35, v43
	v_dual_add_f32 v21, v34, v42 :: v_dual_add_f32 v72, v31, v43
	v_min3_f32 v84, v84, v73, v109
	v_add_f32_e32 v73, v30, v42
	v_dual_add_f32 v87, v26, v42 :: v_dual_add_f32 v88, v19, v43
	v_add_f32_e32 v89, v18, v42
	v_min3_f32 v47, v21, v20, v106
	v_add_f32_e32 v20, v14, v42
	v_min3_f32 v13, v86, v85, v108
	;; [unrolled: 2-line block ×3, first 2 shown]
	v_min3_f32 v85, v73, v72, v104
	v_min3_f32 v16, v89, v88, v102
	v_add_f32_e32 v88, v3, v43
	v_min3_f32 v86, v87, v86, v103
	v_dual_add_f32 v17, v15, v43 :: v_dual_add_f32 v72, v10, v42
	v_dual_add_f32 v21, v11, v43 :: v_dual_add_f32 v92, v18, v38
	v_add_f32_e32 v73, v7, v43
	v_dual_add_f32 v87, v6, v42 :: v_dual_add_f32 v90, v35, v39
	v_add_f32_e32 v89, v2, v42
	v_add_f32_e32 v91, v34, v38
	v_min3_f32 v42, v20, v17, v101
	v_min3_f32 v43, v72, v21, v100
	v_add_f32_e32 v72, v27, v39
	v_add_f32_e32 v20, v31, v39
	v_min3_f32 v88, v89, v88, v98
	v_min3_f32 v17, v91, v90, v97
	v_add_f32_e32 v21, v30, v38
	v_dual_add_f32 v91, v19, v39 :: v_dual_add_f32 v100, v10, v38
	v_dual_add_f32 v97, v15, v39 :: v_dual_add_f32 v98, v14, v38
	v_min3_f32 v87, v87, v73, v99
	v_add_f32_e32 v73, v26, v38
	v_dual_add_f32 v35, v35, v23 :: v_dual_add_f32 v34, v34, v22
	v_add_f32_e32 v99, v11, v39
	v_min3_f32 v91, v92, v91, v94
	s_delay_alu instid0(VALU_DEP_4)
	v_min3_f32 v90, v73, v72, v95
	v_add_f32_e32 v72, v6, v38
	v_add_f32_e32 v38, v2, v38
	v_min3_f32 v92, v98, v97, v93
	v_dual_add_f32 v31, v31, v23 :: v_dual_add_f32 v14, v14, v22
	v_add_f32_e32 v73, v30, v22
	v_dual_add_f32 v93, v27, v23 :: v_dual_add_f32 v10, v10, v22
	v_add_f32_e32 v94, v26, v22
	v_min3_f32 v30, v34, v35, v140
	v_dual_add_f32 v19, v19, v23 :: v_dual_add_f32 v2, v2, v22
	v_dual_add_f32 v18, v18, v22 :: v_dual_add_f32 v15, v15, v23
	v_add_f32_e32 v11, v11, v23
	v_add_f32_e32 v34, v7, v23
	v_min3_f32 v89, v21, v20, v96
	v_add_f32_e32 v21, v7, v39
	v_add_f32_e32 v39, v3, v39
	;; [unrolled: 1-line block ×4, first 2 shown]
	v_min3_f32 v20, v100, v99, v131
	v_min3_f32 v26, v72, v21, v132
	;; [unrolled: 1-line block ×10, first 2 shown]
	s_or_b32 s6, s5, s6
	s_delay_alu instid0(SALU_CYCLE_1) | instskip(NEXT) | instid1(SALU_CYCLE_1)
	s_xor_b32 s6, s6, -1
	s_and_saveexec_b32 s7, s6
	s_cbranch_execz .LBB19_31
; %bb.51:                               ;   in Loop: Header=BB19_32 Depth=1
	v_add_co_u32 v14, s6, v144, v68
	s_delay_alu instid0(VALU_DEP_1)
	v_add_co_ci_u32_e64 v15, s6, v145, v69, s6
	flat_load_b32 v155, v[14:15] offset:768
	s_branch .LBB19_31
.LBB19_52:
	s_clause 0x1
	scratch_load_b32 v205, off, off
	scratch_load_b32 v206, off, off offset:4
.LBB19_53:
	s_clause 0x2
	s_load_b32 s14, s[0:1], 0x50
	s_load_b32 s9, s[0:1], 0x68
	s_load_b64 s[0:1], s[0:1], 0x70
	s_waitcnt vmcnt(0)
	v_add_nc_u32_e32 v112, s26, v206
	ds_load_b128 v[32:35], v76 offset:9216
	ds_load_b128 v[28:31], v76 offset:9344
	;; [unrolled: 1-line block ×16, first 2 shown]
	v_add_nc_u32_e32 v64, s25, v205
	v_cmp_gt_i32_e64 s8, s17, v112
	v_cndmask_b32_e64 v105, 0, 1, s24
	s_waitcnt lgkmcnt(0)
	v_mad_i64_i32 v[65:66], null, v112, s14, 0
	v_mad_i64_i32 v[67:68], null, v112, s9, 0
	s_lshl_b64 s[0:1], s[0:1], 2
	s_delay_alu instid0(SALU_CYCLE_1) | instskip(SKIP_1) | instid1(VALU_DEP_2)
	s_add_u32 s12, s12, s0
	s_addc_u32 s13, s13, s1
	v_lshlrev_b64 v[65:66], 2, v[65:66]
	v_cmp_gt_i32_e64 s0, s16, v64
	s_delay_alu instid0(VALU_DEP_3) | instskip(NEXT) | instid1(VALU_DEP_2)
	v_lshlrev_b64 v[67:68], 2, v[67:68]
	s_and_b32 s2, s0, s8
	s_delay_alu instid0(VALU_DEP_3) | instskip(NEXT) | instid1(VALU_DEP_4)
	v_add_co_u32 v144, vcc_lo, s10, v65
	v_add_co_ci_u32_e32 v145, vcc_lo, s11, v66, vcc_lo
	s_delay_alu instid0(VALU_DEP_3) | instskip(NEXT) | instid1(VALU_DEP_4)
	v_add_co_u32 v141, vcc_lo, s12, v67
	v_add_co_ci_u32_e32 v142, vcc_lo, s13, v68, vcc_lo
	v_ashrrev_i32_e32 v65, 31, v64
	s_and_saveexec_b32 s1, s2
	s_cbranch_execz .LBB19_58
; %bb.54:
	s_delay_alu instid0(VALU_DEP_1)
	v_lshlrev_b64 v[66:67], 2, v[64:65]
	s_and_not1_b32 vcc_lo, exec_lo, s24
	s_cbranch_vccnz .LBB19_56
; %bb.55:
	s_delay_alu instid0(VALU_DEP_1) | instskip(NEXT) | instid1(VALU_DEP_2)
	v_add_co_u32 v68, vcc_lo, v144, v66
	v_add_co_ci_u32_e32 v69, vcc_lo, v145, v67, vcc_lo
	flat_load_b32 v68, v[68:69]
	s_waitcnt vmcnt(0) lgkmcnt(0)
	v_mul_f32_e32 v68, s19, v68
	s_branch .LBB19_57
.LBB19_56:
	v_mov_b32_e32 v68, 0
.LBB19_57:
	v_dual_add_f32 v69, v33, v61 :: v_dual_add_f32 v70, v32, v60
	v_dual_add_f32 v71, v35, v63 :: v_dual_add_f32 v72, v34, v62
	v_add_co_u32 v66, vcc_lo, v141, v66
	s_delay_alu instid0(VALU_DEP_3) | instskip(SKIP_1) | instid1(VALU_DEP_4)
	v_min3_f32 v69, v70, v69, v151
	v_add_co_ci_u32_e32 v67, vcc_lo, v142, v67, vcc_lo
	v_min_f32_e32 v70, v72, v71
	s_delay_alu instid0(VALU_DEP_1)
	v_min3_f32 v68, v68, v70, v69
	global_store_b32 v[66:67], v68, off
.LBB19_58:
	s_or_b32 exec_lo, exec_lo, s1
	v_add_nc_u32_e32 v66, 8, v64
	s_delay_alu instid0(VALU_DEP_1) | instskip(SKIP_1) | instid1(VALU_DEP_2)
	v_cmp_gt_i32_e64 s1, s16, v66
	v_ashrrev_i32_e32 v67, 31, v66
	s_and_b32 s3, s1, s8
	s_delay_alu instid0(SALU_CYCLE_1)
	s_and_saveexec_b32 s2, s3
	s_cbranch_execz .LBB19_63
; %bb.59:
	v_cmp_ne_u32_e32 vcc_lo, 1, v105
	v_lshlrev_b64 v[68:69], 2, v[66:67]
	s_cbranch_vccnz .LBB19_61
; %bb.60:
	s_delay_alu instid0(VALU_DEP_1) | instskip(NEXT) | instid1(VALU_DEP_2)
	v_add_co_u32 v70, vcc_lo, v144, v68
	v_add_co_ci_u32_e32 v71, vcc_lo, v145, v69, vcc_lo
	flat_load_b32 v70, v[70:71]
	s_waitcnt vmcnt(0) lgkmcnt(0)
	v_mul_f32_e32 v70, s19, v70
	s_branch .LBB19_62
.LBB19_61:
	v_mov_b32_e32 v70, 0
.LBB19_62:
	v_dual_add_f32 v71, v29, v61 :: v_dual_add_f32 v72, v28, v60
	v_dual_add_f32 v73, v31, v63 :: v_dual_add_f32 v74, v30, v62
	s_delay_alu instid0(VALU_DEP_4) | instskip(NEXT) | instid1(VALU_DEP_3)
	v_add_co_u32 v68, vcc_lo, v141, v68
	v_min3_f32 v71, v72, v71, v150
	v_add_co_ci_u32_e32 v69, vcc_lo, v142, v69, vcc_lo
	s_delay_alu instid0(VALU_DEP_4) | instskip(NEXT) | instid1(VALU_DEP_1)
	v_min_f32_e32 v72, v74, v73
	v_min3_f32 v70, v70, v72, v71
	global_store_b32 v[68:69], v70, off
.LBB19_63:
	s_or_b32 exec_lo, exec_lo, s2
	v_add_nc_u32_e32 v68, 16, v64
	s_delay_alu instid0(VALU_DEP_1) | instskip(SKIP_1) | instid1(VALU_DEP_2)
	v_cmp_gt_i32_e64 s2, s16, v68
	v_ashrrev_i32_e32 v69, 31, v68
	s_and_b32 s4, s2, s8
	s_delay_alu instid0(SALU_CYCLE_1)
	s_and_saveexec_b32 s3, s4
	s_cbranch_execz .LBB19_68
; %bb.64:
	v_cmp_ne_u32_e32 vcc_lo, 1, v105
	v_lshlrev_b64 v[70:71], 2, v[68:69]
	s_cbranch_vccnz .LBB19_66
; %bb.65:
	s_delay_alu instid0(VALU_DEP_1) | instskip(NEXT) | instid1(VALU_DEP_2)
	v_add_co_u32 v72, vcc_lo, v144, v70
	v_add_co_ci_u32_e32 v73, vcc_lo, v145, v71, vcc_lo
	flat_load_b32 v72, v[72:73]
	s_waitcnt vmcnt(0) lgkmcnt(0)
	v_mul_f32_e32 v72, s19, v72
	s_branch .LBB19_67
.LBB19_66:
	v_mov_b32_e32 v72, 0
.LBB19_67:
	v_dual_add_f32 v73, v25, v61 :: v_dual_add_f32 v74, v24, v60
	v_dual_add_f32 v75, v27, v63 :: v_dual_add_f32 v76, v26, v62
	s_delay_alu instid0(VALU_DEP_4) | instskip(NEXT) | instid1(VALU_DEP_3)
	v_add_co_u32 v70, vcc_lo, v141, v70
	v_min3_f32 v73, v74, v73, v149
	v_add_co_ci_u32_e32 v71, vcc_lo, v142, v71, vcc_lo
	s_delay_alu instid0(VALU_DEP_4) | instskip(NEXT) | instid1(VALU_DEP_1)
	v_min_f32_e32 v74, v76, v75
	v_min3_f32 v72, v72, v74, v73
	global_store_b32 v[70:71], v72, off
.LBB19_68:
	;; [unrolled: 35-line block ×4, first 2 shown]
	s_or_b32 exec_lo, exec_lo, s5
	v_add_nc_u32_e32 v74, 40, v64
	s_delay_alu instid0(VALU_DEP_1) | instskip(SKIP_1) | instid1(VALU_DEP_2)
	v_cmp_gt_i32_e64 s5, s16, v74
	v_ashrrev_i32_e32 v75, 31, v74
	s_and_b32 s7, s5, s8
	s_delay_alu instid0(SALU_CYCLE_1)
	s_and_saveexec_b32 s6, s7
	s_cbranch_execz .LBB19_83
; %bb.79:
	v_cmp_ne_u32_e32 vcc_lo, 1, v105
	v_lshlrev_b64 v[76:77], 2, v[74:75]
	s_cbranch_vccnz .LBB19_81
; %bb.80:
	s_delay_alu instid0(VALU_DEP_1) | instskip(NEXT) | instid1(VALU_DEP_2)
	v_add_co_u32 v78, vcc_lo, v144, v76
	v_add_co_ci_u32_e32 v79, vcc_lo, v145, v77, vcc_lo
	flat_load_b32 v78, v[78:79]
	s_waitcnt vmcnt(0) lgkmcnt(0)
	v_mul_f32_e32 v78, s19, v78
	s_branch .LBB19_82
.LBB19_81:
	v_mov_b32_e32 v78, 0
.LBB19_82:
	v_dual_add_f32 v79, v13, v61 :: v_dual_add_f32 v80, v12, v60
	v_add_f32_e32 v81, v15, v63
	v_add_f32_e32 v147, v14, v62
	v_add_co_u32 v76, vcc_lo, v141, v76
	s_delay_alu instid0(VALU_DEP_4) | instskip(SKIP_1) | instid1(VALU_DEP_4)
	v_min3_f32 v79, v80, v79, v146
	v_add_co_ci_u32_e32 v77, vcc_lo, v142, v77, vcc_lo
	v_min_f32_e32 v80, v147, v81
	s_delay_alu instid0(VALU_DEP_1)
	v_min3_f32 v78, v78, v80, v79
	global_store_b32 v[76:77], v78, off
.LBB19_83:
	s_or_b32 exec_lo, exec_lo, s6
	v_add_nc_u32_e32 v76, 48, v64
	s_delay_alu instid0(VALU_DEP_1) | instskip(SKIP_1) | instid1(VALU_DEP_2)
	v_cmp_gt_i32_e64 s6, s16, v76
	v_ashrrev_i32_e32 v77, 31, v76
	s_and_b32 s15, s6, s8
	s_delay_alu instid0(SALU_CYCLE_1)
	s_and_saveexec_b32 s7, s15
	s_cbranch_execz .LBB19_88
; %bb.84:
	v_cmp_ne_u32_e32 vcc_lo, 1, v105
	v_lshlrev_b64 v[78:79], 2, v[76:77]
	s_cbranch_vccnz .LBB19_86
; %bb.85:
	s_delay_alu instid0(VALU_DEP_1) | instskip(NEXT) | instid1(VALU_DEP_2)
	v_add_co_u32 v80, vcc_lo, v144, v78
	v_add_co_ci_u32_e32 v81, vcc_lo, v145, v79, vcc_lo
	flat_load_b32 v80, v[80:81]
	s_waitcnt vmcnt(0) lgkmcnt(0)
	v_mul_f32_e32 v80, s19, v80
	s_branch .LBB19_87
.LBB19_86:
	v_mov_b32_e32 v80, 0
.LBB19_87:
	v_dual_add_f32 v81, v9, v61 :: v_dual_add_f32 v146, v8, v60
	v_dual_add_f32 v147, v11, v63 :: v_dual_add_f32 v148, v10, v62
	s_delay_alu instid0(VALU_DEP_4) | instskip(NEXT) | instid1(VALU_DEP_3)
	v_add_co_u32 v78, vcc_lo, v141, v78
	v_min3_f32 v81, v146, v81, v143
	v_add_co_ci_u32_e32 v79, vcc_lo, v142, v79, vcc_lo
	s_delay_alu instid0(VALU_DEP_4) | instskip(NEXT) | instid1(VALU_DEP_1)
	v_min_f32_e32 v143, v148, v147
	v_min3_f32 v80, v80, v143, v81
	global_store_b32 v[78:79], v80, off
.LBB19_88:
	s_or_b32 exec_lo, exec_lo, s7
	v_add_nc_u32_e32 v78, 56, v64
	s_delay_alu instid0(VALU_DEP_1) | instskip(SKIP_1) | instid1(VALU_DEP_2)
	v_cmp_gt_i32_e64 s7, s16, v78
	v_ashrrev_i32_e32 v79, 31, v78
	s_and_b32 s15, s7, s8
	s_delay_alu instid0(SALU_CYCLE_1)
	s_and_saveexec_b32 s8, s15
	s_cbranch_execz .LBB19_93
; %bb.89:
	v_cmp_ne_u32_e32 vcc_lo, 1, v105
	v_lshlrev_b64 v[80:81], 2, v[78:79]
	s_cbranch_vccnz .LBB19_91
; %bb.90:
	s_delay_alu instid0(VALU_DEP_1) | instskip(NEXT) | instid1(VALU_DEP_2)
	v_add_co_u32 v143, vcc_lo, v144, v80
	v_add_co_ci_u32_e32 v144, vcc_lo, v145, v81, vcc_lo
	flat_load_b32 v143, v[143:144]
	s_waitcnt vmcnt(0) lgkmcnt(0)
	v_mul_f32_e32 v143, s19, v143
	s_branch .LBB19_92
.LBB19_91:
	v_mov_b32_e32 v143, 0
.LBB19_92:
	v_dual_add_f32 v61, v1, v61 :: v_dual_add_f32 v60, v0, v60
	v_dual_add_f32 v63, v3, v63 :: v_dual_add_f32 v62, v2, v62
	s_delay_alu instid0(VALU_DEP_2) | instskip(NEXT) | instid1(VALU_DEP_2)
	v_min3_f32 v60, v60, v61, v140
	v_min_f32_e32 v61, v62, v63
	s_delay_alu instid0(VALU_DEP_1)
	v_min3_f32 v62, v143, v61, v60
	v_add_co_u32 v60, vcc_lo, v141, v80
	v_add_co_ci_u32_e32 v61, vcc_lo, v142, v81, vcc_lo
	global_store_b32 v[60:61], v62, off
.LBB19_93:
	s_or_b32 exec_lo, exec_lo, s8
	v_add_nc_u32_e32 v80, 32, v112
	s_delay_alu instid0(VALU_DEP_1) | instskip(SKIP_2) | instid1(VALU_DEP_3)
	v_mad_i64_i32 v[60:61], null, v80, s14, 0
	v_mad_i64_i32 v[62:63], null, v80, s9, 0
	v_cmp_gt_i32_e64 s8, s17, v80
	v_lshlrev_b64 v[60:61], 2, v[60:61]
	s_delay_alu instid0(VALU_DEP_2) | instskip(NEXT) | instid1(VALU_DEP_3)
	s_and_b32 s16, s0, s8
	v_lshlrev_b64 v[62:63], 2, v[62:63]
	s_delay_alu instid0(VALU_DEP_2) | instskip(NEXT) | instid1(VALU_DEP_3)
	v_add_co_u32 v80, vcc_lo, s10, v60
	v_add_co_ci_u32_e32 v81, vcc_lo, s11, v61, vcc_lo
	s_delay_alu instid0(VALU_DEP_3) | instskip(NEXT) | instid1(VALU_DEP_4)
	v_add_co_u32 v62, vcc_lo, s12, v62
	v_add_co_ci_u32_e32 v63, vcc_lo, s13, v63, vcc_lo
	s_and_saveexec_b32 s15, s16
	s_cbranch_execnz .LBB19_101
; %bb.94:
	s_or_b32 exec_lo, exec_lo, s15
	s_and_b32 s16, s1, s8
	s_delay_alu instid0(SALU_CYCLE_1)
	s_and_saveexec_b32 s15, s16
	s_cbranch_execnz .LBB19_105
.LBB19_95:
	s_or_b32 exec_lo, exec_lo, s15
	s_and_b32 s16, s2, s8
	s_delay_alu instid0(SALU_CYCLE_1)
	s_and_saveexec_b32 s15, s16
	s_cbranch_execnz .LBB19_109
.LBB19_96:
	s_or_b32 exec_lo, exec_lo, s15
	s_and_b32 s16, s3, s8
	s_delay_alu instid0(SALU_CYCLE_1)
	s_and_saveexec_b32 s15, s16
	s_cbranch_execnz .LBB19_113
.LBB19_97:
	s_or_b32 exec_lo, exec_lo, s15
	s_and_b32 s16, s4, s8
	s_delay_alu instid0(SALU_CYCLE_1)
	s_and_saveexec_b32 s15, s16
	s_cbranch_execnz .LBB19_117
.LBB19_98:
	s_or_b32 exec_lo, exec_lo, s15
	s_and_b32 s16, s5, s8
	s_delay_alu instid0(SALU_CYCLE_1)
	s_and_saveexec_b32 s15, s16
	s_cbranch_execnz .LBB19_121
.LBB19_99:
	s_or_b32 exec_lo, exec_lo, s15
	s_and_b32 s16, s6, s8
	s_delay_alu instid0(SALU_CYCLE_1)
	s_and_saveexec_b32 s15, s16
	s_cbranch_execnz .LBB19_125
.LBB19_100:
	s_or_b32 exec_lo, exec_lo, s15
	s_and_b32 s15, s7, s8
	s_delay_alu instid0(SALU_CYCLE_1)
	s_and_saveexec_b32 s8, s15
	s_cbranch_execnz .LBB19_129
	s_branch .LBB19_133
.LBB19_101:
	v_cmp_ne_u32_e32 vcc_lo, 1, v105
	v_lshlrev_b64 v[60:61], 2, v[64:65]
	s_cbranch_vccnz .LBB19_103
; %bb.102:
	s_delay_alu instid0(VALU_DEP_1) | instskip(NEXT) | instid1(VALU_DEP_2)
	v_add_co_u32 v140, vcc_lo, v80, v60
	v_add_co_ci_u32_e32 v141, vcc_lo, v81, v61, vcc_lo
	flat_load_b32 v140, v[140:141]
	s_waitcnt vmcnt(0) lgkmcnt(0)
	v_mul_f32_e32 v140, s19, v140
	s_branch .LBB19_104
.LBB19_103:
	v_mov_b32_e32 v140, 0
.LBB19_104:
	v_dual_add_f32 v141, v33, v57 :: v_dual_add_f32 v142, v32, v56
	v_dual_add_f32 v143, v35, v59 :: v_dual_add_f32 v144, v34, v58
	s_delay_alu instid0(VALU_DEP_4) | instskip(NEXT) | instid1(VALU_DEP_3)
	v_add_co_u32 v60, vcc_lo, v62, v60
	v_min3_f32 v139, v142, v141, v139
	v_add_co_ci_u32_e32 v61, vcc_lo, v63, v61, vcc_lo
	s_delay_alu instid0(VALU_DEP_4) | instskip(NEXT) | instid1(VALU_DEP_1)
	v_min_f32_e32 v141, v144, v143
	v_min3_f32 v139, v140, v141, v139
	global_store_b32 v[60:61], v139, off
	s_or_b32 exec_lo, exec_lo, s15
	s_and_b32 s16, s1, s8
	s_delay_alu instid0(SALU_CYCLE_1)
	s_and_saveexec_b32 s15, s16
	s_cbranch_execz .LBB19_95
.LBB19_105:
	v_cmp_ne_u32_e32 vcc_lo, 1, v105
	v_lshlrev_b64 v[60:61], 2, v[66:67]
	s_cbranch_vccnz .LBB19_107
; %bb.106:
	s_delay_alu instid0(VALU_DEP_1) | instskip(NEXT) | instid1(VALU_DEP_2)
	v_add_co_u32 v139, vcc_lo, v80, v60
	v_add_co_ci_u32_e32 v140, vcc_lo, v81, v61, vcc_lo
	flat_load_b32 v139, v[139:140]
	s_waitcnt vmcnt(0) lgkmcnt(0)
	v_mul_f32_e32 v139, s19, v139
	s_branch .LBB19_108
.LBB19_107:
	v_mov_b32_e32 v139, 0
.LBB19_108:
	v_dual_add_f32 v140, v29, v57 :: v_dual_add_f32 v141, v28, v56
	v_dual_add_f32 v142, v31, v59 :: v_dual_add_f32 v143, v30, v58
	s_delay_alu instid0(VALU_DEP_4) | instskip(NEXT) | instid1(VALU_DEP_3)
	v_add_co_u32 v60, vcc_lo, v62, v60
	v_min3_f32 v138, v141, v140, v138
	v_add_co_ci_u32_e32 v61, vcc_lo, v63, v61, vcc_lo
	s_delay_alu instid0(VALU_DEP_4) | instskip(NEXT) | instid1(VALU_DEP_1)
	v_min_f32_e32 v140, v143, v142
	v_min3_f32 v138, v139, v140, v138
	global_store_b32 v[60:61], v138, off
	s_or_b32 exec_lo, exec_lo, s15
	s_and_b32 s16, s2, s8
	s_delay_alu instid0(SALU_CYCLE_1)
	s_and_saveexec_b32 s15, s16
	s_cbranch_execz .LBB19_96
.LBB19_109:
	v_cmp_ne_u32_e32 vcc_lo, 1, v105
	v_lshlrev_b64 v[60:61], 2, v[68:69]
	s_cbranch_vccnz .LBB19_111
; %bb.110:
	s_delay_alu instid0(VALU_DEP_1) | instskip(NEXT) | instid1(VALU_DEP_2)
	v_add_co_u32 v138, vcc_lo, v80, v60
	v_add_co_ci_u32_e32 v139, vcc_lo, v81, v61, vcc_lo
	flat_load_b32 v138, v[138:139]
	s_waitcnt vmcnt(0) lgkmcnt(0)
	v_mul_f32_e32 v138, s19, v138
	s_branch .LBB19_112
.LBB19_111:
	v_mov_b32_e32 v138, 0
.LBB19_112:
	v_dual_add_f32 v139, v25, v57 :: v_dual_add_f32 v140, v24, v56
	v_dual_add_f32 v141, v27, v59 :: v_dual_add_f32 v142, v26, v58
	s_delay_alu instid0(VALU_DEP_4) | instskip(NEXT) | instid1(VALU_DEP_3)
	v_add_co_u32 v60, vcc_lo, v62, v60
	v_min3_f32 v137, v140, v139, v137
	v_add_co_ci_u32_e32 v61, vcc_lo, v63, v61, vcc_lo
	s_delay_alu instid0(VALU_DEP_4) | instskip(NEXT) | instid1(VALU_DEP_1)
	v_min_f32_e32 v139, v142, v141
	v_min3_f32 v137, v138, v139, v137
	global_store_b32 v[60:61], v137, off
	s_or_b32 exec_lo, exec_lo, s15
	s_and_b32 s16, s3, s8
	s_delay_alu instid0(SALU_CYCLE_1)
	s_and_saveexec_b32 s15, s16
	s_cbranch_execz .LBB19_97
.LBB19_113:
	v_cmp_ne_u32_e32 vcc_lo, 1, v105
	v_lshlrev_b64 v[60:61], 2, v[70:71]
	s_cbranch_vccnz .LBB19_115
; %bb.114:
	s_delay_alu instid0(VALU_DEP_1) | instskip(NEXT) | instid1(VALU_DEP_2)
	v_add_co_u32 v137, vcc_lo, v80, v60
	v_add_co_ci_u32_e32 v138, vcc_lo, v81, v61, vcc_lo
	flat_load_b32 v137, v[137:138]
	s_waitcnt vmcnt(0) lgkmcnt(0)
	v_mul_f32_e32 v137, s19, v137
	s_branch .LBB19_116
.LBB19_115:
	v_mov_b32_e32 v137, 0
.LBB19_116:
	v_dual_add_f32 v138, v21, v57 :: v_dual_add_f32 v139, v20, v56
	v_dual_add_f32 v140, v23, v59 :: v_dual_add_f32 v141, v22, v58
	s_delay_alu instid0(VALU_DEP_4) | instskip(NEXT) | instid1(VALU_DEP_3)
	v_add_co_u32 v60, vcc_lo, v62, v60
	v_min3_f32 v136, v139, v138, v136
	v_add_co_ci_u32_e32 v61, vcc_lo, v63, v61, vcc_lo
	s_delay_alu instid0(VALU_DEP_4) | instskip(NEXT) | instid1(VALU_DEP_1)
	v_min_f32_e32 v138, v141, v140
	v_min3_f32 v136, v137, v138, v136
	global_store_b32 v[60:61], v136, off
	s_or_b32 exec_lo, exec_lo, s15
	s_and_b32 s16, s4, s8
	s_delay_alu instid0(SALU_CYCLE_1)
	s_and_saveexec_b32 s15, s16
	s_cbranch_execz .LBB19_98
.LBB19_117:
	v_cmp_ne_u32_e32 vcc_lo, 1, v105
	v_lshlrev_b64 v[60:61], 2, v[72:73]
	s_cbranch_vccnz .LBB19_119
; %bb.118:
	s_delay_alu instid0(VALU_DEP_1) | instskip(NEXT) | instid1(VALU_DEP_2)
	v_add_co_u32 v136, vcc_lo, v80, v60
	v_add_co_ci_u32_e32 v137, vcc_lo, v81, v61, vcc_lo
	flat_load_b32 v136, v[136:137]
	s_waitcnt vmcnt(0) lgkmcnt(0)
	v_mul_f32_e32 v136, s19, v136
	s_branch .LBB19_120
.LBB19_119:
	v_mov_b32_e32 v136, 0
.LBB19_120:
	v_dual_add_f32 v137, v17, v57 :: v_dual_add_f32 v138, v16, v56
	v_dual_add_f32 v139, v19, v59 :: v_dual_add_f32 v140, v18, v58
	s_delay_alu instid0(VALU_DEP_4) | instskip(NEXT) | instid1(VALU_DEP_3)
	v_add_co_u32 v60, vcc_lo, v62, v60
	v_min3_f32 v135, v138, v137, v135
	v_add_co_ci_u32_e32 v61, vcc_lo, v63, v61, vcc_lo
	s_delay_alu instid0(VALU_DEP_4) | instskip(NEXT) | instid1(VALU_DEP_1)
	v_min_f32_e32 v137, v140, v139
	v_min3_f32 v135, v136, v137, v135
	global_store_b32 v[60:61], v135, off
	s_or_b32 exec_lo, exec_lo, s15
	s_and_b32 s16, s5, s8
	s_delay_alu instid0(SALU_CYCLE_1)
	s_and_saveexec_b32 s15, s16
	s_cbranch_execz .LBB19_99
.LBB19_121:
	v_cmp_ne_u32_e32 vcc_lo, 1, v105
	v_lshlrev_b64 v[60:61], 2, v[74:75]
	s_cbranch_vccnz .LBB19_123
; %bb.122:
	s_delay_alu instid0(VALU_DEP_1) | instskip(NEXT) | instid1(VALU_DEP_2)
	v_add_co_u32 v135, vcc_lo, v80, v60
	v_add_co_ci_u32_e32 v136, vcc_lo, v81, v61, vcc_lo
	flat_load_b32 v135, v[135:136]
	s_waitcnt vmcnt(0) lgkmcnt(0)
	v_mul_f32_e32 v135, s19, v135
	s_branch .LBB19_124
.LBB19_123:
	v_mov_b32_e32 v135, 0
.LBB19_124:
	v_dual_add_f32 v136, v13, v57 :: v_dual_add_f32 v137, v12, v56
	v_dual_add_f32 v138, v15, v59 :: v_dual_add_f32 v139, v14, v58
	s_delay_alu instid0(VALU_DEP_4) | instskip(NEXT) | instid1(VALU_DEP_3)
	v_add_co_u32 v60, vcc_lo, v62, v60
	v_min3_f32 v134, v137, v136, v134
	v_add_co_ci_u32_e32 v61, vcc_lo, v63, v61, vcc_lo
	s_delay_alu instid0(VALU_DEP_4) | instskip(NEXT) | instid1(VALU_DEP_1)
	v_min_f32_e32 v136, v139, v138
	v_min3_f32 v134, v135, v136, v134
	global_store_b32 v[60:61], v134, off
	s_or_b32 exec_lo, exec_lo, s15
	s_and_b32 s16, s6, s8
	s_delay_alu instid0(SALU_CYCLE_1)
	s_and_saveexec_b32 s15, s16
	s_cbranch_execz .LBB19_100
.LBB19_125:
	v_cmp_ne_u32_e32 vcc_lo, 1, v105
	v_lshlrev_b64 v[60:61], 2, v[76:77]
	s_cbranch_vccnz .LBB19_127
; %bb.126:
	s_delay_alu instid0(VALU_DEP_1) | instskip(NEXT) | instid1(VALU_DEP_2)
	v_add_co_u32 v134, vcc_lo, v80, v60
	v_add_co_ci_u32_e32 v135, vcc_lo, v81, v61, vcc_lo
	flat_load_b32 v134, v[134:135]
	s_waitcnt vmcnt(0) lgkmcnt(0)
	v_mul_f32_e32 v134, s19, v134
	s_branch .LBB19_128
.LBB19_127:
	v_mov_b32_e32 v134, 0
.LBB19_128:
	v_dual_add_f32 v135, v9, v57 :: v_dual_add_f32 v136, v8, v56
	v_dual_add_f32 v137, v11, v59 :: v_dual_add_f32 v138, v10, v58
	s_delay_alu instid0(VALU_DEP_4) | instskip(NEXT) | instid1(VALU_DEP_3)
	v_add_co_u32 v60, vcc_lo, v62, v60
	v_min3_f32 v133, v136, v135, v133
	v_add_co_ci_u32_e32 v61, vcc_lo, v63, v61, vcc_lo
	s_delay_alu instid0(VALU_DEP_4) | instskip(NEXT) | instid1(VALU_DEP_1)
	v_min_f32_e32 v135, v138, v137
	v_min3_f32 v133, v134, v135, v133
	global_store_b32 v[60:61], v133, off
	s_or_b32 exec_lo, exec_lo, s15
	s_and_b32 s15, s7, s8
	s_delay_alu instid0(SALU_CYCLE_1)
	s_and_saveexec_b32 s8, s15
	s_cbranch_execz .LBB19_133
.LBB19_129:
	v_cmp_ne_u32_e32 vcc_lo, 1, v105
	v_lshlrev_b64 v[60:61], 2, v[78:79]
	s_cbranch_vccnz .LBB19_131
; %bb.130:
	s_delay_alu instid0(VALU_DEP_1) | instskip(NEXT) | instid1(VALU_DEP_2)
	v_add_co_u32 v80, vcc_lo, v80, v60
	v_add_co_ci_u32_e32 v81, vcc_lo, v81, v61, vcc_lo
	flat_load_b32 v80, v[80:81]
	s_waitcnt vmcnt(0) lgkmcnt(0)
	v_mul_f32_e32 v80, s19, v80
	s_branch .LBB19_132
.LBB19_131:
	v_mov_b32_e32 v80, 0
.LBB19_132:
	v_dual_add_f32 v57, v1, v57 :: v_dual_add_f32 v56, v0, v56
	v_dual_add_f32 v59, v3, v59 :: v_dual_add_f32 v58, v2, v58
	s_delay_alu instid0(VALU_DEP_2) | instskip(NEXT) | instid1(VALU_DEP_2)
	v_min3_f32 v56, v56, v57, v132
	v_min_f32_e32 v57, v58, v59
	s_delay_alu instid0(VALU_DEP_1)
	v_min3_f32 v58, v80, v57, v56
	v_add_co_u32 v56, vcc_lo, v62, v60
	v_add_co_ci_u32_e32 v57, vcc_lo, v63, v61, vcc_lo
	global_store_b32 v[56:57], v58, off
.LBB19_133:
	s_or_b32 exec_lo, exec_lo, s8
	v_add_nc_u32_e32 v60, 64, v112
	s_delay_alu instid0(VALU_DEP_1) | instskip(SKIP_2) | instid1(VALU_DEP_3)
	v_mad_i64_i32 v[56:57], null, v60, s14, 0
	v_mad_i64_i32 v[58:59], null, v60, s9, 0
	v_cmp_gt_i32_e64 s8, s17, v60
	v_lshlrev_b64 v[56:57], 2, v[56:57]
	s_delay_alu instid0(VALU_DEP_2) | instskip(NEXT) | instid1(VALU_DEP_3)
	s_and_b32 s16, s0, s8
	v_lshlrev_b64 v[58:59], 2, v[58:59]
	s_delay_alu instid0(VALU_DEP_2) | instskip(NEXT) | instid1(VALU_DEP_3)
	v_add_co_u32 v60, vcc_lo, s10, v56
	v_add_co_ci_u32_e32 v61, vcc_lo, s11, v57, vcc_lo
	s_delay_alu instid0(VALU_DEP_3) | instskip(NEXT) | instid1(VALU_DEP_4)
	v_add_co_u32 v58, vcc_lo, s12, v58
	v_add_co_ci_u32_e32 v59, vcc_lo, s13, v59, vcc_lo
	s_and_saveexec_b32 s15, s16
	s_cbranch_execnz .LBB19_141
; %bb.134:
	s_or_b32 exec_lo, exec_lo, s15
	s_and_b32 s16, s1, s8
	s_delay_alu instid0(SALU_CYCLE_1)
	s_and_saveexec_b32 s15, s16
	s_cbranch_execnz .LBB19_145
.LBB19_135:
	s_or_b32 exec_lo, exec_lo, s15
	s_and_b32 s16, s2, s8
	s_delay_alu instid0(SALU_CYCLE_1)
	s_and_saveexec_b32 s15, s16
	s_cbranch_execnz .LBB19_149
.LBB19_136:
	s_or_b32 exec_lo, exec_lo, s15
	s_and_b32 s16, s3, s8
	s_delay_alu instid0(SALU_CYCLE_1)
	s_and_saveexec_b32 s15, s16
	s_cbranch_execnz .LBB19_153
.LBB19_137:
	s_or_b32 exec_lo, exec_lo, s15
	s_and_b32 s16, s4, s8
	s_delay_alu instid0(SALU_CYCLE_1)
	s_and_saveexec_b32 s15, s16
	s_cbranch_execnz .LBB19_157
.LBB19_138:
	s_or_b32 exec_lo, exec_lo, s15
	s_and_b32 s16, s5, s8
	s_delay_alu instid0(SALU_CYCLE_1)
	s_and_saveexec_b32 s15, s16
	s_cbranch_execnz .LBB19_161
.LBB19_139:
	s_or_b32 exec_lo, exec_lo, s15
	s_and_b32 s16, s6, s8
	s_delay_alu instid0(SALU_CYCLE_1)
	s_and_saveexec_b32 s15, s16
	s_cbranch_execnz .LBB19_165
.LBB19_140:
	s_or_b32 exec_lo, exec_lo, s15
	s_and_b32 s15, s7, s8
	s_delay_alu instid0(SALU_CYCLE_1)
	s_and_saveexec_b32 s8, s15
	s_cbranch_execnz .LBB19_169
	s_branch .LBB19_173
.LBB19_141:
	v_cmp_ne_u32_e32 vcc_lo, 1, v105
	v_lshlrev_b64 v[56:57], 2, v[64:65]
	s_cbranch_vccnz .LBB19_143
; %bb.142:
	s_delay_alu instid0(VALU_DEP_1) | instskip(NEXT) | instid1(VALU_DEP_2)
	v_add_co_u32 v62, vcc_lo, v60, v56
	v_add_co_ci_u32_e32 v63, vcc_lo, v61, v57, vcc_lo
	flat_load_b32 v62, v[62:63]
	s_waitcnt vmcnt(0) lgkmcnt(0)
	v_mul_f32_e32 v62, s19, v62
	s_branch .LBB19_144
.LBB19_143:
	v_mov_b32_e32 v62, 0
.LBB19_144:
	v_dual_add_f32 v63, v33, v53 :: v_dual_add_f32 v80, v32, v52
	v_dual_add_f32 v81, v35, v55 :: v_dual_add_f32 v132, v34, v54
	s_delay_alu instid0(VALU_DEP_4) | instskip(NEXT) | instid1(VALU_DEP_3)
	v_add_co_u32 v56, vcc_lo, v58, v56
	v_min3_f32 v63, v80, v63, v131
	v_add_co_ci_u32_e32 v57, vcc_lo, v59, v57, vcc_lo
	s_delay_alu instid0(VALU_DEP_4) | instskip(NEXT) | instid1(VALU_DEP_1)
	v_min_f32_e32 v80, v132, v81
	v_min3_f32 v62, v62, v80, v63
	global_store_b32 v[56:57], v62, off
	s_or_b32 exec_lo, exec_lo, s15
	s_and_b32 s16, s1, s8
	s_delay_alu instid0(SALU_CYCLE_1)
	s_and_saveexec_b32 s15, s16
	s_cbranch_execz .LBB19_135
.LBB19_145:
	v_cmp_ne_u32_e32 vcc_lo, 1, v105
	v_lshlrev_b64 v[56:57], 2, v[66:67]
	s_cbranch_vccnz .LBB19_147
; %bb.146:
	s_delay_alu instid0(VALU_DEP_1) | instskip(NEXT) | instid1(VALU_DEP_2)
	v_add_co_u32 v62, vcc_lo, v60, v56
	v_add_co_ci_u32_e32 v63, vcc_lo, v61, v57, vcc_lo
	flat_load_b32 v62, v[62:63]
	s_waitcnt vmcnt(0) lgkmcnt(0)
	v_mul_f32_e32 v62, s19, v62
	s_branch .LBB19_148
.LBB19_147:
	v_mov_b32_e32 v62, 0
.LBB19_148:
	v_dual_add_f32 v63, v29, v53 :: v_dual_add_f32 v80, v28, v52
	v_add_f32_e32 v81, v31, v55
	v_add_f32_e32 v131, v30, v54
	v_add_co_u32 v56, vcc_lo, v58, v56
	s_delay_alu instid0(VALU_DEP_4) | instskip(SKIP_1) | instid1(VALU_DEP_4)
	v_min3_f32 v63, v80, v63, v130
	v_add_co_ci_u32_e32 v57, vcc_lo, v59, v57, vcc_lo
	v_min_f32_e32 v80, v131, v81
	s_delay_alu instid0(VALU_DEP_1) | instskip(SKIP_3) | instid1(SALU_CYCLE_1)
	v_min3_f32 v62, v62, v80, v63
	global_store_b32 v[56:57], v62, off
	s_or_b32 exec_lo, exec_lo, s15
	s_and_b32 s16, s2, s8
	s_and_saveexec_b32 s15, s16
	s_cbranch_execz .LBB19_136
.LBB19_149:
	v_cmp_ne_u32_e32 vcc_lo, 1, v105
	v_lshlrev_b64 v[56:57], 2, v[68:69]
	s_cbranch_vccnz .LBB19_151
; %bb.150:
	s_delay_alu instid0(VALU_DEP_1) | instskip(NEXT) | instid1(VALU_DEP_2)
	v_add_co_u32 v62, vcc_lo, v60, v56
	v_add_co_ci_u32_e32 v63, vcc_lo, v61, v57, vcc_lo
	flat_load_b32 v62, v[62:63]
	s_waitcnt vmcnt(0) lgkmcnt(0)
	v_mul_f32_e32 v62, s19, v62
	s_branch .LBB19_152
.LBB19_151:
	v_mov_b32_e32 v62, 0
.LBB19_152:
	v_dual_add_f32 v63, v25, v53 :: v_dual_add_f32 v80, v24, v52
	v_dual_add_f32 v81, v27, v55 :: v_dual_add_f32 v130, v26, v54
	s_delay_alu instid0(VALU_DEP_4) | instskip(NEXT) | instid1(VALU_DEP_3)
	v_add_co_u32 v56, vcc_lo, v58, v56
	v_min3_f32 v63, v80, v63, v129
	v_add_co_ci_u32_e32 v57, vcc_lo, v59, v57, vcc_lo
	s_delay_alu instid0(VALU_DEP_4) | instskip(NEXT) | instid1(VALU_DEP_1)
	v_min_f32_e32 v80, v130, v81
	v_min3_f32 v62, v62, v80, v63
	global_store_b32 v[56:57], v62, off
	s_or_b32 exec_lo, exec_lo, s15
	s_and_b32 s16, s3, s8
	s_delay_alu instid0(SALU_CYCLE_1)
	s_and_saveexec_b32 s15, s16
	s_cbranch_execz .LBB19_137
.LBB19_153:
	v_cmp_ne_u32_e32 vcc_lo, 1, v105
	v_lshlrev_b64 v[56:57], 2, v[70:71]
	s_cbranch_vccnz .LBB19_155
; %bb.154:
	s_delay_alu instid0(VALU_DEP_1) | instskip(NEXT) | instid1(VALU_DEP_2)
	v_add_co_u32 v62, vcc_lo, v60, v56
	v_add_co_ci_u32_e32 v63, vcc_lo, v61, v57, vcc_lo
	flat_load_b32 v62, v[62:63]
	s_waitcnt vmcnt(0) lgkmcnt(0)
	v_mul_f32_e32 v62, s19, v62
	s_branch .LBB19_156
.LBB19_155:
	v_mov_b32_e32 v62, 0
.LBB19_156:
	v_dual_add_f32 v63, v21, v53 :: v_dual_add_f32 v80, v20, v52
	v_add_f32_e32 v81, v23, v55
	v_add_f32_e32 v129, v22, v54
	v_add_co_u32 v56, vcc_lo, v58, v56
	s_delay_alu instid0(VALU_DEP_4) | instskip(SKIP_1) | instid1(VALU_DEP_4)
	v_min3_f32 v63, v80, v63, v128
	v_add_co_ci_u32_e32 v57, vcc_lo, v59, v57, vcc_lo
	v_min_f32_e32 v80, v129, v81
	s_delay_alu instid0(VALU_DEP_1) | instskip(SKIP_3) | instid1(SALU_CYCLE_1)
	v_min3_f32 v62, v62, v80, v63
	global_store_b32 v[56:57], v62, off
	s_or_b32 exec_lo, exec_lo, s15
	s_and_b32 s16, s4, s8
	s_and_saveexec_b32 s15, s16
	s_cbranch_execz .LBB19_138
.LBB19_157:
	v_cmp_ne_u32_e32 vcc_lo, 1, v105
	v_lshlrev_b64 v[56:57], 2, v[72:73]
	s_cbranch_vccnz .LBB19_159
; %bb.158:
	s_delay_alu instid0(VALU_DEP_1) | instskip(NEXT) | instid1(VALU_DEP_2)
	v_add_co_u32 v62, vcc_lo, v60, v56
	v_add_co_ci_u32_e32 v63, vcc_lo, v61, v57, vcc_lo
	flat_load_b32 v62, v[62:63]
	s_waitcnt vmcnt(0) lgkmcnt(0)
	v_mul_f32_e32 v62, s19, v62
	s_branch .LBB19_160
.LBB19_159:
	v_mov_b32_e32 v62, 0
.LBB19_160:
	v_dual_add_f32 v63, v17, v53 :: v_dual_add_f32 v80, v16, v52
	v_dual_add_f32 v81, v19, v55 :: v_dual_add_f32 v128, v18, v54
	s_delay_alu instid0(VALU_DEP_4) | instskip(NEXT) | instid1(VALU_DEP_3)
	v_add_co_u32 v56, vcc_lo, v58, v56
	v_min3_f32 v63, v80, v63, v127
	v_add_co_ci_u32_e32 v57, vcc_lo, v59, v57, vcc_lo
	s_delay_alu instid0(VALU_DEP_4) | instskip(NEXT) | instid1(VALU_DEP_1)
	v_min_f32_e32 v80, v128, v81
	v_min3_f32 v62, v62, v80, v63
	global_store_b32 v[56:57], v62, off
	s_or_b32 exec_lo, exec_lo, s15
	s_and_b32 s16, s5, s8
	s_delay_alu instid0(SALU_CYCLE_1)
	s_and_saveexec_b32 s15, s16
	s_cbranch_execz .LBB19_139
.LBB19_161:
	v_cmp_ne_u32_e32 vcc_lo, 1, v105
	v_lshlrev_b64 v[56:57], 2, v[74:75]
	s_cbranch_vccnz .LBB19_163
; %bb.162:
	s_delay_alu instid0(VALU_DEP_1) | instskip(NEXT) | instid1(VALU_DEP_2)
	v_add_co_u32 v62, vcc_lo, v60, v56
	v_add_co_ci_u32_e32 v63, vcc_lo, v61, v57, vcc_lo
	flat_load_b32 v62, v[62:63]
	s_waitcnt vmcnt(0) lgkmcnt(0)
	v_mul_f32_e32 v62, s19, v62
	s_branch .LBB19_164
.LBB19_163:
	v_mov_b32_e32 v62, 0
.LBB19_164:
	v_dual_add_f32 v63, v13, v53 :: v_dual_add_f32 v80, v12, v52
	v_add_f32_e32 v81, v15, v55
	v_add_f32_e32 v127, v14, v54
	v_add_co_u32 v56, vcc_lo, v58, v56
	s_delay_alu instid0(VALU_DEP_4) | instskip(SKIP_1) | instid1(VALU_DEP_4)
	v_min3_f32 v63, v80, v63, v126
	v_add_co_ci_u32_e32 v57, vcc_lo, v59, v57, vcc_lo
	v_min_f32_e32 v80, v127, v81
	s_delay_alu instid0(VALU_DEP_1) | instskip(SKIP_3) | instid1(SALU_CYCLE_1)
	v_min3_f32 v62, v62, v80, v63
	global_store_b32 v[56:57], v62, off
	s_or_b32 exec_lo, exec_lo, s15
	s_and_b32 s16, s6, s8
	s_and_saveexec_b32 s15, s16
	s_cbranch_execz .LBB19_140
.LBB19_165:
	v_cmp_ne_u32_e32 vcc_lo, 1, v105
	v_lshlrev_b64 v[56:57], 2, v[76:77]
	s_cbranch_vccnz .LBB19_167
; %bb.166:
	s_delay_alu instid0(VALU_DEP_1) | instskip(NEXT) | instid1(VALU_DEP_2)
	v_add_co_u32 v62, vcc_lo, v60, v56
	v_add_co_ci_u32_e32 v63, vcc_lo, v61, v57, vcc_lo
	flat_load_b32 v62, v[62:63]
	s_waitcnt vmcnt(0) lgkmcnt(0)
	v_mul_f32_e32 v62, s19, v62
	s_branch .LBB19_168
.LBB19_167:
	v_mov_b32_e32 v62, 0
.LBB19_168:
	v_dual_add_f32 v63, v9, v53 :: v_dual_add_f32 v80, v8, v52
	v_dual_add_f32 v81, v11, v55 :: v_dual_add_f32 v126, v10, v54
	s_delay_alu instid0(VALU_DEP_4) | instskip(NEXT) | instid1(VALU_DEP_3)
	v_add_co_u32 v56, vcc_lo, v58, v56
	v_min3_f32 v63, v80, v63, v125
	v_add_co_ci_u32_e32 v57, vcc_lo, v59, v57, vcc_lo
	s_delay_alu instid0(VALU_DEP_4) | instskip(NEXT) | instid1(VALU_DEP_1)
	v_min_f32_e32 v80, v126, v81
	v_min3_f32 v62, v62, v80, v63
	global_store_b32 v[56:57], v62, off
	s_or_b32 exec_lo, exec_lo, s15
	s_and_b32 s15, s7, s8
	s_delay_alu instid0(SALU_CYCLE_1)
	s_and_saveexec_b32 s8, s15
	s_cbranch_execz .LBB19_173
.LBB19_169:
	v_cmp_ne_u32_e32 vcc_lo, 1, v105
	v_lshlrev_b64 v[56:57], 2, v[78:79]
	s_cbranch_vccnz .LBB19_171
; %bb.170:
	s_delay_alu instid0(VALU_DEP_1) | instskip(NEXT) | instid1(VALU_DEP_2)
	v_add_co_u32 v60, vcc_lo, v60, v56
	v_add_co_ci_u32_e32 v61, vcc_lo, v61, v57, vcc_lo
	flat_load_b32 v60, v[60:61]
	s_waitcnt vmcnt(0) lgkmcnt(0)
	v_mul_f32_e32 v60, s19, v60
	s_branch .LBB19_172
.LBB19_171:
	v_mov_b32_e32 v60, 0
.LBB19_172:
	v_dual_add_f32 v53, v1, v53 :: v_dual_add_f32 v52, v0, v52
	v_dual_add_f32 v55, v3, v55 :: v_dual_add_f32 v54, v2, v54
	s_delay_alu instid0(VALU_DEP_2) | instskip(NEXT) | instid1(VALU_DEP_2)
	v_min3_f32 v52, v52, v53, v124
	v_min_f32_e32 v53, v54, v55
	s_delay_alu instid0(VALU_DEP_1)
	v_min3_f32 v54, v60, v53, v52
	v_add_co_u32 v52, vcc_lo, v58, v56
	v_add_co_ci_u32_e32 v53, vcc_lo, v59, v57, vcc_lo
	global_store_b32 v[52:53], v54, off
.LBB19_173:
	s_or_b32 exec_lo, exec_lo, s8
	v_add_nc_u32_e32 v56, 0x60, v112
	s_delay_alu instid0(VALU_DEP_1) | instskip(SKIP_2) | instid1(VALU_DEP_3)
	v_mad_i64_i32 v[52:53], null, v56, s14, 0
	v_mad_i64_i32 v[54:55], null, v56, s9, 0
	v_cmp_gt_i32_e64 s8, s17, v56
	v_lshlrev_b64 v[52:53], 2, v[52:53]
	s_delay_alu instid0(VALU_DEP_2) | instskip(NEXT) | instid1(VALU_DEP_3)
	s_and_b32 s16, s0, s8
	v_lshlrev_b64 v[54:55], 2, v[54:55]
	s_delay_alu instid0(VALU_DEP_2) | instskip(NEXT) | instid1(VALU_DEP_3)
	v_add_co_u32 v56, vcc_lo, s10, v52
	v_add_co_ci_u32_e32 v57, vcc_lo, s11, v53, vcc_lo
	s_delay_alu instid0(VALU_DEP_3) | instskip(NEXT) | instid1(VALU_DEP_4)
	v_add_co_u32 v54, vcc_lo, s12, v54
	v_add_co_ci_u32_e32 v55, vcc_lo, s13, v55, vcc_lo
	s_and_saveexec_b32 s15, s16
	s_cbranch_execnz .LBB19_181
; %bb.174:
	s_or_b32 exec_lo, exec_lo, s15
	s_and_b32 s16, s1, s8
	s_delay_alu instid0(SALU_CYCLE_1)
	s_and_saveexec_b32 s15, s16
	s_cbranch_execnz .LBB19_185
.LBB19_175:
	s_or_b32 exec_lo, exec_lo, s15
	s_and_b32 s16, s2, s8
	s_delay_alu instid0(SALU_CYCLE_1)
	s_and_saveexec_b32 s15, s16
	s_cbranch_execnz .LBB19_189
.LBB19_176:
	s_or_b32 exec_lo, exec_lo, s15
	s_and_b32 s16, s3, s8
	s_delay_alu instid0(SALU_CYCLE_1)
	s_and_saveexec_b32 s15, s16
	s_cbranch_execnz .LBB19_193
.LBB19_177:
	s_or_b32 exec_lo, exec_lo, s15
	s_and_b32 s16, s4, s8
	s_delay_alu instid0(SALU_CYCLE_1)
	s_and_saveexec_b32 s15, s16
	s_cbranch_execnz .LBB19_197
.LBB19_178:
	s_or_b32 exec_lo, exec_lo, s15
	s_and_b32 s16, s5, s8
	s_delay_alu instid0(SALU_CYCLE_1)
	s_and_saveexec_b32 s15, s16
	s_cbranch_execnz .LBB19_201
.LBB19_179:
	s_or_b32 exec_lo, exec_lo, s15
	s_and_b32 s16, s6, s8
	s_delay_alu instid0(SALU_CYCLE_1)
	s_and_saveexec_b32 s15, s16
	s_cbranch_execnz .LBB19_205
.LBB19_180:
	s_or_b32 exec_lo, exec_lo, s15
	s_and_b32 s15, s7, s8
	s_delay_alu instid0(SALU_CYCLE_1)
	s_and_saveexec_b32 s8, s15
	s_cbranch_execnz .LBB19_209
	s_branch .LBB19_213
.LBB19_181:
	v_cmp_ne_u32_e32 vcc_lo, 1, v105
	v_lshlrev_b64 v[52:53], 2, v[64:65]
	s_cbranch_vccnz .LBB19_183
; %bb.182:
	s_delay_alu instid0(VALU_DEP_1) | instskip(NEXT) | instid1(VALU_DEP_2)
	v_add_co_u32 v58, vcc_lo, v56, v52
	v_add_co_ci_u32_e32 v59, vcc_lo, v57, v53, vcc_lo
	flat_load_b32 v58, v[58:59]
	s_waitcnt vmcnt(0) lgkmcnt(0)
	v_mul_f32_e32 v58, s19, v58
	s_branch .LBB19_184
.LBB19_183:
	v_mov_b32_e32 v58, 0
.LBB19_184:
	v_dual_add_f32 v59, v33, v49 :: v_dual_add_f32 v60, v32, v48
	v_dual_add_f32 v61, v35, v51 :: v_dual_add_f32 v62, v34, v50
	s_delay_alu instid0(VALU_DEP_4) | instskip(NEXT) | instid1(VALU_DEP_3)
	v_add_co_u32 v52, vcc_lo, v54, v52
	v_min3_f32 v59, v60, v59, v123
	v_add_co_ci_u32_e32 v53, vcc_lo, v55, v53, vcc_lo
	s_delay_alu instid0(VALU_DEP_4) | instskip(NEXT) | instid1(VALU_DEP_1)
	v_min_f32_e32 v60, v62, v61
	v_min3_f32 v58, v58, v60, v59
	global_store_b32 v[52:53], v58, off
	s_or_b32 exec_lo, exec_lo, s15
	s_and_b32 s16, s1, s8
	s_delay_alu instid0(SALU_CYCLE_1)
	s_and_saveexec_b32 s15, s16
	s_cbranch_execz .LBB19_175
.LBB19_185:
	v_cmp_ne_u32_e32 vcc_lo, 1, v105
	v_lshlrev_b64 v[52:53], 2, v[66:67]
	s_cbranch_vccnz .LBB19_187
; %bb.186:
	s_delay_alu instid0(VALU_DEP_1) | instskip(NEXT) | instid1(VALU_DEP_2)
	v_add_co_u32 v58, vcc_lo, v56, v52
	v_add_co_ci_u32_e32 v59, vcc_lo, v57, v53, vcc_lo
	flat_load_b32 v58, v[58:59]
	s_waitcnt vmcnt(0) lgkmcnt(0)
	v_mul_f32_e32 v58, s19, v58
	s_branch .LBB19_188
.LBB19_187:
	v_mov_b32_e32 v58, 0
.LBB19_188:
	v_dual_add_f32 v59, v29, v49 :: v_dual_add_f32 v60, v28, v48
	v_dual_add_f32 v61, v31, v51 :: v_dual_add_f32 v62, v30, v50
	s_delay_alu instid0(VALU_DEP_4) | instskip(NEXT) | instid1(VALU_DEP_3)
	v_add_co_u32 v52, vcc_lo, v54, v52
	v_min3_f32 v59, v60, v59, v122
	v_add_co_ci_u32_e32 v53, vcc_lo, v55, v53, vcc_lo
	s_delay_alu instid0(VALU_DEP_4) | instskip(NEXT) | instid1(VALU_DEP_1)
	v_min_f32_e32 v60, v62, v61
	v_min3_f32 v58, v58, v60, v59
	global_store_b32 v[52:53], v58, off
	s_or_b32 exec_lo, exec_lo, s15
	s_and_b32 s16, s2, s8
	s_delay_alu instid0(SALU_CYCLE_1)
	s_and_saveexec_b32 s15, s16
	s_cbranch_execz .LBB19_176
.LBB19_189:
	v_cmp_ne_u32_e32 vcc_lo, 1, v105
	v_lshlrev_b64 v[52:53], 2, v[68:69]
	s_cbranch_vccnz .LBB19_191
; %bb.190:
	s_delay_alu instid0(VALU_DEP_1) | instskip(NEXT) | instid1(VALU_DEP_2)
	v_add_co_u32 v58, vcc_lo, v56, v52
	v_add_co_ci_u32_e32 v59, vcc_lo, v57, v53, vcc_lo
	flat_load_b32 v58, v[58:59]
	s_waitcnt vmcnt(0) lgkmcnt(0)
	v_mul_f32_e32 v58, s19, v58
	s_branch .LBB19_192
.LBB19_191:
	v_mov_b32_e32 v58, 0
.LBB19_192:
	v_dual_add_f32 v59, v25, v49 :: v_dual_add_f32 v60, v24, v48
	v_dual_add_f32 v61, v27, v51 :: v_dual_add_f32 v62, v26, v50
	s_delay_alu instid0(VALU_DEP_4) | instskip(NEXT) | instid1(VALU_DEP_3)
	v_add_co_u32 v52, vcc_lo, v54, v52
	v_min3_f32 v59, v60, v59, v121
	v_add_co_ci_u32_e32 v53, vcc_lo, v55, v53, vcc_lo
	s_delay_alu instid0(VALU_DEP_4) | instskip(NEXT) | instid1(VALU_DEP_1)
	v_min_f32_e32 v60, v62, v61
	v_min3_f32 v58, v58, v60, v59
	global_store_b32 v[52:53], v58, off
	s_or_b32 exec_lo, exec_lo, s15
	s_and_b32 s16, s3, s8
	s_delay_alu instid0(SALU_CYCLE_1)
	s_and_saveexec_b32 s15, s16
	s_cbranch_execz .LBB19_177
.LBB19_193:
	v_cmp_ne_u32_e32 vcc_lo, 1, v105
	v_lshlrev_b64 v[52:53], 2, v[70:71]
	s_cbranch_vccnz .LBB19_195
; %bb.194:
	s_delay_alu instid0(VALU_DEP_1) | instskip(NEXT) | instid1(VALU_DEP_2)
	v_add_co_u32 v58, vcc_lo, v56, v52
	v_add_co_ci_u32_e32 v59, vcc_lo, v57, v53, vcc_lo
	flat_load_b32 v58, v[58:59]
	s_waitcnt vmcnt(0) lgkmcnt(0)
	v_mul_f32_e32 v58, s19, v58
	s_branch .LBB19_196
.LBB19_195:
	v_mov_b32_e32 v58, 0
.LBB19_196:
	v_dual_add_f32 v59, v21, v49 :: v_dual_add_f32 v60, v20, v48
	v_dual_add_f32 v61, v23, v51 :: v_dual_add_f32 v62, v22, v50
	s_delay_alu instid0(VALU_DEP_4) | instskip(NEXT) | instid1(VALU_DEP_3)
	v_add_co_u32 v52, vcc_lo, v54, v52
	v_min3_f32 v59, v60, v59, v120
	v_add_co_ci_u32_e32 v53, vcc_lo, v55, v53, vcc_lo
	s_delay_alu instid0(VALU_DEP_4) | instskip(NEXT) | instid1(VALU_DEP_1)
	v_min_f32_e32 v60, v62, v61
	v_min3_f32 v58, v58, v60, v59
	global_store_b32 v[52:53], v58, off
	s_or_b32 exec_lo, exec_lo, s15
	s_and_b32 s16, s4, s8
	s_delay_alu instid0(SALU_CYCLE_1)
	s_and_saveexec_b32 s15, s16
	s_cbranch_execz .LBB19_178
.LBB19_197:
	v_cmp_ne_u32_e32 vcc_lo, 1, v105
	v_lshlrev_b64 v[52:53], 2, v[72:73]
	s_cbranch_vccnz .LBB19_199
; %bb.198:
	s_delay_alu instid0(VALU_DEP_1) | instskip(NEXT) | instid1(VALU_DEP_2)
	v_add_co_u32 v58, vcc_lo, v56, v52
	v_add_co_ci_u32_e32 v59, vcc_lo, v57, v53, vcc_lo
	flat_load_b32 v58, v[58:59]
	s_waitcnt vmcnt(0) lgkmcnt(0)
	v_mul_f32_e32 v58, s19, v58
	s_branch .LBB19_200
.LBB19_199:
	v_mov_b32_e32 v58, 0
.LBB19_200:
	v_dual_add_f32 v59, v17, v49 :: v_dual_add_f32 v60, v16, v48
	v_dual_add_f32 v61, v19, v51 :: v_dual_add_f32 v62, v18, v50
	s_delay_alu instid0(VALU_DEP_4) | instskip(NEXT) | instid1(VALU_DEP_3)
	v_add_co_u32 v52, vcc_lo, v54, v52
	v_min3_f32 v59, v60, v59, v119
	v_add_co_ci_u32_e32 v53, vcc_lo, v55, v53, vcc_lo
	s_delay_alu instid0(VALU_DEP_4) | instskip(NEXT) | instid1(VALU_DEP_1)
	v_min_f32_e32 v60, v62, v61
	v_min3_f32 v58, v58, v60, v59
	global_store_b32 v[52:53], v58, off
	s_or_b32 exec_lo, exec_lo, s15
	s_and_b32 s16, s5, s8
	s_delay_alu instid0(SALU_CYCLE_1)
	s_and_saveexec_b32 s15, s16
	s_cbranch_execz .LBB19_179
.LBB19_201:
	v_cmp_ne_u32_e32 vcc_lo, 1, v105
	v_lshlrev_b64 v[52:53], 2, v[74:75]
	s_cbranch_vccnz .LBB19_203
; %bb.202:
	s_delay_alu instid0(VALU_DEP_1) | instskip(NEXT) | instid1(VALU_DEP_2)
	v_add_co_u32 v58, vcc_lo, v56, v52
	v_add_co_ci_u32_e32 v59, vcc_lo, v57, v53, vcc_lo
	flat_load_b32 v58, v[58:59]
	s_waitcnt vmcnt(0) lgkmcnt(0)
	v_mul_f32_e32 v58, s19, v58
	s_branch .LBB19_204
.LBB19_203:
	v_mov_b32_e32 v58, 0
.LBB19_204:
	v_dual_add_f32 v59, v13, v49 :: v_dual_add_f32 v60, v12, v48
	v_dual_add_f32 v61, v15, v51 :: v_dual_add_f32 v62, v14, v50
	s_delay_alu instid0(VALU_DEP_4) | instskip(NEXT) | instid1(VALU_DEP_3)
	v_add_co_u32 v52, vcc_lo, v54, v52
	v_min3_f32 v59, v60, v59, v118
	v_add_co_ci_u32_e32 v53, vcc_lo, v55, v53, vcc_lo
	s_delay_alu instid0(VALU_DEP_4) | instskip(NEXT) | instid1(VALU_DEP_1)
	v_min_f32_e32 v60, v62, v61
	v_min3_f32 v58, v58, v60, v59
	global_store_b32 v[52:53], v58, off
	s_or_b32 exec_lo, exec_lo, s15
	s_and_b32 s16, s6, s8
	s_delay_alu instid0(SALU_CYCLE_1)
	s_and_saveexec_b32 s15, s16
	s_cbranch_execz .LBB19_180
.LBB19_205:
	v_cmp_ne_u32_e32 vcc_lo, 1, v105
	v_lshlrev_b64 v[52:53], 2, v[76:77]
	s_cbranch_vccnz .LBB19_207
; %bb.206:
	s_delay_alu instid0(VALU_DEP_1) | instskip(NEXT) | instid1(VALU_DEP_2)
	v_add_co_u32 v58, vcc_lo, v56, v52
	v_add_co_ci_u32_e32 v59, vcc_lo, v57, v53, vcc_lo
	flat_load_b32 v58, v[58:59]
	s_waitcnt vmcnt(0) lgkmcnt(0)
	v_mul_f32_e32 v58, s19, v58
	s_branch .LBB19_208
.LBB19_207:
	v_mov_b32_e32 v58, 0
.LBB19_208:
	v_dual_add_f32 v59, v9, v49 :: v_dual_add_f32 v60, v8, v48
	v_dual_add_f32 v61, v11, v51 :: v_dual_add_f32 v62, v10, v50
	s_delay_alu instid0(VALU_DEP_4) | instskip(NEXT) | instid1(VALU_DEP_3)
	v_add_co_u32 v52, vcc_lo, v54, v52
	v_min3_f32 v59, v60, v59, v117
	v_add_co_ci_u32_e32 v53, vcc_lo, v55, v53, vcc_lo
	s_delay_alu instid0(VALU_DEP_4) | instskip(NEXT) | instid1(VALU_DEP_1)
	v_min_f32_e32 v60, v62, v61
	v_min3_f32 v58, v58, v60, v59
	global_store_b32 v[52:53], v58, off
	s_or_b32 exec_lo, exec_lo, s15
	s_and_b32 s15, s7, s8
	s_delay_alu instid0(SALU_CYCLE_1)
	s_and_saveexec_b32 s8, s15
	s_cbranch_execz .LBB19_213
.LBB19_209:
	v_cmp_ne_u32_e32 vcc_lo, 1, v105
	v_lshlrev_b64 v[52:53], 2, v[78:79]
	s_cbranch_vccnz .LBB19_211
; %bb.210:
	s_delay_alu instid0(VALU_DEP_1) | instskip(NEXT) | instid1(VALU_DEP_2)
	v_add_co_u32 v56, vcc_lo, v56, v52
	v_add_co_ci_u32_e32 v57, vcc_lo, v57, v53, vcc_lo
	flat_load_b32 v56, v[56:57]
	s_waitcnt vmcnt(0) lgkmcnt(0)
	v_mul_f32_e32 v56, s19, v56
	s_branch .LBB19_212
.LBB19_211:
	v_mov_b32_e32 v56, 0
.LBB19_212:
	v_dual_add_f32 v49, v1, v49 :: v_dual_add_f32 v48, v0, v48
	v_dual_add_f32 v51, v3, v51 :: v_dual_add_f32 v50, v2, v50
	s_delay_alu instid0(VALU_DEP_2) | instskip(NEXT) | instid1(VALU_DEP_2)
	v_min3_f32 v48, v48, v49, v116
	v_min_f32_e32 v49, v50, v51
	s_delay_alu instid0(VALU_DEP_1)
	v_min3_f32 v50, v56, v49, v48
	v_add_co_u32 v48, vcc_lo, v54, v52
	v_add_co_ci_u32_e32 v49, vcc_lo, v55, v53, vcc_lo
	global_store_b32 v[48:49], v50, off
.LBB19_213:
	s_or_b32 exec_lo, exec_lo, s8
	v_add_nc_u32_e32 v52, 0x80, v112
	s_delay_alu instid0(VALU_DEP_1) | instskip(SKIP_2) | instid1(VALU_DEP_3)
	v_mad_i64_i32 v[48:49], null, v52, s14, 0
	v_mad_i64_i32 v[50:51], null, v52, s9, 0
	v_cmp_gt_i32_e64 s8, s17, v52
	v_lshlrev_b64 v[48:49], 2, v[48:49]
	s_delay_alu instid0(VALU_DEP_2) | instskip(NEXT) | instid1(VALU_DEP_3)
	s_and_b32 s16, s0, s8
	v_lshlrev_b64 v[50:51], 2, v[50:51]
	s_delay_alu instid0(VALU_DEP_2) | instskip(NEXT) | instid1(VALU_DEP_3)
	v_add_co_u32 v52, vcc_lo, s10, v48
	v_add_co_ci_u32_e32 v53, vcc_lo, s11, v49, vcc_lo
	s_delay_alu instid0(VALU_DEP_3) | instskip(NEXT) | instid1(VALU_DEP_4)
	v_add_co_u32 v50, vcc_lo, s12, v50
	v_add_co_ci_u32_e32 v51, vcc_lo, s13, v51, vcc_lo
	s_and_saveexec_b32 s15, s16
	s_cbranch_execnz .LBB19_221
; %bb.214:
	s_or_b32 exec_lo, exec_lo, s15
	s_and_b32 s16, s1, s8
	s_delay_alu instid0(SALU_CYCLE_1)
	s_and_saveexec_b32 s15, s16
	s_cbranch_execnz .LBB19_225
.LBB19_215:
	s_or_b32 exec_lo, exec_lo, s15
	s_and_b32 s16, s2, s8
	s_delay_alu instid0(SALU_CYCLE_1)
	s_and_saveexec_b32 s15, s16
	s_cbranch_execnz .LBB19_229
.LBB19_216:
	s_or_b32 exec_lo, exec_lo, s15
	s_and_b32 s16, s3, s8
	s_delay_alu instid0(SALU_CYCLE_1)
	s_and_saveexec_b32 s15, s16
	s_cbranch_execnz .LBB19_233
.LBB19_217:
	s_or_b32 exec_lo, exec_lo, s15
	s_and_b32 s16, s4, s8
	s_delay_alu instid0(SALU_CYCLE_1)
	s_and_saveexec_b32 s15, s16
	s_cbranch_execnz .LBB19_237
.LBB19_218:
	s_or_b32 exec_lo, exec_lo, s15
	s_and_b32 s16, s5, s8
	s_delay_alu instid0(SALU_CYCLE_1)
	s_and_saveexec_b32 s15, s16
	s_cbranch_execnz .LBB19_241
.LBB19_219:
	s_or_b32 exec_lo, exec_lo, s15
	s_and_b32 s16, s6, s8
	s_delay_alu instid0(SALU_CYCLE_1)
	s_and_saveexec_b32 s15, s16
	s_cbranch_execnz .LBB19_245
.LBB19_220:
	s_or_b32 exec_lo, exec_lo, s15
	s_and_b32 s15, s7, s8
	s_delay_alu instid0(SALU_CYCLE_1)
	s_and_saveexec_b32 s8, s15
	s_cbranch_execnz .LBB19_249
	s_branch .LBB19_253
.LBB19_221:
	v_cmp_ne_u32_e32 vcc_lo, 1, v105
	v_lshlrev_b64 v[48:49], 2, v[64:65]
	s_cbranch_vccnz .LBB19_223
; %bb.222:
	s_delay_alu instid0(VALU_DEP_1) | instskip(NEXT) | instid1(VALU_DEP_2)
	v_add_co_u32 v54, vcc_lo, v52, v48
	v_add_co_ci_u32_e32 v55, vcc_lo, v53, v49, vcc_lo
	flat_load_b32 v54, v[54:55]
	s_waitcnt vmcnt(0) lgkmcnt(0)
	v_mul_f32_e32 v54, s19, v54
	s_branch .LBB19_224
.LBB19_223:
	v_mov_b32_e32 v54, 0
.LBB19_224:
	v_dual_add_f32 v55, v33, v45 :: v_dual_add_f32 v56, v32, v44
	v_dual_add_f32 v57, v35, v47 :: v_dual_add_f32 v58, v34, v46
	s_delay_alu instid0(VALU_DEP_4) | instskip(NEXT) | instid1(VALU_DEP_3)
	v_add_co_u32 v48, vcc_lo, v50, v48
	v_min3_f32 v55, v56, v55, v115
	v_add_co_ci_u32_e32 v49, vcc_lo, v51, v49, vcc_lo
	s_delay_alu instid0(VALU_DEP_4) | instskip(NEXT) | instid1(VALU_DEP_1)
	v_min_f32_e32 v56, v58, v57
	v_min3_f32 v54, v54, v56, v55
	global_store_b32 v[48:49], v54, off
	s_or_b32 exec_lo, exec_lo, s15
	s_and_b32 s16, s1, s8
	s_delay_alu instid0(SALU_CYCLE_1)
	s_and_saveexec_b32 s15, s16
	s_cbranch_execz .LBB19_215
.LBB19_225:
	v_cmp_ne_u32_e32 vcc_lo, 1, v105
	v_lshlrev_b64 v[48:49], 2, v[66:67]
	s_cbranch_vccnz .LBB19_227
; %bb.226:
	s_delay_alu instid0(VALU_DEP_1) | instskip(NEXT) | instid1(VALU_DEP_2)
	v_add_co_u32 v54, vcc_lo, v52, v48
	v_add_co_ci_u32_e32 v55, vcc_lo, v53, v49, vcc_lo
	flat_load_b32 v54, v[54:55]
	s_waitcnt vmcnt(0) lgkmcnt(0)
	v_mul_f32_e32 v54, s19, v54
	s_branch .LBB19_228
.LBB19_227:
	v_mov_b32_e32 v54, 0
.LBB19_228:
	v_dual_add_f32 v55, v29, v45 :: v_dual_add_f32 v56, v28, v44
	v_dual_add_f32 v57, v31, v47 :: v_dual_add_f32 v58, v30, v46
	s_delay_alu instid0(VALU_DEP_4) | instskip(NEXT) | instid1(VALU_DEP_3)
	v_add_co_u32 v48, vcc_lo, v50, v48
	v_min3_f32 v55, v56, v55, v114
	v_add_co_ci_u32_e32 v49, vcc_lo, v51, v49, vcc_lo
	s_delay_alu instid0(VALU_DEP_4) | instskip(NEXT) | instid1(VALU_DEP_1)
	v_min_f32_e32 v56, v58, v57
	v_min3_f32 v54, v54, v56, v55
	global_store_b32 v[48:49], v54, off
	s_or_b32 exec_lo, exec_lo, s15
	s_and_b32 s16, s2, s8
	s_delay_alu instid0(SALU_CYCLE_1)
	s_and_saveexec_b32 s15, s16
	s_cbranch_execz .LBB19_216
.LBB19_229:
	v_cmp_ne_u32_e32 vcc_lo, 1, v105
	v_lshlrev_b64 v[48:49], 2, v[68:69]
	s_cbranch_vccnz .LBB19_231
; %bb.230:
	s_delay_alu instid0(VALU_DEP_1) | instskip(NEXT) | instid1(VALU_DEP_2)
	v_add_co_u32 v54, vcc_lo, v52, v48
	v_add_co_ci_u32_e32 v55, vcc_lo, v53, v49, vcc_lo
	flat_load_b32 v54, v[54:55]
	s_waitcnt vmcnt(0) lgkmcnt(0)
	v_mul_f32_e32 v54, s19, v54
	s_branch .LBB19_232
.LBB19_231:
	v_mov_b32_e32 v54, 0
.LBB19_232:
	v_dual_add_f32 v55, v25, v45 :: v_dual_add_f32 v56, v24, v44
	v_dual_add_f32 v57, v27, v47 :: v_dual_add_f32 v58, v26, v46
	s_delay_alu instid0(VALU_DEP_4) | instskip(NEXT) | instid1(VALU_DEP_3)
	v_add_co_u32 v48, vcc_lo, v50, v48
	v_min3_f32 v55, v56, v55, v113
	v_add_co_ci_u32_e32 v49, vcc_lo, v51, v49, vcc_lo
	s_delay_alu instid0(VALU_DEP_4) | instskip(NEXT) | instid1(VALU_DEP_1)
	v_min_f32_e32 v56, v58, v57
	v_min3_f32 v54, v54, v56, v55
	global_store_b32 v[48:49], v54, off
	s_or_b32 exec_lo, exec_lo, s15
	s_and_b32 s16, s3, s8
	s_delay_alu instid0(SALU_CYCLE_1)
	s_and_saveexec_b32 s15, s16
	s_cbranch_execz .LBB19_217
.LBB19_233:
	v_cmp_ne_u32_e32 vcc_lo, 1, v105
	v_lshlrev_b64 v[48:49], 2, v[70:71]
	s_cbranch_vccnz .LBB19_235
; %bb.234:
	s_delay_alu instid0(VALU_DEP_1) | instskip(NEXT) | instid1(VALU_DEP_2)
	v_add_co_u32 v54, vcc_lo, v52, v48
	v_add_co_ci_u32_e32 v55, vcc_lo, v53, v49, vcc_lo
	flat_load_b32 v54, v[54:55]
	s_waitcnt vmcnt(0) lgkmcnt(0)
	v_mul_f32_e32 v54, s19, v54
	s_branch .LBB19_236
.LBB19_235:
	v_mov_b32_e32 v54, 0
.LBB19_236:
	v_dual_add_f32 v55, v21, v45 :: v_dual_add_f32 v56, v20, v44
	v_dual_add_f32 v57, v23, v47 :: v_dual_add_f32 v58, v22, v46
	s_delay_alu instid0(VALU_DEP_4) | instskip(NEXT) | instid1(VALU_DEP_3)
	v_add_co_u32 v48, vcc_lo, v50, v48
	v_min3_f32 v55, v56, v55, v111
	v_add_co_ci_u32_e32 v49, vcc_lo, v51, v49, vcc_lo
	s_delay_alu instid0(VALU_DEP_4) | instskip(NEXT) | instid1(VALU_DEP_1)
	v_min_f32_e32 v56, v58, v57
	v_min3_f32 v54, v54, v56, v55
	global_store_b32 v[48:49], v54, off
	s_or_b32 exec_lo, exec_lo, s15
	s_and_b32 s16, s4, s8
	s_delay_alu instid0(SALU_CYCLE_1)
	s_and_saveexec_b32 s15, s16
	s_cbranch_execz .LBB19_218
.LBB19_237:
	v_cmp_ne_u32_e32 vcc_lo, 1, v105
	v_lshlrev_b64 v[48:49], 2, v[72:73]
	s_cbranch_vccnz .LBB19_239
; %bb.238:
	s_delay_alu instid0(VALU_DEP_1) | instskip(NEXT) | instid1(VALU_DEP_2)
	v_add_co_u32 v54, vcc_lo, v52, v48
	v_add_co_ci_u32_e32 v55, vcc_lo, v53, v49, vcc_lo
	flat_load_b32 v54, v[54:55]
	s_waitcnt vmcnt(0) lgkmcnt(0)
	v_mul_f32_e32 v54, s19, v54
	s_branch .LBB19_240
.LBB19_239:
	v_mov_b32_e32 v54, 0
.LBB19_240:
	v_dual_add_f32 v55, v17, v45 :: v_dual_add_f32 v56, v16, v44
	v_dual_add_f32 v57, v19, v47 :: v_dual_add_f32 v58, v18, v46
	s_delay_alu instid0(VALU_DEP_4) | instskip(NEXT) | instid1(VALU_DEP_3)
	v_add_co_u32 v48, vcc_lo, v50, v48
	v_min3_f32 v55, v56, v55, v110
	v_add_co_ci_u32_e32 v49, vcc_lo, v51, v49, vcc_lo
	s_delay_alu instid0(VALU_DEP_4) | instskip(NEXT) | instid1(VALU_DEP_1)
	v_min_f32_e32 v56, v58, v57
	v_min3_f32 v54, v54, v56, v55
	global_store_b32 v[48:49], v54, off
	s_or_b32 exec_lo, exec_lo, s15
	s_and_b32 s16, s5, s8
	s_delay_alu instid0(SALU_CYCLE_1)
	s_and_saveexec_b32 s15, s16
	s_cbranch_execz .LBB19_219
.LBB19_241:
	v_cmp_ne_u32_e32 vcc_lo, 1, v105
	v_lshlrev_b64 v[48:49], 2, v[74:75]
	s_cbranch_vccnz .LBB19_243
; %bb.242:
	s_delay_alu instid0(VALU_DEP_1) | instskip(NEXT) | instid1(VALU_DEP_2)
	v_add_co_u32 v54, vcc_lo, v52, v48
	v_add_co_ci_u32_e32 v55, vcc_lo, v53, v49, vcc_lo
	flat_load_b32 v54, v[54:55]
	s_waitcnt vmcnt(0) lgkmcnt(0)
	v_mul_f32_e32 v54, s19, v54
	s_branch .LBB19_244
.LBB19_243:
	v_mov_b32_e32 v54, 0
.LBB19_244:
	v_dual_add_f32 v55, v13, v45 :: v_dual_add_f32 v56, v12, v44
	v_dual_add_f32 v57, v15, v47 :: v_dual_add_f32 v58, v14, v46
	s_delay_alu instid0(VALU_DEP_4) | instskip(NEXT) | instid1(VALU_DEP_3)
	v_add_co_u32 v48, vcc_lo, v50, v48
	v_min3_f32 v55, v56, v55, v109
	v_add_co_ci_u32_e32 v49, vcc_lo, v51, v49, vcc_lo
	s_delay_alu instid0(VALU_DEP_4) | instskip(NEXT) | instid1(VALU_DEP_1)
	v_min_f32_e32 v56, v58, v57
	v_min3_f32 v54, v54, v56, v55
	global_store_b32 v[48:49], v54, off
	s_or_b32 exec_lo, exec_lo, s15
	s_and_b32 s16, s6, s8
	s_delay_alu instid0(SALU_CYCLE_1)
	s_and_saveexec_b32 s15, s16
	s_cbranch_execz .LBB19_220
.LBB19_245:
	v_cmp_ne_u32_e32 vcc_lo, 1, v105
	v_lshlrev_b64 v[48:49], 2, v[76:77]
	s_cbranch_vccnz .LBB19_247
; %bb.246:
	s_delay_alu instid0(VALU_DEP_1) | instskip(NEXT) | instid1(VALU_DEP_2)
	v_add_co_u32 v54, vcc_lo, v52, v48
	v_add_co_ci_u32_e32 v55, vcc_lo, v53, v49, vcc_lo
	flat_load_b32 v54, v[54:55]
	s_waitcnt vmcnt(0) lgkmcnt(0)
	v_mul_f32_e32 v54, s19, v54
	s_branch .LBB19_248
.LBB19_247:
	v_mov_b32_e32 v54, 0
.LBB19_248:
	v_dual_add_f32 v55, v9, v45 :: v_dual_add_f32 v56, v8, v44
	v_dual_add_f32 v57, v11, v47 :: v_dual_add_f32 v58, v10, v46
	s_delay_alu instid0(VALU_DEP_4) | instskip(NEXT) | instid1(VALU_DEP_3)
	v_add_co_u32 v48, vcc_lo, v50, v48
	v_min3_f32 v55, v56, v55, v108
	v_add_co_ci_u32_e32 v49, vcc_lo, v51, v49, vcc_lo
	s_delay_alu instid0(VALU_DEP_4) | instskip(NEXT) | instid1(VALU_DEP_1)
	v_min_f32_e32 v56, v58, v57
	v_min3_f32 v54, v54, v56, v55
	global_store_b32 v[48:49], v54, off
	s_or_b32 exec_lo, exec_lo, s15
	s_and_b32 s15, s7, s8
	s_delay_alu instid0(SALU_CYCLE_1)
	s_and_saveexec_b32 s8, s15
	s_cbranch_execz .LBB19_253
.LBB19_249:
	v_cmp_ne_u32_e32 vcc_lo, 1, v105
	v_lshlrev_b64 v[48:49], 2, v[78:79]
	s_cbranch_vccnz .LBB19_251
; %bb.250:
	s_delay_alu instid0(VALU_DEP_1) | instskip(NEXT) | instid1(VALU_DEP_2)
	v_add_co_u32 v52, vcc_lo, v52, v48
	v_add_co_ci_u32_e32 v53, vcc_lo, v53, v49, vcc_lo
	flat_load_b32 v52, v[52:53]
	s_waitcnt vmcnt(0) lgkmcnt(0)
	v_mul_f32_e32 v52, s19, v52
	s_branch .LBB19_252
.LBB19_251:
	v_mov_b32_e32 v52, 0
.LBB19_252:
	v_dual_add_f32 v45, v1, v45 :: v_dual_add_f32 v44, v0, v44
	v_dual_add_f32 v47, v3, v47 :: v_dual_add_f32 v46, v2, v46
	s_delay_alu instid0(VALU_DEP_2) | instskip(NEXT) | instid1(VALU_DEP_2)
	v_min3_f32 v44, v44, v45, v107
	v_min_f32_e32 v45, v46, v47
	s_delay_alu instid0(VALU_DEP_1)
	v_min3_f32 v46, v52, v45, v44
	v_add_co_u32 v44, vcc_lo, v50, v48
	v_add_co_ci_u32_e32 v45, vcc_lo, v51, v49, vcc_lo
	global_store_b32 v[44:45], v46, off
.LBB19_253:
	s_or_b32 exec_lo, exec_lo, s8
	v_add_nc_u32_e32 v48, 0xa0, v112
	s_delay_alu instid0(VALU_DEP_1) | instskip(SKIP_2) | instid1(VALU_DEP_3)
	v_mad_i64_i32 v[44:45], null, v48, s14, 0
	v_mad_i64_i32 v[46:47], null, v48, s9, 0
	v_cmp_gt_i32_e64 s8, s17, v48
	v_lshlrev_b64 v[44:45], 2, v[44:45]
	s_delay_alu instid0(VALU_DEP_2) | instskip(NEXT) | instid1(VALU_DEP_3)
	s_and_b32 s16, s0, s8
	v_lshlrev_b64 v[46:47], 2, v[46:47]
	s_delay_alu instid0(VALU_DEP_2) | instskip(NEXT) | instid1(VALU_DEP_3)
	v_add_co_u32 v48, vcc_lo, s10, v44
	v_add_co_ci_u32_e32 v49, vcc_lo, s11, v45, vcc_lo
	s_delay_alu instid0(VALU_DEP_3) | instskip(NEXT) | instid1(VALU_DEP_4)
	v_add_co_u32 v46, vcc_lo, s12, v46
	v_add_co_ci_u32_e32 v47, vcc_lo, s13, v47, vcc_lo
	s_and_saveexec_b32 s15, s16
	s_cbranch_execnz .LBB19_261
; %bb.254:
	s_or_b32 exec_lo, exec_lo, s15
	s_and_b32 s16, s1, s8
	s_delay_alu instid0(SALU_CYCLE_1)
	s_and_saveexec_b32 s15, s16
	s_cbranch_execnz .LBB19_265
.LBB19_255:
	s_or_b32 exec_lo, exec_lo, s15
	s_and_b32 s16, s2, s8
	s_delay_alu instid0(SALU_CYCLE_1)
	s_and_saveexec_b32 s15, s16
	s_cbranch_execnz .LBB19_269
.LBB19_256:
	s_or_b32 exec_lo, exec_lo, s15
	s_and_b32 s16, s3, s8
	s_delay_alu instid0(SALU_CYCLE_1)
	s_and_saveexec_b32 s15, s16
	s_cbranch_execnz .LBB19_273
.LBB19_257:
	s_or_b32 exec_lo, exec_lo, s15
	s_and_b32 s16, s4, s8
	s_delay_alu instid0(SALU_CYCLE_1)
	s_and_saveexec_b32 s15, s16
	s_cbranch_execnz .LBB19_277
.LBB19_258:
	s_or_b32 exec_lo, exec_lo, s15
	s_and_b32 s16, s5, s8
	s_delay_alu instid0(SALU_CYCLE_1)
	s_and_saveexec_b32 s15, s16
	s_cbranch_execnz .LBB19_281
.LBB19_259:
	s_or_b32 exec_lo, exec_lo, s15
	s_and_b32 s16, s6, s8
	s_delay_alu instid0(SALU_CYCLE_1)
	s_and_saveexec_b32 s15, s16
	s_cbranch_execnz .LBB19_285
.LBB19_260:
	s_or_b32 exec_lo, exec_lo, s15
	s_and_b32 s15, s7, s8
	s_delay_alu instid0(SALU_CYCLE_1)
	s_and_saveexec_b32 s8, s15
	s_cbranch_execnz .LBB19_289
	s_branch .LBB19_293
.LBB19_261:
	v_cmp_ne_u32_e32 vcc_lo, 1, v105
	v_lshlrev_b64 v[44:45], 2, v[64:65]
	s_cbranch_vccnz .LBB19_263
; %bb.262:
	s_delay_alu instid0(VALU_DEP_1) | instskip(NEXT) | instid1(VALU_DEP_2)
	v_add_co_u32 v50, vcc_lo, v48, v44
	v_add_co_ci_u32_e32 v51, vcc_lo, v49, v45, vcc_lo
	flat_load_b32 v50, v[50:51]
	s_waitcnt vmcnt(0) lgkmcnt(0)
	v_mul_f32_e32 v50, s19, v50
	s_branch .LBB19_264
.LBB19_263:
	v_mov_b32_e32 v50, 0
.LBB19_264:
	v_dual_add_f32 v51, v33, v41 :: v_dual_add_f32 v52, v32, v40
	v_dual_add_f32 v53, v35, v43 :: v_dual_add_f32 v54, v34, v42
	s_delay_alu instid0(VALU_DEP_4) | instskip(NEXT) | instid1(VALU_DEP_3)
	v_add_co_u32 v44, vcc_lo, v46, v44
	v_min3_f32 v51, v52, v51, v106
	v_add_co_ci_u32_e32 v45, vcc_lo, v47, v45, vcc_lo
	s_delay_alu instid0(VALU_DEP_4) | instskip(NEXT) | instid1(VALU_DEP_1)
	v_min_f32_e32 v52, v54, v53
	v_min3_f32 v50, v50, v52, v51
	global_store_b32 v[44:45], v50, off
	s_or_b32 exec_lo, exec_lo, s15
	s_and_b32 s16, s1, s8
	s_delay_alu instid0(SALU_CYCLE_1)
	s_and_saveexec_b32 s15, s16
	s_cbranch_execz .LBB19_255
.LBB19_265:
	v_cmp_ne_u32_e32 vcc_lo, 1, v105
	v_lshlrev_b64 v[44:45], 2, v[66:67]
	s_cbranch_vccnz .LBB19_267
; %bb.266:
	s_delay_alu instid0(VALU_DEP_1) | instskip(NEXT) | instid1(VALU_DEP_2)
	v_add_co_u32 v50, vcc_lo, v48, v44
	v_add_co_ci_u32_e32 v51, vcc_lo, v49, v45, vcc_lo
	flat_load_b32 v50, v[50:51]
	s_waitcnt vmcnt(0) lgkmcnt(0)
	v_mul_f32_e32 v50, s19, v50
	s_branch .LBB19_268
.LBB19_267:
	v_mov_b32_e32 v50, 0
.LBB19_268:
	v_dual_add_f32 v51, v29, v41 :: v_dual_add_f32 v52, v28, v40
	v_dual_add_f32 v53, v31, v43 :: v_dual_add_f32 v54, v30, v42
	s_delay_alu instid0(VALU_DEP_4) | instskip(NEXT) | instid1(VALU_DEP_3)
	v_add_co_u32 v44, vcc_lo, v46, v44
	v_min3_f32 v51, v52, v51, v104
	v_add_co_ci_u32_e32 v45, vcc_lo, v47, v45, vcc_lo
	s_delay_alu instid0(VALU_DEP_4) | instskip(NEXT) | instid1(VALU_DEP_1)
	v_min_f32_e32 v52, v54, v53
	v_min3_f32 v50, v50, v52, v51
	global_store_b32 v[44:45], v50, off
	s_or_b32 exec_lo, exec_lo, s15
	s_and_b32 s16, s2, s8
	s_delay_alu instid0(SALU_CYCLE_1)
	s_and_saveexec_b32 s15, s16
	s_cbranch_execz .LBB19_256
.LBB19_269:
	v_cmp_ne_u32_e32 vcc_lo, 1, v105
	v_lshlrev_b64 v[44:45], 2, v[68:69]
	s_cbranch_vccnz .LBB19_271
; %bb.270:
	s_delay_alu instid0(VALU_DEP_1) | instskip(NEXT) | instid1(VALU_DEP_2)
	v_add_co_u32 v50, vcc_lo, v48, v44
	v_add_co_ci_u32_e32 v51, vcc_lo, v49, v45, vcc_lo
	flat_load_b32 v50, v[50:51]
	s_waitcnt vmcnt(0) lgkmcnt(0)
	v_mul_f32_e32 v50, s19, v50
	s_branch .LBB19_272
.LBB19_271:
	v_mov_b32_e32 v50, 0
.LBB19_272:
	v_dual_add_f32 v51, v25, v41 :: v_dual_add_f32 v52, v24, v40
	v_dual_add_f32 v53, v27, v43 :: v_dual_add_f32 v54, v26, v42
	s_delay_alu instid0(VALU_DEP_4) | instskip(NEXT) | instid1(VALU_DEP_3)
	v_add_co_u32 v44, vcc_lo, v46, v44
	v_min3_f32 v51, v52, v51, v103
	v_add_co_ci_u32_e32 v45, vcc_lo, v47, v45, vcc_lo
	s_delay_alu instid0(VALU_DEP_4) | instskip(NEXT) | instid1(VALU_DEP_1)
	v_min_f32_e32 v52, v54, v53
	v_min3_f32 v50, v50, v52, v51
	global_store_b32 v[44:45], v50, off
	s_or_b32 exec_lo, exec_lo, s15
	s_and_b32 s16, s3, s8
	s_delay_alu instid0(SALU_CYCLE_1)
	s_and_saveexec_b32 s15, s16
	s_cbranch_execz .LBB19_257
.LBB19_273:
	v_cmp_ne_u32_e32 vcc_lo, 1, v105
	v_lshlrev_b64 v[44:45], 2, v[70:71]
	s_cbranch_vccnz .LBB19_275
; %bb.274:
	s_delay_alu instid0(VALU_DEP_1) | instskip(NEXT) | instid1(VALU_DEP_2)
	v_add_co_u32 v50, vcc_lo, v48, v44
	v_add_co_ci_u32_e32 v51, vcc_lo, v49, v45, vcc_lo
	flat_load_b32 v50, v[50:51]
	s_waitcnt vmcnt(0) lgkmcnt(0)
	v_mul_f32_e32 v50, s19, v50
	s_branch .LBB19_276
.LBB19_275:
	v_mov_b32_e32 v50, 0
.LBB19_276:
	v_dual_add_f32 v51, v21, v41 :: v_dual_add_f32 v52, v20, v40
	v_dual_add_f32 v53, v23, v43 :: v_dual_add_f32 v54, v22, v42
	s_delay_alu instid0(VALU_DEP_4) | instskip(NEXT) | instid1(VALU_DEP_3)
	v_add_co_u32 v44, vcc_lo, v46, v44
	v_min3_f32 v51, v52, v51, v102
	v_add_co_ci_u32_e32 v45, vcc_lo, v47, v45, vcc_lo
	s_delay_alu instid0(VALU_DEP_4) | instskip(NEXT) | instid1(VALU_DEP_1)
	v_min_f32_e32 v52, v54, v53
	v_min3_f32 v50, v50, v52, v51
	global_store_b32 v[44:45], v50, off
	s_or_b32 exec_lo, exec_lo, s15
	s_and_b32 s16, s4, s8
	s_delay_alu instid0(SALU_CYCLE_1)
	s_and_saveexec_b32 s15, s16
	s_cbranch_execz .LBB19_258
.LBB19_277:
	v_cmp_ne_u32_e32 vcc_lo, 1, v105
	v_lshlrev_b64 v[44:45], 2, v[72:73]
	s_cbranch_vccnz .LBB19_279
; %bb.278:
	s_delay_alu instid0(VALU_DEP_1) | instskip(NEXT) | instid1(VALU_DEP_2)
	v_add_co_u32 v50, vcc_lo, v48, v44
	v_add_co_ci_u32_e32 v51, vcc_lo, v49, v45, vcc_lo
	flat_load_b32 v50, v[50:51]
	s_waitcnt vmcnt(0) lgkmcnt(0)
	v_mul_f32_e32 v50, s19, v50
	s_branch .LBB19_280
.LBB19_279:
	v_mov_b32_e32 v50, 0
.LBB19_280:
	v_dual_add_f32 v51, v17, v41 :: v_dual_add_f32 v52, v16, v40
	v_dual_add_f32 v53, v19, v43 :: v_dual_add_f32 v54, v18, v42
	s_delay_alu instid0(VALU_DEP_4) | instskip(NEXT) | instid1(VALU_DEP_3)
	v_add_co_u32 v44, vcc_lo, v46, v44
	v_min3_f32 v51, v52, v51, v101
	v_add_co_ci_u32_e32 v45, vcc_lo, v47, v45, vcc_lo
	s_delay_alu instid0(VALU_DEP_4) | instskip(NEXT) | instid1(VALU_DEP_1)
	v_min_f32_e32 v52, v54, v53
	v_min3_f32 v50, v50, v52, v51
	global_store_b32 v[44:45], v50, off
	s_or_b32 exec_lo, exec_lo, s15
	s_and_b32 s16, s5, s8
	s_delay_alu instid0(SALU_CYCLE_1)
	s_and_saveexec_b32 s15, s16
	s_cbranch_execz .LBB19_259
.LBB19_281:
	v_cmp_ne_u32_e32 vcc_lo, 1, v105
	v_lshlrev_b64 v[44:45], 2, v[74:75]
	s_cbranch_vccnz .LBB19_283
; %bb.282:
	s_delay_alu instid0(VALU_DEP_1) | instskip(NEXT) | instid1(VALU_DEP_2)
	v_add_co_u32 v50, vcc_lo, v48, v44
	v_add_co_ci_u32_e32 v51, vcc_lo, v49, v45, vcc_lo
	flat_load_b32 v50, v[50:51]
	s_waitcnt vmcnt(0) lgkmcnt(0)
	v_mul_f32_e32 v50, s19, v50
	s_branch .LBB19_284
.LBB19_283:
	v_mov_b32_e32 v50, 0
.LBB19_284:
	v_dual_add_f32 v51, v13, v41 :: v_dual_add_f32 v52, v12, v40
	v_dual_add_f32 v53, v15, v43 :: v_dual_add_f32 v54, v14, v42
	s_delay_alu instid0(VALU_DEP_4) | instskip(NEXT) | instid1(VALU_DEP_3)
	v_add_co_u32 v44, vcc_lo, v46, v44
	v_min3_f32 v51, v52, v51, v100
	v_add_co_ci_u32_e32 v45, vcc_lo, v47, v45, vcc_lo
	s_delay_alu instid0(VALU_DEP_4) | instskip(NEXT) | instid1(VALU_DEP_1)
	v_min_f32_e32 v52, v54, v53
	v_min3_f32 v50, v50, v52, v51
	global_store_b32 v[44:45], v50, off
	s_or_b32 exec_lo, exec_lo, s15
	s_and_b32 s16, s6, s8
	s_delay_alu instid0(SALU_CYCLE_1)
	s_and_saveexec_b32 s15, s16
	s_cbranch_execz .LBB19_260
.LBB19_285:
	v_cmp_ne_u32_e32 vcc_lo, 1, v105
	v_lshlrev_b64 v[44:45], 2, v[76:77]
	s_cbranch_vccnz .LBB19_287
; %bb.286:
	s_delay_alu instid0(VALU_DEP_1) | instskip(NEXT) | instid1(VALU_DEP_2)
	v_add_co_u32 v50, vcc_lo, v48, v44
	v_add_co_ci_u32_e32 v51, vcc_lo, v49, v45, vcc_lo
	flat_load_b32 v50, v[50:51]
	s_waitcnt vmcnt(0) lgkmcnt(0)
	v_mul_f32_e32 v50, s19, v50
	s_branch .LBB19_288
.LBB19_287:
	v_mov_b32_e32 v50, 0
.LBB19_288:
	v_dual_add_f32 v51, v9, v41 :: v_dual_add_f32 v52, v8, v40
	v_dual_add_f32 v53, v11, v43 :: v_dual_add_f32 v54, v10, v42
	s_delay_alu instid0(VALU_DEP_4) | instskip(NEXT) | instid1(VALU_DEP_3)
	v_add_co_u32 v44, vcc_lo, v46, v44
	v_min3_f32 v51, v52, v51, v99
	v_add_co_ci_u32_e32 v45, vcc_lo, v47, v45, vcc_lo
	s_delay_alu instid0(VALU_DEP_4) | instskip(NEXT) | instid1(VALU_DEP_1)
	v_min_f32_e32 v52, v54, v53
	v_min3_f32 v50, v50, v52, v51
	global_store_b32 v[44:45], v50, off
	s_or_b32 exec_lo, exec_lo, s15
	s_and_b32 s15, s7, s8
	s_delay_alu instid0(SALU_CYCLE_1)
	s_and_saveexec_b32 s8, s15
	s_cbranch_execz .LBB19_293
.LBB19_289:
	v_cmp_ne_u32_e32 vcc_lo, 1, v105
	v_lshlrev_b64 v[44:45], 2, v[78:79]
	s_cbranch_vccnz .LBB19_291
; %bb.290:
	s_delay_alu instid0(VALU_DEP_1) | instskip(NEXT) | instid1(VALU_DEP_2)
	v_add_co_u32 v48, vcc_lo, v48, v44
	v_add_co_ci_u32_e32 v49, vcc_lo, v49, v45, vcc_lo
	flat_load_b32 v48, v[48:49]
	s_waitcnt vmcnt(0) lgkmcnt(0)
	v_mul_f32_e32 v48, s19, v48
	s_branch .LBB19_292
.LBB19_291:
	v_mov_b32_e32 v48, 0
.LBB19_292:
	v_dual_add_f32 v41, v1, v41 :: v_dual_add_f32 v40, v0, v40
	v_dual_add_f32 v43, v3, v43 :: v_dual_add_f32 v42, v2, v42
	s_delay_alu instid0(VALU_DEP_2) | instskip(NEXT) | instid1(VALU_DEP_2)
	v_min3_f32 v40, v40, v41, v98
	v_min_f32_e32 v41, v42, v43
	s_delay_alu instid0(VALU_DEP_1)
	v_min3_f32 v42, v48, v41, v40
	v_add_co_u32 v40, vcc_lo, v46, v44
	v_add_co_ci_u32_e32 v41, vcc_lo, v47, v45, vcc_lo
	global_store_b32 v[40:41], v42, off
.LBB19_293:
	s_or_b32 exec_lo, exec_lo, s8
	v_add_nc_u32_e32 v44, 0xc0, v112
	s_delay_alu instid0(VALU_DEP_1) | instskip(SKIP_2) | instid1(VALU_DEP_3)
	v_mad_i64_i32 v[40:41], null, v44, s14, 0
	v_mad_i64_i32 v[42:43], null, v44, s9, 0
	v_cmp_gt_i32_e64 s8, s17, v44
	v_lshlrev_b64 v[40:41], 2, v[40:41]
	s_delay_alu instid0(VALU_DEP_2) | instskip(NEXT) | instid1(VALU_DEP_3)
	s_and_b32 s16, s0, s8
	v_lshlrev_b64 v[42:43], 2, v[42:43]
	s_delay_alu instid0(VALU_DEP_2) | instskip(NEXT) | instid1(VALU_DEP_3)
	v_add_co_u32 v44, vcc_lo, s10, v40
	v_add_co_ci_u32_e32 v45, vcc_lo, s11, v41, vcc_lo
	s_delay_alu instid0(VALU_DEP_3) | instskip(NEXT) | instid1(VALU_DEP_4)
	v_add_co_u32 v42, vcc_lo, s12, v42
	v_add_co_ci_u32_e32 v43, vcc_lo, s13, v43, vcc_lo
	s_and_saveexec_b32 s15, s16
	s_cbranch_execnz .LBB19_301
; %bb.294:
	s_or_b32 exec_lo, exec_lo, s15
	s_and_b32 s16, s1, s8
	s_delay_alu instid0(SALU_CYCLE_1)
	s_and_saveexec_b32 s15, s16
	s_cbranch_execnz .LBB19_305
.LBB19_295:
	s_or_b32 exec_lo, exec_lo, s15
	s_and_b32 s16, s2, s8
	s_delay_alu instid0(SALU_CYCLE_1)
	s_and_saveexec_b32 s15, s16
	s_cbranch_execnz .LBB19_309
.LBB19_296:
	s_or_b32 exec_lo, exec_lo, s15
	s_and_b32 s16, s3, s8
	s_delay_alu instid0(SALU_CYCLE_1)
	s_and_saveexec_b32 s15, s16
	s_cbranch_execnz .LBB19_313
.LBB19_297:
	s_or_b32 exec_lo, exec_lo, s15
	s_and_b32 s16, s4, s8
	s_delay_alu instid0(SALU_CYCLE_1)
	s_and_saveexec_b32 s15, s16
	s_cbranch_execnz .LBB19_317
.LBB19_298:
	s_or_b32 exec_lo, exec_lo, s15
	s_and_b32 s16, s5, s8
	s_delay_alu instid0(SALU_CYCLE_1)
	s_and_saveexec_b32 s15, s16
	s_cbranch_execnz .LBB19_321
.LBB19_299:
	s_or_b32 exec_lo, exec_lo, s15
	s_and_b32 s16, s6, s8
	s_delay_alu instid0(SALU_CYCLE_1)
	s_and_saveexec_b32 s15, s16
	s_cbranch_execnz .LBB19_325
.LBB19_300:
	s_or_b32 exec_lo, exec_lo, s15
	s_and_b32 s15, s7, s8
	s_delay_alu instid0(SALU_CYCLE_1)
	s_and_saveexec_b32 s8, s15
	s_cbranch_execnz .LBB19_329
	s_branch .LBB19_333
.LBB19_301:
	v_cmp_ne_u32_e32 vcc_lo, 1, v105
	v_lshlrev_b64 v[40:41], 2, v[64:65]
	s_cbranch_vccnz .LBB19_303
; %bb.302:
	s_delay_alu instid0(VALU_DEP_1) | instskip(NEXT) | instid1(VALU_DEP_2)
	v_add_co_u32 v46, vcc_lo, v44, v40
	v_add_co_ci_u32_e32 v47, vcc_lo, v45, v41, vcc_lo
	flat_load_b32 v46, v[46:47]
	s_waitcnt vmcnt(0) lgkmcnt(0)
	v_mul_f32_e32 v46, s19, v46
	s_branch .LBB19_304
.LBB19_303:
	v_mov_b32_e32 v46, 0
.LBB19_304:
	v_dual_add_f32 v47, v33, v37 :: v_dual_add_f32 v48, v32, v36
	v_dual_add_f32 v49, v35, v39 :: v_dual_add_f32 v50, v34, v38
	s_delay_alu instid0(VALU_DEP_4) | instskip(NEXT) | instid1(VALU_DEP_3)
	v_add_co_u32 v40, vcc_lo, v42, v40
	v_min3_f32 v47, v48, v47, v97
	v_add_co_ci_u32_e32 v41, vcc_lo, v43, v41, vcc_lo
	s_delay_alu instid0(VALU_DEP_4) | instskip(NEXT) | instid1(VALU_DEP_1)
	v_min_f32_e32 v48, v50, v49
	v_min3_f32 v46, v46, v48, v47
	global_store_b32 v[40:41], v46, off
	s_or_b32 exec_lo, exec_lo, s15
	s_and_b32 s16, s1, s8
	s_delay_alu instid0(SALU_CYCLE_1)
	s_and_saveexec_b32 s15, s16
	s_cbranch_execz .LBB19_295
.LBB19_305:
	v_cmp_ne_u32_e32 vcc_lo, 1, v105
	v_lshlrev_b64 v[40:41], 2, v[66:67]
	s_cbranch_vccnz .LBB19_307
; %bb.306:
	s_delay_alu instid0(VALU_DEP_1) | instskip(NEXT) | instid1(VALU_DEP_2)
	v_add_co_u32 v46, vcc_lo, v44, v40
	v_add_co_ci_u32_e32 v47, vcc_lo, v45, v41, vcc_lo
	flat_load_b32 v46, v[46:47]
	s_waitcnt vmcnt(0) lgkmcnt(0)
	v_mul_f32_e32 v46, s19, v46
	s_branch .LBB19_308
.LBB19_307:
	v_mov_b32_e32 v46, 0
.LBB19_308:
	v_dual_add_f32 v47, v29, v37 :: v_dual_add_f32 v48, v28, v36
	v_dual_add_f32 v49, v31, v39 :: v_dual_add_f32 v50, v30, v38
	s_delay_alu instid0(VALU_DEP_4) | instskip(NEXT) | instid1(VALU_DEP_3)
	v_add_co_u32 v40, vcc_lo, v42, v40
	v_min3_f32 v47, v48, v47, v96
	v_add_co_ci_u32_e32 v41, vcc_lo, v43, v41, vcc_lo
	s_delay_alu instid0(VALU_DEP_4) | instskip(NEXT) | instid1(VALU_DEP_1)
	v_min_f32_e32 v48, v50, v49
	v_min3_f32 v46, v46, v48, v47
	global_store_b32 v[40:41], v46, off
	s_or_b32 exec_lo, exec_lo, s15
	s_and_b32 s16, s2, s8
	s_delay_alu instid0(SALU_CYCLE_1)
	s_and_saveexec_b32 s15, s16
	s_cbranch_execz .LBB19_296
.LBB19_309:
	v_cmp_ne_u32_e32 vcc_lo, 1, v105
	v_lshlrev_b64 v[40:41], 2, v[68:69]
	s_cbranch_vccnz .LBB19_311
; %bb.310:
	s_delay_alu instid0(VALU_DEP_1) | instskip(NEXT) | instid1(VALU_DEP_2)
	v_add_co_u32 v46, vcc_lo, v44, v40
	v_add_co_ci_u32_e32 v47, vcc_lo, v45, v41, vcc_lo
	flat_load_b32 v46, v[46:47]
	s_waitcnt vmcnt(0) lgkmcnt(0)
	v_mul_f32_e32 v46, s19, v46
	s_branch .LBB19_312
.LBB19_311:
	v_mov_b32_e32 v46, 0
.LBB19_312:
	v_dual_add_f32 v47, v25, v37 :: v_dual_add_f32 v48, v24, v36
	v_dual_add_f32 v49, v27, v39 :: v_dual_add_f32 v50, v26, v38
	s_delay_alu instid0(VALU_DEP_4) | instskip(NEXT) | instid1(VALU_DEP_3)
	v_add_co_u32 v40, vcc_lo, v42, v40
	v_min3_f32 v47, v48, v47, v95
	v_add_co_ci_u32_e32 v41, vcc_lo, v43, v41, vcc_lo
	s_delay_alu instid0(VALU_DEP_4) | instskip(NEXT) | instid1(VALU_DEP_1)
	v_min_f32_e32 v48, v50, v49
	v_min3_f32 v46, v46, v48, v47
	global_store_b32 v[40:41], v46, off
	s_or_b32 exec_lo, exec_lo, s15
	s_and_b32 s16, s3, s8
	s_delay_alu instid0(SALU_CYCLE_1)
	s_and_saveexec_b32 s15, s16
	s_cbranch_execz .LBB19_297
.LBB19_313:
	v_cmp_ne_u32_e32 vcc_lo, 1, v105
	v_lshlrev_b64 v[40:41], 2, v[70:71]
	s_cbranch_vccnz .LBB19_315
; %bb.314:
	s_delay_alu instid0(VALU_DEP_1) | instskip(NEXT) | instid1(VALU_DEP_2)
	v_add_co_u32 v46, vcc_lo, v44, v40
	v_add_co_ci_u32_e32 v47, vcc_lo, v45, v41, vcc_lo
	flat_load_b32 v46, v[46:47]
	s_waitcnt vmcnt(0) lgkmcnt(0)
	v_mul_f32_e32 v46, s19, v46
	s_branch .LBB19_316
.LBB19_315:
	v_mov_b32_e32 v46, 0
.LBB19_316:
	v_dual_add_f32 v47, v21, v37 :: v_dual_add_f32 v48, v20, v36
	v_dual_add_f32 v49, v23, v39 :: v_dual_add_f32 v50, v22, v38
	s_delay_alu instid0(VALU_DEP_4) | instskip(NEXT) | instid1(VALU_DEP_3)
	v_add_co_u32 v40, vcc_lo, v42, v40
	v_min3_f32 v47, v48, v47, v94
	v_add_co_ci_u32_e32 v41, vcc_lo, v43, v41, vcc_lo
	s_delay_alu instid0(VALU_DEP_4) | instskip(NEXT) | instid1(VALU_DEP_1)
	v_min_f32_e32 v48, v50, v49
	v_min3_f32 v46, v46, v48, v47
	global_store_b32 v[40:41], v46, off
	s_or_b32 exec_lo, exec_lo, s15
	s_and_b32 s16, s4, s8
	s_delay_alu instid0(SALU_CYCLE_1)
	s_and_saveexec_b32 s15, s16
	s_cbranch_execz .LBB19_298
.LBB19_317:
	v_cmp_ne_u32_e32 vcc_lo, 1, v105
	v_lshlrev_b64 v[40:41], 2, v[72:73]
	s_cbranch_vccnz .LBB19_319
; %bb.318:
	s_delay_alu instid0(VALU_DEP_1) | instskip(NEXT) | instid1(VALU_DEP_2)
	v_add_co_u32 v46, vcc_lo, v44, v40
	v_add_co_ci_u32_e32 v47, vcc_lo, v45, v41, vcc_lo
	flat_load_b32 v46, v[46:47]
	s_waitcnt vmcnt(0) lgkmcnt(0)
	v_mul_f32_e32 v46, s19, v46
	s_branch .LBB19_320
.LBB19_319:
	v_mov_b32_e32 v46, 0
.LBB19_320:
	v_dual_add_f32 v47, v17, v37 :: v_dual_add_f32 v48, v16, v36
	v_dual_add_f32 v49, v19, v39 :: v_dual_add_f32 v50, v18, v38
	s_delay_alu instid0(VALU_DEP_4) | instskip(NEXT) | instid1(VALU_DEP_3)
	v_add_co_u32 v40, vcc_lo, v42, v40
	v_min3_f32 v47, v48, v47, v93
	v_add_co_ci_u32_e32 v41, vcc_lo, v43, v41, vcc_lo
	s_delay_alu instid0(VALU_DEP_4) | instskip(NEXT) | instid1(VALU_DEP_1)
	v_min_f32_e32 v48, v50, v49
	v_min3_f32 v46, v46, v48, v47
	global_store_b32 v[40:41], v46, off
	s_or_b32 exec_lo, exec_lo, s15
	s_and_b32 s16, s5, s8
	s_delay_alu instid0(SALU_CYCLE_1)
	s_and_saveexec_b32 s15, s16
	s_cbranch_execz .LBB19_299
.LBB19_321:
	v_cmp_ne_u32_e32 vcc_lo, 1, v105
	v_lshlrev_b64 v[40:41], 2, v[74:75]
	s_cbranch_vccnz .LBB19_323
; %bb.322:
	s_delay_alu instid0(VALU_DEP_1) | instskip(NEXT) | instid1(VALU_DEP_2)
	v_add_co_u32 v46, vcc_lo, v44, v40
	v_add_co_ci_u32_e32 v47, vcc_lo, v45, v41, vcc_lo
	flat_load_b32 v46, v[46:47]
	s_waitcnt vmcnt(0) lgkmcnt(0)
	v_mul_f32_e32 v46, s19, v46
	s_branch .LBB19_324
.LBB19_323:
	v_mov_b32_e32 v46, 0
.LBB19_324:
	v_dual_add_f32 v47, v13, v37 :: v_dual_add_f32 v48, v12, v36
	v_dual_add_f32 v49, v15, v39 :: v_dual_add_f32 v50, v14, v38
	s_delay_alu instid0(VALU_DEP_4) | instskip(NEXT) | instid1(VALU_DEP_3)
	v_add_co_u32 v40, vcc_lo, v42, v40
	v_min3_f32 v47, v48, v47, v92
	v_add_co_ci_u32_e32 v41, vcc_lo, v43, v41, vcc_lo
	s_delay_alu instid0(VALU_DEP_4) | instskip(NEXT) | instid1(VALU_DEP_1)
	v_min_f32_e32 v48, v50, v49
	v_min3_f32 v46, v46, v48, v47
	global_store_b32 v[40:41], v46, off
	s_or_b32 exec_lo, exec_lo, s15
	s_and_b32 s16, s6, s8
	s_delay_alu instid0(SALU_CYCLE_1)
	s_and_saveexec_b32 s15, s16
	s_cbranch_execz .LBB19_300
.LBB19_325:
	v_cmp_ne_u32_e32 vcc_lo, 1, v105
	v_lshlrev_b64 v[40:41], 2, v[76:77]
	s_cbranch_vccnz .LBB19_327
; %bb.326:
	s_delay_alu instid0(VALU_DEP_1) | instskip(NEXT) | instid1(VALU_DEP_2)
	v_add_co_u32 v46, vcc_lo, v44, v40
	v_add_co_ci_u32_e32 v47, vcc_lo, v45, v41, vcc_lo
	flat_load_b32 v46, v[46:47]
	s_waitcnt vmcnt(0) lgkmcnt(0)
	v_mul_f32_e32 v46, s19, v46
	s_branch .LBB19_328
.LBB19_327:
	v_mov_b32_e32 v46, 0
.LBB19_328:
	v_dual_add_f32 v47, v9, v37 :: v_dual_add_f32 v48, v8, v36
	v_dual_add_f32 v49, v11, v39 :: v_dual_add_f32 v50, v10, v38
	s_delay_alu instid0(VALU_DEP_4) | instskip(NEXT) | instid1(VALU_DEP_3)
	v_add_co_u32 v40, vcc_lo, v42, v40
	v_min3_f32 v47, v48, v47, v91
	v_add_co_ci_u32_e32 v41, vcc_lo, v43, v41, vcc_lo
	s_delay_alu instid0(VALU_DEP_4) | instskip(NEXT) | instid1(VALU_DEP_1)
	v_min_f32_e32 v48, v50, v49
	v_min3_f32 v46, v46, v48, v47
	global_store_b32 v[40:41], v46, off
	s_or_b32 exec_lo, exec_lo, s15
	s_and_b32 s15, s7, s8
	s_delay_alu instid0(SALU_CYCLE_1)
	s_and_saveexec_b32 s8, s15
	s_cbranch_execz .LBB19_333
.LBB19_329:
	v_cmp_ne_u32_e32 vcc_lo, 1, v105
	v_lshlrev_b64 v[40:41], 2, v[78:79]
	s_cbranch_vccnz .LBB19_331
; %bb.330:
	s_delay_alu instid0(VALU_DEP_1) | instskip(NEXT) | instid1(VALU_DEP_2)
	v_add_co_u32 v44, vcc_lo, v44, v40
	v_add_co_ci_u32_e32 v45, vcc_lo, v45, v41, vcc_lo
	flat_load_b32 v44, v[44:45]
	s_waitcnt vmcnt(0) lgkmcnt(0)
	v_mul_f32_e32 v44, s19, v44
	s_branch .LBB19_332
.LBB19_331:
	v_mov_b32_e32 v44, 0
.LBB19_332:
	v_dual_add_f32 v37, v1, v37 :: v_dual_add_f32 v36, v0, v36
	v_dual_add_f32 v39, v3, v39 :: v_dual_add_f32 v38, v2, v38
	s_delay_alu instid0(VALU_DEP_2) | instskip(NEXT) | instid1(VALU_DEP_2)
	v_min3_f32 v36, v36, v37, v90
	v_min_f32_e32 v37, v38, v39
	s_delay_alu instid0(VALU_DEP_1)
	v_min3_f32 v38, v44, v37, v36
	v_add_co_u32 v36, vcc_lo, v42, v40
	v_add_co_ci_u32_e32 v37, vcc_lo, v43, v41, vcc_lo
	global_store_b32 v[36:37], v38, off
.LBB19_333:
	s_or_b32 exec_lo, exec_lo, s8
	v_add_nc_u32_e32 v40, 0xe0, v112
	s_delay_alu instid0(VALU_DEP_1) | instskip(SKIP_2) | instid1(VALU_DEP_3)
	v_mad_i64_i32 v[36:37], null, v40, s14, 0
	v_mad_i64_i32 v[38:39], null, v40, s9, 0
	v_cmp_gt_i32_e64 s8, s17, v40
	v_lshlrev_b64 v[36:37], 2, v[36:37]
	s_delay_alu instid0(VALU_DEP_2) | instskip(NEXT) | instid1(VALU_DEP_3)
	s_and_b32 s9, s0, s8
	v_lshlrev_b64 v[38:39], 2, v[38:39]
	s_delay_alu instid0(VALU_DEP_2) | instskip(NEXT) | instid1(VALU_DEP_3)
	v_add_co_u32 v40, vcc_lo, s10, v36
	v_add_co_ci_u32_e32 v41, vcc_lo, s11, v37, vcc_lo
	s_delay_alu instid0(VALU_DEP_3) | instskip(NEXT) | instid1(VALU_DEP_4)
	v_add_co_u32 v38, vcc_lo, s12, v38
	v_add_co_ci_u32_e32 v39, vcc_lo, s13, v39, vcc_lo
	s_and_saveexec_b32 s0, s9
	s_cbranch_execnz .LBB19_342
; %bb.334:
	s_or_b32 exec_lo, exec_lo, s0
	s_and_b32 s1, s1, s8
	s_delay_alu instid0(SALU_CYCLE_1)
	s_and_saveexec_b32 s0, s1
	s_cbranch_execnz .LBB19_346
.LBB19_335:
	s_or_b32 exec_lo, exec_lo, s0
	s_and_b32 s1, s2, s8
	s_delay_alu instid0(SALU_CYCLE_1)
	s_and_saveexec_b32 s0, s1
	s_cbranch_execnz .LBB19_350
.LBB19_336:
	s_or_b32 exec_lo, exec_lo, s0
	s_and_b32 s1, s3, s8
	s_delay_alu instid0(SALU_CYCLE_1)
	s_and_saveexec_b32 s0, s1
	s_cbranch_execnz .LBB19_354
.LBB19_337:
	s_or_b32 exec_lo, exec_lo, s0
	s_and_b32 s1, s4, s8
	s_delay_alu instid0(SALU_CYCLE_1)
	s_and_saveexec_b32 s0, s1
	s_cbranch_execnz .LBB19_358
.LBB19_338:
	s_or_b32 exec_lo, exec_lo, s0
	s_and_b32 s1, s5, s8
	s_delay_alu instid0(SALU_CYCLE_1)
	s_and_saveexec_b32 s0, s1
	s_cbranch_execnz .LBB19_362
.LBB19_339:
	s_or_b32 exec_lo, exec_lo, s0
	s_and_b32 s1, s6, s8
	s_delay_alu instid0(SALU_CYCLE_1)
	s_and_saveexec_b32 s0, s1
	s_cbranch_execnz .LBB19_366
.LBB19_340:
	s_or_b32 exec_lo, exec_lo, s0
	s_and_b32 s0, s7, s8
	s_delay_alu instid0(SALU_CYCLE_1)
	s_and_saveexec_b32 s1, s0
	s_cbranch_execnz .LBB19_370
.LBB19_341:
	s_nop 0
	s_sendmsg sendmsg(MSG_DEALLOC_VGPRS)
	s_endpgm
.LBB19_342:
	v_cmp_ne_u32_e32 vcc_lo, 1, v105
	v_lshlrev_b64 v[36:37], 2, v[64:65]
	s_cbranch_vccnz .LBB19_344
; %bb.343:
	s_delay_alu instid0(VALU_DEP_1) | instskip(NEXT) | instid1(VALU_DEP_2)
	v_add_co_u32 v42, vcc_lo, v40, v36
	v_add_co_ci_u32_e32 v43, vcc_lo, v41, v37, vcc_lo
	flat_load_b32 v42, v[42:43]
	s_waitcnt vmcnt(0) lgkmcnt(0)
	v_mul_f32_e32 v42, s19, v42
	s_branch .LBB19_345
.LBB19_344:
	v_mov_b32_e32 v42, 0
.LBB19_345:
	v_dual_add_f32 v33, v33, v5 :: v_dual_add_f32 v32, v32, v4
	v_dual_add_f32 v35, v35, v7 :: v_dual_add_f32 v34, v34, v6
	s_delay_alu instid0(VALU_DEP_2) | instskip(NEXT) | instid1(VALU_DEP_2)
	v_min3_f32 v32, v32, v33, v89
	v_min_f32_e32 v33, v34, v35
	s_delay_alu instid0(VALU_DEP_1)
	v_min3_f32 v34, v42, v33, v32
	v_add_co_u32 v32, vcc_lo, v38, v36
	v_add_co_ci_u32_e32 v33, vcc_lo, v39, v37, vcc_lo
	global_store_b32 v[32:33], v34, off
	s_or_b32 exec_lo, exec_lo, s0
	s_and_b32 s1, s1, s8
	s_delay_alu instid0(SALU_CYCLE_1)
	s_and_saveexec_b32 s0, s1
	s_cbranch_execz .LBB19_335
.LBB19_346:
	v_cmp_ne_u32_e32 vcc_lo, 1, v105
	v_lshlrev_b64 v[32:33], 2, v[66:67]
	s_cbranch_vccnz .LBB19_348
; %bb.347:
	s_delay_alu instid0(VALU_DEP_1) | instskip(NEXT) | instid1(VALU_DEP_2)
	v_add_co_u32 v34, vcc_lo, v40, v32
	v_add_co_ci_u32_e32 v35, vcc_lo, v41, v33, vcc_lo
	flat_load_b32 v34, v[34:35]
	s_waitcnt vmcnt(0) lgkmcnt(0)
	v_mul_f32_e32 v34, s19, v34
	s_branch .LBB19_349
.LBB19_348:
	v_mov_b32_e32 v34, 0
.LBB19_349:
	v_dual_add_f32 v29, v29, v5 :: v_dual_add_f32 v28, v28, v4
	v_dual_add_f32 v31, v31, v7 :: v_dual_add_f32 v30, v30, v6
	s_delay_alu instid0(VALU_DEP_2) | instskip(NEXT) | instid1(VALU_DEP_2)
	v_min3_f32 v28, v28, v29, v88
	v_min_f32_e32 v29, v30, v31
	s_delay_alu instid0(VALU_DEP_1)
	v_min3_f32 v30, v34, v29, v28
	v_add_co_u32 v28, vcc_lo, v38, v32
	v_add_co_ci_u32_e32 v29, vcc_lo, v39, v33, vcc_lo
	global_store_b32 v[28:29], v30, off
	s_or_b32 exec_lo, exec_lo, s0
	s_and_b32 s1, s2, s8
	s_delay_alu instid0(SALU_CYCLE_1)
	s_and_saveexec_b32 s0, s1
	s_cbranch_execz .LBB19_336
.LBB19_350:
	v_cmp_ne_u32_e32 vcc_lo, 1, v105
	v_lshlrev_b64 v[28:29], 2, v[68:69]
	s_cbranch_vccnz .LBB19_352
; %bb.351:
	s_delay_alu instid0(VALU_DEP_1) | instskip(NEXT) | instid1(VALU_DEP_2)
	v_add_co_u32 v30, vcc_lo, v40, v28
	v_add_co_ci_u32_e32 v31, vcc_lo, v41, v29, vcc_lo
	flat_load_b32 v30, v[30:31]
	s_waitcnt vmcnt(0) lgkmcnt(0)
	v_mul_f32_e32 v30, s19, v30
	s_branch .LBB19_353
.LBB19_352:
	v_mov_b32_e32 v30, 0
.LBB19_353:
	v_dual_add_f32 v25, v25, v5 :: v_dual_add_f32 v24, v24, v4
	v_dual_add_f32 v27, v27, v7 :: v_dual_add_f32 v26, v26, v6
	s_delay_alu instid0(VALU_DEP_2) | instskip(NEXT) | instid1(VALU_DEP_2)
	v_min3_f32 v24, v24, v25, v87
	v_min_f32_e32 v25, v26, v27
	s_delay_alu instid0(VALU_DEP_1)
	v_min3_f32 v26, v30, v25, v24
	v_add_co_u32 v24, vcc_lo, v38, v28
	v_add_co_ci_u32_e32 v25, vcc_lo, v39, v29, vcc_lo
	global_store_b32 v[24:25], v26, off
	s_or_b32 exec_lo, exec_lo, s0
	s_and_b32 s1, s3, s8
	s_delay_alu instid0(SALU_CYCLE_1)
	s_and_saveexec_b32 s0, s1
	s_cbranch_execz .LBB19_337
.LBB19_354:
	v_cmp_ne_u32_e32 vcc_lo, 1, v105
	v_lshlrev_b64 v[24:25], 2, v[70:71]
	s_cbranch_vccnz .LBB19_356
; %bb.355:
	s_delay_alu instid0(VALU_DEP_1) | instskip(NEXT) | instid1(VALU_DEP_2)
	v_add_co_u32 v26, vcc_lo, v40, v24
	v_add_co_ci_u32_e32 v27, vcc_lo, v41, v25, vcc_lo
	flat_load_b32 v26, v[26:27]
	s_waitcnt vmcnt(0) lgkmcnt(0)
	v_mul_f32_e32 v26, s19, v26
	s_branch .LBB19_357
.LBB19_356:
	v_mov_b32_e32 v26, 0
.LBB19_357:
	v_dual_add_f32 v21, v21, v5 :: v_dual_add_f32 v20, v20, v4
	v_dual_add_f32 v23, v23, v7 :: v_dual_add_f32 v22, v22, v6
	s_delay_alu instid0(VALU_DEP_2) | instskip(NEXT) | instid1(VALU_DEP_2)
	v_min3_f32 v20, v20, v21, v86
	v_min_f32_e32 v21, v22, v23
	s_delay_alu instid0(VALU_DEP_1)
	v_min3_f32 v22, v26, v21, v20
	v_add_co_u32 v20, vcc_lo, v38, v24
	v_add_co_ci_u32_e32 v21, vcc_lo, v39, v25, vcc_lo
	global_store_b32 v[20:21], v22, off
	s_or_b32 exec_lo, exec_lo, s0
	s_and_b32 s1, s4, s8
	s_delay_alu instid0(SALU_CYCLE_1)
	s_and_saveexec_b32 s0, s1
	s_cbranch_execz .LBB19_338
.LBB19_358:
	v_cmp_ne_u32_e32 vcc_lo, 1, v105
	v_lshlrev_b64 v[20:21], 2, v[72:73]
	s_cbranch_vccnz .LBB19_360
; %bb.359:
	s_delay_alu instid0(VALU_DEP_1) | instskip(NEXT) | instid1(VALU_DEP_2)
	v_add_co_u32 v22, vcc_lo, v40, v20
	v_add_co_ci_u32_e32 v23, vcc_lo, v41, v21, vcc_lo
	flat_load_b32 v22, v[22:23]
	s_waitcnt vmcnt(0) lgkmcnt(0)
	v_mul_f32_e32 v22, s19, v22
	s_branch .LBB19_361
.LBB19_360:
	v_mov_b32_e32 v22, 0
.LBB19_361:
	v_dual_add_f32 v17, v17, v5 :: v_dual_add_f32 v16, v16, v4
	v_dual_add_f32 v19, v19, v7 :: v_dual_add_f32 v18, v18, v6
	s_delay_alu instid0(VALU_DEP_2) | instskip(NEXT) | instid1(VALU_DEP_2)
	v_min3_f32 v16, v16, v17, v85
	v_min_f32_e32 v17, v18, v19
	s_delay_alu instid0(VALU_DEP_1)
	v_min3_f32 v18, v22, v17, v16
	v_add_co_u32 v16, vcc_lo, v38, v20
	v_add_co_ci_u32_e32 v17, vcc_lo, v39, v21, vcc_lo
	global_store_b32 v[16:17], v18, off
	s_or_b32 exec_lo, exec_lo, s0
	s_and_b32 s1, s5, s8
	s_delay_alu instid0(SALU_CYCLE_1)
	s_and_saveexec_b32 s0, s1
	s_cbranch_execz .LBB19_339
.LBB19_362:
	v_cmp_ne_u32_e32 vcc_lo, 1, v105
	v_lshlrev_b64 v[16:17], 2, v[74:75]
	s_cbranch_vccnz .LBB19_364
; %bb.363:
	s_delay_alu instid0(VALU_DEP_1) | instskip(NEXT) | instid1(VALU_DEP_2)
	v_add_co_u32 v18, vcc_lo, v40, v16
	v_add_co_ci_u32_e32 v19, vcc_lo, v41, v17, vcc_lo
	flat_load_b32 v18, v[18:19]
	s_waitcnt vmcnt(0) lgkmcnt(0)
	v_mul_f32_e32 v18, s19, v18
	s_branch .LBB19_365
.LBB19_364:
	v_mov_b32_e32 v18, 0
.LBB19_365:
	v_dual_add_f32 v13, v13, v5 :: v_dual_add_f32 v12, v12, v4
	v_dual_add_f32 v15, v15, v7 :: v_dual_add_f32 v14, v14, v6
	s_delay_alu instid0(VALU_DEP_2) | instskip(NEXT) | instid1(VALU_DEP_2)
	v_min3_f32 v12, v12, v13, v84
	v_min_f32_e32 v13, v14, v15
	s_delay_alu instid0(VALU_DEP_1)
	v_min3_f32 v14, v18, v13, v12
	v_add_co_u32 v12, vcc_lo, v38, v16
	v_add_co_ci_u32_e32 v13, vcc_lo, v39, v17, vcc_lo
	global_store_b32 v[12:13], v14, off
	s_or_b32 exec_lo, exec_lo, s0
	s_and_b32 s1, s6, s8
	s_delay_alu instid0(SALU_CYCLE_1)
	s_and_saveexec_b32 s0, s1
	s_cbranch_execz .LBB19_340
.LBB19_366:
	v_cmp_ne_u32_e32 vcc_lo, 1, v105
	v_lshlrev_b64 v[12:13], 2, v[76:77]
	s_cbranch_vccnz .LBB19_368
; %bb.367:
	s_delay_alu instid0(VALU_DEP_1) | instskip(NEXT) | instid1(VALU_DEP_2)
	v_add_co_u32 v14, vcc_lo, v40, v12
	v_add_co_ci_u32_e32 v15, vcc_lo, v41, v13, vcc_lo
	flat_load_b32 v14, v[14:15]
	s_waitcnt vmcnt(0) lgkmcnt(0)
	v_mul_f32_e32 v14, s19, v14
	s_branch .LBB19_369
.LBB19_368:
	v_mov_b32_e32 v14, 0
.LBB19_369:
	v_dual_add_f32 v9, v9, v5 :: v_dual_add_f32 v8, v8, v4
	v_dual_add_f32 v11, v11, v7 :: v_dual_add_f32 v10, v10, v6
	s_delay_alu instid0(VALU_DEP_2) | instskip(NEXT) | instid1(VALU_DEP_2)
	v_min3_f32 v8, v8, v9, v83
	v_min_f32_e32 v9, v10, v11
	s_delay_alu instid0(VALU_DEP_1)
	v_min3_f32 v10, v14, v9, v8
	v_add_co_u32 v8, vcc_lo, v38, v12
	v_add_co_ci_u32_e32 v9, vcc_lo, v39, v13, vcc_lo
	global_store_b32 v[8:9], v10, off
	s_or_b32 exec_lo, exec_lo, s0
	s_and_b32 s0, s7, s8
	s_delay_alu instid0(SALU_CYCLE_1)
	s_and_saveexec_b32 s1, s0
	s_cbranch_execz .LBB19_341
.LBB19_370:
	v_cmp_ne_u32_e32 vcc_lo, 1, v105
	v_lshlrev_b64 v[8:9], 2, v[78:79]
	s_cbranch_vccnz .LBB19_372
; %bb.371:
	s_delay_alu instid0(VALU_DEP_1) | instskip(NEXT) | instid1(VALU_DEP_2)
	v_add_co_u32 v10, vcc_lo, v40, v8
	v_add_co_ci_u32_e32 v11, vcc_lo, v41, v9, vcc_lo
	flat_load_b32 v10, v[10:11]
	s_waitcnt vmcnt(0) lgkmcnt(0)
	v_mul_f32_e32 v10, s19, v10
	s_branch .LBB19_373
.LBB19_372:
	v_mov_b32_e32 v10, 0
.LBB19_373:
	v_dual_add_f32 v1, v1, v5 :: v_dual_add_f32 v0, v0, v4
	v_dual_add_f32 v3, v3, v7 :: v_dual_add_f32 v2, v2, v6
	s_delay_alu instid0(VALU_DEP_2) | instskip(NEXT) | instid1(VALU_DEP_2)
	v_min3_f32 v0, v0, v1, v82
	v_min_f32_e32 v1, v2, v3
	s_delay_alu instid0(VALU_DEP_1)
	v_min3_f32 v2, v10, v1, v0
	v_add_co_u32 v0, vcc_lo, v38, v8
	v_add_co_ci_u32_e32 v1, vcc_lo, v39, v9, vcc_lo
	global_store_b32 v[0:1], v2, off
	s_nop 0
	s_sendmsg sendmsg(MSG_DEALLOC_VGPRS)
	s_endpgm
	.section	.rodata,"a",@progbits
	.p2align	6, 0x0
	.amdhsa_kernel _ZN12_GLOBAL__N_120geam_min_plus_kernelIf15HIP_vector_typeIfLj2EEfLi8ELi32ELi64ELi256ELi4ELi64ELi4ELi64ELi4ELc78ELc84ELb1ELb1ELb1EfKPKfKPfEEviiiT16_PT17_ilSA_ilS8_SA_ilPT18_ili26rocblas_geam_ex_operation_
		.amdhsa_group_segment_fixed_size 10240
		.amdhsa_private_segment_fixed_size 144
		.amdhsa_kernarg_size 128
		.amdhsa_user_sgpr_count 14
		.amdhsa_user_sgpr_dispatch_ptr 0
		.amdhsa_user_sgpr_queue_ptr 0
		.amdhsa_user_sgpr_kernarg_segment_ptr 1
		.amdhsa_user_sgpr_dispatch_id 0
		.amdhsa_user_sgpr_private_segment_size 0
		.amdhsa_wavefront_size32 1
		.amdhsa_uses_dynamic_stack 0
		.amdhsa_enable_private_segment 1
		.amdhsa_system_sgpr_workgroup_id_x 1
		.amdhsa_system_sgpr_workgroup_id_y 0
		.amdhsa_system_sgpr_workgroup_id_z 1
		.amdhsa_system_sgpr_workgroup_info 0
		.amdhsa_system_vgpr_workitem_id 1
		.amdhsa_next_free_vgpr 256
		.amdhsa_next_free_sgpr 28
		.amdhsa_reserve_vcc 1
		.amdhsa_float_round_mode_32 0
		.amdhsa_float_round_mode_16_64 0
		.amdhsa_float_denorm_mode_32 3
		.amdhsa_float_denorm_mode_16_64 3
		.amdhsa_dx10_clamp 1
		.amdhsa_ieee_mode 1
		.amdhsa_fp16_overflow 0
		.amdhsa_workgroup_processor_mode 1
		.amdhsa_memory_ordered 1
		.amdhsa_forward_progress 0
		.amdhsa_shared_vgpr_count 0
		.amdhsa_exception_fp_ieee_invalid_op 0
		.amdhsa_exception_fp_denorm_src 0
		.amdhsa_exception_fp_ieee_div_zero 0
		.amdhsa_exception_fp_ieee_overflow 0
		.amdhsa_exception_fp_ieee_underflow 0
		.amdhsa_exception_fp_ieee_inexact 0
		.amdhsa_exception_int_div_zero 0
	.end_amdhsa_kernel
	.section	.text._ZN12_GLOBAL__N_120geam_min_plus_kernelIf15HIP_vector_typeIfLj2EEfLi8ELi32ELi64ELi256ELi4ELi64ELi4ELi64ELi4ELc78ELc84ELb1ELb1ELb1EfKPKfKPfEEviiiT16_PT17_ilSA_ilS8_SA_ilPT18_ili26rocblas_geam_ex_operation_,"axG",@progbits,_ZN12_GLOBAL__N_120geam_min_plus_kernelIf15HIP_vector_typeIfLj2EEfLi8ELi32ELi64ELi256ELi4ELi64ELi4ELi64ELi4ELc78ELc84ELb1ELb1ELb1EfKPKfKPfEEviiiT16_PT17_ilSA_ilS8_SA_ilPT18_ili26rocblas_geam_ex_operation_,comdat
.Lfunc_end19:
	.size	_ZN12_GLOBAL__N_120geam_min_plus_kernelIf15HIP_vector_typeIfLj2EEfLi8ELi32ELi64ELi256ELi4ELi64ELi4ELi64ELi4ELc78ELc84ELb1ELb1ELb1EfKPKfKPfEEviiiT16_PT17_ilSA_ilS8_SA_ilPT18_ili26rocblas_geam_ex_operation_, .Lfunc_end19-_ZN12_GLOBAL__N_120geam_min_plus_kernelIf15HIP_vector_typeIfLj2EEfLi8ELi32ELi64ELi256ELi4ELi64ELi4ELi64ELi4ELc78ELc84ELb1ELb1ELb1EfKPKfKPfEEviiiT16_PT17_ilSA_ilS8_SA_ilPT18_ili26rocblas_geam_ex_operation_
                                        ; -- End function
	.section	.AMDGPU.csdata,"",@progbits
; Kernel info:
; codeLenInByte = 21400
; NumSgprs: 30
; NumVgprs: 256
; ScratchSize: 144
; MemoryBound: 0
; FloatMode: 240
; IeeeMode: 1
; LDSByteSize: 10240 bytes/workgroup (compile time only)
; SGPRBlocks: 3
; VGPRBlocks: 31
; NumSGPRsForWavesPerEU: 30
; NumVGPRsForWavesPerEU: 256
; Occupancy: 5
; WaveLimiterHint : 1
; COMPUTE_PGM_RSRC2:SCRATCH_EN: 1
; COMPUTE_PGM_RSRC2:USER_SGPR: 14
; COMPUTE_PGM_RSRC2:TRAP_HANDLER: 0
; COMPUTE_PGM_RSRC2:TGID_X_EN: 1
; COMPUTE_PGM_RSRC2:TGID_Y_EN: 0
; COMPUTE_PGM_RSRC2:TGID_Z_EN: 1
; COMPUTE_PGM_RSRC2:TIDIG_COMP_CNT: 1
	.section	.text._ZN12_GLOBAL__N_120geam_min_plus_kernelIf15HIP_vector_typeIfLj2EEfLi8ELi32ELi64ELi256ELi4ELi64ELi4ELi64ELi4ELc78ELc84ELb0ELb1ELb1EfKPKfKPfEEviiiT16_PT17_ilSA_ilS8_SA_ilPT18_ili26rocblas_geam_ex_operation_,"axG",@progbits,_ZN12_GLOBAL__N_120geam_min_plus_kernelIf15HIP_vector_typeIfLj2EEfLi8ELi32ELi64ELi256ELi4ELi64ELi4ELi64ELi4ELc78ELc84ELb0ELb1ELb1EfKPKfKPfEEviiiT16_PT17_ilSA_ilS8_SA_ilPT18_ili26rocblas_geam_ex_operation_,comdat
	.globl	_ZN12_GLOBAL__N_120geam_min_plus_kernelIf15HIP_vector_typeIfLj2EEfLi8ELi32ELi64ELi256ELi4ELi64ELi4ELi64ELi4ELc78ELc84ELb0ELb1ELb1EfKPKfKPfEEviiiT16_PT17_ilSA_ilS8_SA_ilPT18_ili26rocblas_geam_ex_operation_ ; -- Begin function _ZN12_GLOBAL__N_120geam_min_plus_kernelIf15HIP_vector_typeIfLj2EEfLi8ELi32ELi64ELi256ELi4ELi64ELi4ELi64ELi4ELc78ELc84ELb0ELb1ELb1EfKPKfKPfEEviiiT16_PT17_ilSA_ilS8_SA_ilPT18_ili26rocblas_geam_ex_operation_
	.p2align	8
	.type	_ZN12_GLOBAL__N_120geam_min_plus_kernelIf15HIP_vector_typeIfLj2EEfLi8ELi32ELi64ELi256ELi4ELi64ELi4ELi64ELi4ELc78ELc84ELb0ELb1ELb1EfKPKfKPfEEviiiT16_PT17_ilSA_ilS8_SA_ilPT18_ili26rocblas_geam_ex_operation_,@function
_ZN12_GLOBAL__N_120geam_min_plus_kernelIf15HIP_vector_typeIfLj2EEfLi8ELi32ELi64ELi256ELi4ELi64ELi4ELi64ELi4ELc78ELc84ELb0ELb1ELb1EfKPKfKPfEEviiiT16_PT17_ilSA_ilS8_SA_ilPT18_ili26rocblas_geam_ex_operation_: ; @_ZN12_GLOBAL__N_120geam_min_plus_kernelIf15HIP_vector_typeIfLj2EEfLi8ELi32ELi64ELi256ELi4ELi64ELi4ELi64ELi4ELc78ELc84ELb0ELb1ELb1EfKPKfKPfEEviiiT16_PT17_ilSA_ilS8_SA_ilPT18_ili26rocblas_geam_ex_operation_
; %bb.0:
	s_clause 0x1
	s_load_b128 s[16:19], s[0:1], 0x0
	s_load_b128 s[4:7], s[0:1], 0x20
	s_mov_b32 s2, s15
	s_mov_b32 s3, 0
	s_mov_b64 s[20:21], 0
	s_waitcnt lgkmcnt(0)
	v_cmp_eq_f32_e64 s27, s19, 0
	v_cmp_neq_f32_e64 s8, s19, 0
	s_delay_alu instid0(VALU_DEP_2)
	s_and_b32 vcc_lo, exec_lo, s27
	s_cbranch_vccnz .LBB20_2
; %bb.1:
	s_load_b64 s[10:11], s[0:1], 0x10
	s_lshl_b64 s[12:13], s[2:3], 3
	s_waitcnt lgkmcnt(0)
	s_add_u32 s10, s10, s12
	s_addc_u32 s11, s11, s13
	s_lshl_b64 s[4:5], s[4:5], 2
	s_load_b64 s[10:11], s[10:11], 0x0
	s_waitcnt lgkmcnt(0)
	s_add_u32 s20, s10, s4
	s_addc_u32 s21, s11, s5
.LBB20_2:
	s_delay_alu instid0(VALU_DEP_1)
	s_and_b32 vcc_lo, exec_lo, s8
	s_cbranch_vccz .LBB20_4
; %bb.3:
	s_lshl_b64 s[4:5], s[2:3], 3
	s_load_b64 s[8:9], s[0:1], 0x38
	s_add_u32 s4, s6, s4
	s_addc_u32 s5, s7, s5
	s_load_b64 s[4:5], s[4:5], 0x0
	s_waitcnt lgkmcnt(0)
	s_lshl_b64 s[6:7], s[8:9], 2
	s_delay_alu instid0(SALU_CYCLE_1)
	s_add_u32 s8, s4, s6
	s_addc_u32 s9, s5, s7
	s_and_not1_b32 vcc_lo, exec_lo, s3
	s_cbranch_vccz .LBB20_5
	s_branch .LBB20_6
.LBB20_4:
	s_mov_b32 s3, -1
                                        ; implicit-def: $sgpr8_sgpr9
.LBB20_5:
	s_mov_b32 s3, 0
	s_mov_b64 s[8:9], 0
.LBB20_6:
	s_clause 0x1
	s_load_b32 s24, s[0:1], 0x40
	s_load_b128 s[4:7], s[0:1], 0x58
	s_waitcnt lgkmcnt(0)
	v_cmp_eq_f32_e64 s10, s24, 0
	v_cmp_neq_f32_e64 s25, s24, 0
	s_delay_alu instid0(VALU_DEP_2)
	s_and_b32 vcc_lo, exec_lo, s10
	s_cbranch_vccnz .LBB20_8
; %bb.7:
	s_load_b64 s[10:11], s[0:1], 0x48
	s_lshl_b64 s[12:13], s[2:3], 3
	s_waitcnt lgkmcnt(0)
	s_add_u32 s10, s10, s12
	s_addc_u32 s11, s11, s13
	s_lshl_b64 s[4:5], s[4:5], 2
	s_load_b64 s[10:11], s[10:11], 0x0
	s_waitcnt lgkmcnt(0)
	s_add_u32 s10, s10, s4
	s_addc_u32 s11, s11, s5
	s_branch .LBB20_9
.LBB20_8:
	s_mov_b64 s[10:11], 0
.LBB20_9:
	s_load_b32 s22, s[0:1], 0x18
	s_lshl_b64 s[2:3], s[2:3], 3
	v_and_b32_e32 v24, 0x3ff, v0
	v_bfe_u32 v25, v0, 10, 10
	s_waitcnt lgkmcnt(0)
	s_ashr_i32 s23, s22, 31
	s_add_u32 s4, s6, s2
	s_addc_u32 s5, s7, s3
	s_add_i32 s2, s16, -1
	s_delay_alu instid0(SALU_CYCLE_1) | instskip(NEXT) | instid1(SALU_CYCLE_1)
	s_ashr_i32 s3, s2, 31
	s_lshr_b32 s3, s3, 26
	s_delay_alu instid0(SALU_CYCLE_1) | instskip(NEXT) | instid1(SALU_CYCLE_1)
	s_add_i32 s3, s2, s3
	s_ashr_i32 s3, s3, 6
	s_delay_alu instid0(SALU_CYCLE_1) | instskip(SKIP_2) | instid1(VALU_DEP_1)
	s_add_i32 s6, s3, 1
	s_not_b32 s3, s3
	v_cvt_f32_u32_e32 v1, s6
	v_rcp_iflag_f32_e32 v1, v1
	s_waitcnt_depctr 0xfff
	v_mul_f32_e32 v1, 0x4f7ffffe, v1
	s_delay_alu instid0(VALU_DEP_1) | instskip(NEXT) | instid1(VALU_DEP_1)
	v_cvt_u32_f32_e32 v1, v1
	v_readfirstlane_b32 s7, v1
	v_lshl_add_u32 v1, v25, 3, v24
	s_delay_alu instid0(VALU_DEP_2) | instskip(NEXT) | instid1(VALU_DEP_1)
	s_mul_i32 s3, s3, s7
	v_and_b32_e32 v0, 63, v1
	s_mul_hi_u32 s3, s7, s3
	v_lshrrev_b32_e32 v72, 6, v1
	s_add_i32 s7, s7, s3
	s_delay_alu instid0(SALU_CYCLE_1) | instskip(NEXT) | instid1(SALU_CYCLE_1)
	s_mul_hi_u32 s3, s14, s7
	s_mul_i32 s7, s3, s6
	s_add_i32 s12, s3, 1
	s_sub_i32 s7, s14, s7
	s_delay_alu instid0(SALU_CYCLE_1)
	s_sub_i32 s13, s7, s6
	s_cmp_ge_u32 s7, s6
	s_cselect_b32 s3, s12, s3
	s_cselect_b32 s7, s13, s7
	s_add_i32 s12, s3, 1
	s_cmp_ge_u32 s7, s6
	s_cselect_b32 s3, s12, s3
	s_load_b64 s[12:13], s[4:5], 0x0
	s_mul_i32 s6, s3, s6
	s_add_i32 s29, s18, -1
	s_sub_i32 s6, s14, s6
	v_min_i32_e32 v2, s29, v72
	s_lshl_b32 s26, s6, 6
	v_cmp_le_i32_e64 s6, s18, v72
	v_or_b32_e32 v1, s26, v0
	s_delay_alu instid0(VALU_DEP_3) | instskip(NEXT) | instid1(VALU_DEP_2)
	v_ashrrev_i32_e32 v3, 31, v2
	v_cmp_le_i32_e32 vcc_lo, s16, v1
	v_min_i32_e32 v20, s2, v1
                                        ; implicit-def: $vgpr1
	s_or_b32 s4, vcc_lo, s6
	s_delay_alu instid0(VALU_DEP_1) | instskip(SKIP_1) | instid1(SALU_CYCLE_1)
	v_ashrrev_i32_e32 v21, 31, v20
	s_or_b32 s2, s27, s4
	s_xor_b32 s2, s2, -1
	s_delay_alu instid0(SALU_CYCLE_1) | instskip(NEXT) | instid1(SALU_CYCLE_1)
	s_and_saveexec_b32 s5, s2
	s_xor_b32 s5, exec_lo, s5
	s_cbranch_execz .LBB20_11
; %bb.10:
	v_mad_i64_i32 v[4:5], null, s22, v2, 0
	v_lshlrev_b64 v[6:7], 2, v[20:21]
	s_delay_alu instid0(VALU_DEP_2) | instskip(NEXT) | instid1(VALU_DEP_1)
	v_lshlrev_b64 v[4:5], 2, v[4:5]
	v_add_co_u32 v1, s2, s20, v4
	s_delay_alu instid0(VALU_DEP_1) | instskip(NEXT) | instid1(VALU_DEP_2)
	v_add_co_ci_u32_e64 v5, s2, s21, v5, s2
	v_add_co_u32 v4, s2, v1, v6
	s_delay_alu instid0(VALU_DEP_1)
	v_add_co_ci_u32_e64 v5, s2, v5, v7, s2
	flat_load_b32 v1, v[4:5]
	s_waitcnt vmcnt(0) lgkmcnt(0)
	v_mul_f32_e32 v1, s19, v1
.LBB20_11:
	s_and_not1_saveexec_b32 s2, s5
; %bb.12:
	v_cndmask_b32_e64 v1, 0, 0x7f7fffff, s4
; %bb.13:
	s_or_b32 exec_lo, exec_lo, s2
	s_load_b32 s30, s[0:1], 0x30
	s_lshl_b32 s28, s3, 8
	s_delay_alu instid0(SALU_CYCLE_1) | instskip(NEXT) | instid1(VALU_DEP_1)
	v_or_b32_e32 v22, s28, v0
	v_cmp_le_i32_e64 s2, s17, v22
	v_ashrrev_i32_e32 v23, 31, v22
	s_delay_alu instid0(VALU_DEP_2)
	s_or_b32 s4, s2, s6
	s_waitcnt lgkmcnt(0)
	s_ashr_i32 s14, s30, 31
	v_mul_lo_u32 v5, v3, s30
	v_mad_u64_u32 v[3:4], null, v2, s30, 0
	v_mul_lo_u32 v2, v2, s14
	s_delay_alu instid0(VALU_DEP_1) | instskip(SKIP_1) | instid1(VALU_DEP_2)
	v_add3_u32 v4, v4, v2, v5
	v_cndmask_b32_e64 v2, 0, 0x7f7fffff, s4
	v_lshlrev_b64 v[3:4], 2, v[3:4]
	s_delay_alu instid0(VALU_DEP_1) | instskip(NEXT) | instid1(VALU_DEP_1)
	v_add_co_u32 v6, s3, s8, v3
	v_add_co_ci_u32_e64 v7, s3, s9, v4, s3
	s_or_b32 s3, s27, s4
	s_delay_alu instid0(SALU_CYCLE_1) | instskip(NEXT) | instid1(SALU_CYCLE_1)
	s_xor_b32 s3, s3, -1
	s_and_saveexec_b32 s4, s3
	s_cbranch_execz .LBB20_15
; %bb.14:
	v_lshlrev_b64 v[2:3], 2, v[22:23]
	s_delay_alu instid0(VALU_DEP_1) | instskip(NEXT) | instid1(VALU_DEP_1)
	v_add_co_u32 v2, s3, v6, v2
	v_add_co_ci_u32_e64 v3, s3, v7, v3, s3
	flat_load_b32 v2, v[2:3]
	s_waitcnt vmcnt(0) lgkmcnt(0)
	v_mul_f32_e32 v2, s19, v2
.LBB20_15:
	s_or_b32 exec_lo, exec_lo, s4
	v_or_b32_e32 v3, 64, v22
	s_delay_alu instid0(VALU_DEP_1) | instskip(NEXT) | instid1(VALU_DEP_1)
	v_cmp_le_i32_e64 s3, s17, v3
	s_or_b32 s4, s3, s6
	s_delay_alu instid0(SALU_CYCLE_1) | instskip(SKIP_1) | instid1(SALU_CYCLE_1)
	v_cndmask_b32_e64 v3, 0, 0x7f7fffff, s4
	s_or_b32 s4, s27, s4
	s_xor_b32 s4, s4, -1
	s_delay_alu instid0(SALU_CYCLE_1)
	s_and_saveexec_b32 s5, s4
	s_cbranch_execz .LBB20_17
; %bb.16:
	v_lshlrev_b64 v[3:4], 2, v[22:23]
	s_delay_alu instid0(VALU_DEP_1) | instskip(NEXT) | instid1(VALU_DEP_1)
	v_add_co_u32 v3, s4, v6, v3
	v_add_co_ci_u32_e64 v4, s4, v7, v4, s4
	flat_load_b32 v3, v[3:4] offset:256
	s_waitcnt vmcnt(0) lgkmcnt(0)
	v_mul_f32_e32 v3, s19, v3
.LBB20_17:
	s_or_b32 exec_lo, exec_lo, s5
	v_or_b32_e32 v4, 0x80, v22
	s_delay_alu instid0(VALU_DEP_1) | instskip(NEXT) | instid1(VALU_DEP_1)
	v_cmp_le_i32_e64 s4, s17, v4
	s_or_b32 s5, s4, s6
	s_delay_alu instid0(SALU_CYCLE_1) | instskip(SKIP_1) | instid1(SALU_CYCLE_1)
	v_cndmask_b32_e64 v4, 0, 0x7f7fffff, s5
	s_or_b32 s5, s27, s5
	s_xor_b32 s5, s5, -1
	s_delay_alu instid0(SALU_CYCLE_1)
	s_and_saveexec_b32 s7, s5
	s_cbranch_execz .LBB20_19
; %bb.18:
	v_lshlrev_b64 v[4:5], 2, v[22:23]
	s_delay_alu instid0(VALU_DEP_1) | instskip(NEXT) | instid1(VALU_DEP_1)
	v_add_co_u32 v4, s5, v6, v4
	v_add_co_ci_u32_e64 v5, s5, v7, v5, s5
	flat_load_b32 v4, v[4:5] offset:512
	s_waitcnt vmcnt(0) lgkmcnt(0)
	v_mul_f32_e32 v4, s19, v4
.LBB20_19:
	;; [unrolled: 21-line block ×3, first 2 shown]
	s_or_b32 exec_lo, exec_lo, s7
	v_add_nc_u32_e32 v6, 4, v72
                                        ; implicit-def: $vgpr8
                                        ; kill: killed $vgpr8
	s_delay_alu instid0(VALU_DEP_1) | instskip(SKIP_1) | instid1(VALU_DEP_2)
	v_cmp_le_i32_e64 s6, s18, v6
	v_min_i32_e32 v6, s29, v6
	s_or_b32 s15, vcc_lo, s6
	s_delay_alu instid0(VALU_DEP_1) | instskip(SKIP_1) | instid1(SALU_CYCLE_1)
	v_ashrrev_i32_e32 v7, 31, v6
	s_or_b32 s7, s27, s15
	s_xor_b32 s7, s7, -1
	s_delay_alu instid0(SALU_CYCLE_1) | instskip(NEXT) | instid1(SALU_CYCLE_1)
	s_and_saveexec_b32 s31, s7
	s_xor_b32 s31, exec_lo, s31
	s_cbranch_execz .LBB20_23
; %bb.22:
	v_mad_i64_i32 v[8:9], null, s22, v6, 0
	v_lshlrev_b64 v[10:11], 2, v[20:21]
	s_delay_alu instid0(VALU_DEP_2) | instskip(NEXT) | instid1(VALU_DEP_1)
	v_lshlrev_b64 v[8:9], 2, v[8:9]
	v_add_co_u32 v8, s7, s20, v8
	s_delay_alu instid0(VALU_DEP_1) | instskip(NEXT) | instid1(VALU_DEP_2)
	v_add_co_ci_u32_e64 v9, s7, s21, v9, s7
	v_add_co_u32 v8, s7, v8, v10
	s_delay_alu instid0(VALU_DEP_1)
	v_add_co_ci_u32_e64 v9, s7, v9, v11, s7
	flat_load_b32 v8, v[8:9]
	s_waitcnt vmcnt(0) lgkmcnt(0)
	v_mul_f32_e32 v8, s19, v8
	scratch_store_b32 off, v8, off          ; 4-byte Folded Spill
.LBB20_23:
	s_and_not1_saveexec_b32 s7, s31
	s_cbranch_execz .LBB20_25
; %bb.24:
	v_cndmask_b32_e64 v8, 0, 0x7f7fffff, s15
	scratch_store_b32 off, v8, off          ; 4-byte Folded Spill
.LBB20_25:
	s_or_b32 exec_lo, exec_lo, s7
	v_mul_lo_u32 v9, v7, s30
	v_mul_lo_u32 v10, v6, s14
	v_mad_u64_u32 v[7:8], null, v6, s30, 0
	s_delay_alu instid0(VALU_DEP_1) | instskip(NEXT) | instid1(VALU_DEP_1)
	v_add3_u32 v8, v8, v10, v9
	v_lshlrev_b64 v[6:7], 2, v[7:8]
	s_delay_alu instid0(VALU_DEP_1) | instskip(NEXT) | instid1(VALU_DEP_1)
	v_add_co_u32 v6, s7, s8, v6
	v_add_co_ci_u32_e64 v7, s7, s9, v7, s7
	s_or_b32 s7, s2, s6
	s_delay_alu instid0(SALU_CYCLE_1) | instskip(SKIP_1) | instid1(SALU_CYCLE_1)
	v_cndmask_b32_e64 v150, 0, 0x7f7fffff, s7
	s_or_b32 s7, s27, s7
	s_xor_b32 s7, s7, -1
	s_delay_alu instid0(SALU_CYCLE_1)
	s_and_saveexec_b32 s14, s7
	s_cbranch_execz .LBB20_27
; %bb.26:
	v_lshlrev_b64 v[8:9], 2, v[22:23]
	s_delay_alu instid0(VALU_DEP_1) | instskip(NEXT) | instid1(VALU_DEP_1)
	v_add_co_u32 v8, s7, v6, v8
	v_add_co_ci_u32_e64 v9, s7, v7, v9, s7
	flat_load_b32 v8, v[8:9]
	s_waitcnt vmcnt(0) lgkmcnt(0)
	v_mul_f32_e32 v150, s19, v8
.LBB20_27:
	s_or_b32 exec_lo, exec_lo, s14
	s_or_b32 s7, s3, s6
	s_delay_alu instid0(SALU_CYCLE_1) | instskip(SKIP_1) | instid1(SALU_CYCLE_1)
	v_cndmask_b32_e64 v26, 0, 0x7f7fffff, s7
	s_or_b32 s7, s27, s7
	s_xor_b32 s7, s7, -1
	s_delay_alu instid0(SALU_CYCLE_1)
	s_and_saveexec_b32 s14, s7
	s_cbranch_execz .LBB20_29
; %bb.28:
	v_lshlrev_b64 v[8:9], 2, v[22:23]
	s_delay_alu instid0(VALU_DEP_1) | instskip(NEXT) | instid1(VALU_DEP_1)
	v_add_co_u32 v8, s7, v6, v8
	v_add_co_ci_u32_e64 v9, s7, v7, v9, s7
	flat_load_b32 v8, v[8:9] offset:256
	s_waitcnt vmcnt(0) lgkmcnt(0)
	v_mul_f32_e32 v26, s19, v8
.LBB20_29:
	s_or_b32 exec_lo, exec_lo, s14
	s_or_b32 s7, s4, s6
	s_delay_alu instid0(SALU_CYCLE_1) | instskip(SKIP_1) | instid1(SALU_CYCLE_1)
	v_cndmask_b32_e64 v27, 0, 0x7f7fffff, s7
	s_or_b32 s7, s27, s7
	s_xor_b32 s7, s7, -1
	s_delay_alu instid0(SALU_CYCLE_1)
	s_and_saveexec_b32 s14, s7
	s_cbranch_execz .LBB20_31
; %bb.30:
	v_lshlrev_b64 v[8:9], 2, v[22:23]
	s_delay_alu instid0(VALU_DEP_1) | instskip(NEXT) | instid1(VALU_DEP_1)
	v_add_co_u32 v8, s7, v6, v8
	v_add_co_ci_u32_e64 v9, s7, v7, v9, s7
	flat_load_b32 v8, v[8:9] offset:512
	s_waitcnt vmcnt(0) lgkmcnt(0)
	v_mul_f32_e32 v27, s19, v8
.LBB20_31:
	;; [unrolled: 18-line block ×3, first 2 shown]
	s_or_b32 exec_lo, exec_lo, s7
	v_lshlrev_b32_e32 v6, 2, v72
	v_lshlrev_b32_e32 v73, 4, v25
	;; [unrolled: 1-line block ×3, first 2 shown]
	s_cmp_lt_i32 s18, 9
	s_delay_alu instid0(VALU_DEP_3)
	v_lshl_add_u32 v75, v0, 4, v6
	ds_store_2addr_stride64_b32 v75, v2, v3 offset1:4
	ds_store_b32 v75, v1 offset:8192
	ds_store_2addr_stride64_b32 v75, v4, v5 offset0:8 offset1:12
	s_waitcnt lgkmcnt(0)
	s_waitcnt_vscnt null, 0x0
	s_barrier
	buffer_gl0_inv
	ds_load_b128 v[51:54], v73
	ds_load_b128 v[0:3], v74 offset:8192
	ds_load_b128 v[12:15], v74 offset:8320
	;; [unrolled: 1-line block ×5, first 2 shown]
	s_waitcnt lgkmcnt(4)
	v_dual_add_f32 v16, v1, v52 :: v_dual_add_f32 v147, v3, v54
	v_add_f32_e32 v141, v2, v53
	s_waitcnt lgkmcnt(3)
	v_add_f32_e32 v145, v15, v54
	s_waitcnt lgkmcnt(0)
	v_add_f32_e32 v134, v0, v82
	scratch_store_b32 off, v16, off offset:12 ; 4-byte Folded Spill
	v_dual_add_f32 v16, v13, v52 :: v_dual_add_f32 v135, v12, v82
	v_add_f32_e32 v106, v2, v84
	v_add_f32_e32 v143, v10, v53
	;; [unrolled: 1-line block ×3, first 2 shown]
	scratch_store_b32 off, v16, off offset:16 ; 4-byte Folded Spill
	v_add_f32_e32 v16, v12, v51
	v_add_f32_e32 v136, v8, v82
	;; [unrolled: 1-line block ×5, first 2 shown]
	scratch_store_b32 off, v16, off offset:28 ; 4-byte Folded Spill
	v_add_f32_e32 v16, v9, v52
	scratch_store_b32 off, v16, off offset:20 ; 4-byte Folded Spill
	v_add_f32_e32 v16, v8, v51
	;; [unrolled: 2-line block ×4, first 2 shown]
	scratch_store_b32 off, v16, off offset:36 ; 4-byte Folded Spill
	ds_load_b128 v[86:89], v74 offset:8704
	ds_load_b128 v[90:93], v74 offset:8832
	s_waitcnt lgkmcnt(0)
	v_dual_add_f32 v16, v87, v52 :: v_dual_add_f32 v139, v92, v53
	v_add_f32_e32 v132, v90, v82
	v_add_f32_e32 v114, v88, v84
	;; [unrolled: 1-line block ×3, first 2 shown]
	scratch_store_b32 off, v16, off offset:40 ; 4-byte Folded Spill
	v_add_f32_e32 v16, v86, v51
	scratch_store_b32 off, v16, off offset:48 ; 4-byte Folded Spill
	v_add_f32_e32 v16, v91, v52
	;; [unrolled: 2-line block ×3, first 2 shown]
	scratch_store_b32 off, v16, off offset:52 ; 4-byte Folded Spill
	ds_load_b128 v[94:97], v74 offset:8960
	ds_load_b128 v[16:19], v74 offset:9088
	v_add_f32_e32 v146, v0, v51
	v_add_f32_e32 v142, v14, v53
	v_add_f32_e32 v138, v88, v53
	v_add_f32_e32 v144, v11, v54
	s_waitcnt lgkmcnt(1)
	v_dual_add_f32 v29, v95, v52 :: v_dual_add_f32 v140, v96, v53
	v_dual_add_f32 v133, v94, v82 :: v_dual_add_f32 v118, v96, v84
	s_waitcnt lgkmcnt(0)
	v_add_f32_e32 v84, v18, v84
	scratch_store_b32 off, v29, off offset:56 ; 4-byte Folded Spill
	v_add_f32_e32 v29, v94, v51
	scratch_store_b32 off, v29, off offset:64 ; 4-byte Folded Spill
	;; [unrolled: 2-line block ×21, first 2 shown]
	ds_load_b128 v[98:101], v73 offset:1024
	ds_load_b128 v[102:105], v73 offset:1536
	v_add_f32_e32 v131, v3, v85
	v_add_f32_e32 v107, v15, v85
	;; [unrolled: 1-line block ×7, first 2 shown]
	s_waitcnt lgkmcnt(1)
	v_dual_add_f32 v85, v19, v85 :: v_dual_add_f32 v154, v16, v98
	v_dual_add_f32 v119, v1, v99 :: v_dual_add_f32 v128, v3, v101
	;; [unrolled: 1-line block ×3, first 2 shown]
	v_add_f32_e32 v130, v15, v101
	v_dual_add_f32 v122, v12, v98 :: v_dual_add_f32 v123, v9, v99
	v_add_f32_e32 v156, v11, v101
	v_dual_add_f32 v124, v8, v98 :: v_dual_add_f32 v125, v5, v99
	;; [unrolled: 2-line block ×3, first 2 shown]
	v_dual_add_f32 v160, v89, v101 :: v_dual_add_f32 v51, v86, v98
	v_add_f32_e32 v162, v93, v101
	v_add_f32_e32 v54, v91, v99
	;; [unrolled: 1-line block ×4, first 2 shown]
	v_dual_add_f32 v152, v94, v98 :: v_dual_add_f32 v53, v17, v99
	v_dual_add_f32 v166, v19, v101 :: v_dual_add_f32 v129, v2, v100
	;; [unrolled: 1-line block ×3, first 2 shown]
	s_waitcnt lgkmcnt(0)
	v_dual_add_f32 v168, v1, v103 :: v_dual_add_f32 v157, v10, v100
	v_dual_add_f32 v170, v13, v103 :: v_dual_add_f32 v159, v6, v100
	v_dual_add_f32 v172, v9, v103 :: v_dual_add_f32 v161, v88, v100
	v_dual_add_f32 v174, v5, v103 :: v_dual_add_f32 v163, v92, v100
	v_dual_add_f32 v176, v87, v103 :: v_dual_add_f32 v165, v96, v100
	v_dual_add_f32 v178, v91, v103 :: v_dual_add_f32 v167, v18, v100
	v_dual_add_f32 v180, v95, v103 :: v_dual_add_f32 v169, v0, v102
	v_dual_add_f32 v182, v17, v103 :: v_dual_add_f32 v171, v12, v102
	v_dual_add_f32 v184, v3, v105 :: v_dual_add_f32 v173, v8, v102
	v_dual_add_f32 v186, v15, v105 :: v_dual_add_f32 v175, v4, v102
	v_dual_add_f32 v188, v11, v105 :: v_dual_add_f32 v177, v86, v102
	v_dual_add_f32 v190, v7, v105 :: v_dual_add_f32 v179, v90, v102
	v_dual_add_f32 v192, v89, v105 :: v_dual_add_f32 v181, v94, v102
	v_dual_add_f32 v194, v93, v105 :: v_dual_add_f32 v183, v16, v102
	v_dual_add_f32 v196, v97, v105 :: v_dual_add_f32 v185, v2, v104
	v_dual_add_f32 v198, v19, v105 :: v_dual_add_f32 v187, v14, v104
	v_add_f32_e32 v189, v10, v104
	v_add_f32_e32 v191, v6, v104
	;; [unrolled: 1-line block ×6, first 2 shown]
	ds_load_b128 v[98:101], v73 offset:2048
	ds_load_b128 v[102:105], v73 offset:2560
	s_clause 0x1
	scratch_store_b32 off, v24, off offset:4
	scratch_store_b32 off, v25, off offset:8
	v_min3_f32 v51, v51, v127, 0x7f7fffff
	s_delay_alu instid0(VALU_DEP_1)
	v_min3_f32 v127, v161, v160, v51
	v_min3_f32 v51, v52, v54, 0x7f7fffff
	s_waitcnt lgkmcnt(1)
	v_dual_add_f32 v200, v1, v99 :: v_dual_add_f32 v201, v0, v98
	v_add_f32_e32 v214, v17, v99
	v_dual_add_f32 v202, v13, v99 :: v_dual_add_f32 v203, v12, v98
	v_add_f32_e32 v216, v3, v101
	;; [unrolled: 2-line block ×6, first 2 shown]
	v_dual_add_f32 v212, v95, v99 :: v_dual_add_f32 v213, v94, v98
	v_dual_add_f32 v226, v93, v101 :: v_dual_add_f32 v215, v16, v98
	;; [unrolled: 1-line block ×4, first 2 shown]
	s_waitcnt lgkmcnt(0)
	v_dual_add_f32 v232, v1, v103 :: v_dual_add_f32 v221, v10, v100
	v_dual_add_f32 v234, v13, v103 :: v_dual_add_f32 v223, v6, v100
	;; [unrolled: 1-line block ×13, first 2 shown]
	v_add_f32_e32 v30, v92, v104
	v_dual_add_f32 v247, v16, v102 :: v_dual_add_f32 v34, v18, v104
	v_add_f32_e32 v249, v2, v104
	v_add_f32_e32 v251, v14, v104
	;; [unrolled: 1-line block ×5, first 2 shown]
	v_dual_add_f32 v29, v93, v105 :: v_dual_add_f32 v32, v96, v104
	v_add_f32_e32 v31, v97, v105
	v_add_f32_e32 v33, v19, v105
	ds_load_b128 v[98:101], v73 offset:3072
	ds_load_b128 v[102:105], v73 offset:3584
	s_waitcnt lgkmcnt(1)
	v_add_f32_e32 v46, v94, v98
	v_dual_add_f32 v43, v86, v98 :: v_dual_add_f32 v62, v88, v100
	v_dual_add_f32 v49, v3, v101 :: v_dual_add_f32 v68, v18, v100
	s_waitcnt lgkmcnt(0)
	v_dual_add_f32 v3, v3, v105 :: v_dual_add_f32 v76, v86, v102
	scratch_load_b32 v86, off, off offset:12 ; 4-byte Folded Reload
	v_add_f32_e32 v42, v87, v99
	v_add_f32_e32 v69, v87, v103
	v_dual_add_f32 v37, v13, v99 :: v_dual_add_f32 v50, v2, v100
	v_dual_add_f32 v13, v13, v103 :: v_dual_add_f32 v78, v88, v104
	;; [unrolled: 1-line block ×8, first 2 shown]
	v_add_f32_e32 v12, v12, v102
	v_add_f32_e32 v6, v6, v104
	v_min3_f32 v0, v0, v1, 0x7f7fffff
	v_dual_add_f32 v39, v9, v99 :: v_dual_add_f32 v56, v14, v100
	v_dual_add_f32 v40, v8, v98 :: v_dual_add_f32 v61, v89, v101
	;; [unrolled: 1-line block ×6, first 2 shown]
	v_min3_f32 v89, v2, v3, v0
	v_min3_f32 v0, v12, v13, 0x7f7fffff
	v_dual_add_f32 v24, v5, v99 :: v_dual_add_f32 v41, v4, v98
	v_dual_add_f32 v58, v10, v100 :: v_dual_add_f32 v65, v97, v101
	;; [unrolled: 1-line block ×6, first 2 shown]
	v_add_f32_e32 v79, v91, v103
	v_add_f32_e32 v81, v93, v105
	v_add_f32_e32 v113, v92, v104
	v_add_f32_e32 v149, v95, v103
	v_add_f32_e32 v151, v94, v102
	v_dual_add_f32 v47, v17, v99 :: v_dual_add_f32 v66, v96, v100
	v_add_f32_e32 v153, v97, v105
	v_add_f32_e32 v17, v17, v103
	;; [unrolled: 1-line block ×3, first 2 shown]
	v_dual_add_f32 v45, v90, v98 :: v_dual_add_f32 v64, v92, v100
	v_min3_f32 v24, v41, v24, 0x7f7fffff
	v_add_f32_e32 v44, v91, v99
	s_delay_alu instid0(VALU_DEP_2) | instskip(SKIP_1) | instid1(VALU_DEP_1)
	v_min3_f32 v94, v60, v59, v24
	v_min3_f32 v24, v43, v42, 0x7f7fffff
	;; [unrolled: 1-line block ×3, first 2 shown]
	s_delay_alu instid0(VALU_DEP_4) | instskip(NEXT) | instid1(VALU_DEP_1)
	v_min3_f32 v24, v45, v44, 0x7f7fffff
	v_min3_f32 v92, v64, v63, v24
	;; [unrolled: 1-line block ×3, first 2 shown]
	s_delay_alu instid0(VALU_DEP_1) | instskip(SKIP_1) | instid1(VALU_DEP_1)
	v_min3_f32 v91, v66, v65, v24
	v_min3_f32 v24, v48, v47, 0x7f7fffff
	;; [unrolled: 1-line block ×3, first 2 shown]
	s_waitcnt vmcnt(0)
	v_min3_f32 v86, v146, v86, 0x7f7fffff
	s_delay_alu instid0(VALU_DEP_1)
	v_min3_f32 v147, v141, v147, v86
	s_clause 0x1
	scratch_load_b32 v86, off, off offset:16
	scratch_load_b32 v87, off, off offset:28
	s_waitcnt vmcnt(0)
	v_min3_f32 v86, v87, v86, 0x7f7fffff
	s_delay_alu instid0(VALU_DEP_1)
	v_min3_f32 v146, v142, v145, v86
	s_clause 0x1
	scratch_load_b32 v86, off, off offset:20
	scratch_load_b32 v87, off, off offset:32
	;; [unrolled: 7-line block ×3, first 2 shown]
	s_waitcnt vmcnt(0)
	v_min3_f32 v86, v87, v86, 0x7f7fffff
	scratch_load_b32 v87, off, off offset:72 ; 4-byte Folded Reload
	s_waitcnt vmcnt(0)
	v_min3_f32 v144, v137, v87, v86
	s_clause 0x1
	scratch_load_b32 v86, off, off offset:40
	scratch_load_b32 v87, off, off offset:48
	s_waitcnt vmcnt(0)
	v_min3_f32 v86, v87, v86, 0x7f7fffff
	scratch_load_b32 v87, off, off offset:76 ; 4-byte Folded Reload
	s_waitcnt vmcnt(0)
	v_min3_f32 v143, v138, v87, v86
	s_clause 0x1
	scratch_load_b32 v86, off, off offset:44
	scratch_load_b32 v87, off, off offset:52
	;; [unrolled: 8-line block ×4, first 2 shown]
	s_waitcnt vmcnt(0)
	v_min3_f32 v86, v87, v86, 0x7f7fffff
	s_clause 0x1
	scratch_load_b32 v87, off, off offset:88
	scratch_load_b32 v88, off, off offset:124
	s_waitcnt vmcnt(0)
	v_min3_f32 v140, v88, v87, v86
	scratch_load_b32 v86, off, off offset:92 ; 4-byte Folded Reload
	v_min3_f32 v88, v14, v15, v0
	v_min3_f32 v0, v8, v9, 0x7f7fffff
	s_waitcnt vmcnt(0)
	v_min3_f32 v86, v134, v86, 0x7f7fffff
	s_delay_alu instid0(VALU_DEP_1) | instskip(SKIP_3) | instid1(VALU_DEP_1)
	v_min3_f32 v139, v106, v131, v86
	scratch_load_b32 v86, off, off offset:96 ; 4-byte Folded Reload
	s_waitcnt vmcnt(0)
	v_min3_f32 v86, v135, v86, 0x7f7fffff
	v_min3_f32 v138, v108, v107, v86
	scratch_load_b32 v86, off, off offset:100 ; 4-byte Folded Reload
	s_waitcnt vmcnt(0)
	v_min3_f32 v86, v136, v86, 0x7f7fffff
	s_delay_alu instid0(VALU_DEP_1)
	v_min3_f32 v137, v110, v109, v86
	s_clause 0x1
	scratch_load_b32 v86, off, off offset:104
	scratch_load_b32 v87, off, off offset:128
	s_waitcnt vmcnt(0)
	v_min3_f32 v86, v87, v86, 0x7f7fffff
	s_delay_alu instid0(VALU_DEP_1)
	v_min3_f32 v136, v112, v111, v86
	s_clause 0x1
	scratch_load_b32 v86, off, off offset:108
	scratch_load_b32 v87, off, off offset:132
	s_waitcnt vmcnt(0)
	v_min3_f32 v86, v87, v86, 0x7f7fffff
	v_min3_f32 v87, v10, v11, v0
	;; [unrolled: 1-line block ×3, first 2 shown]
	s_delay_alu instid0(VALU_DEP_3) | instskip(SKIP_3) | instid1(VALU_DEP_1)
	v_min3_f32 v135, v114, v83, v86
	scratch_load_b32 v83, off, off offset:112 ; 4-byte Folded Reload
	s_waitcnt vmcnt(0)
	v_min3_f32 v83, v132, v83, 0x7f7fffff
	v_min3_f32 v134, v116, v115, v83
	scratch_load_b32 v83, off, off offset:116 ; 4-byte Folded Reload
	s_waitcnt vmcnt(0)
	v_min3_f32 v83, v133, v83, 0x7f7fffff
	s_delay_alu instid0(VALU_DEP_1)
	v_min3_f32 v133, v118, v117, v83
	s_clause 0x1
	scratch_load_b32 v83, off, off offset:120
	scratch_load_b32 v86, off, off offset:136
	ds_store_2addr_stride64_b32 v75, v150, v26 offset0:16 offset1:20
	ds_store_2addr_stride64_b32 v75, v27, v28 offset0:24 offset1:28
	s_waitcnt vmcnt(0)
	v_min3_f32 v83, v86, v83, 0x7f7fffff
	v_min3_f32 v86, v6, v7, v0
	;; [unrolled: 1-line block ×3, first 2 shown]
	s_delay_alu instid0(VALU_DEP_3) | instskip(SKIP_1) | instid1(VALU_DEP_3)
	v_min3_f32 v132, v84, v85, v83
	v_min3_f32 v83, v120, v119, 0x7f7fffff
	;; [unrolled: 1-line block ×4, first 2 shown]
	s_delay_alu instid0(VALU_DEP_3) | instskip(SKIP_1) | instid1(VALU_DEP_3)
	v_min3_f32 v131, v129, v128, v83
	v_min3_f32 v83, v122, v121, 0x7f7fffff
	;; [unrolled: 1-line block ×4, first 2 shown]
	s_delay_alu instid0(VALU_DEP_3) | instskip(SKIP_1) | instid1(VALU_DEP_1)
	v_min3_f32 v130, v155, v130, v83
	v_min3_f32 v83, v124, v123, 0x7f7fffff
	v_min3_f32 v129, v157, v156, v83
	v_min3_f32 v83, v126, v125, 0x7f7fffff
	v_min3_f32 v126, v163, v162, v51
	v_min3_f32 v51, v152, v82, 0x7f7fffff
	s_delay_alu instid0(VALU_DEP_3) | instskip(SKIP_2) | instid1(VALU_DEP_4)
	v_min3_f32 v128, v159, v158, v83
	v_min3_f32 v83, v148, v153, v0
	v_min3_f32 v0, v16, v17, 0x7f7fffff
	v_min3_f32 v125, v165, v164, v51
	v_min3_f32 v51, v154, v53, 0x7f7fffff
	s_delay_alu instid0(VALU_DEP_3) | instskip(SKIP_3) | instid1(VALU_DEP_1)
	v_min3_f32 v82, v18, v19, v0
	scratch_load_b32 v0, off, off           ; 4-byte Folded Reload
	v_min3_f32 v124, v167, v166, v51
	v_min3_f32 v51, v169, v168, 0x7f7fffff
	v_min3_f32 v123, v185, v184, v51
	v_min3_f32 v51, v171, v170, 0x7f7fffff
	s_delay_alu instid0(VALU_DEP_1) | instskip(SKIP_1) | instid1(VALU_DEP_1)
	v_min3_f32 v122, v187, v186, v51
	v_min3_f32 v51, v173, v172, 0x7f7fffff
	v_min3_f32 v121, v189, v188, v51
	v_min3_f32 v51, v175, v174, 0x7f7fffff
	s_delay_alu instid0(VALU_DEP_1) | instskip(SKIP_1) | instid1(VALU_DEP_1)
	;; [unrolled: 5-line block ×13, first 2 shown]
	v_min3_f32 v96, v56, v55, v29
	v_min3_f32 v29, v40, v39, 0x7f7fffff
	;; [unrolled: 1-line block ×3, first 2 shown]
	s_waitcnt vmcnt(0)
	ds_store_b32 v75, v0 offset:9216
	s_waitcnt lgkmcnt(0)
	s_waitcnt_vscnt null, 0x0
	s_barrier
	buffer_gl0_inv
	s_cbranch_scc1 .LBB20_56
; %bb.34:
	s_clause 0x1
	scratch_load_b32 v200, off, off offset:4
	scratch_load_b32 v201, off, off offset:8
	v_add_nc_u32_e32 v4, 12, v72
	v_add_nc_u32_e32 v6, 8, v72
	v_lshlrev_b64 v[0:1], 2, v[20:21]
	v_lshlrev_b64 v[68:69], 2, v[22:23]
	v_or_b32_e32 v76, 0x2000, v75
	v_mad_i64_i32 v[2:3], null, v4, s22, 0
	v_mad_i64_i32 v[4:5], null, v6, s22, 0
	v_add_co_u32 v80, s6, s20, v0
	v_add_nc_u32_e32 v77, 0x2000, v74
	v_add_nc_u32_e32 v78, 0x2400, v75
	v_lshlrev_b64 v[64:65], 2, v[2:3]
	v_or_b32_e32 v79, 0x1000, v75
	v_lshlrev_b64 v[66:67], 2, v[4:5]
	v_add_co_ci_u32_e64 v81, s6, s21, v1, s6
	s_add_i32 s20, s18, -8
	s_lshl_b64 s[14:15], s[22:23], 5
	s_mov_b32 s21, 0
	s_waitcnt vmcnt(1)
	v_lshl_add_u32 v105, v200, 4, 0x2400
	s_waitcnt vmcnt(0)
	v_lshl_add_u32 v113, v201, 4, 0x1000
	s_branch .LBB20_36
.LBB20_35:                              ;   in Loop: Header=BB20_36 Depth=1
	s_or_b32 exec_lo, exec_lo, s7
	ds_load_b128 v[94:97], v73
	ds_load_b128 v[152:155], v77
	ds_load_b128 v[156:159], v77 offset:128
	ds_load_b128 v[160:163], v77 offset:256
	;; [unrolled: 1-line block ×14, first 2 shown]
	v_add_co_u32 v80, s6, v80, s14
	s_delay_alu instid0(VALU_DEP_1)
	v_add_co_ci_u32_e64 v81, s6, s15, v81, s6
	s_add_i32 s21, s21, 8
	ds_store_b32 v78, v148
	ds_store_2addr_stride64_b32 v79, v149, v150 offset1:4
	ds_store_2addr_stride64_b32 v79, v151, v0 offset0:8 offset1:12
	s_waitcnt lgkmcnt(17)
	v_dual_add_f32 v11, v153, v95 :: v_dual_add_f32 v14, v152, v94
	s_waitcnt lgkmcnt(16)
	v_dual_add_f32 v15, v157, v95 :: v_dual_add_f32 v18, v156, v94
	;; [unrolled: 2-line block ×3, first 2 shown]
	s_waitcnt lgkmcnt(14)
	v_add_f32_e32 v23, v165, v95
	v_min3_f32 v11, v14, v11, v25
	v_min3_f32 v14, v18, v15, v28
	v_add_f32_e32 v18, v164, v94
	v_min3_f32 v15, v22, v19, v29
	s_waitcnt lgkmcnt(13)
	v_dual_add_f32 v19, v169, v95 :: v_dual_add_f32 v22, v168, v94
	s_waitcnt lgkmcnt(12)
	v_dual_add_f32 v25, v173, v95 :: v_dual_add_f32 v28, v172, v94
	;; [unrolled: 2-line block ×4, first 2 shown]
	v_min3_f32 v1, v18, v23, v1
	v_min3_f32 v18, v22, v19, v32
	;; [unrolled: 1-line block ×5, first 2 shown]
	s_waitcnt lgkmcnt(9)
	v_dual_add_f32 v25, v153, v99 :: v_dual_add_f32 v28, v152, v98
	v_dual_add_f32 v29, v157, v99 :: v_dual_add_f32 v32, v156, v98
	;; [unrolled: 1-line block ×5, first 2 shown]
	v_min3_f32 v4, v28, v25, v4
	v_min3_f32 v25, v32, v29, v40
	;; [unrolled: 1-line block ×5, first 2 shown]
	v_dual_add_f32 v33, v173, v99 :: v_dual_add_f32 v34, v172, v98
	v_dual_add_f32 v35, v177, v99 :: v_dual_add_f32 v36, v176, v98
	;; [unrolled: 1-line block ×3, first 2 shown]
	s_waitcnt lgkmcnt(8)
	v_dual_add_f32 v39, v153, v107 :: v_dual_add_f32 v40, v152, v106
	v_dual_add_f32 v41, v157, v107 :: v_dual_add_f32 v44, v156, v106
	v_min3_f32 v5, v34, v33, v5
	v_min3_f32 v33, v36, v35, v48
	;; [unrolled: 1-line block ×5, first 2 shown]
	v_dual_add_f32 v37, v161, v107 :: v_dual_add_f32 v38, v160, v106
	v_dual_add_f32 v39, v165, v107 :: v_dual_add_f32 v40, v164, v106
	;; [unrolled: 1-line block ×5, first 2 shown]
	v_min3_f32 v8, v38, v37, v8
	v_min3_f32 v37, v40, v39, v54
	;; [unrolled: 1-line block ×5, first 2 shown]
	v_dual_add_f32 v41, v181, v107 :: v_dual_add_f32 v44, v180, v106
	s_waitcnt lgkmcnt(7)
	v_dual_add_f32 v45, v153, v115 :: v_dual_add_f32 v48, v152, v114
	v_dual_add_f32 v49, v157, v115 :: v_dual_add_f32 v52, v156, v114
	;; [unrolled: 1-line block ×4, first 2 shown]
	v_min3_f32 v9, v44, v41, v9
	v_min3_f32 v41, v48, v45, v58
	;; [unrolled: 1-line block ×5, first 2 shown]
	v_dual_add_f32 v49, v169, v115 :: v_dual_add_f32 v52, v168, v114
	v_dual_add_f32 v53, v173, v115 :: v_dual_add_f32 v54, v172, v114
	;; [unrolled: 1-line block ×4, first 2 shown]
	s_waitcnt lgkmcnt(6)
	v_dual_add_f32 v59, v153, v185 :: v_dual_add_f32 v60, v152, v184
	v_min3_f32 v12, v52, v49, v12
	v_min3_f32 v49, v54, v53, v50
	v_min3_f32 v50, v56, v55, v51
	v_min3_f32 v51, v58, v57, v62
	v_min3_f32 v52, v60, v59, v63
	v_dual_add_f32 v53, v157, v185 :: v_dual_add_f32 v54, v156, v184
	v_dual_add_f32 v55, v161, v185 :: v_dual_add_f32 v56, v160, v184
	;; [unrolled: 1-line block ×5, first 2 shown]
	v_min3_f32 v13, v54, v53, v13
	v_min3_f32 v53, v56, v55, v82
	;; [unrolled: 1-line block ×5, first 2 shown]
	v_dual_add_f32 v57, v177, v185 :: v_dual_add_f32 v58, v176, v184
	v_dual_add_f32 v59, v181, v185 :: v_dual_add_f32 v60, v180, v184
	s_waitcnt lgkmcnt(5)
	v_dual_add_f32 v61, v153, v189 :: v_dual_add_f32 v62, v152, v188
	v_dual_add_f32 v63, v157, v189 :: v_dual_add_f32 v70, v156, v188
	;; [unrolled: 1-line block ×3, first 2 shown]
	v_min3_f32 v16, v58, v57, v16
	v_min3_f32 v46, v60, v59, v46
	;; [unrolled: 1-line block ×4, first 2 shown]
	v_dual_add_f32 v59, v165, v189 :: v_dual_add_f32 v60, v164, v188
	v_dual_add_f32 v61, v169, v189 :: v_dual_add_f32 v62, v168, v188
	;; [unrolled: 1-line block ×4, first 2 shown]
	v_min3_f32 v58, v82, v71, v87
	v_dual_add_f32 v71, v177, v189 :: v_dual_add_f32 v82, v176, v188
	v_min3_f32 v17, v60, v59, v17
	v_min3_f32 v42, v62, v61, v42
	;; [unrolled: 1-line block ×4, first 2 shown]
	s_waitcnt lgkmcnt(4)
	v_dual_add_f32 v61, v153, v193 :: v_dual_add_f32 v62, v152, v192
	v_dual_add_f32 v63, v157, v193 :: v_dual_add_f32 v70, v156, v192
	;; [unrolled: 1-line block ×4, first 2 shown]
	v_min3_f32 v59, v82, v71, v88
	v_dual_add_f32 v71, v161, v193 :: v_dual_add_f32 v82, v160, v192
	v_min3_f32 v20, v62, v61, v20
	v_min3_f32 v61, v70, v63, v90
	;; [unrolled: 1-line block ×4, first 2 shown]
	v_dual_add_f32 v83, v177, v193 :: v_dual_add_f32 v84, v176, v192
	v_dual_add_f32 v85, v181, v193 :: v_dual_add_f32 v86, v180, v192
	s_waitcnt lgkmcnt(3)
	v_dual_add_f32 v89, v157, v197 :: v_dual_add_f32 v90, v156, v196
	v_min3_f32 v62, v82, v71, v91
	v_dual_add_f32 v71, v173, v193 :: v_dual_add_f32 v82, v172, v192
	v_dual_add_f32 v87, v153, v197 :: v_dual_add_f32 v88, v152, v196
	v_min3_f32 v26, v84, v83, v26
	v_min3_f32 v27, v86, v85, v27
	;; [unrolled: 1-line block ×3, first 2 shown]
	v_dual_add_f32 v83, v165, v197 :: v_dual_add_f32 v84, v164, v196
	v_dual_add_f32 v85, v169, v197 :: v_dual_add_f32 v86, v168, v196
	;; [unrolled: 1-line block ×3, first 2 shown]
	v_min3_f32 v21, v82, v71, v21
	v_min3_f32 v30, v88, v87, v30
	v_dual_add_f32 v71, v161, v197 :: v_dual_add_f32 v82, v160, v196
	v_dual_add_f32 v87, v173, v197 :: v_dual_add_f32 v88, v172, v196
	v_min3_f32 v3, v84, v83, v3
	v_min3_f32 v6, v86, v85, v6
	;; [unrolled: 1-line block ×3, first 2 shown]
	v_dual_add_f32 v83, v155, v97 :: v_dual_add_f32 v84, v154, v96
	v_dual_add_f32 v85, v159, v97 :: v_dual_add_f32 v86, v158, v96
	;; [unrolled: 1-line block ×3, first 2 shown]
	v_min3_f32 v24, v82, v71, v24
	v_min3_f32 v7, v88, v87, v7
	v_dual_add_f32 v71, v181, v197 :: v_dual_add_f32 v82, v180, v196
	v_dual_add_f32 v87, v163, v97 :: v_dual_add_f32 v88, v162, v96
	v_min3_f32 v147, v84, v83, v11
	v_min3_f32 v146, v86, v85, v14
	;; [unrolled: 1-line block ×3, first 2 shown]
	v_add_f32_e32 v1, v171, v97
	v_dual_add_f32 v11, v170, v96 :: v_dual_add_f32 v14, v175, v97
	v_dual_add_f32 v83, v183, v97 :: v_dual_add_f32 v86, v154, v100
	v_add_f32_e32 v85, v155, v101
	v_min3_f32 v2, v82, v71, v2
	v_min3_f32 v145, v88, v87, v15
	v_add_f32_e32 v15, v174, v96
	v_dual_add_f32 v71, v179, v97 :: v_dual_add_f32 v84, v182, v96
	v_add_f32_e32 v82, v178, v96
	v_min3_f32 v143, v11, v1, v18
	v_min3_f32 v139, v86, v85, v4
	v_dual_add_f32 v1, v159, v101 :: v_dual_add_f32 v4, v158, v100
	v_min3_f32 v142, v15, v14, v19
	v_add_f32_e32 v14, v162, v100
	v_min3_f32 v141, v82, v71, v22
	v_min3_f32 v140, v84, v83, v23
	v_dual_add_f32 v11, v163, v101 :: v_dual_add_f32 v18, v166, v100
	v_dual_add_f32 v15, v167, v101 :: v_dual_add_f32 v22, v170, v100
	v_add_f32_e32 v19, v171, v101
	v_add_f32_e32 v23, v175, v101
	;; [unrolled: 1-line block ×3, first 2 shown]
	v_min3_f32 v138, v4, v1, v25
	v_dual_add_f32 v1, v179, v101 :: v_dual_add_f32 v4, v178, v100
	v_min3_f32 v137, v14, v11, v28
	v_min3_f32 v136, v18, v15, v29
	;; [unrolled: 1-line block ×3, first 2 shown]
	v_dual_add_f32 v11, v182, v100 :: v_dual_add_f32 v22, v163, v109
	v_dual_add_f32 v14, v155, v109 :: v_dual_add_f32 v15, v154, v108
	;; [unrolled: 1-line block ×3, first 2 shown]
	v_min3_f32 v133, v4, v1, v33
	v_add_f32_e32 v4, v166, v108
	v_min3_f32 v134, v71, v23, v5
	v_add_f32_e32 v5, v183, v101
	v_add_f32_e32 v23, v162, v108
	v_min3_f32 v131, v15, v14, v35
	v_min3_f32 v130, v19, v18, v36
	v_dual_add_f32 v1, v167, v109 :: v_dual_add_f32 v18, v178, v108
	s_delay_alu instid0(VALU_DEP_4)
	v_min3_f32 v129, v23, v22, v8
	v_add_f32_e32 v8, v170, v108
	v_add_f32_e32 v14, v174, v108
	v_min3_f32 v132, v11, v5, v34
	v_dual_add_f32 v5, v171, v109 :: v_dual_add_f32 v22, v182, v108
	v_add_f32_e32 v11, v175, v109
	v_add_f32_e32 v15, v179, v109
	;; [unrolled: 1-line block ×3, first 2 shown]
	v_min3_f32 v128, v4, v1, v37
	v_min3_f32 v127, v8, v5, v38
	v_dual_add_f32 v1, v155, v117 :: v_dual_add_f32 v4, v154, v116
	v_min3_f32 v126, v14, v11, v39
	v_dual_add_f32 v5, v159, v117 :: v_dual_add_f32 v8, v158, v116
	;; [unrolled: 2-line block ×3, first 2 shown]
	v_dual_add_f32 v18, v171, v117 :: v_dual_add_f32 v11, v162, v116
	s_cmp_ge_i32 s21, s20
	s_waitcnt lgkmcnt(0)
	s_delay_alu instid0(VALU_DEP_2)
	v_min3_f32 v120, v15, v14, v48
	v_add_f32_e32 v14, v154, v186
	v_min3_f32 v122, v8, v5, v44
	v_add_f32_e32 v8, v178, v116
	;; [unrolled: 2-line block ×4, first 2 shown]
	v_add_f32_e32 v9, v163, v117
	v_add_f32_e32 v5, v179, v117
	;; [unrolled: 1-line block ×4, first 2 shown]
	v_min3_f32 v119, v19, v18, v12
	v_add_f32_e32 v12, v155, v187
	v_add_f32_e32 v18, v158, v186
	v_min3_f32 v118, v4, v1, v49
	v_dual_add_f32 v1, v163, v187 :: v_dual_add_f32 v4, v162, v186
	s_delay_alu instid0(VALU_DEP_4)
	v_min3_f32 v115, v14, v12, v52
	v_add_f32_e32 v12, v175, v187
	v_min3_f32 v121, v11, v9, v45
	v_add_f32_e32 v9, v183, v117
	v_min3_f32 v117, v8, v5, v50
	v_dual_add_f32 v5, v167, v187 :: v_dual_add_f32 v8, v166, v186
	v_dual_add_f32 v14, v179, v187 :: v_dual_add_f32 v11, v182, v116
	v_min3_f32 v112, v4, v1, v53
	v_add_f32_e32 v1, v183, v187
	s_delay_alu instid0(VALU_DEP_4)
	v_min3_f32 v111, v8, v5, v54
	v_dual_add_f32 v5, v155, v191 :: v_dual_add_f32 v8, v154, v190
	v_min3_f32 v114, v18, v15, v13
	v_add_f32_e32 v15, v178, v186
	v_add_f32_e32 v13, v174, v186
	;; [unrolled: 1-line block ×3, first 2 shown]
	v_min3_f32 v106, v8, v5, v47
	v_add_f32_e32 v5, v175, v191
	v_min3_f32 v108, v15, v14, v16
	v_dual_add_f32 v14, v167, v191 :: v_dual_add_f32 v15, v166, v190
	v_add_f32_e32 v8, v174, v190
	v_min3_f32 v116, v11, v9, v51
	v_add_f32_e32 v9, v171, v187
	v_add_f32_e32 v11, v170, v186
	v_min3_f32 v102, v15, v14, v17
	v_add_f32_e32 v14, v155, v195
	v_min3_f32 v109, v13, v12, v56
	v_dual_add_f32 v12, v163, v191 :: v_dual_add_f32 v13, v162, v190
	v_add_f32_e32 v15, v154, v194
	v_min3_f32 v100, v8, v5, v43
	v_add_f32_e32 v8, v162, v194
	v_min3_f32 v107, v4, v1, v46
	v_dual_add_f32 v1, v171, v191 :: v_dual_add_f32 v4, v170, v190
	v_min3_f32 v103, v13, v12, v58
	v_add_f32_e32 v12, v183, v191
	v_min3_f32 v97, v15, v14, v20
	v_add_f32_e32 v14, v175, v195
	;; [unrolled: 2-line block ×4, first 2 shown]
	v_add_f32_e32 v15, v174, v194
	v_add_f32_e32 v13, v182, v190
	;; [unrolled: 1-line block ×5, first 2 shown]
	v_min3_f32 v92, v15, v14, v21
	v_dual_add_f32 v14, v163, v199 :: v_dual_add_f32 v15, v162, v198
	s_delay_alu instid0(VALU_DEP_4)
	v_min3_f32 v95, v8, v5, v62
	v_add_f32_e32 v8, v182, v194
	v_min3_f32 v104, v11, v9, v57
	v_add_f32_e32 v9, v179, v191
	;; [unrolled: 2-line block ×3, first 2 shown]
	v_min3_f32 v98, v13, v12, v60
	v_dual_add_f32 v12, v171, v195 :: v_dual_add_f32 v13, v170, v194
	v_add_f32_e32 v11, v178, v190
	v_min3_f32 v96, v4, v1, v61
	v_dual_add_f32 v1, v179, v195 :: v_dual_add_f32 v4, v178, v194
	s_delay_alu instid0(VALU_DEP_4) | instskip(SKIP_2) | instid1(VALU_DEP_4)
	v_min3_f32 v93, v13, v12, v70
	v_dual_add_f32 v12, v159, v199 :: v_dual_add_f32 v13, v158, v198
	v_add_f32_e32 v5, v183, v195
	v_min3_f32 v91, v4, v1, v26
	v_dual_add_f32 v1, v167, v199 :: v_dual_add_f32 v4, v166, v198
	s_delay_alu instid0(VALU_DEP_4)
	v_min3_f32 v88, v13, v12, v31
	v_add_f32_e32 v12, v179, v199
	v_min3_f32 v99, v11, v9, v59
	v_add_f32_e32 v9, v167, v195
	v_add_f32_e32 v11, v166, v194
	v_min3_f32 v90, v8, v5, v27
	v_dual_add_f32 v5, v171, v199 :: v_dual_add_f32 v8, v170, v198
	v_add_f32_e32 v13, v178, v198
	s_delay_alu instid0(VALU_DEP_4)
	v_min3_f32 v94, v11, v9, v63
	v_add_f32_e32 v9, v155, v199
	v_add_f32_e32 v11, v154, v198
	;; [unrolled: 1-line block ×3, first 2 shown]
	v_min3_f32 v86, v4, v1, v3
	v_min3_f32 v85, v8, v5, v6
	;; [unrolled: 1-line block ×4, first 2 shown]
	v_add_f32_e32 v9, v175, v199
	v_add_f32_e32 v11, v174, v198
	v_min3_f32 v82, v15, v14, v2
	s_barrier
	buffer_gl0_inv
	v_min3_f32 v84, v11, v9, v7
	s_cbranch_scc1 .LBB20_57
.LBB20_36:                              ; =>This Inner Loop Header: Depth=1
	v_add_nc_u32_e32 v148, s21, v72
	s_delay_alu instid0(VALU_DEP_1) | instskip(NEXT) | instid1(VALU_DEP_1)
	v_add_nc_u32_e32 v0, 8, v148
	v_cmp_le_i32_e64 s6, s18, v0
	s_delay_alu instid0(VALU_DEP_1) | instskip(NEXT) | instid1(SALU_CYCLE_1)
	s_or_b32 s7, vcc_lo, s6
	v_cndmask_b32_e64 v149, 0, 0x7f7fffff, s7
	s_or_b32 s7, s27, s7
	s_delay_alu instid0(SALU_CYCLE_1) | instskip(NEXT) | instid1(SALU_CYCLE_1)
	s_xor_b32 s7, s7, -1
	s_and_saveexec_b32 s22, s7
	s_cbranch_execz .LBB20_38
; %bb.37:                               ;   in Loop: Header=BB20_36 Depth=1
	v_add_co_u32 v1, s7, v80, v66
	s_delay_alu instid0(VALU_DEP_1)
	v_add_co_ci_u32_e64 v2, s7, v81, v67, s7
	flat_load_b32 v1, v[1:2]
	s_waitcnt vmcnt(0) lgkmcnt(0)
	v_mul_f32_e32 v149, s19, v1
.LBB20_38:                              ;   in Loop: Header=BB20_36 Depth=1
	s_or_b32 exec_lo, exec_lo, s22
	v_min_i32_e32 v2, s29, v0
	s_delay_alu instid0(VALU_DEP_1) | instskip(NEXT) | instid1(VALU_DEP_1)
	v_mad_i64_i32 v[0:1], null, v2, s30, 0
	v_lshlrev_b64 v[0:1], 2, v[0:1]
	s_delay_alu instid0(VALU_DEP_1) | instskip(NEXT) | instid1(VALU_DEP_1)
	v_add_co_u32 v0, s7, s8, v0
	v_add_co_ci_u32_e64 v1, s7, s9, v1, s7
	s_or_b32 s7, s2, s6
	s_delay_alu instid0(SALU_CYCLE_1) | instskip(SKIP_1) | instid1(SALU_CYCLE_1)
	v_cndmask_b32_e64 v150, 0, 0x7f7fffff, s7
	s_or_b32 s7, s27, s7
	s_xor_b32 s7, s7, -1
	s_delay_alu instid0(SALU_CYCLE_1)
	s_and_saveexec_b32 s22, s7
	s_cbranch_execz .LBB20_40
; %bb.39:                               ;   in Loop: Header=BB20_36 Depth=1
	v_add_co_u32 v2, s7, v0, v68
	s_delay_alu instid0(VALU_DEP_1)
	v_add_co_ci_u32_e64 v3, s7, v1, v69, s7
	flat_load_b32 v2, v[2:3]
	s_waitcnt vmcnt(0) lgkmcnt(0)
	v_mul_f32_e32 v150, s19, v2
.LBB20_40:                              ;   in Loop: Header=BB20_36 Depth=1
	s_or_b32 exec_lo, exec_lo, s22
	s_or_b32 s7, s3, s6
	s_delay_alu instid0(SALU_CYCLE_1) | instskip(SKIP_1) | instid1(SALU_CYCLE_1)
	v_cndmask_b32_e64 v151, 0, 0x7f7fffff, s7
	s_or_b32 s7, s27, s7
	s_xor_b32 s7, s7, -1
	s_delay_alu instid0(SALU_CYCLE_1)
	s_and_saveexec_b32 s22, s7
	s_cbranch_execz .LBB20_42
; %bb.41:                               ;   in Loop: Header=BB20_36 Depth=1
	v_add_co_u32 v2, s7, v0, v68
	s_delay_alu instid0(VALU_DEP_1)
	v_add_co_ci_u32_e64 v3, s7, v1, v69, s7
	flat_load_b32 v2, v[2:3] offset:256
	s_waitcnt vmcnt(0) lgkmcnt(0)
	v_mul_f32_e32 v151, s19, v2
.LBB20_42:                              ;   in Loop: Header=BB20_36 Depth=1
	s_or_b32 exec_lo, exec_lo, s22
	s_or_b32 s7, s4, s6
	s_delay_alu instid0(SALU_CYCLE_1) | instskip(SKIP_1) | instid1(SALU_CYCLE_1)
	v_cndmask_b32_e64 v152, 0, 0x7f7fffff, s7
	s_or_b32 s7, s27, s7
	s_xor_b32 s7, s7, -1
	s_delay_alu instid0(SALU_CYCLE_1)
	s_and_saveexec_b32 s22, s7
	s_cbranch_execz .LBB20_44
; %bb.43:                               ;   in Loop: Header=BB20_36 Depth=1
	v_add_co_u32 v2, s7, v0, v68
	s_delay_alu instid0(VALU_DEP_1)
	v_add_co_ci_u32_e64 v3, s7, v1, v69, s7
	flat_load_b32 v2, v[2:3] offset:512
	s_waitcnt vmcnt(0) lgkmcnt(0)
	v_mul_f32_e32 v152, s19, v2
.LBB20_44:                              ;   in Loop: Header=BB20_36 Depth=1
	;; [unrolled: 17-line block ×3, first 2 shown]
	s_or_b32 exec_lo, exec_lo, s7
	ds_load_b128 v[32:35], v105
	ds_load_b128 v[28:31], v105 offset:128
	ds_load_b128 v[24:27], v105 offset:256
	;; [unrolled: 1-line block ×7, first 2 shown]
	ds_load_b128 v[60:63], v113
	ds_load_b128 v[56:59], v113 offset:512
	ds_load_b128 v[52:55], v113 offset:1024
	;; [unrolled: 1-line block ×7, first 2 shown]
	v_add_nc_u32_e32 v154, 12, v148
	ds_store_b32 v76, v149
	ds_store_2addr_stride64_b32 v75, v150, v151 offset1:4
	ds_store_2addr_stride64_b32 v75, v152, v153 offset0:8 offset1:12
	s_waitcnt lgkmcnt(0)
	s_barrier
	buffer_gl0_inv
	v_cmp_le_i32_e64 s6, s18, v154
	s_delay_alu instid0(VALU_DEP_1) | instskip(NEXT) | instid1(SALU_CYCLE_1)
	s_or_b32 s7, vcc_lo, s6
	v_cndmask_b32_e64 v148, 0, 0x7f7fffff, s7
	s_or_b32 s7, s27, s7
	s_delay_alu instid0(SALU_CYCLE_1) | instskip(NEXT) | instid1(SALU_CYCLE_1)
	s_xor_b32 s7, s7, -1
	s_and_saveexec_b32 s22, s7
	s_cbranch_execz .LBB20_48
; %bb.47:                               ;   in Loop: Header=BB20_36 Depth=1
	v_add_co_u32 v148, s7, v80, v64
	s_delay_alu instid0(VALU_DEP_1)
	v_add_co_ci_u32_e64 v149, s7, v81, v65, s7
	flat_load_b32 v70, v[148:149]
	s_waitcnt vmcnt(0) lgkmcnt(0)
	v_mul_f32_e32 v148, s19, v70
.LBB20_48:                              ;   in Loop: Header=BB20_36 Depth=1
	s_or_b32 exec_lo, exec_lo, s22
	v_min_i32_e32 v70, s29, v154
	s_delay_alu instid0(VALU_DEP_1) | instskip(NEXT) | instid1(VALU_DEP_1)
	v_mad_i64_i32 v[149:150], null, v70, s30, 0
	v_lshlrev_b64 v[149:150], 2, v[149:150]
	s_delay_alu instid0(VALU_DEP_1) | instskip(NEXT) | instid1(VALU_DEP_1)
	v_add_co_u32 v152, s7, s8, v149
	v_add_co_ci_u32_e64 v153, s7, s9, v150, s7
	s_or_b32 s7, s2, s6
	s_delay_alu instid0(SALU_CYCLE_1) | instskip(SKIP_1) | instid1(SALU_CYCLE_1)
	v_cndmask_b32_e64 v149, 0, 0x7f7fffff, s7
	s_or_b32 s7, s27, s7
	s_xor_b32 s7, s7, -1
	s_delay_alu instid0(SALU_CYCLE_1)
	s_and_saveexec_b32 s22, s7
	s_cbranch_execz .LBB20_50
; %bb.49:                               ;   in Loop: Header=BB20_36 Depth=1
	v_add_co_u32 v149, s7, v152, v68
	s_delay_alu instid0(VALU_DEP_1)
	v_add_co_ci_u32_e64 v150, s7, v153, v69, s7
	flat_load_b32 v70, v[149:150]
	s_waitcnt vmcnt(0) lgkmcnt(0)
	v_mul_f32_e32 v149, s19, v70
.LBB20_50:                              ;   in Loop: Header=BB20_36 Depth=1
	s_or_b32 exec_lo, exec_lo, s22
	s_or_b32 s7, s3, s6
	s_delay_alu instid0(SALU_CYCLE_1) | instskip(SKIP_1) | instid1(SALU_CYCLE_1)
	v_cndmask_b32_e64 v150, 0, 0x7f7fffff, s7
	s_or_b32 s7, s27, s7
	s_xor_b32 s7, s7, -1
	s_delay_alu instid0(SALU_CYCLE_1)
	s_and_saveexec_b32 s22, s7
	s_cbranch_execz .LBB20_52
; %bb.51:                               ;   in Loop: Header=BB20_36 Depth=1
	v_add_co_u32 v150, s7, v152, v68
	s_delay_alu instid0(VALU_DEP_1)
	v_add_co_ci_u32_e64 v151, s7, v153, v69, s7
	flat_load_b32 v70, v[150:151] offset:256
	s_waitcnt vmcnt(0) lgkmcnt(0)
	v_mul_f32_e32 v150, s19, v70
.LBB20_52:                              ;   in Loop: Header=BB20_36 Depth=1
	s_or_b32 exec_lo, exec_lo, s22
	s_or_b32 s7, s4, s6
	s_delay_alu instid0(SALU_CYCLE_1) | instskip(SKIP_1) | instid1(SALU_CYCLE_1)
	v_cndmask_b32_e64 v151, 0, 0x7f7fffff, s7
	s_or_b32 s7, s27, s7
	s_xor_b32 s7, s7, -1
	s_delay_alu instid0(SALU_CYCLE_1)
	s_and_saveexec_b32 s22, s7
	s_cbranch_execz .LBB20_54
; %bb.53:                               ;   in Loop: Header=BB20_36 Depth=1
	v_add_co_u32 v154, s7, v152, v68
	s_delay_alu instid0(VALU_DEP_1)
	v_add_co_ci_u32_e64 v155, s7, v153, v69, s7
	flat_load_b32 v70, v[154:155] offset:512
	s_waitcnt vmcnt(0) lgkmcnt(0)
	v_mul_f32_e32 v151, s19, v70
.LBB20_54:                              ;   in Loop: Header=BB20_36 Depth=1
	s_or_b32 exec_lo, exec_lo, s22
	v_dual_add_f32 v70, v33, v61 :: v_dual_add_f32 v71, v32, v60
	v_dual_add_f32 v154, v29, v61 :: v_dual_add_f32 v155, v28, v60
	;; [unrolled: 1-line block ×3, first 2 shown]
	s_delay_alu instid0(VALU_DEP_3) | instskip(SKIP_1) | instid1(VALU_DEP_4)
	v_min3_f32 v70, v71, v70, v147
	v_add_f32_e32 v147, v16, v60
	v_min3_f32 v71, v155, v154, v146
	v_add_f32_e32 v146, v17, v61
	v_min3_f32 v145, v157, v156, v145
	v_dual_add_f32 v154, v13, v61 :: v_dual_add_f32 v155, v12, v60
	v_dual_add_f32 v156, v9, v61 :: v_dual_add_f32 v157, v8, v60
	;; [unrolled: 1-line block ×4, first 2 shown]
	v_min3_f32 v144, v147, v146, v144
	v_min3_f32 v143, v155, v154, v143
	v_dual_add_f32 v146, v29, v57 :: v_dual_add_f32 v147, v28, v56
	s_delay_alu instid0(VALU_DEP_4)
	v_min3_f32 v60, v60, v61, v140
	v_dual_add_f32 v61, v33, v57 :: v_dual_add_f32 v140, v32, v56
	v_dual_add_f32 v154, v25, v57 :: v_dual_add_f32 v155, v24, v56
	v_min3_f32 v142, v157, v156, v142
	v_min3_f32 v141, v159, v158, v141
	v_dual_add_f32 v156, v17, v57 :: v_dual_add_f32 v157, v16, v56
	v_dual_add_f32 v158, v13, v57 :: v_dual_add_f32 v159, v12, v56
	v_min3_f32 v61, v140, v61, v139
	v_min3_f32 v138, v147, v146, v138
	;; [unrolled: 1-line block ×3, first 2 shown]
	v_dual_add_f32 v139, v9, v57 :: v_dual_add_f32 v140, v8, v56
	v_dual_add_f32 v146, v5, v57 :: v_dual_add_f32 v147, v4, v56
	;; [unrolled: 1-line block ×4, first 2 shown]
	v_min3_f32 v136, v157, v156, v136
	v_dual_add_f32 v156, v29, v53 :: v_dual_add_f32 v157, v28, v52
	v_min3_f32 v134, v140, v139, v134
	v_min3_f32 v56, v56, v57, v132
	;; [unrolled: 1-line block ×3, first 2 shown]
	v_dual_add_f32 v131, v25, v53 :: v_dual_add_f32 v132, v24, v52
	v_dual_add_f32 v139, v17, v53 :: v_dual_add_f32 v140, v16, v52
	v_min3_f32 v133, v147, v146, v133
	v_min3_f32 v130, v157, v156, v130
	v_dual_add_f32 v146, v13, v53 :: v_dual_add_f32 v147, v12, v52
	v_dual_add_f32 v154, v9, v53 :: v_dual_add_f32 v155, v8, v52
	v_dual_add_f32 v156, v5, v53 :: v_dual_add_f32 v157, v4, v52
	v_min3_f32 v129, v132, v131, v129
	v_min3_f32 v128, v140, v139, v128
	v_dual_add_f32 v53, v1, v53 :: v_dual_add_f32 v52, v0, v52
	;; [unrolled: 5-line block ×3, first 2 shown]
	v_dual_add_f32 v154, v17, v49 :: v_dual_add_f32 v155, v16, v48
	v_min3_f32 v124, v52, v53, v124
	v_min3_f32 v123, v132, v131, v123
	;; [unrolled: 1-line block ×3, first 2 shown]
	v_dual_add_f32 v52, v13, v49 :: v_dual_add_f32 v53, v12, v48
	v_dual_add_f32 v131, v9, v49 :: v_dual_add_f32 v132, v8, v48
	;; [unrolled: 1-line block ×4, first 2 shown]
	v_min3_f32 v121, v147, v146, v121
	v_dual_add_f32 v146, v33, v45 :: v_dual_add_f32 v147, v32, v44
	v_min3_f32 v119, v53, v52, v119
	v_min3_f32 v118, v132, v131, v118
	;; [unrolled: 1-line block ×3, first 2 shown]
	v_dual_add_f32 v48, v29, v45 :: v_dual_add_f32 v49, v28, v44
	v_dual_add_f32 v52, v25, v45 :: v_dual_add_f32 v53, v24, v44
	;; [unrolled: 1-line block ×3, first 2 shown]
	v_min3_f32 v117, v140, v139, v117
	v_min3_f32 v115, v147, v146, v115
	v_dual_add_f32 v139, v13, v45 :: v_dual_add_f32 v140, v12, v44
	v_dual_add_f32 v146, v9, v45 :: v_dual_add_f32 v147, v8, v44
	v_min3_f32 v114, v49, v48, v114
	v_min3_f32 v112, v53, v52, v112
	;; [unrolled: 1-line block ×3, first 2 shown]
	v_dual_add_f32 v48, v5, v45 :: v_dual_add_f32 v49, v4, v44
	v_dual_add_f32 v45, v1, v45 :: v_dual_add_f32 v44, v0, v44
	;; [unrolled: 1-line block ×4, first 2 shown]
	v_min3_f32 v110, v140, v139, v110
	v_dual_add_f32 v139, v25, v41 :: v_dual_add_f32 v140, v24, v40
	v_min3_f32 v108, v49, v48, v108
	v_min3_f32 v107, v44, v45, v107
	;; [unrolled: 1-line block ×4, first 2 shown]
	v_dual_add_f32 v44, v17, v41 :: v_dual_add_f32 v45, v16, v40
	v_dual_add_f32 v48, v13, v41 :: v_dual_add_f32 v49, v12, v40
	;; [unrolled: 1-line block ×5, first 2 shown]
	v_min3_f32 v102, v45, v44, v102
	v_dual_add_f32 v44, v29, v37 :: v_dual_add_f32 v45, v28, v36
	v_min3_f32 v100, v53, v52, v100
	s_delay_alu instid0(VALU_DEP_4) | instskip(SKIP_4) | instid1(VALU_DEP_4)
	v_min3_f32 v98, v40, v41, v98
	v_dual_add_f32 v40, v33, v37 :: v_dual_add_f32 v41, v32, v36
	v_min3_f32 v99, v132, v131, v99
	v_dual_add_f32 v52, v17, v37 :: v_dual_add_f32 v53, v16, v36
	v_dual_add_f32 v131, v13, v37 :: v_dual_add_f32 v132, v12, v36
	v_min3_f32 v97, v41, v40, v97
	v_min3_f32 v96, v45, v44, v96
	v_dual_add_f32 v40, v9, v37 :: v_dual_add_f32 v41, v8, v36
	v_dual_add_f32 v44, v5, v37 :: v_dual_add_f32 v45, v4, v36
	;; [unrolled: 1-line block ×6, first 2 shown]
	v_min3_f32 v125, v157, v156, v125
	v_min3_f32 v120, v155, v154, v120
	;; [unrolled: 1-line block ×4, first 2 shown]
	v_dual_add_f32 v48, v25, v37 :: v_dual_add_f32 v49, v24, v36
	v_dual_add_f32 v37, v1, v37 :: v_dual_add_f32 v36, v0, v36
	;; [unrolled: 1-line block ×4, first 2 shown]
	v_min3_f32 v147, v16, v17, v86
	v_min3_f32 v154, v12, v13, v85
	;; [unrolled: 1-line block ×4, first 2 shown]
	v_dual_add_f32 v1, v1, v21 :: v_dual_add_f32 v0, v0, v20
	v_dual_add_f32 v4, v35, v63 :: v_dual_add_f32 v5, v34, v62
	;; [unrolled: 1-line block ×6, first 2 shown]
	v_min3_f32 v146, v28, v29, v88
	v_min3_f32 v24, v24, v25, v87
	v_min3_f32 v0, v0, v1, v82
	v_min3_f32 v25, v5, v4, v70
	v_min3_f32 v28, v9, v8, v71
	v_min3_f32 v29, v13, v12, v145
	v_min3_f32 v1, v17, v16, v144
	v_dual_add_f32 v4, v15, v63 :: v_dual_add_f32 v5, v14, v62
	v_dual_add_f32 v8, v11, v63 :: v_dual_add_f32 v9, v10, v62
	v_dual_add_f32 v12, v7, v63 :: v_dual_add_f32 v13, v6, v62
	v_dual_add_f32 v16, v3, v63 :: v_dual_add_f32 v17, v2, v62
	v_dual_add_f32 v20, v35, v59 :: v_dual_add_f32 v21, v34, v58
	v_min3_f32 v135, v159, v158, v135
	v_min3_f32 v103, v140, v139, v103
	;; [unrolled: 1-line block ×10, first 2 shown]
	v_dual_add_f32 v5, v31, v59 :: v_dual_add_f32 v8, v30, v58
	v_dual_add_f32 v9, v27, v59 :: v_dual_add_f32 v12, v26, v58
	;; [unrolled: 1-line block ×5, first 2 shown]
	v_min3_f32 v93, v132, v131, v93
	v_min3_f32 v131, v41, v40, v92
	;; [unrolled: 1-line block ×8, first 2 shown]
	v_dual_add_f32 v8, v7, v59 :: v_dual_add_f32 v9, v6, v58
	v_dual_add_f32 v12, v3, v59 :: v_dual_add_f32 v13, v2, v58
	;; [unrolled: 1-line block ×4, first 2 shown]
	v_min3_f32 v94, v53, v52, v94
	v_dual_add_f32 v58, v27, v55 :: v_dual_add_f32 v59, v26, v54
	v_min3_f32 v48, v9, v8, v133
	v_min3_f32 v49, v13, v12, v56
	;; [unrolled: 1-line block ×4, first 2 shown]
	v_dual_add_f32 v9, v19, v55 :: v_dual_add_f32 v12, v18, v54
	v_dual_add_f32 v13, v15, v55 :: v_dual_add_f32 v16, v14, v54
	;; [unrolled: 1-line block ×4, first 2 shown]
	v_add_f32_e32 v57, v6, v54
	v_min3_f32 v8, v59, v58, v129
	v_dual_add_f32 v58, v3, v55 :: v_dual_add_f32 v59, v2, v54
	v_min3_f32 v54, v12, v9, v128
	v_add_f32_e32 v12, v35, v51
	v_min3_f32 v55, v16, v13, v127
	v_min3_f32 v56, v20, v17, v126
	;; [unrolled: 1-line block ×3, first 2 shown]
	v_dual_add_f32 v13, v34, v50 :: v_dual_add_f32 v16, v31, v51
	v_dual_add_f32 v17, v30, v50 :: v_dual_add_f32 v20, v27, v51
	v_add_f32_e32 v21, v26, v50
	v_dual_add_f32 v61, v19, v51 :: v_dual_add_f32 v70, v14, v50
	v_add_f32_e32 v63, v15, v51
	v_min3_f32 v9, v59, v58, v124
	v_min3_f32 v58, v13, v12, v123
	;; [unrolled: 1-line block ×3, first 2 shown]
	v_add_f32_e32 v16, v10, v50
	v_min3_f32 v60, v21, v20, v121
	v_min3_f32 v61, v62, v61, v120
	;; [unrolled: 1-line block ×3, first 2 shown]
	v_dual_add_f32 v13, v11, v51 :: v_dual_add_f32 v20, v6, v50
	v_dual_add_f32 v17, v7, v51 :: v_dual_add_f32 v62, v2, v50
	;; [unrolled: 1-line block ×5, first 2 shown]
	v_min3_f32 v50, v16, v13, v118
	v_min3_f32 v51, v20, v17, v117
	;; [unrolled: 1-line block ×5, first 2 shown]
	v_dual_add_f32 v16, v27, v47 :: v_dual_add_f32 v17, v26, v46
	v_dual_add_f32 v20, v19, v47 :: v_dual_add_f32 v21, v18, v46
	;; [unrolled: 1-line block ×4, first 2 shown]
	v_add_f32_e32 v87, v7, v47
	v_min3_f32 v82, v17, v16, v112
	v_min3_f32 v83, v21, v20, v111
	v_add_f32_e32 v20, v2, v46
	v_min3_f32 v84, v71, v70, v110
	v_min3_f32 v16, v88, v87, v108
	v_dual_add_f32 v17, v3, v47 :: v_dual_add_f32 v88, v26, v42
	v_dual_add_f32 v21, v35, v43 :: v_dual_add_f32 v90, v18, v42
	;; [unrolled: 1-line block ×3, first 2 shown]
	v_add_f32_e32 v71, v30, v42
	v_add_f32_e32 v87, v27, v43
	v_add_f32_e32 v89, v19, v43
	v_min3_f32 v85, v86, v85, v109
	v_min3_f32 v46, v20, v17, v107
	;; [unrolled: 1-line block ×3, first 2 shown]
	v_add_f32_e32 v20, v15, v43
	v_min3_f32 v47, v47, v21, v106
	v_min3_f32 v17, v90, v89, v102
	v_dual_add_f32 v21, v14, v42 :: v_dual_add_f32 v70, v11, v43
	v_dual_add_f32 v71, v10, v42 :: v_dual_add_f32 v90, v3, v43
	;; [unrolled: 1-line block ×3, first 2 shown]
	v_add_f32_e32 v91, v2, v42
	v_add_f32_e32 v102, v34, v38
	v_min3_f32 v87, v88, v87, v103
	v_add_f32_e32 v88, v7, v43
	v_min3_f32 v42, v21, v20, v101
	v_min3_f32 v43, v71, v70, v100
	;; [unrolled: 1-line block ×3, first 2 shown]
	v_add_f32_e32 v92, v19, v39
	v_min3_f32 v88, v89, v88, v99
	v_min3_f32 v89, v91, v90, v98
	v_dual_add_f32 v21, v31, v39 :: v_dual_add_f32 v70, v30, v38
	v_dual_add_f32 v71, v27, v39 :: v_dual_add_f32 v34, v34, v22
	;; [unrolled: 1-line block ×4, first 2 shown]
	v_add_f32_e32 v35, v35, v23
	v_add_f32_e32 v99, v14, v38
	;; [unrolled: 1-line block ×3, first 2 shown]
	v_min3_f32 v91, v91, v71, v95
	v_min3_f32 v92, v97, v92, v94
	v_add_f32_e32 v71, v6, v38
	v_add_f32_e32 v38, v2, v38
	v_min3_f32 v90, v70, v21, v96
	v_add_f32_e32 v70, v7, v39
	v_dual_add_f32 v39, v3, v39 :: v_dual_add_f32 v94, v30, v22
	v_dual_add_f32 v31, v31, v23 :: v_dual_add_f32 v18, v18, v22
	;; [unrolled: 1-line block ×3, first 2 shown]
	v_add_f32_e32 v96, v26, v22
	v_min3_f32 v30, v34, v35, v140
	v_dual_add_f32 v19, v19, v23 :: v_dual_add_f32 v10, v10, v22
	v_dual_add_f32 v15, v15, v23 :: v_dual_add_f32 v2, v2, v22
	v_add_f32_e32 v11, v11, v23
	v_dual_add_f32 v34, v7, v23 :: v_dual_add_f32 v35, v6, v22
	v_add_f32_e32 v23, v3, v23
	s_or_b32 s6, s5, s6
	v_min3_f32 v93, v99, v98, v93
	v_min3_f32 v21, v101, v100, v131
	v_min3_f32 v26, v71, v70, v132
	v_min3_f32 v27, v38, v39, v139
	v_min3_f32 v31, v94, v31, v146
	v_min3_f32 v24, v96, v95, v24
	v_min3_f32 v3, v18, v19, v147
	v_min3_f32 v6, v14, v15, v154
	v_min3_f32 v7, v10, v11, v155
	v_min3_f32 v10, v35, v34, v156
	v_min3_f32 v2, v2, v23, v0
	v_cndmask_b32_e64 v0, 0, 0x7f7fffff, s6
	s_or_b32 s6, s27, s6
	s_delay_alu instid0(SALU_CYCLE_1) | instskip(NEXT) | instid1(SALU_CYCLE_1)
	s_xor_b32 s6, s6, -1
	s_and_saveexec_b32 s7, s6
	s_cbranch_execz .LBB20_35
; %bb.55:                               ;   in Loop: Header=BB20_36 Depth=1
	v_add_co_u32 v14, s6, v152, v68
	s_delay_alu instid0(VALU_DEP_1)
	v_add_co_ci_u32_e64 v15, s6, v153, v69, s6
	flat_load_b32 v0, v[14:15] offset:768
	s_waitcnt vmcnt(0) lgkmcnt(0)
	v_mul_f32_e32 v0, s19, v0
	s_branch .LBB20_35
.LBB20_56:
	s_clause 0x1
	scratch_load_b32 v200, off, off offset:4
	scratch_load_b32 v201, off, off offset:8
.LBB20_57:
	s_clause 0x2
	s_load_b32 s14, s[0:1], 0x50
	s_load_b32 s9, s[0:1], 0x68
	s_load_b64 s[0:1], s[0:1], 0x70
	s_waitcnt vmcnt(0)
	v_add_nc_u32_e32 v113, s28, v201
	ds_load_b128 v[32:35], v74 offset:9216
	ds_load_b128 v[28:31], v74 offset:9344
	;; [unrolled: 1-line block ×16, first 2 shown]
	v_add_nc_u32_e32 v64, s26, v200
	v_cmp_gt_i32_e64 s8, s17, v113
	v_cndmask_b32_e64 v105, 0, 1, s25
	s_waitcnt lgkmcnt(0)
	v_mad_i64_i32 v[65:66], null, v113, s14, 0
	v_mad_i64_i32 v[67:68], null, v113, s9, 0
	s_lshl_b64 s[0:1], s[0:1], 2
	s_delay_alu instid0(SALU_CYCLE_1) | instskip(SKIP_1) | instid1(VALU_DEP_2)
	s_add_u32 s12, s12, s0
	s_addc_u32 s13, s13, s1
	v_lshlrev_b64 v[65:66], 2, v[65:66]
	v_cmp_gt_i32_e64 s0, s16, v64
	s_delay_alu instid0(VALU_DEP_3) | instskip(NEXT) | instid1(VALU_DEP_2)
	v_lshlrev_b64 v[67:68], 2, v[67:68]
	s_and_b32 s2, s0, s8
	s_delay_alu instid0(VALU_DEP_3) | instskip(NEXT) | instid1(VALU_DEP_4)
	v_add_co_u32 v150, vcc_lo, s10, v65
	v_add_co_ci_u32_e32 v151, vcc_lo, s11, v66, vcc_lo
	s_delay_alu instid0(VALU_DEP_3) | instskip(NEXT) | instid1(VALU_DEP_4)
	v_add_co_u32 v148, vcc_lo, s12, v67
	v_add_co_ci_u32_e32 v149, vcc_lo, s13, v68, vcc_lo
	v_ashrrev_i32_e32 v65, 31, v64
	s_and_saveexec_b32 s1, s2
	s_cbranch_execz .LBB20_62
; %bb.58:
	s_delay_alu instid0(VALU_DEP_1)
	v_lshlrev_b64 v[66:67], 2, v[64:65]
	s_and_not1_b32 vcc_lo, exec_lo, s25
	s_cbranch_vccnz .LBB20_60
; %bb.59:
	s_delay_alu instid0(VALU_DEP_1) | instskip(NEXT) | instid1(VALU_DEP_2)
	v_add_co_u32 v68, vcc_lo, v150, v66
	v_add_co_ci_u32_e32 v69, vcc_lo, v151, v67, vcc_lo
	flat_load_b32 v68, v[68:69]
	s_waitcnt vmcnt(0) lgkmcnt(0)
	v_mul_f32_e32 v68, s24, v68
	s_branch .LBB20_61
.LBB20_60:
	v_mov_b32_e32 v68, 0
.LBB20_61:
	v_dual_add_f32 v69, v33, v61 :: v_dual_add_f32 v70, v32, v60
	v_dual_add_f32 v71, v35, v63 :: v_dual_add_f32 v72, v34, v62
	v_add_co_u32 v66, vcc_lo, v148, v66
	s_delay_alu instid0(VALU_DEP_3) | instskip(SKIP_1) | instid1(VALU_DEP_4)
	v_min3_f32 v69, v70, v69, v147
	v_add_co_ci_u32_e32 v67, vcc_lo, v149, v67, vcc_lo
	v_min_f32_e32 v70, v72, v71
	s_delay_alu instid0(VALU_DEP_1)
	v_min3_f32 v68, v68, v70, v69
	global_store_b32 v[66:67], v68, off
.LBB20_62:
	s_or_b32 exec_lo, exec_lo, s1
	v_add_nc_u32_e32 v66, 8, v64
	s_delay_alu instid0(VALU_DEP_1) | instskip(SKIP_1) | instid1(VALU_DEP_2)
	v_cmp_gt_i32_e64 s1, s16, v66
	v_ashrrev_i32_e32 v67, 31, v66
	s_and_b32 s3, s1, s8
	s_delay_alu instid0(SALU_CYCLE_1)
	s_and_saveexec_b32 s2, s3
	s_cbranch_execz .LBB20_67
; %bb.63:
	v_cmp_ne_u32_e32 vcc_lo, 1, v105
	v_lshlrev_b64 v[68:69], 2, v[66:67]
	s_cbranch_vccnz .LBB20_65
; %bb.64:
	s_delay_alu instid0(VALU_DEP_1) | instskip(NEXT) | instid1(VALU_DEP_2)
	v_add_co_u32 v70, vcc_lo, v150, v68
	v_add_co_ci_u32_e32 v71, vcc_lo, v151, v69, vcc_lo
	flat_load_b32 v70, v[70:71]
	s_waitcnt vmcnt(0) lgkmcnt(0)
	v_mul_f32_e32 v70, s24, v70
	s_branch .LBB20_66
.LBB20_65:
	v_mov_b32_e32 v70, 0
.LBB20_66:
	v_dual_add_f32 v71, v29, v61 :: v_dual_add_f32 v72, v28, v60
	v_dual_add_f32 v73, v31, v63 :: v_dual_add_f32 v74, v30, v62
	s_delay_alu instid0(VALU_DEP_4) | instskip(NEXT) | instid1(VALU_DEP_3)
	v_add_co_u32 v68, vcc_lo, v148, v68
	v_min3_f32 v71, v72, v71, v146
	v_add_co_ci_u32_e32 v69, vcc_lo, v149, v69, vcc_lo
	s_delay_alu instid0(VALU_DEP_4) | instskip(NEXT) | instid1(VALU_DEP_1)
	v_min_f32_e32 v72, v74, v73
	v_min3_f32 v70, v70, v72, v71
	global_store_b32 v[68:69], v70, off
.LBB20_67:
	s_or_b32 exec_lo, exec_lo, s2
	v_add_nc_u32_e32 v68, 16, v64
	s_delay_alu instid0(VALU_DEP_1) | instskip(SKIP_1) | instid1(VALU_DEP_2)
	v_cmp_gt_i32_e64 s2, s16, v68
	v_ashrrev_i32_e32 v69, 31, v68
	s_and_b32 s4, s2, s8
	s_delay_alu instid0(SALU_CYCLE_1)
	s_and_saveexec_b32 s3, s4
	s_cbranch_execz .LBB20_72
; %bb.68:
	v_cmp_ne_u32_e32 vcc_lo, 1, v105
	v_lshlrev_b64 v[70:71], 2, v[68:69]
	s_cbranch_vccnz .LBB20_70
; %bb.69:
	s_delay_alu instid0(VALU_DEP_1) | instskip(NEXT) | instid1(VALU_DEP_2)
	v_add_co_u32 v72, vcc_lo, v150, v70
	v_add_co_ci_u32_e32 v73, vcc_lo, v151, v71, vcc_lo
	flat_load_b32 v72, v[72:73]
	s_waitcnt vmcnt(0) lgkmcnt(0)
	v_mul_f32_e32 v72, s24, v72
	s_branch .LBB20_71
.LBB20_70:
	v_mov_b32_e32 v72, 0
.LBB20_71:
	v_dual_add_f32 v73, v25, v61 :: v_dual_add_f32 v74, v24, v60
	v_dual_add_f32 v75, v27, v63 :: v_dual_add_f32 v76, v26, v62
	s_delay_alu instid0(VALU_DEP_4) | instskip(NEXT) | instid1(VALU_DEP_3)
	v_add_co_u32 v70, vcc_lo, v148, v70
	v_min3_f32 v73, v74, v73, v145
	v_add_co_ci_u32_e32 v71, vcc_lo, v149, v71, vcc_lo
	s_delay_alu instid0(VALU_DEP_4) | instskip(NEXT) | instid1(VALU_DEP_1)
	v_min_f32_e32 v74, v76, v75
	v_min3_f32 v72, v72, v74, v73
	global_store_b32 v[70:71], v72, off
.LBB20_72:
	;; [unrolled: 35-line block ×4, first 2 shown]
	s_or_b32 exec_lo, exec_lo, s5
	v_add_nc_u32_e32 v74, 40, v64
	s_delay_alu instid0(VALU_DEP_1) | instskip(SKIP_1) | instid1(VALU_DEP_2)
	v_cmp_gt_i32_e64 s5, s16, v74
	v_ashrrev_i32_e32 v75, 31, v74
	s_and_b32 s7, s5, s8
	s_delay_alu instid0(SALU_CYCLE_1)
	s_and_saveexec_b32 s6, s7
	s_cbranch_execz .LBB20_87
; %bb.83:
	v_cmp_ne_u32_e32 vcc_lo, 1, v105
	v_lshlrev_b64 v[76:77], 2, v[74:75]
	s_cbranch_vccnz .LBB20_85
; %bb.84:
	s_delay_alu instid0(VALU_DEP_1) | instskip(NEXT) | instid1(VALU_DEP_2)
	v_add_co_u32 v78, vcc_lo, v150, v76
	v_add_co_ci_u32_e32 v79, vcc_lo, v151, v77, vcc_lo
	flat_load_b32 v78, v[78:79]
	s_waitcnt vmcnt(0) lgkmcnt(0)
	v_mul_f32_e32 v78, s24, v78
	s_branch .LBB20_86
.LBB20_85:
	v_mov_b32_e32 v78, 0
.LBB20_86:
	v_dual_add_f32 v79, v13, v61 :: v_dual_add_f32 v80, v12, v60
	v_add_f32_e32 v81, v15, v63
	v_add_f32_e32 v143, v14, v62
	v_add_co_u32 v76, vcc_lo, v148, v76
	s_delay_alu instid0(VALU_DEP_4) | instskip(SKIP_1) | instid1(VALU_DEP_4)
	v_min3_f32 v79, v80, v79, v142
	v_add_co_ci_u32_e32 v77, vcc_lo, v149, v77, vcc_lo
	v_min_f32_e32 v80, v143, v81
	s_delay_alu instid0(VALU_DEP_1)
	v_min3_f32 v78, v78, v80, v79
	global_store_b32 v[76:77], v78, off
.LBB20_87:
	s_or_b32 exec_lo, exec_lo, s6
	v_add_nc_u32_e32 v76, 48, v64
	s_delay_alu instid0(VALU_DEP_1) | instskip(SKIP_1) | instid1(VALU_DEP_2)
	v_cmp_gt_i32_e64 s6, s16, v76
	v_ashrrev_i32_e32 v77, 31, v76
	s_and_b32 s15, s6, s8
	s_delay_alu instid0(SALU_CYCLE_1)
	s_and_saveexec_b32 s7, s15
	s_cbranch_execz .LBB20_92
; %bb.88:
	v_cmp_ne_u32_e32 vcc_lo, 1, v105
	v_lshlrev_b64 v[78:79], 2, v[76:77]
	s_cbranch_vccnz .LBB20_90
; %bb.89:
	s_delay_alu instid0(VALU_DEP_1) | instskip(NEXT) | instid1(VALU_DEP_2)
	v_add_co_u32 v80, vcc_lo, v150, v78
	v_add_co_ci_u32_e32 v81, vcc_lo, v151, v79, vcc_lo
	flat_load_b32 v80, v[80:81]
	s_waitcnt vmcnt(0) lgkmcnt(0)
	v_mul_f32_e32 v80, s24, v80
	s_branch .LBB20_91
.LBB20_90:
	v_mov_b32_e32 v80, 0
.LBB20_91:
	v_dual_add_f32 v81, v9, v61 :: v_dual_add_f32 v142, v8, v60
	v_dual_add_f32 v143, v11, v63 :: v_dual_add_f32 v144, v10, v62
	s_delay_alu instid0(VALU_DEP_4) | instskip(NEXT) | instid1(VALU_DEP_3)
	v_add_co_u32 v78, vcc_lo, v148, v78
	v_min3_f32 v81, v142, v81, v141
	v_add_co_ci_u32_e32 v79, vcc_lo, v149, v79, vcc_lo
	s_delay_alu instid0(VALU_DEP_4) | instskip(NEXT) | instid1(VALU_DEP_1)
	v_min_f32_e32 v141, v144, v143
	v_min3_f32 v80, v80, v141, v81
	global_store_b32 v[78:79], v80, off
.LBB20_92:
	s_or_b32 exec_lo, exec_lo, s7
	v_add_nc_u32_e32 v78, 56, v64
	s_delay_alu instid0(VALU_DEP_1) | instskip(SKIP_1) | instid1(VALU_DEP_2)
	v_cmp_gt_i32_e64 s7, s16, v78
	v_ashrrev_i32_e32 v79, 31, v78
	s_and_b32 s15, s7, s8
	s_delay_alu instid0(SALU_CYCLE_1)
	s_and_saveexec_b32 s8, s15
	s_cbranch_execz .LBB20_97
; %bb.93:
	v_cmp_ne_u32_e32 vcc_lo, 1, v105
	v_lshlrev_b64 v[80:81], 2, v[78:79]
	s_cbranch_vccnz .LBB20_95
; %bb.94:
	s_delay_alu instid0(VALU_DEP_1) | instskip(NEXT) | instid1(VALU_DEP_2)
	v_add_co_u32 v141, vcc_lo, v150, v80
	v_add_co_ci_u32_e32 v142, vcc_lo, v151, v81, vcc_lo
	flat_load_b32 v141, v[141:142]
	s_waitcnt vmcnt(0) lgkmcnt(0)
	v_mul_f32_e32 v141, s24, v141
	s_branch .LBB20_96
.LBB20_95:
	v_mov_b32_e32 v141, 0
.LBB20_96:
	v_dual_add_f32 v61, v1, v61 :: v_dual_add_f32 v60, v0, v60
	v_dual_add_f32 v63, v3, v63 :: v_dual_add_f32 v62, v2, v62
	s_delay_alu instid0(VALU_DEP_2) | instskip(NEXT) | instid1(VALU_DEP_2)
	v_min3_f32 v60, v60, v61, v140
	v_min_f32_e32 v61, v62, v63
	s_delay_alu instid0(VALU_DEP_1)
	v_min3_f32 v62, v141, v61, v60
	v_add_co_u32 v60, vcc_lo, v148, v80
	v_add_co_ci_u32_e32 v61, vcc_lo, v149, v81, vcc_lo
	global_store_b32 v[60:61], v62, off
.LBB20_97:
	s_or_b32 exec_lo, exec_lo, s8
	v_add_nc_u32_e32 v80, 32, v113
	s_delay_alu instid0(VALU_DEP_1) | instskip(SKIP_2) | instid1(VALU_DEP_3)
	v_mad_i64_i32 v[60:61], null, v80, s14, 0
	v_mad_i64_i32 v[62:63], null, v80, s9, 0
	v_cmp_gt_i32_e64 s8, s17, v80
	v_lshlrev_b64 v[60:61], 2, v[60:61]
	s_delay_alu instid0(VALU_DEP_2) | instskip(NEXT) | instid1(VALU_DEP_3)
	s_and_b32 s16, s0, s8
	v_lshlrev_b64 v[62:63], 2, v[62:63]
	s_delay_alu instid0(VALU_DEP_2) | instskip(NEXT) | instid1(VALU_DEP_3)
	v_add_co_u32 v80, vcc_lo, s10, v60
	v_add_co_ci_u32_e32 v81, vcc_lo, s11, v61, vcc_lo
	s_delay_alu instid0(VALU_DEP_3) | instskip(NEXT) | instid1(VALU_DEP_4)
	v_add_co_u32 v62, vcc_lo, s12, v62
	v_add_co_ci_u32_e32 v63, vcc_lo, s13, v63, vcc_lo
	s_and_saveexec_b32 s15, s16
	s_cbranch_execnz .LBB20_105
; %bb.98:
	s_or_b32 exec_lo, exec_lo, s15
	s_and_b32 s16, s1, s8
	s_delay_alu instid0(SALU_CYCLE_1)
	s_and_saveexec_b32 s15, s16
	s_cbranch_execnz .LBB20_109
.LBB20_99:
	s_or_b32 exec_lo, exec_lo, s15
	s_and_b32 s16, s2, s8
	s_delay_alu instid0(SALU_CYCLE_1)
	s_and_saveexec_b32 s15, s16
	s_cbranch_execnz .LBB20_113
.LBB20_100:
	s_or_b32 exec_lo, exec_lo, s15
	s_and_b32 s16, s3, s8
	s_delay_alu instid0(SALU_CYCLE_1)
	s_and_saveexec_b32 s15, s16
	s_cbranch_execnz .LBB20_117
.LBB20_101:
	s_or_b32 exec_lo, exec_lo, s15
	s_and_b32 s16, s4, s8
	s_delay_alu instid0(SALU_CYCLE_1)
	s_and_saveexec_b32 s15, s16
	s_cbranch_execnz .LBB20_121
.LBB20_102:
	s_or_b32 exec_lo, exec_lo, s15
	s_and_b32 s16, s5, s8
	s_delay_alu instid0(SALU_CYCLE_1)
	s_and_saveexec_b32 s15, s16
	s_cbranch_execnz .LBB20_125
.LBB20_103:
	s_or_b32 exec_lo, exec_lo, s15
	s_and_b32 s16, s6, s8
	s_delay_alu instid0(SALU_CYCLE_1)
	s_and_saveexec_b32 s15, s16
	s_cbranch_execnz .LBB20_129
.LBB20_104:
	s_or_b32 exec_lo, exec_lo, s15
	s_and_b32 s15, s7, s8
	s_delay_alu instid0(SALU_CYCLE_1)
	s_and_saveexec_b32 s8, s15
	s_cbranch_execnz .LBB20_133
	s_branch .LBB20_137
.LBB20_105:
	v_cmp_ne_u32_e32 vcc_lo, 1, v105
	v_lshlrev_b64 v[60:61], 2, v[64:65]
	s_cbranch_vccnz .LBB20_107
; %bb.106:
	s_delay_alu instid0(VALU_DEP_1) | instskip(NEXT) | instid1(VALU_DEP_2)
	v_add_co_u32 v140, vcc_lo, v80, v60
	v_add_co_ci_u32_e32 v141, vcc_lo, v81, v61, vcc_lo
	flat_load_b32 v140, v[140:141]
	s_waitcnt vmcnt(0) lgkmcnt(0)
	v_mul_f32_e32 v140, s24, v140
	s_branch .LBB20_108
.LBB20_107:
	v_mov_b32_e32 v140, 0
.LBB20_108:
	v_dual_add_f32 v141, v33, v57 :: v_dual_add_f32 v142, v32, v56
	v_dual_add_f32 v143, v35, v59 :: v_dual_add_f32 v144, v34, v58
	s_delay_alu instid0(VALU_DEP_4) | instskip(NEXT) | instid1(VALU_DEP_3)
	v_add_co_u32 v60, vcc_lo, v62, v60
	v_min3_f32 v139, v142, v141, v139
	v_add_co_ci_u32_e32 v61, vcc_lo, v63, v61, vcc_lo
	s_delay_alu instid0(VALU_DEP_4) | instskip(NEXT) | instid1(VALU_DEP_1)
	v_min_f32_e32 v141, v144, v143
	v_min3_f32 v139, v140, v141, v139
	global_store_b32 v[60:61], v139, off
	s_or_b32 exec_lo, exec_lo, s15
	s_and_b32 s16, s1, s8
	s_delay_alu instid0(SALU_CYCLE_1)
	s_and_saveexec_b32 s15, s16
	s_cbranch_execz .LBB20_99
.LBB20_109:
	v_cmp_ne_u32_e32 vcc_lo, 1, v105
	v_lshlrev_b64 v[60:61], 2, v[66:67]
	s_cbranch_vccnz .LBB20_111
; %bb.110:
	s_delay_alu instid0(VALU_DEP_1) | instskip(NEXT) | instid1(VALU_DEP_2)
	v_add_co_u32 v139, vcc_lo, v80, v60
	v_add_co_ci_u32_e32 v140, vcc_lo, v81, v61, vcc_lo
	flat_load_b32 v139, v[139:140]
	s_waitcnt vmcnt(0) lgkmcnt(0)
	v_mul_f32_e32 v139, s24, v139
	s_branch .LBB20_112
.LBB20_111:
	v_mov_b32_e32 v139, 0
.LBB20_112:
	v_dual_add_f32 v140, v29, v57 :: v_dual_add_f32 v141, v28, v56
	v_dual_add_f32 v142, v31, v59 :: v_dual_add_f32 v143, v30, v58
	s_delay_alu instid0(VALU_DEP_4) | instskip(NEXT) | instid1(VALU_DEP_3)
	v_add_co_u32 v60, vcc_lo, v62, v60
	v_min3_f32 v138, v141, v140, v138
	v_add_co_ci_u32_e32 v61, vcc_lo, v63, v61, vcc_lo
	s_delay_alu instid0(VALU_DEP_4) | instskip(NEXT) | instid1(VALU_DEP_1)
	v_min_f32_e32 v140, v143, v142
	v_min3_f32 v138, v139, v140, v138
	global_store_b32 v[60:61], v138, off
	s_or_b32 exec_lo, exec_lo, s15
	s_and_b32 s16, s2, s8
	s_delay_alu instid0(SALU_CYCLE_1)
	s_and_saveexec_b32 s15, s16
	s_cbranch_execz .LBB20_100
.LBB20_113:
	v_cmp_ne_u32_e32 vcc_lo, 1, v105
	v_lshlrev_b64 v[60:61], 2, v[68:69]
	s_cbranch_vccnz .LBB20_115
; %bb.114:
	s_delay_alu instid0(VALU_DEP_1) | instskip(NEXT) | instid1(VALU_DEP_2)
	v_add_co_u32 v138, vcc_lo, v80, v60
	v_add_co_ci_u32_e32 v139, vcc_lo, v81, v61, vcc_lo
	flat_load_b32 v138, v[138:139]
	s_waitcnt vmcnt(0) lgkmcnt(0)
	v_mul_f32_e32 v138, s24, v138
	s_branch .LBB20_116
.LBB20_115:
	v_mov_b32_e32 v138, 0
.LBB20_116:
	v_dual_add_f32 v139, v25, v57 :: v_dual_add_f32 v140, v24, v56
	v_dual_add_f32 v141, v27, v59 :: v_dual_add_f32 v142, v26, v58
	s_delay_alu instid0(VALU_DEP_4) | instskip(NEXT) | instid1(VALU_DEP_3)
	v_add_co_u32 v60, vcc_lo, v62, v60
	v_min3_f32 v137, v140, v139, v137
	v_add_co_ci_u32_e32 v61, vcc_lo, v63, v61, vcc_lo
	s_delay_alu instid0(VALU_DEP_4) | instskip(NEXT) | instid1(VALU_DEP_1)
	v_min_f32_e32 v139, v142, v141
	v_min3_f32 v137, v138, v139, v137
	global_store_b32 v[60:61], v137, off
	s_or_b32 exec_lo, exec_lo, s15
	s_and_b32 s16, s3, s8
	s_delay_alu instid0(SALU_CYCLE_1)
	s_and_saveexec_b32 s15, s16
	s_cbranch_execz .LBB20_101
.LBB20_117:
	v_cmp_ne_u32_e32 vcc_lo, 1, v105
	v_lshlrev_b64 v[60:61], 2, v[70:71]
	s_cbranch_vccnz .LBB20_119
; %bb.118:
	s_delay_alu instid0(VALU_DEP_1) | instskip(NEXT) | instid1(VALU_DEP_2)
	v_add_co_u32 v137, vcc_lo, v80, v60
	v_add_co_ci_u32_e32 v138, vcc_lo, v81, v61, vcc_lo
	flat_load_b32 v137, v[137:138]
	s_waitcnt vmcnt(0) lgkmcnt(0)
	v_mul_f32_e32 v137, s24, v137
	s_branch .LBB20_120
.LBB20_119:
	v_mov_b32_e32 v137, 0
.LBB20_120:
	v_dual_add_f32 v138, v21, v57 :: v_dual_add_f32 v139, v20, v56
	v_dual_add_f32 v140, v23, v59 :: v_dual_add_f32 v141, v22, v58
	s_delay_alu instid0(VALU_DEP_4) | instskip(NEXT) | instid1(VALU_DEP_3)
	v_add_co_u32 v60, vcc_lo, v62, v60
	v_min3_f32 v136, v139, v138, v136
	v_add_co_ci_u32_e32 v61, vcc_lo, v63, v61, vcc_lo
	s_delay_alu instid0(VALU_DEP_4) | instskip(NEXT) | instid1(VALU_DEP_1)
	v_min_f32_e32 v138, v141, v140
	v_min3_f32 v136, v137, v138, v136
	global_store_b32 v[60:61], v136, off
	s_or_b32 exec_lo, exec_lo, s15
	s_and_b32 s16, s4, s8
	s_delay_alu instid0(SALU_CYCLE_1)
	s_and_saveexec_b32 s15, s16
	s_cbranch_execz .LBB20_102
.LBB20_121:
	v_cmp_ne_u32_e32 vcc_lo, 1, v105
	v_lshlrev_b64 v[60:61], 2, v[72:73]
	s_cbranch_vccnz .LBB20_123
; %bb.122:
	s_delay_alu instid0(VALU_DEP_1) | instskip(NEXT) | instid1(VALU_DEP_2)
	v_add_co_u32 v136, vcc_lo, v80, v60
	v_add_co_ci_u32_e32 v137, vcc_lo, v81, v61, vcc_lo
	flat_load_b32 v136, v[136:137]
	s_waitcnt vmcnt(0) lgkmcnt(0)
	v_mul_f32_e32 v136, s24, v136
	s_branch .LBB20_124
.LBB20_123:
	v_mov_b32_e32 v136, 0
.LBB20_124:
	v_dual_add_f32 v137, v17, v57 :: v_dual_add_f32 v138, v16, v56
	v_dual_add_f32 v139, v19, v59 :: v_dual_add_f32 v140, v18, v58
	s_delay_alu instid0(VALU_DEP_4) | instskip(NEXT) | instid1(VALU_DEP_3)
	v_add_co_u32 v60, vcc_lo, v62, v60
	v_min3_f32 v135, v138, v137, v135
	v_add_co_ci_u32_e32 v61, vcc_lo, v63, v61, vcc_lo
	s_delay_alu instid0(VALU_DEP_4) | instskip(NEXT) | instid1(VALU_DEP_1)
	v_min_f32_e32 v137, v140, v139
	v_min3_f32 v135, v136, v137, v135
	global_store_b32 v[60:61], v135, off
	s_or_b32 exec_lo, exec_lo, s15
	s_and_b32 s16, s5, s8
	s_delay_alu instid0(SALU_CYCLE_1)
	s_and_saveexec_b32 s15, s16
	s_cbranch_execz .LBB20_103
.LBB20_125:
	v_cmp_ne_u32_e32 vcc_lo, 1, v105
	v_lshlrev_b64 v[60:61], 2, v[74:75]
	s_cbranch_vccnz .LBB20_127
; %bb.126:
	s_delay_alu instid0(VALU_DEP_1) | instskip(NEXT) | instid1(VALU_DEP_2)
	v_add_co_u32 v135, vcc_lo, v80, v60
	v_add_co_ci_u32_e32 v136, vcc_lo, v81, v61, vcc_lo
	flat_load_b32 v135, v[135:136]
	s_waitcnt vmcnt(0) lgkmcnt(0)
	v_mul_f32_e32 v135, s24, v135
	s_branch .LBB20_128
.LBB20_127:
	v_mov_b32_e32 v135, 0
.LBB20_128:
	v_dual_add_f32 v136, v13, v57 :: v_dual_add_f32 v137, v12, v56
	v_dual_add_f32 v138, v15, v59 :: v_dual_add_f32 v139, v14, v58
	s_delay_alu instid0(VALU_DEP_4) | instskip(NEXT) | instid1(VALU_DEP_3)
	v_add_co_u32 v60, vcc_lo, v62, v60
	v_min3_f32 v134, v137, v136, v134
	v_add_co_ci_u32_e32 v61, vcc_lo, v63, v61, vcc_lo
	s_delay_alu instid0(VALU_DEP_4) | instskip(NEXT) | instid1(VALU_DEP_1)
	v_min_f32_e32 v136, v139, v138
	v_min3_f32 v134, v135, v136, v134
	global_store_b32 v[60:61], v134, off
	s_or_b32 exec_lo, exec_lo, s15
	s_and_b32 s16, s6, s8
	s_delay_alu instid0(SALU_CYCLE_1)
	s_and_saveexec_b32 s15, s16
	s_cbranch_execz .LBB20_104
.LBB20_129:
	v_cmp_ne_u32_e32 vcc_lo, 1, v105
	v_lshlrev_b64 v[60:61], 2, v[76:77]
	s_cbranch_vccnz .LBB20_131
; %bb.130:
	s_delay_alu instid0(VALU_DEP_1) | instskip(NEXT) | instid1(VALU_DEP_2)
	v_add_co_u32 v134, vcc_lo, v80, v60
	v_add_co_ci_u32_e32 v135, vcc_lo, v81, v61, vcc_lo
	flat_load_b32 v134, v[134:135]
	s_waitcnt vmcnt(0) lgkmcnt(0)
	v_mul_f32_e32 v134, s24, v134
	s_branch .LBB20_132
.LBB20_131:
	v_mov_b32_e32 v134, 0
.LBB20_132:
	v_dual_add_f32 v135, v9, v57 :: v_dual_add_f32 v136, v8, v56
	v_dual_add_f32 v137, v11, v59 :: v_dual_add_f32 v138, v10, v58
	s_delay_alu instid0(VALU_DEP_4) | instskip(NEXT) | instid1(VALU_DEP_3)
	v_add_co_u32 v60, vcc_lo, v62, v60
	v_min3_f32 v133, v136, v135, v133
	v_add_co_ci_u32_e32 v61, vcc_lo, v63, v61, vcc_lo
	s_delay_alu instid0(VALU_DEP_4) | instskip(NEXT) | instid1(VALU_DEP_1)
	v_min_f32_e32 v135, v138, v137
	v_min3_f32 v133, v134, v135, v133
	global_store_b32 v[60:61], v133, off
	s_or_b32 exec_lo, exec_lo, s15
	s_and_b32 s15, s7, s8
	s_delay_alu instid0(SALU_CYCLE_1)
	s_and_saveexec_b32 s8, s15
	s_cbranch_execz .LBB20_137
.LBB20_133:
	v_cmp_ne_u32_e32 vcc_lo, 1, v105
	v_lshlrev_b64 v[60:61], 2, v[78:79]
	s_cbranch_vccnz .LBB20_135
; %bb.134:
	s_delay_alu instid0(VALU_DEP_1) | instskip(NEXT) | instid1(VALU_DEP_2)
	v_add_co_u32 v80, vcc_lo, v80, v60
	v_add_co_ci_u32_e32 v81, vcc_lo, v81, v61, vcc_lo
	flat_load_b32 v80, v[80:81]
	s_waitcnt vmcnt(0) lgkmcnt(0)
	v_mul_f32_e32 v80, s24, v80
	s_branch .LBB20_136
.LBB20_135:
	v_mov_b32_e32 v80, 0
.LBB20_136:
	v_dual_add_f32 v57, v1, v57 :: v_dual_add_f32 v56, v0, v56
	v_dual_add_f32 v59, v3, v59 :: v_dual_add_f32 v58, v2, v58
	s_delay_alu instid0(VALU_DEP_2) | instskip(NEXT) | instid1(VALU_DEP_2)
	v_min3_f32 v56, v56, v57, v132
	v_min_f32_e32 v57, v58, v59
	s_delay_alu instid0(VALU_DEP_1)
	v_min3_f32 v58, v80, v57, v56
	v_add_co_u32 v56, vcc_lo, v62, v60
	v_add_co_ci_u32_e32 v57, vcc_lo, v63, v61, vcc_lo
	global_store_b32 v[56:57], v58, off
.LBB20_137:
	s_or_b32 exec_lo, exec_lo, s8
	v_add_nc_u32_e32 v60, 64, v113
	s_delay_alu instid0(VALU_DEP_1) | instskip(SKIP_2) | instid1(VALU_DEP_3)
	v_mad_i64_i32 v[56:57], null, v60, s14, 0
	v_mad_i64_i32 v[58:59], null, v60, s9, 0
	v_cmp_gt_i32_e64 s8, s17, v60
	v_lshlrev_b64 v[56:57], 2, v[56:57]
	s_delay_alu instid0(VALU_DEP_2) | instskip(NEXT) | instid1(VALU_DEP_3)
	s_and_b32 s16, s0, s8
	v_lshlrev_b64 v[58:59], 2, v[58:59]
	s_delay_alu instid0(VALU_DEP_2) | instskip(NEXT) | instid1(VALU_DEP_3)
	v_add_co_u32 v60, vcc_lo, s10, v56
	v_add_co_ci_u32_e32 v61, vcc_lo, s11, v57, vcc_lo
	s_delay_alu instid0(VALU_DEP_3) | instskip(NEXT) | instid1(VALU_DEP_4)
	v_add_co_u32 v58, vcc_lo, s12, v58
	v_add_co_ci_u32_e32 v59, vcc_lo, s13, v59, vcc_lo
	s_and_saveexec_b32 s15, s16
	s_cbranch_execnz .LBB20_145
; %bb.138:
	s_or_b32 exec_lo, exec_lo, s15
	s_and_b32 s16, s1, s8
	s_delay_alu instid0(SALU_CYCLE_1)
	s_and_saveexec_b32 s15, s16
	s_cbranch_execnz .LBB20_149
.LBB20_139:
	s_or_b32 exec_lo, exec_lo, s15
	s_and_b32 s16, s2, s8
	s_delay_alu instid0(SALU_CYCLE_1)
	s_and_saveexec_b32 s15, s16
	s_cbranch_execnz .LBB20_153
.LBB20_140:
	s_or_b32 exec_lo, exec_lo, s15
	s_and_b32 s16, s3, s8
	s_delay_alu instid0(SALU_CYCLE_1)
	s_and_saveexec_b32 s15, s16
	s_cbranch_execnz .LBB20_157
.LBB20_141:
	s_or_b32 exec_lo, exec_lo, s15
	s_and_b32 s16, s4, s8
	s_delay_alu instid0(SALU_CYCLE_1)
	s_and_saveexec_b32 s15, s16
	s_cbranch_execnz .LBB20_161
.LBB20_142:
	s_or_b32 exec_lo, exec_lo, s15
	s_and_b32 s16, s5, s8
	s_delay_alu instid0(SALU_CYCLE_1)
	s_and_saveexec_b32 s15, s16
	s_cbranch_execnz .LBB20_165
.LBB20_143:
	s_or_b32 exec_lo, exec_lo, s15
	s_and_b32 s16, s6, s8
	s_delay_alu instid0(SALU_CYCLE_1)
	s_and_saveexec_b32 s15, s16
	s_cbranch_execnz .LBB20_169
.LBB20_144:
	s_or_b32 exec_lo, exec_lo, s15
	s_and_b32 s15, s7, s8
	s_delay_alu instid0(SALU_CYCLE_1)
	s_and_saveexec_b32 s8, s15
	s_cbranch_execnz .LBB20_173
	s_branch .LBB20_177
.LBB20_145:
	v_cmp_ne_u32_e32 vcc_lo, 1, v105
	v_lshlrev_b64 v[56:57], 2, v[64:65]
	s_cbranch_vccnz .LBB20_147
; %bb.146:
	s_delay_alu instid0(VALU_DEP_1) | instskip(NEXT) | instid1(VALU_DEP_2)
	v_add_co_u32 v62, vcc_lo, v60, v56
	v_add_co_ci_u32_e32 v63, vcc_lo, v61, v57, vcc_lo
	flat_load_b32 v62, v[62:63]
	s_waitcnt vmcnt(0) lgkmcnt(0)
	v_mul_f32_e32 v62, s24, v62
	s_branch .LBB20_148
.LBB20_147:
	v_mov_b32_e32 v62, 0
.LBB20_148:
	v_dual_add_f32 v63, v33, v53 :: v_dual_add_f32 v80, v32, v52
	v_dual_add_f32 v81, v35, v55 :: v_dual_add_f32 v132, v34, v54
	s_delay_alu instid0(VALU_DEP_4) | instskip(NEXT) | instid1(VALU_DEP_3)
	v_add_co_u32 v56, vcc_lo, v58, v56
	v_min3_f32 v63, v80, v63, v131
	v_add_co_ci_u32_e32 v57, vcc_lo, v59, v57, vcc_lo
	s_delay_alu instid0(VALU_DEP_4) | instskip(NEXT) | instid1(VALU_DEP_1)
	v_min_f32_e32 v80, v132, v81
	v_min3_f32 v62, v62, v80, v63
	global_store_b32 v[56:57], v62, off
	s_or_b32 exec_lo, exec_lo, s15
	s_and_b32 s16, s1, s8
	s_delay_alu instid0(SALU_CYCLE_1)
	s_and_saveexec_b32 s15, s16
	s_cbranch_execz .LBB20_139
.LBB20_149:
	v_cmp_ne_u32_e32 vcc_lo, 1, v105
	v_lshlrev_b64 v[56:57], 2, v[66:67]
	s_cbranch_vccnz .LBB20_151
; %bb.150:
	s_delay_alu instid0(VALU_DEP_1) | instskip(NEXT) | instid1(VALU_DEP_2)
	v_add_co_u32 v62, vcc_lo, v60, v56
	v_add_co_ci_u32_e32 v63, vcc_lo, v61, v57, vcc_lo
	flat_load_b32 v62, v[62:63]
	s_waitcnt vmcnt(0) lgkmcnt(0)
	v_mul_f32_e32 v62, s24, v62
	s_branch .LBB20_152
.LBB20_151:
	v_mov_b32_e32 v62, 0
.LBB20_152:
	v_dual_add_f32 v63, v29, v53 :: v_dual_add_f32 v80, v28, v52
	v_add_f32_e32 v81, v31, v55
	v_add_f32_e32 v131, v30, v54
	v_add_co_u32 v56, vcc_lo, v58, v56
	s_delay_alu instid0(VALU_DEP_4) | instskip(SKIP_1) | instid1(VALU_DEP_4)
	v_min3_f32 v63, v80, v63, v130
	v_add_co_ci_u32_e32 v57, vcc_lo, v59, v57, vcc_lo
	v_min_f32_e32 v80, v131, v81
	s_delay_alu instid0(VALU_DEP_1) | instskip(SKIP_3) | instid1(SALU_CYCLE_1)
	v_min3_f32 v62, v62, v80, v63
	global_store_b32 v[56:57], v62, off
	s_or_b32 exec_lo, exec_lo, s15
	s_and_b32 s16, s2, s8
	s_and_saveexec_b32 s15, s16
	s_cbranch_execz .LBB20_140
.LBB20_153:
	v_cmp_ne_u32_e32 vcc_lo, 1, v105
	v_lshlrev_b64 v[56:57], 2, v[68:69]
	s_cbranch_vccnz .LBB20_155
; %bb.154:
	s_delay_alu instid0(VALU_DEP_1) | instskip(NEXT) | instid1(VALU_DEP_2)
	v_add_co_u32 v62, vcc_lo, v60, v56
	v_add_co_ci_u32_e32 v63, vcc_lo, v61, v57, vcc_lo
	flat_load_b32 v62, v[62:63]
	s_waitcnt vmcnt(0) lgkmcnt(0)
	v_mul_f32_e32 v62, s24, v62
	s_branch .LBB20_156
.LBB20_155:
	v_mov_b32_e32 v62, 0
.LBB20_156:
	v_dual_add_f32 v63, v25, v53 :: v_dual_add_f32 v80, v24, v52
	v_dual_add_f32 v81, v27, v55 :: v_dual_add_f32 v130, v26, v54
	s_delay_alu instid0(VALU_DEP_4) | instskip(NEXT) | instid1(VALU_DEP_3)
	v_add_co_u32 v56, vcc_lo, v58, v56
	v_min3_f32 v63, v80, v63, v129
	v_add_co_ci_u32_e32 v57, vcc_lo, v59, v57, vcc_lo
	s_delay_alu instid0(VALU_DEP_4) | instskip(NEXT) | instid1(VALU_DEP_1)
	v_min_f32_e32 v80, v130, v81
	v_min3_f32 v62, v62, v80, v63
	global_store_b32 v[56:57], v62, off
	s_or_b32 exec_lo, exec_lo, s15
	s_and_b32 s16, s3, s8
	s_delay_alu instid0(SALU_CYCLE_1)
	s_and_saveexec_b32 s15, s16
	s_cbranch_execz .LBB20_141
.LBB20_157:
	v_cmp_ne_u32_e32 vcc_lo, 1, v105
	v_lshlrev_b64 v[56:57], 2, v[70:71]
	s_cbranch_vccnz .LBB20_159
; %bb.158:
	s_delay_alu instid0(VALU_DEP_1) | instskip(NEXT) | instid1(VALU_DEP_2)
	v_add_co_u32 v62, vcc_lo, v60, v56
	v_add_co_ci_u32_e32 v63, vcc_lo, v61, v57, vcc_lo
	flat_load_b32 v62, v[62:63]
	s_waitcnt vmcnt(0) lgkmcnt(0)
	v_mul_f32_e32 v62, s24, v62
	s_branch .LBB20_160
.LBB20_159:
	v_mov_b32_e32 v62, 0
.LBB20_160:
	v_dual_add_f32 v63, v21, v53 :: v_dual_add_f32 v80, v20, v52
	v_add_f32_e32 v81, v23, v55
	v_add_f32_e32 v129, v22, v54
	v_add_co_u32 v56, vcc_lo, v58, v56
	s_delay_alu instid0(VALU_DEP_4) | instskip(SKIP_1) | instid1(VALU_DEP_4)
	v_min3_f32 v63, v80, v63, v128
	v_add_co_ci_u32_e32 v57, vcc_lo, v59, v57, vcc_lo
	v_min_f32_e32 v80, v129, v81
	s_delay_alu instid0(VALU_DEP_1) | instskip(SKIP_3) | instid1(SALU_CYCLE_1)
	v_min3_f32 v62, v62, v80, v63
	global_store_b32 v[56:57], v62, off
	s_or_b32 exec_lo, exec_lo, s15
	s_and_b32 s16, s4, s8
	s_and_saveexec_b32 s15, s16
	s_cbranch_execz .LBB20_142
.LBB20_161:
	v_cmp_ne_u32_e32 vcc_lo, 1, v105
	v_lshlrev_b64 v[56:57], 2, v[72:73]
	s_cbranch_vccnz .LBB20_163
; %bb.162:
	s_delay_alu instid0(VALU_DEP_1) | instskip(NEXT) | instid1(VALU_DEP_2)
	v_add_co_u32 v62, vcc_lo, v60, v56
	v_add_co_ci_u32_e32 v63, vcc_lo, v61, v57, vcc_lo
	flat_load_b32 v62, v[62:63]
	s_waitcnt vmcnt(0) lgkmcnt(0)
	v_mul_f32_e32 v62, s24, v62
	s_branch .LBB20_164
.LBB20_163:
	v_mov_b32_e32 v62, 0
.LBB20_164:
	v_dual_add_f32 v63, v17, v53 :: v_dual_add_f32 v80, v16, v52
	v_dual_add_f32 v81, v19, v55 :: v_dual_add_f32 v128, v18, v54
	s_delay_alu instid0(VALU_DEP_4) | instskip(NEXT) | instid1(VALU_DEP_3)
	v_add_co_u32 v56, vcc_lo, v58, v56
	v_min3_f32 v63, v80, v63, v127
	v_add_co_ci_u32_e32 v57, vcc_lo, v59, v57, vcc_lo
	s_delay_alu instid0(VALU_DEP_4) | instskip(NEXT) | instid1(VALU_DEP_1)
	v_min_f32_e32 v80, v128, v81
	v_min3_f32 v62, v62, v80, v63
	global_store_b32 v[56:57], v62, off
	s_or_b32 exec_lo, exec_lo, s15
	s_and_b32 s16, s5, s8
	s_delay_alu instid0(SALU_CYCLE_1)
	s_and_saveexec_b32 s15, s16
	s_cbranch_execz .LBB20_143
.LBB20_165:
	v_cmp_ne_u32_e32 vcc_lo, 1, v105
	v_lshlrev_b64 v[56:57], 2, v[74:75]
	s_cbranch_vccnz .LBB20_167
; %bb.166:
	s_delay_alu instid0(VALU_DEP_1) | instskip(NEXT) | instid1(VALU_DEP_2)
	v_add_co_u32 v62, vcc_lo, v60, v56
	v_add_co_ci_u32_e32 v63, vcc_lo, v61, v57, vcc_lo
	flat_load_b32 v62, v[62:63]
	s_waitcnt vmcnt(0) lgkmcnt(0)
	v_mul_f32_e32 v62, s24, v62
	s_branch .LBB20_168
.LBB20_167:
	v_mov_b32_e32 v62, 0
.LBB20_168:
	v_dual_add_f32 v63, v13, v53 :: v_dual_add_f32 v80, v12, v52
	v_add_f32_e32 v81, v15, v55
	v_add_f32_e32 v127, v14, v54
	v_add_co_u32 v56, vcc_lo, v58, v56
	s_delay_alu instid0(VALU_DEP_4) | instskip(SKIP_1) | instid1(VALU_DEP_4)
	v_min3_f32 v63, v80, v63, v126
	v_add_co_ci_u32_e32 v57, vcc_lo, v59, v57, vcc_lo
	v_min_f32_e32 v80, v127, v81
	s_delay_alu instid0(VALU_DEP_1) | instskip(SKIP_3) | instid1(SALU_CYCLE_1)
	v_min3_f32 v62, v62, v80, v63
	global_store_b32 v[56:57], v62, off
	s_or_b32 exec_lo, exec_lo, s15
	s_and_b32 s16, s6, s8
	s_and_saveexec_b32 s15, s16
	s_cbranch_execz .LBB20_144
.LBB20_169:
	v_cmp_ne_u32_e32 vcc_lo, 1, v105
	v_lshlrev_b64 v[56:57], 2, v[76:77]
	s_cbranch_vccnz .LBB20_171
; %bb.170:
	s_delay_alu instid0(VALU_DEP_1) | instskip(NEXT) | instid1(VALU_DEP_2)
	v_add_co_u32 v62, vcc_lo, v60, v56
	v_add_co_ci_u32_e32 v63, vcc_lo, v61, v57, vcc_lo
	flat_load_b32 v62, v[62:63]
	s_waitcnt vmcnt(0) lgkmcnt(0)
	v_mul_f32_e32 v62, s24, v62
	s_branch .LBB20_172
.LBB20_171:
	v_mov_b32_e32 v62, 0
.LBB20_172:
	v_dual_add_f32 v63, v9, v53 :: v_dual_add_f32 v80, v8, v52
	v_dual_add_f32 v81, v11, v55 :: v_dual_add_f32 v126, v10, v54
	s_delay_alu instid0(VALU_DEP_4) | instskip(NEXT) | instid1(VALU_DEP_3)
	v_add_co_u32 v56, vcc_lo, v58, v56
	v_min3_f32 v63, v80, v63, v125
	v_add_co_ci_u32_e32 v57, vcc_lo, v59, v57, vcc_lo
	s_delay_alu instid0(VALU_DEP_4) | instskip(NEXT) | instid1(VALU_DEP_1)
	v_min_f32_e32 v80, v126, v81
	v_min3_f32 v62, v62, v80, v63
	global_store_b32 v[56:57], v62, off
	s_or_b32 exec_lo, exec_lo, s15
	s_and_b32 s15, s7, s8
	s_delay_alu instid0(SALU_CYCLE_1)
	s_and_saveexec_b32 s8, s15
	s_cbranch_execz .LBB20_177
.LBB20_173:
	v_cmp_ne_u32_e32 vcc_lo, 1, v105
	v_lshlrev_b64 v[56:57], 2, v[78:79]
	s_cbranch_vccnz .LBB20_175
; %bb.174:
	s_delay_alu instid0(VALU_DEP_1) | instskip(NEXT) | instid1(VALU_DEP_2)
	v_add_co_u32 v60, vcc_lo, v60, v56
	v_add_co_ci_u32_e32 v61, vcc_lo, v61, v57, vcc_lo
	flat_load_b32 v60, v[60:61]
	s_waitcnt vmcnt(0) lgkmcnt(0)
	v_mul_f32_e32 v60, s24, v60
	s_branch .LBB20_176
.LBB20_175:
	v_mov_b32_e32 v60, 0
.LBB20_176:
	v_dual_add_f32 v53, v1, v53 :: v_dual_add_f32 v52, v0, v52
	v_dual_add_f32 v55, v3, v55 :: v_dual_add_f32 v54, v2, v54
	s_delay_alu instid0(VALU_DEP_2) | instskip(NEXT) | instid1(VALU_DEP_2)
	v_min3_f32 v52, v52, v53, v124
	v_min_f32_e32 v53, v54, v55
	s_delay_alu instid0(VALU_DEP_1)
	v_min3_f32 v54, v60, v53, v52
	v_add_co_u32 v52, vcc_lo, v58, v56
	v_add_co_ci_u32_e32 v53, vcc_lo, v59, v57, vcc_lo
	global_store_b32 v[52:53], v54, off
.LBB20_177:
	s_or_b32 exec_lo, exec_lo, s8
	v_add_nc_u32_e32 v56, 0x60, v113
	s_delay_alu instid0(VALU_DEP_1) | instskip(SKIP_2) | instid1(VALU_DEP_3)
	v_mad_i64_i32 v[52:53], null, v56, s14, 0
	v_mad_i64_i32 v[54:55], null, v56, s9, 0
	v_cmp_gt_i32_e64 s8, s17, v56
	v_lshlrev_b64 v[52:53], 2, v[52:53]
	s_delay_alu instid0(VALU_DEP_2) | instskip(NEXT) | instid1(VALU_DEP_3)
	s_and_b32 s16, s0, s8
	v_lshlrev_b64 v[54:55], 2, v[54:55]
	s_delay_alu instid0(VALU_DEP_2) | instskip(NEXT) | instid1(VALU_DEP_3)
	v_add_co_u32 v56, vcc_lo, s10, v52
	v_add_co_ci_u32_e32 v57, vcc_lo, s11, v53, vcc_lo
	s_delay_alu instid0(VALU_DEP_3) | instskip(NEXT) | instid1(VALU_DEP_4)
	v_add_co_u32 v54, vcc_lo, s12, v54
	v_add_co_ci_u32_e32 v55, vcc_lo, s13, v55, vcc_lo
	s_and_saveexec_b32 s15, s16
	s_cbranch_execnz .LBB20_185
; %bb.178:
	s_or_b32 exec_lo, exec_lo, s15
	s_and_b32 s16, s1, s8
	s_delay_alu instid0(SALU_CYCLE_1)
	s_and_saveexec_b32 s15, s16
	s_cbranch_execnz .LBB20_189
.LBB20_179:
	s_or_b32 exec_lo, exec_lo, s15
	s_and_b32 s16, s2, s8
	s_delay_alu instid0(SALU_CYCLE_1)
	s_and_saveexec_b32 s15, s16
	s_cbranch_execnz .LBB20_193
.LBB20_180:
	s_or_b32 exec_lo, exec_lo, s15
	s_and_b32 s16, s3, s8
	s_delay_alu instid0(SALU_CYCLE_1)
	s_and_saveexec_b32 s15, s16
	s_cbranch_execnz .LBB20_197
.LBB20_181:
	s_or_b32 exec_lo, exec_lo, s15
	s_and_b32 s16, s4, s8
	s_delay_alu instid0(SALU_CYCLE_1)
	s_and_saveexec_b32 s15, s16
	s_cbranch_execnz .LBB20_201
.LBB20_182:
	s_or_b32 exec_lo, exec_lo, s15
	s_and_b32 s16, s5, s8
	s_delay_alu instid0(SALU_CYCLE_1)
	s_and_saveexec_b32 s15, s16
	s_cbranch_execnz .LBB20_205
.LBB20_183:
	s_or_b32 exec_lo, exec_lo, s15
	s_and_b32 s16, s6, s8
	s_delay_alu instid0(SALU_CYCLE_1)
	s_and_saveexec_b32 s15, s16
	s_cbranch_execnz .LBB20_209
.LBB20_184:
	s_or_b32 exec_lo, exec_lo, s15
	s_and_b32 s15, s7, s8
	s_delay_alu instid0(SALU_CYCLE_1)
	s_and_saveexec_b32 s8, s15
	s_cbranch_execnz .LBB20_213
	s_branch .LBB20_217
.LBB20_185:
	v_cmp_ne_u32_e32 vcc_lo, 1, v105
	v_lshlrev_b64 v[52:53], 2, v[64:65]
	s_cbranch_vccnz .LBB20_187
; %bb.186:
	s_delay_alu instid0(VALU_DEP_1) | instskip(NEXT) | instid1(VALU_DEP_2)
	v_add_co_u32 v58, vcc_lo, v56, v52
	v_add_co_ci_u32_e32 v59, vcc_lo, v57, v53, vcc_lo
	flat_load_b32 v58, v[58:59]
	s_waitcnt vmcnt(0) lgkmcnt(0)
	v_mul_f32_e32 v58, s24, v58
	s_branch .LBB20_188
.LBB20_187:
	v_mov_b32_e32 v58, 0
.LBB20_188:
	v_dual_add_f32 v59, v33, v49 :: v_dual_add_f32 v60, v32, v48
	v_dual_add_f32 v61, v35, v51 :: v_dual_add_f32 v62, v34, v50
	s_delay_alu instid0(VALU_DEP_4) | instskip(NEXT) | instid1(VALU_DEP_3)
	v_add_co_u32 v52, vcc_lo, v54, v52
	v_min3_f32 v59, v60, v59, v123
	v_add_co_ci_u32_e32 v53, vcc_lo, v55, v53, vcc_lo
	s_delay_alu instid0(VALU_DEP_4) | instskip(NEXT) | instid1(VALU_DEP_1)
	v_min_f32_e32 v60, v62, v61
	v_min3_f32 v58, v58, v60, v59
	global_store_b32 v[52:53], v58, off
	s_or_b32 exec_lo, exec_lo, s15
	s_and_b32 s16, s1, s8
	s_delay_alu instid0(SALU_CYCLE_1)
	s_and_saveexec_b32 s15, s16
	s_cbranch_execz .LBB20_179
.LBB20_189:
	v_cmp_ne_u32_e32 vcc_lo, 1, v105
	v_lshlrev_b64 v[52:53], 2, v[66:67]
	s_cbranch_vccnz .LBB20_191
; %bb.190:
	s_delay_alu instid0(VALU_DEP_1) | instskip(NEXT) | instid1(VALU_DEP_2)
	v_add_co_u32 v58, vcc_lo, v56, v52
	v_add_co_ci_u32_e32 v59, vcc_lo, v57, v53, vcc_lo
	flat_load_b32 v58, v[58:59]
	s_waitcnt vmcnt(0) lgkmcnt(0)
	v_mul_f32_e32 v58, s24, v58
	s_branch .LBB20_192
.LBB20_191:
	v_mov_b32_e32 v58, 0
.LBB20_192:
	v_dual_add_f32 v59, v29, v49 :: v_dual_add_f32 v60, v28, v48
	v_dual_add_f32 v61, v31, v51 :: v_dual_add_f32 v62, v30, v50
	s_delay_alu instid0(VALU_DEP_4) | instskip(NEXT) | instid1(VALU_DEP_3)
	v_add_co_u32 v52, vcc_lo, v54, v52
	v_min3_f32 v59, v60, v59, v122
	v_add_co_ci_u32_e32 v53, vcc_lo, v55, v53, vcc_lo
	s_delay_alu instid0(VALU_DEP_4) | instskip(NEXT) | instid1(VALU_DEP_1)
	v_min_f32_e32 v60, v62, v61
	v_min3_f32 v58, v58, v60, v59
	global_store_b32 v[52:53], v58, off
	s_or_b32 exec_lo, exec_lo, s15
	s_and_b32 s16, s2, s8
	s_delay_alu instid0(SALU_CYCLE_1)
	s_and_saveexec_b32 s15, s16
	s_cbranch_execz .LBB20_180
.LBB20_193:
	v_cmp_ne_u32_e32 vcc_lo, 1, v105
	v_lshlrev_b64 v[52:53], 2, v[68:69]
	s_cbranch_vccnz .LBB20_195
; %bb.194:
	s_delay_alu instid0(VALU_DEP_1) | instskip(NEXT) | instid1(VALU_DEP_2)
	v_add_co_u32 v58, vcc_lo, v56, v52
	v_add_co_ci_u32_e32 v59, vcc_lo, v57, v53, vcc_lo
	flat_load_b32 v58, v[58:59]
	s_waitcnt vmcnt(0) lgkmcnt(0)
	v_mul_f32_e32 v58, s24, v58
	s_branch .LBB20_196
.LBB20_195:
	v_mov_b32_e32 v58, 0
.LBB20_196:
	v_dual_add_f32 v59, v25, v49 :: v_dual_add_f32 v60, v24, v48
	v_dual_add_f32 v61, v27, v51 :: v_dual_add_f32 v62, v26, v50
	s_delay_alu instid0(VALU_DEP_4) | instskip(NEXT) | instid1(VALU_DEP_3)
	v_add_co_u32 v52, vcc_lo, v54, v52
	v_min3_f32 v59, v60, v59, v121
	v_add_co_ci_u32_e32 v53, vcc_lo, v55, v53, vcc_lo
	s_delay_alu instid0(VALU_DEP_4) | instskip(NEXT) | instid1(VALU_DEP_1)
	v_min_f32_e32 v60, v62, v61
	v_min3_f32 v58, v58, v60, v59
	global_store_b32 v[52:53], v58, off
	s_or_b32 exec_lo, exec_lo, s15
	s_and_b32 s16, s3, s8
	s_delay_alu instid0(SALU_CYCLE_1)
	s_and_saveexec_b32 s15, s16
	s_cbranch_execz .LBB20_181
.LBB20_197:
	v_cmp_ne_u32_e32 vcc_lo, 1, v105
	v_lshlrev_b64 v[52:53], 2, v[70:71]
	s_cbranch_vccnz .LBB20_199
; %bb.198:
	s_delay_alu instid0(VALU_DEP_1) | instskip(NEXT) | instid1(VALU_DEP_2)
	v_add_co_u32 v58, vcc_lo, v56, v52
	v_add_co_ci_u32_e32 v59, vcc_lo, v57, v53, vcc_lo
	flat_load_b32 v58, v[58:59]
	s_waitcnt vmcnt(0) lgkmcnt(0)
	v_mul_f32_e32 v58, s24, v58
	s_branch .LBB20_200
.LBB20_199:
	v_mov_b32_e32 v58, 0
.LBB20_200:
	v_dual_add_f32 v59, v21, v49 :: v_dual_add_f32 v60, v20, v48
	v_dual_add_f32 v61, v23, v51 :: v_dual_add_f32 v62, v22, v50
	s_delay_alu instid0(VALU_DEP_4) | instskip(NEXT) | instid1(VALU_DEP_3)
	v_add_co_u32 v52, vcc_lo, v54, v52
	v_min3_f32 v59, v60, v59, v120
	v_add_co_ci_u32_e32 v53, vcc_lo, v55, v53, vcc_lo
	s_delay_alu instid0(VALU_DEP_4) | instskip(NEXT) | instid1(VALU_DEP_1)
	v_min_f32_e32 v60, v62, v61
	v_min3_f32 v58, v58, v60, v59
	global_store_b32 v[52:53], v58, off
	s_or_b32 exec_lo, exec_lo, s15
	s_and_b32 s16, s4, s8
	s_delay_alu instid0(SALU_CYCLE_1)
	s_and_saveexec_b32 s15, s16
	s_cbranch_execz .LBB20_182
.LBB20_201:
	v_cmp_ne_u32_e32 vcc_lo, 1, v105
	v_lshlrev_b64 v[52:53], 2, v[72:73]
	s_cbranch_vccnz .LBB20_203
; %bb.202:
	s_delay_alu instid0(VALU_DEP_1) | instskip(NEXT) | instid1(VALU_DEP_2)
	v_add_co_u32 v58, vcc_lo, v56, v52
	v_add_co_ci_u32_e32 v59, vcc_lo, v57, v53, vcc_lo
	flat_load_b32 v58, v[58:59]
	s_waitcnt vmcnt(0) lgkmcnt(0)
	v_mul_f32_e32 v58, s24, v58
	s_branch .LBB20_204
.LBB20_203:
	v_mov_b32_e32 v58, 0
.LBB20_204:
	v_dual_add_f32 v59, v17, v49 :: v_dual_add_f32 v60, v16, v48
	v_dual_add_f32 v61, v19, v51 :: v_dual_add_f32 v62, v18, v50
	s_delay_alu instid0(VALU_DEP_4) | instskip(NEXT) | instid1(VALU_DEP_3)
	v_add_co_u32 v52, vcc_lo, v54, v52
	v_min3_f32 v59, v60, v59, v119
	v_add_co_ci_u32_e32 v53, vcc_lo, v55, v53, vcc_lo
	s_delay_alu instid0(VALU_DEP_4) | instskip(NEXT) | instid1(VALU_DEP_1)
	v_min_f32_e32 v60, v62, v61
	v_min3_f32 v58, v58, v60, v59
	global_store_b32 v[52:53], v58, off
	s_or_b32 exec_lo, exec_lo, s15
	s_and_b32 s16, s5, s8
	s_delay_alu instid0(SALU_CYCLE_1)
	s_and_saveexec_b32 s15, s16
	s_cbranch_execz .LBB20_183
.LBB20_205:
	v_cmp_ne_u32_e32 vcc_lo, 1, v105
	v_lshlrev_b64 v[52:53], 2, v[74:75]
	s_cbranch_vccnz .LBB20_207
; %bb.206:
	s_delay_alu instid0(VALU_DEP_1) | instskip(NEXT) | instid1(VALU_DEP_2)
	v_add_co_u32 v58, vcc_lo, v56, v52
	v_add_co_ci_u32_e32 v59, vcc_lo, v57, v53, vcc_lo
	flat_load_b32 v58, v[58:59]
	s_waitcnt vmcnt(0) lgkmcnt(0)
	v_mul_f32_e32 v58, s24, v58
	s_branch .LBB20_208
.LBB20_207:
	v_mov_b32_e32 v58, 0
.LBB20_208:
	v_dual_add_f32 v59, v13, v49 :: v_dual_add_f32 v60, v12, v48
	v_dual_add_f32 v61, v15, v51 :: v_dual_add_f32 v62, v14, v50
	s_delay_alu instid0(VALU_DEP_4) | instskip(NEXT) | instid1(VALU_DEP_3)
	v_add_co_u32 v52, vcc_lo, v54, v52
	v_min3_f32 v59, v60, v59, v118
	v_add_co_ci_u32_e32 v53, vcc_lo, v55, v53, vcc_lo
	s_delay_alu instid0(VALU_DEP_4) | instskip(NEXT) | instid1(VALU_DEP_1)
	v_min_f32_e32 v60, v62, v61
	v_min3_f32 v58, v58, v60, v59
	global_store_b32 v[52:53], v58, off
	s_or_b32 exec_lo, exec_lo, s15
	s_and_b32 s16, s6, s8
	s_delay_alu instid0(SALU_CYCLE_1)
	s_and_saveexec_b32 s15, s16
	s_cbranch_execz .LBB20_184
.LBB20_209:
	v_cmp_ne_u32_e32 vcc_lo, 1, v105
	v_lshlrev_b64 v[52:53], 2, v[76:77]
	s_cbranch_vccnz .LBB20_211
; %bb.210:
	s_delay_alu instid0(VALU_DEP_1) | instskip(NEXT) | instid1(VALU_DEP_2)
	v_add_co_u32 v58, vcc_lo, v56, v52
	v_add_co_ci_u32_e32 v59, vcc_lo, v57, v53, vcc_lo
	flat_load_b32 v58, v[58:59]
	s_waitcnt vmcnt(0) lgkmcnt(0)
	v_mul_f32_e32 v58, s24, v58
	s_branch .LBB20_212
.LBB20_211:
	v_mov_b32_e32 v58, 0
.LBB20_212:
	v_dual_add_f32 v59, v9, v49 :: v_dual_add_f32 v60, v8, v48
	v_dual_add_f32 v61, v11, v51 :: v_dual_add_f32 v62, v10, v50
	s_delay_alu instid0(VALU_DEP_4) | instskip(NEXT) | instid1(VALU_DEP_3)
	v_add_co_u32 v52, vcc_lo, v54, v52
	v_min3_f32 v59, v60, v59, v117
	v_add_co_ci_u32_e32 v53, vcc_lo, v55, v53, vcc_lo
	s_delay_alu instid0(VALU_DEP_4) | instskip(NEXT) | instid1(VALU_DEP_1)
	v_min_f32_e32 v60, v62, v61
	v_min3_f32 v58, v58, v60, v59
	global_store_b32 v[52:53], v58, off
	s_or_b32 exec_lo, exec_lo, s15
	s_and_b32 s15, s7, s8
	s_delay_alu instid0(SALU_CYCLE_1)
	s_and_saveexec_b32 s8, s15
	s_cbranch_execz .LBB20_217
.LBB20_213:
	v_cmp_ne_u32_e32 vcc_lo, 1, v105
	v_lshlrev_b64 v[52:53], 2, v[78:79]
	s_cbranch_vccnz .LBB20_215
; %bb.214:
	s_delay_alu instid0(VALU_DEP_1) | instskip(NEXT) | instid1(VALU_DEP_2)
	v_add_co_u32 v56, vcc_lo, v56, v52
	v_add_co_ci_u32_e32 v57, vcc_lo, v57, v53, vcc_lo
	flat_load_b32 v56, v[56:57]
	s_waitcnt vmcnt(0) lgkmcnt(0)
	v_mul_f32_e32 v56, s24, v56
	s_branch .LBB20_216
.LBB20_215:
	v_mov_b32_e32 v56, 0
.LBB20_216:
	v_dual_add_f32 v49, v1, v49 :: v_dual_add_f32 v48, v0, v48
	v_dual_add_f32 v51, v3, v51 :: v_dual_add_f32 v50, v2, v50
	s_delay_alu instid0(VALU_DEP_2) | instskip(NEXT) | instid1(VALU_DEP_2)
	v_min3_f32 v48, v48, v49, v116
	v_min_f32_e32 v49, v50, v51
	s_delay_alu instid0(VALU_DEP_1)
	v_min3_f32 v50, v56, v49, v48
	v_add_co_u32 v48, vcc_lo, v54, v52
	v_add_co_ci_u32_e32 v49, vcc_lo, v55, v53, vcc_lo
	global_store_b32 v[48:49], v50, off
.LBB20_217:
	s_or_b32 exec_lo, exec_lo, s8
	v_add_nc_u32_e32 v52, 0x80, v113
	s_delay_alu instid0(VALU_DEP_1) | instskip(SKIP_2) | instid1(VALU_DEP_3)
	v_mad_i64_i32 v[48:49], null, v52, s14, 0
	v_mad_i64_i32 v[50:51], null, v52, s9, 0
	v_cmp_gt_i32_e64 s8, s17, v52
	v_lshlrev_b64 v[48:49], 2, v[48:49]
	s_delay_alu instid0(VALU_DEP_2) | instskip(NEXT) | instid1(VALU_DEP_3)
	s_and_b32 s16, s0, s8
	v_lshlrev_b64 v[50:51], 2, v[50:51]
	s_delay_alu instid0(VALU_DEP_2) | instskip(NEXT) | instid1(VALU_DEP_3)
	v_add_co_u32 v52, vcc_lo, s10, v48
	v_add_co_ci_u32_e32 v53, vcc_lo, s11, v49, vcc_lo
	s_delay_alu instid0(VALU_DEP_3) | instskip(NEXT) | instid1(VALU_DEP_4)
	v_add_co_u32 v50, vcc_lo, s12, v50
	v_add_co_ci_u32_e32 v51, vcc_lo, s13, v51, vcc_lo
	s_and_saveexec_b32 s15, s16
	s_cbranch_execnz .LBB20_225
; %bb.218:
	s_or_b32 exec_lo, exec_lo, s15
	s_and_b32 s16, s1, s8
	s_delay_alu instid0(SALU_CYCLE_1)
	s_and_saveexec_b32 s15, s16
	s_cbranch_execnz .LBB20_229
.LBB20_219:
	s_or_b32 exec_lo, exec_lo, s15
	s_and_b32 s16, s2, s8
	s_delay_alu instid0(SALU_CYCLE_1)
	s_and_saveexec_b32 s15, s16
	s_cbranch_execnz .LBB20_233
.LBB20_220:
	s_or_b32 exec_lo, exec_lo, s15
	s_and_b32 s16, s3, s8
	s_delay_alu instid0(SALU_CYCLE_1)
	s_and_saveexec_b32 s15, s16
	s_cbranch_execnz .LBB20_237
.LBB20_221:
	s_or_b32 exec_lo, exec_lo, s15
	s_and_b32 s16, s4, s8
	s_delay_alu instid0(SALU_CYCLE_1)
	s_and_saveexec_b32 s15, s16
	s_cbranch_execnz .LBB20_241
.LBB20_222:
	s_or_b32 exec_lo, exec_lo, s15
	s_and_b32 s16, s5, s8
	s_delay_alu instid0(SALU_CYCLE_1)
	s_and_saveexec_b32 s15, s16
	s_cbranch_execnz .LBB20_245
.LBB20_223:
	s_or_b32 exec_lo, exec_lo, s15
	s_and_b32 s16, s6, s8
	s_delay_alu instid0(SALU_CYCLE_1)
	s_and_saveexec_b32 s15, s16
	s_cbranch_execnz .LBB20_249
.LBB20_224:
	s_or_b32 exec_lo, exec_lo, s15
	s_and_b32 s15, s7, s8
	s_delay_alu instid0(SALU_CYCLE_1)
	s_and_saveexec_b32 s8, s15
	s_cbranch_execnz .LBB20_253
	s_branch .LBB20_257
.LBB20_225:
	v_cmp_ne_u32_e32 vcc_lo, 1, v105
	v_lshlrev_b64 v[48:49], 2, v[64:65]
	s_cbranch_vccnz .LBB20_227
; %bb.226:
	s_delay_alu instid0(VALU_DEP_1) | instskip(NEXT) | instid1(VALU_DEP_2)
	v_add_co_u32 v54, vcc_lo, v52, v48
	v_add_co_ci_u32_e32 v55, vcc_lo, v53, v49, vcc_lo
	flat_load_b32 v54, v[54:55]
	s_waitcnt vmcnt(0) lgkmcnt(0)
	v_mul_f32_e32 v54, s24, v54
	s_branch .LBB20_228
.LBB20_227:
	v_mov_b32_e32 v54, 0
.LBB20_228:
	v_dual_add_f32 v55, v33, v45 :: v_dual_add_f32 v56, v32, v44
	v_dual_add_f32 v57, v35, v47 :: v_dual_add_f32 v58, v34, v46
	s_delay_alu instid0(VALU_DEP_4) | instskip(NEXT) | instid1(VALU_DEP_3)
	v_add_co_u32 v48, vcc_lo, v50, v48
	v_min3_f32 v55, v56, v55, v115
	v_add_co_ci_u32_e32 v49, vcc_lo, v51, v49, vcc_lo
	s_delay_alu instid0(VALU_DEP_4) | instskip(NEXT) | instid1(VALU_DEP_1)
	v_min_f32_e32 v56, v58, v57
	v_min3_f32 v54, v54, v56, v55
	global_store_b32 v[48:49], v54, off
	s_or_b32 exec_lo, exec_lo, s15
	s_and_b32 s16, s1, s8
	s_delay_alu instid0(SALU_CYCLE_1)
	s_and_saveexec_b32 s15, s16
	s_cbranch_execz .LBB20_219
.LBB20_229:
	v_cmp_ne_u32_e32 vcc_lo, 1, v105
	v_lshlrev_b64 v[48:49], 2, v[66:67]
	s_cbranch_vccnz .LBB20_231
; %bb.230:
	s_delay_alu instid0(VALU_DEP_1) | instskip(NEXT) | instid1(VALU_DEP_2)
	v_add_co_u32 v54, vcc_lo, v52, v48
	v_add_co_ci_u32_e32 v55, vcc_lo, v53, v49, vcc_lo
	flat_load_b32 v54, v[54:55]
	s_waitcnt vmcnt(0) lgkmcnt(0)
	v_mul_f32_e32 v54, s24, v54
	s_branch .LBB20_232
.LBB20_231:
	v_mov_b32_e32 v54, 0
.LBB20_232:
	v_dual_add_f32 v55, v29, v45 :: v_dual_add_f32 v56, v28, v44
	v_dual_add_f32 v57, v31, v47 :: v_dual_add_f32 v58, v30, v46
	s_delay_alu instid0(VALU_DEP_4) | instskip(NEXT) | instid1(VALU_DEP_3)
	v_add_co_u32 v48, vcc_lo, v50, v48
	v_min3_f32 v55, v56, v55, v114
	v_add_co_ci_u32_e32 v49, vcc_lo, v51, v49, vcc_lo
	s_delay_alu instid0(VALU_DEP_4) | instskip(NEXT) | instid1(VALU_DEP_1)
	v_min_f32_e32 v56, v58, v57
	v_min3_f32 v54, v54, v56, v55
	global_store_b32 v[48:49], v54, off
	s_or_b32 exec_lo, exec_lo, s15
	s_and_b32 s16, s2, s8
	s_delay_alu instid0(SALU_CYCLE_1)
	s_and_saveexec_b32 s15, s16
	s_cbranch_execz .LBB20_220
.LBB20_233:
	v_cmp_ne_u32_e32 vcc_lo, 1, v105
	v_lshlrev_b64 v[48:49], 2, v[68:69]
	s_cbranch_vccnz .LBB20_235
; %bb.234:
	s_delay_alu instid0(VALU_DEP_1) | instskip(NEXT) | instid1(VALU_DEP_2)
	v_add_co_u32 v54, vcc_lo, v52, v48
	v_add_co_ci_u32_e32 v55, vcc_lo, v53, v49, vcc_lo
	flat_load_b32 v54, v[54:55]
	s_waitcnt vmcnt(0) lgkmcnt(0)
	v_mul_f32_e32 v54, s24, v54
	s_branch .LBB20_236
.LBB20_235:
	v_mov_b32_e32 v54, 0
.LBB20_236:
	v_dual_add_f32 v55, v25, v45 :: v_dual_add_f32 v56, v24, v44
	v_dual_add_f32 v57, v27, v47 :: v_dual_add_f32 v58, v26, v46
	s_delay_alu instid0(VALU_DEP_4) | instskip(NEXT) | instid1(VALU_DEP_3)
	v_add_co_u32 v48, vcc_lo, v50, v48
	v_min3_f32 v55, v56, v55, v112
	v_add_co_ci_u32_e32 v49, vcc_lo, v51, v49, vcc_lo
	s_delay_alu instid0(VALU_DEP_4) | instskip(NEXT) | instid1(VALU_DEP_1)
	v_min_f32_e32 v56, v58, v57
	v_min3_f32 v54, v54, v56, v55
	global_store_b32 v[48:49], v54, off
	s_or_b32 exec_lo, exec_lo, s15
	s_and_b32 s16, s3, s8
	s_delay_alu instid0(SALU_CYCLE_1)
	s_and_saveexec_b32 s15, s16
	s_cbranch_execz .LBB20_221
.LBB20_237:
	v_cmp_ne_u32_e32 vcc_lo, 1, v105
	v_lshlrev_b64 v[48:49], 2, v[70:71]
	s_cbranch_vccnz .LBB20_239
; %bb.238:
	s_delay_alu instid0(VALU_DEP_1) | instskip(NEXT) | instid1(VALU_DEP_2)
	v_add_co_u32 v54, vcc_lo, v52, v48
	v_add_co_ci_u32_e32 v55, vcc_lo, v53, v49, vcc_lo
	flat_load_b32 v54, v[54:55]
	s_waitcnt vmcnt(0) lgkmcnt(0)
	v_mul_f32_e32 v54, s24, v54
	s_branch .LBB20_240
.LBB20_239:
	v_mov_b32_e32 v54, 0
.LBB20_240:
	v_dual_add_f32 v55, v21, v45 :: v_dual_add_f32 v56, v20, v44
	v_dual_add_f32 v57, v23, v47 :: v_dual_add_f32 v58, v22, v46
	s_delay_alu instid0(VALU_DEP_4) | instskip(NEXT) | instid1(VALU_DEP_3)
	v_add_co_u32 v48, vcc_lo, v50, v48
	v_min3_f32 v55, v56, v55, v111
	v_add_co_ci_u32_e32 v49, vcc_lo, v51, v49, vcc_lo
	s_delay_alu instid0(VALU_DEP_4) | instskip(NEXT) | instid1(VALU_DEP_1)
	v_min_f32_e32 v56, v58, v57
	v_min3_f32 v54, v54, v56, v55
	global_store_b32 v[48:49], v54, off
	s_or_b32 exec_lo, exec_lo, s15
	s_and_b32 s16, s4, s8
	s_delay_alu instid0(SALU_CYCLE_1)
	s_and_saveexec_b32 s15, s16
	s_cbranch_execz .LBB20_222
.LBB20_241:
	v_cmp_ne_u32_e32 vcc_lo, 1, v105
	v_lshlrev_b64 v[48:49], 2, v[72:73]
	s_cbranch_vccnz .LBB20_243
; %bb.242:
	s_delay_alu instid0(VALU_DEP_1) | instskip(NEXT) | instid1(VALU_DEP_2)
	v_add_co_u32 v54, vcc_lo, v52, v48
	v_add_co_ci_u32_e32 v55, vcc_lo, v53, v49, vcc_lo
	flat_load_b32 v54, v[54:55]
	s_waitcnt vmcnt(0) lgkmcnt(0)
	v_mul_f32_e32 v54, s24, v54
	s_branch .LBB20_244
.LBB20_243:
	v_mov_b32_e32 v54, 0
.LBB20_244:
	v_dual_add_f32 v55, v17, v45 :: v_dual_add_f32 v56, v16, v44
	v_dual_add_f32 v57, v19, v47 :: v_dual_add_f32 v58, v18, v46
	s_delay_alu instid0(VALU_DEP_4) | instskip(NEXT) | instid1(VALU_DEP_3)
	v_add_co_u32 v48, vcc_lo, v50, v48
	v_min3_f32 v55, v56, v55, v110
	v_add_co_ci_u32_e32 v49, vcc_lo, v51, v49, vcc_lo
	s_delay_alu instid0(VALU_DEP_4) | instskip(NEXT) | instid1(VALU_DEP_1)
	v_min_f32_e32 v56, v58, v57
	v_min3_f32 v54, v54, v56, v55
	global_store_b32 v[48:49], v54, off
	s_or_b32 exec_lo, exec_lo, s15
	s_and_b32 s16, s5, s8
	s_delay_alu instid0(SALU_CYCLE_1)
	s_and_saveexec_b32 s15, s16
	s_cbranch_execz .LBB20_223
.LBB20_245:
	v_cmp_ne_u32_e32 vcc_lo, 1, v105
	v_lshlrev_b64 v[48:49], 2, v[74:75]
	s_cbranch_vccnz .LBB20_247
; %bb.246:
	s_delay_alu instid0(VALU_DEP_1) | instskip(NEXT) | instid1(VALU_DEP_2)
	v_add_co_u32 v54, vcc_lo, v52, v48
	v_add_co_ci_u32_e32 v55, vcc_lo, v53, v49, vcc_lo
	flat_load_b32 v54, v[54:55]
	s_waitcnt vmcnt(0) lgkmcnt(0)
	v_mul_f32_e32 v54, s24, v54
	s_branch .LBB20_248
.LBB20_247:
	v_mov_b32_e32 v54, 0
.LBB20_248:
	v_dual_add_f32 v55, v13, v45 :: v_dual_add_f32 v56, v12, v44
	v_dual_add_f32 v57, v15, v47 :: v_dual_add_f32 v58, v14, v46
	s_delay_alu instid0(VALU_DEP_4) | instskip(NEXT) | instid1(VALU_DEP_3)
	v_add_co_u32 v48, vcc_lo, v50, v48
	v_min3_f32 v55, v56, v55, v109
	v_add_co_ci_u32_e32 v49, vcc_lo, v51, v49, vcc_lo
	s_delay_alu instid0(VALU_DEP_4) | instskip(NEXT) | instid1(VALU_DEP_1)
	v_min_f32_e32 v56, v58, v57
	v_min3_f32 v54, v54, v56, v55
	global_store_b32 v[48:49], v54, off
	s_or_b32 exec_lo, exec_lo, s15
	s_and_b32 s16, s6, s8
	s_delay_alu instid0(SALU_CYCLE_1)
	s_and_saveexec_b32 s15, s16
	s_cbranch_execz .LBB20_224
.LBB20_249:
	v_cmp_ne_u32_e32 vcc_lo, 1, v105
	v_lshlrev_b64 v[48:49], 2, v[76:77]
	s_cbranch_vccnz .LBB20_251
; %bb.250:
	s_delay_alu instid0(VALU_DEP_1) | instskip(NEXT) | instid1(VALU_DEP_2)
	v_add_co_u32 v54, vcc_lo, v52, v48
	v_add_co_ci_u32_e32 v55, vcc_lo, v53, v49, vcc_lo
	flat_load_b32 v54, v[54:55]
	s_waitcnt vmcnt(0) lgkmcnt(0)
	v_mul_f32_e32 v54, s24, v54
	s_branch .LBB20_252
.LBB20_251:
	v_mov_b32_e32 v54, 0
.LBB20_252:
	v_dual_add_f32 v55, v9, v45 :: v_dual_add_f32 v56, v8, v44
	v_dual_add_f32 v57, v11, v47 :: v_dual_add_f32 v58, v10, v46
	s_delay_alu instid0(VALU_DEP_4) | instskip(NEXT) | instid1(VALU_DEP_3)
	v_add_co_u32 v48, vcc_lo, v50, v48
	v_min3_f32 v55, v56, v55, v108
	v_add_co_ci_u32_e32 v49, vcc_lo, v51, v49, vcc_lo
	s_delay_alu instid0(VALU_DEP_4) | instskip(NEXT) | instid1(VALU_DEP_1)
	v_min_f32_e32 v56, v58, v57
	v_min3_f32 v54, v54, v56, v55
	global_store_b32 v[48:49], v54, off
	s_or_b32 exec_lo, exec_lo, s15
	s_and_b32 s15, s7, s8
	s_delay_alu instid0(SALU_CYCLE_1)
	s_and_saveexec_b32 s8, s15
	s_cbranch_execz .LBB20_257
.LBB20_253:
	v_cmp_ne_u32_e32 vcc_lo, 1, v105
	v_lshlrev_b64 v[48:49], 2, v[78:79]
	s_cbranch_vccnz .LBB20_255
; %bb.254:
	s_delay_alu instid0(VALU_DEP_1) | instskip(NEXT) | instid1(VALU_DEP_2)
	v_add_co_u32 v52, vcc_lo, v52, v48
	v_add_co_ci_u32_e32 v53, vcc_lo, v53, v49, vcc_lo
	flat_load_b32 v52, v[52:53]
	s_waitcnt vmcnt(0) lgkmcnt(0)
	v_mul_f32_e32 v52, s24, v52
	s_branch .LBB20_256
.LBB20_255:
	v_mov_b32_e32 v52, 0
.LBB20_256:
	v_dual_add_f32 v45, v1, v45 :: v_dual_add_f32 v44, v0, v44
	v_dual_add_f32 v47, v3, v47 :: v_dual_add_f32 v46, v2, v46
	s_delay_alu instid0(VALU_DEP_2) | instskip(NEXT) | instid1(VALU_DEP_2)
	v_min3_f32 v44, v44, v45, v107
	v_min_f32_e32 v45, v46, v47
	s_delay_alu instid0(VALU_DEP_1)
	v_min3_f32 v46, v52, v45, v44
	v_add_co_u32 v44, vcc_lo, v50, v48
	v_add_co_ci_u32_e32 v45, vcc_lo, v51, v49, vcc_lo
	global_store_b32 v[44:45], v46, off
.LBB20_257:
	s_or_b32 exec_lo, exec_lo, s8
	v_add_nc_u32_e32 v48, 0xa0, v113
	s_delay_alu instid0(VALU_DEP_1) | instskip(SKIP_2) | instid1(VALU_DEP_3)
	v_mad_i64_i32 v[44:45], null, v48, s14, 0
	v_mad_i64_i32 v[46:47], null, v48, s9, 0
	v_cmp_gt_i32_e64 s8, s17, v48
	v_lshlrev_b64 v[44:45], 2, v[44:45]
	s_delay_alu instid0(VALU_DEP_2) | instskip(NEXT) | instid1(VALU_DEP_3)
	s_and_b32 s16, s0, s8
	v_lshlrev_b64 v[46:47], 2, v[46:47]
	s_delay_alu instid0(VALU_DEP_2) | instskip(NEXT) | instid1(VALU_DEP_3)
	v_add_co_u32 v48, vcc_lo, s10, v44
	v_add_co_ci_u32_e32 v49, vcc_lo, s11, v45, vcc_lo
	s_delay_alu instid0(VALU_DEP_3) | instskip(NEXT) | instid1(VALU_DEP_4)
	v_add_co_u32 v46, vcc_lo, s12, v46
	v_add_co_ci_u32_e32 v47, vcc_lo, s13, v47, vcc_lo
	s_and_saveexec_b32 s15, s16
	s_cbranch_execnz .LBB20_265
; %bb.258:
	s_or_b32 exec_lo, exec_lo, s15
	s_and_b32 s16, s1, s8
	s_delay_alu instid0(SALU_CYCLE_1)
	s_and_saveexec_b32 s15, s16
	s_cbranch_execnz .LBB20_269
.LBB20_259:
	s_or_b32 exec_lo, exec_lo, s15
	s_and_b32 s16, s2, s8
	s_delay_alu instid0(SALU_CYCLE_1)
	s_and_saveexec_b32 s15, s16
	s_cbranch_execnz .LBB20_273
.LBB20_260:
	s_or_b32 exec_lo, exec_lo, s15
	s_and_b32 s16, s3, s8
	s_delay_alu instid0(SALU_CYCLE_1)
	s_and_saveexec_b32 s15, s16
	s_cbranch_execnz .LBB20_277
.LBB20_261:
	s_or_b32 exec_lo, exec_lo, s15
	s_and_b32 s16, s4, s8
	s_delay_alu instid0(SALU_CYCLE_1)
	s_and_saveexec_b32 s15, s16
	s_cbranch_execnz .LBB20_281
.LBB20_262:
	s_or_b32 exec_lo, exec_lo, s15
	s_and_b32 s16, s5, s8
	s_delay_alu instid0(SALU_CYCLE_1)
	s_and_saveexec_b32 s15, s16
	s_cbranch_execnz .LBB20_285
.LBB20_263:
	s_or_b32 exec_lo, exec_lo, s15
	s_and_b32 s16, s6, s8
	s_delay_alu instid0(SALU_CYCLE_1)
	s_and_saveexec_b32 s15, s16
	s_cbranch_execnz .LBB20_289
.LBB20_264:
	s_or_b32 exec_lo, exec_lo, s15
	s_and_b32 s15, s7, s8
	s_delay_alu instid0(SALU_CYCLE_1)
	s_and_saveexec_b32 s8, s15
	s_cbranch_execnz .LBB20_293
	s_branch .LBB20_297
.LBB20_265:
	v_cmp_ne_u32_e32 vcc_lo, 1, v105
	v_lshlrev_b64 v[44:45], 2, v[64:65]
	s_cbranch_vccnz .LBB20_267
; %bb.266:
	s_delay_alu instid0(VALU_DEP_1) | instskip(NEXT) | instid1(VALU_DEP_2)
	v_add_co_u32 v50, vcc_lo, v48, v44
	v_add_co_ci_u32_e32 v51, vcc_lo, v49, v45, vcc_lo
	flat_load_b32 v50, v[50:51]
	s_waitcnt vmcnt(0) lgkmcnt(0)
	v_mul_f32_e32 v50, s24, v50
	s_branch .LBB20_268
.LBB20_267:
	v_mov_b32_e32 v50, 0
.LBB20_268:
	v_dual_add_f32 v51, v33, v41 :: v_dual_add_f32 v52, v32, v40
	v_dual_add_f32 v53, v35, v43 :: v_dual_add_f32 v54, v34, v42
	s_delay_alu instid0(VALU_DEP_4) | instskip(NEXT) | instid1(VALU_DEP_3)
	v_add_co_u32 v44, vcc_lo, v46, v44
	v_min3_f32 v51, v52, v51, v106
	v_add_co_ci_u32_e32 v45, vcc_lo, v47, v45, vcc_lo
	s_delay_alu instid0(VALU_DEP_4) | instskip(NEXT) | instid1(VALU_DEP_1)
	v_min_f32_e32 v52, v54, v53
	v_min3_f32 v50, v50, v52, v51
	global_store_b32 v[44:45], v50, off
	s_or_b32 exec_lo, exec_lo, s15
	s_and_b32 s16, s1, s8
	s_delay_alu instid0(SALU_CYCLE_1)
	s_and_saveexec_b32 s15, s16
	s_cbranch_execz .LBB20_259
.LBB20_269:
	v_cmp_ne_u32_e32 vcc_lo, 1, v105
	v_lshlrev_b64 v[44:45], 2, v[66:67]
	s_cbranch_vccnz .LBB20_271
; %bb.270:
	s_delay_alu instid0(VALU_DEP_1) | instskip(NEXT) | instid1(VALU_DEP_2)
	v_add_co_u32 v50, vcc_lo, v48, v44
	v_add_co_ci_u32_e32 v51, vcc_lo, v49, v45, vcc_lo
	flat_load_b32 v50, v[50:51]
	s_waitcnt vmcnt(0) lgkmcnt(0)
	v_mul_f32_e32 v50, s24, v50
	s_branch .LBB20_272
.LBB20_271:
	v_mov_b32_e32 v50, 0
.LBB20_272:
	v_dual_add_f32 v51, v29, v41 :: v_dual_add_f32 v52, v28, v40
	v_dual_add_f32 v53, v31, v43 :: v_dual_add_f32 v54, v30, v42
	s_delay_alu instid0(VALU_DEP_4) | instskip(NEXT) | instid1(VALU_DEP_3)
	v_add_co_u32 v44, vcc_lo, v46, v44
	v_min3_f32 v51, v52, v51, v104
	v_add_co_ci_u32_e32 v45, vcc_lo, v47, v45, vcc_lo
	s_delay_alu instid0(VALU_DEP_4) | instskip(NEXT) | instid1(VALU_DEP_1)
	v_min_f32_e32 v52, v54, v53
	v_min3_f32 v50, v50, v52, v51
	global_store_b32 v[44:45], v50, off
	s_or_b32 exec_lo, exec_lo, s15
	s_and_b32 s16, s2, s8
	s_delay_alu instid0(SALU_CYCLE_1)
	s_and_saveexec_b32 s15, s16
	s_cbranch_execz .LBB20_260
.LBB20_273:
	v_cmp_ne_u32_e32 vcc_lo, 1, v105
	v_lshlrev_b64 v[44:45], 2, v[68:69]
	s_cbranch_vccnz .LBB20_275
; %bb.274:
	s_delay_alu instid0(VALU_DEP_1) | instskip(NEXT) | instid1(VALU_DEP_2)
	v_add_co_u32 v50, vcc_lo, v48, v44
	v_add_co_ci_u32_e32 v51, vcc_lo, v49, v45, vcc_lo
	flat_load_b32 v50, v[50:51]
	s_waitcnt vmcnt(0) lgkmcnt(0)
	v_mul_f32_e32 v50, s24, v50
	s_branch .LBB20_276
.LBB20_275:
	v_mov_b32_e32 v50, 0
.LBB20_276:
	v_dual_add_f32 v51, v25, v41 :: v_dual_add_f32 v52, v24, v40
	v_dual_add_f32 v53, v27, v43 :: v_dual_add_f32 v54, v26, v42
	s_delay_alu instid0(VALU_DEP_4) | instskip(NEXT) | instid1(VALU_DEP_3)
	v_add_co_u32 v44, vcc_lo, v46, v44
	v_min3_f32 v51, v52, v51, v103
	v_add_co_ci_u32_e32 v45, vcc_lo, v47, v45, vcc_lo
	s_delay_alu instid0(VALU_DEP_4) | instskip(NEXT) | instid1(VALU_DEP_1)
	v_min_f32_e32 v52, v54, v53
	v_min3_f32 v50, v50, v52, v51
	global_store_b32 v[44:45], v50, off
	s_or_b32 exec_lo, exec_lo, s15
	s_and_b32 s16, s3, s8
	s_delay_alu instid0(SALU_CYCLE_1)
	s_and_saveexec_b32 s15, s16
	s_cbranch_execz .LBB20_261
.LBB20_277:
	v_cmp_ne_u32_e32 vcc_lo, 1, v105
	v_lshlrev_b64 v[44:45], 2, v[70:71]
	s_cbranch_vccnz .LBB20_279
; %bb.278:
	s_delay_alu instid0(VALU_DEP_1) | instskip(NEXT) | instid1(VALU_DEP_2)
	v_add_co_u32 v50, vcc_lo, v48, v44
	v_add_co_ci_u32_e32 v51, vcc_lo, v49, v45, vcc_lo
	flat_load_b32 v50, v[50:51]
	s_waitcnt vmcnt(0) lgkmcnt(0)
	v_mul_f32_e32 v50, s24, v50
	s_branch .LBB20_280
.LBB20_279:
	v_mov_b32_e32 v50, 0
.LBB20_280:
	v_dual_add_f32 v51, v21, v41 :: v_dual_add_f32 v52, v20, v40
	v_dual_add_f32 v53, v23, v43 :: v_dual_add_f32 v54, v22, v42
	s_delay_alu instid0(VALU_DEP_4) | instskip(NEXT) | instid1(VALU_DEP_3)
	v_add_co_u32 v44, vcc_lo, v46, v44
	v_min3_f32 v51, v52, v51, v102
	v_add_co_ci_u32_e32 v45, vcc_lo, v47, v45, vcc_lo
	s_delay_alu instid0(VALU_DEP_4) | instskip(NEXT) | instid1(VALU_DEP_1)
	v_min_f32_e32 v52, v54, v53
	v_min3_f32 v50, v50, v52, v51
	global_store_b32 v[44:45], v50, off
	s_or_b32 exec_lo, exec_lo, s15
	s_and_b32 s16, s4, s8
	s_delay_alu instid0(SALU_CYCLE_1)
	s_and_saveexec_b32 s15, s16
	s_cbranch_execz .LBB20_262
.LBB20_281:
	v_cmp_ne_u32_e32 vcc_lo, 1, v105
	v_lshlrev_b64 v[44:45], 2, v[72:73]
	s_cbranch_vccnz .LBB20_283
; %bb.282:
	s_delay_alu instid0(VALU_DEP_1) | instskip(NEXT) | instid1(VALU_DEP_2)
	v_add_co_u32 v50, vcc_lo, v48, v44
	v_add_co_ci_u32_e32 v51, vcc_lo, v49, v45, vcc_lo
	flat_load_b32 v50, v[50:51]
	s_waitcnt vmcnt(0) lgkmcnt(0)
	v_mul_f32_e32 v50, s24, v50
	s_branch .LBB20_284
.LBB20_283:
	v_mov_b32_e32 v50, 0
.LBB20_284:
	v_dual_add_f32 v51, v17, v41 :: v_dual_add_f32 v52, v16, v40
	v_dual_add_f32 v53, v19, v43 :: v_dual_add_f32 v54, v18, v42
	s_delay_alu instid0(VALU_DEP_4) | instskip(NEXT) | instid1(VALU_DEP_3)
	v_add_co_u32 v44, vcc_lo, v46, v44
	v_min3_f32 v51, v52, v51, v101
	v_add_co_ci_u32_e32 v45, vcc_lo, v47, v45, vcc_lo
	s_delay_alu instid0(VALU_DEP_4) | instskip(NEXT) | instid1(VALU_DEP_1)
	v_min_f32_e32 v52, v54, v53
	v_min3_f32 v50, v50, v52, v51
	global_store_b32 v[44:45], v50, off
	s_or_b32 exec_lo, exec_lo, s15
	s_and_b32 s16, s5, s8
	s_delay_alu instid0(SALU_CYCLE_1)
	s_and_saveexec_b32 s15, s16
	s_cbranch_execz .LBB20_263
.LBB20_285:
	v_cmp_ne_u32_e32 vcc_lo, 1, v105
	v_lshlrev_b64 v[44:45], 2, v[74:75]
	s_cbranch_vccnz .LBB20_287
; %bb.286:
	s_delay_alu instid0(VALU_DEP_1) | instskip(NEXT) | instid1(VALU_DEP_2)
	v_add_co_u32 v50, vcc_lo, v48, v44
	v_add_co_ci_u32_e32 v51, vcc_lo, v49, v45, vcc_lo
	flat_load_b32 v50, v[50:51]
	s_waitcnt vmcnt(0) lgkmcnt(0)
	v_mul_f32_e32 v50, s24, v50
	s_branch .LBB20_288
.LBB20_287:
	v_mov_b32_e32 v50, 0
.LBB20_288:
	v_dual_add_f32 v51, v13, v41 :: v_dual_add_f32 v52, v12, v40
	v_dual_add_f32 v53, v15, v43 :: v_dual_add_f32 v54, v14, v42
	s_delay_alu instid0(VALU_DEP_4) | instskip(NEXT) | instid1(VALU_DEP_3)
	v_add_co_u32 v44, vcc_lo, v46, v44
	v_min3_f32 v51, v52, v51, v100
	v_add_co_ci_u32_e32 v45, vcc_lo, v47, v45, vcc_lo
	s_delay_alu instid0(VALU_DEP_4) | instskip(NEXT) | instid1(VALU_DEP_1)
	v_min_f32_e32 v52, v54, v53
	v_min3_f32 v50, v50, v52, v51
	global_store_b32 v[44:45], v50, off
	s_or_b32 exec_lo, exec_lo, s15
	s_and_b32 s16, s6, s8
	s_delay_alu instid0(SALU_CYCLE_1)
	s_and_saveexec_b32 s15, s16
	s_cbranch_execz .LBB20_264
.LBB20_289:
	v_cmp_ne_u32_e32 vcc_lo, 1, v105
	v_lshlrev_b64 v[44:45], 2, v[76:77]
	s_cbranch_vccnz .LBB20_291
; %bb.290:
	s_delay_alu instid0(VALU_DEP_1) | instskip(NEXT) | instid1(VALU_DEP_2)
	v_add_co_u32 v50, vcc_lo, v48, v44
	v_add_co_ci_u32_e32 v51, vcc_lo, v49, v45, vcc_lo
	flat_load_b32 v50, v[50:51]
	s_waitcnt vmcnt(0) lgkmcnt(0)
	v_mul_f32_e32 v50, s24, v50
	s_branch .LBB20_292
.LBB20_291:
	v_mov_b32_e32 v50, 0
.LBB20_292:
	v_dual_add_f32 v51, v9, v41 :: v_dual_add_f32 v52, v8, v40
	v_dual_add_f32 v53, v11, v43 :: v_dual_add_f32 v54, v10, v42
	s_delay_alu instid0(VALU_DEP_4) | instskip(NEXT) | instid1(VALU_DEP_3)
	v_add_co_u32 v44, vcc_lo, v46, v44
	v_min3_f32 v51, v52, v51, v99
	v_add_co_ci_u32_e32 v45, vcc_lo, v47, v45, vcc_lo
	s_delay_alu instid0(VALU_DEP_4) | instskip(NEXT) | instid1(VALU_DEP_1)
	v_min_f32_e32 v52, v54, v53
	v_min3_f32 v50, v50, v52, v51
	global_store_b32 v[44:45], v50, off
	s_or_b32 exec_lo, exec_lo, s15
	s_and_b32 s15, s7, s8
	s_delay_alu instid0(SALU_CYCLE_1)
	s_and_saveexec_b32 s8, s15
	s_cbranch_execz .LBB20_297
.LBB20_293:
	v_cmp_ne_u32_e32 vcc_lo, 1, v105
	v_lshlrev_b64 v[44:45], 2, v[78:79]
	s_cbranch_vccnz .LBB20_295
; %bb.294:
	s_delay_alu instid0(VALU_DEP_1) | instskip(NEXT) | instid1(VALU_DEP_2)
	v_add_co_u32 v48, vcc_lo, v48, v44
	v_add_co_ci_u32_e32 v49, vcc_lo, v49, v45, vcc_lo
	flat_load_b32 v48, v[48:49]
	s_waitcnt vmcnt(0) lgkmcnt(0)
	v_mul_f32_e32 v48, s24, v48
	s_branch .LBB20_296
.LBB20_295:
	v_mov_b32_e32 v48, 0
.LBB20_296:
	v_dual_add_f32 v41, v1, v41 :: v_dual_add_f32 v40, v0, v40
	v_dual_add_f32 v43, v3, v43 :: v_dual_add_f32 v42, v2, v42
	s_delay_alu instid0(VALU_DEP_2) | instskip(NEXT) | instid1(VALU_DEP_2)
	v_min3_f32 v40, v40, v41, v98
	v_min_f32_e32 v41, v42, v43
	s_delay_alu instid0(VALU_DEP_1)
	v_min3_f32 v42, v48, v41, v40
	v_add_co_u32 v40, vcc_lo, v46, v44
	v_add_co_ci_u32_e32 v41, vcc_lo, v47, v45, vcc_lo
	global_store_b32 v[40:41], v42, off
.LBB20_297:
	s_or_b32 exec_lo, exec_lo, s8
	v_add_nc_u32_e32 v44, 0xc0, v113
	s_delay_alu instid0(VALU_DEP_1) | instskip(SKIP_2) | instid1(VALU_DEP_3)
	v_mad_i64_i32 v[40:41], null, v44, s14, 0
	v_mad_i64_i32 v[42:43], null, v44, s9, 0
	v_cmp_gt_i32_e64 s8, s17, v44
	v_lshlrev_b64 v[40:41], 2, v[40:41]
	s_delay_alu instid0(VALU_DEP_2) | instskip(NEXT) | instid1(VALU_DEP_3)
	s_and_b32 s16, s0, s8
	v_lshlrev_b64 v[42:43], 2, v[42:43]
	s_delay_alu instid0(VALU_DEP_2) | instskip(NEXT) | instid1(VALU_DEP_3)
	v_add_co_u32 v44, vcc_lo, s10, v40
	v_add_co_ci_u32_e32 v45, vcc_lo, s11, v41, vcc_lo
	s_delay_alu instid0(VALU_DEP_3) | instskip(NEXT) | instid1(VALU_DEP_4)
	v_add_co_u32 v42, vcc_lo, s12, v42
	v_add_co_ci_u32_e32 v43, vcc_lo, s13, v43, vcc_lo
	s_and_saveexec_b32 s15, s16
	s_cbranch_execnz .LBB20_305
; %bb.298:
	s_or_b32 exec_lo, exec_lo, s15
	s_and_b32 s16, s1, s8
	s_delay_alu instid0(SALU_CYCLE_1)
	s_and_saveexec_b32 s15, s16
	s_cbranch_execnz .LBB20_309
.LBB20_299:
	s_or_b32 exec_lo, exec_lo, s15
	s_and_b32 s16, s2, s8
	s_delay_alu instid0(SALU_CYCLE_1)
	s_and_saveexec_b32 s15, s16
	s_cbranch_execnz .LBB20_313
.LBB20_300:
	s_or_b32 exec_lo, exec_lo, s15
	s_and_b32 s16, s3, s8
	s_delay_alu instid0(SALU_CYCLE_1)
	s_and_saveexec_b32 s15, s16
	s_cbranch_execnz .LBB20_317
.LBB20_301:
	s_or_b32 exec_lo, exec_lo, s15
	s_and_b32 s16, s4, s8
	s_delay_alu instid0(SALU_CYCLE_1)
	s_and_saveexec_b32 s15, s16
	s_cbranch_execnz .LBB20_321
.LBB20_302:
	s_or_b32 exec_lo, exec_lo, s15
	s_and_b32 s16, s5, s8
	s_delay_alu instid0(SALU_CYCLE_1)
	s_and_saveexec_b32 s15, s16
	s_cbranch_execnz .LBB20_325
.LBB20_303:
	s_or_b32 exec_lo, exec_lo, s15
	s_and_b32 s16, s6, s8
	s_delay_alu instid0(SALU_CYCLE_1)
	s_and_saveexec_b32 s15, s16
	s_cbranch_execnz .LBB20_329
.LBB20_304:
	s_or_b32 exec_lo, exec_lo, s15
	s_and_b32 s15, s7, s8
	s_delay_alu instid0(SALU_CYCLE_1)
	s_and_saveexec_b32 s8, s15
	s_cbranch_execnz .LBB20_333
	s_branch .LBB20_337
.LBB20_305:
	v_cmp_ne_u32_e32 vcc_lo, 1, v105
	v_lshlrev_b64 v[40:41], 2, v[64:65]
	s_cbranch_vccnz .LBB20_307
; %bb.306:
	s_delay_alu instid0(VALU_DEP_1) | instskip(NEXT) | instid1(VALU_DEP_2)
	v_add_co_u32 v46, vcc_lo, v44, v40
	v_add_co_ci_u32_e32 v47, vcc_lo, v45, v41, vcc_lo
	flat_load_b32 v46, v[46:47]
	s_waitcnt vmcnt(0) lgkmcnt(0)
	v_mul_f32_e32 v46, s24, v46
	s_branch .LBB20_308
.LBB20_307:
	v_mov_b32_e32 v46, 0
.LBB20_308:
	v_dual_add_f32 v47, v33, v37 :: v_dual_add_f32 v48, v32, v36
	v_dual_add_f32 v49, v35, v39 :: v_dual_add_f32 v50, v34, v38
	s_delay_alu instid0(VALU_DEP_4) | instskip(NEXT) | instid1(VALU_DEP_3)
	v_add_co_u32 v40, vcc_lo, v42, v40
	v_min3_f32 v47, v48, v47, v97
	v_add_co_ci_u32_e32 v41, vcc_lo, v43, v41, vcc_lo
	s_delay_alu instid0(VALU_DEP_4) | instskip(NEXT) | instid1(VALU_DEP_1)
	v_min_f32_e32 v48, v50, v49
	v_min3_f32 v46, v46, v48, v47
	global_store_b32 v[40:41], v46, off
	s_or_b32 exec_lo, exec_lo, s15
	s_and_b32 s16, s1, s8
	s_delay_alu instid0(SALU_CYCLE_1)
	s_and_saveexec_b32 s15, s16
	s_cbranch_execz .LBB20_299
.LBB20_309:
	v_cmp_ne_u32_e32 vcc_lo, 1, v105
	v_lshlrev_b64 v[40:41], 2, v[66:67]
	s_cbranch_vccnz .LBB20_311
; %bb.310:
	s_delay_alu instid0(VALU_DEP_1) | instskip(NEXT) | instid1(VALU_DEP_2)
	v_add_co_u32 v46, vcc_lo, v44, v40
	v_add_co_ci_u32_e32 v47, vcc_lo, v45, v41, vcc_lo
	flat_load_b32 v46, v[46:47]
	s_waitcnt vmcnt(0) lgkmcnt(0)
	v_mul_f32_e32 v46, s24, v46
	s_branch .LBB20_312
.LBB20_311:
	v_mov_b32_e32 v46, 0
.LBB20_312:
	v_dual_add_f32 v47, v29, v37 :: v_dual_add_f32 v48, v28, v36
	v_dual_add_f32 v49, v31, v39 :: v_dual_add_f32 v50, v30, v38
	s_delay_alu instid0(VALU_DEP_4) | instskip(NEXT) | instid1(VALU_DEP_3)
	v_add_co_u32 v40, vcc_lo, v42, v40
	v_min3_f32 v47, v48, v47, v96
	v_add_co_ci_u32_e32 v41, vcc_lo, v43, v41, vcc_lo
	s_delay_alu instid0(VALU_DEP_4) | instskip(NEXT) | instid1(VALU_DEP_1)
	v_min_f32_e32 v48, v50, v49
	v_min3_f32 v46, v46, v48, v47
	global_store_b32 v[40:41], v46, off
	s_or_b32 exec_lo, exec_lo, s15
	s_and_b32 s16, s2, s8
	s_delay_alu instid0(SALU_CYCLE_1)
	s_and_saveexec_b32 s15, s16
	s_cbranch_execz .LBB20_300
.LBB20_313:
	v_cmp_ne_u32_e32 vcc_lo, 1, v105
	v_lshlrev_b64 v[40:41], 2, v[68:69]
	s_cbranch_vccnz .LBB20_315
; %bb.314:
	s_delay_alu instid0(VALU_DEP_1) | instskip(NEXT) | instid1(VALU_DEP_2)
	v_add_co_u32 v46, vcc_lo, v44, v40
	v_add_co_ci_u32_e32 v47, vcc_lo, v45, v41, vcc_lo
	flat_load_b32 v46, v[46:47]
	s_waitcnt vmcnt(0) lgkmcnt(0)
	v_mul_f32_e32 v46, s24, v46
	s_branch .LBB20_316
.LBB20_315:
	v_mov_b32_e32 v46, 0
.LBB20_316:
	v_dual_add_f32 v47, v25, v37 :: v_dual_add_f32 v48, v24, v36
	v_dual_add_f32 v49, v27, v39 :: v_dual_add_f32 v50, v26, v38
	s_delay_alu instid0(VALU_DEP_4) | instskip(NEXT) | instid1(VALU_DEP_3)
	v_add_co_u32 v40, vcc_lo, v42, v40
	v_min3_f32 v47, v48, v47, v95
	v_add_co_ci_u32_e32 v41, vcc_lo, v43, v41, vcc_lo
	s_delay_alu instid0(VALU_DEP_4) | instskip(NEXT) | instid1(VALU_DEP_1)
	v_min_f32_e32 v48, v50, v49
	v_min3_f32 v46, v46, v48, v47
	global_store_b32 v[40:41], v46, off
	s_or_b32 exec_lo, exec_lo, s15
	s_and_b32 s16, s3, s8
	s_delay_alu instid0(SALU_CYCLE_1)
	s_and_saveexec_b32 s15, s16
	s_cbranch_execz .LBB20_301
.LBB20_317:
	v_cmp_ne_u32_e32 vcc_lo, 1, v105
	v_lshlrev_b64 v[40:41], 2, v[70:71]
	s_cbranch_vccnz .LBB20_319
; %bb.318:
	s_delay_alu instid0(VALU_DEP_1) | instskip(NEXT) | instid1(VALU_DEP_2)
	v_add_co_u32 v46, vcc_lo, v44, v40
	v_add_co_ci_u32_e32 v47, vcc_lo, v45, v41, vcc_lo
	flat_load_b32 v46, v[46:47]
	s_waitcnt vmcnt(0) lgkmcnt(0)
	v_mul_f32_e32 v46, s24, v46
	s_branch .LBB20_320
.LBB20_319:
	v_mov_b32_e32 v46, 0
.LBB20_320:
	v_dual_add_f32 v47, v21, v37 :: v_dual_add_f32 v48, v20, v36
	v_dual_add_f32 v49, v23, v39 :: v_dual_add_f32 v50, v22, v38
	s_delay_alu instid0(VALU_DEP_4) | instskip(NEXT) | instid1(VALU_DEP_3)
	v_add_co_u32 v40, vcc_lo, v42, v40
	v_min3_f32 v47, v48, v47, v94
	v_add_co_ci_u32_e32 v41, vcc_lo, v43, v41, vcc_lo
	s_delay_alu instid0(VALU_DEP_4) | instskip(NEXT) | instid1(VALU_DEP_1)
	v_min_f32_e32 v48, v50, v49
	v_min3_f32 v46, v46, v48, v47
	global_store_b32 v[40:41], v46, off
	s_or_b32 exec_lo, exec_lo, s15
	s_and_b32 s16, s4, s8
	s_delay_alu instid0(SALU_CYCLE_1)
	s_and_saveexec_b32 s15, s16
	s_cbranch_execz .LBB20_302
.LBB20_321:
	v_cmp_ne_u32_e32 vcc_lo, 1, v105
	v_lshlrev_b64 v[40:41], 2, v[72:73]
	s_cbranch_vccnz .LBB20_323
; %bb.322:
	s_delay_alu instid0(VALU_DEP_1) | instskip(NEXT) | instid1(VALU_DEP_2)
	v_add_co_u32 v46, vcc_lo, v44, v40
	v_add_co_ci_u32_e32 v47, vcc_lo, v45, v41, vcc_lo
	flat_load_b32 v46, v[46:47]
	s_waitcnt vmcnt(0) lgkmcnt(0)
	v_mul_f32_e32 v46, s24, v46
	s_branch .LBB20_324
.LBB20_323:
	v_mov_b32_e32 v46, 0
.LBB20_324:
	v_dual_add_f32 v47, v17, v37 :: v_dual_add_f32 v48, v16, v36
	v_dual_add_f32 v49, v19, v39 :: v_dual_add_f32 v50, v18, v38
	s_delay_alu instid0(VALU_DEP_4) | instskip(NEXT) | instid1(VALU_DEP_3)
	v_add_co_u32 v40, vcc_lo, v42, v40
	v_min3_f32 v47, v48, v47, v93
	v_add_co_ci_u32_e32 v41, vcc_lo, v43, v41, vcc_lo
	s_delay_alu instid0(VALU_DEP_4) | instskip(NEXT) | instid1(VALU_DEP_1)
	v_min_f32_e32 v48, v50, v49
	v_min3_f32 v46, v46, v48, v47
	global_store_b32 v[40:41], v46, off
	s_or_b32 exec_lo, exec_lo, s15
	s_and_b32 s16, s5, s8
	s_delay_alu instid0(SALU_CYCLE_1)
	s_and_saveexec_b32 s15, s16
	s_cbranch_execz .LBB20_303
.LBB20_325:
	v_cmp_ne_u32_e32 vcc_lo, 1, v105
	v_lshlrev_b64 v[40:41], 2, v[74:75]
	s_cbranch_vccnz .LBB20_327
; %bb.326:
	s_delay_alu instid0(VALU_DEP_1) | instskip(NEXT) | instid1(VALU_DEP_2)
	v_add_co_u32 v46, vcc_lo, v44, v40
	v_add_co_ci_u32_e32 v47, vcc_lo, v45, v41, vcc_lo
	flat_load_b32 v46, v[46:47]
	s_waitcnt vmcnt(0) lgkmcnt(0)
	v_mul_f32_e32 v46, s24, v46
	s_branch .LBB20_328
.LBB20_327:
	v_mov_b32_e32 v46, 0
.LBB20_328:
	v_dual_add_f32 v47, v13, v37 :: v_dual_add_f32 v48, v12, v36
	v_dual_add_f32 v49, v15, v39 :: v_dual_add_f32 v50, v14, v38
	s_delay_alu instid0(VALU_DEP_4) | instskip(NEXT) | instid1(VALU_DEP_3)
	v_add_co_u32 v40, vcc_lo, v42, v40
	v_min3_f32 v47, v48, v47, v92
	v_add_co_ci_u32_e32 v41, vcc_lo, v43, v41, vcc_lo
	s_delay_alu instid0(VALU_DEP_4) | instskip(NEXT) | instid1(VALU_DEP_1)
	v_min_f32_e32 v48, v50, v49
	v_min3_f32 v46, v46, v48, v47
	global_store_b32 v[40:41], v46, off
	s_or_b32 exec_lo, exec_lo, s15
	s_and_b32 s16, s6, s8
	s_delay_alu instid0(SALU_CYCLE_1)
	s_and_saveexec_b32 s15, s16
	s_cbranch_execz .LBB20_304
.LBB20_329:
	v_cmp_ne_u32_e32 vcc_lo, 1, v105
	v_lshlrev_b64 v[40:41], 2, v[76:77]
	s_cbranch_vccnz .LBB20_331
; %bb.330:
	s_delay_alu instid0(VALU_DEP_1) | instskip(NEXT) | instid1(VALU_DEP_2)
	v_add_co_u32 v46, vcc_lo, v44, v40
	v_add_co_ci_u32_e32 v47, vcc_lo, v45, v41, vcc_lo
	flat_load_b32 v46, v[46:47]
	s_waitcnt vmcnt(0) lgkmcnt(0)
	v_mul_f32_e32 v46, s24, v46
	s_branch .LBB20_332
.LBB20_331:
	v_mov_b32_e32 v46, 0
.LBB20_332:
	v_dual_add_f32 v47, v9, v37 :: v_dual_add_f32 v48, v8, v36
	v_dual_add_f32 v49, v11, v39 :: v_dual_add_f32 v50, v10, v38
	s_delay_alu instid0(VALU_DEP_4) | instskip(NEXT) | instid1(VALU_DEP_3)
	v_add_co_u32 v40, vcc_lo, v42, v40
	v_min3_f32 v47, v48, v47, v91
	v_add_co_ci_u32_e32 v41, vcc_lo, v43, v41, vcc_lo
	s_delay_alu instid0(VALU_DEP_4) | instskip(NEXT) | instid1(VALU_DEP_1)
	v_min_f32_e32 v48, v50, v49
	v_min3_f32 v46, v46, v48, v47
	global_store_b32 v[40:41], v46, off
	s_or_b32 exec_lo, exec_lo, s15
	s_and_b32 s15, s7, s8
	s_delay_alu instid0(SALU_CYCLE_1)
	s_and_saveexec_b32 s8, s15
	s_cbranch_execz .LBB20_337
.LBB20_333:
	v_cmp_ne_u32_e32 vcc_lo, 1, v105
	v_lshlrev_b64 v[40:41], 2, v[78:79]
	s_cbranch_vccnz .LBB20_335
; %bb.334:
	s_delay_alu instid0(VALU_DEP_1) | instskip(NEXT) | instid1(VALU_DEP_2)
	v_add_co_u32 v44, vcc_lo, v44, v40
	v_add_co_ci_u32_e32 v45, vcc_lo, v45, v41, vcc_lo
	flat_load_b32 v44, v[44:45]
	s_waitcnt vmcnt(0) lgkmcnt(0)
	v_mul_f32_e32 v44, s24, v44
	s_branch .LBB20_336
.LBB20_335:
	v_mov_b32_e32 v44, 0
.LBB20_336:
	v_dual_add_f32 v37, v1, v37 :: v_dual_add_f32 v36, v0, v36
	v_dual_add_f32 v39, v3, v39 :: v_dual_add_f32 v38, v2, v38
	s_delay_alu instid0(VALU_DEP_2) | instskip(NEXT) | instid1(VALU_DEP_2)
	v_min3_f32 v36, v36, v37, v90
	v_min_f32_e32 v37, v38, v39
	s_delay_alu instid0(VALU_DEP_1)
	v_min3_f32 v38, v44, v37, v36
	v_add_co_u32 v36, vcc_lo, v42, v40
	v_add_co_ci_u32_e32 v37, vcc_lo, v43, v41, vcc_lo
	global_store_b32 v[36:37], v38, off
.LBB20_337:
	s_or_b32 exec_lo, exec_lo, s8
	v_add_nc_u32_e32 v40, 0xe0, v113
	s_delay_alu instid0(VALU_DEP_1) | instskip(SKIP_2) | instid1(VALU_DEP_3)
	v_mad_i64_i32 v[36:37], null, v40, s14, 0
	v_mad_i64_i32 v[38:39], null, v40, s9, 0
	v_cmp_gt_i32_e64 s8, s17, v40
	v_lshlrev_b64 v[36:37], 2, v[36:37]
	s_delay_alu instid0(VALU_DEP_2) | instskip(NEXT) | instid1(VALU_DEP_3)
	s_and_b32 s9, s0, s8
	v_lshlrev_b64 v[38:39], 2, v[38:39]
	s_delay_alu instid0(VALU_DEP_2) | instskip(NEXT) | instid1(VALU_DEP_3)
	v_add_co_u32 v40, vcc_lo, s10, v36
	v_add_co_ci_u32_e32 v41, vcc_lo, s11, v37, vcc_lo
	s_delay_alu instid0(VALU_DEP_3) | instskip(NEXT) | instid1(VALU_DEP_4)
	v_add_co_u32 v38, vcc_lo, s12, v38
	v_add_co_ci_u32_e32 v39, vcc_lo, s13, v39, vcc_lo
	s_and_saveexec_b32 s0, s9
	s_cbranch_execnz .LBB20_346
; %bb.338:
	s_or_b32 exec_lo, exec_lo, s0
	s_and_b32 s1, s1, s8
	s_delay_alu instid0(SALU_CYCLE_1)
	s_and_saveexec_b32 s0, s1
	s_cbranch_execnz .LBB20_350
.LBB20_339:
	s_or_b32 exec_lo, exec_lo, s0
	s_and_b32 s1, s2, s8
	s_delay_alu instid0(SALU_CYCLE_1)
	s_and_saveexec_b32 s0, s1
	s_cbranch_execnz .LBB20_354
.LBB20_340:
	s_or_b32 exec_lo, exec_lo, s0
	s_and_b32 s1, s3, s8
	s_delay_alu instid0(SALU_CYCLE_1)
	s_and_saveexec_b32 s0, s1
	s_cbranch_execnz .LBB20_358
.LBB20_341:
	s_or_b32 exec_lo, exec_lo, s0
	s_and_b32 s1, s4, s8
	s_delay_alu instid0(SALU_CYCLE_1)
	s_and_saveexec_b32 s0, s1
	s_cbranch_execnz .LBB20_362
.LBB20_342:
	s_or_b32 exec_lo, exec_lo, s0
	s_and_b32 s1, s5, s8
	s_delay_alu instid0(SALU_CYCLE_1)
	s_and_saveexec_b32 s0, s1
	s_cbranch_execnz .LBB20_366
.LBB20_343:
	s_or_b32 exec_lo, exec_lo, s0
	s_and_b32 s1, s6, s8
	s_delay_alu instid0(SALU_CYCLE_1)
	s_and_saveexec_b32 s0, s1
	s_cbranch_execnz .LBB20_370
.LBB20_344:
	s_or_b32 exec_lo, exec_lo, s0
	s_and_b32 s0, s7, s8
	s_delay_alu instid0(SALU_CYCLE_1)
	s_and_saveexec_b32 s1, s0
	s_cbranch_execnz .LBB20_374
.LBB20_345:
	s_nop 0
	s_sendmsg sendmsg(MSG_DEALLOC_VGPRS)
	s_endpgm
.LBB20_346:
	v_cmp_ne_u32_e32 vcc_lo, 1, v105
	v_lshlrev_b64 v[36:37], 2, v[64:65]
	s_cbranch_vccnz .LBB20_348
; %bb.347:
	s_delay_alu instid0(VALU_DEP_1) | instskip(NEXT) | instid1(VALU_DEP_2)
	v_add_co_u32 v42, vcc_lo, v40, v36
	v_add_co_ci_u32_e32 v43, vcc_lo, v41, v37, vcc_lo
	flat_load_b32 v42, v[42:43]
	s_waitcnt vmcnt(0) lgkmcnt(0)
	v_mul_f32_e32 v42, s24, v42
	s_branch .LBB20_349
.LBB20_348:
	v_mov_b32_e32 v42, 0
.LBB20_349:
	v_dual_add_f32 v33, v33, v5 :: v_dual_add_f32 v32, v32, v4
	v_dual_add_f32 v35, v35, v7 :: v_dual_add_f32 v34, v34, v6
	s_delay_alu instid0(VALU_DEP_2) | instskip(NEXT) | instid1(VALU_DEP_2)
	v_min3_f32 v32, v32, v33, v89
	v_min_f32_e32 v33, v34, v35
	s_delay_alu instid0(VALU_DEP_1)
	v_min3_f32 v34, v42, v33, v32
	v_add_co_u32 v32, vcc_lo, v38, v36
	v_add_co_ci_u32_e32 v33, vcc_lo, v39, v37, vcc_lo
	global_store_b32 v[32:33], v34, off
	s_or_b32 exec_lo, exec_lo, s0
	s_and_b32 s1, s1, s8
	s_delay_alu instid0(SALU_CYCLE_1)
	s_and_saveexec_b32 s0, s1
	s_cbranch_execz .LBB20_339
.LBB20_350:
	v_cmp_ne_u32_e32 vcc_lo, 1, v105
	v_lshlrev_b64 v[32:33], 2, v[66:67]
	s_cbranch_vccnz .LBB20_352
; %bb.351:
	s_delay_alu instid0(VALU_DEP_1) | instskip(NEXT) | instid1(VALU_DEP_2)
	v_add_co_u32 v34, vcc_lo, v40, v32
	v_add_co_ci_u32_e32 v35, vcc_lo, v41, v33, vcc_lo
	flat_load_b32 v34, v[34:35]
	s_waitcnt vmcnt(0) lgkmcnt(0)
	v_mul_f32_e32 v34, s24, v34
	s_branch .LBB20_353
.LBB20_352:
	v_mov_b32_e32 v34, 0
.LBB20_353:
	v_dual_add_f32 v29, v29, v5 :: v_dual_add_f32 v28, v28, v4
	v_dual_add_f32 v31, v31, v7 :: v_dual_add_f32 v30, v30, v6
	s_delay_alu instid0(VALU_DEP_2) | instskip(NEXT) | instid1(VALU_DEP_2)
	v_min3_f32 v28, v28, v29, v88
	v_min_f32_e32 v29, v30, v31
	s_delay_alu instid0(VALU_DEP_1)
	v_min3_f32 v30, v34, v29, v28
	v_add_co_u32 v28, vcc_lo, v38, v32
	v_add_co_ci_u32_e32 v29, vcc_lo, v39, v33, vcc_lo
	global_store_b32 v[28:29], v30, off
	s_or_b32 exec_lo, exec_lo, s0
	s_and_b32 s1, s2, s8
	s_delay_alu instid0(SALU_CYCLE_1)
	s_and_saveexec_b32 s0, s1
	s_cbranch_execz .LBB20_340
.LBB20_354:
	v_cmp_ne_u32_e32 vcc_lo, 1, v105
	v_lshlrev_b64 v[28:29], 2, v[68:69]
	s_cbranch_vccnz .LBB20_356
; %bb.355:
	s_delay_alu instid0(VALU_DEP_1) | instskip(NEXT) | instid1(VALU_DEP_2)
	v_add_co_u32 v30, vcc_lo, v40, v28
	v_add_co_ci_u32_e32 v31, vcc_lo, v41, v29, vcc_lo
	flat_load_b32 v30, v[30:31]
	s_waitcnt vmcnt(0) lgkmcnt(0)
	v_mul_f32_e32 v30, s24, v30
	s_branch .LBB20_357
.LBB20_356:
	v_mov_b32_e32 v30, 0
.LBB20_357:
	v_dual_add_f32 v25, v25, v5 :: v_dual_add_f32 v24, v24, v4
	v_dual_add_f32 v27, v27, v7 :: v_dual_add_f32 v26, v26, v6
	s_delay_alu instid0(VALU_DEP_2) | instskip(NEXT) | instid1(VALU_DEP_2)
	v_min3_f32 v24, v24, v25, v87
	v_min_f32_e32 v25, v26, v27
	s_delay_alu instid0(VALU_DEP_1)
	v_min3_f32 v26, v30, v25, v24
	v_add_co_u32 v24, vcc_lo, v38, v28
	v_add_co_ci_u32_e32 v25, vcc_lo, v39, v29, vcc_lo
	global_store_b32 v[24:25], v26, off
	s_or_b32 exec_lo, exec_lo, s0
	s_and_b32 s1, s3, s8
	s_delay_alu instid0(SALU_CYCLE_1)
	s_and_saveexec_b32 s0, s1
	s_cbranch_execz .LBB20_341
.LBB20_358:
	v_cmp_ne_u32_e32 vcc_lo, 1, v105
	v_lshlrev_b64 v[24:25], 2, v[70:71]
	s_cbranch_vccnz .LBB20_360
; %bb.359:
	s_delay_alu instid0(VALU_DEP_1) | instskip(NEXT) | instid1(VALU_DEP_2)
	v_add_co_u32 v26, vcc_lo, v40, v24
	v_add_co_ci_u32_e32 v27, vcc_lo, v41, v25, vcc_lo
	flat_load_b32 v26, v[26:27]
	s_waitcnt vmcnt(0) lgkmcnt(0)
	v_mul_f32_e32 v26, s24, v26
	s_branch .LBB20_361
.LBB20_360:
	v_mov_b32_e32 v26, 0
.LBB20_361:
	v_dual_add_f32 v21, v21, v5 :: v_dual_add_f32 v20, v20, v4
	v_dual_add_f32 v23, v23, v7 :: v_dual_add_f32 v22, v22, v6
	s_delay_alu instid0(VALU_DEP_2) | instskip(NEXT) | instid1(VALU_DEP_2)
	v_min3_f32 v20, v20, v21, v86
	v_min_f32_e32 v21, v22, v23
	s_delay_alu instid0(VALU_DEP_1)
	v_min3_f32 v22, v26, v21, v20
	v_add_co_u32 v20, vcc_lo, v38, v24
	v_add_co_ci_u32_e32 v21, vcc_lo, v39, v25, vcc_lo
	global_store_b32 v[20:21], v22, off
	s_or_b32 exec_lo, exec_lo, s0
	s_and_b32 s1, s4, s8
	s_delay_alu instid0(SALU_CYCLE_1)
	s_and_saveexec_b32 s0, s1
	s_cbranch_execz .LBB20_342
.LBB20_362:
	v_cmp_ne_u32_e32 vcc_lo, 1, v105
	v_lshlrev_b64 v[20:21], 2, v[72:73]
	s_cbranch_vccnz .LBB20_364
; %bb.363:
	s_delay_alu instid0(VALU_DEP_1) | instskip(NEXT) | instid1(VALU_DEP_2)
	v_add_co_u32 v22, vcc_lo, v40, v20
	v_add_co_ci_u32_e32 v23, vcc_lo, v41, v21, vcc_lo
	flat_load_b32 v22, v[22:23]
	s_waitcnt vmcnt(0) lgkmcnt(0)
	v_mul_f32_e32 v22, s24, v22
	s_branch .LBB20_365
.LBB20_364:
	v_mov_b32_e32 v22, 0
.LBB20_365:
	v_dual_add_f32 v17, v17, v5 :: v_dual_add_f32 v16, v16, v4
	v_dual_add_f32 v19, v19, v7 :: v_dual_add_f32 v18, v18, v6
	s_delay_alu instid0(VALU_DEP_2) | instskip(NEXT) | instid1(VALU_DEP_2)
	v_min3_f32 v16, v16, v17, v85
	v_min_f32_e32 v17, v18, v19
	s_delay_alu instid0(VALU_DEP_1)
	v_min3_f32 v18, v22, v17, v16
	v_add_co_u32 v16, vcc_lo, v38, v20
	v_add_co_ci_u32_e32 v17, vcc_lo, v39, v21, vcc_lo
	global_store_b32 v[16:17], v18, off
	s_or_b32 exec_lo, exec_lo, s0
	s_and_b32 s1, s5, s8
	s_delay_alu instid0(SALU_CYCLE_1)
	s_and_saveexec_b32 s0, s1
	s_cbranch_execz .LBB20_343
.LBB20_366:
	v_cmp_ne_u32_e32 vcc_lo, 1, v105
	v_lshlrev_b64 v[16:17], 2, v[74:75]
	s_cbranch_vccnz .LBB20_368
; %bb.367:
	s_delay_alu instid0(VALU_DEP_1) | instskip(NEXT) | instid1(VALU_DEP_2)
	v_add_co_u32 v18, vcc_lo, v40, v16
	v_add_co_ci_u32_e32 v19, vcc_lo, v41, v17, vcc_lo
	flat_load_b32 v18, v[18:19]
	s_waitcnt vmcnt(0) lgkmcnt(0)
	v_mul_f32_e32 v18, s24, v18
	s_branch .LBB20_369
.LBB20_368:
	v_mov_b32_e32 v18, 0
.LBB20_369:
	v_dual_add_f32 v13, v13, v5 :: v_dual_add_f32 v12, v12, v4
	v_dual_add_f32 v15, v15, v7 :: v_dual_add_f32 v14, v14, v6
	s_delay_alu instid0(VALU_DEP_2) | instskip(NEXT) | instid1(VALU_DEP_2)
	v_min3_f32 v12, v12, v13, v84
	v_min_f32_e32 v13, v14, v15
	s_delay_alu instid0(VALU_DEP_1)
	v_min3_f32 v14, v18, v13, v12
	v_add_co_u32 v12, vcc_lo, v38, v16
	v_add_co_ci_u32_e32 v13, vcc_lo, v39, v17, vcc_lo
	global_store_b32 v[12:13], v14, off
	s_or_b32 exec_lo, exec_lo, s0
	s_and_b32 s1, s6, s8
	s_delay_alu instid0(SALU_CYCLE_1)
	s_and_saveexec_b32 s0, s1
	s_cbranch_execz .LBB20_344
.LBB20_370:
	v_cmp_ne_u32_e32 vcc_lo, 1, v105
	v_lshlrev_b64 v[12:13], 2, v[76:77]
	s_cbranch_vccnz .LBB20_372
; %bb.371:
	s_delay_alu instid0(VALU_DEP_1) | instskip(NEXT) | instid1(VALU_DEP_2)
	v_add_co_u32 v14, vcc_lo, v40, v12
	v_add_co_ci_u32_e32 v15, vcc_lo, v41, v13, vcc_lo
	flat_load_b32 v14, v[14:15]
	s_waitcnt vmcnt(0) lgkmcnt(0)
	v_mul_f32_e32 v14, s24, v14
	s_branch .LBB20_373
.LBB20_372:
	v_mov_b32_e32 v14, 0
.LBB20_373:
	v_dual_add_f32 v9, v9, v5 :: v_dual_add_f32 v8, v8, v4
	v_dual_add_f32 v11, v11, v7 :: v_dual_add_f32 v10, v10, v6
	s_delay_alu instid0(VALU_DEP_2) | instskip(NEXT) | instid1(VALU_DEP_2)
	v_min3_f32 v8, v8, v9, v83
	v_min_f32_e32 v9, v10, v11
	s_delay_alu instid0(VALU_DEP_1)
	v_min3_f32 v10, v14, v9, v8
	v_add_co_u32 v8, vcc_lo, v38, v12
	v_add_co_ci_u32_e32 v9, vcc_lo, v39, v13, vcc_lo
	global_store_b32 v[8:9], v10, off
	s_or_b32 exec_lo, exec_lo, s0
	s_and_b32 s0, s7, s8
	s_delay_alu instid0(SALU_CYCLE_1)
	s_and_saveexec_b32 s1, s0
	s_cbranch_execz .LBB20_345
.LBB20_374:
	v_cmp_ne_u32_e32 vcc_lo, 1, v105
	v_lshlrev_b64 v[8:9], 2, v[78:79]
	s_cbranch_vccnz .LBB20_376
; %bb.375:
	s_delay_alu instid0(VALU_DEP_1) | instskip(NEXT) | instid1(VALU_DEP_2)
	v_add_co_u32 v10, vcc_lo, v40, v8
	v_add_co_ci_u32_e32 v11, vcc_lo, v41, v9, vcc_lo
	flat_load_b32 v10, v[10:11]
	s_waitcnt vmcnt(0) lgkmcnt(0)
	v_mul_f32_e32 v10, s24, v10
	s_branch .LBB20_377
.LBB20_376:
	v_mov_b32_e32 v10, 0
.LBB20_377:
	v_dual_add_f32 v1, v1, v5 :: v_dual_add_f32 v0, v0, v4
	v_dual_add_f32 v3, v3, v7 :: v_dual_add_f32 v2, v2, v6
	s_delay_alu instid0(VALU_DEP_2) | instskip(NEXT) | instid1(VALU_DEP_2)
	v_min3_f32 v0, v0, v1, v82
	v_min_f32_e32 v1, v2, v3
	s_delay_alu instid0(VALU_DEP_1)
	v_min3_f32 v2, v10, v1, v0
	v_add_co_u32 v0, vcc_lo, v38, v8
	v_add_co_ci_u32_e32 v1, vcc_lo, v39, v9, vcc_lo
	global_store_b32 v[0:1], v2, off
	s_nop 0
	s_sendmsg sendmsg(MSG_DEALLOC_VGPRS)
	s_endpgm
	.section	.rodata,"a",@progbits
	.p2align	6, 0x0
	.amdhsa_kernel _ZN12_GLOBAL__N_120geam_min_plus_kernelIf15HIP_vector_typeIfLj2EEfLi8ELi32ELi64ELi256ELi4ELi64ELi4ELi64ELi4ELc78ELc84ELb0ELb1ELb1EfKPKfKPfEEviiiT16_PT17_ilSA_ilS8_SA_ilPT18_ili26rocblas_geam_ex_operation_
		.amdhsa_group_segment_fixed_size 10240
		.amdhsa_private_segment_fixed_size 144
		.amdhsa_kernarg_size 128
		.amdhsa_user_sgpr_count 14
		.amdhsa_user_sgpr_dispatch_ptr 0
		.amdhsa_user_sgpr_queue_ptr 0
		.amdhsa_user_sgpr_kernarg_segment_ptr 1
		.amdhsa_user_sgpr_dispatch_id 0
		.amdhsa_user_sgpr_private_segment_size 0
		.amdhsa_wavefront_size32 1
		.amdhsa_uses_dynamic_stack 0
		.amdhsa_enable_private_segment 1
		.amdhsa_system_sgpr_workgroup_id_x 1
		.amdhsa_system_sgpr_workgroup_id_y 0
		.amdhsa_system_sgpr_workgroup_id_z 1
		.amdhsa_system_sgpr_workgroup_info 0
		.amdhsa_system_vgpr_workitem_id 1
		.amdhsa_next_free_vgpr 256
		.amdhsa_next_free_sgpr 32
		.amdhsa_reserve_vcc 1
		.amdhsa_float_round_mode_32 0
		.amdhsa_float_round_mode_16_64 0
		.amdhsa_float_denorm_mode_32 3
		.amdhsa_float_denorm_mode_16_64 3
		.amdhsa_dx10_clamp 1
		.amdhsa_ieee_mode 1
		.amdhsa_fp16_overflow 0
		.amdhsa_workgroup_processor_mode 1
		.amdhsa_memory_ordered 1
		.amdhsa_forward_progress 0
		.amdhsa_shared_vgpr_count 0
		.amdhsa_exception_fp_ieee_invalid_op 0
		.amdhsa_exception_fp_denorm_src 0
		.amdhsa_exception_fp_ieee_div_zero 0
		.amdhsa_exception_fp_ieee_overflow 0
		.amdhsa_exception_fp_ieee_underflow 0
		.amdhsa_exception_fp_ieee_inexact 0
		.amdhsa_exception_int_div_zero 0
	.end_amdhsa_kernel
	.section	.text._ZN12_GLOBAL__N_120geam_min_plus_kernelIf15HIP_vector_typeIfLj2EEfLi8ELi32ELi64ELi256ELi4ELi64ELi4ELi64ELi4ELc78ELc84ELb0ELb1ELb1EfKPKfKPfEEviiiT16_PT17_ilSA_ilS8_SA_ilPT18_ili26rocblas_geam_ex_operation_,"axG",@progbits,_ZN12_GLOBAL__N_120geam_min_plus_kernelIf15HIP_vector_typeIfLj2EEfLi8ELi32ELi64ELi256ELi4ELi64ELi4ELi64ELi4ELc78ELc84ELb0ELb1ELb1EfKPKfKPfEEviiiT16_PT17_ilSA_ilS8_SA_ilPT18_ili26rocblas_geam_ex_operation_,comdat
.Lfunc_end20:
	.size	_ZN12_GLOBAL__N_120geam_min_plus_kernelIf15HIP_vector_typeIfLj2EEfLi8ELi32ELi64ELi256ELi4ELi64ELi4ELi64ELi4ELc78ELc84ELb0ELb1ELb1EfKPKfKPfEEviiiT16_PT17_ilSA_ilS8_SA_ilPT18_ili26rocblas_geam_ex_operation_, .Lfunc_end20-_ZN12_GLOBAL__N_120geam_min_plus_kernelIf15HIP_vector_typeIfLj2EEfLi8ELi32ELi64ELi256ELi4ELi64ELi4ELi64ELi4ELc78ELc84ELb0ELb1ELb1EfKPKfKPfEEviiiT16_PT17_ilSA_ilS8_SA_ilPT18_ili26rocblas_geam_ex_operation_
                                        ; -- End function
	.section	.AMDGPU.csdata,"",@progbits
; Kernel info:
; codeLenInByte = 21856
; NumSgprs: 34
; NumVgprs: 256
; ScratchSize: 144
; MemoryBound: 0
; FloatMode: 240
; IeeeMode: 1
; LDSByteSize: 10240 bytes/workgroup (compile time only)
; SGPRBlocks: 4
; VGPRBlocks: 31
; NumSGPRsForWavesPerEU: 34
; NumVGPRsForWavesPerEU: 256
; Occupancy: 5
; WaveLimiterHint : 1
; COMPUTE_PGM_RSRC2:SCRATCH_EN: 1
; COMPUTE_PGM_RSRC2:USER_SGPR: 14
; COMPUTE_PGM_RSRC2:TRAP_HANDLER: 0
; COMPUTE_PGM_RSRC2:TGID_X_EN: 1
; COMPUTE_PGM_RSRC2:TGID_Y_EN: 0
; COMPUTE_PGM_RSRC2:TGID_Z_EN: 1
; COMPUTE_PGM_RSRC2:TIDIG_COMP_CNT: 1
	.section	.text._ZN12_GLOBAL__N_120geam_min_plus_kernelIf15HIP_vector_typeIfLj2EEfLi8ELi32ELi64ELi256ELi4ELi4ELi64ELi64ELi4ELc84ELc84ELb0ELb0ELb1EPKfKS4_KPfEEviiiT16_PT17_ilSA_ilS8_SA_ilPT18_ili26rocblas_geam_ex_operation_,"axG",@progbits,_ZN12_GLOBAL__N_120geam_min_plus_kernelIf15HIP_vector_typeIfLj2EEfLi8ELi32ELi64ELi256ELi4ELi4ELi64ELi64ELi4ELc84ELc84ELb0ELb0ELb1EPKfKS4_KPfEEviiiT16_PT17_ilSA_ilS8_SA_ilPT18_ili26rocblas_geam_ex_operation_,comdat
	.globl	_ZN12_GLOBAL__N_120geam_min_plus_kernelIf15HIP_vector_typeIfLj2EEfLi8ELi32ELi64ELi256ELi4ELi4ELi64ELi64ELi4ELc84ELc84ELb0ELb0ELb1EPKfKS4_KPfEEviiiT16_PT17_ilSA_ilS8_SA_ilPT18_ili26rocblas_geam_ex_operation_ ; -- Begin function _ZN12_GLOBAL__N_120geam_min_plus_kernelIf15HIP_vector_typeIfLj2EEfLi8ELi32ELi64ELi256ELi4ELi4ELi64ELi64ELi4ELc84ELc84ELb0ELb0ELb1EPKfKS4_KPfEEviiiT16_PT17_ilSA_ilS8_SA_ilPT18_ili26rocblas_geam_ex_operation_
	.p2align	8
	.type	_ZN12_GLOBAL__N_120geam_min_plus_kernelIf15HIP_vector_typeIfLj2EEfLi8ELi32ELi64ELi256ELi4ELi4ELi64ELi64ELi4ELc84ELc84ELb0ELb0ELb1EPKfKS4_KPfEEviiiT16_PT17_ilSA_ilS8_SA_ilPT18_ili26rocblas_geam_ex_operation_,@function
_ZN12_GLOBAL__N_120geam_min_plus_kernelIf15HIP_vector_typeIfLj2EEfLi8ELi32ELi64ELi256ELi4ELi4ELi64ELi64ELi4ELc84ELc84ELb0ELb0ELb1EPKfKS4_KPfEEviiiT16_PT17_ilSA_ilS8_SA_ilPT18_ili26rocblas_geam_ex_operation_: ; @_ZN12_GLOBAL__N_120geam_min_plus_kernelIf15HIP_vector_typeIfLj2EEfLi8ELi32ELi64ELi256ELi4ELi4ELi64ELi64ELi4ELc84ELc84ELb0ELb0ELb1EPKfKS4_KPfEEviiiT16_PT17_ilSA_ilS8_SA_ilPT18_ili26rocblas_geam_ex_operation_
; %bb.0:
	s_clause 0x1
	s_load_b128 s[16:19], s[0:1], 0x10
	s_load_b128 s[4:7], s[0:1], 0x28
	s_mov_b32 s20, s15
	s_mov_b32 s21, 0
	s_delay_alu instid0(SALU_CYCLE_1)
	s_lshl_b64 s[2:3], s[20:21], 2
	s_waitcnt lgkmcnt(0)
	s_add_u32 s8, s16, s2
	s_addc_u32 s9, s17, s3
	s_load_b32 s22, s[8:9], 0x0
	s_clause 0x1
	s_load_b128 s[8:11], s[0:1], 0x40
	s_load_b64 s[16:17], s[0:1], 0x50
	s_waitcnt lgkmcnt(0)
	v_cmp_eq_f32_e64 s12, s22, 0
	v_cmp_neq_f32_e64 s23, s22, 0
	s_add_u32 s2, s10, s2
	s_addc_u32 s3, s11, s3
	s_mov_b64 s[10:11], 0
	s_and_b32 vcc_lo, exec_lo, s12
	s_mov_b64 s[12:13], 0
	s_cbranch_vccnz .LBB21_2
; %bb.1:
	s_lshl_b64 s[12:13], s[20:21], 3
	s_delay_alu instid0(SALU_CYCLE_1)
	s_add_u32 s12, s18, s12
	s_addc_u32 s13, s19, s13
	s_lshl_b64 s[4:5], s[4:5], 2
	s_load_b64 s[12:13], s[12:13], 0x0
	s_waitcnt lgkmcnt(0)
	s_add_u32 s12, s12, s4
	s_addc_u32 s13, s13, s5
.LBB21_2:
	s_load_b32 s15, s[2:3], 0x0
	v_cndmask_b32_e64 v1, 0, 1, s23
	s_and_not1_b32 vcc_lo, exec_lo, s23
	s_delay_alu instid0(VALU_DEP_1)
	v_cmp_ne_u32_e64 s3, 1, v1
	s_cbranch_vccnz .LBB21_4
; %bb.3:
	s_lshl_b64 s[4:5], s[20:21], 3
	s_delay_alu instid0(SALU_CYCLE_1)
	s_add_u32 s4, s6, s4
	s_addc_u32 s5, s7, s5
	s_lshl_b64 s[6:7], s[8:9], 2
	s_load_b64 s[4:5], s[4:5], 0x0
	s_waitcnt lgkmcnt(0)
	s_add_u32 s10, s4, s6
	s_addc_u32 s11, s5, s7
.LBB21_4:
	s_load_b128 s[4:7], s[0:1], 0x60
	s_waitcnt lgkmcnt(0)
	v_cmp_eq_f32_e64 s2, s15, 0
	s_delay_alu instid0(VALU_DEP_1) | instskip(NEXT) | instid1(SALU_CYCLE_1)
	s_and_b32 s2, exec_lo, s2
	s_mov_b32 vcc_lo, s2
	s_cbranch_vccnz .LBB21_6
; %bb.5:
	s_lshl_b64 s[8:9], s[20:21], 3
	s_delay_alu instid0(SALU_CYCLE_1)
	s_add_u32 s8, s16, s8
	s_addc_u32 s9, s17, s9
	s_lshl_b64 s[4:5], s[4:5], 2
	s_load_b64 s[8:9], s[8:9], 0x0
	s_waitcnt lgkmcnt(0)
	s_add_u32 s4, s8, s4
	s_addc_u32 s5, s9, s5
	s_branch .LBB21_7
.LBB21_6:
	s_mov_b64 s[4:5], 0
.LBB21_7:
	s_clause 0x1
	s_load_b32 s16, s[0:1], 0x0
	s_load_b32 s18, s[0:1], 0x20
	s_lshl_b64 s[8:9], s[20:21], 3
	v_and_b32_e32 v150, 0x3ff, v0
	s_add_u32 s6, s6, s8
	s_addc_u32 s7, s7, s9
	v_bfe_u32 v152, v0, 10, 10
	s_load_b64 s[6:7], s[6:7], 0x0
	s_delay_alu instid0(VALU_DEP_1) | instskip(NEXT) | instid1(VALU_DEP_1)
	v_lshl_add_u32 v0, v152, 3, v150
	v_lshrrev_b32_e32 v14, 2, v0
	s_waitcnt lgkmcnt(0)
	s_add_i32 s8, s16, -1
	s_delay_alu instid0(SALU_CYCLE_1) | instskip(NEXT) | instid1(SALU_CYCLE_1)
	s_ashr_i32 s9, s8, 31
	s_lshr_b32 s9, s9, 26
	s_delay_alu instid0(SALU_CYCLE_1) | instskip(NEXT) | instid1(SALU_CYCLE_1)
	s_add_i32 s8, s8, s9
	s_ashr_i32 s8, s8, 6
	s_delay_alu instid0(SALU_CYCLE_1) | instskip(SKIP_2) | instid1(VALU_DEP_1)
	s_add_i32 s16, s8, 1
	s_not_b32 s8, s8
	v_cvt_f32_u32_e32 v1, s16
	v_rcp_iflag_f32_e32 v1, v1
	s_waitcnt_depctr 0xfff
	v_mul_f32_e32 v1, 0x4f7ffffe, v1
	s_delay_alu instid0(VALU_DEP_1) | instskip(NEXT) | instid1(VALU_DEP_1)
	v_cvt_u32_f32_e32 v1, v1
	v_readfirstlane_b32 s9, v1
	v_and_b32_e32 v1, 3, v150
	s_delay_alu instid0(VALU_DEP_2) | instskip(NEXT) | instid1(VALU_DEP_1)
	s_mul_i32 s8, s8, s9
	v_lshlrev_b32_e32 v12, 2, v1
	s_mul_hi_u32 s8, s9, s8
	s_delay_alu instid0(SALU_CYCLE_1) | instskip(NEXT) | instid1(SALU_CYCLE_1)
	s_add_i32 s9, s9, s8
	s_mul_hi_u32 s8, s14, s9
	s_delay_alu instid0(SALU_CYCLE_1) | instskip(SKIP_2) | instid1(SALU_CYCLE_1)
	s_mul_i32 s9, s8, s16
	s_add_i32 s17, s8, 1
	s_sub_i32 s9, s14, s9
	s_sub_i32 s19, s9, s16
	s_cmp_ge_u32 s9, s16
	s_cselect_b32 s8, s17, s8
	s_cselect_b32 s9, s19, s9
	s_add_i32 s17, s8, 1
	s_cmp_ge_u32 s9, s16
	s_cselect_b32 s9, s17, s8
	s_and_b32 vcc_lo, exec_lo, s3
	s_mul_i32 s19, s9, s16
	s_delay_alu instid0(SALU_CYCLE_1) | instskip(NEXT) | instid1(SALU_CYCLE_1)
	s_sub_i32 s8, s14, s19
	s_lshl_b32 s16, s8, 6
	s_delay_alu instid0(SALU_CYCLE_1)
	v_add_nc_u32_e32 v7, s16, v14
	s_cbranch_vccnz .LBB21_9
; %bb.8:
	s_delay_alu instid0(VALU_DEP_1) | instskip(NEXT) | instid1(VALU_DEP_1)
	v_mad_i64_i32 v[1:2], null, v7, s18, 0
	v_lshlrev_b64 v[1:2], 2, v[1:2]
	s_delay_alu instid0(VALU_DEP_1) | instskip(NEXT) | instid1(VALU_DEP_2)
	v_add_co_u32 v1, vcc_lo, s12, v1
	v_add_co_ci_u32_e32 v2, vcc_lo, s13, v2, vcc_lo
	s_delay_alu instid0(VALU_DEP_2) | instskip(NEXT) | instid1(VALU_DEP_2)
	v_add_co_u32 v1, vcc_lo, v1, v12
	v_add_co_ci_u32_e32 v2, vcc_lo, 0, v2, vcc_lo
	flat_load_b32 v1, v[1:2]
	s_waitcnt vmcnt(0) lgkmcnt(0)
	v_mul_f32_e32 v2, s22, v1
	s_branch .LBB21_10
.LBB21_9:
	v_mov_b32_e32 v2, 0
.LBB21_10:
	s_load_b32 s8, s[0:1], 0x38
	v_lshrrev_b32_e32 v13, 6, v0
	v_and_b32_e32 v15, 63, v0
	s_lshl_b32 s17, s9, 8
	s_delay_alu instid0(VALU_DEP_1) | instid1(SALU_CYCLE_1)
	v_or_b32_e32 v0, s17, v15
	s_delay_alu instid0(VALU_DEP_1) | instskip(SKIP_3) | instid1(VALU_DEP_1)
	v_ashrrev_i32_e32 v1, 31, v0
	s_waitcnt lgkmcnt(0)
	v_mad_i64_i32 v[3:4], null, s8, v13, 0
	s_ashr_i32 s9, s8, 31
	v_lshlrev_b64 v[3:4], 2, v[3:4]
	s_delay_alu instid0(VALU_DEP_1) | instskip(NEXT) | instid1(VALU_DEP_2)
	v_add_co_u32 v5, vcc_lo, s10, v3
	v_add_co_ci_u32_e32 v6, vcc_lo, s11, v4, vcc_lo
	s_and_b32 vcc_lo, exec_lo, s3
	s_cbranch_vccnz .LBB21_14
; %bb.11:
	v_lshlrev_b64 v[3:4], 2, v[0:1]
	s_delay_alu instid0(VALU_DEP_1) | instskip(NEXT) | instid1(VALU_DEP_2)
	v_add_co_u32 v3, vcc_lo, v5, v3
	v_add_co_ci_u32_e32 v4, vcc_lo, v6, v4, vcc_lo
	s_clause 0x1
	flat_load_b32 v8, v[3:4]
	flat_load_b32 v4, v[3:4] offset:256
	s_waitcnt vmcnt(1) lgkmcnt(1)
	v_mul_f32_e32 v3, s22, v8
	s_waitcnt vmcnt(0) lgkmcnt(0)
	v_mul_f32_e32 v4, s22, v4
	s_and_b32 vcc_lo, exec_lo, s3
	s_cbranch_vccnz .LBB21_15
.LBB21_12:
	v_lshlrev_b64 v[8:9], 2, v[0:1]
	s_delay_alu instid0(VALU_DEP_1) | instskip(NEXT) | instid1(VALU_DEP_2)
	v_add_co_u32 v5, vcc_lo, v5, v8
	v_add_co_ci_u32_e32 v6, vcc_lo, v6, v9, vcc_lo
	s_clause 0x1
	flat_load_b32 v8, v[5:6] offset:512
	flat_load_b32 v6, v[5:6] offset:768
	s_waitcnt vmcnt(0) lgkmcnt(0)
	v_dual_mul_f32 v5, s22, v8 :: v_dual_mul_f32 v6, s22, v6
	s_and_b32 vcc_lo, exec_lo, s3
	s_cbranch_vccnz .LBB21_16
.LBB21_13:
	v_mad_i64_i32 v[8:9], null, v7, s18, 0
	s_delay_alu instid0(VALU_DEP_1) | instskip(NEXT) | instid1(VALU_DEP_1)
	v_lshlrev_b64 v[7:8], 2, v[8:9]
	v_add_co_u32 v7, vcc_lo, s12, v7
	s_delay_alu instid0(VALU_DEP_2) | instskip(NEXT) | instid1(VALU_DEP_2)
	v_add_co_ci_u32_e32 v8, vcc_lo, s13, v8, vcc_lo
	v_add_co_u32 v7, vcc_lo, v7, v12
	s_delay_alu instid0(VALU_DEP_2)
	v_add_co_ci_u32_e32 v8, vcc_lo, 0, v8, vcc_lo
	flat_load_b32 v7, v[7:8] offset:16
	s_waitcnt vmcnt(0) lgkmcnt(0)
	v_mul_f32_e32 v7, s22, v7
	s_branch .LBB21_17
.LBB21_14:
	v_dual_mov_b32 v3, 0 :: v_dual_mov_b32 v4, 0
	s_and_b32 vcc_lo, exec_lo, s3
	s_cbranch_vccz .LBB21_12
.LBB21_15:
	v_dual_mov_b32 v5, 0 :: v_dual_mov_b32 v6, 0
	s_and_b32 vcc_lo, exec_lo, s3
	s_cbranch_vccz .LBB21_13
.LBB21_16:
	v_mov_b32_e32 v7, 0
.LBB21_17:
	v_add_nc_u32_e32 v9, 4, v13
	scratch_store_b32 off, v7, off          ; 4-byte Folded Spill
	v_mad_i64_i32 v[7:8], null, s8, v9, 0
	s_delay_alu instid0(VALU_DEP_1) | instskip(NEXT) | instid1(VALU_DEP_1)
	v_lshlrev_b64 v[7:8], 2, v[7:8]
	v_add_co_u32 v7, vcc_lo, s10, v7
	s_delay_alu instid0(VALU_DEP_2)
	v_add_co_ci_u32_e32 v8, vcc_lo, s11, v8, vcc_lo
	s_and_b32 vcc_lo, exec_lo, s3
	s_cbranch_vccnz .LBB21_20
; %bb.18:
	v_lshlrev_b64 v[9:10], 2, v[0:1]
	s_delay_alu instid0(VALU_DEP_1) | instskip(NEXT) | instid1(VALU_DEP_2)
	v_add_co_u32 v9, vcc_lo, v7, v9
	v_add_co_ci_u32_e32 v10, vcc_lo, v8, v10, vcc_lo
	s_clause 0x1
	flat_load_b32 v11, v[9:10]
	flat_load_b32 v9, v[9:10] offset:256
	s_waitcnt vmcnt(0) lgkmcnt(0)
	v_dual_mul_f32 v10, s22, v11 :: v_dual_mul_f32 v9, s22, v9
	scratch_store_b32 off, v10, off offset:4 ; 4-byte Folded Spill
	s_and_b32 vcc_lo, exec_lo, s3
	scratch_store_b32 off, v9, off offset:8 ; 4-byte Folded Spill
	s_cbranch_vccnz .LBB21_21
.LBB21_19:
	v_lshlrev_b64 v[0:1], 2, v[0:1]
	s_delay_alu instid0(VALU_DEP_1) | instskip(NEXT) | instid1(VALU_DEP_2)
	v_add_co_u32 v0, vcc_lo, v7, v0
	v_add_co_ci_u32_e32 v1, vcc_lo, v8, v1, vcc_lo
	s_clause 0x1
	flat_load_b32 v7, v[0:1] offset:512
	flat_load_b32 v0, v[0:1] offset:768
	s_waitcnt vmcnt(0) lgkmcnt(0)
	v_dual_mul_f32 v1, s22, v7 :: v_dual_mul_f32 v0, s22, v0
	scratch_store_b32 off, v1, off offset:12 ; 4-byte Folded Spill
	s_branch .LBB21_22
.LBB21_20:
	v_mov_b32_e32 v9, 0
	scratch_store_b32 off, v9, off offset:4 ; 4-byte Folded Spill
	v_mov_b32_e32 v9, 0
	s_and_b32 vcc_lo, exec_lo, s3
	scratch_store_b32 off, v9, off offset:8 ; 4-byte Folded Spill
	s_cbranch_vccz .LBB21_19
.LBB21_21:
	v_mov_b32_e32 v0, 0
	scratch_store_b32 off, v0, off offset:12 ; 4-byte Folded Spill
	v_mov_b32_e32 v0, 0
.LBB21_22:
	v_lshl_or_b32 v1, v14, 4, v12
	scratch_store_b32 off, v0, off offset:16 ; 4-byte Folded Spill
	v_lshlrev_b32_e32 v0, 2, v13
	v_lshlrev_b32_e32 v72, 4, v152
	;; [unrolled: 1-line block ×3, first 2 shown]
	scratch_store_b32 off, v1, off offset:20 ; 4-byte Folded Spill
	s_load_b32 s20, s[0:1], 0x8
	v_lshl_add_u32 v74, v15, 4, v0
	ds_store_b32 v1, v2 offset:8192
	ds_store_2addr_stride64_b32 v74, v3, v4 offset1:4
	ds_store_2addr_stride64_b32 v74, v5, v6 offset0:8 offset1:12
	s_waitcnt lgkmcnt(0)
	s_waitcnt_vscnt null, 0x0
	s_barrier
	buffer_gl0_inv
	ds_load_b128 v[26:29], v72
	ds_load_b128 v[0:3], v200 offset:8192
	s_clause 0x3
	scratch_store_b32 off, v12, off offset:60
	scratch_store_b32 off, v13, off offset:64
	;; [unrolled: 1-line block ×4, first 2 shown]
	ds_load_b128 v[12:15], v200 offset:8320
	ds_load_b128 v[8:11], v200 offset:8448
	;; [unrolled: 1-line block ×4, first 2 shown]
	s_cmp_lt_i32 s20, 9
	s_waitcnt lgkmcnt(2)
	v_dual_add_f32 v145, v8, v26 :: v_dual_add_f32 v148, v3, v29
	v_dual_add_f32 v17, v1, v27 :: v_dual_add_f32 v144, v0, v26
	s_waitcnt lgkmcnt(0)
	v_dual_add_f32 v81, v10, v28 :: v_dual_add_f32 v88, v0, v30
	v_dual_add_f32 v85, v6, v28 :: v_dual_add_f32 v90, v12, v30
	scratch_store_b32 off, v17, off offset:24 ; 4-byte Folded Spill
	v_add_f32_e32 v17, v13, v27
	v_dual_add_f32 v93, v5, v31 :: v_dual_add_f32 v104, v2, v32
	v_dual_add_f32 v109, v7, v33 :: v_dual_add_f32 v128, v2, v28
	scratch_store_b32 off, v17, off offset:28 ; 4-byte Folded Spill
	v_dual_add_f32 v17, v9, v27 :: v_dual_add_f32 v92, v8, v30
	v_add_f32_e32 v106, v14, v32
	v_add_f32_e32 v108, v10, v32
	;; [unrolled: 1-line block ×3, first 2 shown]
	scratch_store_b32 off, v17, off offset:32 ; 4-byte Folded Spill
	v_dual_add_f32 v17, v5, v27 :: v_dual_add_f32 v130, v7, v29
	v_add_f32_e32 v94, v4, v30
	v_add_f32_e32 v110, v6, v32
	scratch_store_b32 off, v17, off offset:36 ; 4-byte Folded Spill
	v_add_f32_e32 v17, v4, v26
	scratch_store_b32 off, v17, off offset:40 ; 4-byte Folded Spill
	ds_load_b128 v[34:37], v200 offset:8704
	ds_load_b128 v[38:41], v200 offset:8832
	v_dual_add_f32 v142, v12, v26 :: v_dual_add_f32 v87, v1, v31
	s_waitcnt lgkmcnt(1)
	v_dual_add_f32 v103, v3, v33 :: v_dual_add_f32 v140, v34, v26
	s_waitcnt lgkmcnt(0)
	v_add_f32_e32 v17, v39, v27
	v_add_f32_e32 v143, v35, v27
	;; [unrolled: 1-line block ×3, first 2 shown]
	v_dual_add_f32 v129, v36, v28 :: v_dual_add_f32 v96, v34, v30
	scratch_store_b32 off, v17, off offset:44 ; 4-byte Folded Spill
	v_dual_add_f32 v17, v38, v26 :: v_dual_add_f32 v132, v41, v29
	v_add_f32_e32 v95, v35, v31
	v_dual_add_f32 v97, v39, v31 :: v_dual_add_f32 v98, v38, v30
	scratch_store_b32 off, v17, off offset:48 ; 4-byte Folded Spill
	ds_load_b128 v[42:45], v200 offset:8960
	ds_load_b128 v[46:49], v200 offset:9088
	v_add_f32_e32 v135, v15, v29
	v_add_f32_e32 v83, v14, v28
	v_add_f32_e32 v89, v13, v31
	v_add_f32_e32 v91, v9, v31
	v_dual_add_f32 v105, v15, v33 :: v_dual_add_f32 v82, v40, v28
	v_add_f32_e32 v107, v11, v33
	v_dual_add_f32 v111, v37, v33 :: v_dual_add_f32 v112, v36, v32
	v_dual_add_f32 v113, v41, v33 :: v_dual_add_f32 v114, v40, v32
	s_waitcnt lgkmcnt(0)
	v_dual_add_f32 v84, v44, v28 :: v_dual_add_f32 v17, v47, v27
	v_add_f32_e32 v141, v43, v27
	v_add_f32_e32 v137, v42, v26
	;; [unrolled: 1-line block ×4, first 2 shown]
	scratch_store_b32 off, v17, off offset:52 ; 4-byte Folded Spill
	v_dual_add_f32 v17, v46, v26 :: v_dual_add_f32 v86, v48, v28
	v_dual_add_f32 v99, v43, v31 :: v_dual_add_f32 v100, v42, v30
	v_add_f32_e32 v101, v47, v31
	scratch_store_b32 off, v17, off offset:56 ; 4-byte Folded Spill
	v_dual_add_f32 v102, v46, v30 :: v_dual_add_f32 v115, v45, v33
	v_dual_add_f32 v116, v44, v32 :: v_dual_add_f32 v117, v49, v33
	v_add_f32_e32 v118, v48, v32
	ds_load_b128 v[26:29], v72 offset:1024
	ds_load_b128 v[30:33], v72 offset:1536
	s_waitcnt lgkmcnt(1)
	v_dual_add_f32 v146, v34, v26 :: v_dual_add_f32 v119, v1, v27
	v_add_f32_e32 v126, v3, v29
	v_dual_add_f32 v120, v0, v26 :: v_dual_add_f32 v121, v13, v27
	v_add_f32_e32 v154, v15, v29
	v_dual_add_f32 v122, v12, v26 :: v_dual_add_f32 v123, v9, v27
	v_add_f32_e32 v156, v11, v29
	v_dual_add_f32 v124, v8, v26 :: v_dual_add_f32 v125, v5, v27
	v_add_f32_e32 v158, v7, v29
	v_dual_add_f32 v138, v4, v26 :: v_dual_add_f32 v139, v35, v27
	v_add_f32_e32 v160, v37, v29
	v_dual_add_f32 v78, v39, v27 :: v_dual_add_f32 v149, v38, v26
	v_dual_add_f32 v79, v43, v27 :: v_dual_add_f32 v162, v41, v29
	;; [unrolled: 1-line block ×5, first 2 shown]
	s_waitcnt lgkmcnt(0)
	v_dual_add_f32 v155, v14, v28 :: v_dual_add_f32 v168, v1, v31
	v_dual_add_f32 v157, v10, v28 :: v_dual_add_f32 v170, v13, v31
	;; [unrolled: 1-line block ×15, first 2 shown]
	v_add_f32_e32 v185, v2, v32
	v_add_f32_e32 v187, v14, v32
	;; [unrolled: 1-line block ×7, first 2 shown]
	v_dual_add_f32 v77, v49, v33 :: v_dual_add_f32 v76, v48, v32
	ds_load_b128 v[26:29], v72 offset:2048
	ds_load_b128 v[30:33], v72 offset:2560
	s_waitcnt lgkmcnt(1)
	v_dual_add_f32 v147, v1, v27 :: v_dual_add_f32 v216, v3, v29
	v_dual_add_f32 v201, v0, v26 :: v_dual_add_f32 v218, v15, v29
	;; [unrolled: 1-line block ×3, first 2 shown]
	v_add_f32_e32 v220, v11, v29
	v_dual_add_f32 v204, v9, v27 :: v_dual_add_f32 v205, v8, v26
	v_add_f32_e32 v222, v7, v29
	v_dual_add_f32 v206, v5, v27 :: v_dual_add_f32 v207, v4, v26
	;; [unrolled: 2-line block ×6, first 2 shown]
	s_waitcnt lgkmcnt(0)
	v_dual_add_f32 v232, v1, v31 :: v_dual_add_f32 v217, v2, v28
	v_dual_add_f32 v234, v13, v31 :: v_dual_add_f32 v219, v14, v28
	;; [unrolled: 1-line block ×16, first 2 shown]
	v_add_f32_e32 v249, v2, v32
	v_add_f32_e32 v251, v14, v32
	;; [unrolled: 1-line block ×8, first 2 shown]
	ds_load_b128 v[26:29], v72 offset:3072
	ds_load_b128 v[30:33], v72 offset:3584
	s_waitcnt lgkmcnt(1)
	v_add_f32_e32 v24, v14, v28
	v_add_f32_e32 v54, v0, v26
	v_dual_add_f32 v51, v12, v26 :: v_dual_add_f32 v64, v3, v29
	v_dual_add_f32 v55, v8, v26 :: v_dual_add_f32 v68, v6, v28
	v_add_f32_e32 v22, v4, v26
	v_add_f32_e32 v60, v34, v26
	;; [unrolled: 1-line block ×3, first 2 shown]
	s_waitcnt lgkmcnt(0)
	v_dual_add_f32 v23, v43, v27 :: v_dual_add_f32 v0, v0, v30
	v_add_f32_e32 v62, v42, v26
	v_add_f32_e32 v26, v46, v26
	v_dual_add_f32 v63, v2, v28 :: v_dual_add_f32 v12, v12, v30
	v_dual_add_f32 v65, v15, v29 :: v_dual_add_f32 v14, v14, v32
	;; [unrolled: 1-line block ×3, first 2 shown]
	v_add_f32_e32 v17, v7, v29
	v_dual_add_f32 v67, v37, v29 :: v_dual_add_f32 v4, v4, v30
	v_dual_add_f32 v69, v36, v28 :: v_dual_add_f32 v34, v34, v30
	;; [unrolled: 1-line block ×7, first 2 shown]
	scratch_load_b32 v46, off, off offset:24 ; 4-byte Folded Reload
	v_add_f32_e32 v52, v1, v27
	v_add_f32_e32 v56, v13, v27
	v_dual_add_f32 v53, v9, v27 :: v_dual_add_f32 v66, v10, v28
	v_dual_add_f32 v57, v5, v27 :: v_dual_add_f32 v198, v40, v28
	v_add_f32_e32 v58, v35, v27
	v_dual_add_f32 v59, v39, v27 :: v_dual_add_f32 v16, v44, v28
	v_dual_add_f32 v27, v47, v27 :: v_dual_add_f32 v2, v2, v32
	;; [unrolled: 1-line block ×4, first 2 shown]
	v_add_f32_e32 v9, v9, v31
	v_add_f32_e32 v5, v5, v31
	;; [unrolled: 1-line block ×6, first 2 shown]
	v_min3_f32 v0, v0, v1, 0x7f7fffff
	v_dual_add_f32 v11, v11, v33 :: v_dual_add_f32 v10, v10, v32
	v_dual_add_f32 v32, v48, v32 :: v_dual_add_f32 v7, v7, v33
	v_add_f32_e32 v37, v37, v33
	v_add_f32_e32 v41, v41, v33
	;; [unrolled: 1-line block ×3, first 2 shown]
	v_dual_add_f32 v33, v49, v33 :: v_dual_add_f32 v28, v48, v28
	s_waitcnt vmcnt(0)
	v_min3_f32 v46, v144, v46, 0x7f7fffff
	s_delay_alu instid0(VALU_DEP_1) | instskip(SKIP_3) | instid1(VALU_DEP_1)
	v_min3_f32 v148, v128, v148, v46
	scratch_load_b32 v46, off, off offset:28 ; 4-byte Folded Reload
	s_waitcnt vmcnt(0)
	v_min3_f32 v46, v142, v46, 0x7f7fffff
	v_min3_f32 v144, v83, v135, v46
	scratch_load_b32 v46, off, off offset:32 ; 4-byte Folded Reload
	s_waitcnt vmcnt(0)
	v_min3_f32 v46, v145, v46, 0x7f7fffff
	s_delay_alu instid0(VALU_DEP_1)
	v_min3_f32 v145, v81, v136, v46
	s_clause 0x1
	scratch_load_b32 v46, off, off offset:36
	scratch_load_b32 v47, off, off offset:40
	s_waitcnt vmcnt(0)
	v_min3_f32 v46, v47, v46, 0x7f7fffff
	s_delay_alu instid0(VALU_DEP_1) | instskip(SKIP_1) | instid1(VALU_DEP_1)
	v_min3_f32 v142, v85, v130, v46
	v_min3_f32 v46, v140, v143, 0x7f7fffff
	;; [unrolled: 1-line block ×3, first 2 shown]
	s_clause 0x1
	scratch_load_b32 v46, off, off offset:44
	scratch_load_b32 v47, off, off offset:48
	s_waitcnt vmcnt(0)
	v_min3_f32 v46, v47, v46, 0x7f7fffff
	s_delay_alu instid0(VALU_DEP_1) | instskip(SKIP_1) | instid1(VALU_DEP_1)
	v_min3_f32 v140, v82, v132, v46
	v_min3_f32 v46, v137, v141, 0x7f7fffff
	;; [unrolled: 1-line block ×3, first 2 shown]
	s_clause 0x1
	scratch_load_b32 v46, off, off offset:52
	scratch_load_b32 v47, off, off offset:56
	s_waitcnt vmcnt(0)
	v_min3_f32 v46, v47, v46, 0x7f7fffff
	s_delay_alu instid0(VALU_DEP_1) | instskip(SKIP_3) | instid1(VALU_DEP_3)
	v_min3_f32 v137, v86, v134, v46
	v_min3_f32 v46, v88, v87, 0x7f7fffff
	;; [unrolled: 1-line block ×6, first 2 shown]
	s_delay_alu instid0(VALU_DEP_3) | instskip(SKIP_1) | instid1(VALU_DEP_3)
	v_min3_f32 v86, v14, v15, v0
	v_min3_f32 v0, v8, v9, 0x7f7fffff
	v_min3_f32 v134, v106, v105, v46
	v_min3_f32 v46, v92, v91, 0x7f7fffff
	s_delay_alu instid0(VALU_DEP_3) | instskip(SKIP_1) | instid1(VALU_DEP_3)
	v_min3_f32 v85, v10, v11, v0
	v_min3_f32 v0, v4, v5, 0x7f7fffff
	v_min3_f32 v135, v108, v107, v46
	v_min3_f32 v46, v94, v93, 0x7f7fffff
	;; [unrolled: 5-line block ×6, first 2 shown]
	s_delay_alu instid0(VALU_DEP_1) | instskip(SKIP_1) | instid1(VALU_DEP_1)
	v_min3_f32 v128, v118, v117, v46
	v_min3_f32 v46, v120, v119, 0x7f7fffff
	v_min3_f32 v129, v127, v126, v46
	v_min3_f32 v46, v122, v121, 0x7f7fffff
	s_delay_alu instid0(VALU_DEP_1) | instskip(SKIP_1) | instid1(VALU_DEP_1)
	v_min3_f32 v127, v155, v154, v46
	v_min3_f32 v46, v124, v123, 0x7f7fffff
	v_min3_f32 v126, v157, v156, v46
	v_min3_f32 v46, v138, v125, 0x7f7fffff
	;; [unrolled: 5-line block ×4, first 2 shown]
	v_min3_f32 v80, v32, v33, v0
	s_clause 0x1
	scratch_load_b32 v0, off, off offset:4
	scratch_load_b32 v1, off, off offset:8
	v_min3_f32 v120, v167, v166, v46
	v_min3_f32 v46, v169, v168, 0x7f7fffff
	s_delay_alu instid0(VALU_DEP_1) | instskip(SKIP_1) | instid1(VALU_DEP_1)
	v_min3_f32 v121, v185, v184, v46
	v_min3_f32 v46, v171, v170, 0x7f7fffff
	v_min3_f32 v118, v187, v186, v46
	v_min3_f32 v46, v173, v172, 0x7f7fffff
	s_delay_alu instid0(VALU_DEP_1) | instskip(SKIP_1) | instid1(VALU_DEP_1)
	v_min3_f32 v119, v189, v188, v46
	v_min3_f32 v46, v175, v174, 0x7f7fffff
	;; [unrolled: 5-line block ×16, first 2 shown]
	v_min3_f32 v87, v28, v29, v16
	s_waitcnt vmcnt(0)
	ds_store_2addr_stride64_b32 v74, v0, v1 offset0:16 offset1:20
	s_clause 0x1
	scratch_load_b32 v0, off, off offset:12
	scratch_load_b32 v1, off, off offset:16
	s_waitcnt vmcnt(0)
	ds_store_2addr_stride64_b32 v74, v0, v1 offset0:24 offset1:28
	s_clause 0x1
	scratch_load_b32 v1, off, off offset:20
	scratch_load_b32 v0, off, off
	s_waitcnt vmcnt(0)
	ds_store_b32 v1, v0 offset:9216
	s_waitcnt lgkmcnt(0)
	s_waitcnt_vscnt null, 0x0
	s_barrier
	buffer_gl0_inv
	s_cbranch_scc1 .LBB21_40
; %bb.23:
	s_clause 0x1
	scratch_load_b32 v0, off, off offset:72
	scratch_load_b32 v3, off, off offset:64
	v_dual_mov_b32 v198, v152 :: v_dual_add_nc_u32 v75, 0x2000, v1
	v_add_nc_u32_e32 v77, 0x2400, v1
	v_dual_mov_b32 v199, v150 :: v_dual_add_nc_u32 v76, 0x2000, v200
	v_or_b32_e32 v78, 0x1000, v74
	v_lshl_add_u32 v79, v150, 4, 0x2400
	v_lshl_add_u32 v111, v152, 4, 0x1000
	s_waitcnt vmcnt(1)
	v_lshl_add_u32 v0, s14, 6, v0
	s_lshl_b32 s14, s19, 6
	s_waitcnt vmcnt(0)
	v_add_nc_u32_e32 v6, 12, v3
	v_add_nc_u32_e32 v8, 8, v3
	v_subrev_nc_u32_e32 v2, s14, v0
	s_delay_alu instid0(VALU_DEP_3) | instskip(NEXT) | instid1(VALU_DEP_3)
	v_mad_i64_i32 v[4:5], null, v6, s8, 0
	v_mad_i64_i32 v[6:7], null, v8, s8, 0
	s_delay_alu instid0(VALU_DEP_3)
	v_mad_i64_i32 v[0:1], null, s18, v2, 0
	s_clause 0x1
	scratch_load_b32 v2, off, off offset:68
	scratch_load_b32 v8, off, off offset:60
	v_lshlrev_b64 v[64:65], 2, v[4:5]
	s_lshl_b64 s[8:9], s[8:9], 5
	v_lshlrev_b64 v[66:67], 2, v[6:7]
	v_lshlrev_b64 v[0:1], 2, v[0:1]
	s_waitcnt vmcnt(1)
	v_add_nc_u32_e32 v2, s17, v2
	s_waitcnt vmcnt(0)
	s_delay_alu instid0(VALU_DEP_2) | instskip(NEXT) | instid1(VALU_DEP_3)
	v_add_co_u32 v0, vcc_lo, v0, v8
	v_add_co_ci_u32_e32 v1, vcc_lo, 0, v1, vcc_lo
	s_delay_alu instid0(VALU_DEP_3) | instskip(NEXT) | instid1(VALU_DEP_3)
	v_ashrrev_i32_e32 v3, 31, v2
	v_add_co_u32 v0, vcc_lo, v0, s12
	s_delay_alu instid0(VALU_DEP_3) | instskip(NEXT) | instid1(VALU_DEP_3)
	v_add_co_ci_u32_e32 v1, vcc_lo, s13, v1, vcc_lo
	v_lshlrev_b64 v[2:3], 2, v[2:3]
	s_delay_alu instid0(VALU_DEP_3) | instskip(NEXT) | instid1(VALU_DEP_3)
	v_add_co_u32 v68, vcc_lo, v0, 32
	v_add_co_ci_u32_e32 v69, vcc_lo, 0, v1, vcc_lo
	s_delay_alu instid0(VALU_DEP_3) | instskip(NEXT) | instid1(VALU_DEP_4)
	v_add_co_u32 v138, vcc_lo, s10, v2
	v_add_co_ci_u32_e32 v139, vcc_lo, s11, v3, vcc_lo
	s_add_i32 s10, s20, -8
	s_mov_b32 s11, 0
	s_branch .LBB21_26
.LBB21_24:                              ;   in Loop: Header=BB21_26 Depth=1
	v_add_co_u32 v0, vcc_lo, v138, v64
	v_add_co_ci_u32_e32 v1, vcc_lo, v139, v65, vcc_lo
	s_clause 0x1
	flat_load_b32 v11, v[0:1] offset:512
	flat_load_b32 v1, v[0:1] offset:768
	s_waitcnt vmcnt(0) lgkmcnt(0)
	v_dual_mul_f32 v0, s22, v11 :: v_dual_mul_f32 v1, s22, v1
.LBB21_25:                              ;   in Loop: Header=BB21_26 Depth=1
	ds_load_b128 v[93:96], v72
	ds_load_b128 v[150:153], v76
	ds_load_b128 v[154:157], v76 offset:128
	ds_load_b128 v[158:161], v76 offset:256
	;; [unrolled: 1-line block ×14, first 2 shown]
	v_add_co_u32 v68, vcc_lo, v68, 32
	v_add_co_ci_u32_e32 v69, vcc_lo, 0, v69, vcc_lo
	v_add_co_u32 v138, vcc_lo, v138, s8
	s_waitcnt lgkmcnt(14)
	v_dual_add_f32 v11, v151, v94 :: v_dual_add_f32 v14, v150, v93
	s_waitcnt lgkmcnt(13)
	v_dual_add_f32 v15, v155, v94 :: v_dual_add_f32 v18, v154, v93
	;; [unrolled: 2-line block ×3, first 2 shown]
	s_waitcnt lgkmcnt(11)
	v_add_f32_e32 v23, v163, v94
	v_min3_f32 v11, v14, v11, v28
	v_min3_f32 v14, v18, v15, v29
	v_add_f32_e32 v18, v162, v93
	v_min3_f32 v15, v22, v19, v32
	s_waitcnt lgkmcnt(10)
	v_dual_add_f32 v19, v167, v94 :: v_dual_add_f32 v22, v166, v93
	s_waitcnt lgkmcnt(9)
	v_dual_add_f32 v28, v171, v94 :: v_dual_add_f32 v29, v170, v93
	s_waitcnt lgkmcnt(8)
	v_add_f32_e32 v32, v175, v94
	s_waitcnt lgkmcnt(7)
	v_dual_add_f32 v34, v174, v93 :: v_dual_add_f32 v35, v179, v94
	s_waitcnt lgkmcnt(2)
	v_dual_add_f32 v38, v178, v93 :: v_dual_add_f32 v73, v159, v187
	v_min3_f32 v4, v18, v23, v4
	v_min3_f32 v18, v22, v19, v33
	;; [unrolled: 1-line block ×3, first 2 shown]
	s_delay_alu instid0(VALU_DEP_4)
	v_min3_f32 v23, v38, v35, v40
	v_dual_add_f32 v28, v151, v98 :: v_dual_add_f32 v33, v154, v97
	v_add_f32_e32 v29, v150, v97
	v_min3_f32 v22, v34, v32, v37
	v_dual_add_f32 v32, v155, v98 :: v_dual_add_f32 v35, v158, v97
	v_dual_add_f32 v34, v159, v98 :: v_dual_add_f32 v37, v162, v97
	v_dual_add_f32 v36, v163, v98 :: v_dual_add_f32 v39, v166, v97
	v_add_f32_e32 v38, v167, v98
	v_min3_f32 v5, v29, v28, v5
	v_min3_f32 v28, v33, v32, v41
	v_min3_f32 v29, v35, v34, v44
	v_add_f32_e32 v35, v170, v97
	v_min3_f32 v32, v37, v36, v45
	v_min3_f32 v33, v39, v38, v48
	v_dual_add_f32 v34, v171, v98 :: v_dual_add_f32 v37, v174, v97
	v_dual_add_f32 v36, v175, v98 :: v_dual_add_f32 v39, v178, v97
	v_dual_add_f32 v38, v179, v98 :: v_dual_add_f32 v41, v150, v101
	v_dual_add_f32 v40, v151, v102 :: v_dual_add_f32 v45, v154, v101
	v_add_f32_e32 v44, v155, v102
	v_min3_f32 v8, v35, v34, v8
	v_min3_f32 v34, v37, v36, v49
	v_min3_f32 v35, v39, v38, v52
	v_add_f32_e32 v39, v158, v101
	v_min3_f32 v36, v41, v40, v53
	v_min3_f32 v37, v45, v44, v56
	v_dual_add_f32 v38, v159, v102 :: v_dual_add_f32 v41, v162, v101
	;; [unrolled: 11-line block ×4, first 2 shown]
	v_dual_add_f32 v54, v171, v106 :: v_dual_add_f32 v57, v174, v105
	v_dual_add_f32 v56, v175, v106 :: v_dual_add_f32 v59, v178, v105
	v_add_f32_e32 v58, v179, v106
	v_dual_add_f32 v60, v151, v183 :: v_dual_add_f32 v61, v150, v182
	v_min3_f32 v13, v53, v52, v13
	v_min3_f32 v50, v55, v54, v50
	;; [unrolled: 1-line block ×5, first 2 shown]
	v_dual_add_f32 v54, v155, v183 :: v_dual_add_f32 v55, v154, v182
	v_dual_add_f32 v56, v159, v183 :: v_dual_add_f32 v57, v158, v182
	;; [unrolled: 1-line block ×5, first 2 shown]
	v_min3_f32 v16, v55, v54, v16
	v_min3_f32 v54, v57, v56, v81
	;; [unrolled: 1-line block ×5, first 2 shown]
	v_dual_add_f32 v58, v175, v183 :: v_dual_add_f32 v59, v174, v182
	v_dual_add_f32 v60, v179, v183 :: v_dual_add_f32 v61, v178, v182
	v_dual_add_f32 v62, v151, v187 :: v_dual_add_f32 v63, v150, v186
	v_dual_add_f32 v70, v155, v187 :: v_dual_add_f32 v71, v154, v186
	v_add_f32_e32 v80, v158, v186
	v_min3_f32 v17, v59, v58, v17
	v_min3_f32 v46, v61, v60, v46
	v_min3_f32 v47, v63, v62, v47
	v_min3_f32 v58, v71, v70, v85
	v_min3_f32 v59, v80, v73, v86
	v_add_f32_e32 v73, v175, v187
	v_dual_add_f32 v60, v163, v187 :: v_dual_add_f32 v61, v162, v186
	v_dual_add_f32 v62, v167, v187 :: v_dual_add_f32 v63, v166, v186
	;; [unrolled: 1-line block ×4, first 2 shown]
	v_add_f32_e32 v82, v178, v186
	v_min3_f32 v20, v61, v60, v20
	v_min3_f32 v42, v63, v62, v42
	;; [unrolled: 1-line block ×4, first 2 shown]
	s_waitcnt lgkmcnt(1)
	v_add_f32_e32 v73, v159, v191
	v_min3_f32 v61, v82, v81, v88
	v_dual_add_f32 v62, v151, v191 :: v_dual_add_f32 v63, v150, v190
	v_dual_add_f32 v70, v155, v191 :: v_dual_add_f32 v71, v154, v190
	;; [unrolled: 1-line block ×4, first 2 shown]
	v_add_f32_e32 v84, v166, v190
	v_min3_f32 v21, v63, v62, v21
	v_min3_f32 v62, v71, v70, v89
	;; [unrolled: 1-line block ×3, first 2 shown]
	v_add_f32_e32 v73, v171, v191
	v_min3_f32 v70, v82, v81, v91
	v_min3_f32 v71, v84, v83, v92
	v_dual_add_f32 v80, v170, v190 :: v_dual_add_f32 v81, v175, v191
	v_dual_add_f32 v82, v174, v190 :: v_dual_add_f32 v83, v179, v191
	s_waitcnt lgkmcnt(0)
	v_dual_add_f32 v84, v178, v190 :: v_dual_add_f32 v85, v151, v195
	v_dual_add_f32 v86, v150, v194 :: v_dual_add_f32 v87, v155, v195
	v_add_f32_e32 v88, v154, v194
	v_min3_f32 v24, v80, v73, v24
	v_add_f32_e32 v73, v159, v195
	v_min3_f32 v26, v82, v81, v26
	v_min3_f32 v27, v84, v83, v27
	v_min3_f32 v30, v86, v85, v30
	v_min3_f32 v31, v88, v87, v31
	v_dual_add_f32 v80, v158, v194 :: v_dual_add_f32 v81, v163, v195
	v_dual_add_f32 v82, v162, v194 :: v_dual_add_f32 v83, v167, v195
	;; [unrolled: 1-line block ×4, first 2 shown]
	v_add_f32_e32 v88, v174, v194
	v_min3_f32 v25, v80, v73, v25
	v_add_f32_e32 v73, v179, v195
	v_min3_f32 v3, v82, v81, v3
	v_min3_f32 v6, v84, v83, v6
	;; [unrolled: 1-line block ×4, first 2 shown]
	v_dual_add_f32 v80, v178, v194 :: v_dual_add_f32 v83, v157, v96
	v_dual_add_f32 v81, v153, v96 :: v_dual_add_f32 v82, v152, v95
	;; [unrolled: 1-line block ×4, first 2 shown]
	v_add_f32_e32 v88, v164, v95
	v_min3_f32 v2, v80, v73, v2
	v_min3_f32 v148, v82, v81, v11
	v_add_f32_e32 v81, v181, v96
	v_min3_f32 v144, v84, v83, v14
	v_min3_f32 v142, v88, v87, v4
	v_dual_add_f32 v4, v169, v96 :: v_dual_add_f32 v11, v168, v95
	v_add_f32_e32 v14, v173, v96
	v_add_f32_e32 v73, v177, v96
	v_min3_f32 v145, v86, v85, v15
	v_add_f32_e32 v15, v172, v95
	v_dual_add_f32 v80, v176, v95 :: v_dual_add_f32 v83, v153, v100
	v_add_f32_e32 v82, v180, v95
	v_add_f32_e32 v84, v152, v99
	v_min3_f32 v143, v11, v4, v18
	v_min3_f32 v140, v15, v14, v19
	v_add_f32_e32 v15, v165, v100
	v_min3_f32 v141, v80, v73, v22
	v_min3_f32 v136, v84, v83, v5
	v_dual_add_f32 v4, v157, v100 :: v_dual_add_f32 v5, v156, v99
	v_add_f32_e32 v11, v161, v100
	v_min3_f32 v137, v82, v81, v23
	v_dual_add_f32 v14, v160, v99 :: v_dual_add_f32 v19, v169, v100
	v_dual_add_f32 v18, v164, v99 :: v_dual_add_f32 v23, v173, v100
	v_add_f32_e32 v73, v172, v99
	v_add_f32_e32 v22, v168, v99
	v_min3_f32 v134, v5, v4, v28
	v_min3_f32 v135, v14, v11, v29
	v_add_f32_e32 v4, v177, v100
	v_min3_f32 v130, v73, v23, v8
	v_dual_add_f32 v5, v176, v99 :: v_dual_add_f32 v8, v181, v100
	v_dual_add_f32 v11, v180, v99 :: v_dual_add_f32 v14, v153, v104
	v_min3_f32 v132, v18, v15, v32
	v_dual_add_f32 v15, v152, v103 :: v_dual_add_f32 v18, v157, v104
	v_add_f32_e32 v23, v160, v103
	s_delay_alu instid0(VALU_DEP_4)
	v_min3_f32 v128, v11, v8, v35
	v_add_f32_e32 v11, v173, v104
	v_min3_f32 v133, v22, v19, v33
	v_dual_add_f32 v19, v156, v103 :: v_dual_add_f32 v22, v161, v104
	v_min3_f32 v131, v5, v4, v34
	v_min3_f32 v129, v15, v14, v36
	v_add_f32_e32 v4, v165, v104
	s_delay_alu instid0(VALU_DEP_4)
	v_min3_f32 v127, v19, v18, v37
	v_min3_f32 v126, v23, v22, v9
	v_dual_add_f32 v5, v164, v103 :: v_dual_add_f32 v8, v169, v104
	v_add_f32_e32 v9, v168, v103
	v_dual_add_f32 v14, v172, v103 :: v_dual_add_f32 v15, v177, v104
	v_dual_add_f32 v18, v176, v103 :: v_dual_add_f32 v19, v181, v104
	v_add_f32_e32 v22, v180, v103
	v_min3_f32 v124, v5, v4, v38
	s_delay_alu instid0(VALU_DEP_4)
	v_min3_f32 v122, v14, v11, v40
	v_add_f32_e32 v11, v161, v108
	v_min3_f32 v123, v18, v15, v41
	v_min3_f32 v120, v22, v19, v12
	v_add_f32_e32 v4, v153, v108
	v_min3_f32 v125, v9, v8, v39
	v_dual_add_f32 v5, v152, v107 :: v_dual_add_f32 v8, v157, v108
	v_dual_add_f32 v9, v156, v107 :: v_dual_add_f32 v14, v165, v108
	v_add_f32_e32 v12, v160, v107
	v_dual_add_f32 v15, v164, v107 :: v_dual_add_f32 v18, v169, v108
	v_add_f32_e32 v19, v168, v107
	v_min3_f32 v121, v5, v4, v44
	v_add_f32_e32 v4, v173, v108
	v_min3_f32 v118, v9, v8, v45
	v_min3_f32 v119, v12, v11, v48
	;; [unrolled: 1-line block ×4, first 2 shown]
	v_dual_add_f32 v5, v172, v107 :: v_dual_add_f32 v8, v177, v108
	v_add_f32_e32 v9, v176, v107
	v_dual_add_f32 v11, v181, v108 :: v_dual_add_f32 v12, v180, v107
	v_dual_add_f32 v13, v153, v185 :: v_dual_add_f32 v14, v152, v184
	;; [unrolled: 1-line block ×3, first 2 shown]
	v_min3_f32 v114, v5, v4, v50
	s_delay_alu instid0(VALU_DEP_4)
	v_min3_f32 v112, v12, v11, v52
	v_add_f32_e32 v11, v169, v185
	v_min3_f32 v113, v14, v13, v53
	v_min3_f32 v109, v18, v15, v16
	v_add_f32_e32 v4, v161, v185
	v_min3_f32 v115, v9, v8, v51
	v_dual_add_f32 v5, v160, v184 :: v_dual_add_f32 v8, v165, v185
	v_add_f32_e32 v9, v164, v184
	v_dual_add_f32 v12, v168, v184 :: v_dual_add_f32 v13, v173, v185
	v_dual_add_f32 v14, v172, v184 :: v_dual_add_f32 v15, v177, v185
	v_add_f32_e32 v16, v176, v184
	v_min3_f32 v110, v5, v4, v54
	s_delay_alu instid0(VALU_DEP_4)
	v_min3_f32 v108, v12, v11, v56
	v_add_f32_e32 v11, v157, v189
	v_min3_f32 v106, v14, v13, v57
	v_min3_f32 v105, v16, v15, v17
	v_add_f32_e32 v4, v181, v185
	v_min3_f32 v107, v9, v8, v55
	v_dual_add_f32 v5, v180, v184 :: v_dual_add_f32 v8, v153, v189
	v_add_f32_e32 v9, v152, v188
	v_dual_add_f32 v12, v156, v188 :: v_dual_add_f32 v13, v161, v189
	v_dual_add_f32 v14, v160, v188 :: v_dual_add_f32 v15, v165, v189
	v_add_f32_e32 v16, v164, v188
	;; [unrolled: 13-line block ×6, first 2 shown]
	v_min3_f32 v83, v5, v4, v3
	v_min3_f32 v84, v9, v8, v6
	;; [unrolled: 1-line block ×5, first 2 shown]
	v_add_co_ci_u32_e32 v139, vcc_lo, s9, v139, vcc_lo
	s_add_i32 s11, s11, 8
	ds_store_b32 v77, v146
	ds_store_2addr_stride64_b32 v78, v147, v149 offset1:4
	ds_store_2addr_stride64_b32 v78, v0, v1 offset0:8 offset1:12
	s_cmp_ge_i32 s11, s10
	s_waitcnt lgkmcnt(0)
	s_barrier
	buffer_gl0_inv
	s_cbranch_scc1 .LBB21_41
.LBB21_26:                              ; =>This Inner Loop Header: Depth=1
	v_mov_b32_e32 v146, 0
	s_and_b32 vcc_lo, exec_lo, s3
	s_cbranch_vccnz .LBB21_28
; %bb.27:                               ;   in Loop: Header=BB21_26 Depth=1
	flat_load_b32 v0, v[68:69]
	s_waitcnt vmcnt(0) lgkmcnt(0)
	v_mul_f32_e32 v146, s22, v0
.LBB21_28:                              ;   in Loop: Header=BB21_26 Depth=1
	s_and_b32 vcc_lo, exec_lo, s3
	s_cbranch_vccnz .LBB21_31
; %bb.29:                               ;   in Loop: Header=BB21_26 Depth=1
	v_add_co_u32 v0, vcc_lo, v138, v66
	v_add_co_ci_u32_e32 v1, vcc_lo, v139, v67, vcc_lo
	s_clause 0x1
	flat_load_b32 v2, v[0:1]
	flat_load_b32 v0, v[0:1] offset:256
	s_waitcnt vmcnt(1) lgkmcnt(1)
	v_mul_f32_e32 v147, s22, v2
	s_waitcnt vmcnt(0) lgkmcnt(0)
	v_mul_f32_e32 v149, s22, v0
	s_and_b32 vcc_lo, exec_lo, s3
	s_cbranch_vccnz .LBB21_32
.LBB21_30:                              ;   in Loop: Header=BB21_26 Depth=1
	v_add_co_u32 v0, vcc_lo, v138, v66
	v_add_co_ci_u32_e32 v1, vcc_lo, v139, v67, vcc_lo
	s_clause 0x1
	flat_load_b32 v2, v[0:1] offset:512
	flat_load_b32 v0, v[0:1] offset:768
	s_waitcnt vmcnt(0) lgkmcnt(0)
	v_dual_mul_f32 v150, s22, v2 :: v_dual_mul_f32 v151, s22, v0
	s_branch .LBB21_33
.LBB21_31:                              ;   in Loop: Header=BB21_26 Depth=1
	v_mov_b32_e32 v147, 0
	v_mov_b32_e32 v149, 0
	s_and_b32 vcc_lo, exec_lo, s3
	s_cbranch_vccz .LBB21_30
.LBB21_32:                              ;   in Loop: Header=BB21_26 Depth=1
	v_dual_mov_b32 v150, 0 :: v_dual_mov_b32 v151, 0
.LBB21_33:                              ;   in Loop: Header=BB21_26 Depth=1
	ds_load_b128 v[32:35], v79
	ds_load_b128 v[28:31], v79 offset:128
	ds_load_b128 v[24:27], v79 offset:256
	;; [unrolled: 1-line block ×7, first 2 shown]
	ds_load_b128 v[60:63], v111
	ds_load_b128 v[56:59], v111 offset:512
	ds_load_b128 v[52:55], v111 offset:1024
	;; [unrolled: 1-line block ×7, first 2 shown]
	s_and_b32 vcc_lo, exec_lo, s3
	ds_store_b32 v75, v146
	ds_store_2addr_stride64_b32 v74, v147, v149 offset1:4
	ds_store_2addr_stride64_b32 v74, v150, v151 offset0:8 offset1:12
	s_waitcnt lgkmcnt(0)
	s_barrier
	buffer_gl0_inv
	s_cbranch_vccnz .LBB21_36
; %bb.34:                               ;   in Loop: Header=BB21_26 Depth=1
	flat_load_b32 v70, v[68:69] offset:16
	s_waitcnt vmcnt(0) lgkmcnt(0)
	v_mul_f32_e32 v146, s22, v70
	s_and_b32 vcc_lo, exec_lo, s3
	s_cbranch_vccnz .LBB21_37
.LBB21_35:                              ;   in Loop: Header=BB21_26 Depth=1
	v_add_co_u32 v149, vcc_lo, v138, v64
	v_add_co_ci_u32_e32 v150, vcc_lo, v139, v65, vcc_lo
	s_clause 0x1
	flat_load_b32 v70, v[149:150]
	flat_load_b32 v71, v[149:150] offset:256
	s_waitcnt vmcnt(1) lgkmcnt(1)
	v_mul_f32_e32 v147, s22, v70
	s_waitcnt vmcnt(0) lgkmcnt(0)
	v_mul_f32_e32 v149, s22, v71
	s_branch .LBB21_38
.LBB21_36:                              ;   in Loop: Header=BB21_26 Depth=1
	v_mov_b32_e32 v146, 0
	s_and_b32 vcc_lo, exec_lo, s3
	s_cbranch_vccz .LBB21_35
.LBB21_37:                              ;   in Loop: Header=BB21_26 Depth=1
	v_mov_b32_e32 v147, 0
	v_mov_b32_e32 v149, 0
.LBB21_38:                              ;   in Loop: Header=BB21_26 Depth=1
	v_dual_add_f32 v70, v33, v61 :: v_dual_add_f32 v71, v32, v60
	v_dual_add_f32 v73, v29, v61 :: v_dual_add_f32 v150, v28, v60
	;; [unrolled: 1-line block ×3, first 2 shown]
	s_delay_alu instid0(VALU_DEP_3) | instskip(SKIP_1) | instid1(VALU_DEP_4)
	v_min3_f32 v70, v71, v70, v148
	v_add_f32_e32 v148, v13, v61
	v_min3_f32 v71, v150, v73, v144
	v_add_f32_e32 v144, v17, v61
	;; [unrolled: 2-line block ×3, first 2 shown]
	v_dual_add_f32 v150, v12, v60 :: v_dual_add_f32 v151, v9, v61
	v_dual_add_f32 v152, v8, v60 :: v_dual_add_f32 v153, v5, v61
	;; [unrolled: 1-line block ×3, first 2 shown]
	v_add_f32_e32 v60, v0, v60
	v_min3_f32 v142, v145, v144, v142
	s_delay_alu instid0(VALU_DEP_4) | instskip(SKIP_1) | instid1(VALU_DEP_4)
	v_min3_f32 v140, v152, v151, v140
	v_dual_add_f32 v144, v29, v57 :: v_dual_add_f32 v145, v28, v56
	v_min3_f32 v60, v60, v61, v137
	v_add_f32_e32 v61, v33, v57
	v_add_f32_e32 v137, v32, v56
	v_min3_f32 v143, v150, v148, v143
	v_add_f32_e32 v148, v25, v57
	v_dual_add_f32 v150, v24, v56 :: v_dual_add_f32 v151, v17, v57
	v_add_f32_e32 v152, v16, v56
	v_min3_f32 v141, v154, v153, v141
	v_dual_add_f32 v153, v13, v57 :: v_dual_add_f32 v154, v12, v56
	v_min3_f32 v61, v137, v61, v136
	v_min3_f32 v134, v145, v144, v134
	;; [unrolled: 1-line block ×3, first 2 shown]
	v_dual_add_f32 v136, v9, v57 :: v_dual_add_f32 v145, v4, v56
	v_add_f32_e32 v137, v8, v56
	v_min3_f32 v135, v150, v148, v135
	v_add_f32_e32 v144, v5, v57
	v_dual_add_f32 v57, v1, v57 :: v_dual_add_f32 v56, v0, v56
	v_add_f32_e32 v151, v29, v53
	v_add_f32_e32 v148, v33, v53
	;; [unrolled: 1-line block ×4, first 2 shown]
	v_min3_f32 v130, v137, v136, v130
	v_min3_f32 v56, v56, v57, v128
	v_add_f32_e32 v128, v25, v53
	v_add_f32_e32 v136, v17, v53
	v_min3_f32 v127, v152, v151, v127
	v_add_f32_e32 v137, v16, v52
	v_add_f32_e32 v151, v5, v53
	v_min3_f32 v57, v150, v148, v129
	v_add_f32_e32 v129, v24, v52
	v_min3_f32 v131, v145, v144, v131
	v_dual_add_f32 v144, v13, v53 :: v_dual_add_f32 v145, v12, v52
	v_add_f32_e32 v148, v9, v53
	v_add_f32_e32 v150, v8, v52
	;; [unrolled: 1-line block ×3, first 2 shown]
	v_min3_f32 v126, v129, v128, v126
	v_dual_add_f32 v53, v1, v53 :: v_dual_add_f32 v52, v0, v52
	v_dual_add_f32 v128, v33, v49 :: v_dual_add_f32 v129, v32, v48
	v_min3_f32 v124, v137, v136, v124
	v_dual_add_f32 v136, v29, v49 :: v_dual_add_f32 v137, v28, v48
	v_min3_f32 v125, v145, v144, v125
	;; [unrolled: 2-line block ×3, first 2 shown]
	v_add_f32_e32 v148, v17, v49
	v_add_f32_e32 v150, v16, v48
	v_min3_f32 v120, v52, v53, v120
	v_dual_add_f32 v52, v13, v49 :: v_dual_add_f32 v53, v12, v48
	v_min3_f32 v121, v129, v128, v121
	v_dual_add_f32 v128, v9, v49 :: v_dual_add_f32 v129, v8, v48
	;; [unrolled: 2-line block ×3, first 2 shown]
	v_dual_add_f32 v49, v1, v49 :: v_dual_add_f32 v48, v0, v48
	v_min3_f32 v119, v145, v144, v119
	v_dual_add_f32 v144, v33, v45 :: v_dual_add_f32 v145, v32, v44
	v_min3_f32 v133, v154, v153, v133
	s_delay_alu instid0(VALU_DEP_4)
	v_min3_f32 v112, v48, v49, v112
	v_dual_add_f32 v48, v29, v45 :: v_dual_add_f32 v49, v28, v44
	v_min3_f32 v116, v53, v52, v116
	v_dual_add_f32 v52, v25, v45 :: v_dual_add_f32 v53, v24, v44
	;; [unrolled: 2-line block ×7, first 2 shown]
	v_dual_add_f32 v52, v33, v41 :: v_dual_add_f32 v53, v32, v40
	v_min3_f32 v107, v129, v128, v107
	v_dual_add_f32 v128, v29, v41 :: v_dual_add_f32 v129, v28, v40
	v_min3_f32 v108, v137, v136, v108
	;; [unrolled: 2-line block ×6, first 2 shown]
	v_dual_add_f32 v128, v5, v41 :: v_dual_add_f32 v129, v4, v40
	v_dual_add_f32 v41, v1, v41 :: v_dual_add_f32 v40, v0, v40
	v_min3_f32 v123, v152, v151, v123
	v_min3_f32 v106, v145, v144, v106
	;; [unrolled: 1-line block ×3, first 2 shown]
	s_and_b32 vcc_lo, exec_lo, s3
	v_min3_f32 v96, v40, v41, v96
	v_dual_add_f32 v40, v33, v37 :: v_dual_add_f32 v41, v32, v36
	v_min3_f32 v99, v45, v44, v99
	v_dual_add_f32 v44, v29, v37 :: v_dual_add_f32 v45, v28, v36
	;; [unrolled: 2-line block ×4, first 2 shown]
	v_min3_f32 v98, v129, v128, v98
	v_add_f32_e32 v129, v12, v36
	v_min3_f32 v95, v41, v40, v95
	v_add_f32_e32 v41, v8, v36
	v_min3_f32 v93, v45, v44, v93
	v_dual_add_f32 v44, v5, v37 :: v_dual_add_f32 v45, v4, v36
	v_dual_add_f32 v36, v0, v36 :: v_dual_add_f32 v17, v17, v21
	;; [unrolled: 1-line block ×3, first 2 shown]
	v_add_f32_e32 v16, v16, v20
	v_add_f32_e32 v4, v4, v20
	;; [unrolled: 1-line block ×5, first 2 shown]
	v_dual_add_f32 v29, v29, v21 :: v_dual_add_f32 v28, v28, v20
	v_dual_add_f32 v9, v9, v21 :: v_dual_add_f32 v8, v8, v20
	v_min3_f32 v151, v4, v5, v82
	v_add_f32_e32 v1, v1, v21
	v_min3_f32 v145, v16, v17, v83
	v_add_f32_e32 v0, v0, v20
	v_dual_add_f32 v4, v35, v63 :: v_dual_add_f32 v5, v34, v62
	v_dual_add_f32 v16, v19, v63 :: v_dual_add_f32 v17, v18, v62
	v_min3_f32 v117, v150, v148, v117
	v_dual_add_f32 v33, v33, v21 :: v_dual_add_f32 v32, v32, v20
	v_add_f32_e32 v13, v13, v21
	v_min3_f32 v144, v28, v29, v86
	v_dual_add_f32 v25, v25, v21 :: v_dual_add_f32 v12, v12, v20
	v_min3_f32 v0, v0, v1, v80
	v_add_f32_e32 v1, v15, v63
	v_min3_f32 v28, v5, v4, v70
	v_min3_f32 v4, v17, v16, v142
	v_add_f32_e32 v5, v14, v62
	v_min3_f32 v150, v8, v9, v81
	v_dual_add_f32 v8, v31, v63 :: v_dual_add_f32 v21, v34, v58
	v_dual_add_f32 v9, v30, v62 :: v_dual_add_f32 v16, v3, v63
	;; [unrolled: 1-line block ×3, first 2 shown]
	v_min3_f32 v92, v129, v128, v92
	v_min3_f32 v137, v32, v33, v88
	;; [unrolled: 1-line block ×3, first 2 shown]
	v_dual_add_f32 v12, v27, v63 :: v_dual_add_f32 v13, v26, v62
	v_min3_f32 v128, v41, v40, v89
	v_min3_f32 v29, v9, v8, v71
	v_dual_add_f32 v8, v11, v63 :: v_dual_add_f32 v9, v10, v62
	v_min3_f32 v33, v5, v1, v143
	v_min3_f32 v40, v17, v16, v60
	;; [unrolled: 1-line block ×3, first 2 shown]
	v_dual_add_f32 v17, v15, v59 :: v_dual_add_f32 v20, v14, v58
	v_min3_f32 v94, v49, v48, v94
	v_min3_f32 v136, v36, v37, v87
	;; [unrolled: 1-line block ×4, first 2 shown]
	v_dual_add_f32 v12, v7, v63 :: v_dual_add_f32 v13, v6, v62
	v_add_f32_e32 v1, v31, v59
	v_dual_add_f32 v21, v11, v59 :: v_dual_add_f32 v24, v10, v58
	v_min3_f32 v48, v20, v17, v133
	v_add_f32_e32 v17, v34, v54
	v_min3_f32 v36, v9, v8, v140
	v_dual_add_f32 v8, v30, v58 :: v_dual_add_f32 v9, v27, v59
	v_add_f32_e32 v16, v18, v58
	v_min3_f32 v129, v45, v44, v90
	v_dual_add_f32 v20, v31, v55 :: v_dual_add_f32 v81, v30, v46
	s_delay_alu instid0(VALU_DEP_4)
	v_min3_f32 v41, v8, v1, v134
	v_min3_f32 v8, v24, v21, v130
	v_add_f32_e32 v21, v30, v54
	v_min3_f32 v37, v13, v12, v141
	v_dual_add_f32 v12, v26, v58 :: v_dual_add_f32 v13, v19, v59
	v_add_f32_e32 v1, v7, v59
	v_add_f32_e32 v24, v27, v55
	v_min3_f32 v91, v53, v52, v91
	s_delay_alu instid0(VALU_DEP_4)
	v_min3_f32 v44, v12, v9, v135
	v_min3_f32 v45, v16, v13, v132
	v_dual_add_f32 v9, v6, v58 :: v_dual_add_f32 v12, v3, v59
	v_dual_add_f32 v13, v2, v58 :: v_dual_add_f32 v16, v35, v55
	v_add_f32_e32 v71, v34, v46
	v_add_f32_e32 v58, v26, v54
	s_delay_alu instid0(VALU_DEP_4) | instskip(NEXT) | instid1(VALU_DEP_4)
	v_min3_f32 v49, v9, v1, v131
	v_min3_f32 v52, v13, v12, v56
	;; [unrolled: 1-line block ×5, first 2 shown]
	v_dual_add_f32 v1, v19, v55 :: v_dual_add_f32 v12, v18, v54
	v_dual_add_f32 v17, v11, v55 :: v_dual_add_f32 v20, v10, v54
	;; [unrolled: 1-line block ×5, first 2 shown]
	v_min3_f32 v54, v12, v1, v124
	v_min3_f32 v57, v20, v17, v122
	;; [unrolled: 1-line block ×3, first 2 shown]
	v_dual_add_f32 v1, v35, v51 :: v_dual_add_f32 v62, v18, v50
	v_dual_add_f32 v20, v27, v51 :: v_dual_add_f32 v21, v26, v50
	v_add_f32_e32 v24, v19, v51
	v_min3_f32 v55, v16, v13, v125
	v_dual_add_f32 v13, v34, v50 :: v_dual_add_f32 v16, v31, v51
	v_add_f32_e32 v17, v30, v50
	v_dual_add_f32 v63, v15, v51 :: v_dual_add_f32 v70, v14, v50
	v_min3_f32 v61, v21, v20, v119
	v_min3_f32 v62, v62, v24, v117
	v_dual_add_f32 v21, v3, v51 :: v_dual_add_f32 v24, v2, v50
	v_min3_f32 v12, v60, v59, v120
	v_min3_f32 v59, v13, v1, v121
	;; [unrolled: 1-line block ×3, first 2 shown]
	v_dual_add_f32 v1, v11, v51 :: v_dual_add_f32 v20, v6, v50
	v_add_f32_e32 v70, v35, v47
	v_add_f32_e32 v73, v31, v47
	v_min3_f32 v63, v24, v21, v112
	v_add_f32_e32 v21, v18, v46
	v_min3_f32 v60, v17, v16, v118
	v_dual_add_f32 v16, v10, v50 :: v_dual_add_f32 v17, v7, v51
	v_min3_f32 v80, v71, v70, v113
	v_dual_add_f32 v24, v15, v47 :: v_dual_add_f32 v89, v2, v42
	s_delay_alu instid0(VALU_DEP_3) | instskip(NEXT) | instid1(VALU_DEP_4)
	v_min3_f32 v50, v16, v1, v114
	v_min3_f32 v51, v20, v17, v115
	v_dual_add_f32 v1, v27, v47 :: v_dual_add_f32 v86, v6, v46
	v_add_f32_e32 v17, v26, v46
	v_add_f32_e32 v70, v14, v46
	v_min3_f32 v16, v81, v73, v109
	v_add_f32_e32 v71, v11, v47
	v_add_f32_e32 v73, v10, v46
	;; [unrolled: 1-line block ×4, first 2 shown]
	v_min3_f32 v81, v17, v1, v110
	v_min3_f32 v83, v70, v24, v108
	;; [unrolled: 1-line block ×3, first 2 shown]
	v_dual_add_f32 v1, v3, v47 :: v_dual_add_f32 v24, v34, v42
	v_min3_f32 v17, v86, v85, v105
	v_dual_add_f32 v86, v26, v42 :: v_dual_add_f32 v73, v27, v43
	v_dual_add_f32 v70, v31, v43 :: v_dual_add_f32 v71, v30, v42
	v_dual_add_f32 v87, v19, v43 :: v_dual_add_f32 v88, v18, v42
	s_delay_alu instid0(VALU_DEP_3)
	v_min3_f32 v86, v86, v73, v102
	v_add_f32_e32 v73, v6, v42
	v_min3_f32 v82, v21, v20, v107
	v_dual_add_f32 v20, v2, v46 :: v_dual_add_f32 v21, v35, v43
	v_add_f32_e32 v90, v35, v39
	v_add_f32_e32 v35, v35, v23
	s_delay_alu instid0(VALU_DEP_3) | instskip(NEXT) | instid1(VALU_DEP_4)
	v_min3_f32 v46, v20, v1, v103
	v_min3_f32 v47, v24, v21, v104
	;; [unrolled: 1-line block ×3, first 2 shown]
	v_add_f32_e32 v1, v15, v43
	v_dual_add_f32 v21, v14, v42 :: v_dual_add_f32 v24, v11, v43
	v_add_f32_e32 v99, v34, v38
	v_min3_f32 v85, v71, v70, v101
	v_dual_add_f32 v70, v10, v42 :: v_dual_add_f32 v71, v7, v43
	v_add_f32_e32 v88, v3, v43
	v_min3_f32 v42, v21, v1, v100
	v_dual_add_f32 v1, v31, v39 :: v_dual_add_f32 v34, v34, v22
	s_delay_alu instid0(VALU_DEP_4)
	v_min3_f32 v87, v73, v71, v98
	v_add_f32_e32 v71, v26, v38
	v_min3_f32 v43, v70, v24, v97
	v_add_f32_e32 v24, v30, v38
	v_add_f32_e32 v70, v27, v39
	;; [unrolled: 1-line block ×4, first 2 shown]
	v_min3_f32 v21, v99, v90, v95
	v_add_f32_e32 v95, v18, v38
	v_add_f32_e32 v18, v18, v22
	v_min3_f32 v88, v89, v88, v96
	v_add_f32_e32 v99, v10, v38
	v_min3_f32 v89, v24, v1, v93
	v_min3_f32 v90, v71, v70, v94
	v_dual_add_f32 v1, v7, v39 :: v_dual_add_f32 v14, v14, v22
	v_add_f32_e32 v70, v6, v38
	v_dual_add_f32 v96, v15, v39 :: v_dual_add_f32 v71, v30, v22
	v_dual_add_f32 v98, v11, v39 :: v_dual_add_f32 v93, v26, v22
	v_min3_f32 v91, v95, v73, v91
	v_dual_add_f32 v39, v3, v39 :: v_dual_add_f32 v10, v10, v22
	v_dual_add_f32 v38, v2, v38 :: v_dual_add_f32 v31, v31, v23
	;; [unrolled: 1-line block ×3, first 2 shown]
	v_min3_f32 v26, v70, v1, v129
	v_min3_f32 v30, v34, v35, v137
	v_add_f32_e32 v1, v19, v23
	v_add_f32_e32 v15, v15, v23
	;; [unrolled: 1-line block ×3, first 2 shown]
	v_dual_add_f32 v19, v7, v23 :: v_dual_add_f32 v34, v6, v22
	v_add_f32_e32 v23, v3, v23
	v_min3_f32 v92, v97, v96, v92
	v_min3_f32 v24, v99, v98, v128
	;; [unrolled: 1-line block ×10, first 2 shown]
	s_cbranch_vccz .LBB21_24
; %bb.39:                               ;   in Loop: Header=BB21_26 Depth=1
	v_dual_mov_b32 v0, 0 :: v_dual_mov_b32 v1, 0
	s_branch .LBB21_25
.LBB21_40:
	v_dual_mov_b32 v198, v152 :: v_dual_mov_b32 v199, v150
.LBB21_41:
	ds_load_b128 v[32:35], v200 offset:9216
	ds_load_b128 v[60:63], v72 offset:4096
	s_clause 0x2
	s_load_b32 s8, s[0:1], 0x70
	s_load_b32 s3, s[0:1], 0x58
	s_load_b64 s[0:1], s[0:1], 0x78
	v_add_nc_u32_e32 v111, s17, v198
	s_waitcnt lgkmcnt(0)
	v_dual_add_f32 v7, v32, v60 :: v_dual_add_nc_u32 v76, s16, v199
	v_add_f32_e32 v6, v33, v61
	s_delay_alu instid0(VALU_DEP_3) | instskip(SKIP_1) | instid1(VALU_DEP_4)
	v_mad_i64_i32 v[2:3], null, v111, s8, 0
	v_mad_i64_i32 v[4:5], null, v111, s3, 0
	v_dual_add_f32 v9, v34, v62 :: v_dual_add_nc_u32 v0, 8, v76
	v_add_f32_e32 v8, v35, v63
	v_min3_f32 v6, v7, v6, v148
	v_lshlrev_b64 v[2:3], 2, v[2:3]
	s_lshl_b64 s[0:1], s[0:1], 2
	v_lshlrev_b64 v[4:5], 2, v[4:5]
	s_add_u32 s0, s6, s0
	v_ashrrev_i32_e32 v77, 31, v76
	s_addc_u32 s1, s7, s1
	v_min3_f32 v6, v9, v8, v6
	v_add_co_u32 v138, vcc_lo, s0, v2
	v_add_co_ci_u32_e32 v139, vcc_lo, s1, v3, vcc_lo
	v_add_co_u32 v146, vcc_lo, s4, v4
	v_lshlrev_b64 v[66:67], 2, v[76:77]
	v_ashrrev_i32_e32 v1, 31, v0
	v_add_co_ci_u32_e32 v147, vcc_lo, s5, v5, vcc_lo
	v_max_f32_e32 v2, v6, v6
	s_mov_b32 vcc_lo, s2
	s_cbranch_vccz .LBB21_43
; %bb.42:
	v_add_co_u32 v3, vcc_lo, v138, v66
	s_delay_alu instid0(VALU_DEP_2)
	v_min_f32_e32 v5, 0, v2
	v_add_co_ci_u32_e32 v4, vcc_lo, v139, v67, vcc_lo
	s_mov_b32 s6, 0
	global_store_b32 v[3:4], v5, off
	s_branch .LBB21_44
.LBB21_43:
	s_mov_b32 s6, -1
.LBB21_44:
	ds_load_b128 v[28:31], v200 offset:9344
	ds_load_b128 v[24:27], v200 offset:9472
	v_lshlrev_b64 v[64:65], 2, v[0:1]
	s_and_not1_b32 vcc_lo, exec_lo, s6
	s_cbranch_vccnz .LBB21_46
; %bb.45:
	v_add_co_u32 v0, vcc_lo, v146, v66
	v_add_co_ci_u32_e32 v1, vcc_lo, v147, v67, vcc_lo
	flat_load_b32 v0, v[0:1]
	s_waitcnt vmcnt(0) lgkmcnt(0)
	v_mul_f32_e32 v3, s15, v0
	v_add_co_u32 v0, vcc_lo, v138, v66
	v_add_co_ci_u32_e32 v1, vcc_lo, v139, v67, vcc_lo
	s_delay_alu instid0(VALU_DEP_3)
	v_min_f32_e32 v4, v3, v2
	v_add_co_u32 v2, vcc_lo, v146, v64
	v_add_co_ci_u32_e32 v3, vcc_lo, v147, v65, vcc_lo
	global_store_b32 v[0:1], v4, off
	flat_load_b32 v0, v[2:3]
	s_waitcnt vmcnt(0) lgkmcnt(0)
	v_mul_f32_e32 v69, s15, v0
	s_branch .LBB21_47
.LBB21_46:
	v_mov_b32_e32 v69, s6
.LBB21_47:
	ds_load_b128 v[16:19], v200 offset:9728
	ds_load_b128 v[12:15], v200 offset:9856
	;; [unrolled: 1-line block ×10, first 2 shown]
	s_waitcnt lgkmcnt(10)
	v_dual_add_f32 v68, v25, v61 :: v_dual_add_f32 v73, v31, v63
	v_dual_add_f32 v70, v24, v60 :: v_dual_add_f32 v71, v29, v61
	ds_load_b128 v[20:23], v200 offset:9600
	ds_load_b128 v[4:7], v72 offset:7680
	v_dual_add_f32 v72, v28, v60 :: v_dual_add_f32 v75, v27, v63
	v_add_f32_e32 v74, v30, v62
	v_min3_f32 v68, v70, v68, v145
	v_dual_add_f32 v77, v26, v62 :: v_dual_add_nc_u32 v70, 16, v76
	s_delay_alu instid0(VALU_DEP_4) | instskip(NEXT) | instid1(VALU_DEP_4)
	v_min3_f32 v72, v72, v71, v144
	v_min_f32_e32 v73, v74, v73
	s_delay_alu instid0(VALU_DEP_3) | instskip(SKIP_2) | instid1(VALU_DEP_4)
	v_min3_f32 v75, v77, v75, v68
	v_add_nc_u32_e32 v68, 24, v76
	v_ashrrev_i32_e32 v71, 31, v70
	v_min3_f32 v77, v69, v73, v72
	v_add_co_u32 v73, vcc_lo, v138, v64
	v_add_co_ci_u32_e32 v74, vcc_lo, v139, v65, vcc_lo
	s_delay_alu instid0(VALU_DEP_4)
	v_lshlrev_b64 v[70:71], 2, v[70:71]
	v_ashrrev_i32_e32 v69, 31, v68
	v_max_f32_e32 v72, v75, v75
	s_mov_b32 vcc_lo, s2
	global_store_b32 v[73:74], v77, off
	s_cbranch_vccz .LBB21_50
; %bb.48:
	v_add_co_u32 v73, vcc_lo, v138, v70
	v_min_f32_e32 v75, 0, v72
	v_add_co_ci_u32_e32 v74, vcc_lo, v139, v71, vcc_lo
	s_mov_b32 s6, 0
	global_store_b32 v[73:74], v75, off
	v_lshlrev_b64 v[68:69], 2, v[68:69]
	s_cbranch_execz .LBB21_51
; %bb.49:
	v_mov_b32_e32 v73, s6
	s_branch .LBB21_52
.LBB21_50:
	s_mov_b32 s6, -1
	v_lshlrev_b64 v[68:69], 2, v[68:69]
.LBB21_51:
	v_add_co_u32 v73, vcc_lo, v146, v70
	v_add_co_ci_u32_e32 v74, vcc_lo, v147, v71, vcc_lo
	flat_load_b32 v73, v[73:74]
	s_waitcnt vmcnt(0) lgkmcnt(0)
	v_mul_f32_e32 v75, s15, v73
	v_add_co_u32 v73, vcc_lo, v138, v70
	v_add_co_ci_u32_e32 v74, vcc_lo, v139, v71, vcc_lo
	v_add_co_u32 v77, vcc_lo, v146, v68
	s_delay_alu instid0(VALU_DEP_4)
	v_min_f32_e32 v72, v75, v72
	v_add_co_ci_u32_e32 v78, vcc_lo, v147, v69, vcc_lo
	global_store_b32 v[73:74], v72, off
	flat_load_b32 v72, v[77:78]
	s_waitcnt vmcnt(0) lgkmcnt(0)
	v_mul_f32_e32 v73, s15, v72
.LBB21_52:
	s_waitcnt lgkmcnt(1)
	v_dual_add_f32 v72, v17, v61 :: v_dual_add_f32 v77, v20, v60
	v_dual_add_f32 v74, v16, v60 :: v_dual_add_f32 v75, v21, v61
	;; [unrolled: 1-line block ×3, first 2 shown]
	v_add_f32_e32 v144, v18, v62
	s_delay_alu instid0(VALU_DEP_3) | instskip(SKIP_3) | instid1(VALU_DEP_3)
	v_min3_f32 v72, v74, v72, v143
	v_add_f32_e32 v143, v19, v63
	v_min3_f32 v77, v77, v75, v142
	v_min_f32_e32 v78, v79, v78
	v_min3_f32 v142, v144, v143, v72
	v_add_nc_u32_e32 v74, 32, v76
	s_delay_alu instid0(VALU_DEP_3)
	v_min3_f32 v143, v73, v78, v77
	v_add_nc_u32_e32 v72, 40, v76
	v_add_co_u32 v78, vcc_lo, v138, v68
	v_max_f32_e32 v77, v142, v142
	v_ashrrev_i32_e32 v75, 31, v74
	v_add_co_ci_u32_e32 v79, vcc_lo, v139, v69, vcc_lo
	v_ashrrev_i32_e32 v73, 31, v72
	s_mov_b32 vcc_lo, s2
	s_delay_alu instid0(VALU_DEP_3)
	v_lshlrev_b64 v[74:75], 2, v[74:75]
	global_store_b32 v[78:79], v143, off
	s_cbranch_vccz .LBB21_55
; %bb.53:
	v_add_co_u32 v78, vcc_lo, v138, v74
	v_min_f32_e32 v142, 0, v77
	v_add_co_ci_u32_e32 v79, vcc_lo, v139, v75, vcc_lo
	s_mov_b32 s6, 0
	global_store_b32 v[78:79], v142, off
	v_lshlrev_b64 v[72:73], 2, v[72:73]
	s_cbranch_execz .LBB21_56
; %bb.54:
	v_mov_b32_e32 v77, s6
	s_branch .LBB21_57
.LBB21_55:
	s_mov_b32 s6, -1
	v_lshlrev_b64 v[72:73], 2, v[72:73]
.LBB21_56:
	v_add_co_u32 v78, vcc_lo, v146, v74
	v_add_co_ci_u32_e32 v79, vcc_lo, v147, v75, vcc_lo
	flat_load_b32 v78, v[78:79]
	s_waitcnt vmcnt(0) lgkmcnt(0)
	v_mul_f32_e32 v142, s15, v78
	v_add_co_u32 v78, vcc_lo, v138, v74
	v_add_co_ci_u32_e32 v79, vcc_lo, v139, v75, vcc_lo
	s_delay_alu instid0(VALU_DEP_3)
	v_min_f32_e32 v77, v142, v77
	v_add_co_u32 v142, vcc_lo, v146, v72
	v_add_co_ci_u32_e32 v143, vcc_lo, v147, v73, vcc_lo
	global_store_b32 v[78:79], v77, off
	flat_load_b32 v77, v[142:143]
	s_waitcnt vmcnt(0) lgkmcnt(0)
	v_mul_f32_e32 v77, s15, v77
.LBB21_57:
	v_dual_add_f32 v78, v9, v61 :: v_dual_add_f32 v79, v8, v60
	v_dual_add_f32 v142, v13, v61 :: v_dual_add_f32 v143, v12, v60
	v_add_f32_e32 v144, v15, v63
	v_dual_add_f32 v145, v11, v63 :: v_dual_add_f32 v148, v10, v62
	s_delay_alu instid0(VALU_DEP_4) | instskip(SKIP_3) | instid1(VALU_DEP_4)
	v_min3_f32 v79, v79, v78, v141
	v_dual_add_f32 v141, v14, v62 :: v_dual_add_nc_u32 v78, 48, v76
	v_min3_f32 v140, v143, v142, v140
	v_add_nc_u32_e32 v76, 56, v76
	v_min3_f32 v143, v148, v145, v79
	s_delay_alu instid0(VALU_DEP_4) | instskip(SKIP_1) | instid1(VALU_DEP_2)
	v_min_f32_e32 v141, v141, v144
	v_ashrrev_i32_e32 v79, 31, v78
	v_min3_f32 v144, v77, v141, v140
	s_delay_alu instid0(VALU_DEP_4) | instskip(SKIP_1) | instid1(VALU_DEP_4)
	v_max_f32_e32 v140, v143, v143
	v_add_co_u32 v141, vcc_lo, v138, v72
	v_lshlrev_b64 v[78:79], 2, v[78:79]
	v_add_co_ci_u32_e32 v142, vcc_lo, v139, v73, vcc_lo
	v_ashrrev_i32_e32 v77, 31, v76
	s_mov_b32 vcc_lo, s2
	global_store_b32 v[141:142], v144, off
	s_cbranch_vccz .LBB21_60
; %bb.58:
	v_add_co_u32 v141, vcc_lo, v138, v78
	v_min_f32_e32 v143, 0, v140
	v_add_co_ci_u32_e32 v142, vcc_lo, v139, v79, vcc_lo
	s_mov_b32 s6, 0
	global_store_b32 v[141:142], v143, off
	v_lshlrev_b64 v[76:77], 2, v[76:77]
	s_cbranch_execz .LBB21_61
; %bb.59:
	v_mov_b32_e32 v140, s6
	s_branch .LBB21_62
.LBB21_60:
	s_mov_b32 s6, -1
	v_lshlrev_b64 v[76:77], 2, v[76:77]
.LBB21_61:
	v_add_co_u32 v141, vcc_lo, v146, v78
	v_add_co_ci_u32_e32 v142, vcc_lo, v147, v79, vcc_lo
	flat_load_b32 v141, v[141:142]
	s_waitcnt vmcnt(0) lgkmcnt(0)
	v_mul_f32_e32 v143, s15, v141
	v_add_co_u32 v141, vcc_lo, v138, v78
	v_add_co_ci_u32_e32 v142, vcc_lo, v139, v79, vcc_lo
	s_delay_alu instid0(VALU_DEP_3)
	v_min_f32_e32 v140, v143, v140
	v_add_co_u32 v143, vcc_lo, v146, v76
	v_add_co_ci_u32_e32 v144, vcc_lo, v147, v77, vcc_lo
	global_store_b32 v[141:142], v140, off
	flat_load_b32 v140, v[143:144]
	s_waitcnt vmcnt(0) lgkmcnt(0)
	v_mul_f32_e32 v140, s15, v140
.LBB21_62:
	v_dual_add_f32 v141, v33, v57 :: v_dual_add_f32 v142, v32, v56
	v_dual_add_f32 v61, v1, v61 :: v_dual_add_f32 v60, v0, v60
	v_add_f32_e32 v143, v34, v58
	v_add_f32_e32 v62, v2, v62
	s_delay_alu instid0(VALU_DEP_4) | instskip(SKIP_3) | instid1(VALU_DEP_3)
	v_min3_f32 v136, v142, v141, v136
	v_add_f32_e32 v142, v35, v59
	v_add_nc_u32_e32 v141, 32, v111
	v_min3_f32 v137, v60, v61, v137
	v_min3_f32 v136, v143, v142, v136
	v_add_f32_e32 v63, v3, v63
	s_delay_alu instid0(VALU_DEP_4) | instskip(NEXT) | instid1(VALU_DEP_3)
	v_mad_i64_i32 v[60:61], null, v141, s8, 0
	v_max_f32_e32 v136, v136, v136
	s_delay_alu instid0(VALU_DEP_3) | instskip(SKIP_1) | instid1(VALU_DEP_4)
	v_min_f32_e32 v144, v62, v63
	v_mad_i64_i32 v[62:63], null, v141, s3, 0
	v_lshlrev_b64 v[60:61], 2, v[60:61]
	s_delay_alu instid0(VALU_DEP_3)
	v_min3_f32 v140, v140, v144, v137
	v_add_co_u32 v137, vcc_lo, v138, v76
	v_add_co_ci_u32_e32 v138, vcc_lo, v139, v77, vcc_lo
	v_lshlrev_b64 v[62:63], 2, v[62:63]
	v_add_co_u32 v60, vcc_lo, s0, v60
	v_add_co_ci_u32_e32 v61, vcc_lo, s1, v61, vcc_lo
	global_store_b32 v[137:138], v140, off
	v_add_co_u32 v62, vcc_lo, s4, v62
	v_add_co_ci_u32_e32 v63, vcc_lo, s5, v63, vcc_lo
	s_mov_b32 vcc_lo, s2
	s_cbranch_vccz .LBB21_65
; %bb.63:
	v_add_co_u32 v137, vcc_lo, v60, v66
	v_min_f32_e32 v139, 0, v136
	v_add_co_ci_u32_e32 v138, vcc_lo, v61, v67, vcc_lo
	s_mov_b32 s6, 0
	global_store_b32 v[137:138], v139, off
	s_cbranch_execz .LBB21_66
; %bb.64:
	v_mov_b32_e32 v136, s6
	s_branch .LBB21_67
.LBB21_65:
	s_mov_b32 s6, -1
.LBB21_66:
	v_add_co_u32 v137, vcc_lo, v62, v66
	v_add_co_ci_u32_e32 v138, vcc_lo, v63, v67, vcc_lo
	flat_load_b32 v137, v[137:138]
	s_waitcnt vmcnt(0) lgkmcnt(0)
	v_mul_f32_e32 v139, s15, v137
	v_add_co_u32 v137, vcc_lo, v60, v66
	v_add_co_ci_u32_e32 v138, vcc_lo, v61, v67, vcc_lo
	s_delay_alu instid0(VALU_DEP_3)
	v_min_f32_e32 v136, v139, v136
	v_add_co_u32 v139, vcc_lo, v62, v64
	v_add_co_ci_u32_e32 v140, vcc_lo, v63, v65, vcc_lo
	global_store_b32 v[137:138], v136, off
	flat_load_b32 v136, v[139:140]
	s_waitcnt vmcnt(0) lgkmcnt(0)
	v_mul_f32_e32 v136, s15, v136
.LBB21_67:
	v_dual_add_f32 v137, v29, v57 :: v_dual_add_f32 v138, v28, v56
	v_dual_add_f32 v139, v25, v57 :: v_dual_add_f32 v140, v24, v56
	v_dual_add_f32 v141, v31, v59 :: v_dual_add_f32 v142, v30, v58
	s_delay_alu instid0(VALU_DEP_3) | instskip(SKIP_1) | instid1(VALU_DEP_4)
	v_min3_f32 v134, v138, v137, v134
	v_dual_add_f32 v137, v27, v59 :: v_dual_add_f32 v138, v26, v58
	v_min3_f32 v135, v140, v139, v135
	s_delay_alu instid0(VALU_DEP_4) | instskip(NEXT) | instid1(VALU_DEP_2)
	v_min_f32_e32 v139, v142, v141
	v_min3_f32 v137, v138, v137, v135
	v_add_co_u32 v135, vcc_lo, v60, v64
	s_delay_alu instid0(VALU_DEP_3) | instskip(SKIP_1) | instid1(VALU_DEP_4)
	v_min3_f32 v138, v136, v139, v134
	v_add_co_ci_u32_e32 v136, vcc_lo, v61, v65, vcc_lo
	v_max_f32_e32 v134, v137, v137
	s_mov_b32 vcc_lo, s2
	global_store_b32 v[135:136], v138, off
	s_cbranch_vccz .LBB21_70
; %bb.68:
	v_add_co_u32 v135, vcc_lo, v60, v70
	v_min_f32_e32 v137, 0, v134
	v_add_co_ci_u32_e32 v136, vcc_lo, v61, v71, vcc_lo
	s_mov_b32 s6, 0
	global_store_b32 v[135:136], v137, off
	s_cbranch_execz .LBB21_71
; %bb.69:
	v_mov_b32_e32 v134, s6
	s_branch .LBB21_72
.LBB21_70:
	s_mov_b32 s6, -1
.LBB21_71:
	v_add_co_u32 v135, vcc_lo, v62, v70
	v_add_co_ci_u32_e32 v136, vcc_lo, v63, v71, vcc_lo
	flat_load_b32 v135, v[135:136]
	s_waitcnt vmcnt(0) lgkmcnt(0)
	v_mul_f32_e32 v137, s15, v135
	v_add_co_u32 v135, vcc_lo, v60, v70
	v_add_co_ci_u32_e32 v136, vcc_lo, v61, v71, vcc_lo
	s_delay_alu instid0(VALU_DEP_3)
	v_min_f32_e32 v134, v137, v134
	v_add_co_u32 v137, vcc_lo, v62, v68
	v_add_co_ci_u32_e32 v138, vcc_lo, v63, v69, vcc_lo
	global_store_b32 v[135:136], v134, off
	flat_load_b32 v134, v[137:138]
	s_waitcnt vmcnt(0) lgkmcnt(0)
	v_mul_f32_e32 v134, s15, v134
.LBB21_72:
	v_dual_add_f32 v135, v21, v57 :: v_dual_add_f32 v136, v20, v56
	v_dual_add_f32 v137, v17, v57 :: v_dual_add_f32 v138, v16, v56
	v_dual_add_f32 v139, v23, v59 :: v_dual_add_f32 v140, v22, v58
	s_delay_alu instid0(VALU_DEP_3) | instskip(SKIP_1) | instid1(VALU_DEP_4)
	v_min3_f32 v132, v136, v135, v132
	v_dual_add_f32 v135, v19, v59 :: v_dual_add_f32 v136, v18, v58
	v_min3_f32 v133, v138, v137, v133
	s_delay_alu instid0(VALU_DEP_4) | instskip(NEXT) | instid1(VALU_DEP_2)
	v_min_f32_e32 v137, v140, v139
	v_min3_f32 v135, v136, v135, v133
	v_add_co_u32 v133, vcc_lo, v60, v68
	s_delay_alu instid0(VALU_DEP_3) | instskip(SKIP_1) | instid1(VALU_DEP_4)
	v_min3_f32 v136, v134, v137, v132
	v_add_co_ci_u32_e32 v134, vcc_lo, v61, v69, vcc_lo
	v_max_f32_e32 v132, v135, v135
	s_mov_b32 vcc_lo, s2
	global_store_b32 v[133:134], v136, off
	;; [unrolled: 47-line block ×3, first 2 shown]
	s_cbranch_vccz .LBB21_80
; %bb.78:
	v_add_co_u32 v131, vcc_lo, v60, v78
	v_min_f32_e32 v133, 0, v130
	v_add_co_ci_u32_e32 v132, vcc_lo, v61, v79, vcc_lo
	s_mov_b32 s6, 0
	global_store_b32 v[131:132], v133, off
	s_cbranch_execz .LBB21_81
; %bb.79:
	v_mov_b32_e32 v62, s6
	s_branch .LBB21_82
.LBB21_80:
	s_mov_b32 s6, -1
.LBB21_81:
	v_add_co_u32 v131, vcc_lo, v62, v78
	v_add_co_ci_u32_e32 v132, vcc_lo, v63, v79, vcc_lo
	flat_load_b32 v131, v[131:132]
	s_waitcnt vmcnt(0) lgkmcnt(0)
	v_mul_f32_e32 v133, s15, v131
	v_add_co_u32 v131, vcc_lo, v60, v78
	v_add_co_ci_u32_e32 v132, vcc_lo, v61, v79, vcc_lo
	v_add_co_u32 v62, vcc_lo, v62, v76
	s_delay_alu instid0(VALU_DEP_4)
	v_min_f32_e32 v130, v133, v130
	v_add_co_ci_u32_e32 v63, vcc_lo, v63, v77, vcc_lo
	global_store_b32 v[131:132], v130, off
	flat_load_b32 v62, v[62:63]
	s_waitcnt vmcnt(0) lgkmcnt(0)
	v_mul_f32_e32 v62, s15, v62
.LBB21_82:
	v_dual_add_f32 v63, v33, v53 :: v_dual_add_f32 v130, v32, v52
	v_dual_add_f32 v57, v1, v57 :: v_dual_add_f32 v56, v0, v56
	;; [unrolled: 1-line block ×3, first 2 shown]
	s_delay_alu instid0(VALU_DEP_3) | instskip(SKIP_1) | instid1(VALU_DEP_4)
	v_min3_f32 v63, v130, v63, v129
	v_add_nc_u32_e32 v129, 64, v111
	v_min3_f32 v128, v56, v57, v128
	v_dual_add_f32 v130, v35, v55 :: v_dual_add_f32 v131, v34, v54
	v_min_f32_e32 v132, v58, v59
	s_delay_alu instid0(VALU_DEP_4) | instskip(SKIP_1) | instid1(VALU_DEP_3)
	v_mad_i64_i32 v[56:57], null, v129, s8, 0
	v_mad_i64_i32 v[58:59], null, v129, s3, 0
	v_min3_f32 v128, v62, v132, v128
	v_add_co_u32 v62, vcc_lo, v60, v76
	v_min3_f32 v129, v131, v130, v63
	v_lshlrev_b64 v[56:57], 2, v[56:57]
	v_add_co_ci_u32_e32 v63, vcc_lo, v61, v77, vcc_lo
	v_lshlrev_b64 v[58:59], 2, v[58:59]
	s_delay_alu instid0(VALU_DEP_4) | instskip(NEXT) | instid1(VALU_DEP_4)
	v_max_f32_e32 v60, v129, v129
	v_add_co_u32 v56, vcc_lo, s0, v56
	v_add_co_ci_u32_e32 v57, vcc_lo, s1, v57, vcc_lo
	s_delay_alu instid0(VALU_DEP_4)
	v_add_co_u32 v58, vcc_lo, s4, v58
	v_add_co_ci_u32_e32 v59, vcc_lo, s5, v59, vcc_lo
	s_mov_b32 vcc_lo, s2
	global_store_b32 v[62:63], v128, off
	s_cbranch_vccz .LBB21_85
; %bb.83:
	v_add_co_u32 v61, vcc_lo, v56, v66
	v_min_f32_e32 v63, 0, v60
	v_add_co_ci_u32_e32 v62, vcc_lo, v57, v67, vcc_lo
	s_mov_b32 s6, 0
	global_store_b32 v[61:62], v63, off
	s_cbranch_execz .LBB21_86
; %bb.84:
	v_mov_b32_e32 v60, s6
	s_branch .LBB21_87
.LBB21_85:
	s_mov_b32 s6, -1
.LBB21_86:
	v_add_co_u32 v61, vcc_lo, v58, v66
	v_add_co_ci_u32_e32 v62, vcc_lo, v59, v67, vcc_lo
	flat_load_b32 v61, v[61:62]
	s_waitcnt vmcnt(0) lgkmcnt(0)
	v_mul_f32_e32 v63, s15, v61
	v_add_co_u32 v61, vcc_lo, v56, v66
	v_add_co_ci_u32_e32 v62, vcc_lo, v57, v67, vcc_lo
	v_add_co_u32 v128, vcc_lo, v58, v64
	s_delay_alu instid0(VALU_DEP_4)
	v_min_f32_e32 v60, v63, v60
	v_add_co_ci_u32_e32 v129, vcc_lo, v59, v65, vcc_lo
	global_store_b32 v[61:62], v60, off
	flat_load_b32 v60, v[128:129]
	s_waitcnt vmcnt(0) lgkmcnt(0)
	v_mul_f32_e32 v60, s15, v60
.LBB21_87:
	v_dual_add_f32 v61, v29, v53 :: v_dual_add_f32 v62, v28, v52
	v_dual_add_f32 v63, v25, v53 :: v_dual_add_f32 v128, v24, v52
	;; [unrolled: 1-line block ×3, first 2 shown]
	s_delay_alu instid0(VALU_DEP_3) | instskip(NEXT) | instid1(VALU_DEP_3)
	v_min3_f32 v61, v62, v61, v127
	v_min3_f32 v62, v128, v63, v126
	v_dual_add_f32 v63, v27, v55 :: v_dual_add_f32 v126, v26, v54
	s_delay_alu instid0(VALU_DEP_1) | instskip(SKIP_1) | instid1(VALU_DEP_1)
	v_min3_f32 v63, v126, v63, v62
	v_min_f32_e32 v127, v130, v129
	v_min3_f32 v126, v60, v127, v61
	s_delay_alu instid0(VALU_DEP_3)
	v_max_f32_e32 v60, v63, v63
	v_add_co_u32 v61, vcc_lo, v56, v64
	v_add_co_ci_u32_e32 v62, vcc_lo, v57, v65, vcc_lo
	s_mov_b32 vcc_lo, s2
	global_store_b32 v[61:62], v126, off
	s_cbranch_vccz .LBB21_90
; %bb.88:
	v_add_co_u32 v61, vcc_lo, v56, v70
	v_min_f32_e32 v63, 0, v60
	v_add_co_ci_u32_e32 v62, vcc_lo, v57, v71, vcc_lo
	s_mov_b32 s6, 0
	global_store_b32 v[61:62], v63, off
	s_cbranch_execz .LBB21_91
; %bb.89:
	v_mov_b32_e32 v60, s6
	s_branch .LBB21_92
.LBB21_90:
	s_mov_b32 s6, -1
.LBB21_91:
	v_add_co_u32 v61, vcc_lo, v58, v70
	v_add_co_ci_u32_e32 v62, vcc_lo, v59, v71, vcc_lo
	flat_load_b32 v61, v[61:62]
	s_waitcnt vmcnt(0) lgkmcnt(0)
	v_mul_f32_e32 v63, s15, v61
	v_add_co_u32 v61, vcc_lo, v56, v70
	v_add_co_ci_u32_e32 v62, vcc_lo, v57, v71, vcc_lo
	v_add_co_u32 v126, vcc_lo, v58, v68
	s_delay_alu instid0(VALU_DEP_4)
	v_min_f32_e32 v60, v63, v60
	v_add_co_ci_u32_e32 v127, vcc_lo, v59, v69, vcc_lo
	global_store_b32 v[61:62], v60, off
	flat_load_b32 v60, v[126:127]
	s_waitcnt vmcnt(0) lgkmcnt(0)
	v_mul_f32_e32 v60, s15, v60
.LBB21_92:
	v_dual_add_f32 v61, v21, v53 :: v_dual_add_f32 v62, v20, v52
	v_dual_add_f32 v63, v17, v53 :: v_dual_add_f32 v126, v16, v52
	v_dual_add_f32 v127, v23, v55 :: v_dual_add_f32 v128, v22, v54
	s_delay_alu instid0(VALU_DEP_3) | instskip(SKIP_1) | instid1(VALU_DEP_4)
	v_min3_f32 v61, v62, v61, v124
	v_add_f32_e32 v124, v18, v54
	v_min3_f32 v62, v126, v63, v125
	v_add_f32_e32 v63, v19, v55
	v_min_f32_e32 v125, v128, v127
	s_delay_alu instid0(VALU_DEP_2) | instskip(NEXT) | instid1(VALU_DEP_2)
	v_min3_f32 v63, v124, v63, v62
	v_min3_f32 v124, v60, v125, v61
	v_add_co_u32 v61, vcc_lo, v56, v68
	v_add_co_ci_u32_e32 v62, vcc_lo, v57, v69, vcc_lo
	s_delay_alu instid0(VALU_DEP_4)
	v_max_f32_e32 v60, v63, v63
	s_mov_b32 vcc_lo, s2
	global_store_b32 v[61:62], v124, off
	s_cbranch_vccz .LBB21_95
; %bb.93:
	v_add_co_u32 v61, vcc_lo, v56, v74
	v_min_f32_e32 v63, 0, v60
	v_add_co_ci_u32_e32 v62, vcc_lo, v57, v75, vcc_lo
	s_mov_b32 s6, 0
	global_store_b32 v[61:62], v63, off
	s_cbranch_execz .LBB21_96
; %bb.94:
	v_mov_b32_e32 v60, s6
	s_branch .LBB21_97
.LBB21_95:
	s_mov_b32 s6, -1
.LBB21_96:
	v_add_co_u32 v61, vcc_lo, v58, v74
	v_add_co_ci_u32_e32 v62, vcc_lo, v59, v75, vcc_lo
	flat_load_b32 v61, v[61:62]
	s_waitcnt vmcnt(0) lgkmcnt(0)
	v_mul_f32_e32 v63, s15, v61
	v_add_co_u32 v61, vcc_lo, v56, v74
	v_add_co_ci_u32_e32 v62, vcc_lo, v57, v75, vcc_lo
	v_add_co_u32 v124, vcc_lo, v58, v72
	s_delay_alu instid0(VALU_DEP_4)
	v_min_f32_e32 v60, v63, v60
	v_add_co_ci_u32_e32 v125, vcc_lo, v59, v73, vcc_lo
	global_store_b32 v[61:62], v60, off
	flat_load_b32 v60, v[124:125]
	s_waitcnt vmcnt(0) lgkmcnt(0)
	v_mul_f32_e32 v60, s15, v60
.LBB21_97:
	v_dual_add_f32 v61, v13, v53 :: v_dual_add_f32 v62, v12, v52
	v_dual_add_f32 v63, v9, v53 :: v_dual_add_f32 v124, v8, v52
	;; [unrolled: 1-line block ×3, first 2 shown]
	s_delay_alu instid0(VALU_DEP_3) | instskip(SKIP_1) | instid1(VALU_DEP_4)
	v_min3_f32 v61, v62, v61, v122
	v_add_f32_e32 v122, v10, v54
	v_min3_f32 v62, v124, v63, v123
	v_add_f32_e32 v63, v11, v55
	s_delay_alu instid0(VALU_DEP_1) | instskip(SKIP_1) | instid1(VALU_DEP_1)
	v_min3_f32 v63, v122, v63, v62
	v_min_f32_e32 v123, v126, v125
	v_min3_f32 v122, v60, v123, v61
	s_delay_alu instid0(VALU_DEP_3)
	v_max_f32_e32 v60, v63, v63
	v_add_co_u32 v61, vcc_lo, v56, v72
	v_add_co_ci_u32_e32 v62, vcc_lo, v57, v73, vcc_lo
	s_mov_b32 vcc_lo, s2
	global_store_b32 v[61:62], v122, off
	s_cbranch_vccz .LBB21_100
; %bb.98:
	v_add_co_u32 v61, vcc_lo, v56, v78
	v_min_f32_e32 v63, 0, v60
	v_add_co_ci_u32_e32 v62, vcc_lo, v57, v79, vcc_lo
	s_mov_b32 s6, 0
	global_store_b32 v[61:62], v63, off
	s_cbranch_execz .LBB21_101
; %bb.99:
	v_mov_b32_e32 v58, s6
	s_branch .LBB21_102
.LBB21_100:
	s_mov_b32 s6, -1
.LBB21_101:
	v_add_co_u32 v61, vcc_lo, v58, v78
	v_add_co_ci_u32_e32 v62, vcc_lo, v59, v79, vcc_lo
	flat_load_b32 v61, v[61:62]
	s_waitcnt vmcnt(0) lgkmcnt(0)
	v_mul_f32_e32 v63, s15, v61
	v_add_co_u32 v61, vcc_lo, v56, v78
	v_add_co_ci_u32_e32 v62, vcc_lo, v57, v79, vcc_lo
	v_add_co_u32 v58, vcc_lo, v58, v76
	s_delay_alu instid0(VALU_DEP_4)
	v_min_f32_e32 v60, v63, v60
	v_add_co_ci_u32_e32 v59, vcc_lo, v59, v77, vcc_lo
	global_store_b32 v[61:62], v60, off
	flat_load_b32 v58, v[58:59]
	s_waitcnt vmcnt(0) lgkmcnt(0)
	v_mul_f32_e32 v58, s15, v58
.LBB21_102:
	v_dual_add_f32 v59, v33, v49 :: v_dual_add_f32 v60, v32, v48
	v_dual_add_f32 v53, v1, v53 :: v_dual_add_f32 v52, v0, v52
	;; [unrolled: 1-line block ×3, first 2 shown]
	s_delay_alu instid0(VALU_DEP_3) | instskip(SKIP_1) | instid1(VALU_DEP_4)
	v_min3_f32 v59, v60, v59, v121
	v_dual_add_f32 v63, v34, v50 :: v_dual_add_nc_u32 v60, 0x60, v111
	v_min3_f32 v61, v52, v53, v120
	s_delay_alu instid0(VALU_DEP_4) | instskip(SKIP_1) | instid1(VALU_DEP_4)
	v_min_f32_e32 v120, v54, v55
	v_add_f32_e32 v62, v35, v51
	v_mad_i64_i32 v[52:53], null, v60, s8, 0
	v_mad_i64_i32 v[54:55], null, v60, s3, 0
	s_delay_alu instid0(VALU_DEP_4)
	v_min3_f32 v61, v58, v120, v61
	v_add_co_u32 v58, vcc_lo, v56, v76
	v_min3_f32 v60, v63, v62, v59
	v_lshlrev_b64 v[52:53], 2, v[52:53]
	v_add_co_ci_u32_e32 v59, vcc_lo, v57, v77, vcc_lo
	v_lshlrev_b64 v[54:55], 2, v[54:55]
	s_delay_alu instid0(VALU_DEP_4) | instskip(NEXT) | instid1(VALU_DEP_4)
	v_max_f32_e32 v56, v60, v60
	v_add_co_u32 v52, vcc_lo, s0, v52
	v_add_co_ci_u32_e32 v53, vcc_lo, s1, v53, vcc_lo
	s_delay_alu instid0(VALU_DEP_4)
	v_add_co_u32 v54, vcc_lo, s4, v54
	v_add_co_ci_u32_e32 v55, vcc_lo, s5, v55, vcc_lo
	s_mov_b32 vcc_lo, s2
	global_store_b32 v[58:59], v61, off
	s_cbranch_vccz .LBB21_105
; %bb.103:
	v_add_co_u32 v57, vcc_lo, v52, v66
	v_min_f32_e32 v59, 0, v56
	v_add_co_ci_u32_e32 v58, vcc_lo, v53, v67, vcc_lo
	s_mov_b32 s6, 0
	global_store_b32 v[57:58], v59, off
	s_cbranch_execz .LBB21_106
; %bb.104:
	v_mov_b32_e32 v56, s6
	s_branch .LBB21_107
.LBB21_105:
	s_mov_b32 s6, -1
.LBB21_106:
	v_add_co_u32 v57, vcc_lo, v54, v66
	v_add_co_ci_u32_e32 v58, vcc_lo, v55, v67, vcc_lo
	flat_load_b32 v57, v[57:58]
	s_waitcnt vmcnt(0) lgkmcnt(0)
	v_mul_f32_e32 v59, s15, v57
	v_add_co_u32 v57, vcc_lo, v52, v66
	v_add_co_ci_u32_e32 v58, vcc_lo, v53, v67, vcc_lo
	s_delay_alu instid0(VALU_DEP_3)
	v_min_f32_e32 v56, v59, v56
	v_add_co_u32 v59, vcc_lo, v54, v64
	v_add_co_ci_u32_e32 v60, vcc_lo, v55, v65, vcc_lo
	global_store_b32 v[57:58], v56, off
	flat_load_b32 v56, v[59:60]
	s_waitcnt vmcnt(0) lgkmcnt(0)
	v_mul_f32_e32 v56, s15, v56
.LBB21_107:
	v_dual_add_f32 v57, v29, v49 :: v_dual_add_f32 v58, v28, v48
	v_dual_add_f32 v59, v25, v49 :: v_dual_add_f32 v60, v24, v48
	v_dual_add_f32 v61, v31, v51 :: v_dual_add_f32 v62, v30, v50
	s_delay_alu instid0(VALU_DEP_3) | instskip(NEXT) | instid1(VALU_DEP_3)
	v_min3_f32 v57, v58, v57, v118
	v_min3_f32 v58, v60, v59, v119
	v_dual_add_f32 v59, v27, v51 :: v_dual_add_f32 v60, v26, v50
	s_delay_alu instid0(VALU_DEP_1) | instskip(SKIP_1) | instid1(VALU_DEP_1)
	v_min3_f32 v59, v60, v59, v58
	v_min_f32_e32 v61, v62, v61
	v_min3_f32 v60, v56, v61, v57
	s_delay_alu instid0(VALU_DEP_3)
	v_max_f32_e32 v56, v59, v59
	v_add_co_u32 v57, vcc_lo, v52, v64
	v_add_co_ci_u32_e32 v58, vcc_lo, v53, v65, vcc_lo
	s_mov_b32 vcc_lo, s2
	global_store_b32 v[57:58], v60, off
	s_cbranch_vccz .LBB21_110
; %bb.108:
	v_add_co_u32 v57, vcc_lo, v52, v70
	v_min_f32_e32 v59, 0, v56
	v_add_co_ci_u32_e32 v58, vcc_lo, v53, v71, vcc_lo
	s_mov_b32 s6, 0
	global_store_b32 v[57:58], v59, off
	s_cbranch_execz .LBB21_111
; %bb.109:
	v_mov_b32_e32 v56, s6
	s_branch .LBB21_112
.LBB21_110:
	s_mov_b32 s6, -1
.LBB21_111:
	v_add_co_u32 v57, vcc_lo, v54, v70
	v_add_co_ci_u32_e32 v58, vcc_lo, v55, v71, vcc_lo
	flat_load_b32 v57, v[57:58]
	s_waitcnt vmcnt(0) lgkmcnt(0)
	v_mul_f32_e32 v59, s15, v57
	v_add_co_u32 v57, vcc_lo, v52, v70
	v_add_co_ci_u32_e32 v58, vcc_lo, v53, v71, vcc_lo
	s_delay_alu instid0(VALU_DEP_3)
	v_min_f32_e32 v56, v59, v56
	v_add_co_u32 v59, vcc_lo, v54, v68
	v_add_co_ci_u32_e32 v60, vcc_lo, v55, v69, vcc_lo
	global_store_b32 v[57:58], v56, off
	flat_load_b32 v56, v[59:60]
	s_waitcnt vmcnt(0) lgkmcnt(0)
	v_mul_f32_e32 v56, s15, v56
.LBB21_112:
	v_dual_add_f32 v57, v21, v49 :: v_dual_add_f32 v58, v20, v48
	v_dual_add_f32 v59, v17, v49 :: v_dual_add_f32 v60, v16, v48
	v_dual_add_f32 v61, v23, v51 :: v_dual_add_f32 v62, v22, v50
	s_delay_alu instid0(VALU_DEP_3) | instskip(NEXT) | instid1(VALU_DEP_3)
	v_min3_f32 v57, v58, v57, v117
	v_min3_f32 v58, v60, v59, v116
	v_dual_add_f32 v59, v19, v51 :: v_dual_add_f32 v60, v18, v50
	s_delay_alu instid0(VALU_DEP_1) | instskip(SKIP_1) | instid1(VALU_DEP_1)
	v_min3_f32 v59, v60, v59, v58
	v_min_f32_e32 v61, v62, v61
	v_min3_f32 v60, v56, v61, v57
	s_delay_alu instid0(VALU_DEP_3)
	v_max_f32_e32 v56, v59, v59
	;; [unrolled: 47-line block ×3, first 2 shown]
	v_add_co_u32 v57, vcc_lo, v52, v72
	v_add_co_ci_u32_e32 v58, vcc_lo, v53, v73, vcc_lo
	s_mov_b32 vcc_lo, s2
	global_store_b32 v[57:58], v60, off
	s_cbranch_vccz .LBB21_120
; %bb.118:
	v_add_co_u32 v57, vcc_lo, v52, v78
	v_min_f32_e32 v59, 0, v56
	v_add_co_ci_u32_e32 v58, vcc_lo, v53, v79, vcc_lo
	s_mov_b32 s6, 0
	global_store_b32 v[57:58], v59, off
	s_cbranch_execz .LBB21_121
; %bb.119:
	v_mov_b32_e32 v54, s6
	s_branch .LBB21_122
.LBB21_120:
	s_mov_b32 s6, -1
.LBB21_121:
	v_add_co_u32 v57, vcc_lo, v54, v78
	v_add_co_ci_u32_e32 v58, vcc_lo, v55, v79, vcc_lo
	flat_load_b32 v57, v[57:58]
	s_waitcnt vmcnt(0) lgkmcnt(0)
	v_mul_f32_e32 v59, s15, v57
	v_add_co_u32 v57, vcc_lo, v52, v78
	v_add_co_ci_u32_e32 v58, vcc_lo, v53, v79, vcc_lo
	v_add_co_u32 v54, vcc_lo, v54, v76
	s_delay_alu instid0(VALU_DEP_4)
	v_min_f32_e32 v56, v59, v56
	v_add_co_ci_u32_e32 v55, vcc_lo, v55, v77, vcc_lo
	global_store_b32 v[57:58], v56, off
	flat_load_b32 v54, v[54:55]
	s_waitcnt vmcnt(0) lgkmcnt(0)
	v_mul_f32_e32 v54, s15, v54
.LBB21_122:
	v_dual_add_f32 v55, v33, v45 :: v_dual_add_f32 v56, v32, v44
	v_dual_add_f32 v49, v1, v49 :: v_dual_add_f32 v48, v0, v48
	;; [unrolled: 1-line block ×3, first 2 shown]
	s_delay_alu instid0(VALU_DEP_3) | instskip(SKIP_1) | instid1(VALU_DEP_4)
	v_min3_f32 v55, v56, v55, v113
	v_dual_add_f32 v59, v34, v46 :: v_dual_add_nc_u32 v56, 0x80, v111
	v_min3_f32 v57, v48, v49, v112
	s_delay_alu instid0(VALU_DEP_4) | instskip(SKIP_1) | instid1(VALU_DEP_4)
	v_min_f32_e32 v60, v50, v51
	v_add_f32_e32 v58, v35, v47
	v_mad_i64_i32 v[48:49], null, v56, s8, 0
	v_mad_i64_i32 v[50:51], null, v56, s3, 0
	s_delay_alu instid0(VALU_DEP_4)
	v_min3_f32 v57, v54, v60, v57
	v_add_co_u32 v54, vcc_lo, v52, v76
	v_min3_f32 v56, v59, v58, v55
	v_lshlrev_b64 v[48:49], 2, v[48:49]
	v_add_co_ci_u32_e32 v55, vcc_lo, v53, v77, vcc_lo
	v_lshlrev_b64 v[50:51], 2, v[50:51]
	s_delay_alu instid0(VALU_DEP_4) | instskip(NEXT) | instid1(VALU_DEP_4)
	v_max_f32_e32 v52, v56, v56
	v_add_co_u32 v48, vcc_lo, s0, v48
	v_add_co_ci_u32_e32 v49, vcc_lo, s1, v49, vcc_lo
	s_delay_alu instid0(VALU_DEP_4)
	v_add_co_u32 v50, vcc_lo, s4, v50
	v_add_co_ci_u32_e32 v51, vcc_lo, s5, v51, vcc_lo
	s_mov_b32 vcc_lo, s2
	global_store_b32 v[54:55], v57, off
	s_cbranch_vccz .LBB21_125
; %bb.123:
	v_add_co_u32 v53, vcc_lo, v48, v66
	v_min_f32_e32 v55, 0, v52
	v_add_co_ci_u32_e32 v54, vcc_lo, v49, v67, vcc_lo
	s_mov_b32 s6, 0
	global_store_b32 v[53:54], v55, off
	s_cbranch_execz .LBB21_126
; %bb.124:
	v_mov_b32_e32 v52, s6
	s_branch .LBB21_127
.LBB21_125:
	s_mov_b32 s6, -1
.LBB21_126:
	v_add_co_u32 v53, vcc_lo, v50, v66
	v_add_co_ci_u32_e32 v54, vcc_lo, v51, v67, vcc_lo
	flat_load_b32 v53, v[53:54]
	s_waitcnt vmcnt(0) lgkmcnt(0)
	v_mul_f32_e32 v55, s15, v53
	v_add_co_u32 v53, vcc_lo, v48, v66
	v_add_co_ci_u32_e32 v54, vcc_lo, v49, v67, vcc_lo
	s_delay_alu instid0(VALU_DEP_3)
	v_min_f32_e32 v52, v55, v52
	v_add_co_u32 v55, vcc_lo, v50, v64
	v_add_co_ci_u32_e32 v56, vcc_lo, v51, v65, vcc_lo
	global_store_b32 v[53:54], v52, off
	flat_load_b32 v52, v[55:56]
	s_waitcnt vmcnt(0) lgkmcnt(0)
	v_mul_f32_e32 v52, s15, v52
.LBB21_127:
	v_dual_add_f32 v53, v29, v45 :: v_dual_add_f32 v54, v28, v44
	v_dual_add_f32 v55, v25, v45 :: v_dual_add_f32 v56, v24, v44
	v_dual_add_f32 v57, v31, v47 :: v_dual_add_f32 v58, v30, v46
	s_delay_alu instid0(VALU_DEP_3) | instskip(NEXT) | instid1(VALU_DEP_3)
	v_min3_f32 v53, v54, v53, v109
	v_min3_f32 v54, v56, v55, v110
	v_dual_add_f32 v55, v27, v47 :: v_dual_add_f32 v56, v26, v46
	s_delay_alu instid0(VALU_DEP_1) | instskip(SKIP_1) | instid1(VALU_DEP_1)
	v_min3_f32 v55, v56, v55, v54
	v_min_f32_e32 v57, v58, v57
	v_min3_f32 v56, v52, v57, v53
	s_delay_alu instid0(VALU_DEP_3)
	v_max_f32_e32 v52, v55, v55
	v_add_co_u32 v53, vcc_lo, v48, v64
	v_add_co_ci_u32_e32 v54, vcc_lo, v49, v65, vcc_lo
	s_mov_b32 vcc_lo, s2
	global_store_b32 v[53:54], v56, off
	s_cbranch_vccz .LBB21_130
; %bb.128:
	v_add_co_u32 v53, vcc_lo, v48, v70
	v_min_f32_e32 v55, 0, v52
	v_add_co_ci_u32_e32 v54, vcc_lo, v49, v71, vcc_lo
	s_mov_b32 s6, 0
	global_store_b32 v[53:54], v55, off
	s_cbranch_execz .LBB21_131
; %bb.129:
	v_mov_b32_e32 v52, s6
	s_branch .LBB21_132
.LBB21_130:
	s_mov_b32 s6, -1
.LBB21_131:
	v_add_co_u32 v53, vcc_lo, v50, v70
	v_add_co_ci_u32_e32 v54, vcc_lo, v51, v71, vcc_lo
	flat_load_b32 v53, v[53:54]
	s_waitcnt vmcnt(0) lgkmcnt(0)
	v_mul_f32_e32 v55, s15, v53
	v_add_co_u32 v53, vcc_lo, v48, v70
	v_add_co_ci_u32_e32 v54, vcc_lo, v49, v71, vcc_lo
	s_delay_alu instid0(VALU_DEP_3)
	v_min_f32_e32 v52, v55, v52
	v_add_co_u32 v55, vcc_lo, v50, v68
	v_add_co_ci_u32_e32 v56, vcc_lo, v51, v69, vcc_lo
	global_store_b32 v[53:54], v52, off
	flat_load_b32 v52, v[55:56]
	s_waitcnt vmcnt(0) lgkmcnt(0)
	v_mul_f32_e32 v52, s15, v52
.LBB21_132:
	v_dual_add_f32 v53, v21, v45 :: v_dual_add_f32 v54, v20, v44
	v_dual_add_f32 v55, v17, v45 :: v_dual_add_f32 v56, v16, v44
	v_dual_add_f32 v57, v23, v47 :: v_dual_add_f32 v58, v22, v46
	s_delay_alu instid0(VALU_DEP_3) | instskip(NEXT) | instid1(VALU_DEP_3)
	v_min3_f32 v53, v54, v53, v107
	v_min3_f32 v54, v56, v55, v108
	v_dual_add_f32 v55, v19, v47 :: v_dual_add_f32 v56, v18, v46
	s_delay_alu instid0(VALU_DEP_1) | instskip(SKIP_1) | instid1(VALU_DEP_1)
	v_min3_f32 v55, v56, v55, v54
	v_min_f32_e32 v57, v58, v57
	v_min3_f32 v56, v52, v57, v53
	s_delay_alu instid0(VALU_DEP_3)
	v_max_f32_e32 v52, v55, v55
	;; [unrolled: 47-line block ×3, first 2 shown]
	v_add_co_u32 v53, vcc_lo, v48, v72
	v_add_co_ci_u32_e32 v54, vcc_lo, v49, v73, vcc_lo
	s_mov_b32 vcc_lo, s2
	global_store_b32 v[53:54], v56, off
	s_cbranch_vccz .LBB21_140
; %bb.138:
	v_add_co_u32 v53, vcc_lo, v48, v78
	v_min_f32_e32 v55, 0, v52
	v_add_co_ci_u32_e32 v54, vcc_lo, v49, v79, vcc_lo
	s_mov_b32 s6, 0
	global_store_b32 v[53:54], v55, off
	s_cbranch_execz .LBB21_141
; %bb.139:
	v_mov_b32_e32 v50, s6
	s_branch .LBB21_142
.LBB21_140:
	s_mov_b32 s6, -1
.LBB21_141:
	v_add_co_u32 v53, vcc_lo, v50, v78
	v_add_co_ci_u32_e32 v54, vcc_lo, v51, v79, vcc_lo
	flat_load_b32 v53, v[53:54]
	s_waitcnt vmcnt(0) lgkmcnt(0)
	v_mul_f32_e32 v55, s15, v53
	v_add_co_u32 v53, vcc_lo, v48, v78
	v_add_co_ci_u32_e32 v54, vcc_lo, v49, v79, vcc_lo
	v_add_co_u32 v50, vcc_lo, v50, v76
	s_delay_alu instid0(VALU_DEP_4)
	v_min_f32_e32 v52, v55, v52
	v_add_co_ci_u32_e32 v51, vcc_lo, v51, v77, vcc_lo
	global_store_b32 v[53:54], v52, off
	flat_load_b32 v50, v[50:51]
	s_waitcnt vmcnt(0) lgkmcnt(0)
	v_mul_f32_e32 v50, s15, v50
.LBB21_142:
	v_dual_add_f32 v51, v33, v41 :: v_dual_add_f32 v52, v32, v40
	v_dual_add_f32 v45, v1, v45 :: v_dual_add_f32 v44, v0, v44
	v_dual_add_f32 v47, v3, v47 :: v_dual_add_f32 v46, v2, v46
	s_delay_alu instid0(VALU_DEP_3) | instskip(SKIP_1) | instid1(VALU_DEP_4)
	v_min3_f32 v51, v52, v51, v104
	v_dual_add_f32 v55, v34, v42 :: v_dual_add_nc_u32 v52, 0xa0, v111
	v_min3_f32 v53, v44, v45, v103
	s_delay_alu instid0(VALU_DEP_4) | instskip(SKIP_1) | instid1(VALU_DEP_4)
	v_min_f32_e32 v56, v46, v47
	v_add_f32_e32 v54, v35, v43
	v_mad_i64_i32 v[44:45], null, v52, s8, 0
	v_mad_i64_i32 v[46:47], null, v52, s3, 0
	s_delay_alu instid0(VALU_DEP_4)
	v_min3_f32 v53, v50, v56, v53
	v_add_co_u32 v50, vcc_lo, v48, v76
	v_min3_f32 v52, v55, v54, v51
	v_lshlrev_b64 v[44:45], 2, v[44:45]
	v_add_co_ci_u32_e32 v51, vcc_lo, v49, v77, vcc_lo
	v_lshlrev_b64 v[46:47], 2, v[46:47]
	s_delay_alu instid0(VALU_DEP_4) | instskip(NEXT) | instid1(VALU_DEP_4)
	v_max_f32_e32 v48, v52, v52
	v_add_co_u32 v44, vcc_lo, s0, v44
	v_add_co_ci_u32_e32 v45, vcc_lo, s1, v45, vcc_lo
	s_delay_alu instid0(VALU_DEP_4)
	v_add_co_u32 v46, vcc_lo, s4, v46
	v_add_co_ci_u32_e32 v47, vcc_lo, s5, v47, vcc_lo
	s_mov_b32 vcc_lo, s2
	global_store_b32 v[50:51], v53, off
	s_cbranch_vccz .LBB21_145
; %bb.143:
	v_add_co_u32 v49, vcc_lo, v44, v66
	v_min_f32_e32 v51, 0, v48
	v_add_co_ci_u32_e32 v50, vcc_lo, v45, v67, vcc_lo
	s_mov_b32 s6, 0
	global_store_b32 v[49:50], v51, off
	s_cbranch_execz .LBB21_146
; %bb.144:
	v_mov_b32_e32 v48, s6
	s_branch .LBB21_147
.LBB21_145:
	s_mov_b32 s6, -1
.LBB21_146:
	v_add_co_u32 v49, vcc_lo, v46, v66
	v_add_co_ci_u32_e32 v50, vcc_lo, v47, v67, vcc_lo
	flat_load_b32 v49, v[49:50]
	s_waitcnt vmcnt(0) lgkmcnt(0)
	v_mul_f32_e32 v51, s15, v49
	v_add_co_u32 v49, vcc_lo, v44, v66
	v_add_co_ci_u32_e32 v50, vcc_lo, v45, v67, vcc_lo
	s_delay_alu instid0(VALU_DEP_3)
	v_min_f32_e32 v48, v51, v48
	v_add_co_u32 v51, vcc_lo, v46, v64
	v_add_co_ci_u32_e32 v52, vcc_lo, v47, v65, vcc_lo
	global_store_b32 v[49:50], v48, off
	flat_load_b32 v48, v[51:52]
	s_waitcnt vmcnt(0) lgkmcnt(0)
	v_mul_f32_e32 v48, s15, v48
.LBB21_147:
	v_dual_add_f32 v49, v29, v41 :: v_dual_add_f32 v50, v28, v40
	v_dual_add_f32 v51, v25, v41 :: v_dual_add_f32 v52, v24, v40
	v_dual_add_f32 v53, v31, v43 :: v_dual_add_f32 v54, v30, v42
	s_delay_alu instid0(VALU_DEP_3) | instskip(NEXT) | instid1(VALU_DEP_3)
	v_min3_f32 v49, v50, v49, v101
	v_min3_f32 v50, v52, v51, v102
	v_dual_add_f32 v51, v27, v43 :: v_dual_add_f32 v52, v26, v42
	s_delay_alu instid0(VALU_DEP_1) | instskip(SKIP_1) | instid1(VALU_DEP_1)
	v_min3_f32 v51, v52, v51, v50
	v_min_f32_e32 v53, v54, v53
	v_min3_f32 v52, v48, v53, v49
	s_delay_alu instid0(VALU_DEP_3)
	v_max_f32_e32 v48, v51, v51
	v_add_co_u32 v49, vcc_lo, v44, v64
	v_add_co_ci_u32_e32 v50, vcc_lo, v45, v65, vcc_lo
	s_mov_b32 vcc_lo, s2
	global_store_b32 v[49:50], v52, off
	s_cbranch_vccz .LBB21_150
; %bb.148:
	v_add_co_u32 v49, vcc_lo, v44, v70
	v_min_f32_e32 v51, 0, v48
	v_add_co_ci_u32_e32 v50, vcc_lo, v45, v71, vcc_lo
	s_mov_b32 s6, 0
	global_store_b32 v[49:50], v51, off
	s_cbranch_execz .LBB21_151
; %bb.149:
	v_mov_b32_e32 v48, s6
	s_branch .LBB21_152
.LBB21_150:
	s_mov_b32 s6, -1
.LBB21_151:
	v_add_co_u32 v49, vcc_lo, v46, v70
	v_add_co_ci_u32_e32 v50, vcc_lo, v47, v71, vcc_lo
	flat_load_b32 v49, v[49:50]
	s_waitcnt vmcnt(0) lgkmcnt(0)
	v_mul_f32_e32 v51, s15, v49
	v_add_co_u32 v49, vcc_lo, v44, v70
	v_add_co_ci_u32_e32 v50, vcc_lo, v45, v71, vcc_lo
	s_delay_alu instid0(VALU_DEP_3)
	v_min_f32_e32 v48, v51, v48
	v_add_co_u32 v51, vcc_lo, v46, v68
	v_add_co_ci_u32_e32 v52, vcc_lo, v47, v69, vcc_lo
	global_store_b32 v[49:50], v48, off
	flat_load_b32 v48, v[51:52]
	s_waitcnt vmcnt(0) lgkmcnt(0)
	v_mul_f32_e32 v48, s15, v48
.LBB21_152:
	v_dual_add_f32 v49, v21, v41 :: v_dual_add_f32 v50, v20, v40
	v_dual_add_f32 v51, v17, v41 :: v_dual_add_f32 v52, v16, v40
	v_dual_add_f32 v53, v23, v43 :: v_dual_add_f32 v54, v22, v42
	s_delay_alu instid0(VALU_DEP_3) | instskip(NEXT) | instid1(VALU_DEP_3)
	v_min3_f32 v49, v50, v49, v99
	v_min3_f32 v50, v52, v51, v100
	v_dual_add_f32 v51, v19, v43 :: v_dual_add_f32 v52, v18, v42
	s_delay_alu instid0(VALU_DEP_1) | instskip(SKIP_1) | instid1(VALU_DEP_1)
	v_min3_f32 v51, v52, v51, v50
	v_min_f32_e32 v53, v54, v53
	v_min3_f32 v52, v48, v53, v49
	s_delay_alu instid0(VALU_DEP_3)
	v_max_f32_e32 v48, v51, v51
	;; [unrolled: 47-line block ×3, first 2 shown]
	v_add_co_u32 v49, vcc_lo, v44, v72
	v_add_co_ci_u32_e32 v50, vcc_lo, v45, v73, vcc_lo
	s_mov_b32 vcc_lo, s2
	global_store_b32 v[49:50], v52, off
	s_cbranch_vccz .LBB21_160
; %bb.158:
	v_add_co_u32 v49, vcc_lo, v44, v78
	v_min_f32_e32 v51, 0, v48
	v_add_co_ci_u32_e32 v50, vcc_lo, v45, v79, vcc_lo
	s_mov_b32 s6, 0
	global_store_b32 v[49:50], v51, off
	s_cbranch_execz .LBB21_161
; %bb.159:
	v_mov_b32_e32 v46, s6
	s_branch .LBB21_162
.LBB21_160:
	s_mov_b32 s6, -1
.LBB21_161:
	v_add_co_u32 v49, vcc_lo, v46, v78
	v_add_co_ci_u32_e32 v50, vcc_lo, v47, v79, vcc_lo
	flat_load_b32 v49, v[49:50]
	s_waitcnt vmcnt(0) lgkmcnt(0)
	v_mul_f32_e32 v51, s15, v49
	v_add_co_u32 v49, vcc_lo, v44, v78
	v_add_co_ci_u32_e32 v50, vcc_lo, v45, v79, vcc_lo
	v_add_co_u32 v46, vcc_lo, v46, v76
	s_delay_alu instid0(VALU_DEP_4)
	v_min_f32_e32 v48, v51, v48
	v_add_co_ci_u32_e32 v47, vcc_lo, v47, v77, vcc_lo
	global_store_b32 v[49:50], v48, off
	flat_load_b32 v46, v[46:47]
	s_waitcnt vmcnt(0) lgkmcnt(0)
	v_mul_f32_e32 v46, s15, v46
.LBB21_162:
	v_dual_add_f32 v47, v33, v37 :: v_dual_add_f32 v48, v32, v36
	v_dual_add_f32 v41, v1, v41 :: v_dual_add_f32 v40, v0, v40
	;; [unrolled: 1-line block ×3, first 2 shown]
	s_delay_alu instid0(VALU_DEP_3) | instskip(SKIP_1) | instid1(VALU_DEP_4)
	v_min3_f32 v47, v48, v47, v95
	v_dual_add_f32 v51, v34, v38 :: v_dual_add_nc_u32 v48, 0xc0, v111
	v_min3_f32 v49, v40, v41, v96
	s_delay_alu instid0(VALU_DEP_4) | instskip(SKIP_1) | instid1(VALU_DEP_4)
	v_min_f32_e32 v52, v42, v43
	v_add_f32_e32 v50, v35, v39
	v_mad_i64_i32 v[40:41], null, v48, s8, 0
	v_mad_i64_i32 v[42:43], null, v48, s3, 0
	s_delay_alu instid0(VALU_DEP_4)
	v_min3_f32 v49, v46, v52, v49
	v_add_co_u32 v46, vcc_lo, v44, v76
	v_min3_f32 v48, v51, v50, v47
	v_lshlrev_b64 v[40:41], 2, v[40:41]
	v_add_co_ci_u32_e32 v47, vcc_lo, v45, v77, vcc_lo
	v_lshlrev_b64 v[42:43], 2, v[42:43]
	s_delay_alu instid0(VALU_DEP_4) | instskip(NEXT) | instid1(VALU_DEP_4)
	v_max_f32_e32 v44, v48, v48
	v_add_co_u32 v40, vcc_lo, s0, v40
	v_add_co_ci_u32_e32 v41, vcc_lo, s1, v41, vcc_lo
	s_delay_alu instid0(VALU_DEP_4)
	v_add_co_u32 v42, vcc_lo, s4, v42
	v_add_co_ci_u32_e32 v43, vcc_lo, s5, v43, vcc_lo
	s_mov_b32 vcc_lo, s2
	global_store_b32 v[46:47], v49, off
	s_cbranch_vccz .LBB21_165
; %bb.163:
	v_add_co_u32 v45, vcc_lo, v40, v66
	v_min_f32_e32 v47, 0, v44
	v_add_co_ci_u32_e32 v46, vcc_lo, v41, v67, vcc_lo
	s_mov_b32 s6, 0
	global_store_b32 v[45:46], v47, off
	s_cbranch_execz .LBB21_166
; %bb.164:
	v_mov_b32_e32 v44, s6
	s_branch .LBB21_167
.LBB21_165:
	s_mov_b32 s6, -1
.LBB21_166:
	v_add_co_u32 v45, vcc_lo, v42, v66
	v_add_co_ci_u32_e32 v46, vcc_lo, v43, v67, vcc_lo
	flat_load_b32 v45, v[45:46]
	s_waitcnt vmcnt(0) lgkmcnt(0)
	v_mul_f32_e32 v47, s15, v45
	v_add_co_u32 v45, vcc_lo, v40, v66
	v_add_co_ci_u32_e32 v46, vcc_lo, v41, v67, vcc_lo
	s_delay_alu instid0(VALU_DEP_3)
	v_min_f32_e32 v44, v47, v44
	v_add_co_u32 v47, vcc_lo, v42, v64
	v_add_co_ci_u32_e32 v48, vcc_lo, v43, v65, vcc_lo
	global_store_b32 v[45:46], v44, off
	flat_load_b32 v44, v[47:48]
	s_waitcnt vmcnt(0) lgkmcnt(0)
	v_mul_f32_e32 v44, s15, v44
.LBB21_167:
	v_dual_add_f32 v45, v29, v37 :: v_dual_add_f32 v46, v28, v36
	v_dual_add_f32 v47, v25, v37 :: v_dual_add_f32 v48, v24, v36
	v_dual_add_f32 v49, v31, v39 :: v_dual_add_f32 v50, v30, v38
	s_delay_alu instid0(VALU_DEP_3) | instskip(NEXT) | instid1(VALU_DEP_3)
	v_min3_f32 v45, v46, v45, v93
	v_min3_f32 v46, v48, v47, v94
	v_dual_add_f32 v47, v27, v39 :: v_dual_add_f32 v48, v26, v38
	s_delay_alu instid0(VALU_DEP_1) | instskip(SKIP_1) | instid1(VALU_DEP_1)
	v_min3_f32 v47, v48, v47, v46
	v_min_f32_e32 v49, v50, v49
	v_min3_f32 v48, v44, v49, v45
	s_delay_alu instid0(VALU_DEP_3)
	v_max_f32_e32 v44, v47, v47
	v_add_co_u32 v45, vcc_lo, v40, v64
	v_add_co_ci_u32_e32 v46, vcc_lo, v41, v65, vcc_lo
	s_mov_b32 vcc_lo, s2
	global_store_b32 v[45:46], v48, off
	s_cbranch_vccz .LBB21_170
; %bb.168:
	v_add_co_u32 v45, vcc_lo, v40, v70
	v_min_f32_e32 v47, 0, v44
	v_add_co_ci_u32_e32 v46, vcc_lo, v41, v71, vcc_lo
	s_mov_b32 s6, 0
	global_store_b32 v[45:46], v47, off
	s_cbranch_execz .LBB21_171
; %bb.169:
	v_mov_b32_e32 v44, s6
	s_branch .LBB21_172
.LBB21_170:
	s_mov_b32 s6, -1
.LBB21_171:
	v_add_co_u32 v45, vcc_lo, v42, v70
	v_add_co_ci_u32_e32 v46, vcc_lo, v43, v71, vcc_lo
	flat_load_b32 v45, v[45:46]
	s_waitcnt vmcnt(0) lgkmcnt(0)
	v_mul_f32_e32 v47, s15, v45
	v_add_co_u32 v45, vcc_lo, v40, v70
	v_add_co_ci_u32_e32 v46, vcc_lo, v41, v71, vcc_lo
	s_delay_alu instid0(VALU_DEP_3)
	v_min_f32_e32 v44, v47, v44
	v_add_co_u32 v47, vcc_lo, v42, v68
	v_add_co_ci_u32_e32 v48, vcc_lo, v43, v69, vcc_lo
	global_store_b32 v[45:46], v44, off
	flat_load_b32 v44, v[47:48]
	s_waitcnt vmcnt(0) lgkmcnt(0)
	v_mul_f32_e32 v44, s15, v44
.LBB21_172:
	v_dual_add_f32 v45, v21, v37 :: v_dual_add_f32 v46, v20, v36
	v_dual_add_f32 v47, v17, v37 :: v_dual_add_f32 v48, v16, v36
	v_dual_add_f32 v49, v23, v39 :: v_dual_add_f32 v50, v22, v38
	s_delay_alu instid0(VALU_DEP_3) | instskip(NEXT) | instid1(VALU_DEP_3)
	v_min3_f32 v45, v46, v45, v91
	v_min3_f32 v46, v48, v47, v92
	v_dual_add_f32 v47, v19, v39 :: v_dual_add_f32 v48, v18, v38
	s_delay_alu instid0(VALU_DEP_1) | instskip(SKIP_1) | instid1(VALU_DEP_1)
	v_min3_f32 v47, v48, v47, v46
	v_min_f32_e32 v49, v50, v49
	v_min3_f32 v48, v44, v49, v45
	s_delay_alu instid0(VALU_DEP_3)
	v_max_f32_e32 v44, v47, v47
	;; [unrolled: 47-line block ×3, first 2 shown]
	v_add_co_u32 v45, vcc_lo, v40, v72
	v_add_co_ci_u32_e32 v46, vcc_lo, v41, v73, vcc_lo
	s_mov_b32 vcc_lo, s2
	global_store_b32 v[45:46], v48, off
	s_cbranch_vccz .LBB21_180
; %bb.178:
	v_add_co_u32 v45, vcc_lo, v40, v78
	v_min_f32_e32 v47, 0, v44
	v_add_co_ci_u32_e32 v46, vcc_lo, v41, v79, vcc_lo
	s_mov_b32 s6, 0
	global_store_b32 v[45:46], v47, off
	s_cbranch_execz .LBB21_181
; %bb.179:
	v_mov_b32_e32 v42, s6
	s_branch .LBB21_182
.LBB21_180:
	s_mov_b32 s6, -1
.LBB21_181:
	v_add_co_u32 v45, vcc_lo, v42, v78
	v_add_co_ci_u32_e32 v46, vcc_lo, v43, v79, vcc_lo
	flat_load_b32 v45, v[45:46]
	s_waitcnt vmcnt(0) lgkmcnt(0)
	v_mul_f32_e32 v47, s15, v45
	v_add_co_u32 v45, vcc_lo, v40, v78
	v_add_co_ci_u32_e32 v46, vcc_lo, v41, v79, vcc_lo
	v_add_co_u32 v42, vcc_lo, v42, v76
	s_delay_alu instid0(VALU_DEP_4)
	v_min_f32_e32 v44, v47, v44
	v_add_co_ci_u32_e32 v43, vcc_lo, v43, v77, vcc_lo
	global_store_b32 v[45:46], v44, off
	flat_load_b32 v42, v[42:43]
	s_waitcnt vmcnt(0) lgkmcnt(0)
	v_mul_f32_e32 v42, s15, v42
.LBB21_182:
	v_dual_add_f32 v37, v1, v37 :: v_dual_add_f32 v36, v0, v36
	s_waitcnt lgkmcnt(0)
	v_dual_add_f32 v33, v33, v5 :: v_dual_add_f32 v32, v32, v4
	v_dual_add_f32 v38, v2, v38 :: v_dual_add_nc_u32 v43, 0xe0, v111
	s_delay_alu instid0(VALU_DEP_3) | instskip(SKIP_1) | instid1(VALU_DEP_4)
	v_min3_f32 v36, v36, v37, v87
	v_add_f32_e32 v39, v3, v39
	v_min3_f32 v37, v32, v33, v88
	s_delay_alu instid0(VALU_DEP_4) | instskip(SKIP_3) | instid1(VALU_DEP_4)
	v_mad_i64_i32 v[32:33], null, v43, s8, 0
	v_dual_add_f32 v44, v35, v7 :: v_dual_add_f32 v45, v34, v6
	v_mad_i64_i32 v[34:35], null, v43, s3, 0
	v_min_f32_e32 v38, v38, v39
	v_lshlrev_b64 v[32:33], 2, v[32:33]
	s_delay_alu instid0(VALU_DEP_4)
	v_min3_f32 v39, v45, v44, v37
	v_add_co_u32 v37, vcc_lo, v40, v76
	v_lshlrev_b64 v[34:35], 2, v[34:35]
	v_min3_f32 v42, v42, v38, v36
	v_add_co_ci_u32_e32 v38, vcc_lo, v41, v77, vcc_lo
	v_add_co_u32 v32, vcc_lo, s0, v32
	v_add_co_ci_u32_e32 v33, vcc_lo, s1, v33, vcc_lo
	v_add_co_u32 v34, vcc_lo, s4, v34
	v_add_co_ci_u32_e32 v35, vcc_lo, s5, v35, vcc_lo
	v_max_f32_e32 v36, v39, v39
	s_mov_b32 vcc_lo, s2
	global_store_b32 v[37:38], v42, off
	s_cbranch_vccz .LBB21_185
; %bb.183:
	v_add_co_u32 v37, vcc_lo, v32, v66
	v_min_f32_e32 v39, 0, v36
	v_add_co_ci_u32_e32 v38, vcc_lo, v33, v67, vcc_lo
	s_mov_b32 s0, 0
	global_store_b32 v[37:38], v39, off
	s_cbranch_execz .LBB21_186
; %bb.184:
	v_mov_b32_e32 v36, s0
	s_branch .LBB21_187
.LBB21_185:
	s_mov_b32 s0, -1
.LBB21_186:
	v_add_co_u32 v37, vcc_lo, v34, v66
	v_add_co_ci_u32_e32 v38, vcc_lo, v35, v67, vcc_lo
	flat_load_b32 v37, v[37:38]
	s_waitcnt vmcnt(0) lgkmcnt(0)
	v_mul_f32_e32 v39, s15, v37
	v_add_co_u32 v37, vcc_lo, v32, v66
	v_add_co_ci_u32_e32 v38, vcc_lo, v33, v67, vcc_lo
	s_delay_alu instid0(VALU_DEP_3)
	v_min_f32_e32 v36, v39, v36
	v_add_co_u32 v39, vcc_lo, v34, v64
	v_add_co_ci_u32_e32 v40, vcc_lo, v35, v65, vcc_lo
	global_store_b32 v[37:38], v36, off
	flat_load_b32 v36, v[39:40]
	s_waitcnt vmcnt(0) lgkmcnt(0)
	v_mul_f32_e32 v36, s15, v36
.LBB21_187:
	v_dual_add_f32 v25, v25, v5 :: v_dual_add_f32 v24, v24, v4
	v_dual_add_f32 v29, v29, v5 :: v_dual_add_f32 v28, v28, v4
	v_dual_add_f32 v31, v31, v7 :: v_dual_add_f32 v30, v30, v6
	s_delay_alu instid0(VALU_DEP_3) | instskip(SKIP_1) | instid1(VALU_DEP_4)
	v_min3_f32 v24, v24, v25, v85
	v_dual_add_f32 v25, v27, v7 :: v_dual_add_f32 v26, v26, v6
	v_min3_f32 v28, v28, v29, v86
	s_delay_alu instid0(VALU_DEP_2) | instskip(SKIP_3) | instid1(VALU_DEP_4)
	v_min3_f32 v24, v26, v25, v24
	v_min_f32_e32 v27, v30, v31
	v_add_co_u32 v25, vcc_lo, v32, v64
	v_add_co_ci_u32_e32 v26, vcc_lo, v33, v65, vcc_lo
	v_max_f32_e32 v24, v24, v24
	s_delay_alu instid0(VALU_DEP_4)
	v_min3_f32 v27, v36, v27, v28
	s_mov_b32 vcc_lo, s2
	global_store_b32 v[25:26], v27, off
	s_cbranch_vccz .LBB21_190
; %bb.188:
	v_add_co_u32 v25, vcc_lo, v32, v70
	v_min_f32_e32 v27, 0, v24
	v_add_co_ci_u32_e32 v26, vcc_lo, v33, v71, vcc_lo
	s_mov_b32 s0, 0
	global_store_b32 v[25:26], v27, off
	s_cbranch_execz .LBB21_191
; %bb.189:
	v_mov_b32_e32 v24, s0
	s_branch .LBB21_192
.LBB21_190:
	s_mov_b32 s0, -1
.LBB21_191:
	v_add_co_u32 v25, vcc_lo, v34, v70
	v_add_co_ci_u32_e32 v26, vcc_lo, v35, v71, vcc_lo
	flat_load_b32 v25, v[25:26]
	s_waitcnt vmcnt(0) lgkmcnt(0)
	v_mul_f32_e32 v27, s15, v25
	v_add_co_u32 v25, vcc_lo, v32, v70
	v_add_co_ci_u32_e32 v26, vcc_lo, v33, v71, vcc_lo
	s_delay_alu instid0(VALU_DEP_3)
	v_min_f32_e32 v24, v27, v24
	v_add_co_u32 v27, vcc_lo, v34, v68
	v_add_co_ci_u32_e32 v28, vcc_lo, v35, v69, vcc_lo
	global_store_b32 v[25:26], v24, off
	flat_load_b32 v24, v[27:28]
	s_waitcnt vmcnt(0) lgkmcnt(0)
	v_mul_f32_e32 v24, s15, v24
.LBB21_192:
	v_dual_add_f32 v17, v17, v5 :: v_dual_add_f32 v16, v16, v4
	v_dual_add_f32 v21, v21, v5 :: v_dual_add_f32 v20, v20, v4
	v_dual_add_f32 v23, v23, v7 :: v_dual_add_f32 v22, v22, v6
	s_delay_alu instid0(VALU_DEP_3) | instskip(SKIP_1) | instid1(VALU_DEP_4)
	v_min3_f32 v16, v16, v17, v84
	v_dual_add_f32 v17, v19, v7 :: v_dual_add_f32 v18, v18, v6
	v_min3_f32 v20, v20, v21, v83
	s_delay_alu instid0(VALU_DEP_2) | instskip(SKIP_3) | instid1(VALU_DEP_4)
	v_min3_f32 v16, v18, v17, v16
	v_min_f32_e32 v19, v22, v23
	v_add_co_u32 v17, vcc_lo, v32, v68
	v_add_co_ci_u32_e32 v18, vcc_lo, v33, v69, vcc_lo
	v_max_f32_e32 v16, v16, v16
	s_delay_alu instid0(VALU_DEP_4)
	v_min3_f32 v19, v24, v19, v20
	;; [unrolled: 47-line block ×3, first 2 shown]
	s_mov_b32 vcc_lo, s2
	global_store_b32 v[9:10], v11, off
	s_cbranch_vccz .LBB21_200
; %bb.198:
	v_add_co_u32 v9, vcc_lo, v32, v78
	v_min_f32_e32 v11, 0, v8
	v_add_co_ci_u32_e32 v10, vcc_lo, v33, v79, vcc_lo
	s_mov_b32 s0, 0
	global_store_b32 v[9:10], v11, off
	s_cbranch_execz .LBB21_201
; %bb.199:
	v_mov_b32_e32 v8, s0
	s_branch .LBB21_202
.LBB21_200:
	s_mov_b32 s0, -1
.LBB21_201:
	v_add_co_u32 v9, vcc_lo, v34, v78
	v_add_co_ci_u32_e32 v10, vcc_lo, v35, v79, vcc_lo
	flat_load_b32 v9, v[9:10]
	s_waitcnt vmcnt(0) lgkmcnt(0)
	v_mul_f32_e32 v11, s15, v9
	v_add_co_u32 v9, vcc_lo, v32, v78
	v_add_co_ci_u32_e32 v10, vcc_lo, v33, v79, vcc_lo
	s_delay_alu instid0(VALU_DEP_3)
	v_min_f32_e32 v8, v11, v8
	v_add_co_u32 v11, vcc_lo, v34, v76
	v_add_co_ci_u32_e32 v12, vcc_lo, v35, v77, vcc_lo
	global_store_b32 v[9:10], v8, off
	flat_load_b32 v8, v[11:12]
	s_waitcnt vmcnt(0) lgkmcnt(0)
	v_mul_f32_e32 v8, s15, v8
.LBB21_202:
	v_dual_add_f32 v3, v3, v7 :: v_dual_add_f32 v2, v2, v6
	v_dual_add_f32 v1, v1, v5 :: v_dual_add_f32 v0, v0, v4
	s_delay_alu instid0(VALU_DEP_2) | instskip(NEXT) | instid1(VALU_DEP_2)
	v_min_f32_e32 v2, v2, v3
	v_min3_f32 v0, v0, v1, v80
	s_delay_alu instid0(VALU_DEP_1)
	v_min3_f32 v2, v8, v2, v0
	v_add_co_u32 v0, vcc_lo, v32, v76
	v_add_co_ci_u32_e32 v1, vcc_lo, v33, v77, vcc_lo
	global_store_b32 v[0:1], v2, off
	s_nop 0
	s_sendmsg sendmsg(MSG_DEALLOC_VGPRS)
	s_endpgm
	.section	.rodata,"a",@progbits
	.p2align	6, 0x0
	.amdhsa_kernel _ZN12_GLOBAL__N_120geam_min_plus_kernelIf15HIP_vector_typeIfLj2EEfLi8ELi32ELi64ELi256ELi4ELi4ELi64ELi64ELi4ELc84ELc84ELb0ELb0ELb1EPKfKS4_KPfEEviiiT16_PT17_ilSA_ilS8_SA_ilPT18_ili26rocblas_geam_ex_operation_
		.amdhsa_group_segment_fixed_size 10240
		.amdhsa_private_segment_fixed_size 80
		.amdhsa_kernarg_size 136
		.amdhsa_user_sgpr_count 14
		.amdhsa_user_sgpr_dispatch_ptr 0
		.amdhsa_user_sgpr_queue_ptr 0
		.amdhsa_user_sgpr_kernarg_segment_ptr 1
		.amdhsa_user_sgpr_dispatch_id 0
		.amdhsa_user_sgpr_private_segment_size 0
		.amdhsa_wavefront_size32 1
		.amdhsa_uses_dynamic_stack 0
		.amdhsa_enable_private_segment 1
		.amdhsa_system_sgpr_workgroup_id_x 1
		.amdhsa_system_sgpr_workgroup_id_y 0
		.amdhsa_system_sgpr_workgroup_id_z 1
		.amdhsa_system_sgpr_workgroup_info 0
		.amdhsa_system_vgpr_workitem_id 1
		.amdhsa_next_free_vgpr 256
		.amdhsa_next_free_sgpr 24
		.amdhsa_reserve_vcc 1
		.amdhsa_float_round_mode_32 0
		.amdhsa_float_round_mode_16_64 0
		.amdhsa_float_denorm_mode_32 3
		.amdhsa_float_denorm_mode_16_64 3
		.amdhsa_dx10_clamp 1
		.amdhsa_ieee_mode 1
		.amdhsa_fp16_overflow 0
		.amdhsa_workgroup_processor_mode 1
		.amdhsa_memory_ordered 1
		.amdhsa_forward_progress 0
		.amdhsa_shared_vgpr_count 0
		.amdhsa_exception_fp_ieee_invalid_op 0
		.amdhsa_exception_fp_denorm_src 0
		.amdhsa_exception_fp_ieee_div_zero 0
		.amdhsa_exception_fp_ieee_overflow 0
		.amdhsa_exception_fp_ieee_underflow 0
		.amdhsa_exception_fp_ieee_inexact 0
		.amdhsa_exception_int_div_zero 0
	.end_amdhsa_kernel
	.section	.text._ZN12_GLOBAL__N_120geam_min_plus_kernelIf15HIP_vector_typeIfLj2EEfLi8ELi32ELi64ELi256ELi4ELi4ELi64ELi64ELi4ELc84ELc84ELb0ELb0ELb1EPKfKS4_KPfEEviiiT16_PT17_ilSA_ilS8_SA_ilPT18_ili26rocblas_geam_ex_operation_,"axG",@progbits,_ZN12_GLOBAL__N_120geam_min_plus_kernelIf15HIP_vector_typeIfLj2EEfLi8ELi32ELi64ELi256ELi4ELi4ELi64ELi64ELi4ELc84ELc84ELb0ELb0ELb1EPKfKS4_KPfEEviiiT16_PT17_ilSA_ilS8_SA_ilPT18_ili26rocblas_geam_ex_operation_,comdat
.Lfunc_end21:
	.size	_ZN12_GLOBAL__N_120geam_min_plus_kernelIf15HIP_vector_typeIfLj2EEfLi8ELi32ELi64ELi256ELi4ELi4ELi64ELi64ELi4ELc84ELc84ELb0ELb0ELb1EPKfKS4_KPfEEviiiT16_PT17_ilSA_ilS8_SA_ilPT18_ili26rocblas_geam_ex_operation_, .Lfunc_end21-_ZN12_GLOBAL__N_120geam_min_plus_kernelIf15HIP_vector_typeIfLj2EEfLi8ELi32ELi64ELi256ELi4ELi4ELi64ELi64ELi4ELc84ELc84ELb0ELb0ELb1EPKfKS4_KPfEEviiiT16_PT17_ilSA_ilS8_SA_ilPT18_ili26rocblas_geam_ex_operation_
                                        ; -- End function
	.section	.AMDGPU.csdata,"",@progbits
; Kernel info:
; codeLenInByte = 18076
; NumSgprs: 26
; NumVgprs: 256
; ScratchSize: 80
; MemoryBound: 0
; FloatMode: 240
; IeeeMode: 1
; LDSByteSize: 10240 bytes/workgroup (compile time only)
; SGPRBlocks: 3
; VGPRBlocks: 31
; NumSGPRsForWavesPerEU: 26
; NumVGPRsForWavesPerEU: 256
; Occupancy: 5
; WaveLimiterHint : 1
; COMPUTE_PGM_RSRC2:SCRATCH_EN: 1
; COMPUTE_PGM_RSRC2:USER_SGPR: 14
; COMPUTE_PGM_RSRC2:TRAP_HANDLER: 0
; COMPUTE_PGM_RSRC2:TGID_X_EN: 1
; COMPUTE_PGM_RSRC2:TGID_Y_EN: 0
; COMPUTE_PGM_RSRC2:TGID_Z_EN: 1
; COMPUTE_PGM_RSRC2:TIDIG_COMP_CNT: 1
	.section	.text._ZN12_GLOBAL__N_120geam_min_plus_kernelIf15HIP_vector_typeIfLj2EEfLi8ELi32ELi64ELi256ELi4ELi4ELi64ELi64ELi4ELc84ELc84ELb1ELb0ELb1EfKPKfKPfEEviiiT16_PT17_ilSA_ilS8_SA_ilPT18_ili26rocblas_geam_ex_operation_,"axG",@progbits,_ZN12_GLOBAL__N_120geam_min_plus_kernelIf15HIP_vector_typeIfLj2EEfLi8ELi32ELi64ELi256ELi4ELi4ELi64ELi64ELi4ELc84ELc84ELb1ELb0ELb1EfKPKfKPfEEviiiT16_PT17_ilSA_ilS8_SA_ilPT18_ili26rocblas_geam_ex_operation_,comdat
	.globl	_ZN12_GLOBAL__N_120geam_min_plus_kernelIf15HIP_vector_typeIfLj2EEfLi8ELi32ELi64ELi256ELi4ELi4ELi64ELi64ELi4ELc84ELc84ELb1ELb0ELb1EfKPKfKPfEEviiiT16_PT17_ilSA_ilS8_SA_ilPT18_ili26rocblas_geam_ex_operation_ ; -- Begin function _ZN12_GLOBAL__N_120geam_min_plus_kernelIf15HIP_vector_typeIfLj2EEfLi8ELi32ELi64ELi256ELi4ELi4ELi64ELi64ELi4ELc84ELc84ELb1ELb0ELb1EfKPKfKPfEEviiiT16_PT17_ilSA_ilS8_SA_ilPT18_ili26rocblas_geam_ex_operation_
	.p2align	8
	.type	_ZN12_GLOBAL__N_120geam_min_plus_kernelIf15HIP_vector_typeIfLj2EEfLi8ELi32ELi64ELi256ELi4ELi4ELi64ELi64ELi4ELc84ELc84ELb1ELb0ELb1EfKPKfKPfEEviiiT16_PT17_ilSA_ilS8_SA_ilPT18_ili26rocblas_geam_ex_operation_,@function
_ZN12_GLOBAL__N_120geam_min_plus_kernelIf15HIP_vector_typeIfLj2EEfLi8ELi32ELi64ELi256ELi4ELi4ELi64ELi64ELi4ELc84ELc84ELb1ELb0ELb1EfKPKfKPfEEviiiT16_PT17_ilSA_ilS8_SA_ilPT18_ili26rocblas_geam_ex_operation_: ; @_ZN12_GLOBAL__N_120geam_min_plus_kernelIf15HIP_vector_typeIfLj2EEfLi8ELi32ELi64ELi256ELi4ELi4ELi64ELi64ELi4ELc84ELc84ELb1ELb0ELb1EfKPKfKPfEEviiiT16_PT17_ilSA_ilS8_SA_ilPT18_ili26rocblas_geam_ex_operation_
; %bb.0:
	s_clause 0x1
	s_load_b64 s[8:9], s[0:1], 0x8
	s_load_b128 s[4:7], s[0:1], 0x20
	s_mov_b32 s16, s15
	s_mov_b32 s17, 0
	s_waitcnt lgkmcnt(0)
	v_cmp_eq_f32_e64 s2, s9, 0
	s_delay_alu instid0(VALU_DEP_1)
	s_and_b32 vcc_lo, exec_lo, s2
	s_cbranch_vccnz .LBB22_3
; %bb.1:
	s_load_b64 s[10:11], s[0:1], 0x10
	s_lshl_b64 s[12:13], s[16:17], 3
	s_waitcnt lgkmcnt(0)
	s_add_u32 s10, s10, s12
	s_addc_u32 s11, s11, s13
	s_lshl_b64 s[4:5], s[4:5], 2
	s_load_b64 s[10:11], s[10:11], 0x0
	s_waitcnt lgkmcnt(0)
	s_add_u32 s10, s10, s4
	s_addc_u32 s11, s11, s5
	s_and_not1_b32 vcc_lo, exec_lo, s2
	s_cbranch_vccnz .LBB22_4
.LBB22_2:
	s_mov_b64 s[12:13], 0
	s_and_not1_b32 vcc_lo, exec_lo, s17
	s_cbranch_vccz .LBB22_5
	s_branch .LBB22_6
.LBB22_3:
	s_mov_b64 s[10:11], 0
	s_and_not1_b32 vcc_lo, exec_lo, s2
	s_cbranch_vccz .LBB22_2
.LBB22_4:
	s_mov_b32 s17, -1
                                        ; implicit-def: $sgpr12_sgpr13
.LBB22_5:
	s_mov_b32 s17, 0
	s_load_b64 s[4:5], s[0:1], 0x38
	s_lshl_b64 s[2:3], s[16:17], 3
	s_delay_alu instid0(SALU_CYCLE_1) | instskip(SKIP_4) | instid1(SALU_CYCLE_1)
	s_add_u32 s2, s6, s2
	s_addc_u32 s3, s7, s3
	s_load_b64 s[2:3], s[2:3], 0x0
	s_waitcnt lgkmcnt(0)
	s_lshl_b64 s[4:5], s[4:5], 2
	s_add_u32 s12, s2, s4
	s_addc_u32 s13, s3, s5
.LBB22_6:
	s_clause 0x1
	s_load_b32 s3, s[0:1], 0x40
	s_load_b128 s[4:7], s[0:1], 0x58
	s_waitcnt lgkmcnt(0)
	v_cmp_eq_f32_e64 s2, s3, 0
	s_delay_alu instid0(VALU_DEP_1) | instskip(NEXT) | instid1(SALU_CYCLE_1)
	s_and_b32 s2, exec_lo, s2
	s_mov_b32 vcc_lo, s2
	s_cbranch_vccnz .LBB22_8
; %bb.7:
	s_load_b64 s[18:19], s[0:1], 0x48
	s_lshl_b64 s[20:21], s[16:17], 3
	s_waitcnt lgkmcnt(0)
	s_add_u32 s18, s18, s20
	s_addc_u32 s19, s19, s21
	s_lshl_b64 s[4:5], s[4:5], 2
	s_load_b64 s[18:19], s[18:19], 0x0
	s_waitcnt lgkmcnt(0)
	s_add_u32 s4, s18, s4
	s_addc_u32 s5, s19, s5
	s_branch .LBB22_9
.LBB22_8:
	s_mov_b64 s[4:5], 0
.LBB22_9:
	s_clause 0x1
	s_load_b32 s9, s[0:1], 0x0
	s_load_b32 s18, s[0:1], 0x18
	s_lshl_b64 s[16:17], s[16:17], 3
	v_and_b32_e32 v12, 0x3ff, v0
	s_add_u32 s6, s6, s16
	s_addc_u32 s7, s7, s17
	v_bfe_u32 v13, v0, 10, 10
	s_delay_alu instid0(VALU_DEP_2) | instskip(SKIP_1) | instid1(VALU_DEP_3)
	v_and_b32_e32 v5, 3, v12
	v_lshlrev_b32_e32 v171, 4, v12
	v_lshl_add_u32 v2, v13, 3, v12
	v_lshlrev_b32_e32 v70, 4, v13
	s_delay_alu instid0(VALU_DEP_4) | instskip(NEXT) | instid1(VALU_DEP_3)
	v_lshlrev_b32_e32 v15, 2, v5
	v_lshrrev_b32_e32 v6, 2, v2
	v_lshrrev_b32_e32 v14, 6, v2
	v_and_b32_e32 v7, 63, v2
	s_waitcnt lgkmcnt(0)
	s_add_i32 s9, s9, -1
	s_delay_alu instid0(VALU_DEP_2) | instskip(SKIP_1) | instid1(SALU_CYCLE_1)
	v_add_nc_u32_e32 v11, 4, v14
	s_ashr_i32 s15, s9, 31
	s_lshr_b32 s15, s15, 26
	s_delay_alu instid0(SALU_CYCLE_1) | instskip(NEXT) | instid1(SALU_CYCLE_1)
	s_add_i32 s9, s9, s15
	s_ashr_i32 s9, s9, 6
	s_delay_alu instid0(SALU_CYCLE_1) | instskip(SKIP_2) | instid1(VALU_DEP_1)
	s_add_i32 s15, s9, 1
	s_not_b32 s9, s9
	v_cvt_f32_u32_e32 v1, s15
	v_rcp_iflag_f32_e32 v1, v1
	s_waitcnt_depctr 0xfff
	v_mul_f32_e32 v1, 0x4f7ffffe, v1
	s_delay_alu instid0(VALU_DEP_1) | instskip(NEXT) | instid1(VALU_DEP_1)
	v_cvt_u32_f32_e32 v1, v1
	v_readfirstlane_b32 s16, v1
	s_delay_alu instid0(VALU_DEP_1) | instskip(NEXT) | instid1(SALU_CYCLE_1)
	s_mul_i32 s9, s9, s16
	s_mul_hi_u32 s9, s16, s9
	s_delay_alu instid0(SALU_CYCLE_1) | instskip(SKIP_2) | instid1(SALU_CYCLE_1)
	s_add_i32 s9, s16, s9
	s_load_b32 s16, s[0:1], 0x30
	s_mul_hi_u32 s9, s14, s9
	s_mul_i32 s17, s9, s15
	s_add_i32 s19, s9, 1
	s_sub_i32 s17, s14, s17
	s_delay_alu instid0(SALU_CYCLE_1)
	s_sub_i32 s20, s17, s15
	s_cmp_ge_u32 s17, s15
	s_cselect_b32 s9, s19, s9
	s_cselect_b32 s17, s20, s17
	s_add_i32 s19, s9, 1
	s_cmp_ge_u32 s17, s15
	s_cselect_b32 s9, s19, s9
	s_delay_alu instid0(SALU_CYCLE_1) | instskip(NEXT) | instid1(SALU_CYCLE_1)
	s_mul_i32 s15, s9, s15
	s_sub_i32 s14, s14, s15
	s_waitcnt lgkmcnt(0)
	v_mad_i64_i32 v[0:1], null, s16, v14, 0
	s_lshl_b32 s15, s14, 6
	s_lshl_b32 s14, s9, 8
	v_add_nc_u32_e32 v4, s15, v6
	v_lshl_or_b32 v6, v6, 4, v15
	s_cmp_lt_i32 s8, 9
	s_delay_alu instid0(VALU_DEP_3) | instskip(NEXT) | instid1(VALU_DEP_3)
	v_lshlrev_b64 v[0:1], 2, v[0:1]
	v_mad_i64_i32 v[2:3], null, v4, s18, 0
	v_or_b32_e32 v4, s14, v7
	s_delay_alu instid0(VALU_DEP_3) | instskip(NEXT) | instid1(VALU_DEP_2)
	v_add_co_u32 v0, vcc_lo, s12, v0
	v_ashrrev_i32_e32 v5, 31, v4
	s_delay_alu instid0(VALU_DEP_4) | instskip(SKIP_1) | instid1(VALU_DEP_3)
	v_lshlrev_b64 v[8:9], 2, v[2:3]
	v_add_co_ci_u32_e32 v1, vcc_lo, s13, v1, vcc_lo
	v_lshlrev_b64 v[18:19], 2, v[4:5]
	s_delay_alu instid0(VALU_DEP_3) | instskip(NEXT) | instid1(VALU_DEP_4)
	v_add_co_u32 v2, vcc_lo, s10, v8
	v_add_co_ci_u32_e32 v3, vcc_lo, s11, v9, vcc_lo
	s_delay_alu instid0(VALU_DEP_3) | instskip(NEXT) | instid1(VALU_DEP_4)
	v_add_co_u32 v0, vcc_lo, v0, v18
	v_add_co_ci_u32_e32 v1, vcc_lo, v1, v19, vcc_lo
	s_delay_alu instid0(VALU_DEP_4)
	v_add_co_u32 v2, vcc_lo, v2, v15
	scratch_store_b64 off, v[8:9], off offset:76 ; 8-byte Folded Spill
	v_add_co_ci_u32_e32 v3, vcc_lo, 0, v3, vcc_lo
	s_clause 0x3
	flat_load_b32 v4, v[0:1]
	flat_load_b32 v5, v[0:1] offset:256
	flat_load_b32 v8, v[0:1] offset:512
	flat_load_b32 v9, v[0:1] offset:768
	flat_load_b32 v10, v[2:3]
	v_mad_i64_i32 v[0:1], null, s16, v11, 0
	v_lshlrev_b32_e32 v11, 2, v14
	s_load_b64 s[6:7], s[6:7], 0x0
	scratch_store_b32 off, v12, off         ; 4-byte Folded Spill
	v_lshl_add_u32 v74, v7, 4, v11
	v_lshlrev_b64 v[0:1], 2, v[0:1]
	s_delay_alu instid0(VALU_DEP_1) | instskip(NEXT) | instid1(VALU_DEP_2)
	v_add_co_u32 v0, vcc_lo, s12, v0
	v_add_co_ci_u32_e32 v1, vcc_lo, s13, v1, vcc_lo
	s_delay_alu instid0(VALU_DEP_2) | instskip(NEXT) | instid1(VALU_DEP_2)
	v_add_co_u32 v0, vcc_lo, v0, v18
	v_add_co_ci_u32_e32 v1, vcc_lo, v1, v19, vcc_lo
	flat_load_b32 v7, v[0:1]
	s_clause 0x1
	scratch_store_b32 off, v13, off offset:4
	scratch_store_b32 off, v6, off offset:28
	s_waitcnt vmcnt(0) lgkmcnt(0)
	scratch_store_b32 off, v7, off offset:8 ; 4-byte Folded Spill
	flat_load_b32 v7, v[0:1] offset:256
	scratch_store_b32 off, v14, off offset:68 ; 4-byte Folded Spill
	s_waitcnt vmcnt(0) lgkmcnt(0)
	scratch_store_b32 off, v7, off offset:12 ; 4-byte Folded Spill
	s_clause 0x1
	flat_load_b32 v7, v[0:1] offset:512
	flat_load_b32 v0, v[0:1] offset:768
	s_waitcnt vmcnt(0) lgkmcnt(0)
	scratch_store_b32 off, v0, off offset:24 ; 4-byte Folded Spill
	flat_load_b32 v0, v[2:3] offset:16
	s_clause 0x1
	scratch_store_b32 off, v7, off offset:16
	scratch_store_b32 off, v15, off offset:72
	s_waitcnt vmcnt(0) lgkmcnt(0)
	scratch_store_b32 off, v0, off offset:20 ; 4-byte Folded Spill
	ds_store_2addr_stride64_b32 v74, v4, v5 offset1:4
	ds_store_2addr_stride64_b32 v74, v8, v9 offset0:8 offset1:12
	ds_store_b32 v6, v10 offset:8192
	s_waitcnt lgkmcnt(0)
	s_waitcnt_vscnt null, 0x0
	s_barrier
	buffer_gl0_inv
	ds_load_b128 v[28:31], v70
	ds_load_b128 v[0:3], v171 offset:8192
	ds_load_b128 v[12:15], v171 offset:8320
	;; [unrolled: 1-line block ×5, first 2 shown]
	s_waitcnt lgkmcnt(4)
	v_add_f32_e32 v16, v1, v29
	v_dual_add_f32 v146, v0, v28 :: v_dual_add_f32 v141, v3, v31
	s_waitcnt lgkmcnt(0)
	v_dual_add_f32 v142, v15, v31 :: v_dual_add_f32 v89, v1, v33
	scratch_store_b32 off, v16, off offset:32 ; 4-byte Folded Spill
	v_dual_add_f32 v16, v13, v29 :: v_dual_add_f32 v145, v11, v31
	v_dual_add_f32 v94, v8, v32 :: v_dual_add_f32 v105, v3, v35
	v_dual_add_f32 v96, v4, v32 :: v_dual_add_f32 v107, v15, v35
	scratch_store_b32 off, v16, off offset:36 ; 4-byte Folded Spill
	v_add_f32_e32 v16, v12, v28
	v_add_f32_e32 v110, v10, v34
	;; [unrolled: 1-line block ×3, first 2 shown]
	v_dual_add_f32 v112, v6, v34 :: v_dual_add_f32 v91, v13, v33
	scratch_store_b32 off, v16, off offset:48 ; 4-byte Folded Spill
	v_dual_add_f32 v16, v9, v29 :: v_dual_add_f32 v109, v11, v35
	v_add_f32_e32 v93, v9, v33
	v_add_f32_e32 v111, v7, v35
	;; [unrolled: 1-line block ×3, first 2 shown]
	scratch_store_b32 off, v16, off offset:40 ; 4-byte Folded Spill
	v_dual_add_f32 v16, v8, v28 :: v_dual_add_f32 v85, v6, v30
	v_add_f32_e32 v95, v5, v33
	scratch_store_b32 off, v16, off offset:52 ; 4-byte Folded Spill
	v_add_f32_e32 v16, v5, v29
	scratch_store_b32 off, v16, off offset:44 ; 4-byte Folded Spill
	;; [unrolled: 2-line block ×3, first 2 shown]
	ds_load_b128 v[36:39], v171 offset:8704
	ds_load_b128 v[40:43], v171 offset:8832
	v_add_f32_e32 v144, v2, v30
	s_waitcnt lgkmcnt(0)
	v_dual_add_f32 v16, v37, v29 :: v_dual_add_f32 v143, v40, v28
	v_dual_add_f32 v137, v36, v28 :: v_dual_add_f32 v132, v39, v31
	v_add_f32_e32 v131, v43, v31
	scratch_store_b32 off, v16, off offset:60 ; 4-byte Folded Spill
	v_add_f32_e32 v16, v41, v29
	v_add_f32_e32 v84, v42, v30
	v_dual_add_f32 v98, v36, v32 :: v_dual_add_f32 v87, v38, v30
	v_add_f32_e32 v97, v37, v33
	scratch_store_b32 off, v16, off offset:64 ; 4-byte Folded Spill
	ds_load_b128 v[44:47], v171 offset:8960
	ds_load_b128 v[48:51], v171 offset:9088
	v_add_f32_e32 v130, v14, v30
	v_add_f32_e32 v90, v0, v32
	v_dual_add_f32 v92, v12, v32 :: v_dual_add_f32 v99, v41, v33
	v_add_f32_e32 v100, v40, v32
	v_add_f32_e32 v106, v2, v34
	v_dual_add_f32 v108, v14, v34 :: v_dual_add_f32 v113, v39, v35
	v_dual_add_f32 v114, v38, v34 :: v_dual_add_f32 v115, v43, v35
	v_add_f32_e32 v116, v42, v34
	s_waitcnt lgkmcnt(1)
	v_add_f32_e32 v138, v45, v29
	v_add_f32_e32 v136, v44, v28
	s_waitcnt lgkmcnt(0)
	v_dual_add_f32 v140, v49, v29 :: v_dual_add_f32 v139, v48, v28
	v_dual_add_f32 v133, v47, v31 :: v_dual_add_f32 v86, v46, v30
	v_add_f32_e32 v134, v51, v31
	v_dual_add_f32 v88, v50, v30 :: v_dual_add_f32 v101, v45, v33
	v_dual_add_f32 v102, v44, v32 :: v_dual_add_f32 v103, v49, v33
	;; [unrolled: 1-line block ×4, first 2 shown]
	v_add_f32_e32 v120, v50, v34
	ds_load_b128 v[28:31], v70 offset:1024
	ds_load_b128 v[32:35], v70 offset:1536
	s_waitcnt lgkmcnt(1)
	v_add_f32_e32 v149, v36, v28
	v_dual_add_f32 v121, v1, v29 :: v_dual_add_f32 v122, v0, v28
	v_add_f32_e32 v129, v2, v30
	v_dual_add_f32 v123, v13, v29 :: v_dual_add_f32 v124, v12, v28
	;; [unrolled: 2-line block ×3, first 2 shown]
	v_add_f32_e32 v159, v10, v30
	v_add_f32_e32 v127, v5, v29
	v_dual_add_f32 v147, v4, v28 :: v_dual_add_f32 v148, v37, v29
	v_dual_add_f32 v151, v40, v28 :: v_dual_add_f32 v150, v41, v29
	;; [unrolled: 1-line block ×9, first 2 shown]
	s_waitcnt lgkmcnt(0)
	v_dual_add_f32 v173, v12, v32 :: v_dual_add_f32 v164, v43, v31
	v_dual_add_f32 v175, v8, v32 :: v_dual_add_f32 v166, v47, v31
	;; [unrolled: 1-line block ×4, first 2 shown]
	v_add_f32_e32 v181, v40, v32
	v_dual_add_f32 v76, v0, v32 :: v_dual_add_f32 v187, v2, v34
	v_dual_add_f32 v172, v13, v33 :: v_dual_add_f32 v183, v44, v32
	;; [unrolled: 1-line block ×10, first 2 shown]
	v_add_f32_e32 v190, v11, v35
	v_add_f32_e32 v192, v7, v35
	;; [unrolled: 1-line block ×6, first 2 shown]
	ds_load_b128 v[28:31], v70 offset:2048
	ds_load_b128 v[32:35], v70 offset:2560
	s_waitcnt lgkmcnt(1)
	v_dual_add_f32 v213, v40, v28 :: v_dual_add_f32 v202, v1, v29
	v_add_f32_e32 v215, v44, v28
	v_dual_add_f32 v203, v0, v28 :: v_dual_add_f32 v204, v13, v29
	v_add_f32_e32 v217, v48, v28
	;; [unrolled: 2-line block ×5, first 2 shown]
	v_dual_add_f32 v211, v36, v28 :: v_dual_add_f32 v212, v41, v29
	v_dual_add_f32 v225, v6, v30 :: v_dual_add_f32 v214, v45, v29
	;; [unrolled: 1-line block ×6, first 2 shown]
	s_waitcnt lgkmcnt(0)
	v_dual_add_f32 v235, v0, v32 :: v_dual_add_f32 v224, v7, v31
	v_dual_add_f32 v237, v12, v32 :: v_dual_add_f32 v226, v39, v31
	;; [unrolled: 1-line block ×15, first 2 shown]
	v_add_f32_e32 v254, v11, v35
	v_add_f32_e32 v72, v7, v35
	;; [unrolled: 1-line block ×7, first 2 shown]
	ds_load_b128 v[28:31], v70 offset:3072
	ds_load_b128 v[32:35], v70 offset:3584
	s_waitcnt lgkmcnt(1)
	v_add_f32_e32 v77, v41, v29
	v_add_f32_e32 v55, v0, v28
	v_dual_add_f32 v59, v12, v28 :: v_dual_add_f32 v60, v9, v29
	v_add_f32_e32 v69, v40, v28
	v_add_f32_e32 v62, v8, v28
	v_add_f32_e32 v63, v4, v28
	v_add_f32_e32 v75, v36, v28
	v_dual_add_f32 v64, v44, v28 :: v_dual_add_f32 v79, v14, v30
	v_dual_add_f32 v28, v48, v28 :: v_dual_add_f32 v83, v11, v31
	s_waitcnt lgkmcnt(0)
	v_add_f32_e32 v0, v0, v32
	v_add_f32_e32 v12, v12, v32
	;; [unrolled: 1-line block ×3, first 2 shown]
	v_dual_add_f32 v4, v4, v32 :: v_dual_add_f32 v41, v41, v33
	v_add_f32_e32 v36, v36, v32
	v_add_f32_e32 v40, v40, v32
	;; [unrolled: 1-line block ×4, first 2 shown]
	scratch_load_b32 v48, off, off offset:32 ; 4-byte Folded Reload
	v_add_f32_e32 v53, v1, v29
	v_add_f32_e32 v57, v13, v29
	;; [unrolled: 1-line block ×3, first 2 shown]
	v_dual_add_f32 v68, v37, v29 :: v_dual_add_f32 v65, v2, v30
	v_dual_add_f32 v22, v45, v29 :: v_dual_add_f32 v67, v15, v31
	;; [unrolled: 1-line block ×5, first 2 shown]
	v_add_f32_e32 v9, v9, v33
	v_add_f32_e32 v5, v5, v33
	;; [unrolled: 1-line block ×4, first 2 shown]
	v_dual_add_f32 v33, v49, v33 :: v_dual_add_f32 v66, v3, v31
	v_add_f32_e32 v23, v38, v30
	v_add_f32_e32 v78, v10, v30
	v_dual_add_f32 v80, v7, v31 :: v_dual_add_f32 v25, v42, v30
	v_dual_add_f32 v20, v39, v31 :: v_dual_add_f32 v27, v46, v30
	;; [unrolled: 1-line block ×4, first 2 shown]
	v_add_f32_e32 v15, v15, v35
	v_min3_f32 v0, v0, v1, 0x7f7fffff
	v_dual_add_f32 v14, v14, v34 :: v_dual_add_f32 v7, v7, v35
	v_dual_add_f32 v10, v10, v34 :: v_dual_add_f32 v39, v39, v35
	;; [unrolled: 1-line block ×5, first 2 shown]
	v_add_f32_e32 v46, v46, v34
	v_dual_add_f32 v34, v50, v34 :: v_dual_add_f32 v31, v51, v31
	s_waitcnt vmcnt(0)
	v_min3_f32 v48, v146, v48, 0x7f7fffff
	s_delay_alu instid0(VALU_DEP_1)
	v_min3_f32 v146, v144, v141, v48
	s_clause 0x1
	scratch_load_b32 v48, off, off offset:36
	scratch_load_b32 v49, off, off offset:48
	s_waitcnt vmcnt(0)
	v_min3_f32 v48, v49, v48, 0x7f7fffff
	s_delay_alu instid0(VALU_DEP_1)
	v_min3_f32 v144, v130, v142, v48
	s_clause 0x1
	scratch_load_b32 v48, off, off offset:40
	scratch_load_b32 v49, off, off offset:52
	;; [unrolled: 7-line block ×3, first 2 shown]
	s_waitcnt vmcnt(0)
	v_min3_f32 v48, v49, v48, 0x7f7fffff
	s_delay_alu instid0(VALU_DEP_1) | instskip(SKIP_3) | instid1(VALU_DEP_1)
	v_min3_f32 v141, v85, v135, v48
	scratch_load_b32 v48, off, off offset:60 ; 4-byte Folded Reload
	s_waitcnt vmcnt(0)
	v_min3_f32 v48, v137, v48, 0x7f7fffff
	v_min3_f32 v142, v87, v132, v48
	scratch_load_b32 v48, off, off offset:64 ; 4-byte Folded Reload
	s_waitcnt vmcnt(0)
	v_min3_f32 v48, v143, v48, 0x7f7fffff
	s_delay_alu instid0(VALU_DEP_1) | instskip(SKIP_1) | instid1(VALU_DEP_1)
	v_min3_f32 v137, v84, v131, v48
	v_min3_f32 v48, v136, v138, 0x7f7fffff
	;; [unrolled: 1-line block ×4, first 2 shown]
	s_delay_alu instid0(VALU_DEP_1) | instskip(SKIP_3) | instid1(VALU_DEP_3)
	v_min3_f32 v134, v88, v134, v48
	v_min3_f32 v48, v90, v89, 0x7f7fffff
	;; [unrolled: 1-line block ×6, first 2 shown]
	s_delay_alu instid0(VALU_DEP_3) | instskip(SKIP_1) | instid1(VALU_DEP_3)
	v_min3_f32 v87, v14, v15, v0
	v_min3_f32 v0, v8, v9, 0x7f7fffff
	v_min3_f32 v139, v108, v107, v48
	v_min3_f32 v48, v94, v93, 0x7f7fffff
	s_delay_alu instid0(VALU_DEP_3) | instskip(SKIP_1) | instid1(VALU_DEP_3)
	v_min3_f32 v88, v10, v11, v0
	v_min3_f32 v0, v4, v5, 0x7f7fffff
	v_min3_f32 v140, v110, v109, v48
	v_min3_f32 v48, v96, v95, 0x7f7fffff
	;; [unrolled: 5-line block ×6, first 2 shown]
	s_delay_alu instid0(VALU_DEP_3)
	v_min3_f32 v95, v34, v35, v0
	s_clause 0x2
	scratch_load_b32 v0, off, off offset:28
	scratch_load_b32 v1, off, off offset:8
	;; [unrolled: 1-line block ×3, first 2 shown]
	v_min3_f32 v130, v120, v119, v48
	v_min3_f32 v48, v122, v121, 0x7f7fffff
	s_delay_alu instid0(VALU_DEP_1) | instskip(SKIP_1) | instid1(VALU_DEP_1)
	v_min3_f32 v131, v129, v128, v48
	v_min3_f32 v48, v124, v123, 0x7f7fffff
	v_min3_f32 v128, v157, v156, v48
	v_min3_f32 v48, v126, v125, 0x7f7fffff
	s_delay_alu instid0(VALU_DEP_1) | instskip(SKIP_1) | instid1(VALU_DEP_1)
	v_min3_f32 v129, v159, v158, v48
	v_min3_f32 v48, v147, v127, 0x7f7fffff
	;; [unrolled: 5-line block ×20, first 2 shown]
	v_min3_f32 v89, v30, v31, v16
	s_waitcnt vmcnt(0)
	ds_store_2addr_stride64_b32 v74, v1, v2 offset0:16 offset1:20
	s_clause 0x1
	scratch_load_b32 v1, off, off offset:16
	scratch_load_b32 v2, off, off offset:24
	s_waitcnt vmcnt(0)
	ds_store_2addr_stride64_b32 v74, v1, v2 offset0:24 offset1:28
	scratch_load_b32 v1, off, off offset:20 ; 4-byte Folded Reload
	s_waitcnt vmcnt(0)
	ds_store_b32 v0, v1 offset:9216
	s_waitcnt lgkmcnt(0)
	s_waitcnt_vscnt null, 0x0
	s_barrier
	buffer_gl0_inv
	s_cbranch_scc1 .LBB22_12
; %bb.10:
	s_clause 0x2
	scratch_load_b32 v3, off, off offset:68
	scratch_load_b32 v172, off, off offset:4
	scratch_load_b32 v173, off, off
	v_add_nc_u32_e32 v75, 0x2000, v0
	v_add_nc_u32_e32 v77, 0x2400, v0
	v_add_co_u32 v82, vcc_lo, s12, v18
	v_add_co_ci_u32_e32 v83, vcc_lo, s13, v19, vcc_lo
	v_add_nc_u32_e32 v76, 0x2000, v171
	v_or_b32_e32 v78, 0x1000, v74
	s_ashr_i32 s17, s16, 31
	s_waitcnt vmcnt(2)
	v_add_nc_u32_e32 v2, 12, v3
	v_add_nc_u32_e32 v4, 8, v3
	s_waitcnt vmcnt(0)
	v_lshl_add_u32 v79, v173, 4, 0x2400
	v_lshl_add_u32 v80, v172, 4, 0x1000
	v_mad_i64_i32 v[0:1], null, v2, s16, 0
	v_mad_i64_i32 v[2:3], null, v4, s16, 0
	s_clause 0x1
	scratch_load_b32 v4, off, off offset:72
	scratch_load_b64 v[5:6], off, off offset:76
	v_lshlrev_b64 v[64:65], 2, v[0:1]
	v_lshlrev_b64 v[66:67], 2, v[2:3]
	s_waitcnt vmcnt(0)
	v_add_co_u32 v4, vcc_lo, v5, v4
	v_add_co_ci_u32_e32 v5, vcc_lo, 0, v6, vcc_lo
	s_delay_alu instid0(VALU_DEP_2) | instskip(NEXT) | instid1(VALU_DEP_2)
	v_add_co_u32 v0, vcc_lo, v4, s10
	v_add_co_ci_u32_e32 v1, vcc_lo, s11, v5, vcc_lo
	s_add_i32 s10, s8, -8
	s_delay_alu instid0(VALU_DEP_2) | instskip(NEXT) | instid1(VALU_DEP_2)
	v_add_co_u32 v68, vcc_lo, v0, 32
	v_add_co_ci_u32_e32 v69, vcc_lo, 0, v1, vcc_lo
	s_lshl_b64 s[8:9], s[16:17], 5
	s_mov_b32 s11, 0
.LBB22_11:                              ; =>This Inner Loop Header: Depth=1
	v_add_co_u32 v0, vcc_lo, v82, v66
	v_add_co_ci_u32_e32 v1, vcc_lo, v83, v67, vcc_lo
	flat_load_b32 v151, v[68:69]
	s_add_i32 s11, s11, 8
	s_clause 0x3
	flat_load_b32 v147, v[0:1]
	flat_load_b32 v148, v[0:1] offset:256
	flat_load_b32 v149, v[0:1] offset:512
	flat_load_b32 v150, v[0:1] offset:768
	ds_load_b128 v[28:31], v79
	ds_load_b128 v[24:27], v79 offset:128
	ds_load_b128 v[20:23], v79 offset:256
	;; [unrolled: 1-line block ×7, first 2 shown]
	ds_load_b128 v[60:63], v80
	ds_load_b128 v[56:59], v80 offset:512
	ds_load_b128 v[52:55], v80 offset:1024
	;; [unrolled: 1-line block ×7, first 2 shown]
	s_cmp_ge_i32 s11, s10
	s_waitcnt vmcnt(4) lgkmcnt(20)
	ds_store_b32 v75, v151
	s_waitcnt vmcnt(2) lgkmcnt(19)
	ds_store_2addr_stride64_b32 v74, v147, v148 offset1:4
	s_waitcnt vmcnt(0) lgkmcnt(18)
	ds_store_2addr_stride64_b32 v74, v149, v150 offset0:8 offset1:12
	s_waitcnt lgkmcnt(10)
	v_dual_add_f32 v71, v29, v61 :: v_dual_add_f32 v72, v28, v60
	s_waitcnt lgkmcnt(0)
	s_barrier
	buffer_gl0_inv
	flat_load_b32 v151, v[68:69] offset:16
	v_min3_f32 v146, v72, v71, v146
	v_dual_add_f32 v71, v25, v61 :: v_dual_add_f32 v72, v24, v60
	s_delay_alu instid0(VALU_DEP_1) | instskip(SKIP_1) | instid1(VALU_DEP_1)
	v_min3_f32 v144, v72, v71, v144
	v_dual_add_f32 v71, v21, v61 :: v_dual_add_f32 v72, v20, v60
	v_min3_f32 v145, v72, v71, v145
	v_dual_add_f32 v71, v17, v61 :: v_dual_add_f32 v72, v16, v60
	s_delay_alu instid0(VALU_DEP_1) | instskip(SKIP_1) | instid1(VALU_DEP_1)
	v_min3_f32 v152, v72, v71, v141
	v_dual_add_f32 v71, v13, v61 :: v_dual_add_f32 v72, v12, v60
	v_min3_f32 v153, v72, v71, v142
	v_dual_add_f32 v71, v9, v61 :: v_dual_add_f32 v72, v8, v60
	s_delay_alu instid0(VALU_DEP_1) | instskip(SKIP_2) | instid1(VALU_DEP_2)
	v_min3_f32 v154, v72, v71, v137
	v_dual_add_f32 v71, v5, v61 :: v_dual_add_f32 v72, v4, v60
	v_dual_add_f32 v61, v1, v61 :: v_dual_add_f32 v60, v0, v60
	v_min3_f32 v155, v72, v71, v138
	v_add_f32_e32 v71, v4, v36
	s_delay_alu instid0(VALU_DEP_3) | instskip(SKIP_1) | instid1(VALU_DEP_1)
	v_min3_f32 v156, v60, v61, v134
	v_dual_add_f32 v60, v29, v57 :: v_dual_add_f32 v61, v28, v56
	v_min3_f32 v142, v61, v60, v143
	v_dual_add_f32 v60, v25, v57 :: v_dual_add_f32 v61, v24, v56
	s_delay_alu instid0(VALU_DEP_1) | instskip(SKIP_1) | instid1(VALU_DEP_1)
	v_min3_f32 v141, v61, v60, v139
	v_dual_add_f32 v60, v21, v57 :: v_dual_add_f32 v61, v20, v56
	v_min3_f32 v139, v61, v60, v140
	v_dual_add_f32 v60, v17, v57 :: v_dual_add_f32 v61, v16, v56
	s_delay_alu instid0(VALU_DEP_1) | instskip(SKIP_1) | instid1(VALU_DEP_1)
	v_min3_f32 v138, v61, v60, v135
	v_dual_add_f32 v60, v13, v57 :: v_dual_add_f32 v61, v12, v56
	v_min3_f32 v137, v61, v60, v136
	v_dual_add_f32 v60, v9, v57 :: v_dual_add_f32 v61, v8, v56
	s_delay_alu instid0(VALU_DEP_1) | instskip(SKIP_2) | instid1(VALU_DEP_2)
	v_min3_f32 v136, v61, v60, v132
	v_dual_add_f32 v60, v5, v57 :: v_dual_add_f32 v61, v4, v56
	v_dual_add_f32 v57, v1, v57 :: v_dual_add_f32 v56, v0, v56
	v_min3_f32 v135, v61, v60, v133
	s_delay_alu instid0(VALU_DEP_2) | instskip(SKIP_1) | instid1(VALU_DEP_1)
	v_min3_f32 v134, v56, v57, v130
	v_dual_add_f32 v56, v29, v53 :: v_dual_add_f32 v57, v28, v52
	v_min3_f32 v133, v57, v56, v131
	v_dual_add_f32 v56, v25, v53 :: v_dual_add_f32 v57, v24, v52
	s_delay_alu instid0(VALU_DEP_1) | instskip(SKIP_1) | instid1(VALU_DEP_1)
	v_min3_f32 v132, v57, v56, v128
	v_dual_add_f32 v56, v21, v53 :: v_dual_add_f32 v57, v20, v52
	v_min3_f32 v131, v57, v56, v129
	v_dual_add_f32 v56, v17, v53 :: v_dual_add_f32 v57, v16, v52
	s_delay_alu instid0(VALU_DEP_1) | instskip(SKIP_1) | instid1(VALU_DEP_1)
	v_min3_f32 v130, v57, v56, v126
	v_dual_add_f32 v56, v13, v53 :: v_dual_add_f32 v57, v12, v52
	v_min3_f32 v129, v57, v56, v127
	v_dual_add_f32 v56, v9, v53 :: v_dual_add_f32 v57, v8, v52
	s_delay_alu instid0(VALU_DEP_1) | instskip(SKIP_2) | instid1(VALU_DEP_2)
	v_min3_f32 v128, v57, v56, v124
	v_dual_add_f32 v56, v5, v53 :: v_dual_add_f32 v57, v4, v52
	v_dual_add_f32 v53, v1, v53 :: v_dual_add_f32 v52, v0, v52
	v_min3_f32 v127, v57, v56, v125
	s_delay_alu instid0(VALU_DEP_2) | instskip(SKIP_1) | instid1(VALU_DEP_1)
	;; [unrolled: 20-line block ×4, first 2 shown]
	v_min3_f32 v108, v44, v45, v106
	v_dual_add_f32 v44, v29, v41 :: v_dual_add_f32 v45, v28, v40
	v_min3_f32 v107, v45, v44, v107
	v_dual_add_f32 v44, v25, v41 :: v_dual_add_f32 v45, v24, v40
	s_delay_alu instid0(VALU_DEP_1) | instskip(SKIP_1) | instid1(VALU_DEP_1)
	v_min3_f32 v106, v45, v44, v104
	v_dual_add_f32 v44, v21, v41 :: v_dual_add_f32 v45, v20, v40
	v_min3_f32 v104, v45, v44, v105
	v_dual_add_f32 v44, v17, v41 :: v_dual_add_f32 v45, v16, v40
	s_delay_alu instid0(VALU_DEP_1) | instskip(SKIP_1) | instid1(VALU_DEP_1)
	v_min3_f32 v61, v45, v44, v102
	v_dual_add_f32 v44, v13, v41 :: v_dual_add_f32 v45, v12, v40
	v_min3_f32 v60, v45, v44, v103
	v_dual_add_f32 v44, v9, v41 :: v_dual_add_f32 v45, v8, v40
	s_delay_alu instid0(VALU_DEP_1) | instskip(SKIP_3) | instid1(VALU_DEP_3)
	v_min3_f32 v57, v45, v44, v100
	v_dual_add_f32 v44, v5, v41 :: v_dual_add_f32 v45, v4, v40
	v_dual_add_f32 v41, v1, v41 :: v_dual_add_f32 v40, v0, v40
	v_add_f32_e32 v4, v4, v32
	v_min3_f32 v56, v45, v44, v101
	s_delay_alu instid0(VALU_DEP_3) | instskip(SKIP_2) | instid1(VALU_DEP_2)
	v_min3_f32 v53, v40, v41, v98
	v_dual_add_f32 v40, v29, v37 :: v_dual_add_f32 v41, v28, v36
	v_dual_add_f32 v29, v29, v33 :: v_dual_add_f32 v28, v28, v32
	v_min3_f32 v52, v41, v40, v99
	v_dual_add_f32 v40, v25, v37 :: v_dual_add_f32 v41, v24, v36
	s_delay_alu instid0(VALU_DEP_3) | instskip(SKIP_1) | instid1(VALU_DEP_3)
	v_min3_f32 v28, v28, v29, v90
	v_dual_add_f32 v25, v25, v33 :: v_dual_add_f32 v24, v24, v32
	v_min3_f32 v49, v41, v40, v96
	v_dual_add_f32 v40, v21, v37 :: v_dual_add_f32 v41, v20, v36
	v_dual_add_f32 v21, v21, v33 :: v_dual_add_f32 v20, v20, v32
	s_delay_alu instid0(VALU_DEP_4) | instskip(NEXT) | instid1(VALU_DEP_3)
	v_min3_f32 v24, v24, v25, v87
	v_min3_f32 v48, v41, v40, v97
	v_dual_add_f32 v40, v17, v37 :: v_dual_add_f32 v41, v16, v36
	s_delay_alu instid0(VALU_DEP_4) | instskip(SKIP_1) | instid1(VALU_DEP_3)
	v_min3_f32 v20, v20, v21, v88
	v_dual_add_f32 v17, v17, v33 :: v_dual_add_f32 v16, v16, v32
	v_min3_f32 v45, v41, v40, v93
	v_dual_add_f32 v40, v13, v37 :: v_dual_add_f32 v41, v12, v36
	v_dual_add_f32 v13, v13, v33 :: v_dual_add_f32 v12, v12, v32
	s_delay_alu instid0(VALU_DEP_4) | instskip(NEXT) | instid1(VALU_DEP_3)
	v_min3_f32 v16, v16, v17, v85
	v_min3_f32 v44, v41, v40, v94
	v_dual_add_f32 v40, v9, v37 :: v_dual_add_f32 v41, v8, v36
	v_add_f32_e32 v36, v0, v36
	v_add_f32_e32 v0, v0, v32
	v_min3_f32 v12, v12, v13, v86
	v_dual_add_f32 v9, v9, v33 :: v_dual_add_f32 v8, v8, v32
	v_min3_f32 v41, v41, v40, v91
	v_add_f32_e32 v40, v5, v37
	v_add_f32_e32 v37, v1, v37
	v_add_f32_e32 v5, v5, v33
	v_add_f32_e32 v1, v1, v33
	v_min3_f32 v8, v8, v9, v81
	v_min3_f32 v40, v71, v40, v92
	;; [unrolled: 1-line block ×5, first 2 shown]
	v_add_f32_e32 v1, v31, v63
	v_add_f32_e32 v5, v30, v62
	s_delay_alu instid0(VALU_DEP_1) | instskip(SKIP_2) | instid1(VALU_DEP_1)
	v_min3_f32 v90, v5, v1, v146
	v_add_f32_e32 v1, v27, v63
	v_add_f32_e32 v5, v26, v62
	v_min3_f32 v89, v5, v1, v144
	v_add_f32_e32 v1, v23, v63
	v_add_f32_e32 v5, v22, v62
	s_delay_alu instid0(VALU_DEP_1) | instskip(SKIP_2) | instid1(VALU_DEP_1)
	v_min3_f32 v88, v5, v1, v145
	v_add_f32_e32 v1, v19, v63
	v_add_f32_e32 v5, v18, v62
	v_min3_f32 v87, v5, v1, v152
	;; [unrolled: 7-line block ×27, first 2 shown]
	v_add_f32_e32 v1, v7, v39
	v_add_f32_e32 v5, v6, v38
	s_delay_alu instid0(VALU_DEP_1) | instskip(SKIP_3) | instid1(VALU_DEP_2)
	v_min3_f32 v161, v5, v1, v40
	v_add_f32_e32 v1, v3, v39
	v_add_f32_e32 v5, v2, v38
	;; [unrolled: 1-line block ×3, first 2 shown]
	v_min3_f32 v162, v5, v1, v36
	v_add_f32_e32 v1, v31, v35
	v_add_f32_e32 v5, v30, v34
	s_delay_alu instid0(VALU_DEP_1) | instskip(SKIP_2) | instid1(VALU_DEP_1)
	v_min3_f32 v163, v5, v1, v28
	v_add_f32_e32 v1, v27, v35
	v_add_f32_e32 v5, v26, v34
	v_min3_f32 v164, v5, v1, v24
	v_add_f32_e32 v1, v23, v35
	v_add_f32_e32 v5, v22, v34
	s_delay_alu instid0(VALU_DEP_1) | instskip(SKIP_2) | instid1(VALU_DEP_1)
	v_min3_f32 v165, v5, v1, v20
	v_add_f32_e32 v1, v19, v35
	v_add_f32_e32 v5, v18, v34
	;; [unrolled: 7-line block ×3, first 2 shown]
	v_min3_f32 v168, v5, v1, v8
	v_add_f32_e32 v1, v7, v35
	v_add_f32_e32 v5, v6, v34
	s_delay_alu instid0(VALU_DEP_1) | instskip(SKIP_1) | instid1(VALU_DEP_1)
	v_min3_f32 v169, v5, v1, v4
	v_add_f32_e32 v1, v3, v35
	v_min3_f32 v170, v2, v1, v0
	v_add_co_u32 v0, vcc_lo, v82, v64
	v_add_co_ci_u32_e32 v1, vcc_lo, v83, v65, vcc_lo
	s_clause 0x3
	flat_load_b32 v147, v[0:1]
	flat_load_b32 v148, v[0:1] offset:256
	flat_load_b32 v149, v[0:1] offset:512
	;; [unrolled: 1-line block ×3, first 2 shown]
	ds_load_b128 v[32:35], v76
	ds_load_b128 v[28:31], v76 offset:128
	ds_load_b128 v[24:27], v76 offset:256
	;; [unrolled: 1-line block ×7, first 2 shown]
	ds_load_b128 v[60:63], v70
	ds_load_b128 v[56:59], v70 offset:512
	ds_load_b128 v[52:55], v70 offset:1024
	ds_load_b128 v[48:51], v70 offset:1536
	ds_load_b128 v[44:47], v70 offset:2048
	ds_load_b128 v[40:43], v70 offset:2560
	ds_load_b128 v[36:39], v70 offset:3072
	ds_load_b128 v[12:15], v70 offset:3584
	v_add_co_u32 v82, vcc_lo, v82, s8
	v_add_co_ci_u32_e32 v83, vcc_lo, s9, v83, vcc_lo
	v_add_co_u32 v68, vcc_lo, v68, 32
	v_add_co_ci_u32_e32 v69, vcc_lo, 0, v69, vcc_lo
	s_waitcnt vmcnt(4) lgkmcnt(20)
	ds_store_b32 v77, v151
	s_waitcnt vmcnt(2) lgkmcnt(19)
	ds_store_2addr_stride64_b32 v78, v147, v148 offset1:4
	s_waitcnt vmcnt(0) lgkmcnt(18)
	ds_store_2addr_stride64_b32 v78, v149, v150 offset0:8 offset1:12
	s_waitcnt lgkmcnt(10)
	v_dual_add_f32 v104, v33, v61 :: v_dual_add_f32 v105, v32, v60
	s_waitcnt lgkmcnt(0)
	s_barrier
	buffer_gl0_inv
	v_min3_f32 v118, v105, v104, v90
	v_add_f32_e32 v90, v29, v61
	v_add_f32_e32 v104, v28, v60
	s_delay_alu instid0(VALU_DEP_1) | instskip(SKIP_1) | instid1(VALU_DEP_1)
	v_min3_f32 v119, v104, v90, v89
	v_dual_add_f32 v89, v25, v61 :: v_dual_add_f32 v90, v24, v60
	v_min3_f32 v120, v90, v89, v88
	v_dual_add_f32 v88, v21, v61 :: v_dual_add_f32 v89, v20, v60
	s_delay_alu instid0(VALU_DEP_1) | instskip(SKIP_1) | instid1(VALU_DEP_1)
	v_min3_f32 v121, v89, v88, v87
	v_dual_add_f32 v87, v17, v61 :: v_dual_add_f32 v88, v16, v60
	v_min3_f32 v122, v88, v87, v86
	v_dual_add_f32 v86, v9, v61 :: v_dual_add_f32 v87, v8, v60
	s_delay_alu instid0(VALU_DEP_1) | instskip(SKIP_2) | instid1(VALU_DEP_2)
	v_min3_f32 v123, v87, v86, v85
	v_dual_add_f32 v85, v5, v61 :: v_dual_add_f32 v86, v4, v60
	v_dual_add_f32 v61, v1, v61 :: v_dual_add_f32 v60, v0, v60
	v_min3_f32 v124, v86, v85, v84
	s_delay_alu instid0(VALU_DEP_2) | instskip(SKIP_1) | instid1(VALU_DEP_1)
	v_min3_f32 v125, v60, v61, v81
	v_dual_add_f32 v60, v33, v57 :: v_dual_add_f32 v61, v32, v56
	v_min3_f32 v117, v61, v60, v91
	v_dual_add_f32 v60, v29, v57 :: v_dual_add_f32 v61, v28, v56
	s_delay_alu instid0(VALU_DEP_1) | instskip(SKIP_1) | instid1(VALU_DEP_1)
	v_min3_f32 v116, v61, v60, v92
	v_dual_add_f32 v60, v25, v57 :: v_dual_add_f32 v61, v24, v56
	v_min3_f32 v115, v61, v60, v93
	v_dual_add_f32 v60, v21, v57 :: v_dual_add_f32 v61, v20, v56
	s_delay_alu instid0(VALU_DEP_1) | instskip(SKIP_1) | instid1(VALU_DEP_1)
	v_min3_f32 v114, v61, v60, v94
	v_dual_add_f32 v60, v17, v57 :: v_dual_add_f32 v61, v16, v56
	v_min3_f32 v113, v61, v60, v95
	v_dual_add_f32 v60, v9, v57 :: v_dual_add_f32 v61, v8, v56
	s_delay_alu instid0(VALU_DEP_1) | instskip(SKIP_2) | instid1(VALU_DEP_2)
	v_min3_f32 v112, v61, v60, v96
	v_dual_add_f32 v60, v5, v57 :: v_dual_add_f32 v61, v4, v56
	v_dual_add_f32 v57, v1, v57 :: v_dual_add_f32 v56, v0, v56
	v_min3_f32 v111, v61, v60, v97
	s_delay_alu instid0(VALU_DEP_2) | instskip(SKIP_1) | instid1(VALU_DEP_1)
	v_min3_f32 v110, v56, v57, v98
	v_dual_add_f32 v56, v33, v53 :: v_dual_add_f32 v57, v32, v52
	v_min3_f32 v109, v57, v56, v99
	v_dual_add_f32 v56, v29, v53 :: v_dual_add_f32 v57, v28, v52
	;; [unrolled: 20-line block ×5, first 2 shown]
	s_delay_alu instid0(VALU_DEP_1) | instskip(SKIP_1) | instid1(VALU_DEP_1)
	v_min3_f32 v84, v45, v44, v146
	v_dual_add_f32 v44, v25, v41 :: v_dual_add_f32 v45, v24, v40
	v_min3_f32 v81, v45, v44, v152
	v_dual_add_f32 v44, v21, v41 :: v_dual_add_f32 v45, v20, v40
	s_delay_alu instid0(VALU_DEP_1) | instskip(SKIP_1) | instid1(VALU_DEP_1)
	v_min3_f32 v61, v45, v44, v153
	v_dual_add_f32 v44, v17, v41 :: v_dual_add_f32 v45, v16, v40
	v_min3_f32 v60, v45, v44, v154
	v_dual_add_f32 v44, v9, v41 :: v_dual_add_f32 v45, v8, v40
	s_delay_alu instid0(VALU_DEP_1) | instskip(SKIP_2) | instid1(VALU_DEP_2)
	v_min3_f32 v57, v45, v44, v155
	v_dual_add_f32 v44, v5, v41 :: v_dual_add_f32 v45, v4, v40
	v_dual_add_f32 v41, v1, v41 :: v_dual_add_f32 v40, v0, v40
	v_min3_f32 v56, v45, v44, v156
	s_delay_alu instid0(VALU_DEP_2) | instskip(SKIP_2) | instid1(VALU_DEP_2)
	v_min3_f32 v53, v40, v41, v157
	v_dual_add_f32 v40, v33, v37 :: v_dual_add_f32 v41, v32, v36
	v_dual_add_f32 v33, v33, v13 :: v_dual_add_f32 v32, v32, v12
	v_min3_f32 v52, v41, v40, v71
	v_dual_add_f32 v40, v29, v37 :: v_dual_add_f32 v41, v28, v36
	v_add_f32_e32 v71, v4, v36
	v_add_f32_e32 v4, v4, v12
	v_min3_f32 v32, v32, v33, v163
	v_add_f32_e32 v29, v29, v13
	v_min3_f32 v49, v41, v40, v72
	v_dual_add_f32 v40, v25, v37 :: v_dual_add_f32 v41, v24, v36
	v_dual_add_f32 v28, v28, v12 :: v_dual_add_f32 v25, v25, v13
	v_add_f32_e32 v24, v24, v12
	s_delay_alu instid0(VALU_DEP_3) | instskip(SKIP_1) | instid1(VALU_DEP_4)
	v_min3_f32 v48, v41, v40, v73
	v_dual_add_f32 v40, v21, v37 :: v_dual_add_f32 v41, v20, v36
	v_min3_f32 v28, v28, v29, v164
	s_delay_alu instid0(VALU_DEP_4) | instskip(SKIP_1) | instid1(VALU_DEP_4)
	v_min3_f32 v24, v24, v25, v165
	v_dual_add_f32 v21, v21, v13 :: v_dual_add_f32 v20, v20, v12
	v_min3_f32 v45, v41, v40, v158
	v_dual_add_f32 v40, v17, v37 :: v_dual_add_f32 v41, v16, v36
	v_add_f32_e32 v17, v17, v13
	s_delay_alu instid0(VALU_DEP_4) | instskip(SKIP_1) | instid1(VALU_DEP_4)
	v_min3_f32 v20, v20, v21, v166
	v_add_f32_e32 v16, v16, v12
	v_min3_f32 v44, v41, v40, v159
	v_dual_add_f32 v40, v9, v37 :: v_dual_add_f32 v41, v8, v36
	v_add_f32_e32 v36, v0, v36
	v_add_f32_e32 v0, v0, v12
	v_min3_f32 v16, v16, v17, v167
	v_add_f32_e32 v9, v9, v13
	v_min3_f32 v41, v41, v40, v160
	v_add_f32_e32 v40, v5, v37
	v_add_f32_e32 v37, v1, v37
	;; [unrolled: 1-line block ×3, first 2 shown]
	v_dual_add_f32 v1, v1, v13 :: v_dual_add_f32 v8, v8, v12
	s_delay_alu instid0(VALU_DEP_4) | instskip(NEXT) | instid1(VALU_DEP_4)
	v_min3_f32 v40, v71, v40, v161
	v_min3_f32 v36, v36, v37, v162
	s_delay_alu instid0(VALU_DEP_4) | instskip(NEXT) | instid1(VALU_DEP_4)
	v_min3_f32 v4, v4, v5, v169
	v_min3_f32 v0, v0, v1, v170
	v_add_f32_e32 v1, v35, v63
	v_add_f32_e32 v5, v34, v62
	v_min3_f32 v8, v8, v9, v168
	s_delay_alu instid0(VALU_DEP_2) | instskip(SKIP_2) | instid1(VALU_DEP_1)
	v_min3_f32 v146, v5, v1, v118
	v_add_f32_e32 v1, v31, v63
	v_add_f32_e32 v5, v30, v62
	v_min3_f32 v144, v5, v1, v119
	v_add_f32_e32 v1, v27, v63
	v_add_f32_e32 v5, v26, v62
	s_delay_alu instid0(VALU_DEP_1) | instskip(SKIP_2) | instid1(VALU_DEP_1)
	v_min3_f32 v145, v5, v1, v120
	v_add_f32_e32 v1, v23, v63
	v_add_f32_e32 v5, v22, v62
	v_min3_f32 v141, v5, v1, v121
	v_add_f32_e32 v1, v19, v63
	v_add_f32_e32 v5, v18, v62
	s_delay_alu instid0(VALU_DEP_1) | instskip(SKIP_2) | instid1(VALU_DEP_1)
	;; [unrolled: 7-line block ×26, first 2 shown]
	v_min3_f32 v94, v5, v1, v44
	v_add_f32_e32 v1, v11, v39
	v_add_f32_e32 v5, v10, v38
	v_min3_f32 v91, v5, v1, v41
	v_add_f32_e32 v1, v7, v39
	v_add_f32_e32 v5, v6, v38
	s_delay_alu instid0(VALU_DEP_1) | instskip(SKIP_3) | instid1(VALU_DEP_2)
	v_min3_f32 v92, v5, v1, v40
	v_add_f32_e32 v1, v3, v39
	v_add_f32_e32 v5, v2, v38
	;; [unrolled: 1-line block ×3, first 2 shown]
	v_min3_f32 v89, v5, v1, v36
	v_add_f32_e32 v1, v35, v15
	v_add_f32_e32 v5, v34, v14
	s_delay_alu instid0(VALU_DEP_1) | instskip(SKIP_2) | instid1(VALU_DEP_1)
	v_min3_f32 v90, v5, v1, v32
	v_add_f32_e32 v1, v31, v15
	v_add_f32_e32 v5, v30, v14
	v_min3_f32 v87, v5, v1, v28
	v_add_f32_e32 v1, v27, v15
	v_add_f32_e32 v5, v26, v14
	s_delay_alu instid0(VALU_DEP_1) | instskip(SKIP_2) | instid1(VALU_DEP_1)
	v_min3_f32 v88, v5, v1, v24
	v_add_f32_e32 v1, v23, v15
	v_add_f32_e32 v5, v22, v14
	;; [unrolled: 7-line block ×3, first 2 shown]
	v_min3_f32 v81, v5, v1, v8
	v_add_f32_e32 v1, v7, v15
	v_add_f32_e32 v5, v6, v14
	s_delay_alu instid0(VALU_DEP_1) | instskip(SKIP_1) | instid1(VALU_DEP_1)
	v_min3_f32 v84, v5, v1, v4
	v_add_f32_e32 v1, v3, v15
	v_min3_f32 v95, v2, v1, v0
	s_cbranch_scc0 .LBB22_11
	s_branch .LBB22_13
.LBB22_12:
	s_clause 0x1
	scratch_load_b32 v172, off, off offset:4
	scratch_load_b32 v173, off, off
.LBB22_13:
	ds_load_b128 v[32:35], v171 offset:9216
	ds_load_b128 v[60:63], v70 offset:4096
	s_clause 0x2
	s_load_b32 s9, s[0:1], 0x68
	s_load_b32 s8, s[0:1], 0x50
	s_load_b64 s[0:1], s[0:1], 0x70
	s_waitcnt vmcnt(1)
	v_add_nc_u32_e32 v80, s14, v172
	s_waitcnt vmcnt(0)
	v_add_nc_u32_e32 v76, s15, v173
	s_waitcnt lgkmcnt(0)
	s_delay_alu instid0(VALU_DEP_2)
	v_mad_i64_i32 v[2:3], null, v80, s9, 0
	v_add_f32_e32 v7, v32, v60
	v_mad_i64_i32 v[4:5], null, v80, s8, 0
	v_add_f32_e32 v6, v33, v61
	v_dual_add_f32 v9, v34, v62 :: v_dual_add_nc_u32 v0, 8, v76
	v_lshlrev_b64 v[2:3], 2, v[2:3]
	v_add_f32_e32 v8, v35, v63
	s_delay_alu instid0(VALU_DEP_4)
	v_min3_f32 v6, v7, v6, v146
	s_lshl_b64 s[0:1], s[0:1], 2
	v_lshlrev_b64 v[4:5], 2, v[4:5]
	s_add_u32 s0, s6, s0
	v_ashrrev_i32_e32 v77, 31, v76
	s_addc_u32 s1, s7, s1
	v_min3_f32 v6, v9, v8, v6
	v_add_co_u32 v82, vcc_lo, s0, v2
	v_add_co_ci_u32_e32 v83, vcc_lo, s1, v3, vcc_lo
	v_add_co_u32 v146, vcc_lo, s4, v4
	v_lshlrev_b64 v[66:67], 2, v[76:77]
	v_ashrrev_i32_e32 v1, 31, v0
	v_add_co_ci_u32_e32 v147, vcc_lo, s5, v5, vcc_lo
	v_max_f32_e32 v2, v6, v6
	s_mov_b32 vcc_lo, s2
	s_cbranch_vccz .LBB22_15
; %bb.14:
	v_add_co_u32 v3, vcc_lo, v82, v66
	s_delay_alu instid0(VALU_DEP_2)
	v_min_f32_e32 v5, 0, v2
	v_add_co_ci_u32_e32 v4, vcc_lo, v83, v67, vcc_lo
	s_mov_b32 s6, 0
	global_store_b32 v[3:4], v5, off
	s_branch .LBB22_16
.LBB22_15:
	s_mov_b32 s6, -1
.LBB22_16:
	ds_load_b128 v[28:31], v171 offset:9344
	ds_load_b128 v[24:27], v171 offset:9472
	v_lshlrev_b64 v[64:65], 2, v[0:1]
	s_and_not1_b32 vcc_lo, exec_lo, s6
	s_cbranch_vccnz .LBB22_18
; %bb.17:
	v_add_co_u32 v0, vcc_lo, v146, v66
	v_add_co_ci_u32_e32 v1, vcc_lo, v147, v67, vcc_lo
	flat_load_b32 v0, v[0:1]
	s_waitcnt vmcnt(0) lgkmcnt(0)
	v_mul_f32_e32 v3, s3, v0
	v_add_co_u32 v0, vcc_lo, v82, v66
	v_add_co_ci_u32_e32 v1, vcc_lo, v83, v67, vcc_lo
	s_delay_alu instid0(VALU_DEP_3)
	v_min_f32_e32 v4, v3, v2
	v_add_co_u32 v2, vcc_lo, v146, v64
	v_add_co_ci_u32_e32 v3, vcc_lo, v147, v65, vcc_lo
	global_store_b32 v[0:1], v4, off
	flat_load_b32 v0, v[2:3]
	s_waitcnt vmcnt(0) lgkmcnt(0)
	v_mul_f32_e32 v69, s3, v0
	s_branch .LBB22_19
.LBB22_18:
	v_mov_b32_e32 v69, s6
.LBB22_19:
	ds_load_b128 v[16:19], v171 offset:9728
	ds_load_b128 v[12:15], v171 offset:9856
	;; [unrolled: 1-line block ×10, first 2 shown]
	s_waitcnt lgkmcnt(10)
	v_dual_add_f32 v68, v25, v61 :: v_dual_add_f32 v71, v24, v60
	ds_load_b128 v[20:23], v171 offset:9600
	ds_load_b128 v[4:7], v70 offset:7680
	v_dual_add_f32 v72, v29, v61 :: v_dual_add_f32 v73, v28, v60
	v_add_f32_e32 v74, v30, v62
	v_min3_f32 v68, v71, v68, v145
	v_add_f32_e32 v71, v31, v63
	v_dual_add_f32 v75, v27, v63 :: v_dual_add_nc_u32 v70, 16, v76
	v_add_f32_e32 v77, v26, v62
	v_min3_f32 v72, v73, v72, v144
	s_delay_alu instid0(VALU_DEP_4) | instskip(NEXT) | instid1(VALU_DEP_4)
	v_min_f32_e32 v73, v74, v71
	v_ashrrev_i32_e32 v71, 31, v70
	s_delay_alu instid0(VALU_DEP_4) | instskip(SKIP_1) | instid1(VALU_DEP_4)
	v_min3_f32 v75, v77, v75, v68
	v_add_nc_u32_e32 v68, 24, v76
	v_min3_f32 v77, v69, v73, v72
	v_add_co_u32 v73, vcc_lo, v82, v64
	v_lshlrev_b64 v[70:71], 2, v[70:71]
	v_add_co_ci_u32_e32 v74, vcc_lo, v83, v65, vcc_lo
	v_ashrrev_i32_e32 v69, 31, v68
	v_max_f32_e32 v72, v75, v75
	s_mov_b32 vcc_lo, s2
	global_store_b32 v[73:74], v77, off
	s_cbranch_vccz .LBB22_22
; %bb.20:
	v_add_co_u32 v73, vcc_lo, v82, v70
	v_min_f32_e32 v75, 0, v72
	v_add_co_ci_u32_e32 v74, vcc_lo, v83, v71, vcc_lo
	s_mov_b32 s6, 0
	global_store_b32 v[73:74], v75, off
	v_lshlrev_b64 v[68:69], 2, v[68:69]
	s_cbranch_execz .LBB22_23
; %bb.21:
	v_mov_b32_e32 v73, s6
	s_branch .LBB22_24
.LBB22_22:
	s_mov_b32 s6, -1
	v_lshlrev_b64 v[68:69], 2, v[68:69]
.LBB22_23:
	v_add_co_u32 v73, vcc_lo, v146, v70
	v_add_co_ci_u32_e32 v74, vcc_lo, v147, v71, vcc_lo
	flat_load_b32 v73, v[73:74]
	s_waitcnt vmcnt(0) lgkmcnt(0)
	v_mul_f32_e32 v75, s3, v73
	v_add_co_u32 v73, vcc_lo, v82, v70
	v_add_co_ci_u32_e32 v74, vcc_lo, v83, v71, vcc_lo
	v_add_co_u32 v77, vcc_lo, v146, v68
	s_delay_alu instid0(VALU_DEP_4)
	v_min_f32_e32 v72, v75, v72
	v_add_co_ci_u32_e32 v78, vcc_lo, v147, v69, vcc_lo
	global_store_b32 v[73:74], v72, off
	flat_load_b32 v72, v[77:78]
	s_waitcnt vmcnt(0) lgkmcnt(0)
	v_mul_f32_e32 v73, s3, v72
.LBB22_24:
	s_waitcnt lgkmcnt(1)
	v_dual_add_f32 v72, v17, v61 :: v_dual_add_f32 v77, v20, v60
	v_dual_add_f32 v74, v16, v60 :: v_dual_add_f32 v75, v21, v61
	;; [unrolled: 1-line block ×3, first 2 shown]
	v_add_f32_e32 v144, v18, v62
	s_delay_alu instid0(VALU_DEP_3) | instskip(SKIP_4) | instid1(VALU_DEP_4)
	v_min3_f32 v72, v74, v72, v142
	v_add_nc_u32_e32 v74, 32, v76
	v_add_f32_e32 v142, v19, v63
	v_min3_f32 v77, v77, v75, v141
	v_min_f32_e32 v78, v79, v78
	v_ashrrev_i32_e32 v75, 31, v74
	s_delay_alu instid0(VALU_DEP_4) | instskip(SKIP_1) | instid1(VALU_DEP_4)
	v_min3_f32 v141, v144, v142, v72
	v_add_nc_u32_e32 v72, 40, v76
	v_min3_f32 v142, v73, v78, v77
	v_add_co_u32 v78, vcc_lo, v82, v68
	s_delay_alu instid0(VALU_DEP_4)
	v_max_f32_e32 v77, v141, v141
	v_lshlrev_b64 v[74:75], 2, v[74:75]
	v_add_co_ci_u32_e32 v79, vcc_lo, v83, v69, vcc_lo
	v_ashrrev_i32_e32 v73, 31, v72
	s_mov_b32 vcc_lo, s2
	global_store_b32 v[78:79], v142, off
	s_cbranch_vccz .LBB22_27
; %bb.25:
	v_add_co_u32 v78, vcc_lo, v82, v74
	v_min_f32_e32 v141, 0, v77
	v_add_co_ci_u32_e32 v79, vcc_lo, v83, v75, vcc_lo
	s_mov_b32 s6, 0
	global_store_b32 v[78:79], v141, off
	v_lshlrev_b64 v[72:73], 2, v[72:73]
	s_cbranch_execz .LBB22_28
; %bb.26:
	v_mov_b32_e32 v77, s6
	s_branch .LBB22_29
.LBB22_27:
	s_mov_b32 s6, -1
	v_lshlrev_b64 v[72:73], 2, v[72:73]
.LBB22_28:
	v_add_co_u32 v78, vcc_lo, v146, v74
	v_add_co_ci_u32_e32 v79, vcc_lo, v147, v75, vcc_lo
	flat_load_b32 v78, v[78:79]
	s_waitcnt vmcnt(0) lgkmcnt(0)
	v_mul_f32_e32 v141, s3, v78
	v_add_co_u32 v78, vcc_lo, v82, v74
	v_add_co_ci_u32_e32 v79, vcc_lo, v83, v75, vcc_lo
	s_delay_alu instid0(VALU_DEP_3)
	v_min_f32_e32 v77, v141, v77
	v_add_co_u32 v141, vcc_lo, v146, v72
	v_add_co_ci_u32_e32 v142, vcc_lo, v147, v73, vcc_lo
	global_store_b32 v[78:79], v77, off
	flat_load_b32 v77, v[141:142]
	s_waitcnt vmcnt(0) lgkmcnt(0)
	v_mul_f32_e32 v77, s3, v77
.LBB22_29:
	v_dual_add_f32 v78, v9, v61 :: v_dual_add_f32 v79, v8, v60
	v_add_f32_e32 v144, v15, v63
	v_dual_add_f32 v148, v10, v62 :: v_dual_add_f32 v141, v13, v61
	v_add_f32_e32 v142, v12, v60
	s_delay_alu instid0(VALU_DEP_4) | instskip(SKIP_2) | instid1(VALU_DEP_4)
	v_min3_f32 v79, v79, v78, v138
	v_dual_add_f32 v138, v14, v62 :: v_dual_add_f32 v145, v11, v63
	v_add_nc_u32_e32 v78, 48, v76
	v_min3_f32 v137, v142, v141, v137
	v_add_nc_u32_e32 v76, 56, v76
	s_delay_alu instid0(VALU_DEP_4) | instskip(SKIP_3) | instid1(VALU_DEP_4)
	v_min_f32_e32 v138, v138, v144
	v_min3_f32 v144, v148, v145, v79
	v_ashrrev_i32_e32 v79, 31, v78
	v_add_co_u32 v141, vcc_lo, v82, v72
	v_min3_f32 v138, v77, v138, v137
	v_add_co_ci_u32_e32 v142, vcc_lo, v83, v73, vcc_lo
	s_delay_alu instid0(VALU_DEP_4)
	v_lshlrev_b64 v[78:79], 2, v[78:79]
	v_ashrrev_i32_e32 v77, 31, v76
	v_max_f32_e32 v137, v144, v144
	s_mov_b32 vcc_lo, s2
	global_store_b32 v[141:142], v138, off
	s_cbranch_vccz .LBB22_32
; %bb.30:
	v_add_co_u32 v141, vcc_lo, v82, v78
	v_min_f32_e32 v138, 0, v137
	v_add_co_ci_u32_e32 v142, vcc_lo, v83, v79, vcc_lo
	s_mov_b32 s6, 0
	global_store_b32 v[141:142], v138, off
	v_lshlrev_b64 v[76:77], 2, v[76:77]
	s_cbranch_execz .LBB22_33
; %bb.31:
	v_mov_b32_e32 v137, s6
	s_branch .LBB22_34
.LBB22_32:
	s_mov_b32 s6, -1
	v_lshlrev_b64 v[76:77], 2, v[76:77]
.LBB22_33:
	v_add_co_u32 v141, vcc_lo, v146, v78
	v_add_co_ci_u32_e32 v142, vcc_lo, v147, v79, vcc_lo
	flat_load_b32 v138, v[141:142]
	v_add_co_u32 v141, vcc_lo, v82, v78
	v_add_co_ci_u32_e32 v142, vcc_lo, v83, v79, vcc_lo
	s_waitcnt vmcnt(0) lgkmcnt(0)
	v_mul_f32_e32 v138, s3, v138
	s_delay_alu instid0(VALU_DEP_1)
	v_min_f32_e32 v144, v138, v137
	v_add_co_u32 v137, vcc_lo, v146, v76
	v_add_co_ci_u32_e32 v138, vcc_lo, v147, v77, vcc_lo
	global_store_b32 v[141:142], v144, off
	flat_load_b32 v137, v[137:138]
	s_waitcnt vmcnt(0) lgkmcnt(0)
	v_mul_f32_e32 v137, s3, v137
.LBB22_34:
	v_dual_add_f32 v138, v33, v57 :: v_dual_add_f32 v141, v32, v56
	v_dual_add_f32 v61, v1, v61 :: v_dual_add_f32 v60, v0, v60
	;; [unrolled: 1-line block ×3, first 2 shown]
	s_delay_alu instid0(VALU_DEP_3) | instskip(SKIP_1) | instid1(VALU_DEP_4)
	v_min3_f32 v138, v141, v138, v143
	v_add_nc_u32_e32 v141, 32, v80
	v_min3_f32 v134, v60, v61, v134
	v_dual_add_f32 v142, v35, v59 :: v_dual_add_f32 v143, v34, v58
	v_min_f32_e32 v144, v62, v63
	s_delay_alu instid0(VALU_DEP_4) | instskip(SKIP_1) | instid1(VALU_DEP_3)
	v_mad_i64_i32 v[60:61], null, v141, s9, 0
	v_mad_i64_i32 v[62:63], null, v141, s8, 0
	v_min3_f32 v134, v137, v144, v134
	v_add_co_u32 v137, vcc_lo, v82, v76
	v_min3_f32 v141, v143, v142, v138
	v_lshlrev_b64 v[60:61], 2, v[60:61]
	v_add_co_ci_u32_e32 v138, vcc_lo, v83, v77, vcc_lo
	v_lshlrev_b64 v[62:63], 2, v[62:63]
	s_delay_alu instid0(VALU_DEP_4) | instskip(NEXT) | instid1(VALU_DEP_4)
	v_max_f32_e32 v82, v141, v141
	v_add_co_u32 v60, vcc_lo, s0, v60
	v_add_co_ci_u32_e32 v61, vcc_lo, s1, v61, vcc_lo
	s_delay_alu instid0(VALU_DEP_4)
	v_add_co_u32 v62, vcc_lo, s4, v62
	v_add_co_ci_u32_e32 v63, vcc_lo, s5, v63, vcc_lo
	s_mov_b32 vcc_lo, s2
	global_store_b32 v[137:138], v134, off
	s_cbranch_vccz .LBB22_37
; %bb.35:
	v_add_co_u32 v137, vcc_lo, v60, v66
	v_min_f32_e32 v83, 0, v82
	v_add_co_ci_u32_e32 v138, vcc_lo, v61, v67, vcc_lo
	s_mov_b32 s6, 0
	global_store_b32 v[137:138], v83, off
	s_cbranch_execz .LBB22_38
; %bb.36:
	v_mov_b32_e32 v82, s6
	s_branch .LBB22_39
.LBB22_37:
	s_mov_b32 s6, -1
.LBB22_38:
	v_add_co_u32 v137, vcc_lo, v62, v66
	v_add_co_ci_u32_e32 v138, vcc_lo, v63, v67, vcc_lo
	flat_load_b32 v83, v[137:138]
	v_add_co_u32 v137, vcc_lo, v60, v66
	v_add_co_ci_u32_e32 v138, vcc_lo, v61, v67, vcc_lo
	s_waitcnt vmcnt(0) lgkmcnt(0)
	v_mul_f32_e32 v83, s3, v83
	s_delay_alu instid0(VALU_DEP_1)
	v_min_f32_e32 v134, v83, v82
	v_add_co_u32 v82, vcc_lo, v62, v64
	v_add_co_ci_u32_e32 v83, vcc_lo, v63, v65, vcc_lo
	global_store_b32 v[137:138], v134, off
	flat_load_b32 v82, v[82:83]
	s_waitcnt vmcnt(0) lgkmcnt(0)
	v_mul_f32_e32 v82, s3, v82
.LBB22_39:
	v_dual_add_f32 v83, v29, v57 :: v_dual_add_f32 v134, v28, v56
	v_dual_add_f32 v137, v25, v57 :: v_dual_add_f32 v138, v24, v56
	;; [unrolled: 1-line block ×3, first 2 shown]
	s_delay_alu instid0(VALU_DEP_3) | instskip(NEXT) | instid1(VALU_DEP_3)
	v_min3_f32 v83, v134, v83, v139
	v_min3_f32 v134, v138, v137, v140
	v_dual_add_f32 v137, v27, v59 :: v_dual_add_f32 v138, v26, v58
	s_delay_alu instid0(VALU_DEP_4) | instskip(NEXT) | instid1(VALU_DEP_2)
	v_min_f32_e32 v139, v142, v141
	v_min3_f32 v134, v138, v137, v134
	v_add_co_u32 v137, vcc_lo, v60, v64
	s_delay_alu instid0(VALU_DEP_3) | instskip(SKIP_1) | instid1(VALU_DEP_4)
	v_min3_f32 v83, v82, v139, v83
	v_add_co_ci_u32_e32 v138, vcc_lo, v61, v65, vcc_lo
	v_max_f32_e32 v82, v134, v134
	s_mov_b32 vcc_lo, s2
	global_store_b32 v[137:138], v83, off
	s_cbranch_vccz .LBB22_42
; %bb.40:
	v_add_co_u32 v137, vcc_lo, v60, v70
	v_min_f32_e32 v83, 0, v82
	v_add_co_ci_u32_e32 v138, vcc_lo, v61, v71, vcc_lo
	s_mov_b32 s6, 0
	global_store_b32 v[137:138], v83, off
	s_cbranch_execz .LBB22_43
; %bb.41:
	v_mov_b32_e32 v82, s6
	s_branch .LBB22_44
.LBB22_42:
	s_mov_b32 s6, -1
.LBB22_43:
	v_add_co_u32 v137, vcc_lo, v62, v70
	v_add_co_ci_u32_e32 v138, vcc_lo, v63, v71, vcc_lo
	flat_load_b32 v83, v[137:138]
	v_add_co_u32 v137, vcc_lo, v60, v70
	v_add_co_ci_u32_e32 v138, vcc_lo, v61, v71, vcc_lo
	s_waitcnt vmcnt(0) lgkmcnt(0)
	v_mul_f32_e32 v83, s3, v83
	s_delay_alu instid0(VALU_DEP_1)
	v_min_f32_e32 v134, v83, v82
	v_add_co_u32 v82, vcc_lo, v62, v68
	v_add_co_ci_u32_e32 v83, vcc_lo, v63, v69, vcc_lo
	global_store_b32 v[137:138], v134, off
	flat_load_b32 v82, v[82:83]
	s_waitcnt vmcnt(0) lgkmcnt(0)
	v_mul_f32_e32 v82, s3, v82
.LBB22_44:
	v_dual_add_f32 v83, v21, v57 :: v_dual_add_f32 v134, v20, v56
	v_dual_add_f32 v137, v17, v57 :: v_dual_add_f32 v138, v16, v56
	;; [unrolled: 1-line block ×3, first 2 shown]
	s_delay_alu instid0(VALU_DEP_3) | instskip(SKIP_1) | instid1(VALU_DEP_4)
	v_min3_f32 v83, v134, v83, v135
	v_add_f32_e32 v135, v19, v59
	v_min3_f32 v134, v138, v137, v136
	s_delay_alu instid0(VALU_DEP_4) | instskip(NEXT) | instid1(VALU_DEP_1)
	v_dual_add_f32 v136, v18, v58 :: v_dual_min_f32 v137, v140, v139
	v_min3_f32 v136, v136, v135, v134
	v_add_co_u32 v134, vcc_lo, v60, v68
	s_delay_alu instid0(VALU_DEP_3) | instskip(SKIP_1) | instid1(VALU_DEP_4)
	v_min3_f32 v83, v82, v137, v83
	v_add_co_ci_u32_e32 v135, vcc_lo, v61, v69, vcc_lo
	v_max_f32_e32 v82, v136, v136
	s_mov_b32 vcc_lo, s2
	global_store_b32 v[134:135], v83, off
	s_cbranch_vccz .LBB22_47
; %bb.45:
	v_add_co_u32 v134, vcc_lo, v60, v74
	v_min_f32_e32 v83, 0, v82
	v_add_co_ci_u32_e32 v135, vcc_lo, v61, v75, vcc_lo
	s_mov_b32 s6, 0
	global_store_b32 v[134:135], v83, off
	s_cbranch_execz .LBB22_48
; %bb.46:
	v_mov_b32_e32 v82, s6
	s_branch .LBB22_49
.LBB22_47:
	s_mov_b32 s6, -1
.LBB22_48:
	v_add_co_u32 v134, vcc_lo, v62, v74
	v_add_co_ci_u32_e32 v135, vcc_lo, v63, v75, vcc_lo
	flat_load_b32 v83, v[134:135]
	v_add_co_u32 v134, vcc_lo, v60, v74
	v_add_co_ci_u32_e32 v135, vcc_lo, v61, v75, vcc_lo
	s_waitcnt vmcnt(0) lgkmcnt(0)
	v_mul_f32_e32 v83, s3, v83
	s_delay_alu instid0(VALU_DEP_1)
	v_min_f32_e32 v136, v83, v82
	v_add_co_u32 v82, vcc_lo, v62, v72
	v_add_co_ci_u32_e32 v83, vcc_lo, v63, v73, vcc_lo
	global_store_b32 v[134:135], v136, off
	flat_load_b32 v82, v[82:83]
	s_waitcnt vmcnt(0) lgkmcnt(0)
	v_mul_f32_e32 v82, s3, v82
.LBB22_49:
	v_dual_add_f32 v83, v13, v57 :: v_dual_add_f32 v134, v12, v56
	v_dual_add_f32 v135, v9, v57 :: v_dual_add_f32 v136, v8, v56
	;; [unrolled: 1-line block ×3, first 2 shown]
	s_delay_alu instid0(VALU_DEP_3) | instskip(SKIP_1) | instid1(VALU_DEP_4)
	v_min3_f32 v83, v134, v83, v132
	v_add_f32_e32 v134, v10, v58
	v_min3_f32 v132, v136, v135, v133
	v_add_f32_e32 v133, v11, v59
	v_min_f32_e32 v135, v138, v137
	s_delay_alu instid0(VALU_DEP_2) | instskip(SKIP_1) | instid1(VALU_DEP_3)
	v_min3_f32 v134, v134, v133, v132
	v_add_co_u32 v132, vcc_lo, v60, v72
	v_min3_f32 v83, v82, v135, v83
	v_add_co_ci_u32_e32 v133, vcc_lo, v61, v73, vcc_lo
	s_delay_alu instid0(VALU_DEP_4)
	v_max_f32_e32 v82, v134, v134
	s_mov_b32 vcc_lo, s2
	global_store_b32 v[132:133], v83, off
	s_cbranch_vccz .LBB22_52
; %bb.50:
	v_add_co_u32 v132, vcc_lo, v60, v78
	v_min_f32_e32 v83, 0, v82
	v_add_co_ci_u32_e32 v133, vcc_lo, v61, v79, vcc_lo
	s_mov_b32 s6, 0
	global_store_b32 v[132:133], v83, off
	s_cbranch_execz .LBB22_53
; %bb.51:
	v_mov_b32_e32 v62, s6
	s_branch .LBB22_54
.LBB22_52:
	s_mov_b32 s6, -1
.LBB22_53:
	v_add_co_u32 v132, vcc_lo, v62, v78
	v_add_co_ci_u32_e32 v133, vcc_lo, v63, v79, vcc_lo
	flat_load_b32 v83, v[132:133]
	v_add_co_u32 v132, vcc_lo, v60, v78
	v_add_co_ci_u32_e32 v133, vcc_lo, v61, v79, vcc_lo
	v_add_co_u32 v62, vcc_lo, v62, v76
	v_add_co_ci_u32_e32 v63, vcc_lo, v63, v77, vcc_lo
	s_waitcnt vmcnt(0) lgkmcnt(0)
	v_mul_f32_e32 v83, s3, v83
	s_delay_alu instid0(VALU_DEP_1)
	v_min_f32_e32 v82, v83, v82
	global_store_b32 v[132:133], v82, off
	flat_load_b32 v62, v[62:63]
	s_waitcnt vmcnt(0) lgkmcnt(0)
	v_mul_f32_e32 v62, s3, v62
.LBB22_54:
	v_dual_add_f32 v63, v33, v53 :: v_dual_add_f32 v82, v32, v52
	v_dual_add_f32 v57, v1, v57 :: v_dual_add_f32 v56, v0, v56
	;; [unrolled: 1-line block ×3, first 2 shown]
	s_delay_alu instid0(VALU_DEP_3) | instskip(SKIP_1) | instid1(VALU_DEP_4)
	v_min3_f32 v63, v82, v63, v131
	v_add_nc_u32_e32 v82, 64, v80
	v_min3_f32 v83, v56, v57, v130
	v_dual_add_f32 v130, v35, v55 :: v_dual_add_f32 v131, v34, v54
	v_min_f32_e32 v132, v58, v59
	s_delay_alu instid0(VALU_DEP_4) | instskip(SKIP_1) | instid1(VALU_DEP_3)
	v_mad_i64_i32 v[56:57], null, v82, s9, 0
	v_mad_i64_i32 v[58:59], null, v82, s8, 0
	v_min3_f32 v83, v62, v132, v83
	v_add_co_u32 v62, vcc_lo, v60, v76
	v_min3_f32 v82, v131, v130, v63
	v_lshlrev_b64 v[56:57], 2, v[56:57]
	v_add_co_ci_u32_e32 v63, vcc_lo, v61, v77, vcc_lo
	v_lshlrev_b64 v[58:59], 2, v[58:59]
	s_delay_alu instid0(VALU_DEP_4) | instskip(NEXT) | instid1(VALU_DEP_4)
	v_max_f32_e32 v60, v82, v82
	v_add_co_u32 v56, vcc_lo, s0, v56
	v_add_co_ci_u32_e32 v57, vcc_lo, s1, v57, vcc_lo
	s_delay_alu instid0(VALU_DEP_4)
	v_add_co_u32 v58, vcc_lo, s4, v58
	v_add_co_ci_u32_e32 v59, vcc_lo, s5, v59, vcc_lo
	s_mov_b32 vcc_lo, s2
	global_store_b32 v[62:63], v83, off
	s_cbranch_vccz .LBB22_57
; %bb.55:
	v_add_co_u32 v61, vcc_lo, v56, v66
	v_min_f32_e32 v63, 0, v60
	v_add_co_ci_u32_e32 v62, vcc_lo, v57, v67, vcc_lo
	s_mov_b32 s6, 0
	global_store_b32 v[61:62], v63, off
	s_cbranch_execz .LBB22_58
; %bb.56:
	v_mov_b32_e32 v60, s6
	s_branch .LBB22_59
.LBB22_57:
	s_mov_b32 s6, -1
.LBB22_58:
	v_add_co_u32 v61, vcc_lo, v58, v66
	v_add_co_ci_u32_e32 v62, vcc_lo, v59, v67, vcc_lo
	flat_load_b32 v61, v[61:62]
	s_waitcnt vmcnt(0) lgkmcnt(0)
	v_mul_f32_e32 v63, s3, v61
	v_add_co_u32 v61, vcc_lo, v56, v66
	v_add_co_ci_u32_e32 v62, vcc_lo, v57, v67, vcc_lo
	v_add_co_u32 v82, vcc_lo, v58, v64
	s_delay_alu instid0(VALU_DEP_4)
	v_min_f32_e32 v60, v63, v60
	v_add_co_ci_u32_e32 v83, vcc_lo, v59, v65, vcc_lo
	global_store_b32 v[61:62], v60, off
	flat_load_b32 v60, v[82:83]
	s_waitcnt vmcnt(0) lgkmcnt(0)
	v_mul_f32_e32 v60, s3, v60
.LBB22_59:
	v_dual_add_f32 v61, v29, v53 :: v_dual_add_f32 v62, v28, v52
	v_dual_add_f32 v63, v25, v53 :: v_dual_add_f32 v82, v24, v52
	v_dual_add_f32 v83, v31, v55 :: v_dual_add_f32 v130, v30, v54
	s_delay_alu instid0(VALU_DEP_3) | instskip(NEXT) | instid1(VALU_DEP_3)
	v_min3_f32 v61, v62, v61, v128
	v_min3_f32 v62, v82, v63, v129
	v_dual_add_f32 v63, v27, v55 :: v_dual_add_f32 v82, v26, v54
	s_delay_alu instid0(VALU_DEP_4) | instskip(NEXT) | instid1(VALU_DEP_2)
	v_min_f32_e32 v83, v130, v83
	v_min3_f32 v63, v82, v63, v62
	s_delay_alu instid0(VALU_DEP_2) | instskip(SKIP_2) | instid1(VALU_DEP_4)
	v_min3_f32 v82, v60, v83, v61
	v_add_co_u32 v61, vcc_lo, v56, v64
	v_add_co_ci_u32_e32 v62, vcc_lo, v57, v65, vcc_lo
	v_max_f32_e32 v60, v63, v63
	s_mov_b32 vcc_lo, s2
	global_store_b32 v[61:62], v82, off
	s_cbranch_vccz .LBB22_62
; %bb.60:
	v_add_co_u32 v61, vcc_lo, v56, v70
	v_min_f32_e32 v63, 0, v60
	v_add_co_ci_u32_e32 v62, vcc_lo, v57, v71, vcc_lo
	s_mov_b32 s6, 0
	global_store_b32 v[61:62], v63, off
	s_cbranch_execz .LBB22_63
; %bb.61:
	v_mov_b32_e32 v60, s6
	s_branch .LBB22_64
.LBB22_62:
	s_mov_b32 s6, -1
.LBB22_63:
	v_add_co_u32 v61, vcc_lo, v58, v70
	v_add_co_ci_u32_e32 v62, vcc_lo, v59, v71, vcc_lo
	flat_load_b32 v61, v[61:62]
	s_waitcnt vmcnt(0) lgkmcnt(0)
	v_mul_f32_e32 v63, s3, v61
	v_add_co_u32 v61, vcc_lo, v56, v70
	v_add_co_ci_u32_e32 v62, vcc_lo, v57, v71, vcc_lo
	v_add_co_u32 v82, vcc_lo, v58, v68
	s_delay_alu instid0(VALU_DEP_4)
	v_min_f32_e32 v60, v63, v60
	v_add_co_ci_u32_e32 v83, vcc_lo, v59, v69, vcc_lo
	global_store_b32 v[61:62], v60, off
	flat_load_b32 v60, v[82:83]
	s_waitcnt vmcnt(0) lgkmcnt(0)
	v_mul_f32_e32 v60, s3, v60
.LBB22_64:
	v_dual_add_f32 v61, v21, v53 :: v_dual_add_f32 v62, v20, v52
	v_dual_add_f32 v63, v17, v53 :: v_dual_add_f32 v82, v16, v52
	v_dual_add_f32 v83, v23, v55 :: v_dual_add_f32 v128, v22, v54
	s_delay_alu instid0(VALU_DEP_3) | instskip(NEXT) | instid1(VALU_DEP_3)
	v_min3_f32 v61, v62, v61, v126
	v_min3_f32 v62, v82, v63, v127
	v_dual_add_f32 v63, v19, v55 :: v_dual_add_f32 v82, v18, v54
	s_delay_alu instid0(VALU_DEP_4) | instskip(NEXT) | instid1(VALU_DEP_2)
	v_min_f32_e32 v83, v128, v83
	v_min3_f32 v63, v82, v63, v62
	s_delay_alu instid0(VALU_DEP_2) | instskip(SKIP_2) | instid1(VALU_DEP_4)
	v_min3_f32 v82, v60, v83, v61
	v_add_co_u32 v61, vcc_lo, v56, v68
	v_add_co_ci_u32_e32 v62, vcc_lo, v57, v69, vcc_lo
	v_max_f32_e32 v60, v63, v63
	;; [unrolled: 47-line block ×3, first 2 shown]
	s_mov_b32 vcc_lo, s2
	global_store_b32 v[61:62], v82, off
	s_cbranch_vccz .LBB22_72
; %bb.70:
	v_add_co_u32 v61, vcc_lo, v56, v78
	v_min_f32_e32 v63, 0, v60
	v_add_co_ci_u32_e32 v62, vcc_lo, v57, v79, vcc_lo
	s_mov_b32 s6, 0
	global_store_b32 v[61:62], v63, off
	s_cbranch_execz .LBB22_73
; %bb.71:
	v_mov_b32_e32 v58, s6
	s_branch .LBB22_74
.LBB22_72:
	s_mov_b32 s6, -1
.LBB22_73:
	v_add_co_u32 v61, vcc_lo, v58, v78
	v_add_co_ci_u32_e32 v62, vcc_lo, v59, v79, vcc_lo
	flat_load_b32 v61, v[61:62]
	s_waitcnt vmcnt(0) lgkmcnt(0)
	v_mul_f32_e32 v63, s3, v61
	v_add_co_u32 v61, vcc_lo, v56, v78
	v_add_co_ci_u32_e32 v62, vcc_lo, v57, v79, vcc_lo
	v_add_co_u32 v58, vcc_lo, v58, v76
	s_delay_alu instid0(VALU_DEP_4)
	v_min_f32_e32 v60, v63, v60
	v_add_co_ci_u32_e32 v59, vcc_lo, v59, v77, vcc_lo
	global_store_b32 v[61:62], v60, off
	flat_load_b32 v58, v[58:59]
	s_waitcnt vmcnt(0) lgkmcnt(0)
	v_mul_f32_e32 v58, s3, v58
.LBB22_74:
	v_dual_add_f32 v59, v33, v49 :: v_dual_add_f32 v60, v32, v48
	v_dual_add_f32 v53, v1, v53 :: v_dual_add_f32 v52, v0, v52
	;; [unrolled: 1-line block ×3, first 2 shown]
	s_delay_alu instid0(VALU_DEP_3) | instskip(SKIP_1) | instid1(VALU_DEP_4)
	v_min3_f32 v59, v60, v59, v123
	v_add_nc_u32_e32 v60, 0x60, v80
	v_min3_f32 v61, v52, v53, v122
	v_dual_add_f32 v62, v35, v51 :: v_dual_add_f32 v63, v34, v50
	v_min_f32_e32 v82, v54, v55
	s_delay_alu instid0(VALU_DEP_4) | instskip(SKIP_1) | instid1(VALU_DEP_3)
	v_mad_i64_i32 v[52:53], null, v60, s9, 0
	v_mad_i64_i32 v[54:55], null, v60, s8, 0
	v_min3_f32 v61, v58, v82, v61
	v_add_co_u32 v58, vcc_lo, v56, v76
	v_min3_f32 v60, v63, v62, v59
	v_lshlrev_b64 v[52:53], 2, v[52:53]
	v_add_co_ci_u32_e32 v59, vcc_lo, v57, v77, vcc_lo
	v_lshlrev_b64 v[54:55], 2, v[54:55]
	s_delay_alu instid0(VALU_DEP_4) | instskip(NEXT) | instid1(VALU_DEP_4)
	v_max_f32_e32 v56, v60, v60
	v_add_co_u32 v52, vcc_lo, s0, v52
	v_add_co_ci_u32_e32 v53, vcc_lo, s1, v53, vcc_lo
	s_delay_alu instid0(VALU_DEP_4)
	v_add_co_u32 v54, vcc_lo, s4, v54
	v_add_co_ci_u32_e32 v55, vcc_lo, s5, v55, vcc_lo
	s_mov_b32 vcc_lo, s2
	global_store_b32 v[58:59], v61, off
	s_cbranch_vccz .LBB22_77
; %bb.75:
	v_add_co_u32 v57, vcc_lo, v52, v66
	v_min_f32_e32 v59, 0, v56
	v_add_co_ci_u32_e32 v58, vcc_lo, v53, v67, vcc_lo
	s_mov_b32 s6, 0
	global_store_b32 v[57:58], v59, off
	s_cbranch_execz .LBB22_78
; %bb.76:
	v_mov_b32_e32 v56, s6
	s_branch .LBB22_79
.LBB22_77:
	s_mov_b32 s6, -1
.LBB22_78:
	v_add_co_u32 v57, vcc_lo, v54, v66
	v_add_co_ci_u32_e32 v58, vcc_lo, v55, v67, vcc_lo
	flat_load_b32 v57, v[57:58]
	s_waitcnt vmcnt(0) lgkmcnt(0)
	v_mul_f32_e32 v59, s3, v57
	v_add_co_u32 v57, vcc_lo, v52, v66
	v_add_co_ci_u32_e32 v58, vcc_lo, v53, v67, vcc_lo
	s_delay_alu instid0(VALU_DEP_3)
	v_min_f32_e32 v56, v59, v56
	v_add_co_u32 v59, vcc_lo, v54, v64
	v_add_co_ci_u32_e32 v60, vcc_lo, v55, v65, vcc_lo
	global_store_b32 v[57:58], v56, off
	flat_load_b32 v56, v[59:60]
	s_waitcnt vmcnt(0) lgkmcnt(0)
	v_mul_f32_e32 v56, s3, v56
.LBB22_79:
	v_dual_add_f32 v57, v29, v49 :: v_dual_add_f32 v58, v28, v48
	v_dual_add_f32 v59, v25, v49 :: v_dual_add_f32 v60, v24, v48
	v_dual_add_f32 v61, v31, v51 :: v_dual_add_f32 v62, v30, v50
	s_delay_alu instid0(VALU_DEP_3) | instskip(NEXT) | instid1(VALU_DEP_3)
	v_min3_f32 v57, v58, v57, v120
	v_min3_f32 v58, v60, v59, v121
	v_dual_add_f32 v59, v27, v51 :: v_dual_add_f32 v60, v26, v50
	s_delay_alu instid0(VALU_DEP_1) | instskip(SKIP_1) | instid1(VALU_DEP_1)
	v_min3_f32 v59, v60, v59, v58
	v_min_f32_e32 v61, v62, v61
	v_min3_f32 v60, v56, v61, v57
	s_delay_alu instid0(VALU_DEP_3)
	v_max_f32_e32 v56, v59, v59
	v_add_co_u32 v57, vcc_lo, v52, v64
	v_add_co_ci_u32_e32 v58, vcc_lo, v53, v65, vcc_lo
	s_mov_b32 vcc_lo, s2
	global_store_b32 v[57:58], v60, off
	s_cbranch_vccz .LBB22_82
; %bb.80:
	v_add_co_u32 v57, vcc_lo, v52, v70
	v_min_f32_e32 v59, 0, v56
	v_add_co_ci_u32_e32 v58, vcc_lo, v53, v71, vcc_lo
	s_mov_b32 s6, 0
	global_store_b32 v[57:58], v59, off
	s_cbranch_execz .LBB22_83
; %bb.81:
	v_mov_b32_e32 v56, s6
	s_branch .LBB22_84
.LBB22_82:
	s_mov_b32 s6, -1
.LBB22_83:
	v_add_co_u32 v57, vcc_lo, v54, v70
	v_add_co_ci_u32_e32 v58, vcc_lo, v55, v71, vcc_lo
	flat_load_b32 v57, v[57:58]
	s_waitcnt vmcnt(0) lgkmcnt(0)
	v_mul_f32_e32 v59, s3, v57
	v_add_co_u32 v57, vcc_lo, v52, v70
	v_add_co_ci_u32_e32 v58, vcc_lo, v53, v71, vcc_lo
	s_delay_alu instid0(VALU_DEP_3)
	v_min_f32_e32 v56, v59, v56
	v_add_co_u32 v59, vcc_lo, v54, v68
	v_add_co_ci_u32_e32 v60, vcc_lo, v55, v69, vcc_lo
	global_store_b32 v[57:58], v56, off
	flat_load_b32 v56, v[59:60]
	s_waitcnt vmcnt(0) lgkmcnt(0)
	v_mul_f32_e32 v56, s3, v56
.LBB22_84:
	v_dual_add_f32 v57, v21, v49 :: v_dual_add_f32 v58, v20, v48
	v_dual_add_f32 v59, v17, v49 :: v_dual_add_f32 v60, v16, v48
	v_dual_add_f32 v61, v23, v51 :: v_dual_add_f32 v62, v22, v50
	s_delay_alu instid0(VALU_DEP_3) | instskip(NEXT) | instid1(VALU_DEP_3)
	v_min3_f32 v57, v58, v57, v117
	v_min3_f32 v58, v60, v59, v118
	v_dual_add_f32 v59, v19, v51 :: v_dual_add_f32 v60, v18, v50
	s_delay_alu instid0(VALU_DEP_1) | instskip(SKIP_1) | instid1(VALU_DEP_1)
	v_min3_f32 v59, v60, v59, v58
	v_min_f32_e32 v61, v62, v61
	v_min3_f32 v60, v56, v61, v57
	s_delay_alu instid0(VALU_DEP_3)
	v_max_f32_e32 v56, v59, v59
	;; [unrolled: 47-line block ×3, first 2 shown]
	v_add_co_u32 v57, vcc_lo, v52, v72
	v_add_co_ci_u32_e32 v58, vcc_lo, v53, v73, vcc_lo
	s_mov_b32 vcc_lo, s2
	global_store_b32 v[57:58], v60, off
	s_cbranch_vccz .LBB22_92
; %bb.90:
	v_add_co_u32 v57, vcc_lo, v52, v78
	v_min_f32_e32 v59, 0, v56
	v_add_co_ci_u32_e32 v58, vcc_lo, v53, v79, vcc_lo
	s_mov_b32 s6, 0
	global_store_b32 v[57:58], v59, off
	s_cbranch_execz .LBB22_93
; %bb.91:
	v_mov_b32_e32 v54, s6
	s_branch .LBB22_94
.LBB22_92:
	s_mov_b32 s6, -1
.LBB22_93:
	v_add_co_u32 v57, vcc_lo, v54, v78
	v_add_co_ci_u32_e32 v58, vcc_lo, v55, v79, vcc_lo
	flat_load_b32 v57, v[57:58]
	s_waitcnt vmcnt(0) lgkmcnt(0)
	v_mul_f32_e32 v59, s3, v57
	v_add_co_u32 v57, vcc_lo, v52, v78
	v_add_co_ci_u32_e32 v58, vcc_lo, v53, v79, vcc_lo
	v_add_co_u32 v54, vcc_lo, v54, v76
	s_delay_alu instid0(VALU_DEP_4)
	v_min_f32_e32 v56, v59, v56
	v_add_co_ci_u32_e32 v55, vcc_lo, v55, v77, vcc_lo
	global_store_b32 v[57:58], v56, off
	flat_load_b32 v54, v[54:55]
	s_waitcnt vmcnt(0) lgkmcnt(0)
	v_mul_f32_e32 v54, s3, v54
.LBB22_94:
	v_dual_add_f32 v55, v33, v45 :: v_dual_add_f32 v56, v32, v44
	v_dual_add_f32 v49, v1, v49 :: v_dual_add_f32 v48, v0, v48
	;; [unrolled: 1-line block ×3, first 2 shown]
	s_delay_alu instid0(VALU_DEP_3) | instskip(SKIP_1) | instid1(VALU_DEP_4)
	v_min3_f32 v55, v56, v55, v119
	v_add_nc_u32_e32 v56, 0x80, v80
	v_min3_f32 v57, v48, v49, v112
	v_dual_add_f32 v58, v35, v47 :: v_dual_add_f32 v59, v34, v46
	v_min_f32_e32 v60, v50, v51
	s_delay_alu instid0(VALU_DEP_4) | instskip(SKIP_1) | instid1(VALU_DEP_3)
	v_mad_i64_i32 v[48:49], null, v56, s9, 0
	v_mad_i64_i32 v[50:51], null, v56, s8, 0
	v_min3_f32 v57, v54, v60, v57
	v_add_co_u32 v54, vcc_lo, v52, v76
	v_min3_f32 v56, v59, v58, v55
	v_lshlrev_b64 v[48:49], 2, v[48:49]
	v_add_co_ci_u32_e32 v55, vcc_lo, v53, v77, vcc_lo
	v_lshlrev_b64 v[50:51], 2, v[50:51]
	s_delay_alu instid0(VALU_DEP_4) | instskip(NEXT) | instid1(VALU_DEP_4)
	v_max_f32_e32 v52, v56, v56
	v_add_co_u32 v48, vcc_lo, s0, v48
	v_add_co_ci_u32_e32 v49, vcc_lo, s1, v49, vcc_lo
	s_delay_alu instid0(VALU_DEP_4)
	v_add_co_u32 v50, vcc_lo, s4, v50
	v_add_co_ci_u32_e32 v51, vcc_lo, s5, v51, vcc_lo
	s_mov_b32 vcc_lo, s2
	global_store_b32 v[54:55], v57, off
	s_cbranch_vccz .LBB22_97
; %bb.95:
	v_add_co_u32 v53, vcc_lo, v48, v66
	v_min_f32_e32 v55, 0, v52
	v_add_co_ci_u32_e32 v54, vcc_lo, v49, v67, vcc_lo
	s_mov_b32 s6, 0
	global_store_b32 v[53:54], v55, off
	s_cbranch_execz .LBB22_98
; %bb.96:
	v_mov_b32_e32 v52, s6
	s_branch .LBB22_99
.LBB22_97:
	s_mov_b32 s6, -1
.LBB22_98:
	v_add_co_u32 v53, vcc_lo, v50, v66
	v_add_co_ci_u32_e32 v54, vcc_lo, v51, v67, vcc_lo
	flat_load_b32 v53, v[53:54]
	s_waitcnt vmcnt(0) lgkmcnt(0)
	v_mul_f32_e32 v55, s3, v53
	v_add_co_u32 v53, vcc_lo, v48, v66
	v_add_co_ci_u32_e32 v54, vcc_lo, v49, v67, vcc_lo
	s_delay_alu instid0(VALU_DEP_3)
	v_min_f32_e32 v52, v55, v52
	v_add_co_u32 v55, vcc_lo, v50, v64
	v_add_co_ci_u32_e32 v56, vcc_lo, v51, v65, vcc_lo
	global_store_b32 v[53:54], v52, off
	flat_load_b32 v52, v[55:56]
	s_waitcnt vmcnt(0) lgkmcnt(0)
	v_mul_f32_e32 v52, s3, v52
.LBB22_99:
	v_dual_add_f32 v53, v29, v45 :: v_dual_add_f32 v54, v28, v44
	v_dual_add_f32 v55, v25, v45 :: v_dual_add_f32 v56, v24, v44
	v_dual_add_f32 v57, v31, v47 :: v_dual_add_f32 v58, v30, v46
	s_delay_alu instid0(VALU_DEP_3) | instskip(NEXT) | instid1(VALU_DEP_3)
	v_min3_f32 v53, v54, v53, v113
	v_min3_f32 v54, v56, v55, v114
	v_dual_add_f32 v55, v27, v47 :: v_dual_add_f32 v56, v26, v46
	s_delay_alu instid0(VALU_DEP_1) | instskip(SKIP_1) | instid1(VALU_DEP_1)
	v_min3_f32 v55, v56, v55, v54
	v_min_f32_e32 v57, v58, v57
	v_min3_f32 v56, v52, v57, v53
	s_delay_alu instid0(VALU_DEP_3)
	v_max_f32_e32 v52, v55, v55
	v_add_co_u32 v53, vcc_lo, v48, v64
	v_add_co_ci_u32_e32 v54, vcc_lo, v49, v65, vcc_lo
	s_mov_b32 vcc_lo, s2
	global_store_b32 v[53:54], v56, off
	s_cbranch_vccz .LBB22_102
; %bb.100:
	v_add_co_u32 v53, vcc_lo, v48, v70
	v_min_f32_e32 v55, 0, v52
	v_add_co_ci_u32_e32 v54, vcc_lo, v49, v71, vcc_lo
	s_mov_b32 s6, 0
	global_store_b32 v[53:54], v55, off
	s_cbranch_execz .LBB22_103
; %bb.101:
	v_mov_b32_e32 v52, s6
	s_branch .LBB22_104
.LBB22_102:
	s_mov_b32 s6, -1
.LBB22_103:
	v_add_co_u32 v53, vcc_lo, v50, v70
	v_add_co_ci_u32_e32 v54, vcc_lo, v51, v71, vcc_lo
	flat_load_b32 v53, v[53:54]
	s_waitcnt vmcnt(0) lgkmcnt(0)
	v_mul_f32_e32 v55, s3, v53
	v_add_co_u32 v53, vcc_lo, v48, v70
	v_add_co_ci_u32_e32 v54, vcc_lo, v49, v71, vcc_lo
	s_delay_alu instid0(VALU_DEP_3)
	v_min_f32_e32 v52, v55, v52
	v_add_co_u32 v55, vcc_lo, v50, v68
	v_add_co_ci_u32_e32 v56, vcc_lo, v51, v69, vcc_lo
	global_store_b32 v[53:54], v52, off
	flat_load_b32 v52, v[55:56]
	s_waitcnt vmcnt(0) lgkmcnt(0)
	v_mul_f32_e32 v52, s3, v52
.LBB22_104:
	v_dual_add_f32 v53, v21, v45 :: v_dual_add_f32 v54, v20, v44
	v_dual_add_f32 v55, v17, v45 :: v_dual_add_f32 v56, v16, v44
	v_dual_add_f32 v57, v23, v47 :: v_dual_add_f32 v58, v22, v46
	s_delay_alu instid0(VALU_DEP_3) | instskip(NEXT) | instid1(VALU_DEP_3)
	v_min3_f32 v53, v54, v53, v110
	v_min3_f32 v54, v56, v55, v111
	v_dual_add_f32 v55, v19, v47 :: v_dual_add_f32 v56, v18, v46
	s_delay_alu instid0(VALU_DEP_1) | instskip(SKIP_1) | instid1(VALU_DEP_1)
	v_min3_f32 v55, v56, v55, v54
	v_min_f32_e32 v57, v58, v57
	v_min3_f32 v56, v52, v57, v53
	s_delay_alu instid0(VALU_DEP_3)
	v_max_f32_e32 v52, v55, v55
	;; [unrolled: 47-line block ×3, first 2 shown]
	v_add_co_u32 v53, vcc_lo, v48, v72
	v_add_co_ci_u32_e32 v54, vcc_lo, v49, v73, vcc_lo
	s_mov_b32 vcc_lo, s2
	global_store_b32 v[53:54], v56, off
	s_cbranch_vccz .LBB22_112
; %bb.110:
	v_add_co_u32 v53, vcc_lo, v48, v78
	v_min_f32_e32 v55, 0, v52
	v_add_co_ci_u32_e32 v54, vcc_lo, v49, v79, vcc_lo
	s_mov_b32 s6, 0
	global_store_b32 v[53:54], v55, off
	s_cbranch_execz .LBB22_113
; %bb.111:
	v_mov_b32_e32 v50, s6
	s_branch .LBB22_114
.LBB22_112:
	s_mov_b32 s6, -1
.LBB22_113:
	v_add_co_u32 v53, vcc_lo, v50, v78
	v_add_co_ci_u32_e32 v54, vcc_lo, v51, v79, vcc_lo
	flat_load_b32 v53, v[53:54]
	s_waitcnt vmcnt(0) lgkmcnt(0)
	v_mul_f32_e32 v55, s3, v53
	v_add_co_u32 v53, vcc_lo, v48, v78
	v_add_co_ci_u32_e32 v54, vcc_lo, v49, v79, vcc_lo
	v_add_co_u32 v50, vcc_lo, v50, v76
	s_delay_alu instid0(VALU_DEP_4)
	v_min_f32_e32 v52, v55, v52
	v_add_co_ci_u32_e32 v51, vcc_lo, v51, v77, vcc_lo
	global_store_b32 v[53:54], v52, off
	flat_load_b32 v50, v[50:51]
	s_waitcnt vmcnt(0) lgkmcnt(0)
	v_mul_f32_e32 v50, s3, v50
.LBB22_114:
	v_dual_add_f32 v51, v33, v41 :: v_dual_add_f32 v52, v32, v40
	v_dual_add_f32 v45, v1, v45 :: v_dual_add_f32 v44, v0, v44
	v_dual_add_f32 v46, v2, v46 :: v_dual_add_f32 v47, v3, v47
	s_delay_alu instid0(VALU_DEP_3) | instskip(SKIP_1) | instid1(VALU_DEP_4)
	v_min3_f32 v51, v52, v51, v107
	v_add_nc_u32_e32 v52, 0xa0, v80
	v_min3_f32 v53, v44, v45, v106
	v_dual_add_f32 v54, v35, v43 :: v_dual_add_f32 v55, v34, v42
	v_min_f32_e32 v56, v46, v47
	s_delay_alu instid0(VALU_DEP_4) | instskip(SKIP_1) | instid1(VALU_DEP_3)
	v_mad_i64_i32 v[44:45], null, v52, s9, 0
	v_mad_i64_i32 v[46:47], null, v52, s8, 0
	v_min3_f32 v53, v50, v56, v53
	v_add_co_u32 v50, vcc_lo, v48, v76
	v_min3_f32 v52, v55, v54, v51
	v_lshlrev_b64 v[44:45], 2, v[44:45]
	v_add_co_ci_u32_e32 v51, vcc_lo, v49, v77, vcc_lo
	v_lshlrev_b64 v[46:47], 2, v[46:47]
	s_delay_alu instid0(VALU_DEP_4) | instskip(NEXT) | instid1(VALU_DEP_4)
	v_max_f32_e32 v48, v52, v52
	v_add_co_u32 v44, vcc_lo, s0, v44
	v_add_co_ci_u32_e32 v45, vcc_lo, s1, v45, vcc_lo
	s_delay_alu instid0(VALU_DEP_4)
	v_add_co_u32 v46, vcc_lo, s4, v46
	v_add_co_ci_u32_e32 v47, vcc_lo, s5, v47, vcc_lo
	s_mov_b32 vcc_lo, s2
	global_store_b32 v[50:51], v53, off
	s_cbranch_vccz .LBB22_117
; %bb.115:
	v_add_co_u32 v49, vcc_lo, v44, v66
	v_min_f32_e32 v51, 0, v48
	v_add_co_ci_u32_e32 v50, vcc_lo, v45, v67, vcc_lo
	s_mov_b32 s6, 0
	global_store_b32 v[49:50], v51, off
	s_cbranch_execz .LBB22_118
; %bb.116:
	v_mov_b32_e32 v48, s6
	s_branch .LBB22_119
.LBB22_117:
	s_mov_b32 s6, -1
.LBB22_118:
	v_add_co_u32 v49, vcc_lo, v46, v66
	v_add_co_ci_u32_e32 v50, vcc_lo, v47, v67, vcc_lo
	flat_load_b32 v49, v[49:50]
	s_waitcnt vmcnt(0) lgkmcnt(0)
	v_mul_f32_e32 v51, s3, v49
	v_add_co_u32 v49, vcc_lo, v44, v66
	v_add_co_ci_u32_e32 v50, vcc_lo, v45, v67, vcc_lo
	s_delay_alu instid0(VALU_DEP_3)
	v_min_f32_e32 v48, v51, v48
	v_add_co_u32 v51, vcc_lo, v46, v64
	v_add_co_ci_u32_e32 v52, vcc_lo, v47, v65, vcc_lo
	global_store_b32 v[49:50], v48, off
	flat_load_b32 v48, v[51:52]
	s_waitcnt vmcnt(0) lgkmcnt(0)
	v_mul_f32_e32 v48, s3, v48
.LBB22_119:
	v_dual_add_f32 v49, v29, v41 :: v_dual_add_f32 v50, v28, v40
	v_dual_add_f32 v51, v25, v41 :: v_dual_add_f32 v52, v24, v40
	v_dual_add_f32 v53, v31, v43 :: v_dual_add_f32 v54, v30, v42
	s_delay_alu instid0(VALU_DEP_3) | instskip(NEXT) | instid1(VALU_DEP_3)
	v_min3_f32 v49, v50, v49, v104
	v_min3_f32 v50, v52, v51, v105
	v_dual_add_f32 v51, v27, v43 :: v_dual_add_f32 v52, v26, v42
	s_delay_alu instid0(VALU_DEP_1) | instskip(SKIP_1) | instid1(VALU_DEP_1)
	v_min3_f32 v51, v52, v51, v50
	v_min_f32_e32 v53, v54, v53
	v_min3_f32 v52, v48, v53, v49
	s_delay_alu instid0(VALU_DEP_3)
	v_max_f32_e32 v48, v51, v51
	v_add_co_u32 v49, vcc_lo, v44, v64
	v_add_co_ci_u32_e32 v50, vcc_lo, v45, v65, vcc_lo
	s_mov_b32 vcc_lo, s2
	global_store_b32 v[49:50], v52, off
	s_cbranch_vccz .LBB22_122
; %bb.120:
	v_add_co_u32 v49, vcc_lo, v44, v70
	v_min_f32_e32 v51, 0, v48
	v_add_co_ci_u32_e32 v50, vcc_lo, v45, v71, vcc_lo
	s_mov_b32 s6, 0
	global_store_b32 v[49:50], v51, off
	s_cbranch_execz .LBB22_123
; %bb.121:
	v_mov_b32_e32 v48, s6
	s_branch .LBB22_124
.LBB22_122:
	s_mov_b32 s6, -1
.LBB22_123:
	v_add_co_u32 v49, vcc_lo, v46, v70
	v_add_co_ci_u32_e32 v50, vcc_lo, v47, v71, vcc_lo
	flat_load_b32 v49, v[49:50]
	s_waitcnt vmcnt(0) lgkmcnt(0)
	v_mul_f32_e32 v51, s3, v49
	v_add_co_u32 v49, vcc_lo, v44, v70
	v_add_co_ci_u32_e32 v50, vcc_lo, v45, v71, vcc_lo
	s_delay_alu instid0(VALU_DEP_3)
	v_min_f32_e32 v48, v51, v48
	v_add_co_u32 v51, vcc_lo, v46, v68
	v_add_co_ci_u32_e32 v52, vcc_lo, v47, v69, vcc_lo
	global_store_b32 v[49:50], v48, off
	flat_load_b32 v48, v[51:52]
	s_waitcnt vmcnt(0) lgkmcnt(0)
	v_mul_f32_e32 v48, s3, v48
.LBB22_124:
	v_dual_add_f32 v49, v21, v41 :: v_dual_add_f32 v50, v20, v40
	v_dual_add_f32 v51, v17, v41 :: v_dual_add_f32 v52, v16, v40
	v_dual_add_f32 v53, v23, v43 :: v_dual_add_f32 v54, v22, v42
	s_delay_alu instid0(VALU_DEP_3) | instskip(NEXT) | instid1(VALU_DEP_3)
	v_min3_f32 v49, v50, v49, v102
	v_min3_f32 v50, v52, v51, v103
	v_dual_add_f32 v51, v19, v43 :: v_dual_add_f32 v52, v18, v42
	s_delay_alu instid0(VALU_DEP_1) | instskip(SKIP_1) | instid1(VALU_DEP_1)
	v_min3_f32 v51, v52, v51, v50
	v_min_f32_e32 v53, v54, v53
	v_min3_f32 v52, v48, v53, v49
	s_delay_alu instid0(VALU_DEP_3)
	v_max_f32_e32 v48, v51, v51
	;; [unrolled: 47-line block ×3, first 2 shown]
	v_add_co_u32 v49, vcc_lo, v44, v72
	v_add_co_ci_u32_e32 v50, vcc_lo, v45, v73, vcc_lo
	s_mov_b32 vcc_lo, s2
	global_store_b32 v[49:50], v52, off
	s_cbranch_vccz .LBB22_132
; %bb.130:
	v_add_co_u32 v49, vcc_lo, v44, v78
	v_min_f32_e32 v51, 0, v48
	v_add_co_ci_u32_e32 v50, vcc_lo, v45, v79, vcc_lo
	s_mov_b32 s6, 0
	global_store_b32 v[49:50], v51, off
	s_cbranch_execz .LBB22_133
; %bb.131:
	v_mov_b32_e32 v46, s6
	s_branch .LBB22_134
.LBB22_132:
	s_mov_b32 s6, -1
.LBB22_133:
	v_add_co_u32 v49, vcc_lo, v46, v78
	v_add_co_ci_u32_e32 v50, vcc_lo, v47, v79, vcc_lo
	flat_load_b32 v49, v[49:50]
	s_waitcnt vmcnt(0) lgkmcnt(0)
	v_mul_f32_e32 v51, s3, v49
	v_add_co_u32 v49, vcc_lo, v44, v78
	v_add_co_ci_u32_e32 v50, vcc_lo, v45, v79, vcc_lo
	v_add_co_u32 v46, vcc_lo, v46, v76
	s_delay_alu instid0(VALU_DEP_4)
	v_min_f32_e32 v48, v51, v48
	v_add_co_ci_u32_e32 v47, vcc_lo, v47, v77, vcc_lo
	global_store_b32 v[49:50], v48, off
	flat_load_b32 v46, v[46:47]
	s_waitcnt vmcnt(0) lgkmcnt(0)
	v_mul_f32_e32 v46, s3, v46
.LBB22_134:
	v_dual_add_f32 v47, v33, v37 :: v_dual_add_f32 v48, v32, v36
	v_dual_add_f32 v41, v1, v41 :: v_dual_add_f32 v40, v0, v40
	;; [unrolled: 1-line block ×3, first 2 shown]
	s_delay_alu instid0(VALU_DEP_3) | instskip(SKIP_1) | instid1(VALU_DEP_4)
	v_min3_f32 v47, v48, v47, v99
	v_add_nc_u32_e32 v48, 0xc0, v80
	v_min3_f32 v49, v40, v41, v98
	v_dual_add_f32 v50, v35, v39 :: v_dual_add_f32 v51, v34, v38
	v_min_f32_e32 v52, v42, v43
	s_delay_alu instid0(VALU_DEP_4) | instskip(SKIP_1) | instid1(VALU_DEP_3)
	v_mad_i64_i32 v[40:41], null, v48, s9, 0
	v_mad_i64_i32 v[42:43], null, v48, s8, 0
	v_min3_f32 v49, v46, v52, v49
	v_add_co_u32 v46, vcc_lo, v44, v76
	v_min3_f32 v48, v51, v50, v47
	v_lshlrev_b64 v[40:41], 2, v[40:41]
	v_add_co_ci_u32_e32 v47, vcc_lo, v45, v77, vcc_lo
	v_lshlrev_b64 v[42:43], 2, v[42:43]
	s_delay_alu instid0(VALU_DEP_4) | instskip(NEXT) | instid1(VALU_DEP_4)
	v_max_f32_e32 v44, v48, v48
	v_add_co_u32 v40, vcc_lo, s0, v40
	v_add_co_ci_u32_e32 v41, vcc_lo, s1, v41, vcc_lo
	s_delay_alu instid0(VALU_DEP_4)
	v_add_co_u32 v42, vcc_lo, s4, v42
	v_add_co_ci_u32_e32 v43, vcc_lo, s5, v43, vcc_lo
	s_mov_b32 vcc_lo, s2
	global_store_b32 v[46:47], v49, off
	s_cbranch_vccz .LBB22_137
; %bb.135:
	v_add_co_u32 v45, vcc_lo, v40, v66
	v_min_f32_e32 v47, 0, v44
	v_add_co_ci_u32_e32 v46, vcc_lo, v41, v67, vcc_lo
	s_mov_b32 s6, 0
	global_store_b32 v[45:46], v47, off
	s_cbranch_execz .LBB22_138
; %bb.136:
	v_mov_b32_e32 v44, s6
	s_branch .LBB22_139
.LBB22_137:
	s_mov_b32 s6, -1
.LBB22_138:
	v_add_co_u32 v45, vcc_lo, v42, v66
	v_add_co_ci_u32_e32 v46, vcc_lo, v43, v67, vcc_lo
	flat_load_b32 v45, v[45:46]
	s_waitcnt vmcnt(0) lgkmcnt(0)
	v_mul_f32_e32 v47, s3, v45
	v_add_co_u32 v45, vcc_lo, v40, v66
	v_add_co_ci_u32_e32 v46, vcc_lo, v41, v67, vcc_lo
	s_delay_alu instid0(VALU_DEP_3)
	v_min_f32_e32 v44, v47, v44
	v_add_co_u32 v47, vcc_lo, v42, v64
	v_add_co_ci_u32_e32 v48, vcc_lo, v43, v65, vcc_lo
	global_store_b32 v[45:46], v44, off
	flat_load_b32 v44, v[47:48]
	s_waitcnt vmcnt(0) lgkmcnt(0)
	v_mul_f32_e32 v44, s3, v44
.LBB22_139:
	v_dual_add_f32 v45, v29, v37 :: v_dual_add_f32 v46, v28, v36
	v_dual_add_f32 v47, v25, v37 :: v_dual_add_f32 v48, v24, v36
	v_dual_add_f32 v49, v31, v39 :: v_dual_add_f32 v50, v30, v38
	s_delay_alu instid0(VALU_DEP_3) | instskip(NEXT) | instid1(VALU_DEP_3)
	v_min3_f32 v45, v46, v45, v96
	v_min3_f32 v46, v48, v47, v97
	v_dual_add_f32 v47, v27, v39 :: v_dual_add_f32 v48, v26, v38
	s_delay_alu instid0(VALU_DEP_1) | instskip(SKIP_1) | instid1(VALU_DEP_1)
	v_min3_f32 v47, v48, v47, v46
	v_min_f32_e32 v49, v50, v49
	v_min3_f32 v48, v44, v49, v45
	s_delay_alu instid0(VALU_DEP_3)
	v_max_f32_e32 v44, v47, v47
	v_add_co_u32 v45, vcc_lo, v40, v64
	v_add_co_ci_u32_e32 v46, vcc_lo, v41, v65, vcc_lo
	s_mov_b32 vcc_lo, s2
	global_store_b32 v[45:46], v48, off
	s_cbranch_vccz .LBB22_142
; %bb.140:
	v_add_co_u32 v45, vcc_lo, v40, v70
	v_min_f32_e32 v47, 0, v44
	v_add_co_ci_u32_e32 v46, vcc_lo, v41, v71, vcc_lo
	s_mov_b32 s6, 0
	global_store_b32 v[45:46], v47, off
	s_cbranch_execz .LBB22_143
; %bb.141:
	v_mov_b32_e32 v44, s6
	s_branch .LBB22_144
.LBB22_142:
	s_mov_b32 s6, -1
.LBB22_143:
	v_add_co_u32 v45, vcc_lo, v42, v70
	v_add_co_ci_u32_e32 v46, vcc_lo, v43, v71, vcc_lo
	flat_load_b32 v45, v[45:46]
	s_waitcnt vmcnt(0) lgkmcnt(0)
	v_mul_f32_e32 v47, s3, v45
	v_add_co_u32 v45, vcc_lo, v40, v70
	v_add_co_ci_u32_e32 v46, vcc_lo, v41, v71, vcc_lo
	s_delay_alu instid0(VALU_DEP_3)
	v_min_f32_e32 v44, v47, v44
	v_add_co_u32 v47, vcc_lo, v42, v68
	v_add_co_ci_u32_e32 v48, vcc_lo, v43, v69, vcc_lo
	global_store_b32 v[45:46], v44, off
	flat_load_b32 v44, v[47:48]
	s_waitcnt vmcnt(0) lgkmcnt(0)
	v_mul_f32_e32 v44, s3, v44
.LBB22_144:
	v_dual_add_f32 v45, v21, v37 :: v_dual_add_f32 v46, v20, v36
	v_dual_add_f32 v47, v17, v37 :: v_dual_add_f32 v48, v16, v36
	v_dual_add_f32 v49, v23, v39 :: v_dual_add_f32 v50, v22, v38
	s_delay_alu instid0(VALU_DEP_3) | instskip(NEXT) | instid1(VALU_DEP_3)
	v_min3_f32 v45, v46, v45, v93
	v_min3_f32 v46, v48, v47, v94
	v_dual_add_f32 v47, v19, v39 :: v_dual_add_f32 v48, v18, v38
	s_delay_alu instid0(VALU_DEP_1) | instskip(SKIP_1) | instid1(VALU_DEP_1)
	v_min3_f32 v47, v48, v47, v46
	v_min_f32_e32 v49, v50, v49
	v_min3_f32 v48, v44, v49, v45
	s_delay_alu instid0(VALU_DEP_3)
	v_max_f32_e32 v44, v47, v47
	v_add_co_u32 v45, vcc_lo, v40, v68
	v_add_co_ci_u32_e32 v46, vcc_lo, v41, v69, vcc_lo
	s_mov_b32 vcc_lo, s2
	global_store_b32 v[45:46], v48, off
	s_cbranch_vccz .LBB22_147
; %bb.145:
	v_add_co_u32 v45, vcc_lo, v40, v74
	v_min_f32_e32 v47, 0, v44
	v_add_co_ci_u32_e32 v46, vcc_lo, v41, v75, vcc_lo
	s_mov_b32 s6, 0
	global_store_b32 v[45:46], v47, off
	s_cbranch_execz .LBB22_148
; %bb.146:
	v_mov_b32_e32 v44, s6
	s_branch .LBB22_149
.LBB22_147:
	s_mov_b32 s6, -1
.LBB22_148:
	v_add_co_u32 v45, vcc_lo, v42, v74
	v_add_co_ci_u32_e32 v46, vcc_lo, v43, v75, vcc_lo
	flat_load_b32 v45, v[45:46]
	s_waitcnt vmcnt(0) lgkmcnt(0)
	v_mul_f32_e32 v47, s3, v45
	v_add_co_u32 v45, vcc_lo, v40, v74
	v_add_co_ci_u32_e32 v46, vcc_lo, v41, v75, vcc_lo
	s_delay_alu instid0(VALU_DEP_3)
	v_min_f32_e32 v44, v47, v44
	v_add_co_u32 v47, vcc_lo, v42, v72
	v_add_co_ci_u32_e32 v48, vcc_lo, v43, v73, vcc_lo
	global_store_b32 v[45:46], v44, off
	flat_load_b32 v44, v[47:48]
	s_waitcnt vmcnt(0) lgkmcnt(0)
	v_mul_f32_e32 v44, s3, v44
.LBB22_149:
	v_dual_add_f32 v45, v13, v37 :: v_dual_add_f32 v46, v12, v36
	v_dual_add_f32 v47, v9, v37 :: v_dual_add_f32 v48, v8, v36
	v_dual_add_f32 v49, v15, v39 :: v_dual_add_f32 v50, v14, v38
	s_delay_alu instid0(VALU_DEP_3) | instskip(NEXT) | instid1(VALU_DEP_3)
	v_min3_f32 v45, v46, v45, v91
	v_min3_f32 v46, v48, v47, v92
	v_dual_add_f32 v47, v11, v39 :: v_dual_add_f32 v48, v10, v38
	s_delay_alu instid0(VALU_DEP_1) | instskip(SKIP_1) | instid1(VALU_DEP_1)
	v_min3_f32 v47, v48, v47, v46
	v_min_f32_e32 v49, v50, v49
	v_min3_f32 v48, v44, v49, v45
	s_delay_alu instid0(VALU_DEP_3)
	v_max_f32_e32 v44, v47, v47
	v_add_co_u32 v45, vcc_lo, v40, v72
	v_add_co_ci_u32_e32 v46, vcc_lo, v41, v73, vcc_lo
	s_mov_b32 vcc_lo, s2
	global_store_b32 v[45:46], v48, off
	s_cbranch_vccz .LBB22_152
; %bb.150:
	v_add_co_u32 v45, vcc_lo, v40, v78
	v_min_f32_e32 v47, 0, v44
	v_add_co_ci_u32_e32 v46, vcc_lo, v41, v79, vcc_lo
	s_mov_b32 s6, 0
	global_store_b32 v[45:46], v47, off
	s_cbranch_execz .LBB22_153
; %bb.151:
	v_mov_b32_e32 v42, s6
	s_branch .LBB22_154
.LBB22_152:
	s_mov_b32 s6, -1
.LBB22_153:
	v_add_co_u32 v45, vcc_lo, v42, v78
	v_add_co_ci_u32_e32 v46, vcc_lo, v43, v79, vcc_lo
	flat_load_b32 v45, v[45:46]
	s_waitcnt vmcnt(0) lgkmcnt(0)
	v_mul_f32_e32 v47, s3, v45
	v_add_co_u32 v45, vcc_lo, v40, v78
	v_add_co_ci_u32_e32 v46, vcc_lo, v41, v79, vcc_lo
	v_add_co_u32 v42, vcc_lo, v42, v76
	s_delay_alu instid0(VALU_DEP_4)
	v_min_f32_e32 v44, v47, v44
	v_add_co_ci_u32_e32 v43, vcc_lo, v43, v77, vcc_lo
	global_store_b32 v[45:46], v44, off
	flat_load_b32 v42, v[42:43]
	s_waitcnt vmcnt(0) lgkmcnt(0)
	v_mul_f32_e32 v42, s3, v42
.LBB22_154:
	v_dual_add_f32 v37, v1, v37 :: v_dual_add_f32 v36, v0, v36
	s_waitcnt lgkmcnt(0)
	v_dual_add_f32 v33, v33, v5 :: v_dual_add_f32 v32, v32, v4
	v_dual_add_f32 v38, v2, v38 :: v_dual_add_nc_u32 v43, 0xe0, v80
	s_delay_alu instid0(VALU_DEP_3) | instskip(SKIP_1) | instid1(VALU_DEP_4)
	v_min3_f32 v36, v36, v37, v89
	v_add_f32_e32 v39, v3, v39
	v_min3_f32 v37, v32, v33, v90
	s_delay_alu instid0(VALU_DEP_4) | instskip(SKIP_3) | instid1(VALU_DEP_4)
	v_mad_i64_i32 v[32:33], null, v43, s9, 0
	v_dual_add_f32 v44, v35, v7 :: v_dual_add_f32 v45, v34, v6
	v_mad_i64_i32 v[34:35], null, v43, s8, 0
	v_min_f32_e32 v38, v38, v39
	v_lshlrev_b64 v[32:33], 2, v[32:33]
	s_delay_alu instid0(VALU_DEP_4)
	v_min3_f32 v39, v45, v44, v37
	v_add_co_u32 v37, vcc_lo, v40, v76
	v_lshlrev_b64 v[34:35], 2, v[34:35]
	v_min3_f32 v42, v42, v38, v36
	v_add_co_ci_u32_e32 v38, vcc_lo, v41, v77, vcc_lo
	v_add_co_u32 v32, vcc_lo, s0, v32
	v_add_co_ci_u32_e32 v33, vcc_lo, s1, v33, vcc_lo
	v_add_co_u32 v34, vcc_lo, s4, v34
	v_add_co_ci_u32_e32 v35, vcc_lo, s5, v35, vcc_lo
	v_max_f32_e32 v36, v39, v39
	s_mov_b32 vcc_lo, s2
	global_store_b32 v[37:38], v42, off
	s_cbranch_vccz .LBB22_157
; %bb.155:
	v_add_co_u32 v37, vcc_lo, v32, v66
	v_min_f32_e32 v39, 0, v36
	v_add_co_ci_u32_e32 v38, vcc_lo, v33, v67, vcc_lo
	s_mov_b32 s0, 0
	global_store_b32 v[37:38], v39, off
	s_cbranch_execz .LBB22_158
; %bb.156:
	v_mov_b32_e32 v36, s0
	s_branch .LBB22_159
.LBB22_157:
	s_mov_b32 s0, -1
.LBB22_158:
	v_add_co_u32 v37, vcc_lo, v34, v66
	v_add_co_ci_u32_e32 v38, vcc_lo, v35, v67, vcc_lo
	flat_load_b32 v37, v[37:38]
	s_waitcnt vmcnt(0) lgkmcnt(0)
	v_mul_f32_e32 v39, s3, v37
	v_add_co_u32 v37, vcc_lo, v32, v66
	v_add_co_ci_u32_e32 v38, vcc_lo, v33, v67, vcc_lo
	s_delay_alu instid0(VALU_DEP_3)
	v_min_f32_e32 v36, v39, v36
	v_add_co_u32 v39, vcc_lo, v34, v64
	v_add_co_ci_u32_e32 v40, vcc_lo, v35, v65, vcc_lo
	global_store_b32 v[37:38], v36, off
	flat_load_b32 v36, v[39:40]
	s_waitcnt vmcnt(0) lgkmcnt(0)
	v_mul_f32_e32 v36, s3, v36
.LBB22_159:
	v_dual_add_f32 v25, v25, v5 :: v_dual_add_f32 v24, v24, v4
	v_dual_add_f32 v29, v29, v5 :: v_dual_add_f32 v28, v28, v4
	v_dual_add_f32 v31, v31, v7 :: v_dual_add_f32 v30, v30, v6
	s_delay_alu instid0(VALU_DEP_3) | instskip(SKIP_1) | instid1(VALU_DEP_4)
	v_min3_f32 v24, v24, v25, v88
	v_dual_add_f32 v25, v27, v7 :: v_dual_add_f32 v26, v26, v6
	v_min3_f32 v28, v28, v29, v87
	s_delay_alu instid0(VALU_DEP_2) | instskip(SKIP_3) | instid1(VALU_DEP_4)
	v_min3_f32 v24, v26, v25, v24
	v_min_f32_e32 v27, v30, v31
	v_add_co_u32 v25, vcc_lo, v32, v64
	v_add_co_ci_u32_e32 v26, vcc_lo, v33, v65, vcc_lo
	v_max_f32_e32 v24, v24, v24
	s_delay_alu instid0(VALU_DEP_4)
	v_min3_f32 v27, v36, v27, v28
	s_mov_b32 vcc_lo, s2
	global_store_b32 v[25:26], v27, off
	s_cbranch_vccz .LBB22_162
; %bb.160:
	v_add_co_u32 v25, vcc_lo, v32, v70
	v_min_f32_e32 v27, 0, v24
	v_add_co_ci_u32_e32 v26, vcc_lo, v33, v71, vcc_lo
	s_mov_b32 s0, 0
	global_store_b32 v[25:26], v27, off
	s_cbranch_execz .LBB22_163
; %bb.161:
	v_mov_b32_e32 v24, s0
	s_branch .LBB22_164
.LBB22_162:
	s_mov_b32 s0, -1
.LBB22_163:
	v_add_co_u32 v25, vcc_lo, v34, v70
	v_add_co_ci_u32_e32 v26, vcc_lo, v35, v71, vcc_lo
	flat_load_b32 v25, v[25:26]
	s_waitcnt vmcnt(0) lgkmcnt(0)
	v_mul_f32_e32 v27, s3, v25
	v_add_co_u32 v25, vcc_lo, v32, v70
	v_add_co_ci_u32_e32 v26, vcc_lo, v33, v71, vcc_lo
	s_delay_alu instid0(VALU_DEP_3)
	v_min_f32_e32 v24, v27, v24
	v_add_co_u32 v27, vcc_lo, v34, v68
	v_add_co_ci_u32_e32 v28, vcc_lo, v35, v69, vcc_lo
	global_store_b32 v[25:26], v24, off
	flat_load_b32 v24, v[27:28]
	s_waitcnt vmcnt(0) lgkmcnt(0)
	v_mul_f32_e32 v24, s3, v24
.LBB22_164:
	v_dual_add_f32 v17, v17, v5 :: v_dual_add_f32 v16, v16, v4
	v_dual_add_f32 v21, v21, v5 :: v_dual_add_f32 v20, v20, v4
	v_dual_add_f32 v23, v23, v7 :: v_dual_add_f32 v22, v22, v6
	s_delay_alu instid0(VALU_DEP_3) | instskip(SKIP_1) | instid1(VALU_DEP_4)
	v_min3_f32 v16, v16, v17, v86
	v_dual_add_f32 v17, v19, v7 :: v_dual_add_f32 v18, v18, v6
	v_min3_f32 v20, v20, v21, v85
	s_delay_alu instid0(VALU_DEP_2) | instskip(SKIP_3) | instid1(VALU_DEP_4)
	v_min3_f32 v16, v18, v17, v16
	v_min_f32_e32 v19, v22, v23
	v_add_co_u32 v17, vcc_lo, v32, v68
	v_add_co_ci_u32_e32 v18, vcc_lo, v33, v69, vcc_lo
	v_max_f32_e32 v16, v16, v16
	s_delay_alu instid0(VALU_DEP_4)
	v_min3_f32 v19, v24, v19, v20
	;; [unrolled: 47-line block ×3, first 2 shown]
	s_mov_b32 vcc_lo, s2
	global_store_b32 v[9:10], v11, off
	s_cbranch_vccz .LBB22_172
; %bb.170:
	v_add_co_u32 v9, vcc_lo, v32, v78
	v_min_f32_e32 v11, 0, v8
	v_add_co_ci_u32_e32 v10, vcc_lo, v33, v79, vcc_lo
	s_mov_b32 s0, 0
	global_store_b32 v[9:10], v11, off
	s_cbranch_execz .LBB22_173
; %bb.171:
	v_mov_b32_e32 v8, s0
	s_branch .LBB22_174
.LBB22_172:
	s_mov_b32 s0, -1
.LBB22_173:
	v_add_co_u32 v9, vcc_lo, v34, v78
	v_add_co_ci_u32_e32 v10, vcc_lo, v35, v79, vcc_lo
	flat_load_b32 v9, v[9:10]
	s_waitcnt vmcnt(0) lgkmcnt(0)
	v_mul_f32_e32 v11, s3, v9
	v_add_co_u32 v9, vcc_lo, v32, v78
	v_add_co_ci_u32_e32 v10, vcc_lo, v33, v79, vcc_lo
	s_delay_alu instid0(VALU_DEP_3)
	v_min_f32_e32 v8, v11, v8
	v_add_co_u32 v11, vcc_lo, v34, v76
	v_add_co_ci_u32_e32 v12, vcc_lo, v35, v77, vcc_lo
	global_store_b32 v[9:10], v8, off
	flat_load_b32 v8, v[11:12]
	s_waitcnt vmcnt(0) lgkmcnt(0)
	v_mul_f32_e32 v8, s3, v8
.LBB22_174:
	v_dual_add_f32 v3, v3, v7 :: v_dual_add_f32 v2, v2, v6
	v_dual_add_f32 v1, v1, v5 :: v_dual_add_f32 v0, v0, v4
	s_delay_alu instid0(VALU_DEP_2) | instskip(NEXT) | instid1(VALU_DEP_2)
	v_min_f32_e32 v2, v2, v3
	v_min3_f32 v0, v0, v1, v95
	s_delay_alu instid0(VALU_DEP_1)
	v_min3_f32 v2, v8, v2, v0
	v_add_co_u32 v0, vcc_lo, v32, v76
	v_add_co_ci_u32_e32 v1, vcc_lo, v33, v77, vcc_lo
	global_store_b32 v[0:1], v2, off
	s_nop 0
	s_sendmsg sendmsg(MSG_DEALLOC_VGPRS)
	s_endpgm
	.section	.rodata,"a",@progbits
	.p2align	6, 0x0
	.amdhsa_kernel _ZN12_GLOBAL__N_120geam_min_plus_kernelIf15HIP_vector_typeIfLj2EEfLi8ELi32ELi64ELi256ELi4ELi4ELi64ELi64ELi4ELc84ELc84ELb1ELb0ELb1EfKPKfKPfEEviiiT16_PT17_ilSA_ilS8_SA_ilPT18_ili26rocblas_geam_ex_operation_
		.amdhsa_group_segment_fixed_size 10240
		.amdhsa_private_segment_fixed_size 88
		.amdhsa_kernarg_size 128
		.amdhsa_user_sgpr_count 14
		.amdhsa_user_sgpr_dispatch_ptr 0
		.amdhsa_user_sgpr_queue_ptr 0
		.amdhsa_user_sgpr_kernarg_segment_ptr 1
		.amdhsa_user_sgpr_dispatch_id 0
		.amdhsa_user_sgpr_private_segment_size 0
		.amdhsa_wavefront_size32 1
		.amdhsa_uses_dynamic_stack 0
		.amdhsa_enable_private_segment 1
		.amdhsa_system_sgpr_workgroup_id_x 1
		.amdhsa_system_sgpr_workgroup_id_y 0
		.amdhsa_system_sgpr_workgroup_id_z 1
		.amdhsa_system_sgpr_workgroup_info 0
		.amdhsa_system_vgpr_workitem_id 1
		.amdhsa_next_free_vgpr 256
		.amdhsa_next_free_sgpr 22
		.amdhsa_reserve_vcc 1
		.amdhsa_float_round_mode_32 0
		.amdhsa_float_round_mode_16_64 0
		.amdhsa_float_denorm_mode_32 3
		.amdhsa_float_denorm_mode_16_64 3
		.amdhsa_dx10_clamp 1
		.amdhsa_ieee_mode 1
		.amdhsa_fp16_overflow 0
		.amdhsa_workgroup_processor_mode 1
		.amdhsa_memory_ordered 1
		.amdhsa_forward_progress 0
		.amdhsa_shared_vgpr_count 0
		.amdhsa_exception_fp_ieee_invalid_op 0
		.amdhsa_exception_fp_denorm_src 0
		.amdhsa_exception_fp_ieee_div_zero 0
		.amdhsa_exception_fp_ieee_overflow 0
		.amdhsa_exception_fp_ieee_underflow 0
		.amdhsa_exception_fp_ieee_inexact 0
		.amdhsa_exception_int_div_zero 0
	.end_amdhsa_kernel
	.section	.text._ZN12_GLOBAL__N_120geam_min_plus_kernelIf15HIP_vector_typeIfLj2EEfLi8ELi32ELi64ELi256ELi4ELi4ELi64ELi64ELi4ELc84ELc84ELb1ELb0ELb1EfKPKfKPfEEviiiT16_PT17_ilSA_ilS8_SA_ilPT18_ili26rocblas_geam_ex_operation_,"axG",@progbits,_ZN12_GLOBAL__N_120geam_min_plus_kernelIf15HIP_vector_typeIfLj2EEfLi8ELi32ELi64ELi256ELi4ELi4ELi64ELi64ELi4ELc84ELc84ELb1ELb0ELb1EfKPKfKPfEEviiiT16_PT17_ilSA_ilS8_SA_ilPT18_ili26rocblas_geam_ex_operation_,comdat
.Lfunc_end22:
	.size	_ZN12_GLOBAL__N_120geam_min_plus_kernelIf15HIP_vector_typeIfLj2EEfLi8ELi32ELi64ELi256ELi4ELi4ELi64ELi64ELi4ELc84ELc84ELb1ELb0ELb1EfKPKfKPfEEviiiT16_PT17_ilSA_ilS8_SA_ilPT18_ili26rocblas_geam_ex_operation_, .Lfunc_end22-_ZN12_GLOBAL__N_120geam_min_plus_kernelIf15HIP_vector_typeIfLj2EEfLi8ELi32ELi64ELi256ELi4ELi4ELi64ELi64ELi4ELc84ELc84ELb1ELb0ELb1EfKPKfKPfEEviiiT16_PT17_ilSA_ilS8_SA_ilPT18_ili26rocblas_geam_ex_operation_
                                        ; -- End function
	.section	.AMDGPU.csdata,"",@progbits
; Kernel info:
; codeLenInByte = 17840
; NumSgprs: 24
; NumVgprs: 256
; ScratchSize: 88
; MemoryBound: 0
; FloatMode: 240
; IeeeMode: 1
; LDSByteSize: 10240 bytes/workgroup (compile time only)
; SGPRBlocks: 2
; VGPRBlocks: 31
; NumSGPRsForWavesPerEU: 24
; NumVGPRsForWavesPerEU: 256
; Occupancy: 5
; WaveLimiterHint : 1
; COMPUTE_PGM_RSRC2:SCRATCH_EN: 1
; COMPUTE_PGM_RSRC2:USER_SGPR: 14
; COMPUTE_PGM_RSRC2:TRAP_HANDLER: 0
; COMPUTE_PGM_RSRC2:TGID_X_EN: 1
; COMPUTE_PGM_RSRC2:TGID_Y_EN: 0
; COMPUTE_PGM_RSRC2:TGID_Z_EN: 1
; COMPUTE_PGM_RSRC2:TIDIG_COMP_CNT: 1
	.section	.text._ZN12_GLOBAL__N_120geam_min_plus_kernelIf15HIP_vector_typeIfLj2EEfLi8ELi32ELi64ELi256ELi4ELi4ELi64ELi64ELi4ELc84ELc84ELb0ELb0ELb1EfKPKfKPfEEviiiT16_PT17_ilSA_ilS8_SA_ilPT18_ili26rocblas_geam_ex_operation_,"axG",@progbits,_ZN12_GLOBAL__N_120geam_min_plus_kernelIf15HIP_vector_typeIfLj2EEfLi8ELi32ELi64ELi256ELi4ELi4ELi64ELi64ELi4ELc84ELc84ELb0ELb0ELb1EfKPKfKPfEEviiiT16_PT17_ilSA_ilS8_SA_ilPT18_ili26rocblas_geam_ex_operation_,comdat
	.globl	_ZN12_GLOBAL__N_120geam_min_plus_kernelIf15HIP_vector_typeIfLj2EEfLi8ELi32ELi64ELi256ELi4ELi4ELi64ELi64ELi4ELc84ELc84ELb0ELb0ELb1EfKPKfKPfEEviiiT16_PT17_ilSA_ilS8_SA_ilPT18_ili26rocblas_geam_ex_operation_ ; -- Begin function _ZN12_GLOBAL__N_120geam_min_plus_kernelIf15HIP_vector_typeIfLj2EEfLi8ELi32ELi64ELi256ELi4ELi4ELi64ELi64ELi4ELc84ELc84ELb0ELb0ELb1EfKPKfKPfEEviiiT16_PT17_ilSA_ilS8_SA_ilPT18_ili26rocblas_geam_ex_operation_
	.p2align	8
	.type	_ZN12_GLOBAL__N_120geam_min_plus_kernelIf15HIP_vector_typeIfLj2EEfLi8ELi32ELi64ELi256ELi4ELi4ELi64ELi64ELi4ELc84ELc84ELb0ELb0ELb1EfKPKfKPfEEviiiT16_PT17_ilSA_ilS8_SA_ilPT18_ili26rocblas_geam_ex_operation_,@function
_ZN12_GLOBAL__N_120geam_min_plus_kernelIf15HIP_vector_typeIfLj2EEfLi8ELi32ELi64ELi256ELi4ELi4ELi64ELi64ELi4ELc84ELc84ELb0ELb0ELb1EfKPKfKPfEEviiiT16_PT17_ilSA_ilS8_SA_ilPT18_ili26rocblas_geam_ex_operation_: ; @_ZN12_GLOBAL__N_120geam_min_plus_kernelIf15HIP_vector_typeIfLj2EEfLi8ELi32ELi64ELi256ELi4ELi4ELi64ELi64ELi4ELc84ELc84ELb0ELb0ELb1EfKPKfKPfEEviiiT16_PT17_ilSA_ilS8_SA_ilPT18_ili26rocblas_geam_ex_operation_
; %bb.0:
	s_clause 0x1
	s_load_b64 s[8:9], s[0:1], 0x8
	s_load_b128 s[4:7], s[0:1], 0x20
	s_mov_b32 s16, s15
	s_mov_b32 s17, 0
	s_waitcnt lgkmcnt(0)
	v_cmp_eq_f32_e64 s2, s9, 0
	s_delay_alu instid0(VALU_DEP_1)
	s_and_b32 vcc_lo, exec_lo, s2
	s_cbranch_vccnz .LBB23_3
; %bb.1:
	s_load_b64 s[10:11], s[0:1], 0x10
	s_lshl_b64 s[12:13], s[16:17], 3
	s_waitcnt lgkmcnt(0)
	s_add_u32 s10, s10, s12
	s_addc_u32 s11, s11, s13
	s_lshl_b64 s[4:5], s[4:5], 2
	s_load_b64 s[10:11], s[10:11], 0x0
	s_waitcnt lgkmcnt(0)
	s_add_u32 s10, s10, s4
	s_addc_u32 s11, s11, s5
	s_and_not1_b32 vcc_lo, exec_lo, s2
	s_cbranch_vccnz .LBB23_4
.LBB23_2:
	s_mov_b64 s[12:13], 0
	s_and_not1_b32 vcc_lo, exec_lo, s17
	s_cbranch_vccz .LBB23_5
	s_branch .LBB23_6
.LBB23_3:
	s_mov_b64 s[10:11], 0
	s_and_not1_b32 vcc_lo, exec_lo, s2
	s_cbranch_vccz .LBB23_2
.LBB23_4:
	s_mov_b32 s17, -1
                                        ; implicit-def: $sgpr12_sgpr13
.LBB23_5:
	s_mov_b32 s17, 0
	s_load_b64 s[4:5], s[0:1], 0x38
	s_lshl_b64 s[2:3], s[16:17], 3
	s_delay_alu instid0(SALU_CYCLE_1) | instskip(SKIP_4) | instid1(SALU_CYCLE_1)
	s_add_u32 s2, s6, s2
	s_addc_u32 s3, s7, s3
	s_load_b64 s[2:3], s[2:3], 0x0
	s_waitcnt lgkmcnt(0)
	s_lshl_b64 s[4:5], s[4:5], 2
	s_add_u32 s12, s2, s4
	s_addc_u32 s13, s3, s5
.LBB23_6:
	s_clause 0x1
	s_load_b32 s15, s[0:1], 0x40
	s_load_b128 s[4:7], s[0:1], 0x58
	v_cmp_neq_f32_e64 s19, s9, 0
	s_waitcnt lgkmcnt(0)
	v_cmp_eq_f32_e64 s2, s15, 0
	s_delay_alu instid0(VALU_DEP_1) | instskip(NEXT) | instid1(SALU_CYCLE_1)
	s_and_b32 s2, exec_lo, s2
	s_mov_b32 vcc_lo, s2
	s_cbranch_vccnz .LBB23_8
; %bb.7:
	s_load_b64 s[20:21], s[0:1], 0x48
	s_lshl_b64 s[22:23], s[16:17], 3
	s_waitcnt lgkmcnt(0)
	s_add_u32 s20, s20, s22
	s_addc_u32 s21, s21, s23
	s_lshl_b64 s[4:5], s[4:5], 2
	s_load_b64 s[20:21], s[20:21], 0x0
	s_waitcnt lgkmcnt(0)
	s_add_u32 s4, s20, s4
	s_addc_u32 s5, s21, s5
	s_branch .LBB23_9
.LBB23_8:
	s_mov_b64 s[4:5], 0
.LBB23_9:
	s_clause 0x1
	s_load_b32 s3, s[0:1], 0x0
	s_load_b32 s20, s[0:1], 0x18
	s_lshl_b64 s[16:17], s[16:17], 3
	v_and_b32_e32 v150, 0x3ff, v0
	s_add_u32 s6, s6, s16
	s_addc_u32 s7, s7, s17
	v_bfe_u32 v147, v0, 10, 10
	s_load_b64 s[6:7], s[6:7], 0x0
	v_and_b32_e32 v2, 3, v150
	s_delay_alu instid0(VALU_DEP_2) | instskip(NEXT) | instid1(VALU_DEP_2)
	v_lshl_add_u32 v0, v147, 3, v150
	v_lshlrev_b32_e32 v12, 2, v2
	s_delay_alu instid0(VALU_DEP_2) | instskip(SKIP_2) | instid1(SALU_CYCLE_1)
	v_lshrrev_b32_e32 v14, 2, v0
	s_waitcnt lgkmcnt(0)
	s_add_i32 s3, s3, -1
	s_ashr_i32 s16, s3, 31
	s_delay_alu instid0(SALU_CYCLE_1) | instskip(NEXT) | instid1(SALU_CYCLE_1)
	s_lshr_b32 s16, s16, 26
	s_add_i32 s3, s3, s16
	s_delay_alu instid0(SALU_CYCLE_1) | instskip(NEXT) | instid1(SALU_CYCLE_1)
	s_ashr_i32 s3, s3, 6
	s_add_i32 s16, s3, 1
	s_not_b32 s3, s3
	v_cvt_f32_u32_e32 v1, s16
	s_delay_alu instid0(VALU_DEP_1) | instskip(SKIP_2) | instid1(VALU_DEP_1)
	v_rcp_iflag_f32_e32 v1, v1
	s_waitcnt_depctr 0xfff
	v_mul_f32_e32 v1, 0x4f7ffffe, v1
	v_cvt_u32_f32_e32 v1, v1
	s_delay_alu instid0(VALU_DEP_1) | instskip(SKIP_1) | instid1(VALU_DEP_2)
	v_readfirstlane_b32 s17, v1
	v_cndmask_b32_e64 v1, 0, 1, s19
	s_mul_i32 s3, s3, s17
	s_delay_alu instid0(SALU_CYCLE_1) | instskip(NEXT) | instid1(SALU_CYCLE_1)
	s_mul_hi_u32 s3, s17, s3
	s_add_i32 s17, s17, s3
	s_delay_alu instid0(SALU_CYCLE_1) | instskip(NEXT) | instid1(SALU_CYCLE_1)
	s_mul_hi_u32 s3, s14, s17
	s_mul_i32 s17, s3, s16
	s_add_i32 s18, s3, 1
	s_sub_i32 s17, s14, s17
	s_delay_alu instid0(SALU_CYCLE_1)
	s_sub_i32 s21, s17, s16
	s_cmp_ge_u32 s17, s16
	s_cselect_b32 s3, s18, s3
	s_cselect_b32 s17, s21, s17
	s_add_i32 s18, s3, 1
	s_cmp_ge_u32 s17, s16
	s_cselect_b32 s17, s18, s3
	v_cmp_ne_u32_e64 s3, 1, v1
	s_mul_i32 s21, s17, s16
	s_and_not1_b32 vcc_lo, exec_lo, s19
	s_sub_i32 s16, s14, s21
	s_delay_alu instid0(SALU_CYCLE_1) | instskip(NEXT) | instid1(SALU_CYCLE_1)
	s_lshl_b32 s18, s16, 6
	v_add_nc_u32_e32 v7, s18, v14
	s_cbranch_vccnz .LBB23_11
; %bb.10:
	s_delay_alu instid0(VALU_DEP_1) | instskip(NEXT) | instid1(VALU_DEP_1)
	v_mad_i64_i32 v[1:2], null, v7, s20, 0
	v_lshlrev_b64 v[1:2], 2, v[1:2]
	s_delay_alu instid0(VALU_DEP_1) | instskip(NEXT) | instid1(VALU_DEP_2)
	v_add_co_u32 v1, vcc_lo, s10, v1
	v_add_co_ci_u32_e32 v2, vcc_lo, s11, v2, vcc_lo
	s_delay_alu instid0(VALU_DEP_2) | instskip(NEXT) | instid1(VALU_DEP_2)
	v_add_co_u32 v1, vcc_lo, v1, v12
	v_add_co_ci_u32_e32 v2, vcc_lo, 0, v2, vcc_lo
	flat_load_b32 v1, v[1:2]
	s_waitcnt vmcnt(0) lgkmcnt(0)
	v_mul_f32_e32 v2, s9, v1
	s_branch .LBB23_12
.LBB23_11:
	v_mov_b32_e32 v2, 0
.LBB23_12:
	s_load_b32 s16, s[0:1], 0x30
	v_lshrrev_b32_e32 v13, 6, v0
	v_and_b32_e32 v15, 63, v0
	s_lshl_b32 s19, s17, 8
	s_delay_alu instid0(VALU_DEP_1) | instid1(SALU_CYCLE_1)
	v_or_b32_e32 v0, s19, v15
	s_delay_alu instid0(VALU_DEP_1) | instskip(SKIP_3) | instid1(VALU_DEP_1)
	v_ashrrev_i32_e32 v1, 31, v0
	s_waitcnt lgkmcnt(0)
	v_mad_i64_i32 v[3:4], null, s16, v13, 0
	s_ashr_i32 s17, s16, 31
	v_lshlrev_b64 v[3:4], 2, v[3:4]
	s_delay_alu instid0(VALU_DEP_1) | instskip(NEXT) | instid1(VALU_DEP_2)
	v_add_co_u32 v5, vcc_lo, s12, v3
	v_add_co_ci_u32_e32 v6, vcc_lo, s13, v4, vcc_lo
	s_and_b32 vcc_lo, exec_lo, s3
	s_cbranch_vccnz .LBB23_16
; %bb.13:
	v_lshlrev_b64 v[3:4], 2, v[0:1]
	s_delay_alu instid0(VALU_DEP_1) | instskip(NEXT) | instid1(VALU_DEP_2)
	v_add_co_u32 v3, vcc_lo, v5, v3
	v_add_co_ci_u32_e32 v4, vcc_lo, v6, v4, vcc_lo
	s_clause 0x1
	flat_load_b32 v8, v[3:4]
	flat_load_b32 v4, v[3:4] offset:256
	s_waitcnt vmcnt(1) lgkmcnt(1)
	v_mul_f32_e32 v3, s9, v8
	s_waitcnt vmcnt(0) lgkmcnt(0)
	v_mul_f32_e32 v4, s9, v4
	s_and_b32 vcc_lo, exec_lo, s3
	s_cbranch_vccnz .LBB23_17
.LBB23_14:
	v_lshlrev_b64 v[8:9], 2, v[0:1]
	s_delay_alu instid0(VALU_DEP_1) | instskip(NEXT) | instid1(VALU_DEP_2)
	v_add_co_u32 v5, vcc_lo, v5, v8
	v_add_co_ci_u32_e32 v6, vcc_lo, v6, v9, vcc_lo
	s_clause 0x1
	flat_load_b32 v8, v[5:6] offset:512
	flat_load_b32 v6, v[5:6] offset:768
	s_waitcnt vmcnt(0) lgkmcnt(0)
	v_dual_mul_f32 v5, s9, v8 :: v_dual_mul_f32 v6, s9, v6
	s_and_b32 vcc_lo, exec_lo, s3
	s_cbranch_vccnz .LBB23_18
.LBB23_15:
	v_mad_i64_i32 v[8:9], null, v7, s20, 0
	s_delay_alu instid0(VALU_DEP_1) | instskip(NEXT) | instid1(VALU_DEP_1)
	v_lshlrev_b64 v[7:8], 2, v[8:9]
	v_add_co_u32 v7, vcc_lo, s10, v7
	s_delay_alu instid0(VALU_DEP_2) | instskip(NEXT) | instid1(VALU_DEP_2)
	v_add_co_ci_u32_e32 v8, vcc_lo, s11, v8, vcc_lo
	v_add_co_u32 v7, vcc_lo, v7, v12
	s_delay_alu instid0(VALU_DEP_2)
	v_add_co_ci_u32_e32 v8, vcc_lo, 0, v8, vcc_lo
	flat_load_b32 v7, v[7:8] offset:16
	s_waitcnt vmcnt(0) lgkmcnt(0)
	v_mul_f32_e32 v7, s9, v7
	s_branch .LBB23_19
.LBB23_16:
	v_dual_mov_b32 v3, 0 :: v_dual_mov_b32 v4, 0
	s_and_b32 vcc_lo, exec_lo, s3
	s_cbranch_vccz .LBB23_14
.LBB23_17:
	v_dual_mov_b32 v5, 0 :: v_dual_mov_b32 v6, 0
	s_and_b32 vcc_lo, exec_lo, s3
	s_cbranch_vccz .LBB23_15
.LBB23_18:
	v_mov_b32_e32 v7, 0
.LBB23_19:
	v_add_nc_u32_e32 v9, 4, v13
	scratch_store_b32 off, v7, off          ; 4-byte Folded Spill
	v_mad_i64_i32 v[7:8], null, s16, v9, 0
	s_delay_alu instid0(VALU_DEP_1) | instskip(NEXT) | instid1(VALU_DEP_1)
	v_lshlrev_b64 v[7:8], 2, v[7:8]
	v_add_co_u32 v7, vcc_lo, s12, v7
	s_delay_alu instid0(VALU_DEP_2)
	v_add_co_ci_u32_e32 v8, vcc_lo, s13, v8, vcc_lo
	s_and_b32 vcc_lo, exec_lo, s3
	s_cbranch_vccnz .LBB23_22
; %bb.20:
	v_lshlrev_b64 v[9:10], 2, v[0:1]
	s_delay_alu instid0(VALU_DEP_1) | instskip(NEXT) | instid1(VALU_DEP_2)
	v_add_co_u32 v9, vcc_lo, v7, v9
	v_add_co_ci_u32_e32 v10, vcc_lo, v8, v10, vcc_lo
	s_clause 0x1
	flat_load_b32 v11, v[9:10]
	flat_load_b32 v9, v[9:10] offset:256
	s_waitcnt vmcnt(0) lgkmcnt(0)
	v_dual_mul_f32 v10, s9, v11 :: v_dual_mul_f32 v9, s9, v9
	scratch_store_b32 off, v10, off offset:4 ; 4-byte Folded Spill
	s_and_b32 vcc_lo, exec_lo, s3
	scratch_store_b32 off, v9, off offset:8 ; 4-byte Folded Spill
	s_cbranch_vccnz .LBB23_23
.LBB23_21:
	v_lshlrev_b64 v[0:1], 2, v[0:1]
	s_delay_alu instid0(VALU_DEP_1) | instskip(NEXT) | instid1(VALU_DEP_2)
	v_add_co_u32 v0, vcc_lo, v7, v0
	v_add_co_ci_u32_e32 v1, vcc_lo, v8, v1, vcc_lo
	s_clause 0x1
	flat_load_b32 v7, v[0:1] offset:512
	flat_load_b32 v0, v[0:1] offset:768
	s_waitcnt vmcnt(0) lgkmcnt(0)
	v_dual_mul_f32 v1, s9, v7 :: v_dual_mul_f32 v0, s9, v0
	scratch_store_b32 off, v1, off offset:12 ; 4-byte Folded Spill
	s_branch .LBB23_24
.LBB23_22:
	v_mov_b32_e32 v9, 0
	scratch_store_b32 off, v9, off offset:4 ; 4-byte Folded Spill
	v_mov_b32_e32 v9, 0
	s_and_b32 vcc_lo, exec_lo, s3
	scratch_store_b32 off, v9, off offset:8 ; 4-byte Folded Spill
	s_cbranch_vccz .LBB23_21
.LBB23_23:
	v_mov_b32_e32 v0, 0
	scratch_store_b32 off, v0, off offset:12 ; 4-byte Folded Spill
	v_mov_b32_e32 v0, 0
.LBB23_24:
	v_lshl_or_b32 v1, v14, 4, v12
	scratch_store_b32 off, v0, off offset:16 ; 4-byte Folded Spill
	v_lshlrev_b32_e32 v0, 2, v13
	v_lshlrev_b32_e32 v72, 4, v147
	;; [unrolled: 1-line block ×3, first 2 shown]
	scratch_store_b32 off, v1, off offset:20 ; 4-byte Folded Spill
	s_cmp_lt_i32 s8, 9
	v_lshl_add_u32 v74, v15, 4, v0
	ds_store_b32 v1, v2 offset:8192
	ds_store_2addr_stride64_b32 v74, v3, v4 offset1:4
	ds_store_2addr_stride64_b32 v74, v5, v6 offset0:8 offset1:12
	s_waitcnt lgkmcnt(0)
	s_waitcnt_vscnt null, 0x0
	s_barrier
	buffer_gl0_inv
	ds_load_b128 v[26:29], v72
	ds_load_b128 v[0:3], v152 offset:8192
	s_clause 0x3
	scratch_store_b32 off, v12, off offset:60
	scratch_store_b32 off, v13, off offset:64
	;; [unrolled: 1-line block ×4, first 2 shown]
	ds_load_b128 v[12:15], v152 offset:8320
	ds_load_b128 v[8:11], v152 offset:8448
	ds_load_b128 v[4:7], v152 offset:8576
	ds_load_b128 v[30:33], v72 offset:512
	s_waitcnt lgkmcnt(3)
	v_dual_add_f32 v142, v12, v26 :: v_dual_add_f32 v83, v14, v28
	v_dual_add_f32 v16, v1, v27 :: v_dual_add_f32 v149, v3, v29
	v_add_f32_e32 v135, v15, v29
	s_waitcnt lgkmcnt(2)
	v_add_f32_e32 v81, v10, v28
	v_add_f32_e32 v145, v8, v26
	scratch_store_b32 off, v16, off offset:24 ; 4-byte Folded Spill
	v_add_f32_e32 v16, v13, v27
	s_waitcnt lgkmcnt(0)
	v_dual_add_f32 v128, v2, v28 :: v_dual_add_f32 v91, v9, v31
	v_dual_add_f32 v85, v6, v28 :: v_dual_add_f32 v136, v11, v29
	v_add_f32_e32 v93, v5, v31
	scratch_store_b32 off, v16, off offset:28 ; 4-byte Folded Spill
	v_add_f32_e32 v16, v9, v27
	v_add_f32_e32 v130, v7, v29
	v_dual_add_f32 v88, v0, v30 :: v_dual_add_f32 v105, v15, v33
	v_dual_add_f32 v90, v12, v30 :: v_dual_add_f32 v107, v11, v33
	scratch_store_b32 off, v16, off offset:32 ; 4-byte Folded Spill
	v_add_f32_e32 v16, v5, v27
	v_dual_add_f32 v92, v8, v30 :: v_dual_add_f32 v109, v7, v33
	v_add_f32_e32 v104, v2, v32
	v_add_f32_e32 v110, v6, v32
	scratch_store_b32 off, v16, off offset:36 ; 4-byte Folded Spill
	v_dual_add_f32 v16, v4, v26 :: v_dual_add_f32 v87, v1, v31
	v_add_f32_e32 v103, v3, v33
	v_add_f32_e32 v89, v13, v31
	scratch_store_b32 off, v16, off offset:40 ; 4-byte Folded Spill
	ds_load_b128 v[34:37], v152 offset:8704
	ds_load_b128 v[38:41], v152 offset:8832
	v_add_f32_e32 v94, v4, v30
	s_waitcnt lgkmcnt(1)
	v_dual_add_f32 v106, v14, v32 :: v_dual_add_f32 v143, v35, v27
	s_waitcnt lgkmcnt(0)
	v_dual_add_f32 v16, v39, v27 :: v_dual_add_f32 v111, v37, v33
	v_dual_add_f32 v140, v34, v26 :: v_dual_add_f32 v129, v36, v28
	v_add_f32_e32 v131, v37, v29
	scratch_store_b32 off, v16, off offset:44 ; 4-byte Folded Spill
	v_add_f32_e32 v16, v38, v26
	v_dual_add_f32 v132, v41, v29 :: v_dual_add_f32 v95, v35, v31
	v_dual_add_f32 v82, v40, v28 :: v_dual_add_f32 v97, v39, v31
	scratch_store_b32 off, v16, off offset:48 ; 4-byte Folded Spill
	ds_load_b128 v[42:45], v152 offset:8960
	ds_load_b128 v[46:49], v152 offset:9088
	v_add_f32_e32 v144, v0, v26
	v_add_f32_e32 v96, v34, v30
	;; [unrolled: 1-line block ×4, first 2 shown]
	v_dual_add_f32 v112, v36, v32 :: v_dual_add_f32 v113, v41, v33
	s_waitcnt lgkmcnt(1)
	v_dual_add_f32 v114, v40, v32 :: v_dual_add_f32 v141, v43, v27
	s_waitcnt lgkmcnt(0)
	v_dual_add_f32 v16, v47, v27 :: v_dual_add_f32 v137, v42, v26
	v_dual_add_f32 v133, v45, v29 :: v_dual_add_f32 v84, v44, v28
	v_add_f32_e32 v99, v43, v31
	scratch_store_b32 off, v16, off offset:52 ; 4-byte Folded Spill
	v_add_f32_e32 v16, v46, v26
	v_dual_add_f32 v134, v49, v29 :: v_dual_add_f32 v101, v47, v31
	v_add_f32_e32 v86, v48, v28
	v_add_f32_e32 v100, v42, v30
	scratch_store_b32 off, v16, off offset:56 ; 4-byte Folded Spill
	v_dual_add_f32 v102, v46, v30 :: v_dual_add_f32 v115, v45, v33
	v_dual_add_f32 v116, v44, v32 :: v_dual_add_f32 v117, v49, v33
	v_add_f32_e32 v118, v48, v32
	ds_load_b128 v[26:29], v72 offset:1024
	ds_load_b128 v[30:33], v72 offset:1536
	s_waitcnt lgkmcnt(1)
	v_add_f32_e32 v119, v1, v27
	s_waitcnt lgkmcnt(0)
	v_add_f32_e32 v179, v38, v30
	v_dual_add_f32 v120, v0, v26 :: v_dual_add_f32 v127, v2, v28
	v_dual_add_f32 v121, v13, v27 :: v_dual_add_f32 v122, v12, v26
	v_add_f32_e32 v155, v14, v28
	v_dual_add_f32 v123, v9, v27 :: v_dual_add_f32 v124, v8, v26
	v_add_f32_e32 v157, v10, v28
	;; [unrolled: 2-line block ×3, first 2 shown]
	v_dual_add_f32 v139, v35, v27 :: v_dual_add_f32 v146, v34, v26
	v_dual_add_f32 v161, v36, v28 :: v_dual_add_f32 v78, v39, v27
	;; [unrolled: 1-line block ×3, first 2 shown]
	v_add_f32_e32 v165, v44, v28
	v_add_f32_e32 v79, v43, v27
	v_dual_add_f32 v151, v42, v26 :: v_dual_add_f32 v80, v47, v27
	v_add_f32_e32 v167, v48, v28
	v_dual_add_f32 v153, v46, v26 :: v_dual_add_f32 v126, v3, v29
	v_dual_add_f32 v171, v12, v30 :: v_dual_add_f32 v154, v15, v29
	;; [unrolled: 1-line block ×9, first 2 shown]
	v_add_f32_e32 v191, v6, v32
	v_dual_add_f32 v169, v0, v30 :: v_dual_add_f32 v170, v13, v31
	v_dual_add_f32 v193, v36, v32 :: v_dual_add_f32 v172, v9, v31
	;; [unrolled: 1-line block ×4, first 2 shown]
	v_add_f32_e32 v75, v48, v32
	v_dual_add_f32 v177, v34, v30 :: v_dual_add_f32 v178, v39, v31
	v_add_f32_e32 v180, v43, v31
	v_add_f32_e32 v182, v47, v31
	;; [unrolled: 1-line block ×10, first 2 shown]
	ds_load_b128 v[26:29], v72 offset:2048
	ds_load_b128 v[30:33], v72 offset:2560
	s_waitcnt lgkmcnt(1)
	v_dual_add_f32 v221, v10, v28 :: v_dual_add_f32 v200, v1, v27
	v_add_f32_e32 v223, v6, v28
	v_dual_add_f32 v201, v0, v26 :: v_dual_add_f32 v202, v13, v27
	v_add_f32_e32 v225, v36, v28
	;; [unrolled: 2-line block ×5, first 2 shown]
	v_dual_add_f32 v209, v34, v26 :: v_dual_add_f32 v210, v39, v27
	s_waitcnt lgkmcnt(0)
	v_add_f32_e32 v233, v0, v30
	v_dual_add_f32 v211, v38, v26 :: v_dual_add_f32 v212, v43, v27
	v_add_f32_e32 v235, v12, v30
	v_dual_add_f32 v213, v42, v26 :: v_dual_add_f32 v214, v47, v27
	;; [unrolled: 2-line block ×5, first 2 shown]
	v_dual_add_f32 v243, v38, v30 :: v_dual_add_f32 v222, v7, v29
	v_dual_add_f32 v245, v42, v30 :: v_dual_add_f32 v224, v37, v29
	;; [unrolled: 1-line block ×9, first 2 shown]
	v_add_f32_e32 v240, v35, v31
	v_add_f32_e32 v242, v39, v31
	;; [unrolled: 1-line block ×14, first 2 shown]
	ds_load_b128 v[26:29], v72 offset:3072
	ds_load_b128 v[30:33], v72 offset:3584
	s_waitcnt lgkmcnt(1)
	v_dual_add_f32 v25, v11, v29 :: v_dual_add_f32 v56, v0, v26
	v_add_f32_e32 v73, v41, v29
	v_add_f32_e32 v51, v12, v26
	;; [unrolled: 1-line block ×8, first 2 shown]
	s_waitcnt lgkmcnt(0)
	v_add_f32_e32 v0, v0, v30
	v_dual_add_f32 v12, v12, v30 :: v_dual_add_f32 v41, v41, v33
	v_add_f32_e32 v8, v8, v30
	v_add_f32_e32 v4, v4, v30
	;; [unrolled: 1-line block ×6, first 2 shown]
	scratch_load_b32 v46, off, off offset:24 ; 4-byte Folded Reload
	v_dual_add_f32 v54, v1, v27 :: v_dual_add_f32 v17, v7, v29
	v_add_f32_e32 v21, v13, v27
	v_add_f32_e32 v53, v9, v27
	;; [unrolled: 1-line block ×3, first 2 shown]
	v_dual_add_f32 v60, v35, v27 :: v_dual_add_f32 v199, v44, v28
	v_add_f32_e32 v59, v39, v27
	v_add_f32_e32 v23, v43, v27
	;; [unrolled: 1-line block ×3, first 2 shown]
	v_dual_add_f32 v64, v3, v29 :: v_dual_add_f32 v9, v9, v31
	v_add_f32_e32 v63, v2, v28
	v_add_f32_e32 v24, v14, v28
	v_dual_add_f32 v66, v10, v28 :: v_dual_add_f32 v11, v11, v33
	v_dual_add_f32 v68, v6, v28 :: v_dual_add_f32 v5, v5, v31
	;; [unrolled: 1-line block ×4, first 2 shown]
	v_add_f32_e32 v39, v39, v31
	v_dual_add_f32 v13, v13, v31 :: v_dual_add_f32 v14, v14, v32
	v_dual_add_f32 v43, v43, v31 :: v_dual_add_f32 v10, v10, v32
	v_add_f32_e32 v31, v47, v31
	v_add_f32_e32 v67, v37, v29
	;; [unrolled: 1-line block ×4, first 2 shown]
	v_min3_f32 v0, v0, v1, 0x7f7fffff
	v_add_f32_e32 v65, v15, v29
	v_add_f32_e32 v15, v15, v33
	;; [unrolled: 1-line block ×5, first 2 shown]
	v_dual_add_f32 v28, v48, v28 :: v_dual_add_f32 v7, v7, v33
	v_dual_add_f32 v6, v6, v32 :: v_dual_add_f32 v33, v49, v33
	v_add_f32_e32 v36, v36, v32
	v_add_f32_e32 v40, v40, v32
	;; [unrolled: 1-line block ×3, first 2 shown]
	v_dual_add_f32 v32, v48, v32 :: v_dual_add_f32 v29, v49, v29
	s_waitcnt vmcnt(0)
	v_min3_f32 v46, v144, v46, 0x7f7fffff
	s_delay_alu instid0(VALU_DEP_1) | instskip(SKIP_3) | instid1(VALU_DEP_1)
	v_min3_f32 v149, v128, v149, v46
	scratch_load_b32 v46, off, off offset:28 ; 4-byte Folded Reload
	s_waitcnt vmcnt(0)
	v_min3_f32 v46, v142, v46, 0x7f7fffff
	v_min3_f32 v144, v83, v135, v46
	scratch_load_b32 v46, off, off offset:32 ; 4-byte Folded Reload
	s_waitcnt vmcnt(0)
	v_min3_f32 v46, v145, v46, 0x7f7fffff
	s_delay_alu instid0(VALU_DEP_1)
	v_min3_f32 v145, v81, v136, v46
	s_clause 0x1
	scratch_load_b32 v46, off, off offset:36
	scratch_load_b32 v47, off, off offset:40
	s_waitcnt vmcnt(0)
	v_min3_f32 v46, v47, v46, 0x7f7fffff
	s_delay_alu instid0(VALU_DEP_1) | instskip(SKIP_1) | instid1(VALU_DEP_1)
	v_min3_f32 v142, v85, v130, v46
	v_min3_f32 v46, v140, v143, 0x7f7fffff
	v_min3_f32 v143, v129, v131, v46
	s_clause 0x1
	scratch_load_b32 v46, off, off offset:44
	scratch_load_b32 v47, off, off offset:48
	s_waitcnt vmcnt(0)
	v_min3_f32 v46, v47, v46, 0x7f7fffff
	s_delay_alu instid0(VALU_DEP_1) | instskip(SKIP_1) | instid1(VALU_DEP_1)
	v_min3_f32 v140, v82, v132, v46
	v_min3_f32 v46, v137, v141, 0x7f7fffff
	;; [unrolled: 1-line block ×3, first 2 shown]
	s_clause 0x1
	scratch_load_b32 v46, off, off offset:52
	scratch_load_b32 v47, off, off offset:56
	s_waitcnt vmcnt(0)
	v_min3_f32 v46, v47, v46, 0x7f7fffff
	s_delay_alu instid0(VALU_DEP_1) | instskip(SKIP_3) | instid1(VALU_DEP_3)
	v_min3_f32 v137, v86, v134, v46
	v_min3_f32 v46, v88, v87, 0x7f7fffff
	;; [unrolled: 1-line block ×6, first 2 shown]
	s_delay_alu instid0(VALU_DEP_3) | instskip(SKIP_1) | instid1(VALU_DEP_3)
	v_min3_f32 v86, v14, v15, v0
	v_min3_f32 v0, v8, v9, 0x7f7fffff
	v_min3_f32 v134, v106, v105, v46
	v_min3_f32 v46, v92, v91, 0x7f7fffff
	s_delay_alu instid0(VALU_DEP_3) | instskip(SKIP_1) | instid1(VALU_DEP_3)
	v_min3_f32 v85, v10, v11, v0
	v_min3_f32 v0, v4, v5, 0x7f7fffff
	v_min3_f32 v135, v108, v107, v46
	v_min3_f32 v46, v94, v93, 0x7f7fffff
	;; [unrolled: 5-line block ×6, first 2 shown]
	s_delay_alu instid0(VALU_DEP_1) | instskip(SKIP_1) | instid1(VALU_DEP_1)
	v_min3_f32 v128, v118, v117, v46
	v_min3_f32 v46, v120, v119, 0x7f7fffff
	v_min3_f32 v129, v127, v126, v46
	v_min3_f32 v46, v122, v121, 0x7f7fffff
	s_delay_alu instid0(VALU_DEP_1) | instskip(SKIP_1) | instid1(VALU_DEP_1)
	v_min3_f32 v127, v155, v154, v46
	v_min3_f32 v46, v124, v123, 0x7f7fffff
	v_min3_f32 v126, v157, v156, v46
	v_min3_f32 v46, v138, v125, 0x7f7fffff
	;; [unrolled: 5-line block ×4, first 2 shown]
	v_min3_f32 v80, v32, v33, v0
	s_clause 0x1
	scratch_load_b32 v0, off, off offset:4
	scratch_load_b32 v1, off, off offset:8
	v_min3_f32 v120, v167, v166, v46
	v_min3_f32 v46, v169, v168, 0x7f7fffff
	s_delay_alu instid0(VALU_DEP_1) | instskip(SKIP_1) | instid1(VALU_DEP_1)
	v_min3_f32 v121, v185, v184, v46
	v_min3_f32 v46, v171, v170, 0x7f7fffff
	v_min3_f32 v118, v187, v186, v46
	v_min3_f32 v46, v173, v172, 0x7f7fffff
	s_delay_alu instid0(VALU_DEP_1) | instskip(SKIP_1) | instid1(VALU_DEP_1)
	v_min3_f32 v119, v189, v188, v46
	v_min3_f32 v46, v175, v174, 0x7f7fffff
	v_min3_f32 v117, v191, v190, v46
	v_min3_f32 v46, v177, v176, 0x7f7fffff
	s_delay_alu instid0(VALU_DEP_1) | instskip(SKIP_1) | instid1(VALU_DEP_1)
	v_min3_f32 v116, v193, v192, v46
	v_min3_f32 v46, v179, v178, 0x7f7fffff
	v_min3_f32 v114, v195, v194, v46
	v_min3_f32 v46, v181, v180, 0x7f7fffff
	s_delay_alu instid0(VALU_DEP_1) | instskip(SKIP_1) | instid1(VALU_DEP_1)
	v_min3_f32 v115, v77, v196, v46
	v_min3_f32 v46, v183, v182, 0x7f7fffff
	v_min3_f32 v112, v75, v76, v46
	v_min3_f32 v46, v201, v200, 0x7f7fffff
	s_delay_alu instid0(VALU_DEP_1) | instskip(SKIP_1) | instid1(VALU_DEP_1)
	v_min3_f32 v113, v217, v216, v46
	v_min3_f32 v46, v203, v202, 0x7f7fffff
	v_min3_f32 v109, v219, v218, v46
	v_min3_f32 v46, v205, v204, 0x7f7fffff
	s_delay_alu instid0(VALU_DEP_1) | instskip(SKIP_1) | instid1(VALU_DEP_1)
	v_min3_f32 v110, v221, v220, v46
	v_min3_f32 v46, v207, v206, 0x7f7fffff
	v_min3_f32 v107, v223, v222, v46
	v_min3_f32 v46, v209, v208, 0x7f7fffff
	s_delay_alu instid0(VALU_DEP_1) | instskip(SKIP_1) | instid1(VALU_DEP_1)
	v_min3_f32 v108, v225, v224, v46
	v_min3_f32 v46, v211, v210, 0x7f7fffff
	v_min3_f32 v106, v227, v226, v46
	v_min3_f32 v46, v213, v212, 0x7f7fffff
	s_delay_alu instid0(VALU_DEP_1) | instskip(SKIP_1) | instid1(VALU_DEP_1)
	v_min3_f32 v105, v229, v228, v46
	v_min3_f32 v46, v215, v214, 0x7f7fffff
	v_min3_f32 v103, v231, v230, v46
	v_min3_f32 v46, v233, v232, 0x7f7fffff
	s_delay_alu instid0(VALU_DEP_1) | instskip(SKIP_1) | instid1(VALU_DEP_1)
	v_min3_f32 v104, v249, v248, v46
	v_min3_f32 v46, v235, v234, 0x7f7fffff
	v_min3_f32 v101, v251, v250, v46
	v_min3_f32 v46, v237, v236, 0x7f7fffff
	s_delay_alu instid0(VALU_DEP_1) | instskip(SKIP_1) | instid1(VALU_DEP_1)
	v_min3_f32 v102, v253, v252, v46
	v_min3_f32 v46, v239, v238, 0x7f7fffff
	v_min3_f32 v99, v255, v254, v46
	v_min3_f32 v46, v241, v240, 0x7f7fffff
	s_delay_alu instid0(VALU_DEP_1) | instskip(SKIP_1) | instid1(VALU_DEP_1)
	v_min3_f32 v100, v71, v70, v46
	v_min3_f32 v46, v243, v242, 0x7f7fffff
	v_min3_f32 v97, v19, v18, v46
	v_min3_f32 v18, v245, v244, 0x7f7fffff
	s_delay_alu instid0(VALU_DEP_1) | instskip(SKIP_1) | instid1(VALU_DEP_1)
	v_min3_f32 v98, v20, v16, v18
	v_min3_f32 v16, v247, v246, 0x7f7fffff
	v_min3_f32 v96, v52, v50, v16
	v_min3_f32 v16, v56, v54, 0x7f7fffff
	s_delay_alu instid0(VALU_DEP_1) | instskip(SKIP_1) | instid1(VALU_DEP_1)
	v_min3_f32 v95, v63, v64, v16
	v_min3_f32 v16, v51, v21, 0x7f7fffff
	v_min3_f32 v93, v24, v65, v16
	v_min3_f32 v16, v55, v53, 0x7f7fffff
	s_delay_alu instid0(VALU_DEP_1) | instskip(SKIP_1) | instid1(VALU_DEP_1)
	v_min3_f32 v94, v66, v25, v16
	v_min3_f32 v16, v58, v57, 0x7f7fffff
	v_min3_f32 v91, v68, v17, v16
	v_min3_f32 v16, v22, v60, 0x7f7fffff
	s_delay_alu instid0(VALU_DEP_1) | instskip(SKIP_1) | instid1(VALU_DEP_1)
	v_min3_f32 v92, v69, v67, v16
	v_min3_f32 v16, v61, v59, 0x7f7fffff
	v_min3_f32 v89, v197, v73, v16
	v_min3_f32 v16, v62, v23, 0x7f7fffff
	s_delay_alu instid0(VALU_DEP_1) | instskip(SKIP_1) | instid1(VALU_DEP_1)
	v_min3_f32 v90, v199, v198, v16
	v_min3_f32 v16, v26, v27, 0x7f7fffff
	v_min3_f32 v87, v28, v29, v16
	s_waitcnt vmcnt(0)
	ds_store_2addr_stride64_b32 v74, v0, v1 offset0:16 offset1:20
	s_clause 0x1
	scratch_load_b32 v0, off, off offset:12
	scratch_load_b32 v1, off, off offset:16
	s_waitcnt vmcnt(0)
	ds_store_2addr_stride64_b32 v74, v0, v1 offset0:24 offset1:28
	s_clause 0x1
	scratch_load_b32 v1, off, off offset:20
	scratch_load_b32 v0, off, off
	s_waitcnt vmcnt(0)
	ds_store_b32 v1, v0 offset:9216
	s_waitcnt lgkmcnt(0)
	s_waitcnt_vscnt null, 0x0
	s_barrier
	buffer_gl0_inv
	s_cbranch_scc1 .LBB23_42
; %bb.25:
	s_clause 0x1
	scratch_load_b32 v0, off, off offset:72
	scratch_load_b32 v3, off, off offset:64
	v_dual_mov_b32 v198, v150 :: v_dual_add_nc_u32 v75, 0x2000, v1
	v_add_nc_u32_e32 v77, 0x2400, v1
	v_dual_mov_b32 v197, v147 :: v_dual_add_nc_u32 v76, 0x2000, v152
	v_or_b32_e32 v78, 0x1000, v74
	v_lshl_add_u32 v79, v150, 4, 0x2400
	v_lshl_add_u32 v111, v147, 4, 0x1000
	s_add_i32 s8, s8, -8
	v_mov_b32_e32 v199, v152
	s_waitcnt vmcnt(1)
	v_lshl_add_u32 v0, s14, 6, v0
	s_lshl_b32 s14, s21, 6
	s_waitcnt vmcnt(0)
	v_add_nc_u32_e32 v6, 12, v3
	v_add_nc_u32_e32 v8, 8, v3
	v_subrev_nc_u32_e32 v2, s14, v0
	s_delay_alu instid0(VALU_DEP_3) | instskip(NEXT) | instid1(VALU_DEP_3)
	v_mad_i64_i32 v[4:5], null, v6, s16, 0
	v_mad_i64_i32 v[6:7], null, v8, s16, 0
	s_delay_alu instid0(VALU_DEP_3)
	v_mad_i64_i32 v[0:1], null, s20, v2, 0
	s_clause 0x1
	scratch_load_b32 v2, off, off offset:68
	scratch_load_b32 v8, off, off offset:60
	v_lshlrev_b64 v[64:65], 2, v[4:5]
	v_lshlrev_b64 v[66:67], 2, v[6:7]
	;; [unrolled: 1-line block ×3, first 2 shown]
	s_waitcnt vmcnt(1)
	v_add_nc_u32_e32 v2, s19, v2
	s_waitcnt vmcnt(0)
	s_delay_alu instid0(VALU_DEP_2) | instskip(NEXT) | instid1(VALU_DEP_3)
	v_add_co_u32 v0, vcc_lo, v0, v8
	v_add_co_ci_u32_e32 v1, vcc_lo, 0, v1, vcc_lo
	s_delay_alu instid0(VALU_DEP_3) | instskip(NEXT) | instid1(VALU_DEP_3)
	v_ashrrev_i32_e32 v3, 31, v2
	v_add_co_u32 v0, vcc_lo, v0, s10
	s_delay_alu instid0(VALU_DEP_3) | instskip(NEXT) | instid1(VALU_DEP_3)
	v_add_co_ci_u32_e32 v1, vcc_lo, s11, v1, vcc_lo
	v_lshlrev_b64 v[2:3], 2, v[2:3]
	s_delay_alu instid0(VALU_DEP_3) | instskip(NEXT) | instid1(VALU_DEP_3)
	v_add_co_u32 v68, vcc_lo, v0, 32
	v_add_co_ci_u32_e32 v69, vcc_lo, 0, v1, vcc_lo
	s_lshl_b64 s[10:11], s[16:17], 5
	s_delay_alu instid0(VALU_DEP_3) | instskip(NEXT) | instid1(VALU_DEP_4)
	v_add_co_u32 v138, vcc_lo, s12, v2
	v_add_co_ci_u32_e32 v139, vcc_lo, s13, v3, vcc_lo
	s_mov_b32 s12, 0
	s_branch .LBB23_28
.LBB23_26:                              ;   in Loop: Header=BB23_28 Depth=1
	v_add_co_u32 v0, vcc_lo, v138, v64
	v_add_co_ci_u32_e32 v1, vcc_lo, v139, v65, vcc_lo
	s_clause 0x1
	flat_load_b32 v11, v[0:1] offset:512
	flat_load_b32 v1, v[0:1] offset:768
	s_waitcnt vmcnt(0) lgkmcnt(0)
	v_dual_mul_f32 v0, s9, v11 :: v_dual_mul_f32 v1, s9, v1
.LBB23_27:                              ;   in Loop: Header=BB23_28 Depth=1
	ds_load_b128 v[93:96], v72
	ds_load_b128 v[149:152], v76
	ds_load_b128 v[153:156], v76 offset:128
	ds_load_b128 v[157:160], v76 offset:256
	;; [unrolled: 1-line block ×14, first 2 shown]
	v_add_co_u32 v68, vcc_lo, v68, 32
	v_add_co_ci_u32_e32 v69, vcc_lo, 0, v69, vcc_lo
	v_add_co_u32 v138, vcc_lo, v138, s10
	s_waitcnt lgkmcnt(14)
	v_dual_add_f32 v11, v150, v94 :: v_dual_add_f32 v14, v149, v93
	s_waitcnt lgkmcnt(13)
	v_dual_add_f32 v15, v154, v94 :: v_dual_add_f32 v18, v153, v93
	;; [unrolled: 2-line block ×3, first 2 shown]
	s_waitcnt lgkmcnt(11)
	v_add_f32_e32 v23, v162, v94
	v_min3_f32 v11, v14, v11, v28
	v_min3_f32 v14, v18, v15, v29
	v_add_f32_e32 v18, v161, v93
	v_min3_f32 v15, v22, v19, v32
	s_waitcnt lgkmcnt(10)
	v_dual_add_f32 v19, v166, v94 :: v_dual_add_f32 v22, v165, v93
	s_waitcnt lgkmcnt(9)
	v_dual_add_f32 v28, v170, v94 :: v_dual_add_f32 v29, v169, v93
	s_waitcnt lgkmcnt(8)
	v_add_f32_e32 v32, v174, v94
	s_waitcnt lgkmcnt(7)
	v_dual_add_f32 v34, v173, v93 :: v_dual_add_f32 v35, v178, v94
	s_waitcnt lgkmcnt(2)
	v_dual_add_f32 v38, v177, v93 :: v_dual_add_f32 v73, v158, v186
	v_min3_f32 v4, v18, v23, v4
	v_min3_f32 v18, v22, v19, v33
	;; [unrolled: 1-line block ×3, first 2 shown]
	s_delay_alu instid0(VALU_DEP_4)
	v_min3_f32 v23, v38, v35, v40
	v_dual_add_f32 v28, v150, v98 :: v_dual_add_f32 v33, v153, v97
	v_add_f32_e32 v29, v149, v97
	v_min3_f32 v22, v34, v32, v37
	v_dual_add_f32 v32, v154, v98 :: v_dual_add_f32 v35, v157, v97
	v_dual_add_f32 v34, v158, v98 :: v_dual_add_f32 v37, v161, v97
	v_dual_add_f32 v36, v162, v98 :: v_dual_add_f32 v39, v165, v97
	v_add_f32_e32 v38, v166, v98
	v_min3_f32 v5, v29, v28, v5
	v_min3_f32 v28, v33, v32, v41
	v_min3_f32 v29, v35, v34, v44
	v_add_f32_e32 v35, v169, v97
	v_min3_f32 v32, v37, v36, v45
	v_min3_f32 v33, v39, v38, v48
	v_dual_add_f32 v34, v170, v98 :: v_dual_add_f32 v37, v173, v97
	v_dual_add_f32 v36, v174, v98 :: v_dual_add_f32 v39, v177, v97
	v_dual_add_f32 v38, v178, v98 :: v_dual_add_f32 v41, v149, v101
	v_dual_add_f32 v40, v150, v102 :: v_dual_add_f32 v45, v153, v101
	v_add_f32_e32 v44, v154, v102
	v_min3_f32 v8, v35, v34, v8
	v_min3_f32 v34, v37, v36, v49
	v_min3_f32 v35, v39, v38, v52
	v_add_f32_e32 v39, v157, v101
	v_min3_f32 v36, v41, v40, v53
	v_min3_f32 v37, v45, v44, v56
	v_dual_add_f32 v38, v158, v102 :: v_dual_add_f32 v41, v161, v101
	;; [unrolled: 11-line block ×4, first 2 shown]
	v_dual_add_f32 v54, v170, v106 :: v_dual_add_f32 v57, v173, v105
	v_dual_add_f32 v56, v174, v106 :: v_dual_add_f32 v59, v177, v105
	;; [unrolled: 1-line block ×3, first 2 shown]
	v_add_f32_e32 v60, v150, v182
	v_min3_f32 v13, v53, v52, v13
	v_min3_f32 v50, v55, v54, v50
	v_add_f32_e32 v55, v153, v181
	v_min3_f32 v51, v57, v56, v51
	v_min3_f32 v52, v59, v58, v63
	;; [unrolled: 1-line block ×3, first 2 shown]
	v_dual_add_f32 v54, v154, v182 :: v_dual_add_f32 v57, v157, v181
	v_dual_add_f32 v56, v158, v182 :: v_dual_add_f32 v59, v161, v181
	;; [unrolled: 1-line block ×4, first 2 shown]
	v_add_f32_e32 v62, v170, v182
	v_min3_f32 v16, v55, v54, v16
	v_min3_f32 v54, v57, v56, v81
	;; [unrolled: 1-line block ×3, first 2 shown]
	v_add_f32_e32 v59, v173, v181
	v_min3_f32 v56, v61, v60, v83
	v_min3_f32 v57, v63, v62, v84
	v_dual_add_f32 v58, v174, v182 :: v_dual_add_f32 v61, v177, v181
	v_dual_add_f32 v60, v178, v182 :: v_dual_add_f32 v63, v149, v185
	;; [unrolled: 1-line block ×3, first 2 shown]
	v_add_f32_e32 v70, v154, v186
	v_add_f32_e32 v80, v157, v185
	v_min3_f32 v17, v59, v58, v17
	v_min3_f32 v46, v61, v60, v46
	v_min3_f32 v47, v63, v62, v47
	v_dual_add_f32 v60, v162, v186 :: v_dual_add_f32 v63, v165, v185
	v_min3_f32 v59, v80, v73, v86
	v_add_f32_e32 v61, v161, v185
	v_min3_f32 v58, v71, v70, v85
	v_dual_add_f32 v62, v166, v186 :: v_dual_add_f32 v71, v169, v185
	v_add_f32_e32 v70, v170, v186
	v_dual_add_f32 v73, v174, v186 :: v_dual_add_f32 v80, v173, v185
	v_dual_add_f32 v81, v178, v186 :: v_dual_add_f32 v82, v177, v185
	v_min3_f32 v20, v61, v60, v20
	v_min3_f32 v42, v63, v62, v42
	s_delay_alu instid0(VALU_DEP_4)
	v_min3_f32 v60, v80, v73, v87
	s_waitcnt lgkmcnt(1)
	v_add_f32_e32 v73, v158, v190
	v_min3_f32 v61, v82, v81, v88
	v_dual_add_f32 v62, v150, v190 :: v_dual_add_f32 v63, v149, v189
	v_min3_f32 v43, v71, v70, v43
	v_dual_add_f32 v71, v153, v189 :: v_dual_add_f32 v70, v154, v190
	v_dual_add_f32 v80, v157, v189 :: v_dual_add_f32 v81, v162, v190
	v_dual_add_f32 v82, v161, v189 :: v_dual_add_f32 v83, v166, v190
	v_add_f32_e32 v84, v165, v189
	v_min3_f32 v21, v63, v62, v21
	v_min3_f32 v62, v71, v70, v89
	;; [unrolled: 1-line block ×3, first 2 shown]
	v_add_f32_e32 v73, v170, v190
	v_min3_f32 v70, v82, v81, v91
	v_min3_f32 v71, v84, v83, v92
	v_dual_add_f32 v80, v169, v189 :: v_dual_add_f32 v81, v174, v190
	v_dual_add_f32 v82, v173, v189 :: v_dual_add_f32 v83, v178, v190
	s_waitcnt lgkmcnt(0)
	v_dual_add_f32 v84, v177, v189 :: v_dual_add_f32 v85, v150, v194
	v_dual_add_f32 v86, v149, v193 :: v_dual_add_f32 v87, v154, v194
	v_add_f32_e32 v88, v153, v193
	v_min3_f32 v24, v80, v73, v24
	v_add_f32_e32 v73, v158, v194
	v_min3_f32 v26, v82, v81, v26
	v_min3_f32 v27, v84, v83, v27
	;; [unrolled: 1-line block ×4, first 2 shown]
	v_dual_add_f32 v80, v157, v193 :: v_dual_add_f32 v81, v162, v194
	v_dual_add_f32 v82, v161, v193 :: v_dual_add_f32 v83, v166, v194
	;; [unrolled: 1-line block ×4, first 2 shown]
	v_add_f32_e32 v88, v173, v193
	v_min3_f32 v25, v80, v73, v25
	v_add_f32_e32 v73, v178, v194
	v_min3_f32 v3, v82, v81, v3
	v_min3_f32 v6, v84, v83, v6
	;; [unrolled: 1-line block ×4, first 2 shown]
	v_dual_add_f32 v80, v177, v193 :: v_dual_add_f32 v83, v156, v96
	v_dual_add_f32 v81, v152, v96 :: v_dual_add_f32 v82, v151, v95
	v_dual_add_f32 v85, v160, v96 :: v_dual_add_f32 v84, v155, v95
	v_dual_add_f32 v87, v164, v96 :: v_dual_add_f32 v86, v159, v95
	v_add_f32_e32 v88, v163, v95
	v_min3_f32 v2, v80, v73, v2
	v_min3_f32 v149, v82, v81, v11
	v_add_f32_e32 v81, v180, v96
	v_min3_f32 v144, v84, v83, v14
	v_min3_f32 v142, v88, v87, v4
	v_dual_add_f32 v4, v168, v96 :: v_dual_add_f32 v11, v167, v95
	v_add_f32_e32 v14, v172, v96
	v_add_f32_e32 v73, v176, v96
	v_min3_f32 v145, v86, v85, v15
	v_add_f32_e32 v15, v171, v95
	v_dual_add_f32 v80, v175, v95 :: v_dual_add_f32 v83, v152, v100
	v_add_f32_e32 v82, v179, v95
	v_add_f32_e32 v84, v151, v99
	v_min3_f32 v143, v11, v4, v18
	v_min3_f32 v140, v15, v14, v19
	v_add_f32_e32 v15, v164, v100
	v_min3_f32 v141, v80, v73, v22
	v_min3_f32 v136, v84, v83, v5
	v_dual_add_f32 v4, v156, v100 :: v_dual_add_f32 v5, v155, v99
	v_add_f32_e32 v11, v160, v100
	v_min3_f32 v137, v82, v81, v23
	v_dual_add_f32 v14, v159, v99 :: v_dual_add_f32 v19, v168, v100
	v_dual_add_f32 v18, v163, v99 :: v_dual_add_f32 v23, v172, v100
	v_add_f32_e32 v73, v171, v99
	v_add_f32_e32 v22, v167, v99
	v_min3_f32 v134, v5, v4, v28
	v_min3_f32 v135, v14, v11, v29
	v_add_f32_e32 v4, v176, v100
	v_min3_f32 v130, v73, v23, v8
	v_dual_add_f32 v5, v175, v99 :: v_dual_add_f32 v8, v180, v100
	v_dual_add_f32 v11, v179, v99 :: v_dual_add_f32 v14, v152, v104
	v_min3_f32 v132, v18, v15, v32
	v_dual_add_f32 v15, v151, v103 :: v_dual_add_f32 v18, v156, v104
	v_add_f32_e32 v23, v159, v103
	s_delay_alu instid0(VALU_DEP_4)
	v_min3_f32 v128, v11, v8, v35
	v_add_f32_e32 v11, v172, v104
	v_min3_f32 v133, v22, v19, v33
	v_dual_add_f32 v19, v155, v103 :: v_dual_add_f32 v22, v160, v104
	v_min3_f32 v131, v5, v4, v34
	v_min3_f32 v129, v15, v14, v36
	v_add_f32_e32 v4, v164, v104
	s_delay_alu instid0(VALU_DEP_4)
	v_min3_f32 v127, v19, v18, v37
	v_min3_f32 v126, v23, v22, v9
	v_dual_add_f32 v5, v163, v103 :: v_dual_add_f32 v8, v168, v104
	v_add_f32_e32 v9, v167, v103
	v_dual_add_f32 v14, v171, v103 :: v_dual_add_f32 v15, v176, v104
	v_dual_add_f32 v18, v175, v103 :: v_dual_add_f32 v19, v180, v104
	v_add_f32_e32 v22, v179, v103
	v_min3_f32 v124, v5, v4, v38
	s_delay_alu instid0(VALU_DEP_4)
	v_min3_f32 v122, v14, v11, v40
	v_add_f32_e32 v11, v160, v108
	v_min3_f32 v123, v18, v15, v41
	v_min3_f32 v120, v22, v19, v12
	v_add_f32_e32 v4, v152, v108
	v_min3_f32 v125, v9, v8, v39
	v_dual_add_f32 v5, v151, v107 :: v_dual_add_f32 v8, v156, v108
	v_dual_add_f32 v9, v155, v107 :: v_dual_add_f32 v14, v164, v108
	v_add_f32_e32 v12, v159, v107
	v_dual_add_f32 v15, v163, v107 :: v_dual_add_f32 v18, v168, v108
	v_add_f32_e32 v19, v167, v107
	v_min3_f32 v121, v5, v4, v44
	v_add_f32_e32 v4, v172, v108
	v_min3_f32 v118, v9, v8, v45
	v_min3_f32 v119, v12, v11, v48
	;; [unrolled: 1-line block ×4, first 2 shown]
	v_dual_add_f32 v5, v171, v107 :: v_dual_add_f32 v8, v176, v108
	v_add_f32_e32 v9, v175, v107
	v_dual_add_f32 v11, v180, v108 :: v_dual_add_f32 v12, v179, v107
	v_dual_add_f32 v13, v152, v184 :: v_dual_add_f32 v14, v151, v183
	;; [unrolled: 1-line block ×3, first 2 shown]
	v_min3_f32 v114, v5, v4, v50
	s_delay_alu instid0(VALU_DEP_4)
	v_min3_f32 v112, v12, v11, v52
	v_add_f32_e32 v11, v168, v184
	v_min3_f32 v113, v14, v13, v53
	v_min3_f32 v109, v18, v15, v16
	v_add_f32_e32 v4, v160, v184
	v_min3_f32 v115, v9, v8, v51
	v_dual_add_f32 v5, v159, v183 :: v_dual_add_f32 v8, v164, v184
	v_add_f32_e32 v9, v163, v183
	v_dual_add_f32 v12, v167, v183 :: v_dual_add_f32 v13, v172, v184
	v_dual_add_f32 v14, v171, v183 :: v_dual_add_f32 v15, v176, v184
	v_add_f32_e32 v16, v175, v183
	v_min3_f32 v110, v5, v4, v54
	s_delay_alu instid0(VALU_DEP_4)
	v_min3_f32 v108, v12, v11, v56
	v_add_f32_e32 v11, v156, v188
	v_min3_f32 v106, v14, v13, v57
	v_min3_f32 v105, v16, v15, v17
	v_add_f32_e32 v4, v180, v184
	v_min3_f32 v107, v9, v8, v55
	v_dual_add_f32 v5, v179, v183 :: v_dual_add_f32 v8, v152, v188
	v_add_f32_e32 v9, v151, v187
	v_dual_add_f32 v12, v155, v187 :: v_dual_add_f32 v13, v160, v188
	v_dual_add_f32 v14, v159, v187 :: v_dual_add_f32 v15, v164, v188
	v_add_f32_e32 v16, v163, v187
	;; [unrolled: 13-line block ×6, first 2 shown]
	v_min3_f32 v83, v5, v4, v3
	v_min3_f32 v84, v9, v8, v6
	;; [unrolled: 1-line block ×5, first 2 shown]
	v_add_co_ci_u32_e32 v139, vcc_lo, s11, v139, vcc_lo
	s_add_i32 s12, s12, 8
	ds_store_b32 v77, v146
	ds_store_2addr_stride64_b32 v78, v147, v148 offset1:4
	ds_store_2addr_stride64_b32 v78, v0, v1 offset0:8 offset1:12
	s_cmp_ge_i32 s12, s8
	s_waitcnt lgkmcnt(0)
	s_barrier
	buffer_gl0_inv
	s_cbranch_scc1 .LBB23_43
.LBB23_28:                              ; =>This Inner Loop Header: Depth=1
	v_mov_b32_e32 v146, 0
	s_and_b32 vcc_lo, exec_lo, s3
	s_cbranch_vccnz .LBB23_30
; %bb.29:                               ;   in Loop: Header=BB23_28 Depth=1
	flat_load_b32 v0, v[68:69]
	s_waitcnt vmcnt(0) lgkmcnt(0)
	v_mul_f32_e32 v146, s9, v0
.LBB23_30:                              ;   in Loop: Header=BB23_28 Depth=1
	s_and_b32 vcc_lo, exec_lo, s3
	s_cbranch_vccnz .LBB23_33
; %bb.31:                               ;   in Loop: Header=BB23_28 Depth=1
	v_add_co_u32 v0, vcc_lo, v138, v66
	v_add_co_ci_u32_e32 v1, vcc_lo, v139, v67, vcc_lo
	s_clause 0x1
	flat_load_b32 v2, v[0:1]
	flat_load_b32 v0, v[0:1] offset:256
	s_waitcnt vmcnt(0) lgkmcnt(0)
	v_dual_mul_f32 v147, s9, v2 :: v_dual_mul_f32 v148, s9, v0
	s_and_b32 vcc_lo, exec_lo, s3
	s_cbranch_vccnz .LBB23_34
.LBB23_32:                              ;   in Loop: Header=BB23_28 Depth=1
	v_add_co_u32 v0, vcc_lo, v138, v66
	v_add_co_ci_u32_e32 v1, vcc_lo, v139, v67, vcc_lo
	s_clause 0x1
	flat_load_b32 v2, v[0:1] offset:512
	flat_load_b32 v0, v[0:1] offset:768
	s_waitcnt vmcnt(0) lgkmcnt(0)
	v_dual_mul_f32 v150, s9, v2 :: v_dual_mul_f32 v151, s9, v0
	s_branch .LBB23_35
.LBB23_33:                              ;   in Loop: Header=BB23_28 Depth=1
	v_dual_mov_b32 v147, 0 :: v_dual_mov_b32 v148, 0
	s_and_b32 vcc_lo, exec_lo, s3
	s_cbranch_vccz .LBB23_32
.LBB23_34:                              ;   in Loop: Header=BB23_28 Depth=1
	v_dual_mov_b32 v150, 0 :: v_dual_mov_b32 v151, 0
.LBB23_35:                              ;   in Loop: Header=BB23_28 Depth=1
	ds_load_b128 v[32:35], v79
	ds_load_b128 v[28:31], v79 offset:128
	ds_load_b128 v[24:27], v79 offset:256
	;; [unrolled: 1-line block ×7, first 2 shown]
	ds_load_b128 v[60:63], v111
	ds_load_b128 v[56:59], v111 offset:512
	ds_load_b128 v[52:55], v111 offset:1024
	;; [unrolled: 1-line block ×7, first 2 shown]
	s_and_b32 vcc_lo, exec_lo, s3
	ds_store_b32 v75, v146
	ds_store_2addr_stride64_b32 v74, v147, v148 offset1:4
	ds_store_2addr_stride64_b32 v74, v150, v151 offset0:8 offset1:12
	s_waitcnt lgkmcnt(0)
	s_barrier
	buffer_gl0_inv
	s_cbranch_vccnz .LBB23_38
; %bb.36:                               ;   in Loop: Header=BB23_28 Depth=1
	flat_load_b32 v70, v[68:69] offset:16
	s_waitcnt vmcnt(0) lgkmcnt(0)
	v_mul_f32_e32 v146, s9, v70
	s_and_b32 vcc_lo, exec_lo, s3
	s_cbranch_vccnz .LBB23_39
.LBB23_37:                              ;   in Loop: Header=BB23_28 Depth=1
	v_add_co_u32 v147, vcc_lo, v138, v64
	v_add_co_ci_u32_e32 v148, vcc_lo, v139, v65, vcc_lo
	s_clause 0x1
	flat_load_b32 v70, v[147:148]
	flat_load_b32 v71, v[147:148] offset:256
	s_waitcnt vmcnt(0) lgkmcnt(0)
	v_dual_mul_f32 v147, s9, v70 :: v_dual_mul_f32 v148, s9, v71
	s_branch .LBB23_40
.LBB23_38:                              ;   in Loop: Header=BB23_28 Depth=1
	v_mov_b32_e32 v146, 0
	s_and_b32 vcc_lo, exec_lo, s3
	s_cbranch_vccz .LBB23_37
.LBB23_39:                              ;   in Loop: Header=BB23_28 Depth=1
	v_dual_mov_b32 v147, 0 :: v_dual_mov_b32 v148, 0
.LBB23_40:                              ;   in Loop: Header=BB23_28 Depth=1
	v_dual_add_f32 v70, v33, v61 :: v_dual_add_f32 v71, v32, v60
	v_dual_add_f32 v73, v29, v61 :: v_dual_add_f32 v150, v28, v60
	;; [unrolled: 1-line block ×3, first 2 shown]
	s_delay_alu instid0(VALU_DEP_3) | instskip(SKIP_1) | instid1(VALU_DEP_4)
	v_min3_f32 v70, v71, v70, v149
	v_add_f32_e32 v149, v13, v61
	v_min3_f32 v71, v150, v73, v144
	v_add_f32_e32 v150, v12, v60
	v_min3_f32 v73, v152, v151, v145
	v_dual_add_f32 v144, v17, v61 :: v_dual_add_f32 v145, v16, v60
	v_dual_add_f32 v151, v9, v61 :: v_dual_add_f32 v152, v8, v60
	;; [unrolled: 1-line block ×4, first 2 shown]
	s_delay_alu instid0(VALU_DEP_4) | instskip(SKIP_2) | instid1(VALU_DEP_4)
	v_min3_f32 v142, v145, v144, v142
	v_min3_f32 v143, v150, v149, v143
	v_dual_add_f32 v144, v29, v57 :: v_dual_add_f32 v145, v28, v56
	v_min3_f32 v60, v60, v61, v137
	v_dual_add_f32 v61, v33, v57 :: v_dual_add_f32 v150, v24, v56
	v_add_f32_e32 v137, v32, v56
	v_add_f32_e32 v149, v25, v57
	v_min3_f32 v140, v152, v151, v140
	v_add_f32_e32 v152, v16, v56
	v_min3_f32 v141, v154, v153, v141
	v_dual_add_f32 v151, v17, v57 :: v_dual_add_f32 v154, v12, v56
	v_add_f32_e32 v153, v13, v57
	v_min3_f32 v61, v137, v61, v136
	v_min3_f32 v135, v150, v149, v135
	v_add_f32_e32 v136, v9, v57
	v_min3_f32 v134, v145, v144, v134
	v_dual_add_f32 v137, v8, v56 :: v_dual_add_f32 v144, v5, v57
	v_add_f32_e32 v145, v4, v56
	v_dual_add_f32 v57, v1, v57 :: v_dual_add_f32 v150, v32, v52
	v_dual_add_f32 v56, v0, v56 :: v_dual_add_f32 v149, v33, v53
	v_min3_f32 v132, v152, v151, v132
	v_dual_add_f32 v152, v28, v52 :: v_dual_add_f32 v151, v29, v53
	v_min3_f32 v130, v137, v136, v130
	s_delay_alu instid0(VALU_DEP_4)
	v_min3_f32 v56, v56, v57, v128
	v_min3_f32 v57, v150, v149, v129
	v_add_f32_e32 v150, v8, v52
	v_dual_add_f32 v128, v25, v53 :: v_dual_add_f32 v129, v24, v52
	v_dual_add_f32 v136, v17, v53 :: v_dual_add_f32 v137, v16, v52
	v_min3_f32 v131, v145, v144, v131
	v_add_f32_e32 v144, v13, v53
	v_min3_f32 v127, v152, v151, v127
	v_add_f32_e32 v145, v12, v52
	v_dual_add_f32 v149, v9, v53 :: v_dual_add_f32 v152, v4, v52
	v_dual_add_f32 v151, v5, v53 :: v_dual_add_f32 v52, v0, v52
	v_min3_f32 v126, v129, v128, v126
	v_min3_f32 v124, v137, v136, v124
	v_add_f32_e32 v53, v1, v53
	v_dual_add_f32 v128, v33, v49 :: v_dual_add_f32 v129, v32, v48
	v_dual_add_f32 v136, v29, v49 :: v_dual_add_f32 v137, v28, v48
	v_min3_f32 v125, v145, v144, v125
	v_add_f32_e32 v144, v25, v49
	v_min3_f32 v122, v150, v149, v122
	v_add_f32_e32 v145, v24, v48
	v_dual_add_f32 v149, v17, v49 :: v_dual_add_f32 v150, v16, v48
	v_min3_f32 v120, v52, v53, v120
	v_min3_f32 v121, v129, v128, v121
	;; [unrolled: 1-line block ×3, first 2 shown]
	v_dual_add_f32 v52, v13, v49 :: v_dual_add_f32 v53, v12, v48
	v_dual_add_f32 v128, v9, v49 :: v_dual_add_f32 v129, v8, v48
	;; [unrolled: 1-line block ×4, first 2 shown]
	v_min3_f32 v119, v145, v144, v119
	v_dual_add_f32 v144, v33, v45 :: v_dual_add_f32 v145, v32, v44
	v_min3_f32 v116, v53, v52, v116
	v_min3_f32 v114, v129, v128, v114
	;; [unrolled: 1-line block ×3, first 2 shown]
	v_dual_add_f32 v48, v29, v45 :: v_dual_add_f32 v49, v28, v44
	v_dual_add_f32 v52, v25, v45 :: v_dual_add_f32 v53, v24, v44
	;; [unrolled: 1-line block ×3, first 2 shown]
	v_min3_f32 v115, v137, v136, v115
	v_add_f32_e32 v136, v13, v45
	v_min3_f32 v113, v145, v144, v113
	v_dual_add_f32 v137, v12, v44 :: v_dual_add_f32 v144, v9, v45
	v_add_f32_e32 v145, v8, v44
	v_min3_f32 v109, v49, v48, v109
	v_add_f32_e32 v48, v5, v45
	v_min3_f32 v110, v53, v52, v110
	v_min3_f32 v107, v129, v128, v107
	v_dual_add_f32 v49, v4, v44 :: v_dual_add_f32 v52, v33, v41
	v_dual_add_f32 v45, v1, v45 :: v_dual_add_f32 v44, v0, v44
	;; [unrolled: 1-line block ×3, first 2 shown]
	v_add_f32_e32 v129, v28, v40
	v_min3_f32 v108, v137, v136, v108
	v_dual_add_f32 v136, v25, v41 :: v_dual_add_f32 v137, v24, v40
	v_min3_f32 v105, v49, v48, v105
	v_min3_f32 v103, v44, v45, v103
	v_add_f32_e32 v44, v17, v41
	v_min3_f32 v104, v53, v52, v104
	v_min3_f32 v101, v129, v128, v101
	v_dual_add_f32 v45, v16, v40 :: v_dual_add_f32 v48, v13, v41
	v_dual_add_f32 v49, v12, v40 :: v_dual_add_f32 v52, v9, v41
	;; [unrolled: 1-line block ×3, first 2 shown]
	v_add_f32_e32 v129, v4, v40
	v_dual_add_f32 v41, v1, v41 :: v_dual_add_f32 v40, v0, v40
	v_min3_f32 v99, v45, v44, v99
	v_dual_add_f32 v44, v29, v37 :: v_dual_add_f32 v45, v28, v36
	v_min3_f32 v100, v49, v48, v100
	v_add_f32_e32 v48, v25, v37
	v_min3_f32 v96, v40, v41, v96
	v_dual_add_f32 v40, v33, v37 :: v_dual_add_f32 v41, v32, v36
	v_min3_f32 v97, v53, v52, v97
	v_min3_f32 v98, v129, v128, v98
	v_dual_add_f32 v49, v24, v36 :: v_dual_add_f32 v52, v17, v37
	v_dual_add_f32 v53, v16, v36 :: v_dual_add_f32 v128, v13, v37
	v_add_f32_e32 v129, v12, v36
	v_min3_f32 v95, v41, v40, v95
	v_add_f32_e32 v40, v9, v37
	v_min3_f32 v93, v45, v44, v93
	v_dual_add_f32 v41, v8, v36 :: v_dual_add_f32 v44, v5, v37
	v_add_f32_e32 v45, v4, v36
	v_dual_add_f32 v25, v25, v21 :: v_dual_add_f32 v16, v16, v20
	v_dual_add_f32 v17, v17, v21 :: v_dual_add_f32 v12, v12, v20
	;; [unrolled: 1-line block ×4, first 2 shown]
	v_add_f32_e32 v5, v5, v21
	v_min3_f32 v123, v152, v151, v123
	v_min3_f32 v117, v150, v149, v117
	;; [unrolled: 1-line block ×3, first 2 shown]
	v_dual_add_f32 v37, v1, v37 :: v_dual_add_f32 v32, v32, v20
	v_dual_add_f32 v36, v0, v36 :: v_dual_add_f32 v33, v33, v21
	;; [unrolled: 1-line block ×3, first 2 shown]
	v_add_f32_e32 v24, v24, v20
	v_min3_f32 v145, v16, v17, v83
	v_min3_f32 v149, v12, v13, v84
	;; [unrolled: 1-line block ×3, first 2 shown]
	v_dual_add_f32 v1, v1, v21 :: v_dual_add_f32 v8, v31, v63
	v_add_f32_e32 v0, v0, v20
	v_min3_f32 v151, v4, v5, v82
	v_dual_add_f32 v4, v35, v63 :: v_dual_add_f32 v5, v34, v62
	v_dual_add_f32 v12, v27, v63 :: v_dual_add_f32 v9, v30, v62
	;; [unrolled: 1-line block ×3, first 2 shown]
	v_add_f32_e32 v17, v18, v62
	v_min3_f32 v102, v137, v136, v102
	v_min3_f32 v137, v32, v33, v88
	;; [unrolled: 1-line block ×6, first 2 shown]
	v_add_f32_e32 v1, v15, v63
	v_dual_add_f32 v5, v14, v62 :: v_dual_add_f32 v8, v11, v63
	v_min3_f32 v32, v13, v12, v73
	v_dual_add_f32 v9, v10, v62 :: v_dual_add_f32 v20, v35, v59
	v_add_f32_e32 v12, v7, v63
	v_min3_f32 v4, v17, v16, v142
	v_dual_add_f32 v13, v6, v62 :: v_dual_add_f32 v16, v3, v63
	v_add_f32_e32 v17, v2, v62
	v_add_f32_e32 v21, v34, v58
	v_min3_f32 v133, v154, v153, v133
	v_min3_f32 v92, v129, v128, v92
	;; [unrolled: 1-line block ×8, first 2 shown]
	v_add_f32_e32 v8, v30, v58
	v_min3_f32 v33, v5, v1, v143
	v_min3_f32 v5, v21, v20, v61
	v_dual_add_f32 v1, v31, v59 :: v_dual_add_f32 v12, v26, v58
	v_dual_add_f32 v9, v27, v59 :: v_dual_add_f32 v16, v18, v58
	;; [unrolled: 1-line block ×4, first 2 shown]
	v_add_f32_e32 v21, v11, v59
	v_min3_f32 v94, v49, v48, v94
	v_min3_f32 v129, v45, v44, v90
	;; [unrolled: 1-line block ×6, first 2 shown]
	v_add_f32_e32 v1, v7, v59
	v_dual_add_f32 v9, v6, v58 :: v_dual_add_f32 v12, v3, v59
	v_dual_add_f32 v13, v2, v58 :: v_dual_add_f32 v16, v35, v55
	;; [unrolled: 1-line block ×3, first 2 shown]
	v_add_f32_e32 v58, v26, v54
	v_min3_f32 v8, v24, v21, v130
	v_dual_add_f32 v21, v30, v54 :: v_dual_add_f32 v24, v27, v55
	v_min3_f32 v91, v53, v52, v91
	v_min3_f32 v52, v13, v12, v56
	;; [unrolled: 1-line block ×3, first 2 shown]
	s_delay_alu instid0(VALU_DEP_4)
	v_min3_f32 v56, v21, v20, v127
	v_add_f32_e32 v12, v18, v54
	v_min3_f32 v49, v9, v1, v131
	v_min3_f32 v9, v58, v24, v126
	v_dual_add_f32 v1, v19, v55 :: v_dual_add_f32 v16, v14, v54
	v_dual_add_f32 v13, v15, v55 :: v_dual_add_f32 v20, v10, v54
	v_dual_add_f32 v17, v11, v55 :: v_dual_add_f32 v24, v6, v54
	v_dual_add_f32 v21, v7, v55 :: v_dual_add_f32 v60, v2, v54
	v_dual_add_f32 v59, v3, v55 :: v_dual_add_f32 v62, v18, v50
	v_min3_f32 v54, v12, v1, v124
	v_min3_f32 v55, v16, v13, v125
	;; [unrolled: 1-line block ×4, first 2 shown]
	v_dual_add_f32 v1, v35, v51 :: v_dual_add_f32 v70, v14, v50
	v_dual_add_f32 v13, v34, v50 :: v_dual_add_f32 v16, v31, v51
	;; [unrolled: 1-line block ×4, first 2 shown]
	v_add_f32_e32 v63, v15, v51
	v_min3_f32 v12, v60, v59, v120
	v_min3_f32 v59, v13, v1, v121
	;; [unrolled: 1-line block ×3, first 2 shown]
	v_add_f32_e32 v16, v10, v50
	v_min3_f32 v61, v21, v20, v119
	v_min3_f32 v62, v62, v24, v117
	;; [unrolled: 1-line block ×3, first 2 shown]
	v_dual_add_f32 v1, v11, v51 :: v_dual_add_f32 v20, v6, v50
	v_dual_add_f32 v17, v7, v51 :: v_dual_add_f32 v24, v2, v50
	v_add_f32_e32 v21, v3, v51
	v_dual_add_f32 v70, v35, v47 :: v_dual_add_f32 v71, v34, v46
	v_dual_add_f32 v73, v31, v47 :: v_dual_add_f32 v86, v6, v46
	v_add_f32_e32 v81, v30, v46
	v_min3_f32 v50, v16, v1, v114
	v_min3_f32 v51, v20, v17, v115
	;; [unrolled: 1-line block ×3, first 2 shown]
	v_add_f32_e32 v1, v27, v47
	v_dual_add_f32 v17, v26, v46 :: v_dual_add_f32 v20, v19, v47
	v_add_f32_e32 v70, v14, v46
	v_min3_f32 v63, v24, v21, v112
	v_dual_add_f32 v21, v18, v46 :: v_dual_add_f32 v90, v35, v39
	v_min3_f32 v16, v81, v73, v109
	v_add_f32_e32 v24, v15, v47
	v_add_f32_e32 v71, v11, v47
	v_add_f32_e32 v73, v10, v46
	v_min3_f32 v82, v21, v20, v107
	v_add_f32_e32 v20, v2, v46
	v_min3_f32 v81, v17, v1, v110
	v_dual_add_f32 v1, v3, v47 :: v_dual_add_f32 v88, v18, v42
	v_add_f32_e32 v87, v19, v43
	v_add_f32_e32 v85, v7, v47
	v_min3_f32 v83, v70, v24, v108
	v_dual_add_f32 v21, v35, v43 :: v_dual_add_f32 v24, v34, v42
	v_min3_f32 v84, v73, v71, v106
	v_dual_add_f32 v70, v31, v43 :: v_dual_add_f32 v71, v30, v42
	v_min3_f32 v46, v20, v1, v103
	v_min3_f32 v20, v88, v87, v99
	v_dual_add_f32 v88, v3, v43 :: v_dual_add_f32 v89, v2, v42
	v_min3_f32 v17, v86, v85, v105
	v_dual_add_f32 v73, v27, v43 :: v_dual_add_f32 v86, v26, v42
	v_add_f32_e32 v1, v15, v43
	s_delay_alu instid0(VALU_DEP_4)
	v_min3_f32 v88, v89, v88, v96
	v_add_f32_e32 v96, v15, v39
	v_min3_f32 v85, v71, v70, v101
	v_add_f32_e32 v70, v10, v42
	v_min3_f32 v47, v24, v21, v104
	v_dual_add_f32 v24, v11, v43 :: v_dual_add_f32 v21, v14, v42
	v_add_f32_e32 v71, v7, v43
	v_add_f32_e32 v99, v34, v38
	;; [unrolled: 1-line block ×3, first 2 shown]
	s_delay_alu instid0(VALU_DEP_4)
	v_min3_f32 v43, v70, v24, v97
	v_add_f32_e32 v24, v30, v38
	v_min3_f32 v86, v86, v73, v102
	v_dual_add_f32 v73, v6, v42 :: v_dual_add_f32 v70, v27, v39
	v_add_f32_e32 v35, v35, v23
	v_add_f32_e32 v97, v14, v38
	;; [unrolled: 1-line block ×3, first 2 shown]
	s_delay_alu instid0(VALU_DEP_4)
	v_min3_f32 v87, v73, v71, v98
	v_dual_add_f32 v71, v26, v38 :: v_dual_add_f32 v98, v11, v39
	v_min3_f32 v42, v21, v1, v100
	v_add_f32_e32 v1, v31, v39
	v_min3_f32 v21, v99, v90, v95
	v_dual_add_f32 v73, v19, v39 :: v_dual_add_f32 v14, v14, v22
	v_add_f32_e32 v95, v18, v38
	v_min3_f32 v90, v71, v70, v94
	v_add_f32_e32 v70, v6, v38
	v_add_f32_e32 v18, v18, v22
	v_min3_f32 v89, v24, v1, v93
	v_add_f32_e32 v1, v7, v39
	v_add_f32_e32 v99, v10, v38
	;; [unrolled: 1-line block ×3, first 2 shown]
	v_min3_f32 v91, v95, v73, v91
	v_dual_add_f32 v39, v3, v39 :: v_dual_add_f32 v38, v2, v38
	v_add_f32_e32 v31, v31, v23
	v_add_f32_e32 v71, v30, v22
	v_add_f32_e32 v73, v27, v23
	v_add_f32_e32 v93, v26, v22
	v_min3_f32 v26, v70, v1, v129
	v_add_f32_e32 v1, v19, v23
	v_add_f32_e32 v11, v11, v23
	;; [unrolled: 1-line block ×3, first 2 shown]
	v_dual_add_f32 v23, v3, v23 :: v_dual_add_f32 v2, v2, v22
	v_min3_f32 v30, v34, v35, v137
	v_add_f32_e32 v34, v6, v22
	v_min3_f32 v92, v97, v96, v92
	v_min3_f32 v24, v99, v98, v128
	;; [unrolled: 1-line block ×10, first 2 shown]
	s_and_b32 vcc_lo, exec_lo, s3
	s_cbranch_vccz .LBB23_26
; %bb.41:                               ;   in Loop: Header=BB23_28 Depth=1
	v_dual_mov_b32 v0, 0 :: v_dual_mov_b32 v1, 0
	s_branch .LBB23_27
.LBB23_42:
	v_dual_mov_b32 v197, v147 :: v_dual_mov_b32 v198, v150
	v_mov_b32_e32 v199, v152
.LBB23_43:
	ds_load_b128 v[32:35], v199 offset:9216
	ds_load_b128 v[60:63], v72 offset:4096
	s_clause 0x2
	s_load_b32 s8, s[0:1], 0x68
	s_load_b32 s3, s[0:1], 0x50
	s_load_b64 s[0:1], s[0:1], 0x70
	v_add_nc_u32_e32 v111, s19, v197
	s_waitcnt lgkmcnt(0)
	v_dual_add_f32 v7, v32, v60 :: v_dual_add_nc_u32 v76, s18, v198
	v_add_f32_e32 v8, v35, v63
	s_delay_alu instid0(VALU_DEP_3) | instskip(SKIP_4) | instid1(VALU_DEP_4)
	v_mad_i64_i32 v[2:3], null, v111, s8, 0
	v_mad_i64_i32 v[4:5], null, v111, s3, 0
	v_add_f32_e32 v6, v33, v61
	v_dual_add_f32 v9, v34, v62 :: v_dual_add_nc_u32 v0, 8, v76
	s_lshl_b64 s[0:1], s[0:1], 2
	v_lshlrev_b64 v[2:3], 2, v[2:3]
	s_delay_alu instid0(VALU_DEP_3)
	v_min3_f32 v6, v7, v6, v149
	v_lshlrev_b64 v[4:5], 2, v[4:5]
	s_add_u32 s0, s6, s0
	v_ashrrev_i32_e32 v77, 31, v76
	s_addc_u32 s1, s7, s1
	v_min3_f32 v6, v9, v8, v6
	v_add_co_u32 v138, vcc_lo, s0, v2
	v_add_co_ci_u32_e32 v139, vcc_lo, s1, v3, vcc_lo
	v_add_co_u32 v146, vcc_lo, s4, v4
	v_lshlrev_b64 v[66:67], 2, v[76:77]
	v_ashrrev_i32_e32 v1, 31, v0
	v_add_co_ci_u32_e32 v147, vcc_lo, s5, v5, vcc_lo
	v_max_f32_e32 v2, v6, v6
	s_mov_b32 vcc_lo, s2
	s_cbranch_vccz .LBB23_45
; %bb.44:
	v_add_co_u32 v3, vcc_lo, v138, v66
	s_delay_alu instid0(VALU_DEP_2)
	v_min_f32_e32 v5, 0, v2
	v_add_co_ci_u32_e32 v4, vcc_lo, v139, v67, vcc_lo
	s_mov_b32 s6, 0
	global_store_b32 v[3:4], v5, off
	s_branch .LBB23_46
.LBB23_45:
	s_mov_b32 s6, -1
.LBB23_46:
	ds_load_b128 v[28:31], v199 offset:9344
	ds_load_b128 v[24:27], v199 offset:9472
	v_lshlrev_b64 v[64:65], 2, v[0:1]
	s_and_not1_b32 vcc_lo, exec_lo, s6
	s_cbranch_vccnz .LBB23_48
; %bb.47:
	v_add_co_u32 v0, vcc_lo, v146, v66
	v_add_co_ci_u32_e32 v1, vcc_lo, v147, v67, vcc_lo
	flat_load_b32 v0, v[0:1]
	s_waitcnt vmcnt(0) lgkmcnt(0)
	v_mul_f32_e32 v3, s15, v0
	v_add_co_u32 v0, vcc_lo, v138, v66
	v_add_co_ci_u32_e32 v1, vcc_lo, v139, v67, vcc_lo
	s_delay_alu instid0(VALU_DEP_3)
	v_min_f32_e32 v4, v3, v2
	v_add_co_u32 v2, vcc_lo, v146, v64
	v_add_co_ci_u32_e32 v3, vcc_lo, v147, v65, vcc_lo
	global_store_b32 v[0:1], v4, off
	flat_load_b32 v0, v[2:3]
	s_waitcnt vmcnt(0) lgkmcnt(0)
	v_mul_f32_e32 v69, s15, v0
	s_branch .LBB23_49
.LBB23_48:
	v_mov_b32_e32 v69, s6
.LBB23_49:
	ds_load_b128 v[16:19], v199 offset:9728
	ds_load_b128 v[12:15], v199 offset:9856
	;; [unrolled: 1-line block ×10, first 2 shown]
	s_waitcnt lgkmcnt(10)
	v_dual_add_f32 v68, v25, v61 :: v_dual_add_f32 v73, v31, v63
	v_dual_add_f32 v70, v24, v60 :: v_dual_add_f32 v71, v29, v61
	ds_load_b128 v[20:23], v199 offset:9600
	ds_load_b128 v[4:7], v72 offset:7680
	v_dual_add_f32 v72, v28, v60 :: v_dual_add_f32 v75, v27, v63
	v_add_f32_e32 v74, v30, v62
	v_min3_f32 v68, v70, v68, v145
	v_dual_add_f32 v77, v26, v62 :: v_dual_add_nc_u32 v70, 16, v76
	s_delay_alu instid0(VALU_DEP_4) | instskip(NEXT) | instid1(VALU_DEP_4)
	v_min3_f32 v72, v72, v71, v144
	v_min_f32_e32 v73, v74, v73
	s_delay_alu instid0(VALU_DEP_3) | instskip(SKIP_2) | instid1(VALU_DEP_4)
	v_min3_f32 v75, v77, v75, v68
	v_add_nc_u32_e32 v68, 24, v76
	v_ashrrev_i32_e32 v71, 31, v70
	v_min3_f32 v77, v69, v73, v72
	v_add_co_u32 v73, vcc_lo, v138, v64
	v_add_co_ci_u32_e32 v74, vcc_lo, v139, v65, vcc_lo
	s_delay_alu instid0(VALU_DEP_4)
	v_lshlrev_b64 v[70:71], 2, v[70:71]
	v_ashrrev_i32_e32 v69, 31, v68
	v_max_f32_e32 v72, v75, v75
	s_mov_b32 vcc_lo, s2
	global_store_b32 v[73:74], v77, off
	s_cbranch_vccz .LBB23_52
; %bb.50:
	v_add_co_u32 v73, vcc_lo, v138, v70
	v_min_f32_e32 v75, 0, v72
	v_add_co_ci_u32_e32 v74, vcc_lo, v139, v71, vcc_lo
	s_mov_b32 s6, 0
	global_store_b32 v[73:74], v75, off
	v_lshlrev_b64 v[68:69], 2, v[68:69]
	s_cbranch_execz .LBB23_53
; %bb.51:
	v_mov_b32_e32 v73, s6
	s_branch .LBB23_54
.LBB23_52:
	s_mov_b32 s6, -1
	v_lshlrev_b64 v[68:69], 2, v[68:69]
.LBB23_53:
	v_add_co_u32 v73, vcc_lo, v146, v70
	v_add_co_ci_u32_e32 v74, vcc_lo, v147, v71, vcc_lo
	flat_load_b32 v73, v[73:74]
	s_waitcnt vmcnt(0) lgkmcnt(0)
	v_mul_f32_e32 v75, s15, v73
	v_add_co_u32 v73, vcc_lo, v138, v70
	v_add_co_ci_u32_e32 v74, vcc_lo, v139, v71, vcc_lo
	v_add_co_u32 v77, vcc_lo, v146, v68
	s_delay_alu instid0(VALU_DEP_4)
	v_min_f32_e32 v72, v75, v72
	v_add_co_ci_u32_e32 v78, vcc_lo, v147, v69, vcc_lo
	global_store_b32 v[73:74], v72, off
	flat_load_b32 v72, v[77:78]
	s_waitcnt vmcnt(0) lgkmcnt(0)
	v_mul_f32_e32 v73, s15, v72
.LBB23_54:
	s_waitcnt lgkmcnt(1)
	v_dual_add_f32 v72, v17, v61 :: v_dual_add_f32 v77, v20, v60
	v_dual_add_f32 v74, v16, v60 :: v_dual_add_f32 v75, v21, v61
	;; [unrolled: 1-line block ×3, first 2 shown]
	v_add_f32_e32 v144, v18, v62
	s_delay_alu instid0(VALU_DEP_3) | instskip(SKIP_3) | instid1(VALU_DEP_3)
	v_min3_f32 v72, v74, v72, v143
	v_add_f32_e32 v143, v19, v63
	v_min3_f32 v77, v77, v75, v142
	v_min_f32_e32 v78, v79, v78
	v_min3_f32 v142, v144, v143, v72
	v_add_nc_u32_e32 v74, 32, v76
	s_delay_alu instid0(VALU_DEP_3)
	v_min3_f32 v143, v73, v78, v77
	v_add_nc_u32_e32 v72, 40, v76
	v_add_co_u32 v78, vcc_lo, v138, v68
	v_max_f32_e32 v77, v142, v142
	v_ashrrev_i32_e32 v75, 31, v74
	v_add_co_ci_u32_e32 v79, vcc_lo, v139, v69, vcc_lo
	v_ashrrev_i32_e32 v73, 31, v72
	s_mov_b32 vcc_lo, s2
	s_delay_alu instid0(VALU_DEP_3)
	v_lshlrev_b64 v[74:75], 2, v[74:75]
	global_store_b32 v[78:79], v143, off
	s_cbranch_vccz .LBB23_57
; %bb.55:
	v_add_co_u32 v78, vcc_lo, v138, v74
	v_min_f32_e32 v142, 0, v77
	v_add_co_ci_u32_e32 v79, vcc_lo, v139, v75, vcc_lo
	s_mov_b32 s6, 0
	global_store_b32 v[78:79], v142, off
	v_lshlrev_b64 v[72:73], 2, v[72:73]
	s_cbranch_execz .LBB23_58
; %bb.56:
	v_mov_b32_e32 v77, s6
	s_branch .LBB23_59
.LBB23_57:
	s_mov_b32 s6, -1
	v_lshlrev_b64 v[72:73], 2, v[72:73]
.LBB23_58:
	v_add_co_u32 v78, vcc_lo, v146, v74
	v_add_co_ci_u32_e32 v79, vcc_lo, v147, v75, vcc_lo
	flat_load_b32 v78, v[78:79]
	s_waitcnt vmcnt(0) lgkmcnt(0)
	v_mul_f32_e32 v142, s15, v78
	v_add_co_u32 v78, vcc_lo, v138, v74
	v_add_co_ci_u32_e32 v79, vcc_lo, v139, v75, vcc_lo
	s_delay_alu instid0(VALU_DEP_3)
	v_min_f32_e32 v77, v142, v77
	v_add_co_u32 v142, vcc_lo, v146, v72
	v_add_co_ci_u32_e32 v143, vcc_lo, v147, v73, vcc_lo
	global_store_b32 v[78:79], v77, off
	flat_load_b32 v77, v[142:143]
	s_waitcnt vmcnt(0) lgkmcnt(0)
	v_mul_f32_e32 v77, s15, v77
.LBB23_59:
	v_dual_add_f32 v78, v9, v61 :: v_dual_add_f32 v79, v8, v60
	v_dual_add_f32 v142, v13, v61 :: v_dual_add_f32 v143, v12, v60
	v_add_f32_e32 v144, v15, v63
	v_dual_add_f32 v145, v11, v63 :: v_dual_add_f32 v148, v10, v62
	s_delay_alu instid0(VALU_DEP_4) | instskip(SKIP_3) | instid1(VALU_DEP_4)
	v_min3_f32 v79, v79, v78, v141
	v_dual_add_f32 v141, v14, v62 :: v_dual_add_nc_u32 v78, 48, v76
	v_min3_f32 v140, v143, v142, v140
	v_add_nc_u32_e32 v76, 56, v76
	v_min3_f32 v143, v148, v145, v79
	s_delay_alu instid0(VALU_DEP_4) | instskip(SKIP_1) | instid1(VALU_DEP_2)
	v_min_f32_e32 v141, v141, v144
	v_ashrrev_i32_e32 v79, 31, v78
	v_min3_f32 v144, v77, v141, v140
	s_delay_alu instid0(VALU_DEP_4) | instskip(SKIP_1) | instid1(VALU_DEP_4)
	v_max_f32_e32 v140, v143, v143
	v_add_co_u32 v141, vcc_lo, v138, v72
	v_lshlrev_b64 v[78:79], 2, v[78:79]
	v_add_co_ci_u32_e32 v142, vcc_lo, v139, v73, vcc_lo
	v_ashrrev_i32_e32 v77, 31, v76
	s_mov_b32 vcc_lo, s2
	global_store_b32 v[141:142], v144, off
	s_cbranch_vccz .LBB23_62
; %bb.60:
	v_add_co_u32 v141, vcc_lo, v138, v78
	v_min_f32_e32 v143, 0, v140
	v_add_co_ci_u32_e32 v142, vcc_lo, v139, v79, vcc_lo
	s_mov_b32 s6, 0
	global_store_b32 v[141:142], v143, off
	v_lshlrev_b64 v[76:77], 2, v[76:77]
	s_cbranch_execz .LBB23_63
; %bb.61:
	v_mov_b32_e32 v140, s6
	s_branch .LBB23_64
.LBB23_62:
	s_mov_b32 s6, -1
	v_lshlrev_b64 v[76:77], 2, v[76:77]
.LBB23_63:
	v_add_co_u32 v141, vcc_lo, v146, v78
	v_add_co_ci_u32_e32 v142, vcc_lo, v147, v79, vcc_lo
	flat_load_b32 v141, v[141:142]
	s_waitcnt vmcnt(0) lgkmcnt(0)
	v_mul_f32_e32 v143, s15, v141
	v_add_co_u32 v141, vcc_lo, v138, v78
	v_add_co_ci_u32_e32 v142, vcc_lo, v139, v79, vcc_lo
	s_delay_alu instid0(VALU_DEP_3)
	v_min_f32_e32 v140, v143, v140
	v_add_co_u32 v143, vcc_lo, v146, v76
	v_add_co_ci_u32_e32 v144, vcc_lo, v147, v77, vcc_lo
	global_store_b32 v[141:142], v140, off
	flat_load_b32 v140, v[143:144]
	s_waitcnt vmcnt(0) lgkmcnt(0)
	v_mul_f32_e32 v140, s15, v140
.LBB23_64:
	v_dual_add_f32 v141, v33, v57 :: v_dual_add_f32 v142, v32, v56
	v_dual_add_f32 v61, v1, v61 :: v_dual_add_f32 v60, v0, v60
	v_add_f32_e32 v143, v34, v58
	v_add_f32_e32 v62, v2, v62
	s_delay_alu instid0(VALU_DEP_4) | instskip(SKIP_3) | instid1(VALU_DEP_3)
	v_min3_f32 v136, v142, v141, v136
	v_add_f32_e32 v142, v35, v59
	v_add_nc_u32_e32 v141, 32, v111
	v_min3_f32 v137, v60, v61, v137
	v_min3_f32 v136, v143, v142, v136
	v_add_f32_e32 v63, v3, v63
	s_delay_alu instid0(VALU_DEP_4) | instskip(NEXT) | instid1(VALU_DEP_3)
	v_mad_i64_i32 v[60:61], null, v141, s8, 0
	v_max_f32_e32 v136, v136, v136
	s_delay_alu instid0(VALU_DEP_3) | instskip(SKIP_1) | instid1(VALU_DEP_4)
	v_min_f32_e32 v144, v62, v63
	v_mad_i64_i32 v[62:63], null, v141, s3, 0
	v_lshlrev_b64 v[60:61], 2, v[60:61]
	s_delay_alu instid0(VALU_DEP_3)
	v_min3_f32 v140, v140, v144, v137
	v_add_co_u32 v137, vcc_lo, v138, v76
	v_add_co_ci_u32_e32 v138, vcc_lo, v139, v77, vcc_lo
	v_lshlrev_b64 v[62:63], 2, v[62:63]
	v_add_co_u32 v60, vcc_lo, s0, v60
	v_add_co_ci_u32_e32 v61, vcc_lo, s1, v61, vcc_lo
	global_store_b32 v[137:138], v140, off
	v_add_co_u32 v62, vcc_lo, s4, v62
	v_add_co_ci_u32_e32 v63, vcc_lo, s5, v63, vcc_lo
	s_mov_b32 vcc_lo, s2
	s_cbranch_vccz .LBB23_67
; %bb.65:
	v_add_co_u32 v137, vcc_lo, v60, v66
	v_min_f32_e32 v139, 0, v136
	v_add_co_ci_u32_e32 v138, vcc_lo, v61, v67, vcc_lo
	s_mov_b32 s6, 0
	global_store_b32 v[137:138], v139, off
	s_cbranch_execz .LBB23_68
; %bb.66:
	v_mov_b32_e32 v136, s6
	s_branch .LBB23_69
.LBB23_67:
	s_mov_b32 s6, -1
.LBB23_68:
	v_add_co_u32 v137, vcc_lo, v62, v66
	v_add_co_ci_u32_e32 v138, vcc_lo, v63, v67, vcc_lo
	flat_load_b32 v137, v[137:138]
	s_waitcnt vmcnt(0) lgkmcnt(0)
	v_mul_f32_e32 v139, s15, v137
	v_add_co_u32 v137, vcc_lo, v60, v66
	v_add_co_ci_u32_e32 v138, vcc_lo, v61, v67, vcc_lo
	s_delay_alu instid0(VALU_DEP_3)
	v_min_f32_e32 v136, v139, v136
	v_add_co_u32 v139, vcc_lo, v62, v64
	v_add_co_ci_u32_e32 v140, vcc_lo, v63, v65, vcc_lo
	global_store_b32 v[137:138], v136, off
	flat_load_b32 v136, v[139:140]
	s_waitcnt vmcnt(0) lgkmcnt(0)
	v_mul_f32_e32 v136, s15, v136
.LBB23_69:
	v_dual_add_f32 v137, v29, v57 :: v_dual_add_f32 v138, v28, v56
	v_dual_add_f32 v139, v25, v57 :: v_dual_add_f32 v140, v24, v56
	v_dual_add_f32 v141, v31, v59 :: v_dual_add_f32 v142, v30, v58
	s_delay_alu instid0(VALU_DEP_3) | instskip(SKIP_1) | instid1(VALU_DEP_4)
	v_min3_f32 v134, v138, v137, v134
	v_dual_add_f32 v137, v27, v59 :: v_dual_add_f32 v138, v26, v58
	v_min3_f32 v135, v140, v139, v135
	s_delay_alu instid0(VALU_DEP_4) | instskip(NEXT) | instid1(VALU_DEP_2)
	v_min_f32_e32 v139, v142, v141
	v_min3_f32 v137, v138, v137, v135
	v_add_co_u32 v135, vcc_lo, v60, v64
	s_delay_alu instid0(VALU_DEP_3) | instskip(SKIP_1) | instid1(VALU_DEP_4)
	v_min3_f32 v138, v136, v139, v134
	v_add_co_ci_u32_e32 v136, vcc_lo, v61, v65, vcc_lo
	v_max_f32_e32 v134, v137, v137
	s_mov_b32 vcc_lo, s2
	global_store_b32 v[135:136], v138, off
	s_cbranch_vccz .LBB23_72
; %bb.70:
	v_add_co_u32 v135, vcc_lo, v60, v70
	v_min_f32_e32 v137, 0, v134
	v_add_co_ci_u32_e32 v136, vcc_lo, v61, v71, vcc_lo
	s_mov_b32 s6, 0
	global_store_b32 v[135:136], v137, off
	s_cbranch_execz .LBB23_73
; %bb.71:
	v_mov_b32_e32 v134, s6
	s_branch .LBB23_74
.LBB23_72:
	s_mov_b32 s6, -1
.LBB23_73:
	v_add_co_u32 v135, vcc_lo, v62, v70
	v_add_co_ci_u32_e32 v136, vcc_lo, v63, v71, vcc_lo
	flat_load_b32 v135, v[135:136]
	s_waitcnt vmcnt(0) lgkmcnt(0)
	v_mul_f32_e32 v137, s15, v135
	v_add_co_u32 v135, vcc_lo, v60, v70
	v_add_co_ci_u32_e32 v136, vcc_lo, v61, v71, vcc_lo
	s_delay_alu instid0(VALU_DEP_3)
	v_min_f32_e32 v134, v137, v134
	v_add_co_u32 v137, vcc_lo, v62, v68
	v_add_co_ci_u32_e32 v138, vcc_lo, v63, v69, vcc_lo
	global_store_b32 v[135:136], v134, off
	flat_load_b32 v134, v[137:138]
	s_waitcnt vmcnt(0) lgkmcnt(0)
	v_mul_f32_e32 v134, s15, v134
.LBB23_74:
	v_dual_add_f32 v135, v21, v57 :: v_dual_add_f32 v136, v20, v56
	v_dual_add_f32 v137, v17, v57 :: v_dual_add_f32 v138, v16, v56
	v_dual_add_f32 v139, v23, v59 :: v_dual_add_f32 v140, v22, v58
	s_delay_alu instid0(VALU_DEP_3) | instskip(SKIP_1) | instid1(VALU_DEP_4)
	v_min3_f32 v132, v136, v135, v132
	v_dual_add_f32 v135, v19, v59 :: v_dual_add_f32 v136, v18, v58
	v_min3_f32 v133, v138, v137, v133
	s_delay_alu instid0(VALU_DEP_4) | instskip(NEXT) | instid1(VALU_DEP_2)
	v_min_f32_e32 v137, v140, v139
	v_min3_f32 v135, v136, v135, v133
	v_add_co_u32 v133, vcc_lo, v60, v68
	s_delay_alu instid0(VALU_DEP_3) | instskip(SKIP_1) | instid1(VALU_DEP_4)
	v_min3_f32 v136, v134, v137, v132
	v_add_co_ci_u32_e32 v134, vcc_lo, v61, v69, vcc_lo
	v_max_f32_e32 v132, v135, v135
	s_mov_b32 vcc_lo, s2
	global_store_b32 v[133:134], v136, off
	;; [unrolled: 47-line block ×3, first 2 shown]
	s_cbranch_vccz .LBB23_82
; %bb.80:
	v_add_co_u32 v131, vcc_lo, v60, v78
	v_min_f32_e32 v133, 0, v130
	v_add_co_ci_u32_e32 v132, vcc_lo, v61, v79, vcc_lo
	s_mov_b32 s6, 0
	global_store_b32 v[131:132], v133, off
	s_cbranch_execz .LBB23_83
; %bb.81:
	v_mov_b32_e32 v62, s6
	s_branch .LBB23_84
.LBB23_82:
	s_mov_b32 s6, -1
.LBB23_83:
	v_add_co_u32 v131, vcc_lo, v62, v78
	v_add_co_ci_u32_e32 v132, vcc_lo, v63, v79, vcc_lo
	flat_load_b32 v131, v[131:132]
	s_waitcnt vmcnt(0) lgkmcnt(0)
	v_mul_f32_e32 v133, s15, v131
	v_add_co_u32 v131, vcc_lo, v60, v78
	v_add_co_ci_u32_e32 v132, vcc_lo, v61, v79, vcc_lo
	v_add_co_u32 v62, vcc_lo, v62, v76
	s_delay_alu instid0(VALU_DEP_4)
	v_min_f32_e32 v130, v133, v130
	v_add_co_ci_u32_e32 v63, vcc_lo, v63, v77, vcc_lo
	global_store_b32 v[131:132], v130, off
	flat_load_b32 v62, v[62:63]
	s_waitcnt vmcnt(0) lgkmcnt(0)
	v_mul_f32_e32 v62, s15, v62
.LBB23_84:
	v_dual_add_f32 v63, v33, v53 :: v_dual_add_f32 v130, v32, v52
	v_dual_add_f32 v57, v1, v57 :: v_dual_add_f32 v56, v0, v56
	v_dual_add_f32 v59, v3, v59 :: v_dual_add_f32 v58, v2, v58
	s_delay_alu instid0(VALU_DEP_3) | instskip(SKIP_1) | instid1(VALU_DEP_4)
	v_min3_f32 v63, v130, v63, v129
	v_add_nc_u32_e32 v129, 64, v111
	v_min3_f32 v128, v56, v57, v128
	v_dual_add_f32 v130, v35, v55 :: v_dual_add_f32 v131, v34, v54
	v_min_f32_e32 v132, v58, v59
	s_delay_alu instid0(VALU_DEP_4) | instskip(SKIP_1) | instid1(VALU_DEP_3)
	v_mad_i64_i32 v[56:57], null, v129, s8, 0
	v_mad_i64_i32 v[58:59], null, v129, s3, 0
	v_min3_f32 v128, v62, v132, v128
	v_add_co_u32 v62, vcc_lo, v60, v76
	v_min3_f32 v129, v131, v130, v63
	v_lshlrev_b64 v[56:57], 2, v[56:57]
	v_add_co_ci_u32_e32 v63, vcc_lo, v61, v77, vcc_lo
	v_lshlrev_b64 v[58:59], 2, v[58:59]
	s_delay_alu instid0(VALU_DEP_4) | instskip(NEXT) | instid1(VALU_DEP_4)
	v_max_f32_e32 v60, v129, v129
	v_add_co_u32 v56, vcc_lo, s0, v56
	v_add_co_ci_u32_e32 v57, vcc_lo, s1, v57, vcc_lo
	s_delay_alu instid0(VALU_DEP_4)
	v_add_co_u32 v58, vcc_lo, s4, v58
	v_add_co_ci_u32_e32 v59, vcc_lo, s5, v59, vcc_lo
	s_mov_b32 vcc_lo, s2
	global_store_b32 v[62:63], v128, off
	s_cbranch_vccz .LBB23_87
; %bb.85:
	v_add_co_u32 v61, vcc_lo, v56, v66
	v_min_f32_e32 v63, 0, v60
	v_add_co_ci_u32_e32 v62, vcc_lo, v57, v67, vcc_lo
	s_mov_b32 s6, 0
	global_store_b32 v[61:62], v63, off
	s_cbranch_execz .LBB23_88
; %bb.86:
	v_mov_b32_e32 v60, s6
	s_branch .LBB23_89
.LBB23_87:
	s_mov_b32 s6, -1
.LBB23_88:
	v_add_co_u32 v61, vcc_lo, v58, v66
	v_add_co_ci_u32_e32 v62, vcc_lo, v59, v67, vcc_lo
	flat_load_b32 v61, v[61:62]
	s_waitcnt vmcnt(0) lgkmcnt(0)
	v_mul_f32_e32 v63, s15, v61
	v_add_co_u32 v61, vcc_lo, v56, v66
	v_add_co_ci_u32_e32 v62, vcc_lo, v57, v67, vcc_lo
	v_add_co_u32 v128, vcc_lo, v58, v64
	s_delay_alu instid0(VALU_DEP_4)
	v_min_f32_e32 v60, v63, v60
	v_add_co_ci_u32_e32 v129, vcc_lo, v59, v65, vcc_lo
	global_store_b32 v[61:62], v60, off
	flat_load_b32 v60, v[128:129]
	s_waitcnt vmcnt(0) lgkmcnt(0)
	v_mul_f32_e32 v60, s15, v60
.LBB23_89:
	v_dual_add_f32 v61, v29, v53 :: v_dual_add_f32 v62, v28, v52
	v_dual_add_f32 v63, v25, v53 :: v_dual_add_f32 v128, v24, v52
	;; [unrolled: 1-line block ×3, first 2 shown]
	s_delay_alu instid0(VALU_DEP_3) | instskip(NEXT) | instid1(VALU_DEP_3)
	v_min3_f32 v61, v62, v61, v127
	v_min3_f32 v62, v128, v63, v126
	v_dual_add_f32 v63, v27, v55 :: v_dual_add_f32 v126, v26, v54
	s_delay_alu instid0(VALU_DEP_1) | instskip(SKIP_1) | instid1(VALU_DEP_1)
	v_min3_f32 v63, v126, v63, v62
	v_min_f32_e32 v127, v130, v129
	v_min3_f32 v126, v60, v127, v61
	s_delay_alu instid0(VALU_DEP_3)
	v_max_f32_e32 v60, v63, v63
	v_add_co_u32 v61, vcc_lo, v56, v64
	v_add_co_ci_u32_e32 v62, vcc_lo, v57, v65, vcc_lo
	s_mov_b32 vcc_lo, s2
	global_store_b32 v[61:62], v126, off
	s_cbranch_vccz .LBB23_92
; %bb.90:
	v_add_co_u32 v61, vcc_lo, v56, v70
	v_min_f32_e32 v63, 0, v60
	v_add_co_ci_u32_e32 v62, vcc_lo, v57, v71, vcc_lo
	s_mov_b32 s6, 0
	global_store_b32 v[61:62], v63, off
	s_cbranch_execz .LBB23_93
; %bb.91:
	v_mov_b32_e32 v60, s6
	s_branch .LBB23_94
.LBB23_92:
	s_mov_b32 s6, -1
.LBB23_93:
	v_add_co_u32 v61, vcc_lo, v58, v70
	v_add_co_ci_u32_e32 v62, vcc_lo, v59, v71, vcc_lo
	flat_load_b32 v61, v[61:62]
	s_waitcnt vmcnt(0) lgkmcnt(0)
	v_mul_f32_e32 v63, s15, v61
	v_add_co_u32 v61, vcc_lo, v56, v70
	v_add_co_ci_u32_e32 v62, vcc_lo, v57, v71, vcc_lo
	v_add_co_u32 v126, vcc_lo, v58, v68
	s_delay_alu instid0(VALU_DEP_4)
	v_min_f32_e32 v60, v63, v60
	v_add_co_ci_u32_e32 v127, vcc_lo, v59, v69, vcc_lo
	global_store_b32 v[61:62], v60, off
	flat_load_b32 v60, v[126:127]
	s_waitcnt vmcnt(0) lgkmcnt(0)
	v_mul_f32_e32 v60, s15, v60
.LBB23_94:
	v_dual_add_f32 v61, v21, v53 :: v_dual_add_f32 v62, v20, v52
	v_dual_add_f32 v63, v17, v53 :: v_dual_add_f32 v126, v16, v52
	;; [unrolled: 1-line block ×3, first 2 shown]
	s_delay_alu instid0(VALU_DEP_3) | instskip(SKIP_1) | instid1(VALU_DEP_4)
	v_min3_f32 v61, v62, v61, v124
	v_add_f32_e32 v124, v18, v54
	v_min3_f32 v62, v126, v63, v125
	v_add_f32_e32 v63, v19, v55
	v_min_f32_e32 v125, v128, v127
	s_delay_alu instid0(VALU_DEP_2) | instskip(NEXT) | instid1(VALU_DEP_2)
	v_min3_f32 v63, v124, v63, v62
	v_min3_f32 v124, v60, v125, v61
	v_add_co_u32 v61, vcc_lo, v56, v68
	v_add_co_ci_u32_e32 v62, vcc_lo, v57, v69, vcc_lo
	s_delay_alu instid0(VALU_DEP_4)
	v_max_f32_e32 v60, v63, v63
	s_mov_b32 vcc_lo, s2
	global_store_b32 v[61:62], v124, off
	s_cbranch_vccz .LBB23_97
; %bb.95:
	v_add_co_u32 v61, vcc_lo, v56, v74
	v_min_f32_e32 v63, 0, v60
	v_add_co_ci_u32_e32 v62, vcc_lo, v57, v75, vcc_lo
	s_mov_b32 s6, 0
	global_store_b32 v[61:62], v63, off
	s_cbranch_execz .LBB23_98
; %bb.96:
	v_mov_b32_e32 v60, s6
	s_branch .LBB23_99
.LBB23_97:
	s_mov_b32 s6, -1
.LBB23_98:
	v_add_co_u32 v61, vcc_lo, v58, v74
	v_add_co_ci_u32_e32 v62, vcc_lo, v59, v75, vcc_lo
	flat_load_b32 v61, v[61:62]
	s_waitcnt vmcnt(0) lgkmcnt(0)
	v_mul_f32_e32 v63, s15, v61
	v_add_co_u32 v61, vcc_lo, v56, v74
	v_add_co_ci_u32_e32 v62, vcc_lo, v57, v75, vcc_lo
	v_add_co_u32 v124, vcc_lo, v58, v72
	s_delay_alu instid0(VALU_DEP_4)
	v_min_f32_e32 v60, v63, v60
	v_add_co_ci_u32_e32 v125, vcc_lo, v59, v73, vcc_lo
	global_store_b32 v[61:62], v60, off
	flat_load_b32 v60, v[124:125]
	s_waitcnt vmcnt(0) lgkmcnt(0)
	v_mul_f32_e32 v60, s15, v60
.LBB23_99:
	v_dual_add_f32 v61, v13, v53 :: v_dual_add_f32 v62, v12, v52
	v_dual_add_f32 v63, v9, v53 :: v_dual_add_f32 v124, v8, v52
	;; [unrolled: 1-line block ×3, first 2 shown]
	s_delay_alu instid0(VALU_DEP_3) | instskip(SKIP_1) | instid1(VALU_DEP_4)
	v_min3_f32 v61, v62, v61, v122
	v_add_f32_e32 v122, v10, v54
	v_min3_f32 v62, v124, v63, v123
	v_add_f32_e32 v63, v11, v55
	s_delay_alu instid0(VALU_DEP_1) | instskip(SKIP_1) | instid1(VALU_DEP_1)
	v_min3_f32 v63, v122, v63, v62
	v_min_f32_e32 v123, v126, v125
	v_min3_f32 v122, v60, v123, v61
	s_delay_alu instid0(VALU_DEP_3)
	v_max_f32_e32 v60, v63, v63
	v_add_co_u32 v61, vcc_lo, v56, v72
	v_add_co_ci_u32_e32 v62, vcc_lo, v57, v73, vcc_lo
	s_mov_b32 vcc_lo, s2
	global_store_b32 v[61:62], v122, off
	s_cbranch_vccz .LBB23_102
; %bb.100:
	v_add_co_u32 v61, vcc_lo, v56, v78
	v_min_f32_e32 v63, 0, v60
	v_add_co_ci_u32_e32 v62, vcc_lo, v57, v79, vcc_lo
	s_mov_b32 s6, 0
	global_store_b32 v[61:62], v63, off
	s_cbranch_execz .LBB23_103
; %bb.101:
	v_mov_b32_e32 v58, s6
	s_branch .LBB23_104
.LBB23_102:
	s_mov_b32 s6, -1
.LBB23_103:
	v_add_co_u32 v61, vcc_lo, v58, v78
	v_add_co_ci_u32_e32 v62, vcc_lo, v59, v79, vcc_lo
	flat_load_b32 v61, v[61:62]
	s_waitcnt vmcnt(0) lgkmcnt(0)
	v_mul_f32_e32 v63, s15, v61
	v_add_co_u32 v61, vcc_lo, v56, v78
	v_add_co_ci_u32_e32 v62, vcc_lo, v57, v79, vcc_lo
	v_add_co_u32 v58, vcc_lo, v58, v76
	s_delay_alu instid0(VALU_DEP_4)
	v_min_f32_e32 v60, v63, v60
	v_add_co_ci_u32_e32 v59, vcc_lo, v59, v77, vcc_lo
	global_store_b32 v[61:62], v60, off
	flat_load_b32 v58, v[58:59]
	s_waitcnt vmcnt(0) lgkmcnt(0)
	v_mul_f32_e32 v58, s15, v58
.LBB23_104:
	v_dual_add_f32 v59, v33, v49 :: v_dual_add_f32 v60, v32, v48
	v_dual_add_f32 v53, v1, v53 :: v_dual_add_f32 v52, v0, v52
	;; [unrolled: 1-line block ×3, first 2 shown]
	s_delay_alu instid0(VALU_DEP_3) | instskip(SKIP_1) | instid1(VALU_DEP_4)
	v_min3_f32 v59, v60, v59, v121
	v_dual_add_f32 v63, v34, v50 :: v_dual_add_nc_u32 v60, 0x60, v111
	v_min3_f32 v61, v52, v53, v120
	s_delay_alu instid0(VALU_DEP_4) | instskip(SKIP_1) | instid1(VALU_DEP_4)
	v_min_f32_e32 v120, v54, v55
	v_add_f32_e32 v62, v35, v51
	v_mad_i64_i32 v[52:53], null, v60, s8, 0
	v_mad_i64_i32 v[54:55], null, v60, s3, 0
	s_delay_alu instid0(VALU_DEP_4)
	v_min3_f32 v61, v58, v120, v61
	v_add_co_u32 v58, vcc_lo, v56, v76
	v_min3_f32 v60, v63, v62, v59
	v_lshlrev_b64 v[52:53], 2, v[52:53]
	v_add_co_ci_u32_e32 v59, vcc_lo, v57, v77, vcc_lo
	v_lshlrev_b64 v[54:55], 2, v[54:55]
	s_delay_alu instid0(VALU_DEP_4) | instskip(NEXT) | instid1(VALU_DEP_4)
	v_max_f32_e32 v56, v60, v60
	v_add_co_u32 v52, vcc_lo, s0, v52
	v_add_co_ci_u32_e32 v53, vcc_lo, s1, v53, vcc_lo
	s_delay_alu instid0(VALU_DEP_4)
	v_add_co_u32 v54, vcc_lo, s4, v54
	v_add_co_ci_u32_e32 v55, vcc_lo, s5, v55, vcc_lo
	s_mov_b32 vcc_lo, s2
	global_store_b32 v[58:59], v61, off
	s_cbranch_vccz .LBB23_107
; %bb.105:
	v_add_co_u32 v57, vcc_lo, v52, v66
	v_min_f32_e32 v59, 0, v56
	v_add_co_ci_u32_e32 v58, vcc_lo, v53, v67, vcc_lo
	s_mov_b32 s6, 0
	global_store_b32 v[57:58], v59, off
	s_cbranch_execz .LBB23_108
; %bb.106:
	v_mov_b32_e32 v56, s6
	s_branch .LBB23_109
.LBB23_107:
	s_mov_b32 s6, -1
.LBB23_108:
	v_add_co_u32 v57, vcc_lo, v54, v66
	v_add_co_ci_u32_e32 v58, vcc_lo, v55, v67, vcc_lo
	flat_load_b32 v57, v[57:58]
	s_waitcnt vmcnt(0) lgkmcnt(0)
	v_mul_f32_e32 v59, s15, v57
	v_add_co_u32 v57, vcc_lo, v52, v66
	v_add_co_ci_u32_e32 v58, vcc_lo, v53, v67, vcc_lo
	s_delay_alu instid0(VALU_DEP_3)
	v_min_f32_e32 v56, v59, v56
	v_add_co_u32 v59, vcc_lo, v54, v64
	v_add_co_ci_u32_e32 v60, vcc_lo, v55, v65, vcc_lo
	global_store_b32 v[57:58], v56, off
	flat_load_b32 v56, v[59:60]
	s_waitcnt vmcnt(0) lgkmcnt(0)
	v_mul_f32_e32 v56, s15, v56
.LBB23_109:
	v_dual_add_f32 v57, v29, v49 :: v_dual_add_f32 v58, v28, v48
	v_dual_add_f32 v59, v25, v49 :: v_dual_add_f32 v60, v24, v48
	v_dual_add_f32 v61, v31, v51 :: v_dual_add_f32 v62, v30, v50
	s_delay_alu instid0(VALU_DEP_3) | instskip(NEXT) | instid1(VALU_DEP_3)
	v_min3_f32 v57, v58, v57, v118
	v_min3_f32 v58, v60, v59, v119
	v_dual_add_f32 v59, v27, v51 :: v_dual_add_f32 v60, v26, v50
	s_delay_alu instid0(VALU_DEP_1) | instskip(SKIP_1) | instid1(VALU_DEP_1)
	v_min3_f32 v59, v60, v59, v58
	v_min_f32_e32 v61, v62, v61
	v_min3_f32 v60, v56, v61, v57
	s_delay_alu instid0(VALU_DEP_3)
	v_max_f32_e32 v56, v59, v59
	v_add_co_u32 v57, vcc_lo, v52, v64
	v_add_co_ci_u32_e32 v58, vcc_lo, v53, v65, vcc_lo
	s_mov_b32 vcc_lo, s2
	global_store_b32 v[57:58], v60, off
	s_cbranch_vccz .LBB23_112
; %bb.110:
	v_add_co_u32 v57, vcc_lo, v52, v70
	v_min_f32_e32 v59, 0, v56
	v_add_co_ci_u32_e32 v58, vcc_lo, v53, v71, vcc_lo
	s_mov_b32 s6, 0
	global_store_b32 v[57:58], v59, off
	s_cbranch_execz .LBB23_113
; %bb.111:
	v_mov_b32_e32 v56, s6
	s_branch .LBB23_114
.LBB23_112:
	s_mov_b32 s6, -1
.LBB23_113:
	v_add_co_u32 v57, vcc_lo, v54, v70
	v_add_co_ci_u32_e32 v58, vcc_lo, v55, v71, vcc_lo
	flat_load_b32 v57, v[57:58]
	s_waitcnt vmcnt(0) lgkmcnt(0)
	v_mul_f32_e32 v59, s15, v57
	v_add_co_u32 v57, vcc_lo, v52, v70
	v_add_co_ci_u32_e32 v58, vcc_lo, v53, v71, vcc_lo
	s_delay_alu instid0(VALU_DEP_3)
	v_min_f32_e32 v56, v59, v56
	v_add_co_u32 v59, vcc_lo, v54, v68
	v_add_co_ci_u32_e32 v60, vcc_lo, v55, v69, vcc_lo
	global_store_b32 v[57:58], v56, off
	flat_load_b32 v56, v[59:60]
	s_waitcnt vmcnt(0) lgkmcnt(0)
	v_mul_f32_e32 v56, s15, v56
.LBB23_114:
	v_dual_add_f32 v57, v21, v49 :: v_dual_add_f32 v58, v20, v48
	v_dual_add_f32 v59, v17, v49 :: v_dual_add_f32 v60, v16, v48
	v_dual_add_f32 v61, v23, v51 :: v_dual_add_f32 v62, v22, v50
	s_delay_alu instid0(VALU_DEP_3) | instskip(NEXT) | instid1(VALU_DEP_3)
	v_min3_f32 v57, v58, v57, v117
	v_min3_f32 v58, v60, v59, v116
	v_dual_add_f32 v59, v19, v51 :: v_dual_add_f32 v60, v18, v50
	s_delay_alu instid0(VALU_DEP_1) | instskip(SKIP_1) | instid1(VALU_DEP_1)
	v_min3_f32 v59, v60, v59, v58
	v_min_f32_e32 v61, v62, v61
	v_min3_f32 v60, v56, v61, v57
	s_delay_alu instid0(VALU_DEP_3)
	v_max_f32_e32 v56, v59, v59
	;; [unrolled: 47-line block ×3, first 2 shown]
	v_add_co_u32 v57, vcc_lo, v52, v72
	v_add_co_ci_u32_e32 v58, vcc_lo, v53, v73, vcc_lo
	s_mov_b32 vcc_lo, s2
	global_store_b32 v[57:58], v60, off
	s_cbranch_vccz .LBB23_122
; %bb.120:
	v_add_co_u32 v57, vcc_lo, v52, v78
	v_min_f32_e32 v59, 0, v56
	v_add_co_ci_u32_e32 v58, vcc_lo, v53, v79, vcc_lo
	s_mov_b32 s6, 0
	global_store_b32 v[57:58], v59, off
	s_cbranch_execz .LBB23_123
; %bb.121:
	v_mov_b32_e32 v54, s6
	s_branch .LBB23_124
.LBB23_122:
	s_mov_b32 s6, -1
.LBB23_123:
	v_add_co_u32 v57, vcc_lo, v54, v78
	v_add_co_ci_u32_e32 v58, vcc_lo, v55, v79, vcc_lo
	flat_load_b32 v57, v[57:58]
	s_waitcnt vmcnt(0) lgkmcnt(0)
	v_mul_f32_e32 v59, s15, v57
	v_add_co_u32 v57, vcc_lo, v52, v78
	v_add_co_ci_u32_e32 v58, vcc_lo, v53, v79, vcc_lo
	v_add_co_u32 v54, vcc_lo, v54, v76
	s_delay_alu instid0(VALU_DEP_4)
	v_min_f32_e32 v56, v59, v56
	v_add_co_ci_u32_e32 v55, vcc_lo, v55, v77, vcc_lo
	global_store_b32 v[57:58], v56, off
	flat_load_b32 v54, v[54:55]
	s_waitcnt vmcnt(0) lgkmcnt(0)
	v_mul_f32_e32 v54, s15, v54
.LBB23_124:
	v_dual_add_f32 v55, v33, v45 :: v_dual_add_f32 v56, v32, v44
	v_dual_add_f32 v49, v1, v49 :: v_dual_add_f32 v48, v0, v48
	v_dual_add_f32 v51, v3, v51 :: v_dual_add_f32 v50, v2, v50
	s_delay_alu instid0(VALU_DEP_3) | instskip(SKIP_1) | instid1(VALU_DEP_4)
	v_min3_f32 v55, v56, v55, v113
	v_dual_add_f32 v59, v34, v46 :: v_dual_add_nc_u32 v56, 0x80, v111
	v_min3_f32 v57, v48, v49, v112
	s_delay_alu instid0(VALU_DEP_4) | instskip(SKIP_1) | instid1(VALU_DEP_4)
	v_min_f32_e32 v60, v50, v51
	v_add_f32_e32 v58, v35, v47
	v_mad_i64_i32 v[48:49], null, v56, s8, 0
	v_mad_i64_i32 v[50:51], null, v56, s3, 0
	s_delay_alu instid0(VALU_DEP_4)
	v_min3_f32 v57, v54, v60, v57
	v_add_co_u32 v54, vcc_lo, v52, v76
	v_min3_f32 v56, v59, v58, v55
	v_lshlrev_b64 v[48:49], 2, v[48:49]
	v_add_co_ci_u32_e32 v55, vcc_lo, v53, v77, vcc_lo
	v_lshlrev_b64 v[50:51], 2, v[50:51]
	s_delay_alu instid0(VALU_DEP_4) | instskip(NEXT) | instid1(VALU_DEP_4)
	v_max_f32_e32 v52, v56, v56
	v_add_co_u32 v48, vcc_lo, s0, v48
	v_add_co_ci_u32_e32 v49, vcc_lo, s1, v49, vcc_lo
	s_delay_alu instid0(VALU_DEP_4)
	v_add_co_u32 v50, vcc_lo, s4, v50
	v_add_co_ci_u32_e32 v51, vcc_lo, s5, v51, vcc_lo
	s_mov_b32 vcc_lo, s2
	global_store_b32 v[54:55], v57, off
	s_cbranch_vccz .LBB23_127
; %bb.125:
	v_add_co_u32 v53, vcc_lo, v48, v66
	v_min_f32_e32 v55, 0, v52
	v_add_co_ci_u32_e32 v54, vcc_lo, v49, v67, vcc_lo
	s_mov_b32 s6, 0
	global_store_b32 v[53:54], v55, off
	s_cbranch_execz .LBB23_128
; %bb.126:
	v_mov_b32_e32 v52, s6
	s_branch .LBB23_129
.LBB23_127:
	s_mov_b32 s6, -1
.LBB23_128:
	v_add_co_u32 v53, vcc_lo, v50, v66
	v_add_co_ci_u32_e32 v54, vcc_lo, v51, v67, vcc_lo
	flat_load_b32 v53, v[53:54]
	s_waitcnt vmcnt(0) lgkmcnt(0)
	v_mul_f32_e32 v55, s15, v53
	v_add_co_u32 v53, vcc_lo, v48, v66
	v_add_co_ci_u32_e32 v54, vcc_lo, v49, v67, vcc_lo
	s_delay_alu instid0(VALU_DEP_3)
	v_min_f32_e32 v52, v55, v52
	v_add_co_u32 v55, vcc_lo, v50, v64
	v_add_co_ci_u32_e32 v56, vcc_lo, v51, v65, vcc_lo
	global_store_b32 v[53:54], v52, off
	flat_load_b32 v52, v[55:56]
	s_waitcnt vmcnt(0) lgkmcnt(0)
	v_mul_f32_e32 v52, s15, v52
.LBB23_129:
	v_dual_add_f32 v53, v29, v45 :: v_dual_add_f32 v54, v28, v44
	v_dual_add_f32 v55, v25, v45 :: v_dual_add_f32 v56, v24, v44
	v_dual_add_f32 v57, v31, v47 :: v_dual_add_f32 v58, v30, v46
	s_delay_alu instid0(VALU_DEP_3) | instskip(NEXT) | instid1(VALU_DEP_3)
	v_min3_f32 v53, v54, v53, v109
	v_min3_f32 v54, v56, v55, v110
	v_dual_add_f32 v55, v27, v47 :: v_dual_add_f32 v56, v26, v46
	s_delay_alu instid0(VALU_DEP_1) | instskip(SKIP_1) | instid1(VALU_DEP_1)
	v_min3_f32 v55, v56, v55, v54
	v_min_f32_e32 v57, v58, v57
	v_min3_f32 v56, v52, v57, v53
	s_delay_alu instid0(VALU_DEP_3)
	v_max_f32_e32 v52, v55, v55
	v_add_co_u32 v53, vcc_lo, v48, v64
	v_add_co_ci_u32_e32 v54, vcc_lo, v49, v65, vcc_lo
	s_mov_b32 vcc_lo, s2
	global_store_b32 v[53:54], v56, off
	s_cbranch_vccz .LBB23_132
; %bb.130:
	v_add_co_u32 v53, vcc_lo, v48, v70
	v_min_f32_e32 v55, 0, v52
	v_add_co_ci_u32_e32 v54, vcc_lo, v49, v71, vcc_lo
	s_mov_b32 s6, 0
	global_store_b32 v[53:54], v55, off
	s_cbranch_execz .LBB23_133
; %bb.131:
	v_mov_b32_e32 v52, s6
	s_branch .LBB23_134
.LBB23_132:
	s_mov_b32 s6, -1
.LBB23_133:
	v_add_co_u32 v53, vcc_lo, v50, v70
	v_add_co_ci_u32_e32 v54, vcc_lo, v51, v71, vcc_lo
	flat_load_b32 v53, v[53:54]
	s_waitcnt vmcnt(0) lgkmcnt(0)
	v_mul_f32_e32 v55, s15, v53
	v_add_co_u32 v53, vcc_lo, v48, v70
	v_add_co_ci_u32_e32 v54, vcc_lo, v49, v71, vcc_lo
	s_delay_alu instid0(VALU_DEP_3)
	v_min_f32_e32 v52, v55, v52
	v_add_co_u32 v55, vcc_lo, v50, v68
	v_add_co_ci_u32_e32 v56, vcc_lo, v51, v69, vcc_lo
	global_store_b32 v[53:54], v52, off
	flat_load_b32 v52, v[55:56]
	s_waitcnt vmcnt(0) lgkmcnt(0)
	v_mul_f32_e32 v52, s15, v52
.LBB23_134:
	v_dual_add_f32 v53, v21, v45 :: v_dual_add_f32 v54, v20, v44
	v_dual_add_f32 v55, v17, v45 :: v_dual_add_f32 v56, v16, v44
	v_dual_add_f32 v57, v23, v47 :: v_dual_add_f32 v58, v22, v46
	s_delay_alu instid0(VALU_DEP_3) | instskip(NEXT) | instid1(VALU_DEP_3)
	v_min3_f32 v53, v54, v53, v107
	v_min3_f32 v54, v56, v55, v108
	v_dual_add_f32 v55, v19, v47 :: v_dual_add_f32 v56, v18, v46
	s_delay_alu instid0(VALU_DEP_1) | instskip(SKIP_1) | instid1(VALU_DEP_1)
	v_min3_f32 v55, v56, v55, v54
	v_min_f32_e32 v57, v58, v57
	v_min3_f32 v56, v52, v57, v53
	s_delay_alu instid0(VALU_DEP_3)
	v_max_f32_e32 v52, v55, v55
	;; [unrolled: 47-line block ×3, first 2 shown]
	v_add_co_u32 v53, vcc_lo, v48, v72
	v_add_co_ci_u32_e32 v54, vcc_lo, v49, v73, vcc_lo
	s_mov_b32 vcc_lo, s2
	global_store_b32 v[53:54], v56, off
	s_cbranch_vccz .LBB23_142
; %bb.140:
	v_add_co_u32 v53, vcc_lo, v48, v78
	v_min_f32_e32 v55, 0, v52
	v_add_co_ci_u32_e32 v54, vcc_lo, v49, v79, vcc_lo
	s_mov_b32 s6, 0
	global_store_b32 v[53:54], v55, off
	s_cbranch_execz .LBB23_143
; %bb.141:
	v_mov_b32_e32 v50, s6
	s_branch .LBB23_144
.LBB23_142:
	s_mov_b32 s6, -1
.LBB23_143:
	v_add_co_u32 v53, vcc_lo, v50, v78
	v_add_co_ci_u32_e32 v54, vcc_lo, v51, v79, vcc_lo
	flat_load_b32 v53, v[53:54]
	s_waitcnt vmcnt(0) lgkmcnt(0)
	v_mul_f32_e32 v55, s15, v53
	v_add_co_u32 v53, vcc_lo, v48, v78
	v_add_co_ci_u32_e32 v54, vcc_lo, v49, v79, vcc_lo
	v_add_co_u32 v50, vcc_lo, v50, v76
	s_delay_alu instid0(VALU_DEP_4)
	v_min_f32_e32 v52, v55, v52
	v_add_co_ci_u32_e32 v51, vcc_lo, v51, v77, vcc_lo
	global_store_b32 v[53:54], v52, off
	flat_load_b32 v50, v[50:51]
	s_waitcnt vmcnt(0) lgkmcnt(0)
	v_mul_f32_e32 v50, s15, v50
.LBB23_144:
	v_dual_add_f32 v51, v33, v41 :: v_dual_add_f32 v52, v32, v40
	v_dual_add_f32 v45, v1, v45 :: v_dual_add_f32 v44, v0, v44
	;; [unrolled: 1-line block ×3, first 2 shown]
	s_delay_alu instid0(VALU_DEP_3) | instskip(SKIP_1) | instid1(VALU_DEP_4)
	v_min3_f32 v51, v52, v51, v104
	v_dual_add_f32 v55, v34, v42 :: v_dual_add_nc_u32 v52, 0xa0, v111
	v_min3_f32 v53, v44, v45, v103
	s_delay_alu instid0(VALU_DEP_4) | instskip(SKIP_1) | instid1(VALU_DEP_4)
	v_min_f32_e32 v56, v46, v47
	v_add_f32_e32 v54, v35, v43
	v_mad_i64_i32 v[44:45], null, v52, s8, 0
	v_mad_i64_i32 v[46:47], null, v52, s3, 0
	s_delay_alu instid0(VALU_DEP_4)
	v_min3_f32 v53, v50, v56, v53
	v_add_co_u32 v50, vcc_lo, v48, v76
	v_min3_f32 v52, v55, v54, v51
	v_lshlrev_b64 v[44:45], 2, v[44:45]
	v_add_co_ci_u32_e32 v51, vcc_lo, v49, v77, vcc_lo
	v_lshlrev_b64 v[46:47], 2, v[46:47]
	s_delay_alu instid0(VALU_DEP_4) | instskip(NEXT) | instid1(VALU_DEP_4)
	v_max_f32_e32 v48, v52, v52
	v_add_co_u32 v44, vcc_lo, s0, v44
	v_add_co_ci_u32_e32 v45, vcc_lo, s1, v45, vcc_lo
	s_delay_alu instid0(VALU_DEP_4)
	v_add_co_u32 v46, vcc_lo, s4, v46
	v_add_co_ci_u32_e32 v47, vcc_lo, s5, v47, vcc_lo
	s_mov_b32 vcc_lo, s2
	global_store_b32 v[50:51], v53, off
	s_cbranch_vccz .LBB23_147
; %bb.145:
	v_add_co_u32 v49, vcc_lo, v44, v66
	v_min_f32_e32 v51, 0, v48
	v_add_co_ci_u32_e32 v50, vcc_lo, v45, v67, vcc_lo
	s_mov_b32 s6, 0
	global_store_b32 v[49:50], v51, off
	s_cbranch_execz .LBB23_148
; %bb.146:
	v_mov_b32_e32 v48, s6
	s_branch .LBB23_149
.LBB23_147:
	s_mov_b32 s6, -1
.LBB23_148:
	v_add_co_u32 v49, vcc_lo, v46, v66
	v_add_co_ci_u32_e32 v50, vcc_lo, v47, v67, vcc_lo
	flat_load_b32 v49, v[49:50]
	s_waitcnt vmcnt(0) lgkmcnt(0)
	v_mul_f32_e32 v51, s15, v49
	v_add_co_u32 v49, vcc_lo, v44, v66
	v_add_co_ci_u32_e32 v50, vcc_lo, v45, v67, vcc_lo
	s_delay_alu instid0(VALU_DEP_3)
	v_min_f32_e32 v48, v51, v48
	v_add_co_u32 v51, vcc_lo, v46, v64
	v_add_co_ci_u32_e32 v52, vcc_lo, v47, v65, vcc_lo
	global_store_b32 v[49:50], v48, off
	flat_load_b32 v48, v[51:52]
	s_waitcnt vmcnt(0) lgkmcnt(0)
	v_mul_f32_e32 v48, s15, v48
.LBB23_149:
	v_dual_add_f32 v49, v29, v41 :: v_dual_add_f32 v50, v28, v40
	v_dual_add_f32 v51, v25, v41 :: v_dual_add_f32 v52, v24, v40
	v_dual_add_f32 v53, v31, v43 :: v_dual_add_f32 v54, v30, v42
	s_delay_alu instid0(VALU_DEP_3) | instskip(NEXT) | instid1(VALU_DEP_3)
	v_min3_f32 v49, v50, v49, v101
	v_min3_f32 v50, v52, v51, v102
	v_dual_add_f32 v51, v27, v43 :: v_dual_add_f32 v52, v26, v42
	s_delay_alu instid0(VALU_DEP_1) | instskip(SKIP_1) | instid1(VALU_DEP_1)
	v_min3_f32 v51, v52, v51, v50
	v_min_f32_e32 v53, v54, v53
	v_min3_f32 v52, v48, v53, v49
	s_delay_alu instid0(VALU_DEP_3)
	v_max_f32_e32 v48, v51, v51
	v_add_co_u32 v49, vcc_lo, v44, v64
	v_add_co_ci_u32_e32 v50, vcc_lo, v45, v65, vcc_lo
	s_mov_b32 vcc_lo, s2
	global_store_b32 v[49:50], v52, off
	s_cbranch_vccz .LBB23_152
; %bb.150:
	v_add_co_u32 v49, vcc_lo, v44, v70
	v_min_f32_e32 v51, 0, v48
	v_add_co_ci_u32_e32 v50, vcc_lo, v45, v71, vcc_lo
	s_mov_b32 s6, 0
	global_store_b32 v[49:50], v51, off
	s_cbranch_execz .LBB23_153
; %bb.151:
	v_mov_b32_e32 v48, s6
	s_branch .LBB23_154
.LBB23_152:
	s_mov_b32 s6, -1
.LBB23_153:
	v_add_co_u32 v49, vcc_lo, v46, v70
	v_add_co_ci_u32_e32 v50, vcc_lo, v47, v71, vcc_lo
	flat_load_b32 v49, v[49:50]
	s_waitcnt vmcnt(0) lgkmcnt(0)
	v_mul_f32_e32 v51, s15, v49
	v_add_co_u32 v49, vcc_lo, v44, v70
	v_add_co_ci_u32_e32 v50, vcc_lo, v45, v71, vcc_lo
	s_delay_alu instid0(VALU_DEP_3)
	v_min_f32_e32 v48, v51, v48
	v_add_co_u32 v51, vcc_lo, v46, v68
	v_add_co_ci_u32_e32 v52, vcc_lo, v47, v69, vcc_lo
	global_store_b32 v[49:50], v48, off
	flat_load_b32 v48, v[51:52]
	s_waitcnt vmcnt(0) lgkmcnt(0)
	v_mul_f32_e32 v48, s15, v48
.LBB23_154:
	v_dual_add_f32 v49, v21, v41 :: v_dual_add_f32 v50, v20, v40
	v_dual_add_f32 v51, v17, v41 :: v_dual_add_f32 v52, v16, v40
	v_dual_add_f32 v53, v23, v43 :: v_dual_add_f32 v54, v22, v42
	s_delay_alu instid0(VALU_DEP_3) | instskip(NEXT) | instid1(VALU_DEP_3)
	v_min3_f32 v49, v50, v49, v99
	v_min3_f32 v50, v52, v51, v100
	v_dual_add_f32 v51, v19, v43 :: v_dual_add_f32 v52, v18, v42
	s_delay_alu instid0(VALU_DEP_1) | instskip(SKIP_1) | instid1(VALU_DEP_1)
	v_min3_f32 v51, v52, v51, v50
	v_min_f32_e32 v53, v54, v53
	v_min3_f32 v52, v48, v53, v49
	s_delay_alu instid0(VALU_DEP_3)
	v_max_f32_e32 v48, v51, v51
	;; [unrolled: 47-line block ×3, first 2 shown]
	v_add_co_u32 v49, vcc_lo, v44, v72
	v_add_co_ci_u32_e32 v50, vcc_lo, v45, v73, vcc_lo
	s_mov_b32 vcc_lo, s2
	global_store_b32 v[49:50], v52, off
	s_cbranch_vccz .LBB23_162
; %bb.160:
	v_add_co_u32 v49, vcc_lo, v44, v78
	v_min_f32_e32 v51, 0, v48
	v_add_co_ci_u32_e32 v50, vcc_lo, v45, v79, vcc_lo
	s_mov_b32 s6, 0
	global_store_b32 v[49:50], v51, off
	s_cbranch_execz .LBB23_163
; %bb.161:
	v_mov_b32_e32 v46, s6
	s_branch .LBB23_164
.LBB23_162:
	s_mov_b32 s6, -1
.LBB23_163:
	v_add_co_u32 v49, vcc_lo, v46, v78
	v_add_co_ci_u32_e32 v50, vcc_lo, v47, v79, vcc_lo
	flat_load_b32 v49, v[49:50]
	s_waitcnt vmcnt(0) lgkmcnt(0)
	v_mul_f32_e32 v51, s15, v49
	v_add_co_u32 v49, vcc_lo, v44, v78
	v_add_co_ci_u32_e32 v50, vcc_lo, v45, v79, vcc_lo
	v_add_co_u32 v46, vcc_lo, v46, v76
	s_delay_alu instid0(VALU_DEP_4)
	v_min_f32_e32 v48, v51, v48
	v_add_co_ci_u32_e32 v47, vcc_lo, v47, v77, vcc_lo
	global_store_b32 v[49:50], v48, off
	flat_load_b32 v46, v[46:47]
	s_waitcnt vmcnt(0) lgkmcnt(0)
	v_mul_f32_e32 v46, s15, v46
.LBB23_164:
	v_dual_add_f32 v47, v33, v37 :: v_dual_add_f32 v48, v32, v36
	v_dual_add_f32 v41, v1, v41 :: v_dual_add_f32 v40, v0, v40
	v_dual_add_f32 v43, v3, v43 :: v_dual_add_f32 v42, v2, v42
	s_delay_alu instid0(VALU_DEP_3) | instskip(SKIP_1) | instid1(VALU_DEP_4)
	v_min3_f32 v47, v48, v47, v95
	v_dual_add_f32 v51, v34, v38 :: v_dual_add_nc_u32 v48, 0xc0, v111
	v_min3_f32 v49, v40, v41, v96
	s_delay_alu instid0(VALU_DEP_4) | instskip(SKIP_1) | instid1(VALU_DEP_4)
	v_min_f32_e32 v52, v42, v43
	v_add_f32_e32 v50, v35, v39
	v_mad_i64_i32 v[40:41], null, v48, s8, 0
	v_mad_i64_i32 v[42:43], null, v48, s3, 0
	s_delay_alu instid0(VALU_DEP_4)
	v_min3_f32 v49, v46, v52, v49
	v_add_co_u32 v46, vcc_lo, v44, v76
	v_min3_f32 v48, v51, v50, v47
	v_lshlrev_b64 v[40:41], 2, v[40:41]
	v_add_co_ci_u32_e32 v47, vcc_lo, v45, v77, vcc_lo
	v_lshlrev_b64 v[42:43], 2, v[42:43]
	s_delay_alu instid0(VALU_DEP_4) | instskip(NEXT) | instid1(VALU_DEP_4)
	v_max_f32_e32 v44, v48, v48
	v_add_co_u32 v40, vcc_lo, s0, v40
	v_add_co_ci_u32_e32 v41, vcc_lo, s1, v41, vcc_lo
	s_delay_alu instid0(VALU_DEP_4)
	v_add_co_u32 v42, vcc_lo, s4, v42
	v_add_co_ci_u32_e32 v43, vcc_lo, s5, v43, vcc_lo
	s_mov_b32 vcc_lo, s2
	global_store_b32 v[46:47], v49, off
	s_cbranch_vccz .LBB23_167
; %bb.165:
	v_add_co_u32 v45, vcc_lo, v40, v66
	v_min_f32_e32 v47, 0, v44
	v_add_co_ci_u32_e32 v46, vcc_lo, v41, v67, vcc_lo
	s_mov_b32 s6, 0
	global_store_b32 v[45:46], v47, off
	s_cbranch_execz .LBB23_168
; %bb.166:
	v_mov_b32_e32 v44, s6
	s_branch .LBB23_169
.LBB23_167:
	s_mov_b32 s6, -1
.LBB23_168:
	v_add_co_u32 v45, vcc_lo, v42, v66
	v_add_co_ci_u32_e32 v46, vcc_lo, v43, v67, vcc_lo
	flat_load_b32 v45, v[45:46]
	s_waitcnt vmcnt(0) lgkmcnt(0)
	v_mul_f32_e32 v47, s15, v45
	v_add_co_u32 v45, vcc_lo, v40, v66
	v_add_co_ci_u32_e32 v46, vcc_lo, v41, v67, vcc_lo
	s_delay_alu instid0(VALU_DEP_3)
	v_min_f32_e32 v44, v47, v44
	v_add_co_u32 v47, vcc_lo, v42, v64
	v_add_co_ci_u32_e32 v48, vcc_lo, v43, v65, vcc_lo
	global_store_b32 v[45:46], v44, off
	flat_load_b32 v44, v[47:48]
	s_waitcnt vmcnt(0) lgkmcnt(0)
	v_mul_f32_e32 v44, s15, v44
.LBB23_169:
	v_dual_add_f32 v45, v29, v37 :: v_dual_add_f32 v46, v28, v36
	v_dual_add_f32 v47, v25, v37 :: v_dual_add_f32 v48, v24, v36
	v_dual_add_f32 v49, v31, v39 :: v_dual_add_f32 v50, v30, v38
	s_delay_alu instid0(VALU_DEP_3) | instskip(NEXT) | instid1(VALU_DEP_3)
	v_min3_f32 v45, v46, v45, v93
	v_min3_f32 v46, v48, v47, v94
	v_dual_add_f32 v47, v27, v39 :: v_dual_add_f32 v48, v26, v38
	s_delay_alu instid0(VALU_DEP_1) | instskip(SKIP_1) | instid1(VALU_DEP_1)
	v_min3_f32 v47, v48, v47, v46
	v_min_f32_e32 v49, v50, v49
	v_min3_f32 v48, v44, v49, v45
	s_delay_alu instid0(VALU_DEP_3)
	v_max_f32_e32 v44, v47, v47
	v_add_co_u32 v45, vcc_lo, v40, v64
	v_add_co_ci_u32_e32 v46, vcc_lo, v41, v65, vcc_lo
	s_mov_b32 vcc_lo, s2
	global_store_b32 v[45:46], v48, off
	s_cbranch_vccz .LBB23_172
; %bb.170:
	v_add_co_u32 v45, vcc_lo, v40, v70
	v_min_f32_e32 v47, 0, v44
	v_add_co_ci_u32_e32 v46, vcc_lo, v41, v71, vcc_lo
	s_mov_b32 s6, 0
	global_store_b32 v[45:46], v47, off
	s_cbranch_execz .LBB23_173
; %bb.171:
	v_mov_b32_e32 v44, s6
	s_branch .LBB23_174
.LBB23_172:
	s_mov_b32 s6, -1
.LBB23_173:
	v_add_co_u32 v45, vcc_lo, v42, v70
	v_add_co_ci_u32_e32 v46, vcc_lo, v43, v71, vcc_lo
	flat_load_b32 v45, v[45:46]
	s_waitcnt vmcnt(0) lgkmcnt(0)
	v_mul_f32_e32 v47, s15, v45
	v_add_co_u32 v45, vcc_lo, v40, v70
	v_add_co_ci_u32_e32 v46, vcc_lo, v41, v71, vcc_lo
	s_delay_alu instid0(VALU_DEP_3)
	v_min_f32_e32 v44, v47, v44
	v_add_co_u32 v47, vcc_lo, v42, v68
	v_add_co_ci_u32_e32 v48, vcc_lo, v43, v69, vcc_lo
	global_store_b32 v[45:46], v44, off
	flat_load_b32 v44, v[47:48]
	s_waitcnt vmcnt(0) lgkmcnt(0)
	v_mul_f32_e32 v44, s15, v44
.LBB23_174:
	v_dual_add_f32 v45, v21, v37 :: v_dual_add_f32 v46, v20, v36
	v_dual_add_f32 v47, v17, v37 :: v_dual_add_f32 v48, v16, v36
	v_dual_add_f32 v49, v23, v39 :: v_dual_add_f32 v50, v22, v38
	s_delay_alu instid0(VALU_DEP_3) | instskip(NEXT) | instid1(VALU_DEP_3)
	v_min3_f32 v45, v46, v45, v91
	v_min3_f32 v46, v48, v47, v92
	v_dual_add_f32 v47, v19, v39 :: v_dual_add_f32 v48, v18, v38
	s_delay_alu instid0(VALU_DEP_1) | instskip(SKIP_1) | instid1(VALU_DEP_1)
	v_min3_f32 v47, v48, v47, v46
	v_min_f32_e32 v49, v50, v49
	v_min3_f32 v48, v44, v49, v45
	s_delay_alu instid0(VALU_DEP_3)
	v_max_f32_e32 v44, v47, v47
	;; [unrolled: 47-line block ×3, first 2 shown]
	v_add_co_u32 v45, vcc_lo, v40, v72
	v_add_co_ci_u32_e32 v46, vcc_lo, v41, v73, vcc_lo
	s_mov_b32 vcc_lo, s2
	global_store_b32 v[45:46], v48, off
	s_cbranch_vccz .LBB23_182
; %bb.180:
	v_add_co_u32 v45, vcc_lo, v40, v78
	v_min_f32_e32 v47, 0, v44
	v_add_co_ci_u32_e32 v46, vcc_lo, v41, v79, vcc_lo
	s_mov_b32 s6, 0
	global_store_b32 v[45:46], v47, off
	s_cbranch_execz .LBB23_183
; %bb.181:
	v_mov_b32_e32 v42, s6
	s_branch .LBB23_184
.LBB23_182:
	s_mov_b32 s6, -1
.LBB23_183:
	v_add_co_u32 v45, vcc_lo, v42, v78
	v_add_co_ci_u32_e32 v46, vcc_lo, v43, v79, vcc_lo
	flat_load_b32 v45, v[45:46]
	s_waitcnt vmcnt(0) lgkmcnt(0)
	v_mul_f32_e32 v47, s15, v45
	v_add_co_u32 v45, vcc_lo, v40, v78
	v_add_co_ci_u32_e32 v46, vcc_lo, v41, v79, vcc_lo
	v_add_co_u32 v42, vcc_lo, v42, v76
	s_delay_alu instid0(VALU_DEP_4)
	v_min_f32_e32 v44, v47, v44
	v_add_co_ci_u32_e32 v43, vcc_lo, v43, v77, vcc_lo
	global_store_b32 v[45:46], v44, off
	flat_load_b32 v42, v[42:43]
	s_waitcnt vmcnt(0) lgkmcnt(0)
	v_mul_f32_e32 v42, s15, v42
.LBB23_184:
	v_dual_add_f32 v37, v1, v37 :: v_dual_add_f32 v36, v0, v36
	s_waitcnt lgkmcnt(0)
	v_dual_add_f32 v33, v33, v5 :: v_dual_add_f32 v32, v32, v4
	v_dual_add_f32 v38, v2, v38 :: v_dual_add_nc_u32 v43, 0xe0, v111
	s_delay_alu instid0(VALU_DEP_3) | instskip(SKIP_1) | instid1(VALU_DEP_4)
	v_min3_f32 v36, v36, v37, v87
	v_add_f32_e32 v39, v3, v39
	v_min3_f32 v37, v32, v33, v88
	s_delay_alu instid0(VALU_DEP_4) | instskip(SKIP_3) | instid1(VALU_DEP_4)
	v_mad_i64_i32 v[32:33], null, v43, s8, 0
	v_dual_add_f32 v44, v35, v7 :: v_dual_add_f32 v45, v34, v6
	v_mad_i64_i32 v[34:35], null, v43, s3, 0
	v_min_f32_e32 v38, v38, v39
	v_lshlrev_b64 v[32:33], 2, v[32:33]
	s_delay_alu instid0(VALU_DEP_4)
	v_min3_f32 v39, v45, v44, v37
	v_add_co_u32 v37, vcc_lo, v40, v76
	v_lshlrev_b64 v[34:35], 2, v[34:35]
	v_min3_f32 v42, v42, v38, v36
	v_add_co_ci_u32_e32 v38, vcc_lo, v41, v77, vcc_lo
	v_add_co_u32 v32, vcc_lo, s0, v32
	v_add_co_ci_u32_e32 v33, vcc_lo, s1, v33, vcc_lo
	v_add_co_u32 v34, vcc_lo, s4, v34
	v_add_co_ci_u32_e32 v35, vcc_lo, s5, v35, vcc_lo
	v_max_f32_e32 v36, v39, v39
	s_mov_b32 vcc_lo, s2
	global_store_b32 v[37:38], v42, off
	s_cbranch_vccz .LBB23_187
; %bb.185:
	v_add_co_u32 v37, vcc_lo, v32, v66
	v_min_f32_e32 v39, 0, v36
	v_add_co_ci_u32_e32 v38, vcc_lo, v33, v67, vcc_lo
	s_mov_b32 s0, 0
	global_store_b32 v[37:38], v39, off
	s_cbranch_execz .LBB23_188
; %bb.186:
	v_mov_b32_e32 v36, s0
	s_branch .LBB23_189
.LBB23_187:
	s_mov_b32 s0, -1
.LBB23_188:
	v_add_co_u32 v37, vcc_lo, v34, v66
	v_add_co_ci_u32_e32 v38, vcc_lo, v35, v67, vcc_lo
	flat_load_b32 v37, v[37:38]
	s_waitcnt vmcnt(0) lgkmcnt(0)
	v_mul_f32_e32 v39, s15, v37
	v_add_co_u32 v37, vcc_lo, v32, v66
	v_add_co_ci_u32_e32 v38, vcc_lo, v33, v67, vcc_lo
	s_delay_alu instid0(VALU_DEP_3)
	v_min_f32_e32 v36, v39, v36
	v_add_co_u32 v39, vcc_lo, v34, v64
	v_add_co_ci_u32_e32 v40, vcc_lo, v35, v65, vcc_lo
	global_store_b32 v[37:38], v36, off
	flat_load_b32 v36, v[39:40]
	s_waitcnt vmcnt(0) lgkmcnt(0)
	v_mul_f32_e32 v36, s15, v36
.LBB23_189:
	v_dual_add_f32 v25, v25, v5 :: v_dual_add_f32 v24, v24, v4
	v_dual_add_f32 v29, v29, v5 :: v_dual_add_f32 v28, v28, v4
	v_dual_add_f32 v31, v31, v7 :: v_dual_add_f32 v30, v30, v6
	s_delay_alu instid0(VALU_DEP_3) | instskip(SKIP_1) | instid1(VALU_DEP_4)
	v_min3_f32 v24, v24, v25, v85
	v_dual_add_f32 v25, v27, v7 :: v_dual_add_f32 v26, v26, v6
	v_min3_f32 v28, v28, v29, v86
	s_delay_alu instid0(VALU_DEP_2) | instskip(SKIP_3) | instid1(VALU_DEP_4)
	v_min3_f32 v24, v26, v25, v24
	v_min_f32_e32 v27, v30, v31
	v_add_co_u32 v25, vcc_lo, v32, v64
	v_add_co_ci_u32_e32 v26, vcc_lo, v33, v65, vcc_lo
	v_max_f32_e32 v24, v24, v24
	s_delay_alu instid0(VALU_DEP_4)
	v_min3_f32 v27, v36, v27, v28
	s_mov_b32 vcc_lo, s2
	global_store_b32 v[25:26], v27, off
	s_cbranch_vccz .LBB23_192
; %bb.190:
	v_add_co_u32 v25, vcc_lo, v32, v70
	v_min_f32_e32 v27, 0, v24
	v_add_co_ci_u32_e32 v26, vcc_lo, v33, v71, vcc_lo
	s_mov_b32 s0, 0
	global_store_b32 v[25:26], v27, off
	s_cbranch_execz .LBB23_193
; %bb.191:
	v_mov_b32_e32 v24, s0
	s_branch .LBB23_194
.LBB23_192:
	s_mov_b32 s0, -1
.LBB23_193:
	v_add_co_u32 v25, vcc_lo, v34, v70
	v_add_co_ci_u32_e32 v26, vcc_lo, v35, v71, vcc_lo
	flat_load_b32 v25, v[25:26]
	s_waitcnt vmcnt(0) lgkmcnt(0)
	v_mul_f32_e32 v27, s15, v25
	v_add_co_u32 v25, vcc_lo, v32, v70
	v_add_co_ci_u32_e32 v26, vcc_lo, v33, v71, vcc_lo
	s_delay_alu instid0(VALU_DEP_3)
	v_min_f32_e32 v24, v27, v24
	v_add_co_u32 v27, vcc_lo, v34, v68
	v_add_co_ci_u32_e32 v28, vcc_lo, v35, v69, vcc_lo
	global_store_b32 v[25:26], v24, off
	flat_load_b32 v24, v[27:28]
	s_waitcnt vmcnt(0) lgkmcnt(0)
	v_mul_f32_e32 v24, s15, v24
.LBB23_194:
	v_dual_add_f32 v17, v17, v5 :: v_dual_add_f32 v16, v16, v4
	v_dual_add_f32 v21, v21, v5 :: v_dual_add_f32 v20, v20, v4
	v_dual_add_f32 v23, v23, v7 :: v_dual_add_f32 v22, v22, v6
	s_delay_alu instid0(VALU_DEP_3) | instskip(SKIP_1) | instid1(VALU_DEP_4)
	v_min3_f32 v16, v16, v17, v84
	v_dual_add_f32 v17, v19, v7 :: v_dual_add_f32 v18, v18, v6
	v_min3_f32 v20, v20, v21, v83
	s_delay_alu instid0(VALU_DEP_2) | instskip(SKIP_3) | instid1(VALU_DEP_4)
	v_min3_f32 v16, v18, v17, v16
	v_min_f32_e32 v19, v22, v23
	v_add_co_u32 v17, vcc_lo, v32, v68
	v_add_co_ci_u32_e32 v18, vcc_lo, v33, v69, vcc_lo
	v_max_f32_e32 v16, v16, v16
	s_delay_alu instid0(VALU_DEP_4)
	v_min3_f32 v19, v24, v19, v20
	;; [unrolled: 47-line block ×3, first 2 shown]
	s_mov_b32 vcc_lo, s2
	global_store_b32 v[9:10], v11, off
	s_cbranch_vccz .LBB23_202
; %bb.200:
	v_add_co_u32 v9, vcc_lo, v32, v78
	v_min_f32_e32 v11, 0, v8
	v_add_co_ci_u32_e32 v10, vcc_lo, v33, v79, vcc_lo
	s_mov_b32 s0, 0
	global_store_b32 v[9:10], v11, off
	s_cbranch_execz .LBB23_203
; %bb.201:
	v_mov_b32_e32 v8, s0
	s_branch .LBB23_204
.LBB23_202:
	s_mov_b32 s0, -1
.LBB23_203:
	v_add_co_u32 v9, vcc_lo, v34, v78
	v_add_co_ci_u32_e32 v10, vcc_lo, v35, v79, vcc_lo
	flat_load_b32 v9, v[9:10]
	s_waitcnt vmcnt(0) lgkmcnt(0)
	v_mul_f32_e32 v11, s15, v9
	v_add_co_u32 v9, vcc_lo, v32, v78
	v_add_co_ci_u32_e32 v10, vcc_lo, v33, v79, vcc_lo
	s_delay_alu instid0(VALU_DEP_3)
	v_min_f32_e32 v8, v11, v8
	v_add_co_u32 v11, vcc_lo, v34, v76
	v_add_co_ci_u32_e32 v12, vcc_lo, v35, v77, vcc_lo
	global_store_b32 v[9:10], v8, off
	flat_load_b32 v8, v[11:12]
	s_waitcnt vmcnt(0) lgkmcnt(0)
	v_mul_f32_e32 v8, s15, v8
.LBB23_204:
	v_dual_add_f32 v3, v3, v7 :: v_dual_add_f32 v2, v2, v6
	v_dual_add_f32 v1, v1, v5 :: v_dual_add_f32 v0, v0, v4
	s_delay_alu instid0(VALU_DEP_2) | instskip(NEXT) | instid1(VALU_DEP_2)
	v_min_f32_e32 v2, v2, v3
	v_min3_f32 v0, v0, v1, v80
	s_delay_alu instid0(VALU_DEP_1)
	v_min3_f32 v2, v8, v2, v0
	v_add_co_u32 v0, vcc_lo, v32, v76
	v_add_co_ci_u32_e32 v1, vcc_lo, v33, v77, vcc_lo
	global_store_b32 v[0:1], v2, off
	s_nop 0
	s_sendmsg sendmsg(MSG_DEALLOC_VGPRS)
	s_endpgm
	.section	.rodata,"a",@progbits
	.p2align	6, 0x0
	.amdhsa_kernel _ZN12_GLOBAL__N_120geam_min_plus_kernelIf15HIP_vector_typeIfLj2EEfLi8ELi32ELi64ELi256ELi4ELi4ELi64ELi64ELi4ELc84ELc84ELb0ELb0ELb1EfKPKfKPfEEviiiT16_PT17_ilSA_ilS8_SA_ilPT18_ili26rocblas_geam_ex_operation_
		.amdhsa_group_segment_fixed_size 10240
		.amdhsa_private_segment_fixed_size 80
		.amdhsa_kernarg_size 128
		.amdhsa_user_sgpr_count 14
		.amdhsa_user_sgpr_dispatch_ptr 0
		.amdhsa_user_sgpr_queue_ptr 0
		.amdhsa_user_sgpr_kernarg_segment_ptr 1
		.amdhsa_user_sgpr_dispatch_id 0
		.amdhsa_user_sgpr_private_segment_size 0
		.amdhsa_wavefront_size32 1
		.amdhsa_uses_dynamic_stack 0
		.amdhsa_enable_private_segment 1
		.amdhsa_system_sgpr_workgroup_id_x 1
		.amdhsa_system_sgpr_workgroup_id_y 0
		.amdhsa_system_sgpr_workgroup_id_z 1
		.amdhsa_system_sgpr_workgroup_info 0
		.amdhsa_system_vgpr_workitem_id 1
		.amdhsa_next_free_vgpr 256
		.amdhsa_next_free_sgpr 24
		.amdhsa_reserve_vcc 1
		.amdhsa_float_round_mode_32 0
		.amdhsa_float_round_mode_16_64 0
		.amdhsa_float_denorm_mode_32 3
		.amdhsa_float_denorm_mode_16_64 3
		.amdhsa_dx10_clamp 1
		.amdhsa_ieee_mode 1
		.amdhsa_fp16_overflow 0
		.amdhsa_workgroup_processor_mode 1
		.amdhsa_memory_ordered 1
		.amdhsa_forward_progress 0
		.amdhsa_shared_vgpr_count 0
		.amdhsa_exception_fp_ieee_invalid_op 0
		.amdhsa_exception_fp_denorm_src 0
		.amdhsa_exception_fp_ieee_div_zero 0
		.amdhsa_exception_fp_ieee_overflow 0
		.amdhsa_exception_fp_ieee_underflow 0
		.amdhsa_exception_fp_ieee_inexact 0
		.amdhsa_exception_int_div_zero 0
	.end_amdhsa_kernel
	.section	.text._ZN12_GLOBAL__N_120geam_min_plus_kernelIf15HIP_vector_typeIfLj2EEfLi8ELi32ELi64ELi256ELi4ELi4ELi64ELi64ELi4ELc84ELc84ELb0ELb0ELb1EfKPKfKPfEEviiiT16_PT17_ilSA_ilS8_SA_ilPT18_ili26rocblas_geam_ex_operation_,"axG",@progbits,_ZN12_GLOBAL__N_120geam_min_plus_kernelIf15HIP_vector_typeIfLj2EEfLi8ELi32ELi64ELi256ELi4ELi4ELi64ELi64ELi4ELc84ELc84ELb0ELb0ELb1EfKPKfKPfEEviiiT16_PT17_ilSA_ilS8_SA_ilPT18_ili26rocblas_geam_ex_operation_,comdat
.Lfunc_end23:
	.size	_ZN12_GLOBAL__N_120geam_min_plus_kernelIf15HIP_vector_typeIfLj2EEfLi8ELi32ELi64ELi256ELi4ELi4ELi64ELi64ELi4ELc84ELc84ELb0ELb0ELb1EfKPKfKPfEEviiiT16_PT17_ilSA_ilS8_SA_ilPT18_ili26rocblas_geam_ex_operation_, .Lfunc_end23-_ZN12_GLOBAL__N_120geam_min_plus_kernelIf15HIP_vector_typeIfLj2EEfLi8ELi32ELi64ELi256ELi4ELi4ELi64ELi64ELi4ELc84ELc84ELb0ELb0ELb1EfKPKfKPfEEviiiT16_PT17_ilSA_ilS8_SA_ilPT18_ili26rocblas_geam_ex_operation_
                                        ; -- End function
	.section	.AMDGPU.csdata,"",@progbits
; Kernel info:
; codeLenInByte = 18072
; NumSgprs: 26
; NumVgprs: 256
; ScratchSize: 80
; MemoryBound: 0
; FloatMode: 240
; IeeeMode: 1
; LDSByteSize: 10240 bytes/workgroup (compile time only)
; SGPRBlocks: 3
; VGPRBlocks: 31
; NumSGPRsForWavesPerEU: 26
; NumVGPRsForWavesPerEU: 256
; Occupancy: 5
; WaveLimiterHint : 1
; COMPUTE_PGM_RSRC2:SCRATCH_EN: 1
; COMPUTE_PGM_RSRC2:USER_SGPR: 14
; COMPUTE_PGM_RSRC2:TRAP_HANDLER: 0
; COMPUTE_PGM_RSRC2:TGID_X_EN: 1
; COMPUTE_PGM_RSRC2:TGID_Y_EN: 0
; COMPUTE_PGM_RSRC2:TGID_Z_EN: 1
; COMPUTE_PGM_RSRC2:TIDIG_COMP_CNT: 1
	.section	.text._ZN12_GLOBAL__N_120geam_min_plus_kernelIf15HIP_vector_typeIfLj2EEfLi8ELi32ELi64ELi256ELi4ELi4ELi64ELi64ELi4ELc84ELc84ELb0ELb1ELb1EPKfKS4_KPfEEviiiT16_PT17_ilSA_ilS8_SA_ilPT18_ili26rocblas_geam_ex_operation_,"axG",@progbits,_ZN12_GLOBAL__N_120geam_min_plus_kernelIf15HIP_vector_typeIfLj2EEfLi8ELi32ELi64ELi256ELi4ELi4ELi64ELi64ELi4ELc84ELc84ELb0ELb1ELb1EPKfKS4_KPfEEviiiT16_PT17_ilSA_ilS8_SA_ilPT18_ili26rocblas_geam_ex_operation_,comdat
	.globl	_ZN12_GLOBAL__N_120geam_min_plus_kernelIf15HIP_vector_typeIfLj2EEfLi8ELi32ELi64ELi256ELi4ELi4ELi64ELi64ELi4ELc84ELc84ELb0ELb1ELb1EPKfKS4_KPfEEviiiT16_PT17_ilSA_ilS8_SA_ilPT18_ili26rocblas_geam_ex_operation_ ; -- Begin function _ZN12_GLOBAL__N_120geam_min_plus_kernelIf15HIP_vector_typeIfLj2EEfLi8ELi32ELi64ELi256ELi4ELi4ELi64ELi64ELi4ELc84ELc84ELb0ELb1ELb1EPKfKS4_KPfEEviiiT16_PT17_ilSA_ilS8_SA_ilPT18_ili26rocblas_geam_ex_operation_
	.p2align	8
	.type	_ZN12_GLOBAL__N_120geam_min_plus_kernelIf15HIP_vector_typeIfLj2EEfLi8ELi32ELi64ELi256ELi4ELi4ELi64ELi64ELi4ELc84ELc84ELb0ELb1ELb1EPKfKS4_KPfEEviiiT16_PT17_ilSA_ilS8_SA_ilPT18_ili26rocblas_geam_ex_operation_,@function
_ZN12_GLOBAL__N_120geam_min_plus_kernelIf15HIP_vector_typeIfLj2EEfLi8ELi32ELi64ELi256ELi4ELi4ELi64ELi64ELi4ELc84ELc84ELb0ELb1ELb1EPKfKS4_KPfEEviiiT16_PT17_ilSA_ilS8_SA_ilPT18_ili26rocblas_geam_ex_operation_: ; @_ZN12_GLOBAL__N_120geam_min_plus_kernelIf15HIP_vector_typeIfLj2EEfLi8ELi32ELi64ELi256ELi4ELi4ELi64ELi64ELi4ELc84ELc84ELb0ELb1ELb1EPKfKS4_KPfEEviiiT16_PT17_ilSA_ilS8_SA_ilPT18_ili26rocblas_geam_ex_operation_
; %bb.0:
	s_clause 0x1
	s_load_b128 s[16:19], s[0:1], 0x10
	s_load_b128 s[4:7], s[0:1], 0x28
	s_mov_b32 s2, s15
	s_mov_b32 s3, 0
	s_mov_b64 s[22:23], 0
	s_lshl_b64 s[20:21], s[2:3], 2
	s_waitcnt lgkmcnt(0)
	s_add_u32 s8, s16, s20
	s_addc_u32 s9, s17, s21
	s_load_b32 s24, s[8:9], 0x0
	s_clause 0x1
	s_load_b128 s[8:11], s[0:1], 0x40
	s_load_b64 s[12:13], s[0:1], 0x50
	s_waitcnt lgkmcnt(0)
	v_cmp_eq_f32_e64 s25, s24, 0
	v_cmp_neq_f32_e64 s16, s24, 0
	s_add_u32 s10, s10, s20
	s_addc_u32 s11, s11, s21
	s_mov_b64 s[20:21], 0
	s_and_b32 vcc_lo, exec_lo, s25
	s_cbranch_vccnz .LBB24_2
; %bb.1:
	s_lshl_b64 s[22:23], s[2:3], 3
	s_delay_alu instid0(SALU_CYCLE_1)
	s_add_u32 s18, s18, s22
	s_addc_u32 s19, s19, s23
	s_lshl_b64 s[4:5], s[4:5], 2
	s_load_b64 s[18:19], s[18:19], 0x0
	s_waitcnt lgkmcnt(0)
	s_add_u32 s22, s18, s4
	s_addc_u32 s23, s19, s5
.LBB24_2:
	s_load_b32 s15, s[10:11], 0x0
	s_and_not1_b32 vcc_lo, exec_lo, s16
	s_cbranch_vccnz .LBB24_4
; %bb.3:
	s_lshl_b64 s[4:5], s[2:3], 3
	s_delay_alu instid0(SALU_CYCLE_1)
	s_add_u32 s4, s6, s4
	s_addc_u32 s5, s7, s5
	s_lshl_b64 s[6:7], s[8:9], 2
	s_load_b64 s[4:5], s[4:5], 0x0
	s_waitcnt lgkmcnt(0)
	s_add_u32 s20, s4, s6
	s_addc_u32 s21, s5, s7
.LBB24_4:
	s_load_b128 s[4:7], s[0:1], 0x60
	s_waitcnt lgkmcnt(0)
	v_cmp_eq_f32_e64 s8, s15, 0
	v_cmp_neq_f32_e64 s9, s15, 0
	s_delay_alu instid0(VALU_DEP_2)
	s_and_b32 vcc_lo, exec_lo, s8
	s_cbranch_vccnz .LBB24_6
; %bb.5:
	s_lshl_b64 s[10:11], s[2:3], 3
	s_delay_alu instid0(SALU_CYCLE_1)
	s_add_u32 s10, s12, s10
	s_addc_u32 s11, s13, s11
	s_lshl_b64 s[4:5], s[4:5], 2
	s_load_b64 s[10:11], s[10:11], 0x0
	s_waitcnt lgkmcnt(0)
	s_add_u32 s10, s10, s4
	s_addc_u32 s11, s11, s5
	s_branch .LBB24_7
.LBB24_6:
	s_mov_b64 s[10:11], 0
.LBB24_7:
	s_clause 0x1
	s_load_b128 s[16:19], s[0:1], 0x0
	s_load_b32 s27, s[0:1], 0x20
	s_lshl_b64 s[2:3], s[2:3], 3
	v_and_b32_e32 v18, 0x3ff, v0
	s_add_u32 s4, s6, s2
	s_addc_u32 s5, s7, s3
	v_bfe_u32 v19, v0, 10, 10
	s_delay_alu instid0(VALU_DEP_2) | instskip(NEXT) | instid1(VALU_DEP_2)
	v_and_b32_e32 v70, 3, v18
	v_lshl_add_u32 v2, v19, 3, v18
	s_delay_alu instid0(VALU_DEP_2) | instskip(NEXT) | instid1(VALU_DEP_2)
	v_lshlrev_b32_e32 v11, 2, v70
	v_lshrrev_b32_e32 v0, 2, v2
	s_waitcnt lgkmcnt(0)
	s_add_i32 s6, s16, -1
	s_delay_alu instid0(SALU_CYCLE_1) | instskip(NEXT) | instid1(SALU_CYCLE_1)
	s_ashr_i32 s2, s6, 31
	s_lshr_b32 s2, s2, 26
	s_delay_alu instid0(SALU_CYCLE_1) | instskip(NEXT) | instid1(SALU_CYCLE_1)
	s_add_i32 s2, s6, s2
	s_ashr_i32 s2, s2, 6
	s_delay_alu instid0(SALU_CYCLE_1) | instskip(SKIP_2) | instid1(VALU_DEP_1)
	s_add_i32 s7, s2, 1
	s_not_b32 s2, s2
	v_cvt_f32_u32_e32 v1, s7
	v_rcp_iflag_f32_e32 v1, v1
	s_waitcnt_depctr 0xfff
	v_mul_f32_e32 v1, 0x4f7ffffe, v1
	s_delay_alu instid0(VALU_DEP_1) | instskip(NEXT) | instid1(VALU_DEP_1)
	v_cvt_u32_f32_e32 v1, v1
	v_readfirstlane_b32 s3, v1
	s_delay_alu instid0(VALU_DEP_1) | instskip(NEXT) | instid1(SALU_CYCLE_1)
	s_mul_i32 s2, s2, s3
	s_mul_hi_u32 s2, s3, s2
	s_delay_alu instid0(SALU_CYCLE_1) | instskip(NEXT) | instid1(SALU_CYCLE_1)
	s_add_i32 s3, s3, s2
	s_mul_hi_u32 s2, s14, s3
	s_delay_alu instid0(SALU_CYCLE_1) | instskip(SKIP_2) | instid1(SALU_CYCLE_1)
	s_mul_i32 s3, s2, s7
	s_add_i32 s8, s2, 1
	s_sub_i32 s3, s14, s3
	s_sub_i32 s12, s3, s7
	s_cmp_ge_u32 s3, s7
	s_cselect_b32 s2, s8, s2
	s_cselect_b32 s3, s12, s3
	s_add_i32 s8, s2, 1
	s_cmp_ge_u32 s3, s7
	s_load_b64 s[12:13], s[4:5], 0x0
	s_cselect_b32 s3, s8, s2
	s_delay_alu instid0(SALU_CYCLE_1) | instskip(NEXT) | instid1(SALU_CYCLE_1)
	s_mul_i32 s2, s3, s7
	s_sub_i32 s2, s14, s2
	s_delay_alu instid0(SALU_CYCLE_1) | instskip(SKIP_2) | instid1(VALU_DEP_1)
	s_lshl_b32 s8, s2, 6
	v_cmp_le_i32_e64 s2, s18, v70
	v_add_nc_u32_e32 v1, s8, v0
	v_cmp_le_i32_e32 vcc_lo, s16, v1
	v_min_i32_e32 v1, s6, v1
	s_delay_alu instid0(VALU_DEP_4) | instskip(SKIP_3) | instid1(SALU_CYCLE_1)
	s_or_b32 s2, s2, vcc_lo
	scratch_store_b32 off, v1, off          ; 4-byte Folded Spill
	v_cndmask_b32_e64 v1, 0, 0x7f7fffff, s2
	s_or_b32 s2, s25, s2
	s_xor_b32 s2, s2, -1
	s_delay_alu instid0(SALU_CYCLE_1)
	s_and_saveexec_b32 s4, s2
	s_cbranch_execz .LBB24_9
; %bb.8:
	scratch_load_b32 v1, off, off           ; 4-byte Folded Reload
	s_waitcnt vmcnt(0)
	v_mad_i64_i32 v[3:4], null, v1, s27, 0
	s_delay_alu instid0(VALU_DEP_1) | instskip(NEXT) | instid1(VALU_DEP_1)
	v_lshlrev_b64 v[3:4], 2, v[3:4]
	v_add_co_u32 v1, s2, s22, v3
	s_delay_alu instid0(VALU_DEP_1) | instskip(NEXT) | instid1(VALU_DEP_2)
	v_add_co_ci_u32_e64 v4, s2, s23, v4, s2
	v_add_co_u32 v3, s2, v1, v11
	s_delay_alu instid0(VALU_DEP_1)
	v_add_co_ci_u32_e64 v4, s2, 0, v4, s2
	flat_load_b32 v1, v[3:4]
	s_waitcnt vmcnt(0) lgkmcnt(0)
	v_mul_f32_e32 v1, s24, v1
.LBB24_9:
	s_or_b32 exec_lo, exec_lo, s4
	s_load_b32 s19, s[0:1], 0x38
	v_lshrrev_b32_e32 v71, 6, v2
	s_add_i32 s26, s18, -1
	v_and_b32_e32 v2, 63, v2
	s_lshl_b32 s14, s3, 8
	s_delay_alu instid0(VALU_DEP_2) | instskip(SKIP_1) | instid1(VALU_DEP_3)
	v_min_i32_e32 v5, s26, v71
	v_cmp_le_i32_e64 s6, s18, v71
	v_or_b32_e32 v16, s14, v2
	s_delay_alu instid0(VALU_DEP_1) | instskip(SKIP_1) | instid1(VALU_DEP_2)
	v_cmp_le_i32_e64 s2, s17, v16
	v_ashrrev_i32_e32 v17, 31, v16
	s_or_b32 s4, s2, s6
	s_waitcnt lgkmcnt(0)
	v_mad_i64_i32 v[3:4], null, s19, v5, 0
	s_delay_alu instid0(VALU_DEP_1) | instskip(SKIP_1) | instid1(VALU_DEP_2)
	v_lshlrev_b64 v[4:5], 2, v[3:4]
	v_cndmask_b32_e64 v3, 0, 0x7f7fffff, s4
	v_add_co_u32 v7, s3, s20, v4
	s_delay_alu instid0(VALU_DEP_1) | instskip(SKIP_1) | instid1(SALU_CYCLE_1)
	v_add_co_ci_u32_e64 v8, s3, s21, v5, s3
	s_or_b32 s3, s25, s4
	s_xor_b32 s3, s3, -1
	s_delay_alu instid0(SALU_CYCLE_1)
	s_and_saveexec_b32 s4, s3
	s_cbranch_execz .LBB24_11
; %bb.10:
	v_lshlrev_b64 v[3:4], 2, v[16:17]
	s_delay_alu instid0(VALU_DEP_1) | instskip(NEXT) | instid1(VALU_DEP_1)
	v_add_co_u32 v3, s3, v7, v3
	v_add_co_ci_u32_e64 v4, s3, v8, v4, s3
	flat_load_b32 v3, v[3:4]
	s_waitcnt vmcnt(0) lgkmcnt(0)
	v_mul_f32_e32 v3, s24, v3
.LBB24_11:
	s_or_b32 exec_lo, exec_lo, s4
	v_or_b32_e32 v4, 64, v16
	s_delay_alu instid0(VALU_DEP_1) | instskip(NEXT) | instid1(VALU_DEP_1)
	v_cmp_le_i32_e64 s3, s17, v4
	s_or_b32 s4, s3, s6
	s_delay_alu instid0(SALU_CYCLE_1) | instskip(SKIP_1) | instid1(SALU_CYCLE_1)
	v_cndmask_b32_e64 v4, 0, 0x7f7fffff, s4
	s_or_b32 s4, s25, s4
	s_xor_b32 s4, s4, -1
	s_delay_alu instid0(SALU_CYCLE_1)
	s_and_saveexec_b32 s5, s4
	s_cbranch_execz .LBB24_13
; %bb.12:
	v_lshlrev_b64 v[4:5], 2, v[16:17]
	s_delay_alu instid0(VALU_DEP_1) | instskip(NEXT) | instid1(VALU_DEP_1)
	v_add_co_u32 v4, s4, v7, v4
	v_add_co_ci_u32_e64 v5, s4, v8, v5, s4
	flat_load_b32 v4, v[4:5] offset:256
	s_waitcnt vmcnt(0) lgkmcnt(0)
	v_mul_f32_e32 v4, s24, v4
.LBB24_13:
	s_or_b32 exec_lo, exec_lo, s5
	v_or_b32_e32 v5, 0x80, v16
	s_delay_alu instid0(VALU_DEP_1) | instskip(NEXT) | instid1(VALU_DEP_1)
	v_cmp_le_i32_e64 s4, s17, v5
	s_or_b32 s5, s4, s6
	s_delay_alu instid0(SALU_CYCLE_1) | instskip(SKIP_1) | instid1(SALU_CYCLE_1)
	v_cndmask_b32_e64 v5, 0, 0x7f7fffff, s5
	s_or_b32 s5, s25, s5
	s_xor_b32 s5, s5, -1
	s_delay_alu instid0(SALU_CYCLE_1)
	s_and_saveexec_b32 s7, s5
	s_cbranch_execz .LBB24_15
; %bb.14:
	v_lshlrev_b64 v[5:6], 2, v[16:17]
	s_delay_alu instid0(VALU_DEP_1) | instskip(NEXT) | instid1(VALU_DEP_1)
	v_add_co_u32 v5, s5, v7, v5
	v_add_co_ci_u32_e64 v6, s5, v8, v6, s5
	flat_load_b32 v5, v[5:6] offset:512
	s_waitcnt vmcnt(0) lgkmcnt(0)
	v_mul_f32_e32 v5, s24, v5
.LBB24_15:
	;; [unrolled: 21-line block ×3, first 2 shown]
	s_or_b32 exec_lo, exec_lo, s7
	v_or_b32_e32 v7, 4, v70
	s_delay_alu instid0(VALU_DEP_1) | instskip(NEXT) | instid1(VALU_DEP_1)
	v_cmp_le_i32_e64 s6, s18, v7
	s_or_b32 s6, s6, vcc_lo
	s_delay_alu instid0(SALU_CYCLE_1) | instskip(SKIP_1) | instid1(SALU_CYCLE_1)
	v_cndmask_b32_e64 v12, 0, 0x7f7fffff, s6
	s_or_b32 s6, s25, s6
	s_xor_b32 s6, s6, -1
	s_delay_alu instid0(SALU_CYCLE_1)
	s_and_saveexec_b32 s7, s6
	s_cbranch_execz .LBB24_19
; %bb.18:
	scratch_load_b32 v9, off, off           ; 4-byte Folded Reload
	s_waitcnt vmcnt(0)
	v_mad_i64_i32 v[7:8], null, v9, s27, 0
	s_delay_alu instid0(VALU_DEP_1) | instskip(NEXT) | instid1(VALU_DEP_1)
	v_lshlrev_b64 v[7:8], 2, v[7:8]
	v_add_co_u32 v7, s6, s22, v7
	s_delay_alu instid0(VALU_DEP_1) | instskip(NEXT) | instid1(VALU_DEP_2)
	v_add_co_ci_u32_e64 v8, s6, s23, v8, s6
	v_add_co_u32 v7, s6, v7, v11
	s_delay_alu instid0(VALU_DEP_1)
	v_add_co_ci_u32_e64 v8, s6, 0, v8, s6
	flat_load_b32 v7, v[7:8] offset:16
	s_waitcnt vmcnt(0) lgkmcnt(0)
	v_mul_f32_e32 v12, s24, v7
.LBB24_19:
	s_or_b32 exec_lo, exec_lo, s7
	v_add_nc_u32_e32 v9, 4, v71
	s_delay_alu instid0(VALU_DEP_1) | instskip(SKIP_1) | instid1(VALU_DEP_2)
	v_min_i32_e32 v10, s26, v9
	v_cmp_le_i32_e64 s6, s18, v9
	v_mad_i64_i32 v[7:8], null, s19, v10, 0
	s_delay_alu instid0(VALU_DEP_1) | instskip(NEXT) | instid1(VALU_DEP_1)
	v_lshlrev_b64 v[7:8], 2, v[7:8]
	v_add_co_u32 v7, s7, s20, v7
	s_delay_alu instid0(VALU_DEP_1) | instskip(SKIP_1) | instid1(SALU_CYCLE_1)
	v_add_co_ci_u32_e64 v8, s7, s21, v8, s7
	s_or_b32 s7, s2, s6
	v_cndmask_b32_e64 v9, 0, 0x7f7fffff, s7
	s_or_b32 s7, s25, s7
	s_delay_alu instid0(SALU_CYCLE_1) | instskip(NEXT) | instid1(SALU_CYCLE_1)
	s_xor_b32 s7, s7, -1
	s_and_saveexec_b32 s28, s7
	s_cbranch_execz .LBB24_21
; %bb.20:
	v_lshlrev_b64 v[9:10], 2, v[16:17]
	s_delay_alu instid0(VALU_DEP_1) | instskip(NEXT) | instid1(VALU_DEP_1)
	v_add_co_u32 v9, s7, v7, v9
	v_add_co_ci_u32_e64 v10, s7, v8, v10, s7
	flat_load_b32 v9, v[9:10]
	s_waitcnt vmcnt(0) lgkmcnt(0)
	v_mul_f32_e32 v9, s24, v9
.LBB24_21:
	s_or_b32 exec_lo, exec_lo, s28
	s_or_b32 s7, s3, s6
	scratch_store_b32 off, v9, off offset:8 ; 4-byte Folded Spill
	v_cndmask_b32_e64 v9, 0, 0x7f7fffff, s7
	s_or_b32 s7, s25, s7
	s_delay_alu instid0(SALU_CYCLE_1) | instskip(NEXT) | instid1(SALU_CYCLE_1)
	s_xor_b32 s7, s7, -1
	s_and_saveexec_b32 s28, s7
	s_cbranch_execz .LBB24_23
; %bb.22:
	v_lshlrev_b64 v[9:10], 2, v[16:17]
	s_delay_alu instid0(VALU_DEP_1) | instskip(NEXT) | instid1(VALU_DEP_1)
	v_add_co_u32 v9, s7, v7, v9
	v_add_co_ci_u32_e64 v10, s7, v8, v10, s7
	flat_load_b32 v9, v[9:10] offset:256
	s_waitcnt vmcnt(0) lgkmcnt(0)
	v_mul_f32_e32 v9, s24, v9
.LBB24_23:
	s_or_b32 exec_lo, exec_lo, s28
	s_or_b32 s7, s4, s6
	scratch_store_b32 off, v9, off offset:12 ; 4-byte Folded Spill
	v_cndmask_b32_e64 v151, 0, 0x7f7fffff, s7
	s_or_b32 s7, s25, s7
	s_delay_alu instid0(SALU_CYCLE_1) | instskip(NEXT) | instid1(SALU_CYCLE_1)
	s_xor_b32 s7, s7, -1
	s_and_saveexec_b32 s28, s7
	s_cbranch_execz .LBB24_25
; %bb.24:
	v_lshlrev_b64 v[9:10], 2, v[16:17]
	s_delay_alu instid0(VALU_DEP_1) | instskip(NEXT) | instid1(VALU_DEP_1)
	v_add_co_u32 v9, s7, v7, v9
	v_add_co_ci_u32_e64 v10, s7, v8, v10, s7
	flat_load_b32 v9, v[9:10] offset:512
	s_waitcnt vmcnt(0) lgkmcnt(0)
	v_mul_f32_e32 v151, s24, v9
.LBB24_25:
	;; [unrolled: 18-line block ×3, first 2 shown]
	s_or_b32 exec_lo, exec_lo, s7
	v_lshlrev_b32_e32 v7, 2, v71
	v_lshl_or_b32 v0, v0, 4, v11
	v_lshlrev_b32_e32 v72, 4, v19
	v_lshlrev_b32_e32 v73, 4, v18
	s_cmp_lt_i32 s18, 9
	v_lshl_add_u32 v74, v2, 4, v7
	scratch_store_b32 off, v0, off offset:16 ; 4-byte Folded Spill
	ds_store_b32 v0, v1 offset:8192
	ds_store_2addr_stride64_b32 v74, v3, v4 offset1:4
	ds_store_2addr_stride64_b32 v74, v5, v6 offset0:8 offset1:12
	s_waitcnt lgkmcnt(0)
	s_waitcnt_vscnt null, 0x0
	s_barrier
	buffer_gl0_inv
	ds_load_b128 v[26:29], v72
	ds_load_b128 v[0:3], v73 offset:8192
	ds_load_b128 v[12:15], v73 offset:8320
	;; [unrolled: 1-line block ×5, first 2 shown]
	s_waitcnt lgkmcnt(4)
	v_dual_add_f32 v20, v1, v27 :: v_dual_add_f32 v145, v0, v26
	s_waitcnt lgkmcnt(2)
	v_add_f32_e32 v143, v8, v26
	v_add_f32_e32 v144, v12, v26
	s_waitcnt lgkmcnt(0)
	v_dual_add_f32 v146, v3, v29 :: v_dual_add_f32 v93, v9, v31
	scratch_store_b32 off, v20, off offset:28 ; 4-byte Folded Spill
	v_dual_add_f32 v20, v13, v27 :: v_dual_add_f32 v81, v2, v28
	v_dual_add_f32 v138, v15, v29 :: v_dual_add_f32 v95, v5, v31
	v_add_f32_e32 v139, v11, v29
	scratch_store_b32 off, v20, off offset:32 ; 4-byte Folded Spill
	v_add_f32_e32 v20, v9, v27
	v_add_f32_e32 v140, v7, v29
	v_dual_add_f32 v90, v0, v30 :: v_dual_add_f32 v109, v11, v33
	v_add_f32_e32 v87, v6, v28
	scratch_store_b32 off, v20, off offset:36 ; 4-byte Folded Spill
	v_add_f32_e32 v20, v5, v27
	v_dual_add_f32 v92, v12, v30 :: v_dual_add_f32 v111, v7, v33
	v_add_f32_e32 v86, v3, v33
	v_add_f32_e32 v110, v10, v32
	scratch_store_b32 off, v20, off offset:40 ; 4-byte Folded Spill
	v_add_f32_e32 v20, v4, v26
	v_dual_add_f32 v112, v6, v32 :: v_dual_add_f32 v107, v15, v33
	v_add_f32_e32 v89, v1, v31
	v_add_f32_e32 v91, v13, v31
	scratch_store_b32 off, v20, off offset:44 ; 4-byte Folded Spill
	ds_load_b128 v[34:37], v73 offset:8704
	ds_load_b128 v[38:41], v73 offset:8832
	v_add_f32_e32 v132, v14, v28
	v_add_f32_e32 v134, v10, v28
	;; [unrolled: 1-line block ×4, first 2 shown]
	s_waitcnt lgkmcnt(1)
	v_dual_add_f32 v20, v35, v27 :: v_dual_add_f32 v141, v37, v29
	s_waitcnt lgkmcnt(0)
	v_add_f32_e32 v133, v40, v28
	v_dual_add_f32 v85, v37, v33 :: v_dual_add_f32 v142, v34, v26
	v_add_f32_e32 v131, v36, v28
	scratch_store_b32 off, v20, off offset:48 ; 4-byte Folded Spill
	v_add_f32_e32 v20, v39, v27
	v_add_f32_e32 v97, v35, v31
	v_dual_add_f32 v99, v39, v31 :: v_dual_add_f32 v100, v38, v30
	v_add_f32_e32 v114, v36, v32
	scratch_store_b32 off, v20, off offset:52 ; 4-byte Folded Spill
	v_dual_add_f32 v20, v38, v26 :: v_dual_add_f32 v115, v41, v33
	v_add_f32_e32 v116, v40, v32
	scratch_store_b32 off, v20, off offset:56 ; 4-byte Folded Spill
	ds_load_b128 v[42:45], v73 offset:8960
	ds_load_b128 v[46:49], v73 offset:9088
	v_add_f32_e32 v96, v4, v30
	v_add_f32_e32 v98, v34, v30
	;; [unrolled: 1-line block ×3, first 2 shown]
	s_waitcnt lgkmcnt(0)
	v_dual_add_f32 v20, v43, v27 :: v_dual_add_f32 v137, v49, v29
	v_dual_add_f32 v136, v45, v29 :: v_dual_add_f32 v103, v47, v31
	v_add_f32_e32 v135, v44, v28
	scratch_store_b32 off, v20, off offset:60 ; 4-byte Folded Spill
	v_add_f32_e32 v20, v42, v26
	v_dual_add_f32 v88, v48, v28 :: v_dual_add_f32 v101, v43, v31
	v_add_f32_e32 v102, v42, v30
	v_add_f32_e32 v104, v46, v30
	scratch_store_b32 off, v20, off offset:68 ; 4-byte Folded Spill
	v_dual_add_f32 v20, v47, v27 :: v_dual_add_f32 v117, v45, v33
	v_dual_add_f32 v118, v44, v32 :: v_dual_add_f32 v119, v49, v33
	v_add_f32_e32 v120, v48, v32
	scratch_store_b32 off, v20, off offset:64 ; 4-byte Folded Spill
	v_add_f32_e32 v20, v46, v26
	scratch_store_b32 off, v20, off offset:72 ; 4-byte Folded Spill
	;; [unrolled: 2-line block ×3, first 2 shown]
	ds_load_b128 v[26:29], v72 offset:1024
	ds_load_b128 v[30:33], v72 offset:1536
	s_clause 0x1
	scratch_store_b32 off, v18, off offset:20
	scratch_store_b32 off, v19, off offset:24
	s_waitcnt lgkmcnt(1)
	v_dual_add_f32 v121, v1, v27 :: v_dual_add_f32 v122, v0, v26
	v_add_f32_e32 v165, v45, v29
	v_dual_add_f32 v123, v13, v27 :: v_dual_add_f32 v124, v12, v26
	v_add_f32_e32 v167, v49, v29
	v_dual_add_f32 v125, v9, v27 :: v_dual_add_f32 v126, v8, v26
	s_waitcnt lgkmcnt(0)
	v_add_f32_e32 v171, v13, v31
	v_dual_add_f32 v127, v5, v27 :: v_dual_add_f32 v128, v4, v26
	v_add_f32_e32 v173, v9, v31
	v_dual_add_f32 v82, v35, v27 :: v_dual_add_f32 v193, v37, v33
	v_dual_add_f32 v148, v34, v26 :: v_dual_add_f32 v175, v5, v31
	;; [unrolled: 1-line block ×3, first 2 shown]
	v_add_f32_e32 v177, v35, v31
	v_dual_add_f32 v84, v43, v27 :: v_dual_add_f32 v195, v41, v33
	v_dual_add_f32 v152, v42, v26 :: v_dual_add_f32 v179, v39, v31
	;; [unrolled: 1-line block ×3, first 2 shown]
	v_add_f32_e32 v181, v43, v31
	v_dual_add_f32 v129, v3, v29 :: v_dual_add_f32 v130, v2, v28
	v_add_f32_e32 v183, v47, v31
	v_dual_add_f32 v155, v15, v29 :: v_dual_add_f32 v156, v14, v28
	;; [unrolled: 2-line block ×6, first 2 shown]
	v_dual_add_f32 v197, v45, v33 :: v_dual_add_f32 v166, v44, v28
	v_dual_add_f32 v199, v49, v33 :: v_dual_add_f32 v168, v48, v28
	;; [unrolled: 1-line block ×3, first 2 shown]
	v_add_f32_e32 v172, v12, v30
	v_add_f32_e32 v174, v8, v30
	;; [unrolled: 1-line block ×15, first 2 shown]
	ds_load_b128 v[26:29], v72 offset:2048
	ds_load_b128 v[30:33], v72 offset:2560
	s_waitcnt lgkmcnt(1)
	v_add_f32_e32 v201, v1, v27
	s_waitcnt lgkmcnt(0)
	v_dual_add_f32 v233, v1, v31 :: v_dual_add_f32 v202, v0, v26
	v_add_f32_e32 v235, v13, v31
	v_dual_add_f32 v203, v13, v27 :: v_dual_add_f32 v204, v12, v26
	v_add_f32_e32 v237, v9, v31
	;; [unrolled: 2-line block ×11, first 2 shown]
	v_dual_add_f32 v223, v7, v29 :: v_dual_add_f32 v224, v6, v28
	v_dual_add_f32 v225, v37, v29 :: v_dual_add_f32 v226, v36, v28
	;; [unrolled: 1-line block ×6, first 2 shown]
	v_add_f32_e32 v236, v12, v30
	v_add_f32_e32 v238, v8, v30
	;; [unrolled: 1-line block ×3, first 2 shown]
	v_dual_add_f32 v242, v34, v30 :: v_dual_add_f32 v19, v36, v32
	v_dual_add_f32 v244, v38, v30 :: v_dual_add_f32 v51, v48, v32
	v_add_f32_e32 v246, v42, v30
	v_add_f32_e32 v248, v46, v30
	;; [unrolled: 1-line block ×11, first 2 shown]
	ds_load_b128 v[26:29], v72 offset:3072
	ds_load_b128 v[30:33], v72 offset:3584
	s_waitcnt lgkmcnt(1)
	v_add_f32_e32 v23, v40, v28
	v_add_f32_e32 v55, v0, v26
	;; [unrolled: 1-line block ×9, first 2 shown]
	s_waitcnt lgkmcnt(0)
	v_add_f32_e32 v0, v0, v30
	v_add_f32_e32 v12, v12, v30
	;; [unrolled: 1-line block ×8, first 2 shown]
	scratch_load_b32 v46, off, off offset:28 ; 4-byte Folded Reload
	v_add_f32_e32 v53, v1, v27
	v_add_f32_e32 v57, v13, v27
	v_dual_add_f32 v60, v9, v27 :: v_dual_add_f32 v149, v44, v28
	v_add_f32_e32 v25, v5, v27
	v_add_f32_e32 v62, v35, v27
	v_add_f32_e32 v63, v39, v27
	v_add_f32_e32 v66, v43, v27
	v_add_f32_e32 v27, v47, v27
	v_add_f32_e32 v77, v2, v28
	v_dual_add_f32 v67, v14, v28 :: v_dual_add_f32 v76, v11, v29
	v_dual_add_f32 v9, v9, v31 :: v_dual_add_f32 v80, v7, v29
	v_add_f32_e32 v5, v5, v31
	v_dual_add_f32 v22, v41, v29 :: v_dual_add_f32 v35, v35, v31
	v_dual_add_f32 v1, v1, v31 :: v_dual_add_f32 v2, v2, v32
	v_add_f32_e32 v43, v43, v31
	v_dual_add_f32 v13, v13, v31 :: v_dual_add_f32 v14, v14, v32
	v_add_f32_e32 v39, v39, v31
	v_add_f32_e32 v31, v47, v31
	;; [unrolled: 1-line block ×4, first 2 shown]
	v_min3_f32 v0, v0, v1, 0x7f7fffff
	v_add_f32_e32 v79, v15, v29
	v_add_f32_e32 v147, v45, v29
	;; [unrolled: 1-line block ×3, first 2 shown]
	v_dual_add_f32 v45, v45, v33 :: v_dual_add_f32 v78, v10, v28
	v_add_f32_e32 v11, v11, v33
	v_add_f32_e32 v105, v6, v28
	;; [unrolled: 1-line block ×4, first 2 shown]
	v_dual_add_f32 v28, v48, v28 :: v_dual_add_f32 v7, v7, v33
	v_dual_add_f32 v10, v10, v32 :: v_dual_add_f32 v37, v37, v33
	v_add_f32_e32 v41, v41, v33
	v_dual_add_f32 v33, v49, v33 :: v_dual_add_f32 v6, v6, v32
	v_add_f32_e32 v36, v36, v32
	v_add_f32_e32 v40, v40, v32
	;; [unrolled: 1-line block ×3, first 2 shown]
	v_dual_add_f32 v32, v48, v32 :: v_dual_add_f32 v29, v49, v29
	s_waitcnt vmcnt(0)
	v_min3_f32 v46, v145, v46, 0x7f7fffff
	s_delay_alu instid0(VALU_DEP_1) | instskip(SKIP_3) | instid1(VALU_DEP_1)
	v_min3_f32 v146, v81, v146, v46
	scratch_load_b32 v46, off, off offset:32 ; 4-byte Folded Reload
	s_waitcnt vmcnt(0)
	v_min3_f32 v46, v144, v46, 0x7f7fffff
	v_min3_f32 v145, v132, v138, v46
	scratch_load_b32 v46, off, off offset:36 ; 4-byte Folded Reload
	s_waitcnt vmcnt(0)
	v_min3_f32 v46, v143, v46, 0x7f7fffff
	s_delay_alu instid0(VALU_DEP_1)
	v_min3_f32 v144, v134, v139, v46
	s_clause 0x1
	scratch_load_b32 v46, off, off offset:40
	scratch_load_b32 v47, off, off offset:44
	s_waitcnt vmcnt(0)
	v_min3_f32 v46, v47, v46, 0x7f7fffff
	s_delay_alu instid0(VALU_DEP_1) | instskip(SKIP_3) | instid1(VALU_DEP_1)
	v_min3_f32 v143, v87, v140, v46
	scratch_load_b32 v46, off, off offset:48 ; 4-byte Folded Reload
	s_waitcnt vmcnt(0)
	v_min3_f32 v46, v142, v46, 0x7f7fffff
	v_min3_f32 v142, v131, v141, v46
	s_clause 0x1
	scratch_load_b32 v46, off, off offset:52
	scratch_load_b32 v47, off, off offset:56
	s_waitcnt vmcnt(0)
	v_min3_f32 v46, v47, v46, 0x7f7fffff
	scratch_load_b32 v47, off, off offset:76 ; 4-byte Folded Reload
	s_waitcnt vmcnt(0)
	v_min3_f32 v141, v133, v47, v46
	s_clause 0x1
	scratch_load_b32 v46, off, off offset:60
	scratch_load_b32 v47, off, off offset:68
	s_waitcnt vmcnt(0)
	v_min3_f32 v46, v47, v46, 0x7f7fffff
	s_delay_alu instid0(VALU_DEP_1)
	v_min3_f32 v81, v135, v136, v46
	s_clause 0x1
	scratch_load_b32 v46, off, off offset:64
	scratch_load_b32 v47, off, off offset:72
	s_waitcnt vmcnt(0)
	v_min3_f32 v46, v47, v46, 0x7f7fffff
	s_delay_alu instid0(VALU_DEP_1)
	v_min3_f32 v140, v88, v137, v46
	v_min3_f32 v46, v90, v89, 0x7f7fffff
	;; [unrolled: 1-line block ×4, first 2 shown]
	scratch_load_b32 v3, off, off offset:16 ; 4-byte Folded Reload
	v_min3_f32 v139, v106, v86, v46
	v_min3_f32 v46, v92, v91, 0x7f7fffff
	;; [unrolled: 1-line block ×4, first 2 shown]
	s_delay_alu instid0(VALU_DEP_3) | instskip(SKIP_1) | instid1(VALU_DEP_3)
	v_min3_f32 v138, v108, v107, v46
	v_min3_f32 v46, v94, v93, 0x7f7fffff
	;; [unrolled: 1-line block ×4, first 2 shown]
	s_delay_alu instid0(VALU_DEP_3) | instskip(SKIP_1) | instid1(VALU_DEP_3)
	v_min3_f32 v137, v110, v109, v46
	v_min3_f32 v46, v96, v95, 0x7f7fffff
	;; [unrolled: 1-line block ×4, first 2 shown]
	s_delay_alu instid0(VALU_DEP_3) | instskip(SKIP_1) | instid1(VALU_DEP_1)
	v_min3_f32 v136, v112, v111, v46
	v_min3_f32 v46, v98, v97, 0x7f7fffff
	;; [unrolled: 1-line block ×6, first 2 shown]
	s_delay_alu instid0(VALU_DEP_3) | instskip(SKIP_1) | instid1(VALU_DEP_1)
	v_min3_f32 v134, v116, v115, v46
	v_min3_f32 v46, v102, v101, 0x7f7fffff
	v_min3_f32 v133, v118, v117, v46
	v_min3_f32 v46, v104, v103, 0x7f7fffff
	s_delay_alu instid0(VALU_DEP_1) | instskip(SKIP_1) | instid1(VALU_DEP_1)
	v_min3_f32 v132, v120, v119, v46
	v_min3_f32 v46, v122, v121, 0x7f7fffff
	v_min3_f32 v131, v130, v129, v46
	v_min3_f32 v46, v124, v123, 0x7f7fffff
	s_delay_alu instid0(VALU_DEP_1) | instskip(SKIP_1) | instid1(VALU_DEP_1)
	;; [unrolled: 5-line block ×3, first 2 shown]
	v_min3_f32 v128, v160, v159, v46
	v_min3_f32 v46, v148, v82, 0x7f7fffff
	;; [unrolled: 1-line block ×4, first 2 shown]
	s_delay_alu instid0(VALU_DEP_1) | instskip(SKIP_3) | instid1(VALU_DEP_3)
	v_min3_f32 v126, v164, v163, v46
	v_min3_f32 v46, v152, v84, 0x7f7fffff
	;; [unrolled: 1-line block ×6, first 2 shown]
	s_delay_alu instid0(VALU_DEP_3) | instskip(SKIP_1) | instid1(VALU_DEP_3)
	v_min3_f32 v83, v44, v45, v0
	v_min3_f32 v0, v30, v31, 0x7f7fffff
	v_min3_f32 v124, v168, v167, v46
	v_min3_f32 v46, v170, v169, 0x7f7fffff
	s_delay_alu instid0(VALU_DEP_3)
	v_min3_f32 v82, v32, v33, v0
	s_clause 0x1
	scratch_load_b32 v0, off, off offset:8
	scratch_load_b32 v1, off, off offset:12
	s_waitcnt vmcnt(0)
	ds_store_2addr_stride64_b32 v74, v0, v1 offset0:16 offset1:20
	ds_store_2addr_stride64_b32 v74, v151, v24 offset0:24 offset1:28
	scratch_load_b32 v0, off, off offset:4  ; 4-byte Folded Reload
	v_min3_f32 v123, v186, v185, v46
	v_min3_f32 v46, v172, v171, 0x7f7fffff
	s_delay_alu instid0(VALU_DEP_1) | instskip(SKIP_1) | instid1(VALU_DEP_1)
	v_min3_f32 v122, v188, v187, v46
	v_min3_f32 v46, v174, v173, 0x7f7fffff
	v_min3_f32 v121, v190, v189, v46
	v_min3_f32 v46, v176, v175, 0x7f7fffff
	s_delay_alu instid0(VALU_DEP_1) | instskip(SKIP_1) | instid1(VALU_DEP_1)
	v_min3_f32 v120, v192, v191, v46
	v_min3_f32 v46, v178, v177, 0x7f7fffff
	;; [unrolled: 5-line block ×15, first 2 shown]
	v_min3_f32 v91, v149, v147, v18
	v_min3_f32 v18, v26, v27, 0x7f7fffff
	s_delay_alu instid0(VALU_DEP_1)
	v_min3_f32 v90, v28, v29, v18
	s_waitcnt vmcnt(0)
	ds_store_b32 v3, v0 offset:9216
	s_waitcnt lgkmcnt(0)
	s_waitcnt_vscnt null, 0x0
	s_barrier
	buffer_gl0_inv
	s_cbranch_scc1 .LBB24_50
; %bb.28:
	s_clause 0x2
	scratch_load_b32 v2, off, off
	scratch_load_b32 v197, off, off offset:20
	scratch_load_b32 v198, off, off offset:24
	v_lshlrev_b64 v[64:65], 2, v[16:17]
	v_add_nc_u32_e32 v75, 0x2000, v3
	v_add_nc_u32_e32 v76, 0x2000, v73
	;; [unrolled: 1-line block ×3, first 2 shown]
	v_or_b32_e32 v78, 0x1000, v74
	s_waitcnt vmcnt(2)
	v_mad_i64_i32 v[0:1], null, v2, s27, 0
	v_lshlrev_b32_e32 v2, 2, v70
	s_waitcnt vmcnt(1)
	v_lshl_add_u32 v79, v197, 4, 0x2400
	s_waitcnt vmcnt(0)
	v_lshl_add_u32 v80, v198, 4, 0x1000
	s_delay_alu instid0(VALU_DEP_4) | instskip(NEXT) | instid1(VALU_DEP_1)
	v_lshlrev_b64 v[0:1], 2, v[0:1]
	v_add_co_u32 v0, s6, v0, v2
	s_delay_alu instid0(VALU_DEP_1) | instskip(NEXT) | instid1(VALU_DEP_2)
	v_add_co_ci_u32_e64 v1, s6, 0, v1, s6
	v_add_co_u32 v0, s6, v0, s22
	s_delay_alu instid0(VALU_DEP_1) | instskip(SKIP_1) | instid1(VALU_DEP_2)
	v_add_co_ci_u32_e64 v1, s6, s23, v1, s6
	s_add_i32 s22, s18, -8
	v_add_co_u32 v66, s6, v0, 48
	s_delay_alu instid0(VALU_DEP_1)
	v_add_co_ci_u32_e64 v67, s6, 0, v1, s6
	s_mov_b32 s23, 0
	s_branch .LBB24_30
.LBB24_29:                              ;   in Loop: Header=BB24_30 Depth=1
	s_or_b32 exec_lo, exec_lo, s7
	ds_load_b128 v[93:96], v72
	ds_load_b128 v[149:152], v76
	ds_load_b128 v[153:156], v76 offset:128
	ds_load_b128 v[157:160], v76 offset:256
	;; [unrolled: 1-line block ×14, first 2 shown]
	v_add_co_u32 v66, s6, v66, 32
	s_delay_alu instid0(VALU_DEP_1)
	v_add_co_ci_u32_e64 v67, s6, 0, v67, s6
	s_add_i32 s23, s23, 8
	ds_store_b32 v77, v105
	ds_store_2addr_stride64_b32 v78, v113, v147 offset1:4
	ds_store_2addr_stride64_b32 v78, v148, v0 offset0:8 offset1:12
	s_waitcnt lgkmcnt(17)
	v_dual_add_f32 v11, v150, v94 :: v_dual_add_f32 v14, v149, v93
	s_waitcnt lgkmcnt(16)
	v_dual_add_f32 v15, v154, v94 :: v_dual_add_f32 v18, v153, v93
	;; [unrolled: 2-line block ×3, first 2 shown]
	s_waitcnt lgkmcnt(14)
	v_add_f32_e32 v23, v162, v94
	v_min3_f32 v11, v14, v11, v25
	v_min3_f32 v14, v18, v15, v28
	v_add_f32_e32 v18, v161, v93
	v_min3_f32 v15, v22, v19, v29
	s_waitcnt lgkmcnt(13)
	v_dual_add_f32 v19, v166, v94 :: v_dual_add_f32 v22, v165, v93
	s_waitcnt lgkmcnt(12)
	v_dual_add_f32 v25, v170, v94 :: v_dual_add_f32 v28, v169, v93
	;; [unrolled: 2-line block ×4, first 2 shown]
	v_min3_f32 v1, v18, v23, v1
	v_min3_f32 v18, v22, v19, v32
	;; [unrolled: 1-line block ×5, first 2 shown]
	s_waitcnt lgkmcnt(9)
	v_dual_add_f32 v25, v150, v98 :: v_dual_add_f32 v28, v149, v97
	v_dual_add_f32 v29, v154, v98 :: v_dual_add_f32 v32, v153, v97
	;; [unrolled: 1-line block ×5, first 2 shown]
	v_min3_f32 v4, v28, v25, v4
	v_min3_f32 v25, v32, v29, v40
	;; [unrolled: 1-line block ×5, first 2 shown]
	v_dual_add_f32 v33, v170, v98 :: v_dual_add_f32 v34, v169, v97
	v_dual_add_f32 v35, v174, v98 :: v_dual_add_f32 v36, v173, v97
	;; [unrolled: 1-line block ×3, first 2 shown]
	s_waitcnt lgkmcnt(8)
	v_dual_add_f32 v39, v150, v102 :: v_dual_add_f32 v40, v149, v101
	v_dual_add_f32 v41, v154, v102 :: v_dual_add_f32 v44, v153, v101
	v_min3_f32 v5, v34, v33, v5
	v_min3_f32 v33, v36, v35, v48
	;; [unrolled: 1-line block ×5, first 2 shown]
	v_dual_add_f32 v37, v158, v102 :: v_dual_add_f32 v38, v157, v101
	v_dual_add_f32 v39, v162, v102 :: v_dual_add_f32 v40, v161, v101
	;; [unrolled: 1-line block ×5, first 2 shown]
	v_min3_f32 v8, v38, v37, v8
	v_min3_f32 v37, v40, v39, v54
	;; [unrolled: 1-line block ×5, first 2 shown]
	v_dual_add_f32 v41, v178, v102 :: v_dual_add_f32 v44, v177, v101
	s_waitcnt lgkmcnt(7)
	v_dual_add_f32 v45, v150, v107 :: v_dual_add_f32 v48, v149, v106
	v_dual_add_f32 v49, v154, v107 :: v_dual_add_f32 v52, v153, v106
	v_dual_add_f32 v53, v158, v107 :: v_dual_add_f32 v54, v157, v106
	v_dual_add_f32 v55, v162, v107 :: v_dual_add_f32 v56, v161, v106
	v_min3_f32 v9, v44, v41, v9
	v_min3_f32 v41, v48, v45, v58
	;; [unrolled: 1-line block ×5, first 2 shown]
	v_dual_add_f32 v49, v166, v107 :: v_dual_add_f32 v52, v165, v106
	v_dual_add_f32 v53, v170, v107 :: v_dual_add_f32 v54, v169, v106
	v_dual_add_f32 v55, v174, v107 :: v_dual_add_f32 v56, v173, v106
	v_dual_add_f32 v57, v178, v107 :: v_dual_add_f32 v58, v177, v106
	s_waitcnt lgkmcnt(6)
	v_dual_add_f32 v59, v150, v182 :: v_dual_add_f32 v60, v149, v181
	v_min3_f32 v12, v52, v49, v12
	v_min3_f32 v49, v54, v53, v50
	;; [unrolled: 1-line block ×5, first 2 shown]
	v_dual_add_f32 v53, v154, v182 :: v_dual_add_f32 v54, v153, v181
	v_dual_add_f32 v55, v158, v182 :: v_dual_add_f32 v56, v157, v181
	;; [unrolled: 1-line block ×5, first 2 shown]
	v_min3_f32 v13, v54, v53, v13
	v_min3_f32 v53, v56, v55, v81
	;; [unrolled: 1-line block ×5, first 2 shown]
	v_dual_add_f32 v57, v174, v182 :: v_dual_add_f32 v58, v173, v181
	v_dual_add_f32 v59, v178, v182 :: v_dual_add_f32 v60, v177, v181
	s_waitcnt lgkmcnt(5)
	v_dual_add_f32 v61, v150, v186 :: v_dual_add_f32 v62, v149, v185
	v_dual_add_f32 v63, v154, v186 :: v_dual_add_f32 v68, v153, v185
	v_add_f32_e32 v69, v158, v186
	v_dual_add_f32 v81, v157, v185 :: v_dual_add_f32 v82, v178, v186
	v_min3_f32 v16, v58, v57, v16
	v_min3_f32 v46, v60, v59, v46
	;; [unrolled: 1-line block ×4, first 2 shown]
	v_dual_add_f32 v59, v162, v186 :: v_dual_add_f32 v62, v165, v185
	v_add_f32_e32 v60, v161, v185
	v_min3_f32 v58, v81, v69, v86
	v_dual_add_f32 v61, v166, v186 :: v_dual_add_f32 v68, v169, v185
	v_add_f32_e32 v63, v170, v186
	v_add_f32_e32 v69, v174, v186
	;; [unrolled: 1-line block ×3, first 2 shown]
	s_waitcnt lgkmcnt(4)
	v_dual_add_f32 v83, v177, v185 :: v_dual_add_f32 v84, v166, v190
	v_min3_f32 v17, v60, v59, v17
	v_min3_f32 v42, v62, v61, v42
	v_add_f32_e32 v61, v150, v190
	s_delay_alu instid0(VALU_DEP_4)
	v_min3_f32 v60, v83, v82, v88
	v_add_f32_e32 v62, v149, v189
	v_min3_f32 v43, v68, v63, v43
	v_dual_add_f32 v63, v154, v190 :: v_dual_add_f32 v68, v153, v189
	v_add_f32_e32 v82, v162, v190
	v_min3_f32 v59, v81, v69, v87
	s_waitcnt lgkmcnt(3)
	v_dual_add_f32 v85, v165, v189 :: v_dual_add_f32 v86, v150, v194
	v_add_f32_e32 v87, v149, v193
	v_add_f32_e32 v69, v158, v190
	;; [unrolled: 1-line block ×4, first 2 shown]
	v_min3_f32 v20, v62, v61, v20
	v_min3_f32 v61, v68, v63, v89
	;; [unrolled: 1-line block ×3, first 2 shown]
	v_dual_add_f32 v84, v178, v190 :: v_dual_add_f32 v85, v177, v189
	v_min3_f32 v30, v87, v86, v30
	v_dual_add_f32 v86, v170, v194 :: v_dual_add_f32 v87, v169, v193
	v_min3_f32 v63, v83, v82, v91
	v_dual_add_f32 v82, v174, v190 :: v_dual_add_f32 v83, v173, v189
	v_dual_add_f32 v88, v154, v194 :: v_dual_add_f32 v89, v153, v193
	v_min3_f32 v27, v85, v84, v27
	v_dual_add_f32 v84, v166, v194 :: v_dual_add_f32 v85, v165, v193
	v_min3_f32 v7, v87, v86, v7
	v_add_f32_e32 v86, v160, v96
	v_min3_f32 v62, v81, v69, v90
	v_add_f32_e32 v81, v169, v189
	v_min3_f32 v26, v83, v82, v26
	v_min3_f32 v31, v89, v88, v31
	v_dual_add_f32 v82, v162, v194 :: v_dual_add_f32 v83, v161, v193
	v_dual_add_f32 v88, v174, v194 :: v_dual_add_f32 v89, v173, v193
	v_min3_f32 v6, v85, v84, v6
	v_dual_add_f32 v84, v156, v96 :: v_dual_add_f32 v85, v155, v95
	v_add_f32_e32 v69, v170, v190
	s_delay_alu instid0(VALU_DEP_4)
	v_min3_f32 v10, v89, v88, v10
	v_dual_add_f32 v88, v164, v96 :: v_dual_add_f32 v87, v159, v95
	v_add_f32_e32 v89, v163, v95
	v_min3_f32 v145, v85, v84, v14
	v_add_f32_e32 v84, v152, v100
	v_min3_f32 v3, v83, v82, v3
	v_dual_add_f32 v82, v152, v96 :: v_dual_add_f32 v83, v151, v95
	v_min3_f32 v21, v81, v69, v21
	v_dual_add_f32 v69, v158, v194 :: v_dual_add_f32 v14, v172, v96
	v_min3_f32 v144, v87, v86, v15
	s_delay_alu instid0(VALU_DEP_4)
	v_min3_f32 v146, v83, v82, v11
	v_min3_f32 v143, v89, v88, v1
	v_add_f32_e32 v1, v168, v96
	v_add_f32_e32 v11, v167, v95
	;; [unrolled: 1-line block ×4, first 2 shown]
	v_dual_add_f32 v81, v157, v193 :: v_dual_add_f32 v82, v180, v96
	s_delay_alu instid0(VALU_DEP_4) | instskip(NEXT) | instid1(VALU_DEP_4)
	v_min3_f32 v142, v11, v1, v18
	v_min3_f32 v141, v15, v14, v19
	v_dual_add_f32 v11, v160, v100 :: v_dual_add_f32 v14, v159, v99
	v_dual_add_f32 v15, v164, v100 :: v_dual_add_f32 v18, v163, v99
	v_min3_f32 v139, v85, v84, v4
	v_dual_add_f32 v1, v156, v100 :: v_dual_add_f32 v4, v155, v99
	s_delay_alu instid0(VALU_DEP_4) | instskip(NEXT) | instid1(VALU_DEP_4)
	v_min3_f32 v137, v14, v11, v28
	v_min3_f32 v136, v18, v15, v29
	v_dual_add_f32 v14, v152, v104 :: v_dual_add_f32 v15, v151, v103
	v_min3_f32 v24, v81, v69, v24
	v_add_f32_e32 v81, v177, v193
	v_add_f32_e32 v69, v178, v194
	;; [unrolled: 1-line block ×3, first 2 shown]
	v_min3_f32 v131, v15, v14, v35
	v_add_f32_e32 v14, v171, v103
	v_min3_f32 v138, v4, v1, v25
	v_dual_add_f32 v1, v176, v100 :: v_dual_add_f32 v4, v175, v99
	v_min3_f32 v2, v81, v69, v2
	v_add_f32_e32 v69, v176, v96
	v_add_f32_e32 v81, v175, v95
	v_min3_f32 v140, v83, v82, v23
	v_min3_f32 v133, v4, v1, v33
	v_dual_add_f32 v1, v164, v104 :: v_dual_add_f32 v4, v163, v103
	s_delay_alu instid0(VALU_DEP_4) | instskip(SKIP_2) | instid1(VALU_DEP_4)
	v_min3_f32 v81, v81, v69, v22
	v_dual_add_f32 v19, v168, v100 :: v_dual_add_f32 v22, v167, v99
	v_add_f32_e32 v23, v172, v100
	v_min3_f32 v128, v4, v1, v37
	v_dual_add_f32 v1, v152, v109 :: v_dual_add_f32 v4, v151, v108
	v_add_f32_e32 v69, v171, v99
	v_min3_f32 v135, v22, v19, v32
	v_dual_add_f32 v11, v179, v99 :: v_dual_add_f32 v22, v160, v104
	s_delay_alu instid0(VALU_DEP_4) | instskip(SKIP_4) | instid1(VALU_DEP_4)
	v_min3_f32 v123, v4, v1, v41
	v_dual_add_f32 v1, v172, v109 :: v_dual_add_f32 v4, v171, v108
	v_min3_f32 v134, v69, v23, v5
	v_add_f32_e32 v5, v180, v100
	v_dual_add_f32 v23, v159, v103 :: v_dual_add_f32 v18, v156, v104
	v_min3_f32 v118, v4, v1, v49
	v_dual_add_f32 v1, v160, v184 :: v_dual_add_f32 v4, v159, v183
	v_add_f32_e32 v19, v155, v103
	v_min3_f32 v132, v11, v5, v34
	v_min3_f32 v129, v23, v22, v8
	v_dual_add_f32 v5, v168, v104 :: v_dual_add_f32 v8, v167, v103
	v_min3_f32 v112, v4, v1, v53
	v_dual_add_f32 v1, v180, v184 :: v_dual_add_f32 v4, v179, v183
	v_min3_f32 v130, v19, v18, v36
	v_add_f32_e32 v11, v172, v104
	v_dual_add_f32 v19, v180, v104 :: v_dual_add_f32 v22, v179, v103
	v_min3_f32 v127, v8, v5, v38
	v_dual_add_f32 v5, v156, v109 :: v_dual_add_f32 v8, v155, v108
	v_min3_f32 v107, v4, v1, v46
	v_dual_add_f32 v1, v168, v188 :: v_dual_add_f32 v4, v167, v187
	v_add_f32_e32 v15, v176, v104
	s_delay_alu instid0(VALU_DEP_4) | instskip(SKIP_1) | instid1(VALU_DEP_4)
	v_min3_f32 v122, v8, v5, v44
	v_dual_add_f32 v5, v176, v109 :: v_dual_add_f32 v8, v175, v108
	v_min3_f32 v101, v4, v1, v42
	v_add_f32_e32 v4, v155, v191
	v_min3_f32 v124, v22, v19, v9
	v_add_f32_e32 v9, v160, v109
	v_min3_f32 v117, v8, v5, v50
	v_dual_add_f32 v5, v164, v184 :: v_dual_add_f32 v8, v163, v183
	v_add_f32_e32 v18, v175, v103
	v_min3_f32 v126, v14, v11, v39
	v_dual_add_f32 v14, v164, v109 :: v_dual_add_f32 v19, v167, v108
	s_delay_alu instid0(VALU_DEP_4)
	v_min3_f32 v111, v8, v5, v54
	v_dual_add_f32 v5, v152, v188 :: v_dual_add_f32 v8, v151, v187
	v_add_f32_e32 v11, v159, v108
	v_add_f32_e32 v1, v156, v192
	s_cmp_ge_i32 s23, s22
	s_waitcnt lgkmcnt(0)
	v_min3_f32 v106, v8, v5, v47
	v_dual_add_f32 v5, v172, v188 :: v_dual_add_f32 v8, v171, v187
	v_min3_f32 v125, v18, v15, v40
	v_dual_add_f32 v15, v163, v108 :: v_dual_add_f32 v18, v168, v109
	v_min3_f32 v121, v11, v9, v45
	s_delay_alu instid0(VALU_DEP_4) | instskip(SKIP_1) | instid1(VALU_DEP_4)
	v_min3_f32 v100, v8, v5, v43
	v_add_f32_e32 v5, v160, v192
	v_min3_f32 v120, v15, v14, v48
	v_min3_f32 v119, v19, v18, v12
	v_add_f32_e32 v12, v152, v184
	v_dual_add_f32 v14, v151, v183 :: v_dual_add_f32 v15, v156, v184
	v_add_f32_e32 v18, v155, v183
	v_add_f32_e32 v8, v159, v191
	;; [unrolled: 1-line block ×3, first 2 shown]
	s_delay_alu instid0(VALU_DEP_4)
	v_min3_f32 v115, v14, v12, v52
	v_add_f32_e32 v14, v176, v184
	v_add_f32_e32 v12, v172, v184
	v_min3_f32 v95, v8, v5, v62
	v_add_f32_e32 v8, v179, v191
	v_min3_f32 v114, v18, v15, v13
	v_add_f32_e32 v15, v175, v183
	v_add_f32_e32 v13, v171, v183
	;; [unrolled: 1-line block ×3, first 2 shown]
	v_min3_f32 v96, v4, v1, v61
	v_add_f32_e32 v4, v175, v191
	v_min3_f32 v108, v15, v14, v16
	v_dual_add_f32 v14, v164, v188 :: v_dual_add_f32 v15, v163, v187
	v_min3_f32 v116, v11, v9, v51
	v_add_f32_e32 v9, v168, v184
	v_add_f32_e32 v11, v167, v183
	;; [unrolled: 1-line block ×3, first 2 shown]
	v_min3_f32 v102, v15, v14, v17
	v_dual_add_f32 v14, v152, v192 :: v_dual_add_f32 v15, v151, v191
	v_add_f32_e32 v5, v180, v192
	s_delay_alu instid0(VALU_DEP_4) | instskip(SKIP_1) | instid1(VALU_DEP_4)
	v_min3_f32 v91, v4, v1, v26
	v_dual_add_f32 v1, v164, v196 :: v_dual_add_f32 v4, v163, v195
	v_min3_f32 v97, v15, v14, v20
	v_dual_add_f32 v14, v172, v192 :: v_dual_add_f32 v15, v171, v191
	;; [unrolled: 2-line block ×3, first 2 shown]
	v_min3_f32 v86, v4, v1, v3
	s_delay_alu instid0(VALU_DEP_4)
	v_min3_f32 v92, v15, v14, v21
	v_add_f32_e32 v14, v160, v196
	v_min3_f32 v109, v13, v12, v56
	v_dual_add_f32 v12, v160, v188 :: v_dual_add_f32 v13, v159, v187
	v_add_f32_e32 v15, v159, v195
	v_min3_f32 v85, v8, v5, v6
	s_barrier
	buffer_gl0_inv
	v_min3_f32 v103, v13, v12, v58
	v_dual_add_f32 v12, v180, v188 :: v_dual_add_f32 v13, v179, v187
	v_min3_f32 v87, v15, v14, v24
	v_dual_add_f32 v14, v180, v196 :: v_dual_add_f32 v15, v179, v195
	s_delay_alu instid0(VALU_DEP_3) | instskip(SKIP_1) | instid1(VALU_DEP_3)
	v_min3_f32 v98, v13, v12, v60
	v_dual_add_f32 v12, v168, v192 :: v_dual_add_f32 v13, v167, v191
	v_min3_f32 v82, v15, v14, v2
	s_delay_alu instid0(VALU_DEP_2)
	v_min3_f32 v93, v13, v12, v68
	v_add_f32_e32 v12, v156, v196
	v_min3_f32 v110, v11, v9, v55
	v_add_f32_e32 v9, v156, v188
	v_add_f32_e32 v11, v155, v187
	;; [unrolled: 1-line block ×3, first 2 shown]
	s_delay_alu instid0(VALU_DEP_2) | instskip(SKIP_2) | instid1(VALU_DEP_4)
	v_min3_f32 v104, v11, v9, v57
	v_add_f32_e32 v9, v176, v188
	v_add_f32_e32 v11, v175, v187
	v_min3_f32 v88, v13, v12, v31
	v_dual_add_f32 v12, v176, v196 :: v_dual_add_f32 v13, v175, v195
	s_delay_alu instid0(VALU_DEP_3) | instskip(SKIP_2) | instid1(VALU_DEP_4)
	v_min3_f32 v99, v11, v9, v59
	v_add_f32_e32 v9, v164, v192
	v_add_f32_e32 v11, v163, v191
	v_min3_f32 v83, v13, v12, v10
	s_delay_alu instid0(VALU_DEP_2) | instskip(SKIP_2) | instid1(VALU_DEP_1)
	v_min3_f32 v94, v11, v9, v63
	v_add_f32_e32 v9, v152, v196
	v_add_f32_e32 v11, v151, v195
	v_min3_f32 v89, v11, v9, v30
	v_add_f32_e32 v9, v172, v196
	v_add_f32_e32 v11, v171, v195
	s_delay_alu instid0(VALU_DEP_1)
	v_min3_f32 v84, v11, v9, v7
	s_cbranch_scc1 .LBB24_51
.LBB24_30:                              ; =>This Inner Loop Header: Depth=1
	v_add_nc_u32_e32 v105, s23, v70
	s_delay_alu instid0(VALU_DEP_1) | instskip(NEXT) | instid1(VALU_DEP_1)
	v_add_nc_u32_e32 v0, 8, v105
	v_cmp_le_i32_e64 s6, s18, v0
	s_delay_alu instid0(VALU_DEP_1) | instskip(NEXT) | instid1(SALU_CYCLE_1)
	s_or_b32 s6, s6, vcc_lo
	v_cndmask_b32_e64 v147, 0, 0x7f7fffff, s6
	s_or_b32 s6, s25, s6
	s_delay_alu instid0(SALU_CYCLE_1) | instskip(NEXT) | instid1(SALU_CYCLE_1)
	s_xor_b32 s6, s6, -1
	s_and_saveexec_b32 s7, s6
	s_cbranch_execz .LBB24_32
; %bb.31:                               ;   in Loop: Header=BB24_30 Depth=1
	v_add_co_u32 v0, s6, -16, v66
	s_delay_alu instid0(VALU_DEP_1)
	v_add_co_ci_u32_e64 v1, s6, -1, v67, s6
	flat_load_b32 v0, v[0:1]
	s_waitcnt vmcnt(0) lgkmcnt(0)
	v_mul_f32_e32 v147, s24, v0
.LBB24_32:                              ;   in Loop: Header=BB24_30 Depth=1
	s_or_b32 exec_lo, exec_lo, s7
	v_add_nc_u32_e32 v113, s23, v71
	s_delay_alu instid0(VALU_DEP_1) | instskip(NEXT) | instid1(VALU_DEP_1)
	v_add_nc_u32_e32 v2, 8, v113
	v_min_i32_e32 v3, s26, v2
	v_cmp_le_i32_e64 s6, s18, v2
	s_delay_alu instid0(VALU_DEP_2) | instskip(NEXT) | instid1(VALU_DEP_1)
	v_mad_i64_i32 v[0:1], null, v3, s19, 0
	v_lshlrev_b64 v[0:1], 2, v[0:1]
	s_delay_alu instid0(VALU_DEP_1) | instskip(NEXT) | instid1(VALU_DEP_1)
	v_add_co_u32 v0, s7, s20, v0
	v_add_co_ci_u32_e64 v1, s7, s21, v1, s7
	s_or_b32 s7, s2, s6
	s_delay_alu instid0(SALU_CYCLE_1) | instskip(SKIP_1) | instid1(SALU_CYCLE_1)
	v_cndmask_b32_e64 v148, 0, 0x7f7fffff, s7
	s_or_b32 s7, s25, s7
	s_xor_b32 s7, s7, -1
	s_delay_alu instid0(SALU_CYCLE_1)
	s_and_saveexec_b32 s27, s7
	s_cbranch_execz .LBB24_34
; %bb.33:                               ;   in Loop: Header=BB24_30 Depth=1
	v_add_co_u32 v2, s7, v0, v64
	s_delay_alu instid0(VALU_DEP_1)
	v_add_co_ci_u32_e64 v3, s7, v1, v65, s7
	flat_load_b32 v2, v[2:3]
	s_waitcnt vmcnt(0) lgkmcnt(0)
	v_mul_f32_e32 v148, s24, v2
.LBB24_34:                              ;   in Loop: Header=BB24_30 Depth=1
	s_or_b32 exec_lo, exec_lo, s27
	s_or_b32 s7, s3, s6
	s_delay_alu instid0(SALU_CYCLE_1) | instskip(SKIP_1) | instid1(SALU_CYCLE_1)
	v_cndmask_b32_e64 v149, 0, 0x7f7fffff, s7
	s_or_b32 s7, s25, s7
	s_xor_b32 s7, s7, -1
	s_delay_alu instid0(SALU_CYCLE_1)
	s_and_saveexec_b32 s27, s7
	s_cbranch_execz .LBB24_36
; %bb.35:                               ;   in Loop: Header=BB24_30 Depth=1
	v_add_co_u32 v2, s7, v0, v64
	s_delay_alu instid0(VALU_DEP_1)
	v_add_co_ci_u32_e64 v3, s7, v1, v65, s7
	flat_load_b32 v2, v[2:3] offset:256
	s_waitcnt vmcnt(0) lgkmcnt(0)
	v_mul_f32_e32 v149, s24, v2
.LBB24_36:                              ;   in Loop: Header=BB24_30 Depth=1
	s_or_b32 exec_lo, exec_lo, s27
	s_or_b32 s7, s4, s6
	s_delay_alu instid0(SALU_CYCLE_1) | instskip(SKIP_1) | instid1(SALU_CYCLE_1)
	v_cndmask_b32_e64 v150, 0, 0x7f7fffff, s7
	s_or_b32 s7, s25, s7
	s_xor_b32 s7, s7, -1
	s_delay_alu instid0(SALU_CYCLE_1)
	s_and_saveexec_b32 s27, s7
	s_cbranch_execz .LBB24_38
; %bb.37:                               ;   in Loop: Header=BB24_30 Depth=1
	v_add_co_u32 v2, s7, v0, v64
	s_delay_alu instid0(VALU_DEP_1)
	v_add_co_ci_u32_e64 v3, s7, v1, v65, s7
	flat_load_b32 v2, v[2:3] offset:512
	s_waitcnt vmcnt(0) lgkmcnt(0)
	v_mul_f32_e32 v150, s24, v2
.LBB24_38:                              ;   in Loop: Header=BB24_30 Depth=1
	;; [unrolled: 17-line block ×3, first 2 shown]
	s_or_b32 exec_lo, exec_lo, s7
	ds_load_b128 v[32:35], v79
	ds_load_b128 v[28:31], v79 offset:128
	ds_load_b128 v[24:27], v79 offset:256
	;; [unrolled: 1-line block ×7, first 2 shown]
	ds_load_b128 v[60:63], v80
	ds_load_b128 v[56:59], v80 offset:512
	ds_load_b128 v[52:55], v80 offset:1024
	ds_load_b128 v[48:51], v80 offset:1536
	ds_load_b128 v[44:47], v80 offset:2048
	ds_load_b128 v[40:43], v80 offset:2560
	ds_load_b128 v[36:39], v80 offset:3072
	ds_load_b128 v[20:23], v80 offset:3584
	v_add_nc_u32_e32 v68, 12, v105
	ds_store_b32 v75, v147
	ds_store_2addr_stride64_b32 v74, v148, v149 offset1:4
	ds_store_2addr_stride64_b32 v74, v150, v151 offset0:8 offset1:12
	s_waitcnt lgkmcnt(0)
	s_barrier
	buffer_gl0_inv
	v_cmp_le_i32_e64 s6, s18, v68
	s_delay_alu instid0(VALU_DEP_1) | instskip(NEXT) | instid1(SALU_CYCLE_1)
	s_or_b32 s6, s6, vcc_lo
	v_cndmask_b32_e64 v105, 0, 0x7f7fffff, s6
	s_or_b32 s6, s25, s6
	s_delay_alu instid0(SALU_CYCLE_1) | instskip(NEXT) | instid1(SALU_CYCLE_1)
	s_xor_b32 s7, s6, -1
	s_and_saveexec_b32 s6, s7
	s_cbranch_execz .LBB24_42
; %bb.41:                               ;   in Loop: Header=BB24_30 Depth=1
	flat_load_b32 v68, v[66:67]
	s_waitcnt vmcnt(0) lgkmcnt(0)
	v_mul_f32_e32 v105, s24, v68
.LBB24_42:                              ;   in Loop: Header=BB24_30 Depth=1
	s_or_b32 exec_lo, exec_lo, s6
	v_add_nc_u32_e32 v68, 12, v113
	s_delay_alu instid0(VALU_DEP_1) | instskip(SKIP_1) | instid1(VALU_DEP_2)
	v_min_i32_e32 v69, s26, v68
	v_cmp_le_i32_e64 s6, s18, v68
	v_mad_i64_i32 v[147:148], null, v69, s19, 0
	s_delay_alu instid0(VALU_DEP_1) | instskip(NEXT) | instid1(VALU_DEP_1)
	v_lshlrev_b64 v[147:148], 2, v[147:148]
	v_add_co_u32 v149, s7, s20, v147
	s_delay_alu instid0(VALU_DEP_1) | instskip(SKIP_1) | instid1(SALU_CYCLE_1)
	v_add_co_ci_u32_e64 v150, s7, s21, v148, s7
	s_or_b32 s7, s2, s6
	v_cndmask_b32_e64 v113, 0, 0x7f7fffff, s7
	s_or_b32 s7, s25, s7
	s_delay_alu instid0(SALU_CYCLE_1) | instskip(NEXT) | instid1(SALU_CYCLE_1)
	s_xor_b32 s7, s7, -1
	s_and_saveexec_b32 s27, s7
	s_cbranch_execz .LBB24_44
; %bb.43:                               ;   in Loop: Header=BB24_30 Depth=1
	v_add_co_u32 v147, s7, v149, v64
	s_delay_alu instid0(VALU_DEP_1)
	v_add_co_ci_u32_e64 v148, s7, v150, v65, s7
	flat_load_b32 v68, v[147:148]
	s_waitcnt vmcnt(0) lgkmcnt(0)
	v_mul_f32_e32 v113, s24, v68
.LBB24_44:                              ;   in Loop: Header=BB24_30 Depth=1
	s_or_b32 exec_lo, exec_lo, s27
	s_or_b32 s7, s3, s6
	s_delay_alu instid0(SALU_CYCLE_1) | instskip(SKIP_1) | instid1(SALU_CYCLE_1)
	v_cndmask_b32_e64 v147, 0, 0x7f7fffff, s7
	s_or_b32 s7, s25, s7
	s_xor_b32 s7, s7, -1
	s_delay_alu instid0(SALU_CYCLE_1)
	s_and_saveexec_b32 s27, s7
	s_cbranch_execz .LBB24_46
; %bb.45:                               ;   in Loop: Header=BB24_30 Depth=1
	v_add_co_u32 v147, s7, v149, v64
	s_delay_alu instid0(VALU_DEP_1)
	v_add_co_ci_u32_e64 v148, s7, v150, v65, s7
	flat_load_b32 v68, v[147:148] offset:256
	s_waitcnt vmcnt(0) lgkmcnt(0)
	v_mul_f32_e32 v147, s24, v68
.LBB24_46:                              ;   in Loop: Header=BB24_30 Depth=1
	s_or_b32 exec_lo, exec_lo, s27
	s_or_b32 s7, s4, s6
	s_delay_alu instid0(SALU_CYCLE_1) | instskip(SKIP_1) | instid1(SALU_CYCLE_1)
	v_cndmask_b32_e64 v148, 0, 0x7f7fffff, s7
	s_or_b32 s7, s25, s7
	s_xor_b32 s7, s7, -1
	s_delay_alu instid0(SALU_CYCLE_1)
	s_and_saveexec_b32 s27, s7
	s_cbranch_execz .LBB24_48
; %bb.47:                               ;   in Loop: Header=BB24_30 Depth=1
	v_add_co_u32 v151, s7, v149, v64
	s_delay_alu instid0(VALU_DEP_1)
	v_add_co_ci_u32_e64 v152, s7, v150, v65, s7
	flat_load_b32 v68, v[151:152] offset:512
	s_waitcnt vmcnt(0) lgkmcnt(0)
	v_mul_f32_e32 v148, s24, v68
.LBB24_48:                              ;   in Loop: Header=BB24_30 Depth=1
	s_or_b32 exec_lo, exec_lo, s27
	v_dual_add_f32 v68, v33, v61 :: v_dual_add_f32 v69, v32, v60
	v_dual_add_f32 v151, v29, v61 :: v_dual_add_f32 v152, v28, v60
	;; [unrolled: 1-line block ×3, first 2 shown]
	s_delay_alu instid0(VALU_DEP_3) | instskip(SKIP_1) | instid1(VALU_DEP_4)
	v_min3_f32 v68, v69, v68, v146
	v_add_f32_e32 v146, v16, v60
	v_min3_f32 v69, v152, v151, v145
	v_add_f32_e32 v145, v17, v61
	v_min3_f32 v144, v154, v153, v144
	v_dual_add_f32 v151, v13, v61 :: v_dual_add_f32 v152, v12, v60
	v_dual_add_f32 v153, v9, v61 :: v_dual_add_f32 v154, v8, v60
	;; [unrolled: 1-line block ×4, first 2 shown]
	v_min3_f32 v143, v146, v145, v143
	v_min3_f32 v142, v152, v151, v142
	v_dual_add_f32 v145, v29, v57 :: v_dual_add_f32 v146, v28, v56
	s_delay_alu instid0(VALU_DEP_4)
	v_min3_f32 v60, v60, v61, v140
	v_dual_add_f32 v61, v33, v57 :: v_dual_add_f32 v140, v32, v56
	v_dual_add_f32 v151, v25, v57 :: v_dual_add_f32 v152, v24, v56
	v_min3_f32 v141, v154, v153, v141
	v_min3_f32 v81, v156, v155, v81
	v_dual_add_f32 v153, v17, v57 :: v_dual_add_f32 v154, v16, v56
	v_dual_add_f32 v155, v13, v57 :: v_dual_add_f32 v156, v12, v56
	v_min3_f32 v61, v140, v61, v139
	v_min3_f32 v138, v146, v145, v138
	;; [unrolled: 1-line block ×3, first 2 shown]
	v_dual_add_f32 v139, v9, v57 :: v_dual_add_f32 v140, v8, v56
	v_dual_add_f32 v145, v5, v57 :: v_dual_add_f32 v146, v4, v56
	;; [unrolled: 1-line block ×4, first 2 shown]
	v_min3_f32 v136, v154, v153, v136
	v_dual_add_f32 v153, v29, v53 :: v_dual_add_f32 v154, v28, v52
	v_min3_f32 v134, v140, v139, v134
	v_min3_f32 v56, v56, v57, v132
	;; [unrolled: 1-line block ×3, first 2 shown]
	v_dual_add_f32 v131, v25, v53 :: v_dual_add_f32 v132, v24, v52
	v_dual_add_f32 v139, v17, v53 :: v_dual_add_f32 v140, v16, v52
	v_min3_f32 v133, v146, v145, v133
	v_min3_f32 v130, v154, v153, v130
	v_dual_add_f32 v145, v13, v53 :: v_dual_add_f32 v146, v12, v52
	v_dual_add_f32 v151, v9, v53 :: v_dual_add_f32 v152, v8, v52
	v_dual_add_f32 v153, v5, v53 :: v_dual_add_f32 v154, v4, v52
	v_min3_f32 v129, v132, v131, v129
	v_min3_f32 v128, v140, v139, v128
	v_dual_add_f32 v53, v1, v53 :: v_dual_add_f32 v52, v0, v52
	;; [unrolled: 5-line block ×3, first 2 shown]
	v_dual_add_f32 v151, v17, v49 :: v_dual_add_f32 v152, v16, v48
	v_min3_f32 v124, v52, v53, v124
	v_min3_f32 v123, v132, v131, v123
	;; [unrolled: 1-line block ×3, first 2 shown]
	v_dual_add_f32 v52, v13, v49 :: v_dual_add_f32 v53, v12, v48
	v_dual_add_f32 v131, v9, v49 :: v_dual_add_f32 v132, v8, v48
	;; [unrolled: 1-line block ×4, first 2 shown]
	v_min3_f32 v121, v146, v145, v121
	v_dual_add_f32 v145, v33, v45 :: v_dual_add_f32 v146, v32, v44
	v_min3_f32 v119, v53, v52, v119
	v_min3_f32 v118, v132, v131, v118
	;; [unrolled: 1-line block ×3, first 2 shown]
	v_dual_add_f32 v48, v29, v45 :: v_dual_add_f32 v49, v28, v44
	v_dual_add_f32 v52, v25, v45 :: v_dual_add_f32 v53, v24, v44
	v_dual_add_f32 v131, v17, v45 :: v_dual_add_f32 v132, v16, v44
	v_min3_f32 v117, v140, v139, v117
	v_min3_f32 v115, v146, v145, v115
	v_dual_add_f32 v139, v13, v45 :: v_dual_add_f32 v140, v12, v44
	v_dual_add_f32 v145, v9, v45 :: v_dual_add_f32 v146, v8, v44
	v_min3_f32 v114, v49, v48, v114
	v_min3_f32 v112, v53, v52, v112
	;; [unrolled: 1-line block ×3, first 2 shown]
	v_dual_add_f32 v48, v5, v45 :: v_dual_add_f32 v49, v4, v44
	v_dual_add_f32 v45, v1, v45 :: v_dual_add_f32 v44, v0, v44
	;; [unrolled: 1-line block ×4, first 2 shown]
	v_min3_f32 v110, v140, v139, v110
	v_dual_add_f32 v139, v25, v41 :: v_dual_add_f32 v140, v24, v40
	v_min3_f32 v108, v49, v48, v108
	v_min3_f32 v107, v44, v45, v107
	;; [unrolled: 1-line block ×4, first 2 shown]
	v_dual_add_f32 v44, v17, v41 :: v_dual_add_f32 v45, v16, v40
	v_dual_add_f32 v48, v13, v41 :: v_dual_add_f32 v49, v12, v40
	;; [unrolled: 1-line block ×5, first 2 shown]
	v_min3_f32 v102, v45, v44, v102
	v_dual_add_f32 v44, v29, v37 :: v_dual_add_f32 v45, v28, v36
	v_min3_f32 v100, v53, v52, v100
	s_delay_alu instid0(VALU_DEP_4) | instskip(SKIP_4) | instid1(VALU_DEP_4)
	v_min3_f32 v98, v40, v41, v98
	v_dual_add_f32 v40, v33, v37 :: v_dual_add_f32 v41, v32, v36
	v_min3_f32 v99, v132, v131, v99
	v_dual_add_f32 v52, v17, v37 :: v_dual_add_f32 v53, v16, v36
	v_dual_add_f32 v131, v13, v37 :: v_dual_add_f32 v132, v12, v36
	v_min3_f32 v97, v41, v40, v97
	v_min3_f32 v96, v45, v44, v96
	v_dual_add_f32 v40, v9, v37 :: v_dual_add_f32 v41, v8, v36
	v_dual_add_f32 v44, v5, v37 :: v_dual_add_f32 v45, v4, v36
	;; [unrolled: 1-line block ×6, first 2 shown]
	v_min3_f32 v125, v154, v153, v125
	v_min3_f32 v120, v152, v151, v120
	;; [unrolled: 1-line block ×4, first 2 shown]
	v_dual_add_f32 v48, v25, v37 :: v_dual_add_f32 v49, v24, v36
	v_dual_add_f32 v37, v1, v37 :: v_dual_add_f32 v36, v0, v36
	;; [unrolled: 1-line block ×4, first 2 shown]
	v_min3_f32 v146, v16, v17, v86
	v_min3_f32 v151, v12, v13, v85
	;; [unrolled: 1-line block ×4, first 2 shown]
	v_dual_add_f32 v1, v1, v21 :: v_dual_add_f32 v0, v0, v20
	v_dual_add_f32 v4, v35, v63 :: v_dual_add_f32 v5, v34, v62
	;; [unrolled: 1-line block ×6, first 2 shown]
	v_min3_f32 v145, v28, v29, v88
	v_min3_f32 v24, v24, v25, v87
	;; [unrolled: 1-line block ×7, first 2 shown]
	v_dual_add_f32 v4, v15, v63 :: v_dual_add_f32 v5, v14, v62
	v_dual_add_f32 v8, v11, v63 :: v_dual_add_f32 v9, v10, v62
	;; [unrolled: 1-line block ×5, first 2 shown]
	v_min3_f32 v135, v156, v155, v135
	v_min3_f32 v103, v140, v139, v103
	;; [unrolled: 1-line block ×10, first 2 shown]
	v_dual_add_f32 v5, v31, v59 :: v_dual_add_f32 v8, v30, v58
	v_dual_add_f32 v9, v27, v59 :: v_dual_add_f32 v12, v26, v58
	v_dual_add_f32 v13, v19, v59 :: v_dual_add_f32 v16, v18, v58
	v_dual_add_f32 v17, v15, v59 :: v_dual_add_f32 v20, v14, v58
	v_dual_add_f32 v21, v11, v59 :: v_dual_add_f32 v48, v10, v58
	v_min3_f32 v93, v132, v131, v93
	v_min3_f32 v131, v41, v40, v92
	;; [unrolled: 1-line block ×8, first 2 shown]
	v_dual_add_f32 v8, v7, v59 :: v_dual_add_f32 v9, v6, v58
	v_dual_add_f32 v12, v3, v59 :: v_dual_add_f32 v13, v2, v58
	;; [unrolled: 1-line block ×4, first 2 shown]
	v_min3_f32 v94, v53, v52, v94
	v_dual_add_f32 v58, v27, v55 :: v_dual_add_f32 v59, v26, v54
	v_min3_f32 v48, v9, v8, v133
	v_min3_f32 v49, v13, v12, v56
	;; [unrolled: 1-line block ×4, first 2 shown]
	v_dual_add_f32 v9, v19, v55 :: v_dual_add_f32 v12, v18, v54
	v_dual_add_f32 v13, v15, v55 :: v_dual_add_f32 v16, v14, v54
	;; [unrolled: 1-line block ×4, first 2 shown]
	v_add_f32_e32 v57, v6, v54
	v_min3_f32 v8, v59, v58, v129
	v_dual_add_f32 v58, v3, v55 :: v_dual_add_f32 v59, v2, v54
	v_min3_f32 v54, v12, v9, v128
	v_add_f32_e32 v12, v35, v51
	v_min3_f32 v55, v16, v13, v127
	v_min3_f32 v56, v20, v17, v126
	v_min3_f32 v57, v57, v21, v125
	v_dual_add_f32 v13, v34, v50 :: v_dual_add_f32 v16, v31, v51
	v_dual_add_f32 v17, v30, v50 :: v_dual_add_f32 v20, v27, v51
	v_add_f32_e32 v21, v26, v50
	v_dual_add_f32 v61, v19, v51 :: v_dual_add_f32 v68, v14, v50
	v_min3_f32 v9, v59, v58, v124
	v_add_f32_e32 v63, v15, v51
	v_min3_f32 v58, v13, v12, v123
	v_min3_f32 v59, v17, v16, v122
	v_add_f32_e32 v16, v10, v50
	v_min3_f32 v60, v21, v20, v121
	v_min3_f32 v61, v62, v61, v120
	v_dual_add_f32 v13, v11, v51 :: v_dual_add_f32 v20, v6, v50
	v_dual_add_f32 v17, v7, v51 :: v_dual_add_f32 v62, v2, v50
	v_add_f32_e32 v21, v3, v51
	v_min3_f32 v12, v68, v63, v119
	v_dual_add_f32 v68, v34, v46 :: v_dual_add_f32 v63, v35, v47
	v_add_f32_e32 v69, v31, v47
	v_add_f32_e32 v81, v30, v46
	v_min3_f32 v51, v20, v17, v117
	v_add_f32_e32 v20, v19, v47
	v_min3_f32 v62, v62, v21, v116
	v_dual_add_f32 v21, v18, v46 :: v_dual_add_f32 v84, v11, v47
	v_min3_f32 v50, v16, v13, v118
	v_min3_f32 v13, v81, v69, v114
	v_dual_add_f32 v16, v27, v47 :: v_dual_add_f32 v17, v26, v46
	v_dual_add_f32 v69, v14, v46 :: v_dual_add_f32 v86, v7, v47
	v_add_f32_e32 v87, v6, v46
	v_min3_f32 v82, v21, v20, v111
	v_add_f32_e32 v20, v2, v46
	v_min3_f32 v63, v68, v63, v115
	v_dual_add_f32 v68, v15, v47 :: v_dual_add_f32 v85, v10, v46
	v_min3_f32 v81, v17, v16, v112
	v_min3_f32 v16, v87, v86, v108
	v_dual_add_f32 v17, v3, v47 :: v_dual_add_f32 v90, v2, v42
	s_delay_alu instid0(VALU_DEP_4)
	v_min3_f32 v83, v69, v68, v110
	v_dual_add_f32 v21, v35, v43 :: v_dual_add_f32 v92, v34, v38
	v_dual_add_f32 v47, v34, v42 :: v_dual_add_f32 v88, v19, v43
	;; [unrolled: 1-line block ×4, first 2 shown]
	v_add_f32_e32 v89, v18, v42
	v_min3_f32 v84, v85, v84, v109
	v_min3_f32 v46, v20, v17, v107
	;; [unrolled: 1-line block ×3, first 2 shown]
	v_add_f32_e32 v20, v15, v43
	v_min3_f32 v85, v69, v68, v104
	v_min3_f32 v17, v89, v88, v102
	v_dual_add_f32 v21, v14, v42 :: v_dual_add_f32 v68, v11, v43
	v_min3_f32 v86, v87, v86, v103
	v_add_f32_e32 v69, v10, v42
	v_dual_add_f32 v87, v7, v43 :: v_dual_add_f32 v88, v6, v42
	v_add_f32_e32 v89, v3, v43
	v_add_f32_e32 v91, v35, v39
	v_min3_f32 v42, v21, v20, v101
	v_min3_f32 v43, v69, v68, v100
	v_dual_add_f32 v21, v31, v39 :: v_dual_add_f32 v68, v30, v38
	v_min3_f32 v87, v88, v87, v99
	v_min3_f32 v88, v90, v89, v98
	v_add_f32_e32 v98, v14, v38
	v_min3_f32 v20, v92, v91, v97
	v_dual_add_f32 v69, v27, v39 :: v_dual_add_f32 v100, v10, v38
	v_dual_add_f32 v90, v26, v38 :: v_dual_add_f32 v91, v19, v39
	v_dual_add_f32 v92, v18, v38 :: v_dual_add_f32 v97, v15, v39
	v_dual_add_f32 v34, v34, v22 :: v_dual_add_f32 v35, v35, v23
	v_dual_add_f32 v10, v10, v22 :: v_dual_add_f32 v99, v11, v39
	v_add_f32_e32 v18, v18, v22
	v_min3_f32 v89, v68, v21, v96
	v_min3_f32 v90, v90, v69, v95
	v_dual_add_f32 v68, v7, v39 :: v_dual_add_f32 v69, v6, v38
	v_dual_add_f32 v39, v3, v39 :: v_dual_add_f32 v14, v14, v22
	v_add_f32_e32 v38, v2, v38
	v_min3_f32 v91, v92, v91, v94
	v_min3_f32 v92, v98, v97, v93
	v_dual_add_f32 v31, v31, v23 :: v_dual_add_f32 v2, v2, v22
	v_dual_add_f32 v93, v30, v22 :: v_dual_add_f32 v94, v27, v23
	v_add_f32_e32 v95, v26, v22
	v_min3_f32 v30, v34, v35, v140
	v_add_f32_e32 v19, v19, v23
	v_add_f32_e32 v15, v15, v23
	;; [unrolled: 1-line block ×3, first 2 shown]
	v_dual_add_f32 v34, v7, v23 :: v_dual_add_f32 v35, v6, v22
	v_add_f32_e32 v23, v3, v23
	s_or_b32 s6, s5, s6
	v_min3_f32 v21, v100, v99, v131
	v_min3_f32 v26, v69, v68, v132
	v_min3_f32 v27, v38, v39, v139
	v_min3_f32 v31, v93, v31, v145
	v_min3_f32 v24, v95, v94, v24
	v_min3_f32 v3, v18, v19, v146
	v_min3_f32 v6, v14, v15, v151
	v_min3_f32 v7, v10, v11, v152
	v_min3_f32 v10, v35, v34, v153
	v_min3_f32 v2, v2, v23, v0
	v_cndmask_b32_e64 v0, 0, 0x7f7fffff, s6
	s_or_b32 s6, s25, s6
	s_delay_alu instid0(SALU_CYCLE_1) | instskip(NEXT) | instid1(SALU_CYCLE_1)
	s_xor_b32 s6, s6, -1
	s_and_saveexec_b32 s7, s6
	s_cbranch_execz .LBB24_29
; %bb.49:                               ;   in Loop: Header=BB24_30 Depth=1
	v_add_co_u32 v14, s6, v149, v64
	s_delay_alu instid0(VALU_DEP_1)
	v_add_co_ci_u32_e64 v15, s6, v150, v65, s6
	flat_load_b32 v0, v[14:15] offset:768
	s_waitcnt vmcnt(0) lgkmcnt(0)
	v_mul_f32_e32 v0, s24, v0
	s_branch .LBB24_29
.LBB24_50:
	s_clause 0x1
	scratch_load_b32 v197, off, off offset:20
	scratch_load_b32 v198, off, off offset:24
.LBB24_51:
	s_clause 0x2
	s_load_b32 s19, s[0:1], 0x58
	s_load_b32 s18, s[0:1], 0x70
	s_load_b64 s[0:1], s[0:1], 0x78
	s_waitcnt vmcnt(0)
	v_add_nc_u32_e32 v113, s14, v198
	ds_load_b128 v[32:35], v73 offset:9216
	ds_load_b128 v[28:31], v73 offset:9344
	;; [unrolled: 1-line block ×16, first 2 shown]
	v_add_nc_u32_e32 v64, s8, v197
	v_cmp_gt_i32_e64 s8, s17, v113
	v_cndmask_b32_e64 v105, 0, 1, s9
	s_waitcnt lgkmcnt(0)
	v_mad_i64_i32 v[65:66], null, v113, s19, 0
	v_mad_i64_i32 v[69:70], null, v113, s18, 0
	s_lshl_b64 s[0:1], s[0:1], 2
	s_delay_alu instid0(SALU_CYCLE_1) | instskip(SKIP_1) | instid1(VALU_DEP_2)
	s_add_u32 s12, s12, s0
	s_addc_u32 s13, s13, s1
	v_lshlrev_b64 v[65:66], 2, v[65:66]
	v_cmp_gt_i32_e64 s0, s16, v64
	s_delay_alu instid0(VALU_DEP_3) | instskip(NEXT) | instid1(VALU_DEP_2)
	v_lshlrev_b64 v[67:68], 2, v[69:70]
	s_and_b32 s2, s0, s8
	s_delay_alu instid0(VALU_DEP_3) | instskip(NEXT) | instid1(VALU_DEP_4)
	v_add_co_u32 v149, vcc_lo, s10, v65
	v_add_co_ci_u32_e32 v150, vcc_lo, s11, v66, vcc_lo
	s_delay_alu instid0(VALU_DEP_3) | instskip(NEXT) | instid1(VALU_DEP_4)
	v_add_co_u32 v147, vcc_lo, s12, v67
	v_add_co_ci_u32_e32 v148, vcc_lo, s13, v68, vcc_lo
	v_ashrrev_i32_e32 v65, 31, v64
	s_and_saveexec_b32 s1, s2
	s_cbranch_execz .LBB24_56
; %bb.52:
	s_delay_alu instid0(VALU_DEP_1)
	v_lshlrev_b64 v[66:67], 2, v[64:65]
	s_and_not1_b32 vcc_lo, exec_lo, s9
	s_cbranch_vccnz .LBB24_54
; %bb.53:
	s_delay_alu instid0(VALU_DEP_1) | instskip(NEXT) | instid1(VALU_DEP_2)
	v_add_co_u32 v68, vcc_lo, v149, v66
	v_add_co_ci_u32_e32 v69, vcc_lo, v150, v67, vcc_lo
	flat_load_b32 v68, v[68:69]
	s_waitcnt vmcnt(0) lgkmcnt(0)
	v_mul_f32_e32 v68, s15, v68
	s_branch .LBB24_55
.LBB24_54:
	v_mov_b32_e32 v68, 0
.LBB24_55:
	v_dual_add_f32 v69, v33, v61 :: v_dual_add_f32 v70, v32, v60
	v_dual_add_f32 v71, v35, v63 :: v_dual_add_f32 v72, v34, v62
	v_add_co_u32 v66, vcc_lo, v147, v66
	s_delay_alu instid0(VALU_DEP_3) | instskip(SKIP_1) | instid1(VALU_DEP_4)
	v_min3_f32 v69, v70, v69, v146
	v_add_co_ci_u32_e32 v67, vcc_lo, v148, v67, vcc_lo
	v_min_f32_e32 v70, v72, v71
	s_delay_alu instid0(VALU_DEP_1)
	v_min3_f32 v68, v68, v70, v69
	global_store_b32 v[66:67], v68, off
.LBB24_56:
	s_or_b32 exec_lo, exec_lo, s1
	v_add_nc_u32_e32 v66, 8, v64
	s_delay_alu instid0(VALU_DEP_1) | instskip(SKIP_1) | instid1(VALU_DEP_2)
	v_cmp_gt_i32_e64 s1, s16, v66
	v_ashrrev_i32_e32 v67, 31, v66
	s_and_b32 s3, s1, s8
	s_delay_alu instid0(SALU_CYCLE_1)
	s_and_saveexec_b32 s2, s3
	s_cbranch_execz .LBB24_61
; %bb.57:
	v_cmp_ne_u32_e32 vcc_lo, 1, v105
	v_lshlrev_b64 v[68:69], 2, v[66:67]
	s_cbranch_vccnz .LBB24_59
; %bb.58:
	s_delay_alu instid0(VALU_DEP_1) | instskip(NEXT) | instid1(VALU_DEP_2)
	v_add_co_u32 v70, vcc_lo, v149, v68
	v_add_co_ci_u32_e32 v71, vcc_lo, v150, v69, vcc_lo
	flat_load_b32 v70, v[70:71]
	s_waitcnt vmcnt(0) lgkmcnt(0)
	v_mul_f32_e32 v70, s15, v70
	s_branch .LBB24_60
.LBB24_59:
	v_mov_b32_e32 v70, 0
.LBB24_60:
	v_dual_add_f32 v71, v29, v61 :: v_dual_add_f32 v72, v28, v60
	v_dual_add_f32 v73, v31, v63 :: v_dual_add_f32 v74, v30, v62
	s_delay_alu instid0(VALU_DEP_4) | instskip(NEXT) | instid1(VALU_DEP_3)
	v_add_co_u32 v68, vcc_lo, v147, v68
	v_min3_f32 v71, v72, v71, v145
	v_add_co_ci_u32_e32 v69, vcc_lo, v148, v69, vcc_lo
	s_delay_alu instid0(VALU_DEP_4) | instskip(NEXT) | instid1(VALU_DEP_1)
	v_min_f32_e32 v72, v74, v73
	v_min3_f32 v70, v70, v72, v71
	global_store_b32 v[68:69], v70, off
.LBB24_61:
	s_or_b32 exec_lo, exec_lo, s2
	v_add_nc_u32_e32 v68, 16, v64
	s_delay_alu instid0(VALU_DEP_1) | instskip(SKIP_1) | instid1(VALU_DEP_2)
	v_cmp_gt_i32_e64 s2, s16, v68
	v_ashrrev_i32_e32 v69, 31, v68
	s_and_b32 s4, s2, s8
	s_delay_alu instid0(SALU_CYCLE_1)
	s_and_saveexec_b32 s3, s4
	s_cbranch_execz .LBB24_66
; %bb.62:
	v_cmp_ne_u32_e32 vcc_lo, 1, v105
	v_lshlrev_b64 v[70:71], 2, v[68:69]
	s_cbranch_vccnz .LBB24_64
; %bb.63:
	s_delay_alu instid0(VALU_DEP_1) | instskip(NEXT) | instid1(VALU_DEP_2)
	v_add_co_u32 v72, vcc_lo, v149, v70
	v_add_co_ci_u32_e32 v73, vcc_lo, v150, v71, vcc_lo
	flat_load_b32 v72, v[72:73]
	s_waitcnt vmcnt(0) lgkmcnt(0)
	v_mul_f32_e32 v72, s15, v72
	s_branch .LBB24_65
.LBB24_64:
	v_mov_b32_e32 v72, 0
.LBB24_65:
	v_dual_add_f32 v73, v25, v61 :: v_dual_add_f32 v74, v24, v60
	v_dual_add_f32 v75, v27, v63 :: v_dual_add_f32 v76, v26, v62
	s_delay_alu instid0(VALU_DEP_4) | instskip(NEXT) | instid1(VALU_DEP_3)
	v_add_co_u32 v70, vcc_lo, v147, v70
	v_min3_f32 v73, v74, v73, v144
	v_add_co_ci_u32_e32 v71, vcc_lo, v148, v71, vcc_lo
	s_delay_alu instid0(VALU_DEP_4) | instskip(NEXT) | instid1(VALU_DEP_1)
	v_min_f32_e32 v74, v76, v75
	v_min3_f32 v72, v72, v74, v73
	global_store_b32 v[70:71], v72, off
.LBB24_66:
	s_or_b32 exec_lo, exec_lo, s3
	v_add_nc_u32_e32 v70, 24, v64
	s_delay_alu instid0(VALU_DEP_1) | instskip(SKIP_1) | instid1(VALU_DEP_2)
	v_cmp_gt_i32_e64 s3, s16, v70
	v_ashrrev_i32_e32 v71, 31, v70
	s_and_b32 s5, s3, s8
	s_delay_alu instid0(SALU_CYCLE_1)
	s_and_saveexec_b32 s4, s5
	s_cbranch_execz .LBB24_71
; %bb.67:
	v_cmp_ne_u32_e32 vcc_lo, 1, v105
	v_lshlrev_b64 v[72:73], 2, v[70:71]
	s_cbranch_vccnz .LBB24_69
; %bb.68:
	s_delay_alu instid0(VALU_DEP_1) | instskip(NEXT) | instid1(VALU_DEP_2)
	v_add_co_u32 v74, vcc_lo, v149, v72
	v_add_co_ci_u32_e32 v75, vcc_lo, v150, v73, vcc_lo
	flat_load_b32 v74, v[74:75]
	s_waitcnt vmcnt(0) lgkmcnt(0)
	v_mul_f32_e32 v74, s15, v74
	s_branch .LBB24_70
.LBB24_69:
	v_mov_b32_e32 v74, 0
.LBB24_70:
	v_dual_add_f32 v75, v21, v61 :: v_dual_add_f32 v76, v20, v60
	v_dual_add_f32 v77, v23, v63 :: v_dual_add_f32 v78, v22, v62
	s_delay_alu instid0(VALU_DEP_4) | instskip(NEXT) | instid1(VALU_DEP_3)
	v_add_co_u32 v72, vcc_lo, v147, v72
	v_min3_f32 v75, v76, v75, v143
	v_add_co_ci_u32_e32 v73, vcc_lo, v148, v73, vcc_lo
	s_delay_alu instid0(VALU_DEP_4) | instskip(NEXT) | instid1(VALU_DEP_1)
	v_min_f32_e32 v76, v78, v77
	v_min3_f32 v74, v74, v76, v75
	global_store_b32 v[72:73], v74, off
.LBB24_71:
	s_or_b32 exec_lo, exec_lo, s4
	v_add_nc_u32_e32 v72, 32, v64
	s_delay_alu instid0(VALU_DEP_1) | instskip(SKIP_1) | instid1(VALU_DEP_2)
	v_cmp_gt_i32_e64 s4, s16, v72
	v_ashrrev_i32_e32 v73, 31, v72
	s_and_b32 s6, s4, s8
	s_delay_alu instid0(SALU_CYCLE_1)
	s_and_saveexec_b32 s5, s6
	s_cbranch_execz .LBB24_76
; %bb.72:
	v_cmp_ne_u32_e32 vcc_lo, 1, v105
	v_lshlrev_b64 v[74:75], 2, v[72:73]
	s_cbranch_vccnz .LBB24_74
; %bb.73:
	s_delay_alu instid0(VALU_DEP_1) | instskip(NEXT) | instid1(VALU_DEP_2)
	v_add_co_u32 v76, vcc_lo, v149, v74
	v_add_co_ci_u32_e32 v77, vcc_lo, v150, v75, vcc_lo
	flat_load_b32 v76, v[76:77]
	s_waitcnt vmcnt(0) lgkmcnt(0)
	v_mul_f32_e32 v76, s15, v76
	s_branch .LBB24_75
.LBB24_74:
	v_mov_b32_e32 v76, 0
.LBB24_75:
	v_dual_add_f32 v77, v17, v61 :: v_dual_add_f32 v78, v16, v60
	v_dual_add_f32 v79, v19, v63 :: v_dual_add_f32 v80, v18, v62
	s_delay_alu instid0(VALU_DEP_4) | instskip(NEXT) | instid1(VALU_DEP_3)
	v_add_co_u32 v74, vcc_lo, v147, v74
	v_min3_f32 v77, v78, v77, v142
	v_add_co_ci_u32_e32 v75, vcc_lo, v148, v75, vcc_lo
	s_delay_alu instid0(VALU_DEP_4) | instskip(NEXT) | instid1(VALU_DEP_1)
	v_min_f32_e32 v78, v80, v79
	v_min3_f32 v76, v76, v78, v77
	global_store_b32 v[74:75], v76, off
.LBB24_76:
	s_or_b32 exec_lo, exec_lo, s5
	v_add_nc_u32_e32 v74, 40, v64
	s_delay_alu instid0(VALU_DEP_1) | instskip(SKIP_1) | instid1(VALU_DEP_2)
	v_cmp_gt_i32_e64 s5, s16, v74
	v_ashrrev_i32_e32 v75, 31, v74
	s_and_b32 s7, s5, s8
	s_delay_alu instid0(SALU_CYCLE_1)
	s_and_saveexec_b32 s6, s7
	s_cbranch_execz .LBB24_81
; %bb.77:
	v_cmp_ne_u32_e32 vcc_lo, 1, v105
	v_lshlrev_b64 v[76:77], 2, v[74:75]
	s_cbranch_vccnz .LBB24_79
; %bb.78:
	s_delay_alu instid0(VALU_DEP_1) | instskip(NEXT) | instid1(VALU_DEP_2)
	v_add_co_u32 v78, vcc_lo, v149, v76
	v_add_co_ci_u32_e32 v79, vcc_lo, v150, v77, vcc_lo
	flat_load_b32 v78, v[78:79]
	s_waitcnt vmcnt(0) lgkmcnt(0)
	v_mul_f32_e32 v78, s15, v78
	s_branch .LBB24_80
.LBB24_79:
	v_mov_b32_e32 v78, 0
.LBB24_80:
	v_dual_add_f32 v79, v13, v61 :: v_dual_add_f32 v80, v12, v60
	v_dual_add_f32 v142, v15, v63 :: v_dual_add_f32 v143, v14, v62
	s_delay_alu instid0(VALU_DEP_4) | instskip(NEXT) | instid1(VALU_DEP_3)
	v_add_co_u32 v76, vcc_lo, v147, v76
	v_min3_f32 v79, v80, v79, v141
	v_add_co_ci_u32_e32 v77, vcc_lo, v148, v77, vcc_lo
	s_delay_alu instid0(VALU_DEP_4) | instskip(NEXT) | instid1(VALU_DEP_1)
	v_min_f32_e32 v80, v143, v142
	v_min3_f32 v78, v78, v80, v79
	global_store_b32 v[76:77], v78, off
.LBB24_81:
	s_or_b32 exec_lo, exec_lo, s6
	v_add_nc_u32_e32 v76, 48, v64
	s_delay_alu instid0(VALU_DEP_1) | instskip(SKIP_1) | instid1(VALU_DEP_2)
	v_cmp_gt_i32_e64 s6, s16, v76
	v_ashrrev_i32_e32 v77, 31, v76
	s_and_b32 s9, s6, s8
	s_delay_alu instid0(SALU_CYCLE_1)
	s_and_saveexec_b32 s7, s9
	s_cbranch_execz .LBB24_86
; %bb.82:
	v_cmp_ne_u32_e32 vcc_lo, 1, v105
	v_lshlrev_b64 v[78:79], 2, v[76:77]
	s_cbranch_vccnz .LBB24_84
; %bb.83:
	s_delay_alu instid0(VALU_DEP_1) | instskip(NEXT) | instid1(VALU_DEP_2)
	v_add_co_u32 v141, vcc_lo, v149, v78
	v_add_co_ci_u32_e32 v142, vcc_lo, v150, v79, vcc_lo
	flat_load_b32 v80, v[141:142]
	s_waitcnt vmcnt(0) lgkmcnt(0)
	v_mul_f32_e32 v80, s15, v80
	s_branch .LBB24_85
.LBB24_84:
	v_mov_b32_e32 v80, 0
.LBB24_85:
	v_dual_add_f32 v141, v9, v61 :: v_dual_add_f32 v142, v8, v60
	v_dual_add_f32 v143, v11, v63 :: v_dual_add_f32 v144, v10, v62
	s_delay_alu instid0(VALU_DEP_4) | instskip(NEXT) | instid1(VALU_DEP_3)
	v_add_co_u32 v78, vcc_lo, v147, v78
	v_min3_f32 v81, v142, v141, v81
	v_add_co_ci_u32_e32 v79, vcc_lo, v148, v79, vcc_lo
	s_delay_alu instid0(VALU_DEP_4) | instskip(NEXT) | instid1(VALU_DEP_1)
	v_min_f32_e32 v141, v144, v143
	v_min3_f32 v80, v80, v141, v81
	global_store_b32 v[78:79], v80, off
.LBB24_86:
	s_or_b32 exec_lo, exec_lo, s7
	v_add_nc_u32_e32 v78, 56, v64
	s_delay_alu instid0(VALU_DEP_1) | instskip(SKIP_1) | instid1(VALU_DEP_2)
	v_cmp_gt_i32_e64 s7, s16, v78
	v_ashrrev_i32_e32 v79, 31, v78
	s_and_b32 s9, s7, s8
	s_delay_alu instid0(SALU_CYCLE_1)
	s_and_saveexec_b32 s8, s9
	s_cbranch_execz .LBB24_91
; %bb.87:
	v_cmp_ne_u32_e32 vcc_lo, 1, v105
	v_lshlrev_b64 v[80:81], 2, v[78:79]
	s_cbranch_vccnz .LBB24_89
; %bb.88:
	s_delay_alu instid0(VALU_DEP_1) | instskip(NEXT) | instid1(VALU_DEP_2)
	v_add_co_u32 v141, vcc_lo, v149, v80
	v_add_co_ci_u32_e32 v142, vcc_lo, v150, v81, vcc_lo
	flat_load_b32 v141, v[141:142]
	s_waitcnt vmcnt(0) lgkmcnt(0)
	v_mul_f32_e32 v141, s15, v141
	s_branch .LBB24_90
.LBB24_89:
	v_mov_b32_e32 v141, 0
.LBB24_90:
	v_dual_add_f32 v61, v1, v61 :: v_dual_add_f32 v60, v0, v60
	v_dual_add_f32 v63, v3, v63 :: v_dual_add_f32 v62, v2, v62
	s_delay_alu instid0(VALU_DEP_2) | instskip(NEXT) | instid1(VALU_DEP_2)
	v_min3_f32 v60, v60, v61, v140
	v_min_f32_e32 v61, v62, v63
	s_delay_alu instid0(VALU_DEP_1)
	v_min3_f32 v62, v141, v61, v60
	v_add_co_u32 v60, vcc_lo, v147, v80
	v_add_co_ci_u32_e32 v61, vcc_lo, v148, v81, vcc_lo
	global_store_b32 v[60:61], v62, off
.LBB24_91:
	s_or_b32 exec_lo, exec_lo, s8
	v_add_nc_u32_e32 v80, 32, v113
	s_delay_alu instid0(VALU_DEP_1) | instskip(SKIP_2) | instid1(VALU_DEP_3)
	v_mad_i64_i32 v[60:61], null, v80, s19, 0
	v_mad_i64_i32 v[62:63], null, v80, s18, 0
	v_cmp_gt_i32_e64 s8, s17, v80
	v_lshlrev_b64 v[60:61], 2, v[60:61]
	s_delay_alu instid0(VALU_DEP_2) | instskip(NEXT) | instid1(VALU_DEP_3)
	s_and_b32 s14, s0, s8
	v_lshlrev_b64 v[62:63], 2, v[62:63]
	s_delay_alu instid0(VALU_DEP_2) | instskip(NEXT) | instid1(VALU_DEP_3)
	v_add_co_u32 v80, vcc_lo, s10, v60
	v_add_co_ci_u32_e32 v81, vcc_lo, s11, v61, vcc_lo
	s_delay_alu instid0(VALU_DEP_3) | instskip(NEXT) | instid1(VALU_DEP_4)
	v_add_co_u32 v62, vcc_lo, s12, v62
	v_add_co_ci_u32_e32 v63, vcc_lo, s13, v63, vcc_lo
	s_and_saveexec_b32 s9, s14
	s_cbranch_execnz .LBB24_99
; %bb.92:
	s_or_b32 exec_lo, exec_lo, s9
	s_and_b32 s14, s1, s8
	s_delay_alu instid0(SALU_CYCLE_1)
	s_and_saveexec_b32 s9, s14
	s_cbranch_execnz .LBB24_103
.LBB24_93:
	s_or_b32 exec_lo, exec_lo, s9
	s_and_b32 s14, s2, s8
	s_delay_alu instid0(SALU_CYCLE_1)
	s_and_saveexec_b32 s9, s14
	s_cbranch_execnz .LBB24_107
.LBB24_94:
	s_or_b32 exec_lo, exec_lo, s9
	s_and_b32 s14, s3, s8
	s_delay_alu instid0(SALU_CYCLE_1)
	s_and_saveexec_b32 s9, s14
	s_cbranch_execnz .LBB24_111
.LBB24_95:
	s_or_b32 exec_lo, exec_lo, s9
	s_and_b32 s14, s4, s8
	s_delay_alu instid0(SALU_CYCLE_1)
	s_and_saveexec_b32 s9, s14
	s_cbranch_execnz .LBB24_115
.LBB24_96:
	s_or_b32 exec_lo, exec_lo, s9
	s_and_b32 s14, s5, s8
	s_delay_alu instid0(SALU_CYCLE_1)
	s_and_saveexec_b32 s9, s14
	s_cbranch_execnz .LBB24_119
.LBB24_97:
	s_or_b32 exec_lo, exec_lo, s9
	s_and_b32 s14, s6, s8
	s_delay_alu instid0(SALU_CYCLE_1)
	s_and_saveexec_b32 s9, s14
	s_cbranch_execnz .LBB24_123
.LBB24_98:
	s_or_b32 exec_lo, exec_lo, s9
	s_and_b32 s9, s7, s8
	s_delay_alu instid0(SALU_CYCLE_1)
	s_and_saveexec_b32 s8, s9
	s_cbranch_execnz .LBB24_127
	s_branch .LBB24_131
.LBB24_99:
	v_cmp_ne_u32_e32 vcc_lo, 1, v105
	v_lshlrev_b64 v[60:61], 2, v[64:65]
	s_cbranch_vccnz .LBB24_101
; %bb.100:
	s_delay_alu instid0(VALU_DEP_1) | instskip(NEXT) | instid1(VALU_DEP_2)
	v_add_co_u32 v140, vcc_lo, v80, v60
	v_add_co_ci_u32_e32 v141, vcc_lo, v81, v61, vcc_lo
	flat_load_b32 v140, v[140:141]
	s_waitcnt vmcnt(0) lgkmcnt(0)
	v_mul_f32_e32 v140, s15, v140
	s_branch .LBB24_102
.LBB24_101:
	v_mov_b32_e32 v140, 0
.LBB24_102:
	v_dual_add_f32 v141, v33, v57 :: v_dual_add_f32 v142, v32, v56
	v_dual_add_f32 v143, v35, v59 :: v_dual_add_f32 v144, v34, v58
	s_delay_alu instid0(VALU_DEP_4) | instskip(NEXT) | instid1(VALU_DEP_3)
	v_add_co_u32 v60, vcc_lo, v62, v60
	v_min3_f32 v139, v142, v141, v139
	v_add_co_ci_u32_e32 v61, vcc_lo, v63, v61, vcc_lo
	s_delay_alu instid0(VALU_DEP_4) | instskip(NEXT) | instid1(VALU_DEP_1)
	v_min_f32_e32 v141, v144, v143
	v_min3_f32 v139, v140, v141, v139
	global_store_b32 v[60:61], v139, off
	s_or_b32 exec_lo, exec_lo, s9
	s_and_b32 s14, s1, s8
	s_delay_alu instid0(SALU_CYCLE_1)
	s_and_saveexec_b32 s9, s14
	s_cbranch_execz .LBB24_93
.LBB24_103:
	v_cmp_ne_u32_e32 vcc_lo, 1, v105
	v_lshlrev_b64 v[60:61], 2, v[66:67]
	s_cbranch_vccnz .LBB24_105
; %bb.104:
	s_delay_alu instid0(VALU_DEP_1) | instskip(NEXT) | instid1(VALU_DEP_2)
	v_add_co_u32 v139, vcc_lo, v80, v60
	v_add_co_ci_u32_e32 v140, vcc_lo, v81, v61, vcc_lo
	flat_load_b32 v139, v[139:140]
	s_waitcnt vmcnt(0) lgkmcnt(0)
	v_mul_f32_e32 v139, s15, v139
	s_branch .LBB24_106
.LBB24_105:
	v_mov_b32_e32 v139, 0
.LBB24_106:
	v_dual_add_f32 v140, v29, v57 :: v_dual_add_f32 v141, v28, v56
	v_dual_add_f32 v142, v31, v59 :: v_dual_add_f32 v143, v30, v58
	s_delay_alu instid0(VALU_DEP_4) | instskip(NEXT) | instid1(VALU_DEP_3)
	v_add_co_u32 v60, vcc_lo, v62, v60
	v_min3_f32 v138, v141, v140, v138
	v_add_co_ci_u32_e32 v61, vcc_lo, v63, v61, vcc_lo
	s_delay_alu instid0(VALU_DEP_4) | instskip(NEXT) | instid1(VALU_DEP_1)
	v_min_f32_e32 v140, v143, v142
	v_min3_f32 v138, v139, v140, v138
	global_store_b32 v[60:61], v138, off
	s_or_b32 exec_lo, exec_lo, s9
	s_and_b32 s14, s2, s8
	s_delay_alu instid0(SALU_CYCLE_1)
	s_and_saveexec_b32 s9, s14
	s_cbranch_execz .LBB24_94
.LBB24_107:
	v_cmp_ne_u32_e32 vcc_lo, 1, v105
	v_lshlrev_b64 v[60:61], 2, v[68:69]
	s_cbranch_vccnz .LBB24_109
; %bb.108:
	s_delay_alu instid0(VALU_DEP_1) | instskip(NEXT) | instid1(VALU_DEP_2)
	v_add_co_u32 v138, vcc_lo, v80, v60
	v_add_co_ci_u32_e32 v139, vcc_lo, v81, v61, vcc_lo
	flat_load_b32 v138, v[138:139]
	s_waitcnt vmcnt(0) lgkmcnt(0)
	v_mul_f32_e32 v138, s15, v138
	s_branch .LBB24_110
.LBB24_109:
	v_mov_b32_e32 v138, 0
.LBB24_110:
	v_dual_add_f32 v139, v25, v57 :: v_dual_add_f32 v140, v24, v56
	v_dual_add_f32 v141, v27, v59 :: v_dual_add_f32 v142, v26, v58
	s_delay_alu instid0(VALU_DEP_4) | instskip(NEXT) | instid1(VALU_DEP_3)
	v_add_co_u32 v60, vcc_lo, v62, v60
	v_min3_f32 v137, v140, v139, v137
	v_add_co_ci_u32_e32 v61, vcc_lo, v63, v61, vcc_lo
	s_delay_alu instid0(VALU_DEP_4) | instskip(NEXT) | instid1(VALU_DEP_1)
	v_min_f32_e32 v139, v142, v141
	v_min3_f32 v137, v138, v139, v137
	global_store_b32 v[60:61], v137, off
	s_or_b32 exec_lo, exec_lo, s9
	s_and_b32 s14, s3, s8
	s_delay_alu instid0(SALU_CYCLE_1)
	s_and_saveexec_b32 s9, s14
	s_cbranch_execz .LBB24_95
.LBB24_111:
	v_cmp_ne_u32_e32 vcc_lo, 1, v105
	v_lshlrev_b64 v[60:61], 2, v[70:71]
	s_cbranch_vccnz .LBB24_113
; %bb.112:
	s_delay_alu instid0(VALU_DEP_1) | instskip(NEXT) | instid1(VALU_DEP_2)
	v_add_co_u32 v137, vcc_lo, v80, v60
	v_add_co_ci_u32_e32 v138, vcc_lo, v81, v61, vcc_lo
	flat_load_b32 v137, v[137:138]
	s_waitcnt vmcnt(0) lgkmcnt(0)
	v_mul_f32_e32 v137, s15, v137
	s_branch .LBB24_114
.LBB24_113:
	v_mov_b32_e32 v137, 0
.LBB24_114:
	v_dual_add_f32 v138, v21, v57 :: v_dual_add_f32 v139, v20, v56
	v_dual_add_f32 v140, v23, v59 :: v_dual_add_f32 v141, v22, v58
	s_delay_alu instid0(VALU_DEP_4) | instskip(NEXT) | instid1(VALU_DEP_3)
	v_add_co_u32 v60, vcc_lo, v62, v60
	v_min3_f32 v136, v139, v138, v136
	v_add_co_ci_u32_e32 v61, vcc_lo, v63, v61, vcc_lo
	s_delay_alu instid0(VALU_DEP_4) | instskip(NEXT) | instid1(VALU_DEP_1)
	v_min_f32_e32 v138, v141, v140
	v_min3_f32 v136, v137, v138, v136
	global_store_b32 v[60:61], v136, off
	s_or_b32 exec_lo, exec_lo, s9
	s_and_b32 s14, s4, s8
	s_delay_alu instid0(SALU_CYCLE_1)
	s_and_saveexec_b32 s9, s14
	s_cbranch_execz .LBB24_96
.LBB24_115:
	v_cmp_ne_u32_e32 vcc_lo, 1, v105
	v_lshlrev_b64 v[60:61], 2, v[72:73]
	s_cbranch_vccnz .LBB24_117
; %bb.116:
	s_delay_alu instid0(VALU_DEP_1) | instskip(NEXT) | instid1(VALU_DEP_2)
	v_add_co_u32 v136, vcc_lo, v80, v60
	v_add_co_ci_u32_e32 v137, vcc_lo, v81, v61, vcc_lo
	flat_load_b32 v136, v[136:137]
	s_waitcnt vmcnt(0) lgkmcnt(0)
	v_mul_f32_e32 v136, s15, v136
	s_branch .LBB24_118
.LBB24_117:
	v_mov_b32_e32 v136, 0
.LBB24_118:
	v_dual_add_f32 v137, v17, v57 :: v_dual_add_f32 v138, v16, v56
	v_dual_add_f32 v139, v19, v59 :: v_dual_add_f32 v140, v18, v58
	s_delay_alu instid0(VALU_DEP_4) | instskip(NEXT) | instid1(VALU_DEP_3)
	v_add_co_u32 v60, vcc_lo, v62, v60
	v_min3_f32 v135, v138, v137, v135
	v_add_co_ci_u32_e32 v61, vcc_lo, v63, v61, vcc_lo
	s_delay_alu instid0(VALU_DEP_4) | instskip(NEXT) | instid1(VALU_DEP_1)
	v_min_f32_e32 v137, v140, v139
	v_min3_f32 v135, v136, v137, v135
	global_store_b32 v[60:61], v135, off
	s_or_b32 exec_lo, exec_lo, s9
	s_and_b32 s14, s5, s8
	s_delay_alu instid0(SALU_CYCLE_1)
	s_and_saveexec_b32 s9, s14
	s_cbranch_execz .LBB24_97
.LBB24_119:
	v_cmp_ne_u32_e32 vcc_lo, 1, v105
	v_lshlrev_b64 v[60:61], 2, v[74:75]
	s_cbranch_vccnz .LBB24_121
; %bb.120:
	s_delay_alu instid0(VALU_DEP_1) | instskip(NEXT) | instid1(VALU_DEP_2)
	v_add_co_u32 v135, vcc_lo, v80, v60
	v_add_co_ci_u32_e32 v136, vcc_lo, v81, v61, vcc_lo
	flat_load_b32 v135, v[135:136]
	s_waitcnt vmcnt(0) lgkmcnt(0)
	v_mul_f32_e32 v135, s15, v135
	s_branch .LBB24_122
.LBB24_121:
	v_mov_b32_e32 v135, 0
.LBB24_122:
	v_dual_add_f32 v136, v13, v57 :: v_dual_add_f32 v137, v12, v56
	v_dual_add_f32 v138, v15, v59 :: v_dual_add_f32 v139, v14, v58
	s_delay_alu instid0(VALU_DEP_4) | instskip(NEXT) | instid1(VALU_DEP_3)
	v_add_co_u32 v60, vcc_lo, v62, v60
	v_min3_f32 v134, v137, v136, v134
	v_add_co_ci_u32_e32 v61, vcc_lo, v63, v61, vcc_lo
	s_delay_alu instid0(VALU_DEP_4) | instskip(NEXT) | instid1(VALU_DEP_1)
	v_min_f32_e32 v136, v139, v138
	v_min3_f32 v134, v135, v136, v134
	global_store_b32 v[60:61], v134, off
	s_or_b32 exec_lo, exec_lo, s9
	s_and_b32 s14, s6, s8
	s_delay_alu instid0(SALU_CYCLE_1)
	s_and_saveexec_b32 s9, s14
	s_cbranch_execz .LBB24_98
.LBB24_123:
	v_cmp_ne_u32_e32 vcc_lo, 1, v105
	v_lshlrev_b64 v[60:61], 2, v[76:77]
	s_cbranch_vccnz .LBB24_125
; %bb.124:
	s_delay_alu instid0(VALU_DEP_1) | instskip(NEXT) | instid1(VALU_DEP_2)
	v_add_co_u32 v134, vcc_lo, v80, v60
	v_add_co_ci_u32_e32 v135, vcc_lo, v81, v61, vcc_lo
	flat_load_b32 v134, v[134:135]
	s_waitcnt vmcnt(0) lgkmcnt(0)
	v_mul_f32_e32 v134, s15, v134
	s_branch .LBB24_126
.LBB24_125:
	v_mov_b32_e32 v134, 0
.LBB24_126:
	v_dual_add_f32 v135, v9, v57 :: v_dual_add_f32 v136, v8, v56
	v_dual_add_f32 v137, v11, v59 :: v_dual_add_f32 v138, v10, v58
	s_delay_alu instid0(VALU_DEP_4) | instskip(NEXT) | instid1(VALU_DEP_3)
	v_add_co_u32 v60, vcc_lo, v62, v60
	v_min3_f32 v133, v136, v135, v133
	v_add_co_ci_u32_e32 v61, vcc_lo, v63, v61, vcc_lo
	s_delay_alu instid0(VALU_DEP_4) | instskip(NEXT) | instid1(VALU_DEP_1)
	v_min_f32_e32 v135, v138, v137
	v_min3_f32 v133, v134, v135, v133
	global_store_b32 v[60:61], v133, off
	s_or_b32 exec_lo, exec_lo, s9
	s_and_b32 s9, s7, s8
	s_delay_alu instid0(SALU_CYCLE_1)
	s_and_saveexec_b32 s8, s9
	s_cbranch_execz .LBB24_131
.LBB24_127:
	v_cmp_ne_u32_e32 vcc_lo, 1, v105
	v_lshlrev_b64 v[60:61], 2, v[78:79]
	s_cbranch_vccnz .LBB24_129
; %bb.128:
	s_delay_alu instid0(VALU_DEP_1) | instskip(NEXT) | instid1(VALU_DEP_2)
	v_add_co_u32 v80, vcc_lo, v80, v60
	v_add_co_ci_u32_e32 v81, vcc_lo, v81, v61, vcc_lo
	flat_load_b32 v80, v[80:81]
	s_waitcnt vmcnt(0) lgkmcnt(0)
	v_mul_f32_e32 v80, s15, v80
	s_branch .LBB24_130
.LBB24_129:
	v_mov_b32_e32 v80, 0
.LBB24_130:
	v_dual_add_f32 v57, v1, v57 :: v_dual_add_f32 v56, v0, v56
	v_dual_add_f32 v59, v3, v59 :: v_dual_add_f32 v58, v2, v58
	s_delay_alu instid0(VALU_DEP_2) | instskip(NEXT) | instid1(VALU_DEP_2)
	v_min3_f32 v56, v56, v57, v132
	v_min_f32_e32 v57, v58, v59
	s_delay_alu instid0(VALU_DEP_1)
	v_min3_f32 v58, v80, v57, v56
	v_add_co_u32 v56, vcc_lo, v62, v60
	v_add_co_ci_u32_e32 v57, vcc_lo, v63, v61, vcc_lo
	global_store_b32 v[56:57], v58, off
.LBB24_131:
	s_or_b32 exec_lo, exec_lo, s8
	v_add_nc_u32_e32 v60, 64, v113
	s_delay_alu instid0(VALU_DEP_1) | instskip(SKIP_2) | instid1(VALU_DEP_3)
	v_mad_i64_i32 v[56:57], null, v60, s19, 0
	v_mad_i64_i32 v[58:59], null, v60, s18, 0
	v_cmp_gt_i32_e64 s8, s17, v60
	v_lshlrev_b64 v[56:57], 2, v[56:57]
	s_delay_alu instid0(VALU_DEP_2) | instskip(NEXT) | instid1(VALU_DEP_3)
	s_and_b32 s14, s0, s8
	v_lshlrev_b64 v[58:59], 2, v[58:59]
	s_delay_alu instid0(VALU_DEP_2) | instskip(NEXT) | instid1(VALU_DEP_3)
	v_add_co_u32 v60, vcc_lo, s10, v56
	v_add_co_ci_u32_e32 v61, vcc_lo, s11, v57, vcc_lo
	s_delay_alu instid0(VALU_DEP_3) | instskip(NEXT) | instid1(VALU_DEP_4)
	v_add_co_u32 v58, vcc_lo, s12, v58
	v_add_co_ci_u32_e32 v59, vcc_lo, s13, v59, vcc_lo
	s_and_saveexec_b32 s9, s14
	s_cbranch_execnz .LBB24_139
; %bb.132:
	s_or_b32 exec_lo, exec_lo, s9
	s_and_b32 s14, s1, s8
	s_delay_alu instid0(SALU_CYCLE_1)
	s_and_saveexec_b32 s9, s14
	s_cbranch_execnz .LBB24_143
.LBB24_133:
	s_or_b32 exec_lo, exec_lo, s9
	s_and_b32 s14, s2, s8
	s_delay_alu instid0(SALU_CYCLE_1)
	s_and_saveexec_b32 s9, s14
	s_cbranch_execnz .LBB24_147
.LBB24_134:
	s_or_b32 exec_lo, exec_lo, s9
	s_and_b32 s14, s3, s8
	s_delay_alu instid0(SALU_CYCLE_1)
	s_and_saveexec_b32 s9, s14
	s_cbranch_execnz .LBB24_151
.LBB24_135:
	s_or_b32 exec_lo, exec_lo, s9
	s_and_b32 s14, s4, s8
	s_delay_alu instid0(SALU_CYCLE_1)
	s_and_saveexec_b32 s9, s14
	s_cbranch_execnz .LBB24_155
.LBB24_136:
	s_or_b32 exec_lo, exec_lo, s9
	s_and_b32 s14, s5, s8
	s_delay_alu instid0(SALU_CYCLE_1)
	s_and_saveexec_b32 s9, s14
	s_cbranch_execnz .LBB24_159
.LBB24_137:
	s_or_b32 exec_lo, exec_lo, s9
	s_and_b32 s14, s6, s8
	s_delay_alu instid0(SALU_CYCLE_1)
	s_and_saveexec_b32 s9, s14
	s_cbranch_execnz .LBB24_163
.LBB24_138:
	s_or_b32 exec_lo, exec_lo, s9
	s_and_b32 s9, s7, s8
	s_delay_alu instid0(SALU_CYCLE_1)
	s_and_saveexec_b32 s8, s9
	s_cbranch_execnz .LBB24_167
	s_branch .LBB24_171
.LBB24_139:
	v_cmp_ne_u32_e32 vcc_lo, 1, v105
	v_lshlrev_b64 v[56:57], 2, v[64:65]
	s_cbranch_vccnz .LBB24_141
; %bb.140:
	s_delay_alu instid0(VALU_DEP_1) | instskip(NEXT) | instid1(VALU_DEP_2)
	v_add_co_u32 v62, vcc_lo, v60, v56
	v_add_co_ci_u32_e32 v63, vcc_lo, v61, v57, vcc_lo
	flat_load_b32 v62, v[62:63]
	s_waitcnt vmcnt(0) lgkmcnt(0)
	v_mul_f32_e32 v62, s15, v62
	s_branch .LBB24_142
.LBB24_141:
	v_mov_b32_e32 v62, 0
.LBB24_142:
	v_dual_add_f32 v63, v33, v53 :: v_dual_add_f32 v80, v32, v52
	v_dual_add_f32 v81, v35, v55 :: v_dual_add_f32 v132, v34, v54
	s_delay_alu instid0(VALU_DEP_4) | instskip(NEXT) | instid1(VALU_DEP_3)
	v_add_co_u32 v56, vcc_lo, v58, v56
	v_min3_f32 v63, v80, v63, v131
	v_add_co_ci_u32_e32 v57, vcc_lo, v59, v57, vcc_lo
	s_delay_alu instid0(VALU_DEP_4) | instskip(NEXT) | instid1(VALU_DEP_1)
	v_min_f32_e32 v80, v132, v81
	v_min3_f32 v62, v62, v80, v63
	global_store_b32 v[56:57], v62, off
	s_or_b32 exec_lo, exec_lo, s9
	s_and_b32 s14, s1, s8
	s_delay_alu instid0(SALU_CYCLE_1)
	s_and_saveexec_b32 s9, s14
	s_cbranch_execz .LBB24_133
.LBB24_143:
	v_cmp_ne_u32_e32 vcc_lo, 1, v105
	v_lshlrev_b64 v[56:57], 2, v[66:67]
	s_cbranch_vccnz .LBB24_145
; %bb.144:
	s_delay_alu instid0(VALU_DEP_1) | instskip(NEXT) | instid1(VALU_DEP_2)
	v_add_co_u32 v62, vcc_lo, v60, v56
	v_add_co_ci_u32_e32 v63, vcc_lo, v61, v57, vcc_lo
	flat_load_b32 v62, v[62:63]
	s_waitcnt vmcnt(0) lgkmcnt(0)
	v_mul_f32_e32 v62, s15, v62
	s_branch .LBB24_146
.LBB24_145:
	v_mov_b32_e32 v62, 0
.LBB24_146:
	v_dual_add_f32 v63, v29, v53 :: v_dual_add_f32 v80, v28, v52
	v_add_f32_e32 v81, v31, v55
	v_add_f32_e32 v131, v30, v54
	v_add_co_u32 v56, vcc_lo, v58, v56
	s_delay_alu instid0(VALU_DEP_4) | instskip(SKIP_1) | instid1(VALU_DEP_4)
	v_min3_f32 v63, v80, v63, v130
	v_add_co_ci_u32_e32 v57, vcc_lo, v59, v57, vcc_lo
	v_min_f32_e32 v80, v131, v81
	s_delay_alu instid0(VALU_DEP_1) | instskip(SKIP_3) | instid1(SALU_CYCLE_1)
	v_min3_f32 v62, v62, v80, v63
	global_store_b32 v[56:57], v62, off
	s_or_b32 exec_lo, exec_lo, s9
	s_and_b32 s14, s2, s8
	s_and_saveexec_b32 s9, s14
	s_cbranch_execz .LBB24_134
.LBB24_147:
	v_cmp_ne_u32_e32 vcc_lo, 1, v105
	v_lshlrev_b64 v[56:57], 2, v[68:69]
	s_cbranch_vccnz .LBB24_149
; %bb.148:
	s_delay_alu instid0(VALU_DEP_1) | instskip(NEXT) | instid1(VALU_DEP_2)
	v_add_co_u32 v62, vcc_lo, v60, v56
	v_add_co_ci_u32_e32 v63, vcc_lo, v61, v57, vcc_lo
	flat_load_b32 v62, v[62:63]
	s_waitcnt vmcnt(0) lgkmcnt(0)
	v_mul_f32_e32 v62, s15, v62
	s_branch .LBB24_150
.LBB24_149:
	v_mov_b32_e32 v62, 0
.LBB24_150:
	v_dual_add_f32 v63, v25, v53 :: v_dual_add_f32 v80, v24, v52
	v_dual_add_f32 v81, v27, v55 :: v_dual_add_f32 v130, v26, v54
	s_delay_alu instid0(VALU_DEP_4) | instskip(NEXT) | instid1(VALU_DEP_3)
	v_add_co_u32 v56, vcc_lo, v58, v56
	v_min3_f32 v63, v80, v63, v129
	v_add_co_ci_u32_e32 v57, vcc_lo, v59, v57, vcc_lo
	s_delay_alu instid0(VALU_DEP_4) | instskip(NEXT) | instid1(VALU_DEP_1)
	v_min_f32_e32 v80, v130, v81
	v_min3_f32 v62, v62, v80, v63
	global_store_b32 v[56:57], v62, off
	s_or_b32 exec_lo, exec_lo, s9
	s_and_b32 s14, s3, s8
	s_delay_alu instid0(SALU_CYCLE_1)
	s_and_saveexec_b32 s9, s14
	s_cbranch_execz .LBB24_135
.LBB24_151:
	v_cmp_ne_u32_e32 vcc_lo, 1, v105
	v_lshlrev_b64 v[56:57], 2, v[70:71]
	s_cbranch_vccnz .LBB24_153
; %bb.152:
	s_delay_alu instid0(VALU_DEP_1) | instskip(NEXT) | instid1(VALU_DEP_2)
	v_add_co_u32 v62, vcc_lo, v60, v56
	v_add_co_ci_u32_e32 v63, vcc_lo, v61, v57, vcc_lo
	flat_load_b32 v62, v[62:63]
	s_waitcnt vmcnt(0) lgkmcnt(0)
	v_mul_f32_e32 v62, s15, v62
	s_branch .LBB24_154
.LBB24_153:
	v_mov_b32_e32 v62, 0
.LBB24_154:
	v_dual_add_f32 v63, v21, v53 :: v_dual_add_f32 v80, v20, v52
	v_add_f32_e32 v81, v23, v55
	v_add_f32_e32 v129, v22, v54
	v_add_co_u32 v56, vcc_lo, v58, v56
	s_delay_alu instid0(VALU_DEP_4) | instskip(SKIP_1) | instid1(VALU_DEP_4)
	v_min3_f32 v63, v80, v63, v128
	v_add_co_ci_u32_e32 v57, vcc_lo, v59, v57, vcc_lo
	v_min_f32_e32 v80, v129, v81
	s_delay_alu instid0(VALU_DEP_1) | instskip(SKIP_3) | instid1(SALU_CYCLE_1)
	v_min3_f32 v62, v62, v80, v63
	global_store_b32 v[56:57], v62, off
	s_or_b32 exec_lo, exec_lo, s9
	s_and_b32 s14, s4, s8
	s_and_saveexec_b32 s9, s14
	s_cbranch_execz .LBB24_136
.LBB24_155:
	v_cmp_ne_u32_e32 vcc_lo, 1, v105
	v_lshlrev_b64 v[56:57], 2, v[72:73]
	s_cbranch_vccnz .LBB24_157
; %bb.156:
	s_delay_alu instid0(VALU_DEP_1) | instskip(NEXT) | instid1(VALU_DEP_2)
	v_add_co_u32 v62, vcc_lo, v60, v56
	v_add_co_ci_u32_e32 v63, vcc_lo, v61, v57, vcc_lo
	flat_load_b32 v62, v[62:63]
	s_waitcnt vmcnt(0) lgkmcnt(0)
	v_mul_f32_e32 v62, s15, v62
	s_branch .LBB24_158
.LBB24_157:
	v_mov_b32_e32 v62, 0
.LBB24_158:
	v_dual_add_f32 v63, v17, v53 :: v_dual_add_f32 v80, v16, v52
	v_dual_add_f32 v81, v19, v55 :: v_dual_add_f32 v128, v18, v54
	s_delay_alu instid0(VALU_DEP_4) | instskip(NEXT) | instid1(VALU_DEP_3)
	v_add_co_u32 v56, vcc_lo, v58, v56
	v_min3_f32 v63, v80, v63, v127
	v_add_co_ci_u32_e32 v57, vcc_lo, v59, v57, vcc_lo
	s_delay_alu instid0(VALU_DEP_4) | instskip(NEXT) | instid1(VALU_DEP_1)
	v_min_f32_e32 v80, v128, v81
	v_min3_f32 v62, v62, v80, v63
	global_store_b32 v[56:57], v62, off
	s_or_b32 exec_lo, exec_lo, s9
	s_and_b32 s14, s5, s8
	s_delay_alu instid0(SALU_CYCLE_1)
	s_and_saveexec_b32 s9, s14
	s_cbranch_execz .LBB24_137
.LBB24_159:
	v_cmp_ne_u32_e32 vcc_lo, 1, v105
	v_lshlrev_b64 v[56:57], 2, v[74:75]
	s_cbranch_vccnz .LBB24_161
; %bb.160:
	s_delay_alu instid0(VALU_DEP_1) | instskip(NEXT) | instid1(VALU_DEP_2)
	v_add_co_u32 v62, vcc_lo, v60, v56
	v_add_co_ci_u32_e32 v63, vcc_lo, v61, v57, vcc_lo
	flat_load_b32 v62, v[62:63]
	s_waitcnt vmcnt(0) lgkmcnt(0)
	v_mul_f32_e32 v62, s15, v62
	s_branch .LBB24_162
.LBB24_161:
	v_mov_b32_e32 v62, 0
.LBB24_162:
	v_dual_add_f32 v63, v13, v53 :: v_dual_add_f32 v80, v12, v52
	v_add_f32_e32 v81, v15, v55
	v_add_f32_e32 v127, v14, v54
	v_add_co_u32 v56, vcc_lo, v58, v56
	s_delay_alu instid0(VALU_DEP_4) | instskip(SKIP_1) | instid1(VALU_DEP_4)
	v_min3_f32 v63, v80, v63, v126
	v_add_co_ci_u32_e32 v57, vcc_lo, v59, v57, vcc_lo
	v_min_f32_e32 v80, v127, v81
	s_delay_alu instid0(VALU_DEP_1) | instskip(SKIP_3) | instid1(SALU_CYCLE_1)
	v_min3_f32 v62, v62, v80, v63
	global_store_b32 v[56:57], v62, off
	s_or_b32 exec_lo, exec_lo, s9
	s_and_b32 s14, s6, s8
	s_and_saveexec_b32 s9, s14
	s_cbranch_execz .LBB24_138
.LBB24_163:
	v_cmp_ne_u32_e32 vcc_lo, 1, v105
	v_lshlrev_b64 v[56:57], 2, v[76:77]
	s_cbranch_vccnz .LBB24_165
; %bb.164:
	s_delay_alu instid0(VALU_DEP_1) | instskip(NEXT) | instid1(VALU_DEP_2)
	v_add_co_u32 v62, vcc_lo, v60, v56
	v_add_co_ci_u32_e32 v63, vcc_lo, v61, v57, vcc_lo
	flat_load_b32 v62, v[62:63]
	s_waitcnt vmcnt(0) lgkmcnt(0)
	v_mul_f32_e32 v62, s15, v62
	s_branch .LBB24_166
.LBB24_165:
	v_mov_b32_e32 v62, 0
.LBB24_166:
	v_dual_add_f32 v63, v9, v53 :: v_dual_add_f32 v80, v8, v52
	v_dual_add_f32 v81, v11, v55 :: v_dual_add_f32 v126, v10, v54
	s_delay_alu instid0(VALU_DEP_4) | instskip(NEXT) | instid1(VALU_DEP_3)
	v_add_co_u32 v56, vcc_lo, v58, v56
	v_min3_f32 v63, v80, v63, v125
	v_add_co_ci_u32_e32 v57, vcc_lo, v59, v57, vcc_lo
	s_delay_alu instid0(VALU_DEP_4) | instskip(NEXT) | instid1(VALU_DEP_1)
	v_min_f32_e32 v80, v126, v81
	v_min3_f32 v62, v62, v80, v63
	global_store_b32 v[56:57], v62, off
	s_or_b32 exec_lo, exec_lo, s9
	s_and_b32 s9, s7, s8
	s_delay_alu instid0(SALU_CYCLE_1)
	s_and_saveexec_b32 s8, s9
	s_cbranch_execz .LBB24_171
.LBB24_167:
	v_cmp_ne_u32_e32 vcc_lo, 1, v105
	v_lshlrev_b64 v[56:57], 2, v[78:79]
	s_cbranch_vccnz .LBB24_169
; %bb.168:
	s_delay_alu instid0(VALU_DEP_1) | instskip(NEXT) | instid1(VALU_DEP_2)
	v_add_co_u32 v60, vcc_lo, v60, v56
	v_add_co_ci_u32_e32 v61, vcc_lo, v61, v57, vcc_lo
	flat_load_b32 v60, v[60:61]
	s_waitcnt vmcnt(0) lgkmcnt(0)
	v_mul_f32_e32 v60, s15, v60
	s_branch .LBB24_170
.LBB24_169:
	v_mov_b32_e32 v60, 0
.LBB24_170:
	v_dual_add_f32 v53, v1, v53 :: v_dual_add_f32 v52, v0, v52
	v_dual_add_f32 v55, v3, v55 :: v_dual_add_f32 v54, v2, v54
	s_delay_alu instid0(VALU_DEP_2) | instskip(NEXT) | instid1(VALU_DEP_2)
	v_min3_f32 v52, v52, v53, v124
	v_min_f32_e32 v53, v54, v55
	s_delay_alu instid0(VALU_DEP_1)
	v_min3_f32 v54, v60, v53, v52
	v_add_co_u32 v52, vcc_lo, v58, v56
	v_add_co_ci_u32_e32 v53, vcc_lo, v59, v57, vcc_lo
	global_store_b32 v[52:53], v54, off
.LBB24_171:
	s_or_b32 exec_lo, exec_lo, s8
	v_add_nc_u32_e32 v56, 0x60, v113
	s_delay_alu instid0(VALU_DEP_1) | instskip(SKIP_2) | instid1(VALU_DEP_3)
	v_mad_i64_i32 v[52:53], null, v56, s19, 0
	v_mad_i64_i32 v[54:55], null, v56, s18, 0
	v_cmp_gt_i32_e64 s8, s17, v56
	v_lshlrev_b64 v[52:53], 2, v[52:53]
	s_delay_alu instid0(VALU_DEP_2) | instskip(NEXT) | instid1(VALU_DEP_3)
	s_and_b32 s14, s0, s8
	v_lshlrev_b64 v[54:55], 2, v[54:55]
	s_delay_alu instid0(VALU_DEP_2) | instskip(NEXT) | instid1(VALU_DEP_3)
	v_add_co_u32 v56, vcc_lo, s10, v52
	v_add_co_ci_u32_e32 v57, vcc_lo, s11, v53, vcc_lo
	s_delay_alu instid0(VALU_DEP_3) | instskip(NEXT) | instid1(VALU_DEP_4)
	v_add_co_u32 v54, vcc_lo, s12, v54
	v_add_co_ci_u32_e32 v55, vcc_lo, s13, v55, vcc_lo
	s_and_saveexec_b32 s9, s14
	s_cbranch_execnz .LBB24_179
; %bb.172:
	s_or_b32 exec_lo, exec_lo, s9
	s_and_b32 s14, s1, s8
	s_delay_alu instid0(SALU_CYCLE_1)
	s_and_saveexec_b32 s9, s14
	s_cbranch_execnz .LBB24_183
.LBB24_173:
	s_or_b32 exec_lo, exec_lo, s9
	s_and_b32 s14, s2, s8
	s_delay_alu instid0(SALU_CYCLE_1)
	s_and_saveexec_b32 s9, s14
	s_cbranch_execnz .LBB24_187
.LBB24_174:
	s_or_b32 exec_lo, exec_lo, s9
	s_and_b32 s14, s3, s8
	s_delay_alu instid0(SALU_CYCLE_1)
	s_and_saveexec_b32 s9, s14
	s_cbranch_execnz .LBB24_191
.LBB24_175:
	s_or_b32 exec_lo, exec_lo, s9
	s_and_b32 s14, s4, s8
	s_delay_alu instid0(SALU_CYCLE_1)
	s_and_saveexec_b32 s9, s14
	s_cbranch_execnz .LBB24_195
.LBB24_176:
	s_or_b32 exec_lo, exec_lo, s9
	s_and_b32 s14, s5, s8
	s_delay_alu instid0(SALU_CYCLE_1)
	s_and_saveexec_b32 s9, s14
	s_cbranch_execnz .LBB24_199
.LBB24_177:
	s_or_b32 exec_lo, exec_lo, s9
	s_and_b32 s14, s6, s8
	s_delay_alu instid0(SALU_CYCLE_1)
	s_and_saveexec_b32 s9, s14
	s_cbranch_execnz .LBB24_203
.LBB24_178:
	s_or_b32 exec_lo, exec_lo, s9
	s_and_b32 s9, s7, s8
	s_delay_alu instid0(SALU_CYCLE_1)
	s_and_saveexec_b32 s8, s9
	s_cbranch_execnz .LBB24_207
	s_branch .LBB24_211
.LBB24_179:
	v_cmp_ne_u32_e32 vcc_lo, 1, v105
	v_lshlrev_b64 v[52:53], 2, v[64:65]
	s_cbranch_vccnz .LBB24_181
; %bb.180:
	s_delay_alu instid0(VALU_DEP_1) | instskip(NEXT) | instid1(VALU_DEP_2)
	v_add_co_u32 v58, vcc_lo, v56, v52
	v_add_co_ci_u32_e32 v59, vcc_lo, v57, v53, vcc_lo
	flat_load_b32 v58, v[58:59]
	s_waitcnt vmcnt(0) lgkmcnt(0)
	v_mul_f32_e32 v58, s15, v58
	s_branch .LBB24_182
.LBB24_181:
	v_mov_b32_e32 v58, 0
.LBB24_182:
	v_dual_add_f32 v59, v33, v49 :: v_dual_add_f32 v60, v32, v48
	v_dual_add_f32 v61, v35, v51 :: v_dual_add_f32 v62, v34, v50
	s_delay_alu instid0(VALU_DEP_4) | instskip(NEXT) | instid1(VALU_DEP_3)
	v_add_co_u32 v52, vcc_lo, v54, v52
	v_min3_f32 v59, v60, v59, v123
	v_add_co_ci_u32_e32 v53, vcc_lo, v55, v53, vcc_lo
	s_delay_alu instid0(VALU_DEP_4) | instskip(NEXT) | instid1(VALU_DEP_1)
	v_min_f32_e32 v60, v62, v61
	v_min3_f32 v58, v58, v60, v59
	global_store_b32 v[52:53], v58, off
	s_or_b32 exec_lo, exec_lo, s9
	s_and_b32 s14, s1, s8
	s_delay_alu instid0(SALU_CYCLE_1)
	s_and_saveexec_b32 s9, s14
	s_cbranch_execz .LBB24_173
.LBB24_183:
	v_cmp_ne_u32_e32 vcc_lo, 1, v105
	v_lshlrev_b64 v[52:53], 2, v[66:67]
	s_cbranch_vccnz .LBB24_185
; %bb.184:
	s_delay_alu instid0(VALU_DEP_1) | instskip(NEXT) | instid1(VALU_DEP_2)
	v_add_co_u32 v58, vcc_lo, v56, v52
	v_add_co_ci_u32_e32 v59, vcc_lo, v57, v53, vcc_lo
	flat_load_b32 v58, v[58:59]
	s_waitcnt vmcnt(0) lgkmcnt(0)
	v_mul_f32_e32 v58, s15, v58
	s_branch .LBB24_186
.LBB24_185:
	v_mov_b32_e32 v58, 0
.LBB24_186:
	v_dual_add_f32 v59, v29, v49 :: v_dual_add_f32 v60, v28, v48
	v_dual_add_f32 v61, v31, v51 :: v_dual_add_f32 v62, v30, v50
	s_delay_alu instid0(VALU_DEP_4) | instskip(NEXT) | instid1(VALU_DEP_3)
	v_add_co_u32 v52, vcc_lo, v54, v52
	v_min3_f32 v59, v60, v59, v122
	v_add_co_ci_u32_e32 v53, vcc_lo, v55, v53, vcc_lo
	s_delay_alu instid0(VALU_DEP_4) | instskip(NEXT) | instid1(VALU_DEP_1)
	v_min_f32_e32 v60, v62, v61
	v_min3_f32 v58, v58, v60, v59
	global_store_b32 v[52:53], v58, off
	s_or_b32 exec_lo, exec_lo, s9
	s_and_b32 s14, s2, s8
	s_delay_alu instid0(SALU_CYCLE_1)
	s_and_saveexec_b32 s9, s14
	s_cbranch_execz .LBB24_174
.LBB24_187:
	v_cmp_ne_u32_e32 vcc_lo, 1, v105
	v_lshlrev_b64 v[52:53], 2, v[68:69]
	s_cbranch_vccnz .LBB24_189
; %bb.188:
	s_delay_alu instid0(VALU_DEP_1) | instskip(NEXT) | instid1(VALU_DEP_2)
	v_add_co_u32 v58, vcc_lo, v56, v52
	v_add_co_ci_u32_e32 v59, vcc_lo, v57, v53, vcc_lo
	flat_load_b32 v58, v[58:59]
	s_waitcnt vmcnt(0) lgkmcnt(0)
	v_mul_f32_e32 v58, s15, v58
	s_branch .LBB24_190
.LBB24_189:
	v_mov_b32_e32 v58, 0
.LBB24_190:
	v_dual_add_f32 v59, v25, v49 :: v_dual_add_f32 v60, v24, v48
	v_dual_add_f32 v61, v27, v51 :: v_dual_add_f32 v62, v26, v50
	s_delay_alu instid0(VALU_DEP_4) | instskip(NEXT) | instid1(VALU_DEP_3)
	v_add_co_u32 v52, vcc_lo, v54, v52
	v_min3_f32 v59, v60, v59, v121
	v_add_co_ci_u32_e32 v53, vcc_lo, v55, v53, vcc_lo
	s_delay_alu instid0(VALU_DEP_4) | instskip(NEXT) | instid1(VALU_DEP_1)
	v_min_f32_e32 v60, v62, v61
	v_min3_f32 v58, v58, v60, v59
	global_store_b32 v[52:53], v58, off
	s_or_b32 exec_lo, exec_lo, s9
	s_and_b32 s14, s3, s8
	s_delay_alu instid0(SALU_CYCLE_1)
	s_and_saveexec_b32 s9, s14
	s_cbranch_execz .LBB24_175
.LBB24_191:
	v_cmp_ne_u32_e32 vcc_lo, 1, v105
	v_lshlrev_b64 v[52:53], 2, v[70:71]
	s_cbranch_vccnz .LBB24_193
; %bb.192:
	s_delay_alu instid0(VALU_DEP_1) | instskip(NEXT) | instid1(VALU_DEP_2)
	v_add_co_u32 v58, vcc_lo, v56, v52
	v_add_co_ci_u32_e32 v59, vcc_lo, v57, v53, vcc_lo
	flat_load_b32 v58, v[58:59]
	s_waitcnt vmcnt(0) lgkmcnt(0)
	v_mul_f32_e32 v58, s15, v58
	s_branch .LBB24_194
.LBB24_193:
	v_mov_b32_e32 v58, 0
.LBB24_194:
	v_dual_add_f32 v59, v21, v49 :: v_dual_add_f32 v60, v20, v48
	v_dual_add_f32 v61, v23, v51 :: v_dual_add_f32 v62, v22, v50
	s_delay_alu instid0(VALU_DEP_4) | instskip(NEXT) | instid1(VALU_DEP_3)
	v_add_co_u32 v52, vcc_lo, v54, v52
	v_min3_f32 v59, v60, v59, v120
	v_add_co_ci_u32_e32 v53, vcc_lo, v55, v53, vcc_lo
	s_delay_alu instid0(VALU_DEP_4) | instskip(NEXT) | instid1(VALU_DEP_1)
	v_min_f32_e32 v60, v62, v61
	v_min3_f32 v58, v58, v60, v59
	global_store_b32 v[52:53], v58, off
	s_or_b32 exec_lo, exec_lo, s9
	s_and_b32 s14, s4, s8
	s_delay_alu instid0(SALU_CYCLE_1)
	s_and_saveexec_b32 s9, s14
	s_cbranch_execz .LBB24_176
.LBB24_195:
	v_cmp_ne_u32_e32 vcc_lo, 1, v105
	v_lshlrev_b64 v[52:53], 2, v[72:73]
	s_cbranch_vccnz .LBB24_197
; %bb.196:
	s_delay_alu instid0(VALU_DEP_1) | instskip(NEXT) | instid1(VALU_DEP_2)
	v_add_co_u32 v58, vcc_lo, v56, v52
	v_add_co_ci_u32_e32 v59, vcc_lo, v57, v53, vcc_lo
	flat_load_b32 v58, v[58:59]
	s_waitcnt vmcnt(0) lgkmcnt(0)
	v_mul_f32_e32 v58, s15, v58
	s_branch .LBB24_198
.LBB24_197:
	v_mov_b32_e32 v58, 0
.LBB24_198:
	v_dual_add_f32 v59, v17, v49 :: v_dual_add_f32 v60, v16, v48
	v_dual_add_f32 v61, v19, v51 :: v_dual_add_f32 v62, v18, v50
	s_delay_alu instid0(VALU_DEP_4) | instskip(NEXT) | instid1(VALU_DEP_3)
	v_add_co_u32 v52, vcc_lo, v54, v52
	v_min3_f32 v59, v60, v59, v119
	v_add_co_ci_u32_e32 v53, vcc_lo, v55, v53, vcc_lo
	s_delay_alu instid0(VALU_DEP_4) | instskip(NEXT) | instid1(VALU_DEP_1)
	v_min_f32_e32 v60, v62, v61
	v_min3_f32 v58, v58, v60, v59
	global_store_b32 v[52:53], v58, off
	s_or_b32 exec_lo, exec_lo, s9
	s_and_b32 s14, s5, s8
	s_delay_alu instid0(SALU_CYCLE_1)
	s_and_saveexec_b32 s9, s14
	s_cbranch_execz .LBB24_177
.LBB24_199:
	v_cmp_ne_u32_e32 vcc_lo, 1, v105
	v_lshlrev_b64 v[52:53], 2, v[74:75]
	s_cbranch_vccnz .LBB24_201
; %bb.200:
	s_delay_alu instid0(VALU_DEP_1) | instskip(NEXT) | instid1(VALU_DEP_2)
	v_add_co_u32 v58, vcc_lo, v56, v52
	v_add_co_ci_u32_e32 v59, vcc_lo, v57, v53, vcc_lo
	flat_load_b32 v58, v[58:59]
	s_waitcnt vmcnt(0) lgkmcnt(0)
	v_mul_f32_e32 v58, s15, v58
	s_branch .LBB24_202
.LBB24_201:
	v_mov_b32_e32 v58, 0
.LBB24_202:
	v_dual_add_f32 v59, v13, v49 :: v_dual_add_f32 v60, v12, v48
	v_dual_add_f32 v61, v15, v51 :: v_dual_add_f32 v62, v14, v50
	s_delay_alu instid0(VALU_DEP_4) | instskip(NEXT) | instid1(VALU_DEP_3)
	v_add_co_u32 v52, vcc_lo, v54, v52
	v_min3_f32 v59, v60, v59, v118
	v_add_co_ci_u32_e32 v53, vcc_lo, v55, v53, vcc_lo
	s_delay_alu instid0(VALU_DEP_4) | instskip(NEXT) | instid1(VALU_DEP_1)
	v_min_f32_e32 v60, v62, v61
	v_min3_f32 v58, v58, v60, v59
	global_store_b32 v[52:53], v58, off
	s_or_b32 exec_lo, exec_lo, s9
	s_and_b32 s14, s6, s8
	s_delay_alu instid0(SALU_CYCLE_1)
	s_and_saveexec_b32 s9, s14
	s_cbranch_execz .LBB24_178
.LBB24_203:
	v_cmp_ne_u32_e32 vcc_lo, 1, v105
	v_lshlrev_b64 v[52:53], 2, v[76:77]
	s_cbranch_vccnz .LBB24_205
; %bb.204:
	s_delay_alu instid0(VALU_DEP_1) | instskip(NEXT) | instid1(VALU_DEP_2)
	v_add_co_u32 v58, vcc_lo, v56, v52
	v_add_co_ci_u32_e32 v59, vcc_lo, v57, v53, vcc_lo
	flat_load_b32 v58, v[58:59]
	s_waitcnt vmcnt(0) lgkmcnt(0)
	v_mul_f32_e32 v58, s15, v58
	s_branch .LBB24_206
.LBB24_205:
	v_mov_b32_e32 v58, 0
.LBB24_206:
	v_dual_add_f32 v59, v9, v49 :: v_dual_add_f32 v60, v8, v48
	v_dual_add_f32 v61, v11, v51 :: v_dual_add_f32 v62, v10, v50
	s_delay_alu instid0(VALU_DEP_4) | instskip(NEXT) | instid1(VALU_DEP_3)
	v_add_co_u32 v52, vcc_lo, v54, v52
	v_min3_f32 v59, v60, v59, v117
	v_add_co_ci_u32_e32 v53, vcc_lo, v55, v53, vcc_lo
	s_delay_alu instid0(VALU_DEP_4) | instskip(NEXT) | instid1(VALU_DEP_1)
	v_min_f32_e32 v60, v62, v61
	v_min3_f32 v58, v58, v60, v59
	global_store_b32 v[52:53], v58, off
	s_or_b32 exec_lo, exec_lo, s9
	s_and_b32 s9, s7, s8
	s_delay_alu instid0(SALU_CYCLE_1)
	s_and_saveexec_b32 s8, s9
	s_cbranch_execz .LBB24_211
.LBB24_207:
	v_cmp_ne_u32_e32 vcc_lo, 1, v105
	v_lshlrev_b64 v[52:53], 2, v[78:79]
	s_cbranch_vccnz .LBB24_209
; %bb.208:
	s_delay_alu instid0(VALU_DEP_1) | instskip(NEXT) | instid1(VALU_DEP_2)
	v_add_co_u32 v56, vcc_lo, v56, v52
	v_add_co_ci_u32_e32 v57, vcc_lo, v57, v53, vcc_lo
	flat_load_b32 v56, v[56:57]
	s_waitcnt vmcnt(0) lgkmcnt(0)
	v_mul_f32_e32 v56, s15, v56
	s_branch .LBB24_210
.LBB24_209:
	v_mov_b32_e32 v56, 0
.LBB24_210:
	v_dual_add_f32 v49, v1, v49 :: v_dual_add_f32 v48, v0, v48
	v_dual_add_f32 v51, v3, v51 :: v_dual_add_f32 v50, v2, v50
	s_delay_alu instid0(VALU_DEP_2) | instskip(NEXT) | instid1(VALU_DEP_2)
	v_min3_f32 v48, v48, v49, v116
	v_min_f32_e32 v49, v50, v51
	s_delay_alu instid0(VALU_DEP_1)
	v_min3_f32 v50, v56, v49, v48
	v_add_co_u32 v48, vcc_lo, v54, v52
	v_add_co_ci_u32_e32 v49, vcc_lo, v55, v53, vcc_lo
	global_store_b32 v[48:49], v50, off
.LBB24_211:
	s_or_b32 exec_lo, exec_lo, s8
	v_add_nc_u32_e32 v52, 0x80, v113
	s_delay_alu instid0(VALU_DEP_1) | instskip(SKIP_2) | instid1(VALU_DEP_3)
	v_mad_i64_i32 v[48:49], null, v52, s19, 0
	v_mad_i64_i32 v[50:51], null, v52, s18, 0
	v_cmp_gt_i32_e64 s8, s17, v52
	v_lshlrev_b64 v[48:49], 2, v[48:49]
	s_delay_alu instid0(VALU_DEP_2) | instskip(NEXT) | instid1(VALU_DEP_3)
	s_and_b32 s14, s0, s8
	v_lshlrev_b64 v[50:51], 2, v[50:51]
	s_delay_alu instid0(VALU_DEP_2) | instskip(NEXT) | instid1(VALU_DEP_3)
	v_add_co_u32 v52, vcc_lo, s10, v48
	v_add_co_ci_u32_e32 v53, vcc_lo, s11, v49, vcc_lo
	s_delay_alu instid0(VALU_DEP_3) | instskip(NEXT) | instid1(VALU_DEP_4)
	v_add_co_u32 v50, vcc_lo, s12, v50
	v_add_co_ci_u32_e32 v51, vcc_lo, s13, v51, vcc_lo
	s_and_saveexec_b32 s9, s14
	s_cbranch_execnz .LBB24_219
; %bb.212:
	s_or_b32 exec_lo, exec_lo, s9
	s_and_b32 s14, s1, s8
	s_delay_alu instid0(SALU_CYCLE_1)
	s_and_saveexec_b32 s9, s14
	s_cbranch_execnz .LBB24_223
.LBB24_213:
	s_or_b32 exec_lo, exec_lo, s9
	s_and_b32 s14, s2, s8
	s_delay_alu instid0(SALU_CYCLE_1)
	s_and_saveexec_b32 s9, s14
	s_cbranch_execnz .LBB24_227
.LBB24_214:
	s_or_b32 exec_lo, exec_lo, s9
	s_and_b32 s14, s3, s8
	s_delay_alu instid0(SALU_CYCLE_1)
	s_and_saveexec_b32 s9, s14
	s_cbranch_execnz .LBB24_231
.LBB24_215:
	s_or_b32 exec_lo, exec_lo, s9
	s_and_b32 s14, s4, s8
	s_delay_alu instid0(SALU_CYCLE_1)
	s_and_saveexec_b32 s9, s14
	s_cbranch_execnz .LBB24_235
.LBB24_216:
	s_or_b32 exec_lo, exec_lo, s9
	s_and_b32 s14, s5, s8
	s_delay_alu instid0(SALU_CYCLE_1)
	s_and_saveexec_b32 s9, s14
	s_cbranch_execnz .LBB24_239
.LBB24_217:
	s_or_b32 exec_lo, exec_lo, s9
	s_and_b32 s14, s6, s8
	s_delay_alu instid0(SALU_CYCLE_1)
	s_and_saveexec_b32 s9, s14
	s_cbranch_execnz .LBB24_243
.LBB24_218:
	s_or_b32 exec_lo, exec_lo, s9
	s_and_b32 s9, s7, s8
	s_delay_alu instid0(SALU_CYCLE_1)
	s_and_saveexec_b32 s8, s9
	s_cbranch_execnz .LBB24_247
	s_branch .LBB24_251
.LBB24_219:
	v_cmp_ne_u32_e32 vcc_lo, 1, v105
	v_lshlrev_b64 v[48:49], 2, v[64:65]
	s_cbranch_vccnz .LBB24_221
; %bb.220:
	s_delay_alu instid0(VALU_DEP_1) | instskip(NEXT) | instid1(VALU_DEP_2)
	v_add_co_u32 v54, vcc_lo, v52, v48
	v_add_co_ci_u32_e32 v55, vcc_lo, v53, v49, vcc_lo
	flat_load_b32 v54, v[54:55]
	s_waitcnt vmcnt(0) lgkmcnt(0)
	v_mul_f32_e32 v54, s15, v54
	s_branch .LBB24_222
.LBB24_221:
	v_mov_b32_e32 v54, 0
.LBB24_222:
	v_dual_add_f32 v55, v33, v45 :: v_dual_add_f32 v56, v32, v44
	v_dual_add_f32 v57, v35, v47 :: v_dual_add_f32 v58, v34, v46
	s_delay_alu instid0(VALU_DEP_4) | instskip(NEXT) | instid1(VALU_DEP_3)
	v_add_co_u32 v48, vcc_lo, v50, v48
	v_min3_f32 v55, v56, v55, v115
	v_add_co_ci_u32_e32 v49, vcc_lo, v51, v49, vcc_lo
	s_delay_alu instid0(VALU_DEP_4) | instskip(NEXT) | instid1(VALU_DEP_1)
	v_min_f32_e32 v56, v58, v57
	v_min3_f32 v54, v54, v56, v55
	global_store_b32 v[48:49], v54, off
	s_or_b32 exec_lo, exec_lo, s9
	s_and_b32 s14, s1, s8
	s_delay_alu instid0(SALU_CYCLE_1)
	s_and_saveexec_b32 s9, s14
	s_cbranch_execz .LBB24_213
.LBB24_223:
	v_cmp_ne_u32_e32 vcc_lo, 1, v105
	v_lshlrev_b64 v[48:49], 2, v[66:67]
	s_cbranch_vccnz .LBB24_225
; %bb.224:
	s_delay_alu instid0(VALU_DEP_1) | instskip(NEXT) | instid1(VALU_DEP_2)
	v_add_co_u32 v54, vcc_lo, v52, v48
	v_add_co_ci_u32_e32 v55, vcc_lo, v53, v49, vcc_lo
	flat_load_b32 v54, v[54:55]
	s_waitcnt vmcnt(0) lgkmcnt(0)
	v_mul_f32_e32 v54, s15, v54
	s_branch .LBB24_226
.LBB24_225:
	v_mov_b32_e32 v54, 0
.LBB24_226:
	v_dual_add_f32 v55, v29, v45 :: v_dual_add_f32 v56, v28, v44
	v_dual_add_f32 v57, v31, v47 :: v_dual_add_f32 v58, v30, v46
	s_delay_alu instid0(VALU_DEP_4) | instskip(NEXT) | instid1(VALU_DEP_3)
	v_add_co_u32 v48, vcc_lo, v50, v48
	v_min3_f32 v55, v56, v55, v114
	v_add_co_ci_u32_e32 v49, vcc_lo, v51, v49, vcc_lo
	s_delay_alu instid0(VALU_DEP_4) | instskip(NEXT) | instid1(VALU_DEP_1)
	v_min_f32_e32 v56, v58, v57
	v_min3_f32 v54, v54, v56, v55
	global_store_b32 v[48:49], v54, off
	s_or_b32 exec_lo, exec_lo, s9
	s_and_b32 s14, s2, s8
	s_delay_alu instid0(SALU_CYCLE_1)
	s_and_saveexec_b32 s9, s14
	s_cbranch_execz .LBB24_214
.LBB24_227:
	v_cmp_ne_u32_e32 vcc_lo, 1, v105
	v_lshlrev_b64 v[48:49], 2, v[68:69]
	s_cbranch_vccnz .LBB24_229
; %bb.228:
	s_delay_alu instid0(VALU_DEP_1) | instskip(NEXT) | instid1(VALU_DEP_2)
	v_add_co_u32 v54, vcc_lo, v52, v48
	v_add_co_ci_u32_e32 v55, vcc_lo, v53, v49, vcc_lo
	flat_load_b32 v54, v[54:55]
	s_waitcnt vmcnt(0) lgkmcnt(0)
	v_mul_f32_e32 v54, s15, v54
	s_branch .LBB24_230
.LBB24_229:
	v_mov_b32_e32 v54, 0
.LBB24_230:
	v_dual_add_f32 v55, v25, v45 :: v_dual_add_f32 v56, v24, v44
	v_dual_add_f32 v57, v27, v47 :: v_dual_add_f32 v58, v26, v46
	s_delay_alu instid0(VALU_DEP_4) | instskip(NEXT) | instid1(VALU_DEP_3)
	v_add_co_u32 v48, vcc_lo, v50, v48
	v_min3_f32 v55, v56, v55, v112
	v_add_co_ci_u32_e32 v49, vcc_lo, v51, v49, vcc_lo
	s_delay_alu instid0(VALU_DEP_4) | instskip(NEXT) | instid1(VALU_DEP_1)
	v_min_f32_e32 v56, v58, v57
	v_min3_f32 v54, v54, v56, v55
	global_store_b32 v[48:49], v54, off
	s_or_b32 exec_lo, exec_lo, s9
	s_and_b32 s14, s3, s8
	s_delay_alu instid0(SALU_CYCLE_1)
	s_and_saveexec_b32 s9, s14
	s_cbranch_execz .LBB24_215
.LBB24_231:
	v_cmp_ne_u32_e32 vcc_lo, 1, v105
	v_lshlrev_b64 v[48:49], 2, v[70:71]
	s_cbranch_vccnz .LBB24_233
; %bb.232:
	s_delay_alu instid0(VALU_DEP_1) | instskip(NEXT) | instid1(VALU_DEP_2)
	v_add_co_u32 v54, vcc_lo, v52, v48
	v_add_co_ci_u32_e32 v55, vcc_lo, v53, v49, vcc_lo
	flat_load_b32 v54, v[54:55]
	s_waitcnt vmcnt(0) lgkmcnt(0)
	v_mul_f32_e32 v54, s15, v54
	s_branch .LBB24_234
.LBB24_233:
	v_mov_b32_e32 v54, 0
.LBB24_234:
	v_dual_add_f32 v55, v21, v45 :: v_dual_add_f32 v56, v20, v44
	v_dual_add_f32 v57, v23, v47 :: v_dual_add_f32 v58, v22, v46
	s_delay_alu instid0(VALU_DEP_4) | instskip(NEXT) | instid1(VALU_DEP_3)
	v_add_co_u32 v48, vcc_lo, v50, v48
	v_min3_f32 v55, v56, v55, v111
	v_add_co_ci_u32_e32 v49, vcc_lo, v51, v49, vcc_lo
	s_delay_alu instid0(VALU_DEP_4) | instskip(NEXT) | instid1(VALU_DEP_1)
	v_min_f32_e32 v56, v58, v57
	v_min3_f32 v54, v54, v56, v55
	global_store_b32 v[48:49], v54, off
	s_or_b32 exec_lo, exec_lo, s9
	s_and_b32 s14, s4, s8
	s_delay_alu instid0(SALU_CYCLE_1)
	s_and_saveexec_b32 s9, s14
	s_cbranch_execz .LBB24_216
.LBB24_235:
	v_cmp_ne_u32_e32 vcc_lo, 1, v105
	v_lshlrev_b64 v[48:49], 2, v[72:73]
	s_cbranch_vccnz .LBB24_237
; %bb.236:
	s_delay_alu instid0(VALU_DEP_1) | instskip(NEXT) | instid1(VALU_DEP_2)
	v_add_co_u32 v54, vcc_lo, v52, v48
	v_add_co_ci_u32_e32 v55, vcc_lo, v53, v49, vcc_lo
	flat_load_b32 v54, v[54:55]
	s_waitcnt vmcnt(0) lgkmcnt(0)
	v_mul_f32_e32 v54, s15, v54
	s_branch .LBB24_238
.LBB24_237:
	v_mov_b32_e32 v54, 0
.LBB24_238:
	v_dual_add_f32 v55, v17, v45 :: v_dual_add_f32 v56, v16, v44
	v_dual_add_f32 v57, v19, v47 :: v_dual_add_f32 v58, v18, v46
	s_delay_alu instid0(VALU_DEP_4) | instskip(NEXT) | instid1(VALU_DEP_3)
	v_add_co_u32 v48, vcc_lo, v50, v48
	v_min3_f32 v55, v56, v55, v110
	v_add_co_ci_u32_e32 v49, vcc_lo, v51, v49, vcc_lo
	s_delay_alu instid0(VALU_DEP_4) | instskip(NEXT) | instid1(VALU_DEP_1)
	v_min_f32_e32 v56, v58, v57
	v_min3_f32 v54, v54, v56, v55
	global_store_b32 v[48:49], v54, off
	s_or_b32 exec_lo, exec_lo, s9
	s_and_b32 s14, s5, s8
	s_delay_alu instid0(SALU_CYCLE_1)
	s_and_saveexec_b32 s9, s14
	s_cbranch_execz .LBB24_217
.LBB24_239:
	v_cmp_ne_u32_e32 vcc_lo, 1, v105
	v_lshlrev_b64 v[48:49], 2, v[74:75]
	s_cbranch_vccnz .LBB24_241
; %bb.240:
	s_delay_alu instid0(VALU_DEP_1) | instskip(NEXT) | instid1(VALU_DEP_2)
	v_add_co_u32 v54, vcc_lo, v52, v48
	v_add_co_ci_u32_e32 v55, vcc_lo, v53, v49, vcc_lo
	flat_load_b32 v54, v[54:55]
	s_waitcnt vmcnt(0) lgkmcnt(0)
	v_mul_f32_e32 v54, s15, v54
	s_branch .LBB24_242
.LBB24_241:
	v_mov_b32_e32 v54, 0
.LBB24_242:
	v_dual_add_f32 v55, v13, v45 :: v_dual_add_f32 v56, v12, v44
	v_dual_add_f32 v57, v15, v47 :: v_dual_add_f32 v58, v14, v46
	s_delay_alu instid0(VALU_DEP_4) | instskip(NEXT) | instid1(VALU_DEP_3)
	v_add_co_u32 v48, vcc_lo, v50, v48
	v_min3_f32 v55, v56, v55, v109
	v_add_co_ci_u32_e32 v49, vcc_lo, v51, v49, vcc_lo
	s_delay_alu instid0(VALU_DEP_4) | instskip(NEXT) | instid1(VALU_DEP_1)
	v_min_f32_e32 v56, v58, v57
	v_min3_f32 v54, v54, v56, v55
	global_store_b32 v[48:49], v54, off
	s_or_b32 exec_lo, exec_lo, s9
	s_and_b32 s14, s6, s8
	s_delay_alu instid0(SALU_CYCLE_1)
	s_and_saveexec_b32 s9, s14
	s_cbranch_execz .LBB24_218
.LBB24_243:
	v_cmp_ne_u32_e32 vcc_lo, 1, v105
	v_lshlrev_b64 v[48:49], 2, v[76:77]
	s_cbranch_vccnz .LBB24_245
; %bb.244:
	s_delay_alu instid0(VALU_DEP_1) | instskip(NEXT) | instid1(VALU_DEP_2)
	v_add_co_u32 v54, vcc_lo, v52, v48
	v_add_co_ci_u32_e32 v55, vcc_lo, v53, v49, vcc_lo
	flat_load_b32 v54, v[54:55]
	s_waitcnt vmcnt(0) lgkmcnt(0)
	v_mul_f32_e32 v54, s15, v54
	s_branch .LBB24_246
.LBB24_245:
	v_mov_b32_e32 v54, 0
.LBB24_246:
	v_dual_add_f32 v55, v9, v45 :: v_dual_add_f32 v56, v8, v44
	v_dual_add_f32 v57, v11, v47 :: v_dual_add_f32 v58, v10, v46
	s_delay_alu instid0(VALU_DEP_4) | instskip(NEXT) | instid1(VALU_DEP_3)
	v_add_co_u32 v48, vcc_lo, v50, v48
	v_min3_f32 v55, v56, v55, v108
	v_add_co_ci_u32_e32 v49, vcc_lo, v51, v49, vcc_lo
	s_delay_alu instid0(VALU_DEP_4) | instskip(NEXT) | instid1(VALU_DEP_1)
	v_min_f32_e32 v56, v58, v57
	v_min3_f32 v54, v54, v56, v55
	global_store_b32 v[48:49], v54, off
	s_or_b32 exec_lo, exec_lo, s9
	s_and_b32 s9, s7, s8
	s_delay_alu instid0(SALU_CYCLE_1)
	s_and_saveexec_b32 s8, s9
	s_cbranch_execz .LBB24_251
.LBB24_247:
	v_cmp_ne_u32_e32 vcc_lo, 1, v105
	v_lshlrev_b64 v[48:49], 2, v[78:79]
	s_cbranch_vccnz .LBB24_249
; %bb.248:
	s_delay_alu instid0(VALU_DEP_1) | instskip(NEXT) | instid1(VALU_DEP_2)
	v_add_co_u32 v52, vcc_lo, v52, v48
	v_add_co_ci_u32_e32 v53, vcc_lo, v53, v49, vcc_lo
	flat_load_b32 v52, v[52:53]
	s_waitcnt vmcnt(0) lgkmcnt(0)
	v_mul_f32_e32 v52, s15, v52
	s_branch .LBB24_250
.LBB24_249:
	v_mov_b32_e32 v52, 0
.LBB24_250:
	v_dual_add_f32 v45, v1, v45 :: v_dual_add_f32 v44, v0, v44
	v_dual_add_f32 v47, v3, v47 :: v_dual_add_f32 v46, v2, v46
	s_delay_alu instid0(VALU_DEP_2) | instskip(NEXT) | instid1(VALU_DEP_2)
	v_min3_f32 v44, v44, v45, v107
	v_min_f32_e32 v45, v46, v47
	s_delay_alu instid0(VALU_DEP_1)
	v_min3_f32 v46, v52, v45, v44
	v_add_co_u32 v44, vcc_lo, v50, v48
	v_add_co_ci_u32_e32 v45, vcc_lo, v51, v49, vcc_lo
	global_store_b32 v[44:45], v46, off
.LBB24_251:
	s_or_b32 exec_lo, exec_lo, s8
	v_add_nc_u32_e32 v48, 0xa0, v113
	s_delay_alu instid0(VALU_DEP_1) | instskip(SKIP_2) | instid1(VALU_DEP_3)
	v_mad_i64_i32 v[44:45], null, v48, s19, 0
	v_mad_i64_i32 v[46:47], null, v48, s18, 0
	v_cmp_gt_i32_e64 s8, s17, v48
	v_lshlrev_b64 v[44:45], 2, v[44:45]
	s_delay_alu instid0(VALU_DEP_2) | instskip(NEXT) | instid1(VALU_DEP_3)
	s_and_b32 s14, s0, s8
	v_lshlrev_b64 v[46:47], 2, v[46:47]
	s_delay_alu instid0(VALU_DEP_2) | instskip(NEXT) | instid1(VALU_DEP_3)
	v_add_co_u32 v48, vcc_lo, s10, v44
	v_add_co_ci_u32_e32 v49, vcc_lo, s11, v45, vcc_lo
	s_delay_alu instid0(VALU_DEP_3) | instskip(NEXT) | instid1(VALU_DEP_4)
	v_add_co_u32 v46, vcc_lo, s12, v46
	v_add_co_ci_u32_e32 v47, vcc_lo, s13, v47, vcc_lo
	s_and_saveexec_b32 s9, s14
	s_cbranch_execnz .LBB24_259
; %bb.252:
	s_or_b32 exec_lo, exec_lo, s9
	s_and_b32 s14, s1, s8
	s_delay_alu instid0(SALU_CYCLE_1)
	s_and_saveexec_b32 s9, s14
	s_cbranch_execnz .LBB24_263
.LBB24_253:
	s_or_b32 exec_lo, exec_lo, s9
	s_and_b32 s14, s2, s8
	s_delay_alu instid0(SALU_CYCLE_1)
	s_and_saveexec_b32 s9, s14
	s_cbranch_execnz .LBB24_267
.LBB24_254:
	s_or_b32 exec_lo, exec_lo, s9
	s_and_b32 s14, s3, s8
	s_delay_alu instid0(SALU_CYCLE_1)
	s_and_saveexec_b32 s9, s14
	s_cbranch_execnz .LBB24_271
.LBB24_255:
	s_or_b32 exec_lo, exec_lo, s9
	s_and_b32 s14, s4, s8
	s_delay_alu instid0(SALU_CYCLE_1)
	s_and_saveexec_b32 s9, s14
	s_cbranch_execnz .LBB24_275
.LBB24_256:
	s_or_b32 exec_lo, exec_lo, s9
	s_and_b32 s14, s5, s8
	s_delay_alu instid0(SALU_CYCLE_1)
	s_and_saveexec_b32 s9, s14
	s_cbranch_execnz .LBB24_279
.LBB24_257:
	s_or_b32 exec_lo, exec_lo, s9
	s_and_b32 s14, s6, s8
	s_delay_alu instid0(SALU_CYCLE_1)
	s_and_saveexec_b32 s9, s14
	s_cbranch_execnz .LBB24_283
.LBB24_258:
	s_or_b32 exec_lo, exec_lo, s9
	s_and_b32 s9, s7, s8
	s_delay_alu instid0(SALU_CYCLE_1)
	s_and_saveexec_b32 s8, s9
	s_cbranch_execnz .LBB24_287
	s_branch .LBB24_291
.LBB24_259:
	v_cmp_ne_u32_e32 vcc_lo, 1, v105
	v_lshlrev_b64 v[44:45], 2, v[64:65]
	s_cbranch_vccnz .LBB24_261
; %bb.260:
	s_delay_alu instid0(VALU_DEP_1) | instskip(NEXT) | instid1(VALU_DEP_2)
	v_add_co_u32 v50, vcc_lo, v48, v44
	v_add_co_ci_u32_e32 v51, vcc_lo, v49, v45, vcc_lo
	flat_load_b32 v50, v[50:51]
	s_waitcnt vmcnt(0) lgkmcnt(0)
	v_mul_f32_e32 v50, s15, v50
	s_branch .LBB24_262
.LBB24_261:
	v_mov_b32_e32 v50, 0
.LBB24_262:
	v_dual_add_f32 v51, v33, v41 :: v_dual_add_f32 v52, v32, v40
	v_dual_add_f32 v53, v35, v43 :: v_dual_add_f32 v54, v34, v42
	s_delay_alu instid0(VALU_DEP_4) | instskip(NEXT) | instid1(VALU_DEP_3)
	v_add_co_u32 v44, vcc_lo, v46, v44
	v_min3_f32 v51, v52, v51, v106
	v_add_co_ci_u32_e32 v45, vcc_lo, v47, v45, vcc_lo
	s_delay_alu instid0(VALU_DEP_4) | instskip(NEXT) | instid1(VALU_DEP_1)
	v_min_f32_e32 v52, v54, v53
	v_min3_f32 v50, v50, v52, v51
	global_store_b32 v[44:45], v50, off
	s_or_b32 exec_lo, exec_lo, s9
	s_and_b32 s14, s1, s8
	s_delay_alu instid0(SALU_CYCLE_1)
	s_and_saveexec_b32 s9, s14
	s_cbranch_execz .LBB24_253
.LBB24_263:
	v_cmp_ne_u32_e32 vcc_lo, 1, v105
	v_lshlrev_b64 v[44:45], 2, v[66:67]
	s_cbranch_vccnz .LBB24_265
; %bb.264:
	s_delay_alu instid0(VALU_DEP_1) | instskip(NEXT) | instid1(VALU_DEP_2)
	v_add_co_u32 v50, vcc_lo, v48, v44
	v_add_co_ci_u32_e32 v51, vcc_lo, v49, v45, vcc_lo
	flat_load_b32 v50, v[50:51]
	s_waitcnt vmcnt(0) lgkmcnt(0)
	v_mul_f32_e32 v50, s15, v50
	s_branch .LBB24_266
.LBB24_265:
	v_mov_b32_e32 v50, 0
.LBB24_266:
	v_dual_add_f32 v51, v29, v41 :: v_dual_add_f32 v52, v28, v40
	v_dual_add_f32 v53, v31, v43 :: v_dual_add_f32 v54, v30, v42
	s_delay_alu instid0(VALU_DEP_4) | instskip(NEXT) | instid1(VALU_DEP_3)
	v_add_co_u32 v44, vcc_lo, v46, v44
	v_min3_f32 v51, v52, v51, v104
	v_add_co_ci_u32_e32 v45, vcc_lo, v47, v45, vcc_lo
	s_delay_alu instid0(VALU_DEP_4) | instskip(NEXT) | instid1(VALU_DEP_1)
	v_min_f32_e32 v52, v54, v53
	v_min3_f32 v50, v50, v52, v51
	global_store_b32 v[44:45], v50, off
	s_or_b32 exec_lo, exec_lo, s9
	s_and_b32 s14, s2, s8
	s_delay_alu instid0(SALU_CYCLE_1)
	s_and_saveexec_b32 s9, s14
	s_cbranch_execz .LBB24_254
.LBB24_267:
	v_cmp_ne_u32_e32 vcc_lo, 1, v105
	v_lshlrev_b64 v[44:45], 2, v[68:69]
	s_cbranch_vccnz .LBB24_269
; %bb.268:
	s_delay_alu instid0(VALU_DEP_1) | instskip(NEXT) | instid1(VALU_DEP_2)
	v_add_co_u32 v50, vcc_lo, v48, v44
	v_add_co_ci_u32_e32 v51, vcc_lo, v49, v45, vcc_lo
	flat_load_b32 v50, v[50:51]
	s_waitcnt vmcnt(0) lgkmcnt(0)
	v_mul_f32_e32 v50, s15, v50
	s_branch .LBB24_270
.LBB24_269:
	v_mov_b32_e32 v50, 0
.LBB24_270:
	v_dual_add_f32 v51, v25, v41 :: v_dual_add_f32 v52, v24, v40
	v_dual_add_f32 v53, v27, v43 :: v_dual_add_f32 v54, v26, v42
	s_delay_alu instid0(VALU_DEP_4) | instskip(NEXT) | instid1(VALU_DEP_3)
	v_add_co_u32 v44, vcc_lo, v46, v44
	v_min3_f32 v51, v52, v51, v103
	v_add_co_ci_u32_e32 v45, vcc_lo, v47, v45, vcc_lo
	s_delay_alu instid0(VALU_DEP_4) | instskip(NEXT) | instid1(VALU_DEP_1)
	v_min_f32_e32 v52, v54, v53
	v_min3_f32 v50, v50, v52, v51
	global_store_b32 v[44:45], v50, off
	s_or_b32 exec_lo, exec_lo, s9
	s_and_b32 s14, s3, s8
	s_delay_alu instid0(SALU_CYCLE_1)
	s_and_saveexec_b32 s9, s14
	s_cbranch_execz .LBB24_255
.LBB24_271:
	v_cmp_ne_u32_e32 vcc_lo, 1, v105
	v_lshlrev_b64 v[44:45], 2, v[70:71]
	s_cbranch_vccnz .LBB24_273
; %bb.272:
	s_delay_alu instid0(VALU_DEP_1) | instskip(NEXT) | instid1(VALU_DEP_2)
	v_add_co_u32 v50, vcc_lo, v48, v44
	v_add_co_ci_u32_e32 v51, vcc_lo, v49, v45, vcc_lo
	flat_load_b32 v50, v[50:51]
	s_waitcnt vmcnt(0) lgkmcnt(0)
	v_mul_f32_e32 v50, s15, v50
	s_branch .LBB24_274
.LBB24_273:
	v_mov_b32_e32 v50, 0
.LBB24_274:
	v_dual_add_f32 v51, v21, v41 :: v_dual_add_f32 v52, v20, v40
	v_dual_add_f32 v53, v23, v43 :: v_dual_add_f32 v54, v22, v42
	s_delay_alu instid0(VALU_DEP_4) | instskip(NEXT) | instid1(VALU_DEP_3)
	v_add_co_u32 v44, vcc_lo, v46, v44
	v_min3_f32 v51, v52, v51, v102
	v_add_co_ci_u32_e32 v45, vcc_lo, v47, v45, vcc_lo
	s_delay_alu instid0(VALU_DEP_4) | instskip(NEXT) | instid1(VALU_DEP_1)
	v_min_f32_e32 v52, v54, v53
	v_min3_f32 v50, v50, v52, v51
	global_store_b32 v[44:45], v50, off
	s_or_b32 exec_lo, exec_lo, s9
	s_and_b32 s14, s4, s8
	s_delay_alu instid0(SALU_CYCLE_1)
	s_and_saveexec_b32 s9, s14
	s_cbranch_execz .LBB24_256
.LBB24_275:
	v_cmp_ne_u32_e32 vcc_lo, 1, v105
	v_lshlrev_b64 v[44:45], 2, v[72:73]
	s_cbranch_vccnz .LBB24_277
; %bb.276:
	s_delay_alu instid0(VALU_DEP_1) | instskip(NEXT) | instid1(VALU_DEP_2)
	v_add_co_u32 v50, vcc_lo, v48, v44
	v_add_co_ci_u32_e32 v51, vcc_lo, v49, v45, vcc_lo
	flat_load_b32 v50, v[50:51]
	s_waitcnt vmcnt(0) lgkmcnt(0)
	v_mul_f32_e32 v50, s15, v50
	s_branch .LBB24_278
.LBB24_277:
	v_mov_b32_e32 v50, 0
.LBB24_278:
	v_dual_add_f32 v51, v17, v41 :: v_dual_add_f32 v52, v16, v40
	v_dual_add_f32 v53, v19, v43 :: v_dual_add_f32 v54, v18, v42
	s_delay_alu instid0(VALU_DEP_4) | instskip(NEXT) | instid1(VALU_DEP_3)
	v_add_co_u32 v44, vcc_lo, v46, v44
	v_min3_f32 v51, v52, v51, v101
	v_add_co_ci_u32_e32 v45, vcc_lo, v47, v45, vcc_lo
	s_delay_alu instid0(VALU_DEP_4) | instskip(NEXT) | instid1(VALU_DEP_1)
	v_min_f32_e32 v52, v54, v53
	v_min3_f32 v50, v50, v52, v51
	global_store_b32 v[44:45], v50, off
	s_or_b32 exec_lo, exec_lo, s9
	s_and_b32 s14, s5, s8
	s_delay_alu instid0(SALU_CYCLE_1)
	s_and_saveexec_b32 s9, s14
	s_cbranch_execz .LBB24_257
.LBB24_279:
	v_cmp_ne_u32_e32 vcc_lo, 1, v105
	v_lshlrev_b64 v[44:45], 2, v[74:75]
	s_cbranch_vccnz .LBB24_281
; %bb.280:
	s_delay_alu instid0(VALU_DEP_1) | instskip(NEXT) | instid1(VALU_DEP_2)
	v_add_co_u32 v50, vcc_lo, v48, v44
	v_add_co_ci_u32_e32 v51, vcc_lo, v49, v45, vcc_lo
	flat_load_b32 v50, v[50:51]
	s_waitcnt vmcnt(0) lgkmcnt(0)
	v_mul_f32_e32 v50, s15, v50
	s_branch .LBB24_282
.LBB24_281:
	v_mov_b32_e32 v50, 0
.LBB24_282:
	v_dual_add_f32 v51, v13, v41 :: v_dual_add_f32 v52, v12, v40
	v_dual_add_f32 v53, v15, v43 :: v_dual_add_f32 v54, v14, v42
	s_delay_alu instid0(VALU_DEP_4) | instskip(NEXT) | instid1(VALU_DEP_3)
	v_add_co_u32 v44, vcc_lo, v46, v44
	v_min3_f32 v51, v52, v51, v100
	v_add_co_ci_u32_e32 v45, vcc_lo, v47, v45, vcc_lo
	s_delay_alu instid0(VALU_DEP_4) | instskip(NEXT) | instid1(VALU_DEP_1)
	v_min_f32_e32 v52, v54, v53
	v_min3_f32 v50, v50, v52, v51
	global_store_b32 v[44:45], v50, off
	s_or_b32 exec_lo, exec_lo, s9
	s_and_b32 s14, s6, s8
	s_delay_alu instid0(SALU_CYCLE_1)
	s_and_saveexec_b32 s9, s14
	s_cbranch_execz .LBB24_258
.LBB24_283:
	v_cmp_ne_u32_e32 vcc_lo, 1, v105
	v_lshlrev_b64 v[44:45], 2, v[76:77]
	s_cbranch_vccnz .LBB24_285
; %bb.284:
	s_delay_alu instid0(VALU_DEP_1) | instskip(NEXT) | instid1(VALU_DEP_2)
	v_add_co_u32 v50, vcc_lo, v48, v44
	v_add_co_ci_u32_e32 v51, vcc_lo, v49, v45, vcc_lo
	flat_load_b32 v50, v[50:51]
	s_waitcnt vmcnt(0) lgkmcnt(0)
	v_mul_f32_e32 v50, s15, v50
	s_branch .LBB24_286
.LBB24_285:
	v_mov_b32_e32 v50, 0
.LBB24_286:
	v_dual_add_f32 v51, v9, v41 :: v_dual_add_f32 v52, v8, v40
	v_dual_add_f32 v53, v11, v43 :: v_dual_add_f32 v54, v10, v42
	s_delay_alu instid0(VALU_DEP_4) | instskip(NEXT) | instid1(VALU_DEP_3)
	v_add_co_u32 v44, vcc_lo, v46, v44
	v_min3_f32 v51, v52, v51, v99
	v_add_co_ci_u32_e32 v45, vcc_lo, v47, v45, vcc_lo
	s_delay_alu instid0(VALU_DEP_4) | instskip(NEXT) | instid1(VALU_DEP_1)
	v_min_f32_e32 v52, v54, v53
	v_min3_f32 v50, v50, v52, v51
	global_store_b32 v[44:45], v50, off
	s_or_b32 exec_lo, exec_lo, s9
	s_and_b32 s9, s7, s8
	s_delay_alu instid0(SALU_CYCLE_1)
	s_and_saveexec_b32 s8, s9
	s_cbranch_execz .LBB24_291
.LBB24_287:
	v_cmp_ne_u32_e32 vcc_lo, 1, v105
	v_lshlrev_b64 v[44:45], 2, v[78:79]
	s_cbranch_vccnz .LBB24_289
; %bb.288:
	s_delay_alu instid0(VALU_DEP_1) | instskip(NEXT) | instid1(VALU_DEP_2)
	v_add_co_u32 v48, vcc_lo, v48, v44
	v_add_co_ci_u32_e32 v49, vcc_lo, v49, v45, vcc_lo
	flat_load_b32 v48, v[48:49]
	s_waitcnt vmcnt(0) lgkmcnt(0)
	v_mul_f32_e32 v48, s15, v48
	s_branch .LBB24_290
.LBB24_289:
	v_mov_b32_e32 v48, 0
.LBB24_290:
	v_dual_add_f32 v41, v1, v41 :: v_dual_add_f32 v40, v0, v40
	v_dual_add_f32 v43, v3, v43 :: v_dual_add_f32 v42, v2, v42
	s_delay_alu instid0(VALU_DEP_2) | instskip(NEXT) | instid1(VALU_DEP_2)
	v_min3_f32 v40, v40, v41, v98
	v_min_f32_e32 v41, v42, v43
	s_delay_alu instid0(VALU_DEP_1)
	v_min3_f32 v42, v48, v41, v40
	v_add_co_u32 v40, vcc_lo, v46, v44
	v_add_co_ci_u32_e32 v41, vcc_lo, v47, v45, vcc_lo
	global_store_b32 v[40:41], v42, off
.LBB24_291:
	s_or_b32 exec_lo, exec_lo, s8
	v_add_nc_u32_e32 v44, 0xc0, v113
	s_delay_alu instid0(VALU_DEP_1) | instskip(SKIP_2) | instid1(VALU_DEP_3)
	v_mad_i64_i32 v[40:41], null, v44, s19, 0
	v_mad_i64_i32 v[42:43], null, v44, s18, 0
	v_cmp_gt_i32_e64 s8, s17, v44
	v_lshlrev_b64 v[40:41], 2, v[40:41]
	s_delay_alu instid0(VALU_DEP_2) | instskip(NEXT) | instid1(VALU_DEP_3)
	s_and_b32 s14, s0, s8
	v_lshlrev_b64 v[42:43], 2, v[42:43]
	s_delay_alu instid0(VALU_DEP_2) | instskip(NEXT) | instid1(VALU_DEP_3)
	v_add_co_u32 v44, vcc_lo, s10, v40
	v_add_co_ci_u32_e32 v45, vcc_lo, s11, v41, vcc_lo
	s_delay_alu instid0(VALU_DEP_3) | instskip(NEXT) | instid1(VALU_DEP_4)
	v_add_co_u32 v42, vcc_lo, s12, v42
	v_add_co_ci_u32_e32 v43, vcc_lo, s13, v43, vcc_lo
	s_and_saveexec_b32 s9, s14
	s_cbranch_execnz .LBB24_299
; %bb.292:
	s_or_b32 exec_lo, exec_lo, s9
	s_and_b32 s14, s1, s8
	s_delay_alu instid0(SALU_CYCLE_1)
	s_and_saveexec_b32 s9, s14
	s_cbranch_execnz .LBB24_303
.LBB24_293:
	s_or_b32 exec_lo, exec_lo, s9
	s_and_b32 s14, s2, s8
	s_delay_alu instid0(SALU_CYCLE_1)
	s_and_saveexec_b32 s9, s14
	s_cbranch_execnz .LBB24_307
.LBB24_294:
	s_or_b32 exec_lo, exec_lo, s9
	s_and_b32 s14, s3, s8
	s_delay_alu instid0(SALU_CYCLE_1)
	s_and_saveexec_b32 s9, s14
	s_cbranch_execnz .LBB24_311
.LBB24_295:
	s_or_b32 exec_lo, exec_lo, s9
	s_and_b32 s14, s4, s8
	s_delay_alu instid0(SALU_CYCLE_1)
	s_and_saveexec_b32 s9, s14
	s_cbranch_execnz .LBB24_315
.LBB24_296:
	s_or_b32 exec_lo, exec_lo, s9
	s_and_b32 s14, s5, s8
	s_delay_alu instid0(SALU_CYCLE_1)
	s_and_saveexec_b32 s9, s14
	s_cbranch_execnz .LBB24_319
.LBB24_297:
	s_or_b32 exec_lo, exec_lo, s9
	s_and_b32 s14, s6, s8
	s_delay_alu instid0(SALU_CYCLE_1)
	s_and_saveexec_b32 s9, s14
	s_cbranch_execnz .LBB24_323
.LBB24_298:
	s_or_b32 exec_lo, exec_lo, s9
	s_and_b32 s9, s7, s8
	s_delay_alu instid0(SALU_CYCLE_1)
	s_and_saveexec_b32 s8, s9
	s_cbranch_execnz .LBB24_327
	s_branch .LBB24_331
.LBB24_299:
	v_cmp_ne_u32_e32 vcc_lo, 1, v105
	v_lshlrev_b64 v[40:41], 2, v[64:65]
	s_cbranch_vccnz .LBB24_301
; %bb.300:
	s_delay_alu instid0(VALU_DEP_1) | instskip(NEXT) | instid1(VALU_DEP_2)
	v_add_co_u32 v46, vcc_lo, v44, v40
	v_add_co_ci_u32_e32 v47, vcc_lo, v45, v41, vcc_lo
	flat_load_b32 v46, v[46:47]
	s_waitcnt vmcnt(0) lgkmcnt(0)
	v_mul_f32_e32 v46, s15, v46
	s_branch .LBB24_302
.LBB24_301:
	v_mov_b32_e32 v46, 0
.LBB24_302:
	v_dual_add_f32 v47, v33, v37 :: v_dual_add_f32 v48, v32, v36
	v_dual_add_f32 v49, v35, v39 :: v_dual_add_f32 v50, v34, v38
	s_delay_alu instid0(VALU_DEP_4) | instskip(NEXT) | instid1(VALU_DEP_3)
	v_add_co_u32 v40, vcc_lo, v42, v40
	v_min3_f32 v47, v48, v47, v97
	v_add_co_ci_u32_e32 v41, vcc_lo, v43, v41, vcc_lo
	s_delay_alu instid0(VALU_DEP_4) | instskip(NEXT) | instid1(VALU_DEP_1)
	v_min_f32_e32 v48, v50, v49
	v_min3_f32 v46, v46, v48, v47
	global_store_b32 v[40:41], v46, off
	s_or_b32 exec_lo, exec_lo, s9
	s_and_b32 s14, s1, s8
	s_delay_alu instid0(SALU_CYCLE_1)
	s_and_saveexec_b32 s9, s14
	s_cbranch_execz .LBB24_293
.LBB24_303:
	v_cmp_ne_u32_e32 vcc_lo, 1, v105
	v_lshlrev_b64 v[40:41], 2, v[66:67]
	s_cbranch_vccnz .LBB24_305
; %bb.304:
	s_delay_alu instid0(VALU_DEP_1) | instskip(NEXT) | instid1(VALU_DEP_2)
	v_add_co_u32 v46, vcc_lo, v44, v40
	v_add_co_ci_u32_e32 v47, vcc_lo, v45, v41, vcc_lo
	flat_load_b32 v46, v[46:47]
	s_waitcnt vmcnt(0) lgkmcnt(0)
	v_mul_f32_e32 v46, s15, v46
	s_branch .LBB24_306
.LBB24_305:
	v_mov_b32_e32 v46, 0
.LBB24_306:
	v_dual_add_f32 v47, v29, v37 :: v_dual_add_f32 v48, v28, v36
	v_dual_add_f32 v49, v31, v39 :: v_dual_add_f32 v50, v30, v38
	s_delay_alu instid0(VALU_DEP_4) | instskip(NEXT) | instid1(VALU_DEP_3)
	v_add_co_u32 v40, vcc_lo, v42, v40
	v_min3_f32 v47, v48, v47, v96
	v_add_co_ci_u32_e32 v41, vcc_lo, v43, v41, vcc_lo
	s_delay_alu instid0(VALU_DEP_4) | instskip(NEXT) | instid1(VALU_DEP_1)
	v_min_f32_e32 v48, v50, v49
	v_min3_f32 v46, v46, v48, v47
	global_store_b32 v[40:41], v46, off
	s_or_b32 exec_lo, exec_lo, s9
	s_and_b32 s14, s2, s8
	s_delay_alu instid0(SALU_CYCLE_1)
	s_and_saveexec_b32 s9, s14
	s_cbranch_execz .LBB24_294
.LBB24_307:
	v_cmp_ne_u32_e32 vcc_lo, 1, v105
	v_lshlrev_b64 v[40:41], 2, v[68:69]
	s_cbranch_vccnz .LBB24_309
; %bb.308:
	s_delay_alu instid0(VALU_DEP_1) | instskip(NEXT) | instid1(VALU_DEP_2)
	v_add_co_u32 v46, vcc_lo, v44, v40
	v_add_co_ci_u32_e32 v47, vcc_lo, v45, v41, vcc_lo
	flat_load_b32 v46, v[46:47]
	s_waitcnt vmcnt(0) lgkmcnt(0)
	v_mul_f32_e32 v46, s15, v46
	s_branch .LBB24_310
.LBB24_309:
	v_mov_b32_e32 v46, 0
.LBB24_310:
	v_dual_add_f32 v47, v25, v37 :: v_dual_add_f32 v48, v24, v36
	v_dual_add_f32 v49, v27, v39 :: v_dual_add_f32 v50, v26, v38
	s_delay_alu instid0(VALU_DEP_4) | instskip(NEXT) | instid1(VALU_DEP_3)
	v_add_co_u32 v40, vcc_lo, v42, v40
	v_min3_f32 v47, v48, v47, v95
	v_add_co_ci_u32_e32 v41, vcc_lo, v43, v41, vcc_lo
	s_delay_alu instid0(VALU_DEP_4) | instskip(NEXT) | instid1(VALU_DEP_1)
	v_min_f32_e32 v48, v50, v49
	v_min3_f32 v46, v46, v48, v47
	global_store_b32 v[40:41], v46, off
	s_or_b32 exec_lo, exec_lo, s9
	s_and_b32 s14, s3, s8
	s_delay_alu instid0(SALU_CYCLE_1)
	s_and_saveexec_b32 s9, s14
	s_cbranch_execz .LBB24_295
.LBB24_311:
	v_cmp_ne_u32_e32 vcc_lo, 1, v105
	v_lshlrev_b64 v[40:41], 2, v[70:71]
	s_cbranch_vccnz .LBB24_313
; %bb.312:
	s_delay_alu instid0(VALU_DEP_1) | instskip(NEXT) | instid1(VALU_DEP_2)
	v_add_co_u32 v46, vcc_lo, v44, v40
	v_add_co_ci_u32_e32 v47, vcc_lo, v45, v41, vcc_lo
	flat_load_b32 v46, v[46:47]
	s_waitcnt vmcnt(0) lgkmcnt(0)
	v_mul_f32_e32 v46, s15, v46
	s_branch .LBB24_314
.LBB24_313:
	v_mov_b32_e32 v46, 0
.LBB24_314:
	v_dual_add_f32 v47, v21, v37 :: v_dual_add_f32 v48, v20, v36
	v_dual_add_f32 v49, v23, v39 :: v_dual_add_f32 v50, v22, v38
	s_delay_alu instid0(VALU_DEP_4) | instskip(NEXT) | instid1(VALU_DEP_3)
	v_add_co_u32 v40, vcc_lo, v42, v40
	v_min3_f32 v47, v48, v47, v94
	v_add_co_ci_u32_e32 v41, vcc_lo, v43, v41, vcc_lo
	s_delay_alu instid0(VALU_DEP_4) | instskip(NEXT) | instid1(VALU_DEP_1)
	v_min_f32_e32 v48, v50, v49
	v_min3_f32 v46, v46, v48, v47
	global_store_b32 v[40:41], v46, off
	s_or_b32 exec_lo, exec_lo, s9
	s_and_b32 s14, s4, s8
	s_delay_alu instid0(SALU_CYCLE_1)
	s_and_saveexec_b32 s9, s14
	s_cbranch_execz .LBB24_296
.LBB24_315:
	v_cmp_ne_u32_e32 vcc_lo, 1, v105
	v_lshlrev_b64 v[40:41], 2, v[72:73]
	s_cbranch_vccnz .LBB24_317
; %bb.316:
	s_delay_alu instid0(VALU_DEP_1) | instskip(NEXT) | instid1(VALU_DEP_2)
	v_add_co_u32 v46, vcc_lo, v44, v40
	v_add_co_ci_u32_e32 v47, vcc_lo, v45, v41, vcc_lo
	flat_load_b32 v46, v[46:47]
	s_waitcnt vmcnt(0) lgkmcnt(0)
	v_mul_f32_e32 v46, s15, v46
	s_branch .LBB24_318
.LBB24_317:
	v_mov_b32_e32 v46, 0
.LBB24_318:
	v_dual_add_f32 v47, v17, v37 :: v_dual_add_f32 v48, v16, v36
	v_dual_add_f32 v49, v19, v39 :: v_dual_add_f32 v50, v18, v38
	s_delay_alu instid0(VALU_DEP_4) | instskip(NEXT) | instid1(VALU_DEP_3)
	v_add_co_u32 v40, vcc_lo, v42, v40
	v_min3_f32 v47, v48, v47, v93
	v_add_co_ci_u32_e32 v41, vcc_lo, v43, v41, vcc_lo
	s_delay_alu instid0(VALU_DEP_4) | instskip(NEXT) | instid1(VALU_DEP_1)
	v_min_f32_e32 v48, v50, v49
	v_min3_f32 v46, v46, v48, v47
	global_store_b32 v[40:41], v46, off
	s_or_b32 exec_lo, exec_lo, s9
	s_and_b32 s14, s5, s8
	s_delay_alu instid0(SALU_CYCLE_1)
	s_and_saveexec_b32 s9, s14
	s_cbranch_execz .LBB24_297
.LBB24_319:
	v_cmp_ne_u32_e32 vcc_lo, 1, v105
	v_lshlrev_b64 v[40:41], 2, v[74:75]
	s_cbranch_vccnz .LBB24_321
; %bb.320:
	s_delay_alu instid0(VALU_DEP_1) | instskip(NEXT) | instid1(VALU_DEP_2)
	v_add_co_u32 v46, vcc_lo, v44, v40
	v_add_co_ci_u32_e32 v47, vcc_lo, v45, v41, vcc_lo
	flat_load_b32 v46, v[46:47]
	s_waitcnt vmcnt(0) lgkmcnt(0)
	v_mul_f32_e32 v46, s15, v46
	s_branch .LBB24_322
.LBB24_321:
	v_mov_b32_e32 v46, 0
.LBB24_322:
	v_dual_add_f32 v47, v13, v37 :: v_dual_add_f32 v48, v12, v36
	v_dual_add_f32 v49, v15, v39 :: v_dual_add_f32 v50, v14, v38
	s_delay_alu instid0(VALU_DEP_4) | instskip(NEXT) | instid1(VALU_DEP_3)
	v_add_co_u32 v40, vcc_lo, v42, v40
	v_min3_f32 v47, v48, v47, v92
	v_add_co_ci_u32_e32 v41, vcc_lo, v43, v41, vcc_lo
	s_delay_alu instid0(VALU_DEP_4) | instskip(NEXT) | instid1(VALU_DEP_1)
	v_min_f32_e32 v48, v50, v49
	v_min3_f32 v46, v46, v48, v47
	global_store_b32 v[40:41], v46, off
	s_or_b32 exec_lo, exec_lo, s9
	s_and_b32 s14, s6, s8
	s_delay_alu instid0(SALU_CYCLE_1)
	s_and_saveexec_b32 s9, s14
	s_cbranch_execz .LBB24_298
.LBB24_323:
	v_cmp_ne_u32_e32 vcc_lo, 1, v105
	v_lshlrev_b64 v[40:41], 2, v[76:77]
	s_cbranch_vccnz .LBB24_325
; %bb.324:
	s_delay_alu instid0(VALU_DEP_1) | instskip(NEXT) | instid1(VALU_DEP_2)
	v_add_co_u32 v46, vcc_lo, v44, v40
	v_add_co_ci_u32_e32 v47, vcc_lo, v45, v41, vcc_lo
	flat_load_b32 v46, v[46:47]
	s_waitcnt vmcnt(0) lgkmcnt(0)
	v_mul_f32_e32 v46, s15, v46
	s_branch .LBB24_326
.LBB24_325:
	v_mov_b32_e32 v46, 0
.LBB24_326:
	v_dual_add_f32 v47, v9, v37 :: v_dual_add_f32 v48, v8, v36
	v_dual_add_f32 v49, v11, v39 :: v_dual_add_f32 v50, v10, v38
	s_delay_alu instid0(VALU_DEP_4) | instskip(NEXT) | instid1(VALU_DEP_3)
	v_add_co_u32 v40, vcc_lo, v42, v40
	v_min3_f32 v47, v48, v47, v91
	v_add_co_ci_u32_e32 v41, vcc_lo, v43, v41, vcc_lo
	s_delay_alu instid0(VALU_DEP_4) | instskip(NEXT) | instid1(VALU_DEP_1)
	v_min_f32_e32 v48, v50, v49
	v_min3_f32 v46, v46, v48, v47
	global_store_b32 v[40:41], v46, off
	s_or_b32 exec_lo, exec_lo, s9
	s_and_b32 s9, s7, s8
	s_delay_alu instid0(SALU_CYCLE_1)
	s_and_saveexec_b32 s8, s9
	s_cbranch_execz .LBB24_331
.LBB24_327:
	v_cmp_ne_u32_e32 vcc_lo, 1, v105
	v_lshlrev_b64 v[40:41], 2, v[78:79]
	s_cbranch_vccnz .LBB24_329
; %bb.328:
	s_delay_alu instid0(VALU_DEP_1) | instskip(NEXT) | instid1(VALU_DEP_2)
	v_add_co_u32 v44, vcc_lo, v44, v40
	v_add_co_ci_u32_e32 v45, vcc_lo, v45, v41, vcc_lo
	flat_load_b32 v44, v[44:45]
	s_waitcnt vmcnt(0) lgkmcnt(0)
	v_mul_f32_e32 v44, s15, v44
	s_branch .LBB24_330
.LBB24_329:
	v_mov_b32_e32 v44, 0
.LBB24_330:
	v_dual_add_f32 v37, v1, v37 :: v_dual_add_f32 v36, v0, v36
	v_dual_add_f32 v39, v3, v39 :: v_dual_add_f32 v38, v2, v38
	s_delay_alu instid0(VALU_DEP_2) | instskip(NEXT) | instid1(VALU_DEP_2)
	v_min3_f32 v36, v36, v37, v90
	v_min_f32_e32 v37, v38, v39
	s_delay_alu instid0(VALU_DEP_1)
	v_min3_f32 v38, v44, v37, v36
	v_add_co_u32 v36, vcc_lo, v42, v40
	v_add_co_ci_u32_e32 v37, vcc_lo, v43, v41, vcc_lo
	global_store_b32 v[36:37], v38, off
.LBB24_331:
	s_or_b32 exec_lo, exec_lo, s8
	v_add_nc_u32_e32 v40, 0xe0, v113
	s_delay_alu instid0(VALU_DEP_1) | instskip(SKIP_2) | instid1(VALU_DEP_3)
	v_mad_i64_i32 v[36:37], null, v40, s19, 0
	v_mad_i64_i32 v[38:39], null, v40, s18, 0
	v_cmp_gt_i32_e64 s8, s17, v40
	v_lshlrev_b64 v[36:37], 2, v[36:37]
	s_delay_alu instid0(VALU_DEP_2) | instskip(NEXT) | instid1(VALU_DEP_3)
	s_and_b32 s9, s0, s8
	v_lshlrev_b64 v[38:39], 2, v[38:39]
	s_delay_alu instid0(VALU_DEP_2) | instskip(NEXT) | instid1(VALU_DEP_3)
	v_add_co_u32 v40, vcc_lo, s10, v36
	v_add_co_ci_u32_e32 v41, vcc_lo, s11, v37, vcc_lo
	s_delay_alu instid0(VALU_DEP_3) | instskip(NEXT) | instid1(VALU_DEP_4)
	v_add_co_u32 v38, vcc_lo, s12, v38
	v_add_co_ci_u32_e32 v39, vcc_lo, s13, v39, vcc_lo
	s_and_saveexec_b32 s0, s9
	s_cbranch_execnz .LBB24_340
; %bb.332:
	s_or_b32 exec_lo, exec_lo, s0
	s_and_b32 s1, s1, s8
	s_delay_alu instid0(SALU_CYCLE_1)
	s_and_saveexec_b32 s0, s1
	s_cbranch_execnz .LBB24_344
.LBB24_333:
	s_or_b32 exec_lo, exec_lo, s0
	s_and_b32 s1, s2, s8
	s_delay_alu instid0(SALU_CYCLE_1)
	s_and_saveexec_b32 s0, s1
	s_cbranch_execnz .LBB24_348
.LBB24_334:
	s_or_b32 exec_lo, exec_lo, s0
	s_and_b32 s1, s3, s8
	s_delay_alu instid0(SALU_CYCLE_1)
	s_and_saveexec_b32 s0, s1
	s_cbranch_execnz .LBB24_352
.LBB24_335:
	s_or_b32 exec_lo, exec_lo, s0
	s_and_b32 s1, s4, s8
	s_delay_alu instid0(SALU_CYCLE_1)
	s_and_saveexec_b32 s0, s1
	s_cbranch_execnz .LBB24_356
.LBB24_336:
	s_or_b32 exec_lo, exec_lo, s0
	s_and_b32 s1, s5, s8
	s_delay_alu instid0(SALU_CYCLE_1)
	s_and_saveexec_b32 s0, s1
	s_cbranch_execnz .LBB24_360
.LBB24_337:
	s_or_b32 exec_lo, exec_lo, s0
	s_and_b32 s1, s6, s8
	s_delay_alu instid0(SALU_CYCLE_1)
	s_and_saveexec_b32 s0, s1
	s_cbranch_execnz .LBB24_364
.LBB24_338:
	s_or_b32 exec_lo, exec_lo, s0
	s_and_b32 s0, s7, s8
	s_delay_alu instid0(SALU_CYCLE_1)
	s_and_saveexec_b32 s1, s0
	s_cbranch_execnz .LBB24_368
.LBB24_339:
	s_nop 0
	s_sendmsg sendmsg(MSG_DEALLOC_VGPRS)
	s_endpgm
.LBB24_340:
	v_cmp_ne_u32_e32 vcc_lo, 1, v105
	v_lshlrev_b64 v[36:37], 2, v[64:65]
	s_cbranch_vccnz .LBB24_342
; %bb.341:
	s_delay_alu instid0(VALU_DEP_1) | instskip(NEXT) | instid1(VALU_DEP_2)
	v_add_co_u32 v42, vcc_lo, v40, v36
	v_add_co_ci_u32_e32 v43, vcc_lo, v41, v37, vcc_lo
	flat_load_b32 v42, v[42:43]
	s_waitcnt vmcnt(0) lgkmcnt(0)
	v_mul_f32_e32 v42, s15, v42
	s_branch .LBB24_343
.LBB24_342:
	v_mov_b32_e32 v42, 0
.LBB24_343:
	v_dual_add_f32 v33, v33, v5 :: v_dual_add_f32 v32, v32, v4
	v_dual_add_f32 v35, v35, v7 :: v_dual_add_f32 v34, v34, v6
	s_delay_alu instid0(VALU_DEP_2) | instskip(NEXT) | instid1(VALU_DEP_2)
	v_min3_f32 v32, v32, v33, v89
	v_min_f32_e32 v33, v34, v35
	s_delay_alu instid0(VALU_DEP_1)
	v_min3_f32 v34, v42, v33, v32
	v_add_co_u32 v32, vcc_lo, v38, v36
	v_add_co_ci_u32_e32 v33, vcc_lo, v39, v37, vcc_lo
	global_store_b32 v[32:33], v34, off
	s_or_b32 exec_lo, exec_lo, s0
	s_and_b32 s1, s1, s8
	s_delay_alu instid0(SALU_CYCLE_1)
	s_and_saveexec_b32 s0, s1
	s_cbranch_execz .LBB24_333
.LBB24_344:
	v_cmp_ne_u32_e32 vcc_lo, 1, v105
	v_lshlrev_b64 v[32:33], 2, v[66:67]
	s_cbranch_vccnz .LBB24_346
; %bb.345:
	s_delay_alu instid0(VALU_DEP_1) | instskip(NEXT) | instid1(VALU_DEP_2)
	v_add_co_u32 v34, vcc_lo, v40, v32
	v_add_co_ci_u32_e32 v35, vcc_lo, v41, v33, vcc_lo
	flat_load_b32 v34, v[34:35]
	s_waitcnt vmcnt(0) lgkmcnt(0)
	v_mul_f32_e32 v34, s15, v34
	s_branch .LBB24_347
.LBB24_346:
	v_mov_b32_e32 v34, 0
.LBB24_347:
	v_dual_add_f32 v29, v29, v5 :: v_dual_add_f32 v28, v28, v4
	v_dual_add_f32 v31, v31, v7 :: v_dual_add_f32 v30, v30, v6
	s_delay_alu instid0(VALU_DEP_2) | instskip(NEXT) | instid1(VALU_DEP_2)
	v_min3_f32 v28, v28, v29, v88
	v_min_f32_e32 v29, v30, v31
	s_delay_alu instid0(VALU_DEP_1)
	v_min3_f32 v30, v34, v29, v28
	v_add_co_u32 v28, vcc_lo, v38, v32
	v_add_co_ci_u32_e32 v29, vcc_lo, v39, v33, vcc_lo
	global_store_b32 v[28:29], v30, off
	s_or_b32 exec_lo, exec_lo, s0
	s_and_b32 s1, s2, s8
	s_delay_alu instid0(SALU_CYCLE_1)
	s_and_saveexec_b32 s0, s1
	s_cbranch_execz .LBB24_334
.LBB24_348:
	v_cmp_ne_u32_e32 vcc_lo, 1, v105
	v_lshlrev_b64 v[28:29], 2, v[68:69]
	s_cbranch_vccnz .LBB24_350
; %bb.349:
	s_delay_alu instid0(VALU_DEP_1) | instskip(NEXT) | instid1(VALU_DEP_2)
	v_add_co_u32 v30, vcc_lo, v40, v28
	v_add_co_ci_u32_e32 v31, vcc_lo, v41, v29, vcc_lo
	flat_load_b32 v30, v[30:31]
	s_waitcnt vmcnt(0) lgkmcnt(0)
	v_mul_f32_e32 v30, s15, v30
	s_branch .LBB24_351
.LBB24_350:
	v_mov_b32_e32 v30, 0
.LBB24_351:
	v_dual_add_f32 v25, v25, v5 :: v_dual_add_f32 v24, v24, v4
	v_dual_add_f32 v27, v27, v7 :: v_dual_add_f32 v26, v26, v6
	s_delay_alu instid0(VALU_DEP_2) | instskip(NEXT) | instid1(VALU_DEP_2)
	v_min3_f32 v24, v24, v25, v87
	v_min_f32_e32 v25, v26, v27
	s_delay_alu instid0(VALU_DEP_1)
	v_min3_f32 v26, v30, v25, v24
	v_add_co_u32 v24, vcc_lo, v38, v28
	v_add_co_ci_u32_e32 v25, vcc_lo, v39, v29, vcc_lo
	global_store_b32 v[24:25], v26, off
	s_or_b32 exec_lo, exec_lo, s0
	s_and_b32 s1, s3, s8
	s_delay_alu instid0(SALU_CYCLE_1)
	s_and_saveexec_b32 s0, s1
	s_cbranch_execz .LBB24_335
.LBB24_352:
	v_cmp_ne_u32_e32 vcc_lo, 1, v105
	v_lshlrev_b64 v[24:25], 2, v[70:71]
	s_cbranch_vccnz .LBB24_354
; %bb.353:
	s_delay_alu instid0(VALU_DEP_1) | instskip(NEXT) | instid1(VALU_DEP_2)
	v_add_co_u32 v26, vcc_lo, v40, v24
	v_add_co_ci_u32_e32 v27, vcc_lo, v41, v25, vcc_lo
	flat_load_b32 v26, v[26:27]
	s_waitcnt vmcnt(0) lgkmcnt(0)
	v_mul_f32_e32 v26, s15, v26
	s_branch .LBB24_355
.LBB24_354:
	v_mov_b32_e32 v26, 0
.LBB24_355:
	v_dual_add_f32 v21, v21, v5 :: v_dual_add_f32 v20, v20, v4
	v_dual_add_f32 v23, v23, v7 :: v_dual_add_f32 v22, v22, v6
	s_delay_alu instid0(VALU_DEP_2) | instskip(NEXT) | instid1(VALU_DEP_2)
	v_min3_f32 v20, v20, v21, v86
	v_min_f32_e32 v21, v22, v23
	s_delay_alu instid0(VALU_DEP_1)
	v_min3_f32 v22, v26, v21, v20
	v_add_co_u32 v20, vcc_lo, v38, v24
	v_add_co_ci_u32_e32 v21, vcc_lo, v39, v25, vcc_lo
	global_store_b32 v[20:21], v22, off
	s_or_b32 exec_lo, exec_lo, s0
	s_and_b32 s1, s4, s8
	s_delay_alu instid0(SALU_CYCLE_1)
	s_and_saveexec_b32 s0, s1
	s_cbranch_execz .LBB24_336
.LBB24_356:
	v_cmp_ne_u32_e32 vcc_lo, 1, v105
	v_lshlrev_b64 v[20:21], 2, v[72:73]
	s_cbranch_vccnz .LBB24_358
; %bb.357:
	s_delay_alu instid0(VALU_DEP_1) | instskip(NEXT) | instid1(VALU_DEP_2)
	v_add_co_u32 v22, vcc_lo, v40, v20
	v_add_co_ci_u32_e32 v23, vcc_lo, v41, v21, vcc_lo
	flat_load_b32 v22, v[22:23]
	s_waitcnt vmcnt(0) lgkmcnt(0)
	v_mul_f32_e32 v22, s15, v22
	s_branch .LBB24_359
.LBB24_358:
	v_mov_b32_e32 v22, 0
.LBB24_359:
	v_dual_add_f32 v17, v17, v5 :: v_dual_add_f32 v16, v16, v4
	v_dual_add_f32 v19, v19, v7 :: v_dual_add_f32 v18, v18, v6
	s_delay_alu instid0(VALU_DEP_2) | instskip(NEXT) | instid1(VALU_DEP_2)
	v_min3_f32 v16, v16, v17, v85
	v_min_f32_e32 v17, v18, v19
	s_delay_alu instid0(VALU_DEP_1)
	v_min3_f32 v18, v22, v17, v16
	v_add_co_u32 v16, vcc_lo, v38, v20
	v_add_co_ci_u32_e32 v17, vcc_lo, v39, v21, vcc_lo
	global_store_b32 v[16:17], v18, off
	s_or_b32 exec_lo, exec_lo, s0
	s_and_b32 s1, s5, s8
	s_delay_alu instid0(SALU_CYCLE_1)
	s_and_saveexec_b32 s0, s1
	s_cbranch_execz .LBB24_337
.LBB24_360:
	v_cmp_ne_u32_e32 vcc_lo, 1, v105
	v_lshlrev_b64 v[16:17], 2, v[74:75]
	s_cbranch_vccnz .LBB24_362
; %bb.361:
	s_delay_alu instid0(VALU_DEP_1) | instskip(NEXT) | instid1(VALU_DEP_2)
	v_add_co_u32 v18, vcc_lo, v40, v16
	v_add_co_ci_u32_e32 v19, vcc_lo, v41, v17, vcc_lo
	flat_load_b32 v18, v[18:19]
	s_waitcnt vmcnt(0) lgkmcnt(0)
	v_mul_f32_e32 v18, s15, v18
	s_branch .LBB24_363
.LBB24_362:
	v_mov_b32_e32 v18, 0
.LBB24_363:
	v_dual_add_f32 v13, v13, v5 :: v_dual_add_f32 v12, v12, v4
	v_dual_add_f32 v15, v15, v7 :: v_dual_add_f32 v14, v14, v6
	s_delay_alu instid0(VALU_DEP_2) | instskip(NEXT) | instid1(VALU_DEP_2)
	v_min3_f32 v12, v12, v13, v84
	v_min_f32_e32 v13, v14, v15
	s_delay_alu instid0(VALU_DEP_1)
	v_min3_f32 v14, v18, v13, v12
	v_add_co_u32 v12, vcc_lo, v38, v16
	v_add_co_ci_u32_e32 v13, vcc_lo, v39, v17, vcc_lo
	global_store_b32 v[12:13], v14, off
	s_or_b32 exec_lo, exec_lo, s0
	s_and_b32 s1, s6, s8
	s_delay_alu instid0(SALU_CYCLE_1)
	s_and_saveexec_b32 s0, s1
	s_cbranch_execz .LBB24_338
.LBB24_364:
	v_cmp_ne_u32_e32 vcc_lo, 1, v105
	v_lshlrev_b64 v[12:13], 2, v[76:77]
	s_cbranch_vccnz .LBB24_366
; %bb.365:
	s_delay_alu instid0(VALU_DEP_1) | instskip(NEXT) | instid1(VALU_DEP_2)
	v_add_co_u32 v14, vcc_lo, v40, v12
	v_add_co_ci_u32_e32 v15, vcc_lo, v41, v13, vcc_lo
	flat_load_b32 v14, v[14:15]
	s_waitcnt vmcnt(0) lgkmcnt(0)
	v_mul_f32_e32 v14, s15, v14
	s_branch .LBB24_367
.LBB24_366:
	v_mov_b32_e32 v14, 0
.LBB24_367:
	v_dual_add_f32 v9, v9, v5 :: v_dual_add_f32 v8, v8, v4
	v_dual_add_f32 v11, v11, v7 :: v_dual_add_f32 v10, v10, v6
	s_delay_alu instid0(VALU_DEP_2) | instskip(NEXT) | instid1(VALU_DEP_2)
	v_min3_f32 v8, v8, v9, v83
	v_min_f32_e32 v9, v10, v11
	s_delay_alu instid0(VALU_DEP_1)
	v_min3_f32 v10, v14, v9, v8
	v_add_co_u32 v8, vcc_lo, v38, v12
	v_add_co_ci_u32_e32 v9, vcc_lo, v39, v13, vcc_lo
	global_store_b32 v[8:9], v10, off
	s_or_b32 exec_lo, exec_lo, s0
	s_and_b32 s0, s7, s8
	s_delay_alu instid0(SALU_CYCLE_1)
	s_and_saveexec_b32 s1, s0
	s_cbranch_execz .LBB24_339
.LBB24_368:
	v_cmp_ne_u32_e32 vcc_lo, 1, v105
	v_lshlrev_b64 v[8:9], 2, v[78:79]
	s_cbranch_vccnz .LBB24_370
; %bb.369:
	s_delay_alu instid0(VALU_DEP_1) | instskip(NEXT) | instid1(VALU_DEP_2)
	v_add_co_u32 v10, vcc_lo, v40, v8
	v_add_co_ci_u32_e32 v11, vcc_lo, v41, v9, vcc_lo
	flat_load_b32 v10, v[10:11]
	s_waitcnt vmcnt(0) lgkmcnt(0)
	v_mul_f32_e32 v10, s15, v10
	s_branch .LBB24_371
.LBB24_370:
	v_mov_b32_e32 v10, 0
.LBB24_371:
	v_dual_add_f32 v1, v1, v5 :: v_dual_add_f32 v0, v0, v4
	v_dual_add_f32 v3, v3, v7 :: v_dual_add_f32 v2, v2, v6
	s_delay_alu instid0(VALU_DEP_2) | instskip(NEXT) | instid1(VALU_DEP_2)
	v_min3_f32 v0, v0, v1, v82
	v_min_f32_e32 v1, v2, v3
	s_delay_alu instid0(VALU_DEP_1)
	v_min3_f32 v2, v10, v1, v0
	v_add_co_u32 v0, vcc_lo, v38, v8
	v_add_co_ci_u32_e32 v1, vcc_lo, v39, v9, vcc_lo
	global_store_b32 v[0:1], v2, off
	s_nop 0
	s_sendmsg sendmsg(MSG_DEALLOC_VGPRS)
	s_endpgm
	.section	.rodata,"a",@progbits
	.p2align	6, 0x0
	.amdhsa_kernel _ZN12_GLOBAL__N_120geam_min_plus_kernelIf15HIP_vector_typeIfLj2EEfLi8ELi32ELi64ELi256ELi4ELi4ELi64ELi64ELi4ELc84ELc84ELb0ELb1ELb1EPKfKS4_KPfEEviiiT16_PT17_ilSA_ilS8_SA_ilPT18_ili26rocblas_geam_ex_operation_
		.amdhsa_group_segment_fixed_size 10240
		.amdhsa_private_segment_fixed_size 84
		.amdhsa_kernarg_size 136
		.amdhsa_user_sgpr_count 14
		.amdhsa_user_sgpr_dispatch_ptr 0
		.amdhsa_user_sgpr_queue_ptr 0
		.amdhsa_user_sgpr_kernarg_segment_ptr 1
		.amdhsa_user_sgpr_dispatch_id 0
		.amdhsa_user_sgpr_private_segment_size 0
		.amdhsa_wavefront_size32 1
		.amdhsa_uses_dynamic_stack 0
		.amdhsa_enable_private_segment 1
		.amdhsa_system_sgpr_workgroup_id_x 1
		.amdhsa_system_sgpr_workgroup_id_y 0
		.amdhsa_system_sgpr_workgroup_id_z 1
		.amdhsa_system_sgpr_workgroup_info 0
		.amdhsa_system_vgpr_workitem_id 1
		.amdhsa_next_free_vgpr 256
		.amdhsa_next_free_sgpr 29
		.amdhsa_reserve_vcc 1
		.amdhsa_float_round_mode_32 0
		.amdhsa_float_round_mode_16_64 0
		.amdhsa_float_denorm_mode_32 3
		.amdhsa_float_denorm_mode_16_64 3
		.amdhsa_dx10_clamp 1
		.amdhsa_ieee_mode 1
		.amdhsa_fp16_overflow 0
		.amdhsa_workgroup_processor_mode 1
		.amdhsa_memory_ordered 1
		.amdhsa_forward_progress 0
		.amdhsa_shared_vgpr_count 0
		.amdhsa_exception_fp_ieee_invalid_op 0
		.amdhsa_exception_fp_denorm_src 0
		.amdhsa_exception_fp_ieee_div_zero 0
		.amdhsa_exception_fp_ieee_overflow 0
		.amdhsa_exception_fp_ieee_underflow 0
		.amdhsa_exception_fp_ieee_inexact 0
		.amdhsa_exception_int_div_zero 0
	.end_amdhsa_kernel
	.section	.text._ZN12_GLOBAL__N_120geam_min_plus_kernelIf15HIP_vector_typeIfLj2EEfLi8ELi32ELi64ELi256ELi4ELi4ELi64ELi64ELi4ELc84ELc84ELb0ELb1ELb1EPKfKS4_KPfEEviiiT16_PT17_ilSA_ilS8_SA_ilPT18_ili26rocblas_geam_ex_operation_,"axG",@progbits,_ZN12_GLOBAL__N_120geam_min_plus_kernelIf15HIP_vector_typeIfLj2EEfLi8ELi32ELi64ELi256ELi4ELi4ELi64ELi64ELi4ELc84ELc84ELb0ELb1ELb1EPKfKS4_KPfEEviiiT16_PT17_ilSA_ilS8_SA_ilPT18_ili26rocblas_geam_ex_operation_,comdat
.Lfunc_end24:
	.size	_ZN12_GLOBAL__N_120geam_min_plus_kernelIf15HIP_vector_typeIfLj2EEfLi8ELi32ELi64ELi256ELi4ELi4ELi64ELi64ELi4ELc84ELc84ELb0ELb1ELb1EPKfKS4_KPfEEviiiT16_PT17_ilSA_ilS8_SA_ilPT18_ili26rocblas_geam_ex_operation_, .Lfunc_end24-_ZN12_GLOBAL__N_120geam_min_plus_kernelIf15HIP_vector_typeIfLj2EEfLi8ELi32ELi64ELi256ELi4ELi4ELi64ELi64ELi4ELc84ELc84ELb0ELb1ELb1EPKfKS4_KPfEEviiiT16_PT17_ilSA_ilS8_SA_ilPT18_ili26rocblas_geam_ex_operation_
                                        ; -- End function
	.section	.AMDGPU.csdata,"",@progbits
; Kernel info:
; codeLenInByte = 21588
; NumSgprs: 31
; NumVgprs: 256
; ScratchSize: 84
; MemoryBound: 0
; FloatMode: 240
; IeeeMode: 1
; LDSByteSize: 10240 bytes/workgroup (compile time only)
; SGPRBlocks: 3
; VGPRBlocks: 31
; NumSGPRsForWavesPerEU: 31
; NumVGPRsForWavesPerEU: 256
; Occupancy: 5
; WaveLimiterHint : 1
; COMPUTE_PGM_RSRC2:SCRATCH_EN: 1
; COMPUTE_PGM_RSRC2:USER_SGPR: 14
; COMPUTE_PGM_RSRC2:TRAP_HANDLER: 0
; COMPUTE_PGM_RSRC2:TGID_X_EN: 1
; COMPUTE_PGM_RSRC2:TGID_Y_EN: 0
; COMPUTE_PGM_RSRC2:TGID_Z_EN: 1
; COMPUTE_PGM_RSRC2:TIDIG_COMP_CNT: 1
	.section	.text._ZN12_GLOBAL__N_120geam_min_plus_kernelIf15HIP_vector_typeIfLj2EEfLi8ELi32ELi64ELi256ELi4ELi4ELi64ELi64ELi4ELc84ELc84ELb1ELb1ELb1EfKPKfKPfEEviiiT16_PT17_ilSA_ilS8_SA_ilPT18_ili26rocblas_geam_ex_operation_,"axG",@progbits,_ZN12_GLOBAL__N_120geam_min_plus_kernelIf15HIP_vector_typeIfLj2EEfLi8ELi32ELi64ELi256ELi4ELi4ELi64ELi64ELi4ELc84ELc84ELb1ELb1ELb1EfKPKfKPfEEviiiT16_PT17_ilSA_ilS8_SA_ilPT18_ili26rocblas_geam_ex_operation_,comdat
	.globl	_ZN12_GLOBAL__N_120geam_min_plus_kernelIf15HIP_vector_typeIfLj2EEfLi8ELi32ELi64ELi256ELi4ELi4ELi64ELi64ELi4ELc84ELc84ELb1ELb1ELb1EfKPKfKPfEEviiiT16_PT17_ilSA_ilS8_SA_ilPT18_ili26rocblas_geam_ex_operation_ ; -- Begin function _ZN12_GLOBAL__N_120geam_min_plus_kernelIf15HIP_vector_typeIfLj2EEfLi8ELi32ELi64ELi256ELi4ELi4ELi64ELi64ELi4ELc84ELc84ELb1ELb1ELb1EfKPKfKPfEEviiiT16_PT17_ilSA_ilS8_SA_ilPT18_ili26rocblas_geam_ex_operation_
	.p2align	8
	.type	_ZN12_GLOBAL__N_120geam_min_plus_kernelIf15HIP_vector_typeIfLj2EEfLi8ELi32ELi64ELi256ELi4ELi4ELi64ELi64ELi4ELc84ELc84ELb1ELb1ELb1EfKPKfKPfEEviiiT16_PT17_ilSA_ilS8_SA_ilPT18_ili26rocblas_geam_ex_operation_,@function
_ZN12_GLOBAL__N_120geam_min_plus_kernelIf15HIP_vector_typeIfLj2EEfLi8ELi32ELi64ELi256ELi4ELi4ELi64ELi64ELi4ELc84ELc84ELb1ELb1ELb1EfKPKfKPfEEviiiT16_PT17_ilSA_ilS8_SA_ilPT18_ili26rocblas_geam_ex_operation_: ; @_ZN12_GLOBAL__N_120geam_min_plus_kernelIf15HIP_vector_typeIfLj2EEfLi8ELi32ELi64ELi256ELi4ELi4ELi64ELi64ELi4ELc84ELc84ELb1ELb1ELb1EfKPKfKPfEEviiiT16_PT17_ilSA_ilS8_SA_ilPT18_ili26rocblas_geam_ex_operation_
; %bb.0:
	s_clause 0x1
	s_load_b128 s[16:19], s[0:1], 0x0
	s_load_b128 s[4:7], s[0:1], 0x20
	s_mov_b32 s2, s15
	s_mov_b32 s3, 0
	s_waitcnt lgkmcnt(0)
	v_cmp_eq_f32_e64 s10, s19, 0
	s_delay_alu instid0(VALU_DEP_1)
	s_and_b32 vcc_lo, exec_lo, s10
	s_cbranch_vccnz .LBB25_3
; %bb.1:
	s_load_b64 s[8:9], s[0:1], 0x10
	s_lshl_b64 s[12:13], s[2:3], 3
	s_waitcnt lgkmcnt(0)
	s_add_u32 s8, s8, s12
	s_addc_u32 s9, s9, s13
	s_lshl_b64 s[4:5], s[4:5], 2
	s_load_b64 s[8:9], s[8:9], 0x0
	s_waitcnt lgkmcnt(0)
	s_add_u32 s8, s8, s4
	s_addc_u32 s9, s9, s5
	s_and_not1_b32 vcc_lo, exec_lo, s10
	s_cbranch_vccnz .LBB25_4
.LBB25_2:
	s_mov_b64 s[20:21], 0
	s_and_not1_b32 vcc_lo, exec_lo, s3
	s_cbranch_vccz .LBB25_5
	s_branch .LBB25_6
.LBB25_3:
	s_mov_b64 s[8:9], 0
	s_and_not1_b32 vcc_lo, exec_lo, s10
	s_cbranch_vccz .LBB25_2
.LBB25_4:
	s_mov_b32 s3, -1
                                        ; implicit-def: $sgpr20_sgpr21
.LBB25_5:
	s_mov_b32 s3, 0
	s_load_b64 s[10:11], s[0:1], 0x38
	s_lshl_b64 s[4:5], s[2:3], 3
	s_delay_alu instid0(SALU_CYCLE_1) | instskip(SKIP_4) | instid1(SALU_CYCLE_1)
	s_add_u32 s4, s6, s4
	s_addc_u32 s5, s7, s5
	s_load_b64 s[4:5], s[4:5], 0x0
	s_waitcnt lgkmcnt(0)
	s_lshl_b64 s[6:7], s[10:11], 2
	s_add_u32 s20, s4, s6
	s_addc_u32 s21, s5, s7
.LBB25_6:
	s_clause 0x1
	s_load_b32 s15, s[0:1], 0x40
	s_load_b128 s[4:7], s[0:1], 0x58
	s_waitcnt lgkmcnt(0)
	v_cmp_eq_f32_e64 s10, s15, 0
	v_cmp_neq_f32_e64 s19, s15, 0
	s_delay_alu instid0(VALU_DEP_2)
	s_and_b32 vcc_lo, exec_lo, s10
	s_cbranch_vccnz .LBB25_8
; %bb.7:
	s_load_b64 s[10:11], s[0:1], 0x48
	s_lshl_b64 s[12:13], s[2:3], 3
	s_waitcnt lgkmcnt(0)
	s_add_u32 s10, s10, s12
	s_addc_u32 s11, s11, s13
	s_lshl_b64 s[4:5], s[4:5], 2
	s_load_b64 s[10:11], s[10:11], 0x0
	s_waitcnt lgkmcnt(0)
	s_add_u32 s10, s10, s4
	s_addc_u32 s11, s11, s5
	s_branch .LBB25_9
.LBB25_8:
	s_mov_b64 s[10:11], 0
.LBB25_9:
	s_lshl_b64 s[2:3], s[2:3], 3
	v_and_b32_e32 v18, 0x3ff, v0
	s_add_u32 s4, s6, s2
	s_addc_u32 s5, s7, s3
	s_add_i32 s2, s16, -1
	v_bfe_u32 v19, v0, 10, 10
	s_ashr_i32 s3, s2, 31
	s_load_b32 s26, s[0:1], 0x18
	s_lshr_b32 s3, s3, 26
	v_and_b32_e32 v72, 3, v18
	s_add_i32 s2, s2, s3
	v_lshl_add_u32 v2, v19, 3, v18
	s_ashr_i32 s2, s2, 6
	s_delay_alu instid0(SALU_CYCLE_1) | instskip(SKIP_3) | instid1(VALU_DEP_2)
	s_add_i32 s6, s2, 1
	s_not_b32 s2, s2
	v_cvt_f32_u32_e32 v1, s6
	v_lshrrev_b32_e32 v12, 2, v2
	v_rcp_iflag_f32_e32 v1, v1
	s_waitcnt_depctr 0xfff
	v_mul_f32_e32 v1, 0x4f7ffffe, v1
	s_delay_alu instid0(VALU_DEP_1) | instskip(NEXT) | instid1(VALU_DEP_1)
	v_cvt_u32_f32_e32 v1, v1
	v_readfirstlane_b32 s3, v1
	v_dual_mov_b32 v1, 0x7f7fffff :: v_dual_mov_b32 v0, 0x7f7fffff
	v_lshlrev_b32_e32 v11, 2, v72
	s_delay_alu instid0(VALU_DEP_3) | instskip(NEXT) | instid1(SALU_CYCLE_1)
	s_mul_i32 s2, s2, s3
	s_mul_hi_u32 s2, s3, s2
	s_delay_alu instid0(SALU_CYCLE_1) | instskip(NEXT) | instid1(SALU_CYCLE_1)
	s_add_i32 s3, s3, s2
	s_mul_hi_u32 s2, s14, s3
	s_delay_alu instid0(SALU_CYCLE_1) | instskip(SKIP_2) | instid1(SALU_CYCLE_1)
	s_mul_i32 s3, s2, s6
	s_add_i32 s7, s2, 1
	s_sub_i32 s3, s14, s3
	s_sub_i32 s12, s3, s6
	s_cmp_ge_u32 s3, s6
	s_cselect_b32 s2, s7, s2
	s_cselect_b32 s3, s12, s3
	s_add_i32 s7, s2, 1
	s_cmp_ge_u32 s3, s6
	s_load_b64 s[12:13], s[4:5], 0x0
	s_cselect_b32 s3, s7, s2
	s_delay_alu instid0(SALU_CYCLE_1) | instskip(NEXT) | instid1(SALU_CYCLE_1)
	s_mul_i32 s27, s3, s6
	s_sub_i32 s2, s14, s27
	s_delay_alu instid0(SALU_CYCLE_1) | instskip(SKIP_2) | instid1(VALU_DEP_1)
	s_lshl_b32 s7, s2, 6
	v_cmp_gt_i32_e64 s2, s18, v72
	v_add_nc_u32_e32 v6, s7, v12
	v_cmp_le_i32_e32 vcc_lo, s16, v6
	s_xor_b32 s25, vcc_lo, -1
	s_delay_alu instid0(VALU_DEP_3) | instid1(SALU_CYCLE_1)
	s_and_b32 s4, s2, s25
	s_delay_alu instid0(SALU_CYCLE_1)
	s_and_saveexec_b32 s2, s4
	s_cbranch_execz .LBB25_11
; %bb.10:
	s_waitcnt lgkmcnt(0)
	v_mad_i64_i32 v[3:4], null, v6, s26, 0
	s_delay_alu instid0(VALU_DEP_1) | instskip(NEXT) | instid1(VALU_DEP_1)
	v_lshlrev_b64 v[3:4], 2, v[3:4]
	v_add_co_u32 v1, vcc_lo, s8, v3
	s_delay_alu instid0(VALU_DEP_2) | instskip(NEXT) | instid1(VALU_DEP_2)
	v_add_co_ci_u32_e32 v4, vcc_lo, s9, v4, vcc_lo
	v_add_co_u32 v3, vcc_lo, v1, v11
	s_delay_alu instid0(VALU_DEP_2)
	v_add_co_ci_u32_e32 v4, vcc_lo, 0, v4, vcc_lo
	flat_load_b32 v1, v[3:4]
.LBB25_11:
	s_or_b32 exec_lo, exec_lo, s2
	s_load_b32 s22, s[0:1], 0x30
	v_lshrrev_b32_e32 v73, 6, v2
	v_and_b32_e32 v2, 63, v2
	s_lshl_b32 s24, s3, 8
	s_delay_alu instid0(VALU_DEP_2) | instskip(NEXT) | instid1(VALU_DEP_2)
	v_cmp_le_i32_e64 s5, s18, v73
	v_or_b32_e32 v16, s24, v2
	s_delay_alu instid0(VALU_DEP_1) | instskip(SKIP_3) | instid1(VALU_DEP_1)
	v_cmp_le_i32_e32 vcc_lo, s17, v16
	v_ashrrev_i32_e32 v17, 31, v16
	s_waitcnt lgkmcnt(0)
	v_mad_i64_i32 v[3:4], null, s22, v73, 0
	v_lshlrev_b64 v[3:4], 2, v[3:4]
	s_delay_alu instid0(VALU_DEP_1) | instskip(NEXT) | instid1(VALU_DEP_1)
	v_add_co_u32 v7, s2, s20, v3
	v_add_co_ci_u32_e64 v8, s2, s21, v4, s2
	s_or_b32 s2, vcc_lo, s5
	s_delay_alu instid0(SALU_CYCLE_1) | instskip(NEXT) | instid1(SALU_CYCLE_1)
	s_xor_b32 s2, s2, -1
	s_and_saveexec_b32 s3, s2
	s_cbranch_execz .LBB25_13
; %bb.12:
	v_lshlrev_b64 v[3:4], 2, v[16:17]
	s_delay_alu instid0(VALU_DEP_1) | instskip(NEXT) | instid1(VALU_DEP_1)
	v_add_co_u32 v3, s2, v7, v3
	v_add_co_ci_u32_e64 v4, s2, v8, v4, s2
	flat_load_b32 v0, v[3:4]
.LBB25_13:
	s_or_b32 exec_lo, exec_lo, s3
	v_or_b32_e32 v3, 64, v16
	v_mov_b32_e32 v4, 0x7f7fffff
	s_delay_alu instid0(VALU_DEP_2) | instskip(SKIP_1) | instid1(VALU_DEP_2)
	v_cmp_le_i32_e64 s2, s17, v3
	v_mov_b32_e32 v3, 0x7f7fffff
	s_or_b32 s3, s2, s5
	s_delay_alu instid0(SALU_CYCLE_1) | instskip(NEXT) | instid1(SALU_CYCLE_1)
	s_xor_b32 s3, s3, -1
	s_and_saveexec_b32 s4, s3
	s_cbranch_execz .LBB25_15
; %bb.14:
	v_lshlrev_b64 v[4:5], 2, v[16:17]
	s_delay_alu instid0(VALU_DEP_1) | instskip(NEXT) | instid1(VALU_DEP_1)
	v_add_co_u32 v4, s3, v7, v4
	v_add_co_ci_u32_e64 v5, s3, v8, v5, s3
	flat_load_b32 v4, v[4:5] offset:256
.LBB25_15:
	s_or_b32 exec_lo, exec_lo, s4
	v_or_b32_e32 v5, 0x80, v16
	s_ashr_i32 s23, s22, 31
	s_delay_alu instid0(VALU_DEP_1) | instskip(NEXT) | instid1(VALU_DEP_1)
	v_cmp_le_i32_e64 s3, s17, v5
	s_or_b32 s4, s3, s5
	s_delay_alu instid0(SALU_CYCLE_1) | instskip(NEXT) | instid1(SALU_CYCLE_1)
	s_xor_b32 s4, s4, -1
	s_and_saveexec_b32 s6, s4
	s_cbranch_execz .LBB25_17
; %bb.16:
	v_lshlrev_b64 v[9:10], 2, v[16:17]
	s_delay_alu instid0(VALU_DEP_1) | instskip(NEXT) | instid1(VALU_DEP_1)
	v_add_co_u32 v9, s4, v7, v9
	v_add_co_ci_u32_e64 v10, s4, v8, v10, s4
	flat_load_b32 v3, v[9:10] offset:512
.LBB25_17:
	s_or_b32 exec_lo, exec_lo, s6
	v_or_b32_e32 v5, 0xc0, v16
	v_mov_b32_e32 v13, 0x7f7fffff
	s_delay_alu instid0(VALU_DEP_2) | instskip(SKIP_1) | instid1(VALU_DEP_2)
	v_cmp_le_i32_e64 s4, s17, v5
	v_mov_b32_e32 v5, 0x7f7fffff
	s_or_b32 s5, s4, s5
	s_delay_alu instid0(SALU_CYCLE_1) | instskip(NEXT) | instid1(SALU_CYCLE_1)
	s_xor_b32 s5, s5, -1
	s_and_saveexec_b32 s6, s5
	s_cbranch_execz .LBB25_19
; %bb.18:
	v_lshlrev_b64 v[9:10], 2, v[16:17]
	s_delay_alu instid0(VALU_DEP_1) | instskip(NEXT) | instid1(VALU_DEP_1)
	v_add_co_u32 v7, s5, v7, v9
	v_add_co_ci_u32_e64 v8, s5, v8, v10, s5
	flat_load_b32 v5, v[7:8] offset:768
.LBB25_19:
	s_or_b32 exec_lo, exec_lo, s6
	v_or_b32_e32 v7, 4, v72
	s_delay_alu instid0(VALU_DEP_1) | instskip(NEXT) | instid1(VALU_DEP_1)
	v_cmp_gt_i32_e64 s5, s18, v7
	s_and_b32 s5, s5, s25
	s_delay_alu instid0(SALU_CYCLE_1)
	s_and_saveexec_b32 s6, s5
	s_cbranch_execz .LBB25_21
; %bb.20:
	v_mad_i64_i32 v[7:8], null, v6, s26, 0
	s_delay_alu instid0(VALU_DEP_1) | instskip(NEXT) | instid1(VALU_DEP_1)
	v_lshlrev_b64 v[6:7], 2, v[7:8]
	v_add_co_u32 v6, s5, s8, v6
	s_delay_alu instid0(VALU_DEP_1) | instskip(NEXT) | instid1(VALU_DEP_2)
	v_add_co_ci_u32_e64 v7, s5, s9, v7, s5
	v_add_co_u32 v6, s5, v6, v11
	s_delay_alu instid0(VALU_DEP_1)
	v_add_co_ci_u32_e64 v7, s5, 0, v7, s5
	flat_load_b32 v13, v[6:7] offset:16
.LBB25_21:
	s_or_b32 exec_lo, exec_lo, s6
	v_add_nc_u32_e32 v8, 4, v73
	v_mov_b32_e32 v10, 0x7f7fffff
	s_delay_alu instid0(VALU_DEP_2) | instskip(SKIP_2) | instid1(VALU_DEP_3)
	v_mad_i64_i32 v[6:7], null, s22, v8, 0
	v_cmp_le_i32_e64 s5, s18, v8
	v_mov_b32_e32 v8, 0x7f7fffff
	v_lshlrev_b64 v[6:7], 2, v[6:7]
	s_delay_alu instid0(VALU_DEP_1) | instskip(NEXT) | instid1(VALU_DEP_1)
	v_add_co_u32 v6, s6, s20, v6
	v_add_co_ci_u32_e64 v7, s6, s21, v7, s6
	s_or_b32 s6, vcc_lo, s5
	s_delay_alu instid0(SALU_CYCLE_1) | instskip(NEXT) | instid1(SALU_CYCLE_1)
	s_xor_b32 s6, s6, -1
	s_and_saveexec_b32 s28, s6
	s_cbranch_execz .LBB25_23
; %bb.22:
	v_lshlrev_b64 v[8:9], 2, v[16:17]
	s_delay_alu instid0(VALU_DEP_1) | instskip(NEXT) | instid1(VALU_DEP_1)
	v_add_co_u32 v8, s6, v6, v8
	v_add_co_ci_u32_e64 v9, s6, v7, v9, s6
	flat_load_b32 v8, v[8:9]
.LBB25_23:
	s_or_b32 exec_lo, exec_lo, s28
	s_or_b32 s6, s2, s5
	s_waitcnt vmcnt(0) lgkmcnt(0)
	scratch_store_b32 off, v8, off offset:8 ; 4-byte Folded Spill
	s_xor_b32 s6, s6, -1
	s_delay_alu instid0(SALU_CYCLE_1)
	s_and_saveexec_b32 s28, s6
	s_cbranch_execz .LBB25_25
; %bb.24:
	v_lshlrev_b64 v[8:9], 2, v[16:17]
	s_delay_alu instid0(VALU_DEP_1) | instskip(NEXT) | instid1(VALU_DEP_1)
	v_add_co_u32 v8, s6, v6, v8
	v_add_co_ci_u32_e64 v9, s6, v7, v9, s6
	flat_load_b32 v10, v[8:9] offset:256
.LBB25_25:
	s_or_b32 exec_lo, exec_lo, s28
	v_mov_b32_e32 v152, 0x7f7fffff
	v_mov_b32_e32 v24, 0x7f7fffff
	s_or_b32 s6, s3, s5
	s_delay_alu instid0(SALU_CYCLE_1) | instskip(NEXT) | instid1(SALU_CYCLE_1)
	s_xor_b32 s6, s6, -1
	s_and_saveexec_b32 s28, s6
	s_cbranch_execz .LBB25_27
; %bb.26:
	v_lshlrev_b64 v[8:9], 2, v[16:17]
	s_delay_alu instid0(VALU_DEP_1) | instskip(NEXT) | instid1(VALU_DEP_1)
	v_add_co_u32 v8, s6, v6, v8
	v_add_co_ci_u32_e64 v9, s6, v7, v9, s6
	flat_load_b32 v24, v[8:9] offset:512
.LBB25_27:
	s_or_b32 exec_lo, exec_lo, s28
	s_or_b32 s5, s4, s5
	s_waitcnt vmcnt(0) lgkmcnt(0)
	s_clause 0x1
	scratch_store_b32 off, v10, off offset:4
	scratch_store_b32 off, v13, off
	s_xor_b32 s5, s5, -1
	s_delay_alu instid0(SALU_CYCLE_1)
	s_and_saveexec_b32 s6, s5
	s_cbranch_execz .LBB25_29
; %bb.28:
	v_lshlrev_b64 v[8:9], 2, v[16:17]
	s_delay_alu instid0(VALU_DEP_1) | instskip(NEXT) | instid1(VALU_DEP_1)
	v_add_co_u32 v6, s5, v6, v8
	v_add_co_ci_u32_e64 v7, s5, v7, v9, s5
	flat_load_b32 v152, v[6:7] offset:768
.LBB25_29:
	s_or_b32 exec_lo, exec_lo, s6
	v_lshlrev_b32_e32 v6, 2, v73
	v_lshl_or_b32 v7, v12, 4, v11
	v_lshlrev_b32_e32 v74, 4, v19
	v_lshlrev_b32_e32 v75, 4, v18
	s_cmp_lt_i32 s18, 9
	v_lshl_add_u32 v76, v2, 4, v6
	scratch_store_b32 off, v7, off offset:12 ; 4-byte Folded Spill
	ds_store_b32 v7, v1 offset:8192
	ds_store_2addr_stride64_b32 v76, v0, v4 offset1:4
	ds_store_2addr_stride64_b32 v76, v3, v5 offset0:8 offset1:12
	s_waitcnt vmcnt(0) lgkmcnt(0)
	s_waitcnt_vscnt null, 0x0
	s_barrier
	buffer_gl0_inv
	ds_load_b128 v[26:29], v74
	ds_load_b128 v[0:3], v75 offset:8192
	scratch_store_b32 off, v12, off offset:76 ; 4-byte Folded Spill
	s_waitcnt lgkmcnt(0)
	v_add_f32_e32 v20, v1, v27
	ds_load_b128 v[12:15], v75 offset:8320
	ds_load_b128 v[8:11], v75 offset:8448
	;; [unrolled: 1-line block ×4, first 2 shown]
	v_dual_add_f32 v147, v0, v26 :: v_dual_add_f32 v148, v3, v29
	v_add_f32_e32 v133, v2, v28
	scratch_store_b32 off, v20, off offset:24 ; 4-byte Folded Spill
	s_waitcnt lgkmcnt(2)
	v_dual_add_f32 v20, v13, v27 :: v_dual_add_f32 v139, v11, v29
	v_dual_add_f32 v146, v12, v26 :: v_dual_add_f32 v135, v14, v28
	v_add_f32_e32 v145, v8, v26
	scratch_store_b32 off, v20, off offset:28 ; 4-byte Folded Spill
	v_dual_add_f32 v20, v9, v27 :: v_dual_add_f32 v87, v10, v28
	v_add_f32_e32 v138, v15, v29
	s_waitcnt lgkmcnt(1)
	v_dual_add_f32 v140, v7, v29 :: v_dual_add_f32 v131, v6, v28
	scratch_store_b32 off, v20, off offset:32 ; 4-byte Folded Spill
	v_add_f32_e32 v20, v5, v27
	s_waitcnt lgkmcnt(0)
	v_dual_add_f32 v90, v0, v30 :: v_dual_add_f32 v109, v11, v33
	v_dual_add_f32 v92, v12, v30 :: v_dual_add_f32 v111, v7, v33
	scratch_store_b32 off, v20, off offset:36 ; 4-byte Folded Spill
	v_dual_add_f32 v20, v4, v26 :: v_dual_add_f32 v95, v5, v31
	v_add_f32_e32 v106, v2, v32
	v_add_f32_e32 v108, v14, v32
	;; [unrolled: 1-line block ×3, first 2 shown]
	scratch_store_b32 off, v20, off offset:40 ; 4-byte Folded Spill
	ds_load_b128 v[34:37], v75 offset:8704
	ds_load_b128 v[38:41], v75 offset:8832
	v_add_f32_e32 v94, v8, v30
	v_dual_add_f32 v86, v3, v33 :: v_dual_add_f32 v89, v1, v31
	v_add_f32_e32 v85, v6, v32
	v_add_f32_e32 v107, v15, v33
	;; [unrolled: 1-line block ×4, first 2 shown]
	s_waitcnt lgkmcnt(1)
	v_dual_add_f32 v20, v35, v27 :: v_dual_add_f32 v141, v37, v29
	v_dual_add_f32 v113, v37, v33 :: v_dual_add_f32 v144, v34, v26
	s_waitcnt lgkmcnt(0)
	v_add_f32_e32 v143, v41, v29
	scratch_store_b32 off, v20, off offset:44 ; 4-byte Folded Spill
	v_add_f32_e32 v20, v39, v27
	v_dual_add_f32 v132, v36, v28 :: v_dual_add_f32 v97, v35, v31
	v_dual_add_f32 v134, v40, v28 :: v_dual_add_f32 v99, v39, v31
	scratch_store_b32 off, v20, off offset:48 ; 4-byte Folded Spill
	v_add_f32_e32 v20, v38, v26
	v_add_f32_e32 v100, v38, v30
	v_dual_add_f32 v114, v36, v32 :: v_dual_add_f32 v115, v41, v33
	scratch_store_b32 off, v20, off offset:52 ; 4-byte Folded Spill
	ds_load_b128 v[42:45], v75 offset:8960
	ds_load_b128 v[46:49], v75 offset:9088
	v_add_f32_e32 v96, v4, v30
	v_add_f32_e32 v98, v34, v30
	;; [unrolled: 1-line block ×3, first 2 shown]
	s_waitcnt lgkmcnt(1)
	v_add_f32_e32 v20, v43, v27
	s_waitcnt lgkmcnt(0)
	v_dual_add_f32 v136, v44, v28 :: v_dual_add_f32 v103, v47, v31
	v_dual_add_f32 v137, v49, v29 :: v_dual_add_f32 v88, v48, v28
	scratch_store_b32 off, v20, off offset:56 ; 4-byte Folded Spill
	v_add_f32_e32 v20, v42, v26
	v_add_f32_e32 v102, v42, v30
	v_dual_add_f32 v104, v46, v30 :: v_dual_add_f32 v117, v45, v33
	v_add_f32_e32 v101, v43, v31
	scratch_store_b32 off, v20, off offset:64 ; 4-byte Folded Spill
	v_add_f32_e32 v20, v47, v27
	v_dual_add_f32 v118, v44, v32 :: v_dual_add_f32 v119, v49, v33
	v_add_f32_e32 v120, v48, v32
	scratch_store_b32 off, v20, off offset:60 ; 4-byte Folded Spill
	v_add_f32_e32 v20, v46, v26
	scratch_store_b32 off, v20, off offset:68 ; 4-byte Folded Spill
	;; [unrolled: 2-line block ×3, first 2 shown]
	ds_load_b128 v[26:29], v74 offset:1024
	ds_load_b128 v[30:33], v74 offset:1536
	s_waitcnt lgkmcnt(1)
	v_dual_add_f32 v121, v1, v27 :: v_dual_add_f32 v122, v0, v26
	v_add_f32_e32 v157, v14, v28
	v_dual_add_f32 v123, v13, v27 :: v_dual_add_f32 v124, v12, v26
	v_add_f32_e32 v159, v10, v28
	;; [unrolled: 2-line block ×3, first 2 shown]
	v_dual_add_f32 v127, v5, v27 :: v_dual_add_f32 v128, v4, v26
	s_waitcnt lgkmcnt(0)
	v_dual_add_f32 v187, v2, v32 :: v_dual_add_f32 v82, v35, v27
	v_add_f32_e32 v163, v36, v28
	v_add_f32_e32 v149, v34, v26
	v_add_f32_e32 v83, v39, v27
	v_dual_add_f32 v151, v38, v26 :: v_dual_add_f32 v84, v43, v27
	v_add_f32_e32 v165, v40, v28
	v_dual_add_f32 v153, v42, v26 :: v_dual_add_f32 v154, v47, v27
	v_add_f32_e32 v167, v44, v28
	v_add_f32_e32 v155, v46, v26
	v_dual_add_f32 v129, v3, v29 :: v_dual_add_f32 v130, v2, v28
	v_dual_add_f32 v175, v8, v30 :: v_dual_add_f32 v156, v15, v29
	v_dual_add_f32 v169, v48, v28 :: v_dual_add_f32 v158, v11, v29
	v_dual_add_f32 v177, v4, v30 :: v_dual_add_f32 v160, v7, v29
	v_dual_add_f32 v181, v38, v30 :: v_dual_add_f32 v162, v37, v29
	v_dual_add_f32 v183, v42, v30 :: v_dual_add_f32 v164, v41, v29
	v_dual_add_f32 v185, v46, v30 :: v_dual_add_f32 v166, v45, v29
	v_dual_add_f32 v189, v14, v32 :: v_dual_add_f32 v168, v49, v29
	v_dual_add_f32 v191, v10, v32 :: v_dual_add_f32 v170, v1, v31
	v_add_f32_e32 v193, v6, v32
	v_dual_add_f32 v171, v0, v30 :: v_dual_add_f32 v172, v13, v31
	v_add_f32_e32 v195, v36, v32
	v_dual_add_f32 v173, v12, v30 :: v_dual_add_f32 v174, v9, v31
	v_dual_add_f32 v197, v40, v32 :: v_dual_add_f32 v176, v5, v31
	;; [unrolled: 1-line block ×3, first 2 shown]
	v_add_f32_e32 v201, v48, v32
	v_dual_add_f32 v179, v34, v30 :: v_dual_add_f32 v180, v39, v31
	v_add_f32_e32 v182, v43, v31
	v_add_f32_e32 v184, v47, v31
	;; [unrolled: 1-line block ×10, first 2 shown]
	ds_load_b128 v[26:29], v74 offset:2048
	ds_load_b128 v[30:33], v74 offset:2560
	s_clause 0x1
	scratch_store_b32 off, v18, off offset:16
	scratch_store_b32 off, v19, off offset:20
	s_waitcnt lgkmcnt(1)
	v_dual_add_f32 v202, v1, v27 :: v_dual_add_f32 v225, v6, v28
	v_dual_add_f32 v203, v0, v26 :: v_dual_add_f32 v204, v13, v27
	v_add_f32_e32 v227, v36, v28
	v_dual_add_f32 v205, v12, v26 :: v_dual_add_f32 v206, v9, v27
	v_add_f32_e32 v229, v40, v28
	;; [unrolled: 2-line block ×4, first 2 shown]
	v_dual_add_f32 v211, v34, v26 :: v_dual_add_f32 v212, v39, v27
	s_waitcnt lgkmcnt(0)
	v_add_f32_e32 v235, v0, v30
	v_dual_add_f32 v213, v38, v26 :: v_dual_add_f32 v214, v43, v27
	v_add_f32_e32 v237, v12, v30
	v_dual_add_f32 v215, v42, v26 :: v_dual_add_f32 v216, v47, v27
	;; [unrolled: 2-line block ×6, first 2 shown]
	v_dual_add_f32 v247, v42, v30 :: v_dual_add_f32 v226, v37, v29
	v_dual_add_f32 v249, v46, v30 :: v_dual_add_f32 v228, v41, v29
	v_dual_add_f32 v251, v2, v32 :: v_dual_add_f32 v230, v45, v29
	v_dual_add_f32 v253, v14, v32 :: v_dual_add_f32 v232, v49, v29
	v_dual_add_f32 v255, v10, v32 :: v_dual_add_f32 v234, v1, v31
	v_dual_add_f32 v71, v7, v33 :: v_dual_add_f32 v236, v13, v31
	v_dual_add_f32 v19, v36, v32 :: v_dual_add_f32 v238, v9, v31
	v_dual_add_f32 v53, v48, v32 :: v_dual_add_f32 v240, v5, v31
	v_dual_add_f32 v242, v35, v31 :: v_dual_add_f32 v51, v49, v33
	v_add_f32_e32 v244, v39, v31
	v_add_f32_e32 v246, v43, v31
	;; [unrolled: 1-line block ×12, first 2 shown]
	ds_load_b128 v[26:29], v74 offset:3072
	ds_load_b128 v[30:33], v74 offset:3584
	s_waitcnt lgkmcnt(1)
	v_add_f32_e32 v81, v15, v29
	v_add_f32_e32 v57, v0, v26
	;; [unrolled: 1-line block ×6, first 2 shown]
	v_dual_add_f32 v66, v38, v26 :: v_dual_add_f32 v23, v40, v28
	v_add_f32_e32 v68, v42, v26
	v_add_f32_e32 v26, v46, v26
	s_waitcnt lgkmcnt(0)
	v_add_f32_e32 v0, v0, v30
	v_add_f32_e32 v12, v12, v30
	;; [unrolled: 1-line block ×8, first 2 shown]
	scratch_load_b32 v46, off, off offset:24 ; 4-byte Folded Reload
	v_add_f32_e32 v55, v1, v27
	v_dual_add_f32 v58, v13, v27 :: v_dual_add_f32 v69, v11, v29
	v_add_f32_e32 v59, v9, v27
	v_add_f32_e32 v25, v5, v27
	v_dual_add_f32 v64, v35, v27 :: v_dual_add_f32 v21, v36, v28
	v_add_f32_e32 v65, v39, v27
	v_add_f32_e32 v20, v43, v27
	;; [unrolled: 1-line block ×5, first 2 shown]
	v_dual_add_f32 v78, v10, v28 :: v_dual_add_f32 v15, v15, v33
	v_dual_add_f32 v80, v7, v29 :: v_dual_add_f32 v9, v9, v31
	;; [unrolled: 1-line block ×7, first 2 shown]
	v_add_f32_e32 v5, v5, v31
	v_add_f32_e32 v1, v1, v31
	v_dual_add_f32 v13, v13, v31 :: v_dual_add_f32 v14, v14, v32
	v_add_f32_e32 v31, v47, v31
	v_add_f32_e32 v77, v3, v29
	v_dual_add_f32 v3, v3, v33 :: v_dual_add_f32 v2, v2, v32
	v_add_f32_e32 v41, v41, v33
	v_add_f32_e32 v7, v7, v33
	v_min3_f32 v0, v0, v1, 0x7f7fffff
	v_dual_add_f32 v45, v45, v33 :: v_dual_add_f32 v10, v10, v32
	v_add_f32_e32 v37, v37, v33
	v_dual_add_f32 v33, v49, v33 :: v_dual_add_f32 v6, v6, v32
	v_add_f32_e32 v36, v36, v32
	v_add_f32_e32 v40, v40, v32
	;; [unrolled: 1-line block ×3, first 2 shown]
	v_dual_add_f32 v32, v48, v32 :: v_dual_add_f32 v29, v49, v29
	s_waitcnt vmcnt(0)
	v_min3_f32 v46, v147, v46, 0x7f7fffff
	s_delay_alu instid0(VALU_DEP_1) | instskip(SKIP_3) | instid1(VALU_DEP_1)
	v_min3_f32 v148, v133, v148, v46
	scratch_load_b32 v46, off, off offset:28 ; 4-byte Folded Reload
	s_waitcnt vmcnt(0)
	v_min3_f32 v46, v146, v46, 0x7f7fffff
	v_min3_f32 v147, v135, v138, v46
	scratch_load_b32 v46, off, off offset:32 ; 4-byte Folded Reload
	s_waitcnt vmcnt(0)
	v_min3_f32 v46, v145, v46, 0x7f7fffff
	s_delay_alu instid0(VALU_DEP_1)
	v_min3_f32 v146, v87, v139, v46
	s_clause 0x1
	scratch_load_b32 v46, off, off offset:36
	scratch_load_b32 v47, off, off offset:40
	s_waitcnt vmcnt(0)
	v_min3_f32 v46, v47, v46, 0x7f7fffff
	s_delay_alu instid0(VALU_DEP_1) | instskip(SKIP_3) | instid1(VALU_DEP_1)
	v_min3_f32 v145, v131, v140, v46
	scratch_load_b32 v46, off, off offset:44 ; 4-byte Folded Reload
	s_waitcnt vmcnt(0)
	v_min3_f32 v46, v144, v46, 0x7f7fffff
	v_min3_f32 v144, v132, v141, v46
	s_clause 0x1
	scratch_load_b32 v46, off, off offset:48
	scratch_load_b32 v47, off, off offset:52
	s_waitcnt vmcnt(0)
	v_min3_f32 v46, v47, v46, 0x7f7fffff
	s_delay_alu instid0(VALU_DEP_1)
	v_min3_f32 v143, v134, v143, v46
	s_clause 0x1
	scratch_load_b32 v46, off, off offset:56
	scratch_load_b32 v47, off, off offset:64
	s_waitcnt vmcnt(0)
	v_min3_f32 v46, v47, v46, 0x7f7fffff
	scratch_load_b32 v47, off, off offset:72 ; 4-byte Folded Reload
	s_waitcnt vmcnt(0)
	v_min3_f32 v141, v136, v47, v46
	s_clause 0x1
	scratch_load_b32 v46, off, off offset:60
	scratch_load_b32 v47, off, off offset:68
	s_waitcnt vmcnt(0)
	v_min3_f32 v46, v47, v46, 0x7f7fffff
	s_delay_alu instid0(VALU_DEP_1)
	v_min3_f32 v140, v88, v137, v46
	v_min3_f32 v46, v90, v89, 0x7f7fffff
	;; [unrolled: 1-line block ×4, first 2 shown]
	scratch_load_b32 v3, off, off offset:12 ; 4-byte Folded Reload
	v_min3_f32 v139, v106, v86, v46
	v_min3_f32 v46, v92, v91, 0x7f7fffff
	v_min3_f32 v88, v14, v15, v0
	v_min3_f32 v0, v8, v9, 0x7f7fffff
	s_delay_alu instid0(VALU_DEP_3) | instskip(SKIP_1) | instid1(VALU_DEP_3)
	v_min3_f32 v138, v108, v107, v46
	v_min3_f32 v46, v94, v93, 0x7f7fffff
	v_min3_f32 v87, v10, v11, v0
	v_min3_f32 v0, v4, v5, 0x7f7fffff
	s_delay_alu instid0(VALU_DEP_3) | instskip(SKIP_1) | instid1(VALU_DEP_3)
	;; [unrolled: 5-line block ×3, first 2 shown]
	v_min3_f32 v136, v85, v111, v46
	v_min3_f32 v46, v98, v97, 0x7f7fffff
	;; [unrolled: 1-line block ×4, first 2 shown]
	s_delay_alu instid0(VALU_DEP_3) | instskip(SKIP_1) | instid1(VALU_DEP_1)
	v_min3_f32 v135, v114, v113, v46
	v_min3_f32 v46, v100, v99, 0x7f7fffff
	v_min3_f32 v134, v116, v115, v46
	v_min3_f32 v46, v102, v101, 0x7f7fffff
	s_delay_alu instid0(VALU_DEP_1) | instskip(SKIP_1) | instid1(VALU_DEP_1)
	v_min3_f32 v133, v118, v117, v46
	v_min3_f32 v46, v104, v103, 0x7f7fffff
	v_min3_f32 v132, v120, v119, v46
	v_min3_f32 v46, v122, v121, 0x7f7fffff
	s_delay_alu instid0(VALU_DEP_1) | instskip(SKIP_1) | instid1(VALU_DEP_1)
	;; [unrolled: 5-line block ×4, first 2 shown]
	v_min3_f32 v127, v163, v162, v46
	v_min3_f32 v46, v151, v83, 0x7f7fffff
	;; [unrolled: 1-line block ×6, first 2 shown]
	s_delay_alu instid0(VALU_DEP_3) | instskip(SKIP_1) | instid1(VALU_DEP_3)
	v_min3_f32 v125, v167, v166, v46
	v_min3_f32 v46, v155, v154, 0x7f7fffff
	;; [unrolled: 1-line block ×4, first 2 shown]
	s_delay_alu instid0(VALU_DEP_3) | instskip(SKIP_1) | instid1(VALU_DEP_3)
	v_min3_f32 v124, v169, v168, v46
	v_min3_f32 v46, v171, v170, 0x7f7fffff
	v_min3_f32 v82, v32, v33, v0
	s_clause 0x1
	scratch_load_b32 v0, off, off offset:4
	scratch_load_b32 v1, off, off offset:8
	s_waitcnt vmcnt(0)
	ds_store_2addr_stride64_b32 v76, v1, v0 offset0:16 offset1:20
	ds_store_2addr_stride64_b32 v76, v24, v152 offset0:24 offset1:28
	scratch_load_b32 v0, off, off           ; 4-byte Folded Reload
	v_min3_f32 v123, v187, v186, v46
	v_min3_f32 v46, v173, v172, 0x7f7fffff
	s_delay_alu instid0(VALU_DEP_1) | instskip(SKIP_1) | instid1(VALU_DEP_1)
	v_min3_f32 v122, v189, v188, v46
	v_min3_f32 v46, v175, v174, 0x7f7fffff
	v_min3_f32 v121, v191, v190, v46
	v_min3_f32 v46, v177, v176, 0x7f7fffff
	s_delay_alu instid0(VALU_DEP_1) | instskip(SKIP_1) | instid1(VALU_DEP_1)
	v_min3_f32 v120, v193, v192, v46
	v_min3_f32 v46, v179, v178, 0x7f7fffff
	;; [unrolled: 5-line block ×15, first 2 shown]
	v_min3_f32 v91, v150, v142, v18
	v_min3_f32 v18, v26, v27, 0x7f7fffff
	s_delay_alu instid0(VALU_DEP_1)
	v_min3_f32 v90, v28, v29, v18
	s_waitcnt vmcnt(0)
	ds_store_b32 v3, v0 offset:9216
	s_waitcnt lgkmcnt(0)
	s_waitcnt_vscnt null, 0x0
	s_barrier
	buffer_gl0_inv
	s_cbranch_scc1 .LBB25_52
; %bb.30:
	s_clause 0x2
	scratch_load_b32 v0, off, off offset:76
	scratch_load_b32 v203, off, off offset:20
	;; [unrolled: 1-line block ×3, first 2 shown]
	s_lshl_b32 s5, s27, 6
	v_add_nc_u32_e32 v8, 12, v73
	v_add_nc_u32_e32 v4, 8, v73
	;; [unrolled: 1-line block ×5, first 2 shown]
	v_mad_i64_i32 v[6:7], null, v8, s22, 0
	v_lshlrev_b32_e32 v8, 2, v72
	v_or_b32_e32 v80, 0x1000, v76
	s_delay_alu instid0(VALU_DEP_3)
	v_lshlrev_b64 v[66:67], 2, v[6:7]
	s_waitcnt vmcnt(2)
	v_lshl_add_u32 v0, s14, 6, v0
	s_waitcnt vmcnt(1)
	v_lshl_add_u32 v105, v203, 4, 0x1000
	;; [unrolled: 2-line block ×3, first 2 shown]
	s_add_i32 s14, s18, -8
	v_subrev_nc_u32_e32 v2, s5, v0
	s_delay_alu instid0(VALU_DEP_1) | instskip(SKIP_2) | instid1(VALU_DEP_3)
	v_mad_i64_i32 v[0:1], null, s26, v2, 0
	v_mad_i64_i32 v[2:3], null, v4, s22, 0
	v_lshlrev_b64 v[4:5], 2, v[16:17]
	v_lshlrev_b64 v[0:1], 2, v[0:1]
	s_delay_alu instid0(VALU_DEP_3) | instskip(NEXT) | instid1(VALU_DEP_2)
	v_lshlrev_b64 v[64:65], 2, v[2:3]
	v_add_co_u32 v0, s5, v0, v8
	s_delay_alu instid0(VALU_DEP_1) | instskip(NEXT) | instid1(VALU_DEP_2)
	v_add_co_ci_u32_e64 v1, s5, 0, v1, s5
	v_add_co_u32 v0, s5, v0, s8
	s_delay_alu instid0(VALU_DEP_1) | instskip(SKIP_1) | instid1(VALU_DEP_2)
	v_add_co_ci_u32_e64 v1, s5, s9, v1, s5
	s_lshl_b64 s[8:9], s[22:23], 5
	v_add_co_u32 v68, s5, v0, 32
	s_delay_alu instid0(VALU_DEP_1) | instskip(SKIP_1) | instid1(VALU_DEP_1)
	v_add_co_ci_u32_e64 v69, s5, 0, v1, s5
	v_add_co_u32 v112, s5, s20, v4
	v_add_co_ci_u32_e64 v142, s5, s21, v5, s5
	s_mov_b32 s20, 0
	s_branch .LBB25_32
.LBB25_31:                              ;   in Loop: Header=BB25_32 Depth=1
	s_or_b32 exec_lo, exec_lo, s6
	ds_load_b128 v[93:96], v74
	ds_load_b128 v[154:157], v78
	ds_load_b128 v[158:161], v78 offset:128
	ds_load_b128 v[162:165], v78 offset:256
	;; [unrolled: 1-line block ×14, first 2 shown]
	v_add_co_u32 v68, s5, v68, 32
	s_delay_alu instid0(VALU_DEP_1)
	v_add_co_ci_u32_e64 v69, s5, 0, v69, s5
	v_add_co_u32 v112, s5, v112, s8
	s_waitcnt lgkmcnt(14)
	v_dual_add_f32 v11, v155, v94 :: v_dual_add_f32 v14, v154, v93
	s_waitcnt lgkmcnt(13)
	v_dual_add_f32 v15, v159, v94 :: v_dual_add_f32 v18, v158, v93
	;; [unrolled: 2-line block ×3, first 2 shown]
	s_waitcnt lgkmcnt(11)
	v_add_f32_e32 v23, v167, v94
	v_min3_f32 v11, v14, v11, v24
	v_min3_f32 v14, v18, v15, v25
	v_add_f32_e32 v18, v166, v93
	v_min3_f32 v15, v22, v19, v28
	s_waitcnt lgkmcnt(10)
	v_dual_add_f32 v19, v171, v94 :: v_dual_add_f32 v22, v170, v93
	s_waitcnt lgkmcnt(9)
	v_dual_add_f32 v24, v175, v94 :: v_dual_add_f32 v25, v174, v93
	s_waitcnt lgkmcnt(8)
	v_add_f32_e32 v28, v179, v94
	s_waitcnt lgkmcnt(7)
	v_dual_add_f32 v34, v178, v93 :: v_dual_add_f32 v35, v183, v94
	v_add_f32_e32 v38, v182, v93
	v_min3_f32 v0, v18, v23, v0
	v_min3_f32 v18, v22, v19, v29
	;; [unrolled: 1-line block ×3, first 2 shown]
	s_waitcnt lgkmcnt(6)
	v_dual_add_f32 v24, v155, v98 :: v_dual_add_f32 v29, v158, v97
	v_min3_f32 v23, v38, v35, v36
	v_add_f32_e32 v25, v154, v97
	v_min3_f32 v22, v34, v28, v33
	v_dual_add_f32 v28, v159, v98 :: v_dual_add_f32 v33, v162, v97
	v_dual_add_f32 v32, v163, v98 :: v_dual_add_f32 v35, v166, v97
	v_add_f32_e32 v34, v167, v98
	v_add_f32_e32 v36, v171, v98
	;; [unrolled: 1-line block ×3, first 2 shown]
	v_min3_f32 v1, v25, v24, v1
	v_min3_f32 v24, v29, v28, v37
	;; [unrolled: 1-line block ×3, first 2 shown]
	v_dual_add_f32 v32, v175, v98 :: v_dual_add_f32 v37, v182, v97
	v_add_f32_e32 v33, v174, v97
	v_min3_f32 v28, v35, v34, v41
	s_waitcnt lgkmcnt(5)
	v_dual_add_f32 v34, v179, v98 :: v_dual_add_f32 v39, v154, v101
	v_add_f32_e32 v35, v178, v97
	v_min3_f32 v29, v38, v36, v44
	v_dual_add_f32 v36, v183, v98 :: v_dual_add_f32 v41, v158, v101
	v_add_f32_e32 v38, v155, v102
	v_add_f32_e32 v40, v159, v102
	v_min3_f32 v4, v33, v32, v4
	v_min3_f32 v32, v35, v34, v45
	;; [unrolled: 1-line block ×3, first 2 shown]
	v_dual_add_f32 v36, v163, v102 :: v_dual_add_f32 v37, v162, v101
	v_min3_f32 v34, v39, v38, v49
	v_dual_add_f32 v38, v167, v102 :: v_dual_add_f32 v45, v174, v101
	v_add_f32_e32 v39, v166, v101
	v_min3_f32 v35, v41, v40, v52
	v_dual_add_f32 v40, v171, v102 :: v_dual_add_f32 v49, v178, v101
	v_dual_add_f32 v41, v170, v101 :: v_dual_add_f32 v44, v175, v102
	v_add_f32_e32 v48, v179, v102
	v_min3_f32 v5, v37, v36, v5
	v_min3_f32 v36, v39, v38, v53
	s_delay_alu instid0(VALU_DEP_4)
	v_min3_f32 v37, v41, v40, v54
	v_add_f32_e32 v40, v183, v102
	v_min3_f32 v39, v49, v48, v56
	v_add_f32_e32 v41, v182, v101
	v_min3_f32 v38, v45, v44, v55
	s_waitcnt lgkmcnt(4)
	v_dual_add_f32 v44, v155, v107 :: v_dual_add_f32 v45, v154, v106
	v_dual_add_f32 v48, v159, v107 :: v_dual_add_f32 v49, v158, v106
	;; [unrolled: 1-line block ×4, first 2 shown]
	v_min3_f32 v8, v41, v40, v8
	v_min3_f32 v40, v45, v44, v57
	v_min3_f32 v41, v49, v48, v58
	v_min3_f32 v44, v53, v52, v59
	v_min3_f32 v45, v55, v54, v60
	v_dual_add_f32 v48, v171, v107 :: v_dual_add_f32 v49, v170, v106
	v_dual_add_f32 v52, v175, v107 :: v_dual_add_f32 v53, v174, v106
	;; [unrolled: 1-line block ×4, first 2 shown]
	s_waitcnt lgkmcnt(3)
	v_dual_add_f32 v58, v155, v187 :: v_dual_add_f32 v59, v154, v186
	v_min3_f32 v9, v49, v48, v9
	v_min3_f32 v48, v53, v52, v50
	;; [unrolled: 1-line block ×5, first 2 shown]
	v_dual_add_f32 v52, v159, v187 :: v_dual_add_f32 v53, v158, v186
	v_dual_add_f32 v54, v163, v187 :: v_dual_add_f32 v55, v162, v186
	;; [unrolled: 1-line block ×5, first 2 shown]
	v_min3_f32 v12, v53, v52, v12
	v_min3_f32 v52, v55, v54, v63
	;; [unrolled: 1-line block ×5, first 2 shown]
	v_dual_add_f32 v56, v179, v187 :: v_dual_add_f32 v57, v178, v186
	v_dual_add_f32 v58, v183, v187 :: v_dual_add_f32 v59, v182, v186
	s_waitcnt lgkmcnt(2)
	v_dual_add_f32 v60, v155, v191 :: v_dual_add_f32 v61, v154, v190
	v_dual_add_f32 v62, v159, v191 :: v_dual_add_f32 v63, v158, v190
	;; [unrolled: 1-line block ×3, first 2 shown]
	v_min3_f32 v13, v57, v56, v13
	v_min3_f32 v46, v59, v58, v46
	;; [unrolled: 1-line block ×5, first 2 shown]
	v_dual_add_f32 v58, v167, v191 :: v_dual_add_f32 v59, v166, v190
	v_dual_add_f32 v60, v171, v191 :: v_dual_add_f32 v61, v170, v190
	;; [unrolled: 1-line block ×5, first 2 shown]
	v_min3_f32 v16, v59, v58, v16
	v_min3_f32 v42, v61, v60, v42
	v_min3_f32 v43, v63, v62, v43
	v_min3_f32 v58, v71, v70, v87
	v_min3_f32 v59, v83, v82, v88
	s_waitcnt lgkmcnt(1)
	v_dual_add_f32 v60, v155, v195 :: v_dual_add_f32 v61, v154, v194
	v_dual_add_f32 v62, v159, v195 :: v_dual_add_f32 v63, v158, v194
	;; [unrolled: 1-line block ×5, first 2 shown]
	v_min3_f32 v17, v61, v60, v17
	v_min3_f32 v60, v63, v62, v89
	v_min3_f32 v61, v71, v70, v90
	v_min3_f32 v62, v83, v82, v91
	v_min3_f32 v63, v85, v84, v92
	v_dual_add_f32 v70, v175, v195 :: v_dual_add_f32 v71, v174, v194
	v_dual_add_f32 v82, v179, v195 :: v_dual_add_f32 v83, v178, v194
	;; [unrolled: 1-line block ×3, first 2 shown]
	s_waitcnt lgkmcnt(0)
	v_dual_add_f32 v86, v155, v199 :: v_dual_add_f32 v87, v154, v198
	v_dual_add_f32 v88, v159, v199 :: v_dual_add_f32 v89, v158, v198
	v_min3_f32 v20, v71, v70, v20
	v_min3_f32 v26, v83, v82, v26
	;; [unrolled: 1-line block ×5, first 2 shown]
	v_dual_add_f32 v70, v163, v199 :: v_dual_add_f32 v71, v162, v198
	v_dual_add_f32 v82, v167, v199 :: v_dual_add_f32 v83, v166, v198
	;; [unrolled: 1-line block ×5, first 2 shown]
	v_min3_f32 v21, v71, v70, v21
	v_min3_f32 v3, v83, v82, v3
	;; [unrolled: 1-line block ×5, first 2 shown]
	v_dual_add_f32 v70, v183, v199 :: v_dual_add_f32 v71, v182, v198
	v_dual_add_f32 v82, v157, v96 :: v_dual_add_f32 v83, v156, v95
	;; [unrolled: 1-line block ×5, first 2 shown]
	v_min3_f32 v2, v71, v70, v2
	v_min3_f32 v148, v83, v82, v11
	v_add_f32_e32 v83, v184, v95
	v_add_f32_e32 v11, v172, v95
	v_min3_f32 v145, v89, v88, v0
	v_dual_add_f32 v0, v173, v96 :: v_dual_add_f32 v71, v180, v95
	v_min3_f32 v146, v87, v86, v15
	v_add_f32_e32 v15, v176, v95
	v_min3_f32 v147, v85, v84, v14
	v_dual_add_f32 v85, v156, v99 :: v_dual_add_f32 v14, v177, v96
	v_add_f32_e32 v84, v157, v100
	v_add_f32_e32 v70, v181, v96
	;; [unrolled: 1-line block ×3, first 2 shown]
	v_min3_f32 v144, v11, v0, v18
	v_add_f32_e32 v0, v161, v100
	v_min3_f32 v139, v85, v84, v1
	v_add_f32_e32 v1, v160, v99
	v_min3_f32 v143, v15, v14, v19
	v_dual_add_f32 v11, v165, v100 :: v_dual_add_f32 v14, v164, v99
	v_dual_add_f32 v15, v169, v100 :: v_dual_add_f32 v18, v168, v99
	v_add_f32_e32 v19, v173, v100
	v_min3_f32 v138, v1, v0, v24
	s_delay_alu instid0(VALU_DEP_4)
	v_min3_f32 v137, v14, v11, v25
	v_add_f32_e32 v1, v180, v99
	v_min3_f32 v141, v71, v70, v22
	v_add_f32_e32 v22, v172, v99
	v_add_f32_e32 v70, v176, v99
	;; [unrolled: 1-line block ×3, first 2 shown]
	v_min3_f32 v140, v83, v82, v23
	v_add_f32_e32 v23, v177, v100
	v_min3_f32 v136, v18, v15, v28
	v_min3_f32 v135, v22, v19, v29
	v_add_f32_e32 v0, v181, v100
	v_add_f32_e32 v14, v157, v104
	v_min3_f32 v134, v70, v23, v4
	v_dual_add_f32 v4, v185, v100 :: v_dual_add_f32 v15, v156, v103
	v_dual_add_f32 v18, v161, v104 :: v_dual_add_f32 v19, v160, v103
	;; [unrolled: 1-line block ×3, first 2 shown]
	v_min3_f32 v133, v1, v0, v32
	v_add_f32_e32 v1, v168, v103
	v_min3_f32 v132, v11, v4, v33
	v_min3_f32 v130, v19, v18, v35
	v_min3_f32 v129, v23, v22, v5
	v_add_f32_e32 v0, v169, v104
	v_dual_add_f32 v4, v173, v104 :: v_dual_add_f32 v5, v172, v103
	v_min3_f32 v131, v15, v14, v34
	v_dual_add_f32 v11, v177, v104 :: v_dual_add_f32 v14, v176, v103
	v_dual_add_f32 v15, v181, v104 :: v_dual_add_f32 v18, v180, v103
	v_dual_add_f32 v19, v185, v104 :: v_dual_add_f32 v22, v184, v103
	v_min3_f32 v128, v1, v0, v36
	v_min3_f32 v127, v5, v4, v37
	v_min3_f32 v126, v14, v11, v38
	v_min3_f32 v125, v18, v15, v39
	v_min3_f32 v124, v22, v19, v8
	v_dual_add_f32 v0, v157, v109 :: v_dual_add_f32 v1, v156, v108
	v_dual_add_f32 v4, v161, v109 :: v_dual_add_f32 v5, v160, v108
	v_dual_add_f32 v8, v165, v109 :: v_dual_add_f32 v11, v164, v108
	v_dual_add_f32 v14, v169, v109 :: v_dual_add_f32 v15, v168, v108
	v_dual_add_f32 v18, v173, v109 :: v_dual_add_f32 v19, v172, v108
	v_min3_f32 v123, v1, v0, v40
	v_min3_f32 v122, v5, v4, v41
	v_min3_f32 v121, v11, v8, v44
	v_min3_f32 v120, v15, v14, v45
	v_min3_f32 v119, v19, v18, v9
	v_dual_add_f32 v0, v177, v109 :: v_dual_add_f32 v1, v176, v108
	v_dual_add_f32 v4, v181, v109 :: v_dual_add_f32 v5, v180, v108
	v_dual_add_f32 v8, v185, v109 :: v_dual_add_f32 v9, v184, v108
	v_dual_add_f32 v11, v157, v189 :: v_dual_add_f32 v14, v156, v188
	v_dual_add_f32 v15, v161, v189 :: v_dual_add_f32 v18, v160, v188
	v_min3_f32 v118, v1, v0, v48
	v_min3_f32 v117, v5, v4, v49
	v_min3_f32 v116, v9, v8, v50
	v_min3_f32 v115, v14, v11, v51
	v_min3_f32 v114, v18, v15, v12
	v_dual_add_f32 v0, v165, v189 :: v_dual_add_f32 v1, v164, v188
	v_dual_add_f32 v4, v169, v189 :: v_dual_add_f32 v5, v168, v188
	v_dual_add_f32 v8, v173, v189 :: v_dual_add_f32 v9, v172, v188
	v_dual_add_f32 v11, v177, v189 :: v_dual_add_f32 v12, v176, v188
	v_dual_add_f32 v14, v181, v189 :: v_dual_add_f32 v15, v180, v188
	v_min3_f32 v113, v1, v0, v52
	v_min3_f32 v111, v5, v4, v53
	v_min3_f32 v110, v9, v8, v54
	v_min3_f32 v109, v12, v11, v55
	v_min3_f32 v108, v15, v14, v13
	v_dual_add_f32 v0, v185, v189 :: v_dual_add_f32 v1, v184, v188
	v_dual_add_f32 v4, v157, v193 :: v_dual_add_f32 v5, v156, v192
	v_dual_add_f32 v8, v161, v193 :: v_dual_add_f32 v9, v160, v192
	v_dual_add_f32 v11, v165, v193 :: v_dual_add_f32 v12, v164, v192
	v_dual_add_f32 v13, v169, v193 :: v_dual_add_f32 v14, v168, v192
	v_min3_f32 v107, v1, v0, v46
	v_min3_f32 v106, v5, v4, v47
	v_min3_f32 v104, v9, v8, v56
	v_min3_f32 v103, v12, v11, v57
	v_min3_f32 v102, v14, v13, v16
	v_dual_add_f32 v0, v173, v193 :: v_dual_add_f32 v1, v172, v192
	v_dual_add_f32 v4, v177, v193 :: v_dual_add_f32 v5, v176, v192
	v_dual_add_f32 v8, v181, v193 :: v_dual_add_f32 v9, v180, v192
	v_dual_add_f32 v11, v185, v193 :: v_dual_add_f32 v12, v184, v192
	v_dual_add_f32 v13, v157, v197 :: v_dual_add_f32 v14, v156, v196
	v_min3_f32 v101, v1, v0, v42
	v_min3_f32 v100, v5, v4, v43
	v_min3_f32 v99, v9, v8, v58
	v_min3_f32 v98, v12, v11, v59
	v_min3_f32 v97, v14, v13, v17
	v_dual_add_f32 v0, v161, v197 :: v_dual_add_f32 v1, v160, v196
	v_dual_add_f32 v4, v165, v197 :: v_dual_add_f32 v5, v164, v196
	v_dual_add_f32 v8, v169, v197 :: v_dual_add_f32 v9, v168, v196
	v_dual_add_f32 v11, v173, v197 :: v_dual_add_f32 v12, v172, v196
	v_dual_add_f32 v13, v177, v197 :: v_dual_add_f32 v14, v176, v196
	v_min3_f32 v96, v1, v0, v60
	v_min3_f32 v95, v5, v4, v61
	v_min3_f32 v94, v9, v8, v62
	v_min3_f32 v93, v12, v11, v63
	v_min3_f32 v92, v14, v13, v20
	v_dual_add_f32 v0, v181, v197 :: v_dual_add_f32 v1, v180, v196
	v_dual_add_f32 v4, v185, v197 :: v_dual_add_f32 v5, v184, v196
	v_dual_add_f32 v8, v157, v201 :: v_dual_add_f32 v9, v156, v200
	v_dual_add_f32 v11, v161, v201 :: v_dual_add_f32 v12, v160, v200
	v_dual_add_f32 v13, v165, v201 :: v_dual_add_f32 v14, v164, v200
	v_min3_f32 v91, v1, v0, v26
	v_min3_f32 v90, v5, v4, v27
	v_min3_f32 v89, v9, v8, v30
	v_min3_f32 v88, v12, v11, v31
	v_min3_f32 v87, v14, v13, v21
	v_dual_add_f32 v0, v169, v201 :: v_dual_add_f32 v1, v168, v200
	v_dual_add_f32 v4, v173, v201 :: v_dual_add_f32 v5, v172, v200
	v_dual_add_f32 v8, v177, v201 :: v_dual_add_f32 v9, v176, v200
	v_dual_add_f32 v11, v181, v201 :: v_dual_add_f32 v12, v180, v200
	;; [unrolled: 1-line block ×3, first 2 shown]
	v_min3_f32 v86, v1, v0, v3
	v_min3_f32 v85, v5, v4, v6
	;; [unrolled: 1-line block ×5, first 2 shown]
	v_add_co_ci_u32_e64 v142, s5, s9, v142, s5
	s_add_i32 s20, s20, 8
	s_waitcnt vmcnt(0)
	ds_store_b32 v79, v149
	ds_store_2addr_stride64_b32 v80, v151, v150 offset1:4
	ds_store_2addr_stride64_b32 v80, v153, v152 offset0:8 offset1:12
	s_cmp_ge_i32 s20, s14
	s_waitcnt lgkmcnt(0)
	s_barrier
	buffer_gl0_inv
	s_cbranch_scc1 .LBB25_53
.LBB25_32:                              ; =>This Inner Loop Header: Depth=1
	v_dual_mov_b32 v152, 0x7f7fffff :: v_dual_add_nc_u32 v151, s20, v72
	s_delay_alu instid0(VALU_DEP_1) | instskip(NEXT) | instid1(VALU_DEP_1)
	v_dual_mov_b32 v153, 0x7f7fffff :: v_dual_add_nc_u32 v0, 8, v151
	v_cmp_gt_i32_e64 s5, s18, v0
	s_delay_alu instid0(VALU_DEP_1) | instskip(NEXT) | instid1(SALU_CYCLE_1)
	s_and_b32 s6, s5, s25
	s_and_saveexec_b32 s5, s6
	s_cbranch_execz .LBB25_34
; %bb.33:                               ;   in Loop: Header=BB25_32 Depth=1
	flat_load_b32 v152, v[68:69]
.LBB25_34:                              ;   in Loop: Header=BB25_32 Depth=1
	s_or_b32 exec_lo, exec_lo, s5
	v_add_nc_u32_e32 v150, s20, v73
	s_delay_alu instid0(VALU_DEP_1) | instskip(NEXT) | instid1(VALU_DEP_1)
	v_add_nc_u32_e32 v0, 8, v150
	v_cmp_le_i32_e64 s5, s18, v0
	s_delay_alu instid0(VALU_DEP_1) | instskip(NEXT) | instid1(SALU_CYCLE_1)
	s_or_b32 s6, vcc_lo, s5
	s_xor_b32 s6, s6, -1
	s_delay_alu instid0(SALU_CYCLE_1)
	s_and_saveexec_b32 s21, s6
	s_cbranch_execz .LBB25_36
; %bb.35:                               ;   in Loop: Header=BB25_32 Depth=1
	v_add_co_u32 v0, s6, v112, v64
	s_delay_alu instid0(VALU_DEP_1)
	v_add_co_ci_u32_e64 v1, s6, v142, v65, s6
	flat_load_b32 v153, v[0:1]
.LBB25_36:                              ;   in Loop: Header=BB25_32 Depth=1
	s_or_b32 exec_lo, exec_lo, s21
	v_dual_mov_b32 v154, 0x7f7fffff :: v_dual_mov_b32 v155, 0x7f7fffff
	s_or_b32 s6, s2, s5
	s_delay_alu instid0(SALU_CYCLE_1) | instskip(NEXT) | instid1(SALU_CYCLE_1)
	s_xor_b32 s6, s6, -1
	s_and_saveexec_b32 s21, s6
	s_cbranch_execz .LBB25_38
; %bb.37:                               ;   in Loop: Header=BB25_32 Depth=1
	v_add_co_u32 v0, s6, v112, v64
	s_delay_alu instid0(VALU_DEP_1)
	v_add_co_ci_u32_e64 v1, s6, v142, v65, s6
	flat_load_b32 v155, v[0:1] offset:256
.LBB25_38:                              ;   in Loop: Header=BB25_32 Depth=1
	s_or_b32 exec_lo, exec_lo, s21
	s_or_b32 s6, s3, s5
	s_delay_alu instid0(SALU_CYCLE_1) | instskip(NEXT) | instid1(SALU_CYCLE_1)
	s_xor_b32 s6, s6, -1
	s_and_saveexec_b32 s21, s6
	s_cbranch_execz .LBB25_40
; %bb.39:                               ;   in Loop: Header=BB25_32 Depth=1
	v_add_co_u32 v0, s6, v112, v64
	s_delay_alu instid0(VALU_DEP_1)
	v_add_co_ci_u32_e64 v1, s6, v142, v65, s6
	flat_load_b32 v154, v[0:1] offset:512
.LBB25_40:                              ;   in Loop: Header=BB25_32 Depth=1
	s_or_b32 exec_lo, exec_lo, s21
	v_dual_mov_b32 v149, 0x7f7fffff :: v_dual_mov_b32 v156, 0x7f7fffff
	s_or_b32 s5, s4, s5
	s_delay_alu instid0(SALU_CYCLE_1) | instskip(NEXT) | instid1(SALU_CYCLE_1)
	s_xor_b32 s5, s5, -1
	s_and_saveexec_b32 s6, s5
	s_cbranch_execz .LBB25_42
; %bb.41:                               ;   in Loop: Header=BB25_32 Depth=1
	v_add_co_u32 v0, s5, v112, v64
	s_delay_alu instid0(VALU_DEP_1)
	v_add_co_ci_u32_e64 v1, s5, v142, v65, s5
	flat_load_b32 v156, v[0:1] offset:768
.LBB25_42:                              ;   in Loop: Header=BB25_32 Depth=1
	s_or_b32 exec_lo, exec_lo, s6
	ds_load_b128 v[32:35], v81
	ds_load_b128 v[28:31], v81 offset:128
	ds_load_b128 v[24:27], v81 offset:256
	;; [unrolled: 1-line block ×7, first 2 shown]
	ds_load_b128 v[60:63], v105
	ds_load_b128 v[56:59], v105 offset:512
	ds_load_b128 v[52:55], v105 offset:1024
	;; [unrolled: 1-line block ×7, first 2 shown]
	v_add_nc_u32_e32 v70, 12, v151
	s_waitcnt vmcnt(0) lgkmcnt(16)
	ds_store_b32 v77, v152
	ds_store_2addr_stride64_b32 v76, v153, v155 offset1:4
	ds_store_2addr_stride64_b32 v76, v154, v156 offset0:8 offset1:12
	s_waitcnt lgkmcnt(0)
	s_barrier
	v_cmp_gt_i32_e64 s5, s18, v70
	buffer_gl0_inv
	s_and_b32 s6, s5, s25
	s_delay_alu instid0(SALU_CYCLE_1)
	s_and_saveexec_b32 s5, s6
	s_cbranch_execz .LBB25_44
; %bb.43:                               ;   in Loop: Header=BB25_32 Depth=1
	flat_load_b32 v149, v[68:69] offset:16
.LBB25_44:                              ;   in Loop: Header=BB25_32 Depth=1
	s_or_b32 exec_lo, exec_lo, s5
	v_dual_mov_b32 v151, 0x7f7fffff :: v_dual_add_nc_u32 v70, 12, v150
	v_mov_b32_e32 v150, 0x7f7fffff
	s_delay_alu instid0(VALU_DEP_2) | instskip(NEXT) | instid1(VALU_DEP_1)
	v_cmp_le_i32_e64 s5, s18, v70
	s_or_b32 s6, vcc_lo, s5
	s_delay_alu instid0(SALU_CYCLE_1) | instskip(NEXT) | instid1(SALU_CYCLE_1)
	s_xor_b32 s6, s6, -1
	s_and_saveexec_b32 s21, s6
	s_cbranch_execz .LBB25_46
; %bb.45:                               ;   in Loop: Header=BB25_32 Depth=1
	v_add_co_u32 v151, s6, v112, v66
	s_delay_alu instid0(VALU_DEP_1)
	v_add_co_ci_u32_e64 v152, s6, v142, v67, s6
	flat_load_b32 v151, v[151:152]
.LBB25_46:                              ;   in Loop: Header=BB25_32 Depth=1
	s_or_b32 exec_lo, exec_lo, s21
	s_or_b32 s6, s2, s5
	s_delay_alu instid0(SALU_CYCLE_1) | instskip(NEXT) | instid1(SALU_CYCLE_1)
	s_xor_b32 s6, s6, -1
	s_and_saveexec_b32 s21, s6
	s_cbranch_execz .LBB25_48
; %bb.47:                               ;   in Loop: Header=BB25_32 Depth=1
	v_add_co_u32 v152, s6, v112, v66
	s_delay_alu instid0(VALU_DEP_1)
	v_add_co_ci_u32_e64 v153, s6, v142, v67, s6
	flat_load_b32 v150, v[152:153] offset:256
.LBB25_48:                              ;   in Loop: Header=BB25_32 Depth=1
	s_or_b32 exec_lo, exec_lo, s21
	v_dual_mov_b32 v152, 0x7f7fffff :: v_dual_mov_b32 v153, 0x7f7fffff
	s_or_b32 s6, s3, s5
	s_delay_alu instid0(SALU_CYCLE_1) | instskip(NEXT) | instid1(SALU_CYCLE_1)
	s_xor_b32 s6, s6, -1
	s_and_saveexec_b32 s21, s6
	s_cbranch_execz .LBB25_50
; %bb.49:                               ;   in Loop: Header=BB25_32 Depth=1
	v_add_co_u32 v153, s6, v112, v66
	s_delay_alu instid0(VALU_DEP_1)
	v_add_co_ci_u32_e64 v154, s6, v142, v67, s6
	flat_load_b32 v153, v[153:154] offset:512
.LBB25_50:                              ;   in Loop: Header=BB25_32 Depth=1
	s_or_b32 exec_lo, exec_lo, s21
	v_dual_add_f32 v70, v33, v61 :: v_dual_add_f32 v71, v32, v60
	v_dual_add_f32 v154, v29, v61 :: v_dual_add_f32 v155, v28, v60
	;; [unrolled: 1-line block ×3, first 2 shown]
	s_delay_alu instid0(VALU_DEP_3) | instskip(SKIP_1) | instid1(VALU_DEP_4)
	v_min3_f32 v70, v71, v70, v148
	v_add_f32_e32 v148, v16, v60
	v_min3_f32 v71, v155, v154, v147
	v_add_f32_e32 v147, v17, v61
	v_min3_f32 v146, v157, v156, v146
	v_dual_add_f32 v154, v13, v61 :: v_dual_add_f32 v155, v12, v60
	v_dual_add_f32 v156, v9, v61 :: v_dual_add_f32 v157, v8, v60
	;; [unrolled: 1-line block ×4, first 2 shown]
	v_min3_f32 v145, v148, v147, v145
	v_min3_f32 v144, v155, v154, v144
	v_dual_add_f32 v147, v29, v57 :: v_dual_add_f32 v148, v28, v56
	s_delay_alu instid0(VALU_DEP_4)
	v_min3_f32 v60, v60, v61, v140
	v_dual_add_f32 v61, v33, v57 :: v_dual_add_f32 v140, v32, v56
	v_dual_add_f32 v154, v25, v57 :: v_dual_add_f32 v155, v24, v56
	v_min3_f32 v143, v157, v156, v143
	v_min3_f32 v141, v159, v158, v141
	v_dual_add_f32 v156, v17, v57 :: v_dual_add_f32 v157, v16, v56
	v_dual_add_f32 v158, v13, v57 :: v_dual_add_f32 v159, v12, v56
	v_min3_f32 v61, v140, v61, v139
	v_min3_f32 v138, v148, v147, v138
	;; [unrolled: 1-line block ×3, first 2 shown]
	v_dual_add_f32 v139, v9, v57 :: v_dual_add_f32 v140, v8, v56
	v_dual_add_f32 v147, v5, v57 :: v_dual_add_f32 v148, v4, v56
	;; [unrolled: 1-line block ×4, first 2 shown]
	v_min3_f32 v136, v157, v156, v136
	v_dual_add_f32 v156, v29, v53 :: v_dual_add_f32 v157, v28, v52
	v_min3_f32 v134, v140, v139, v134
	v_min3_f32 v56, v56, v57, v132
	;; [unrolled: 1-line block ×3, first 2 shown]
	v_dual_add_f32 v131, v25, v53 :: v_dual_add_f32 v132, v24, v52
	v_dual_add_f32 v139, v17, v53 :: v_dual_add_f32 v140, v16, v52
	v_min3_f32 v133, v148, v147, v133
	v_min3_f32 v130, v157, v156, v130
	v_dual_add_f32 v147, v13, v53 :: v_dual_add_f32 v148, v12, v52
	v_dual_add_f32 v154, v9, v53 :: v_dual_add_f32 v155, v8, v52
	v_dual_add_f32 v156, v5, v53 :: v_dual_add_f32 v157, v4, v52
	v_min3_f32 v129, v132, v131, v129
	v_min3_f32 v128, v140, v139, v128
	v_dual_add_f32 v53, v1, v53 :: v_dual_add_f32 v52, v0, v52
	;; [unrolled: 5-line block ×3, first 2 shown]
	v_dual_add_f32 v154, v17, v49 :: v_dual_add_f32 v155, v16, v48
	v_min3_f32 v124, v52, v53, v124
	v_min3_f32 v123, v132, v131, v123
	;; [unrolled: 1-line block ×3, first 2 shown]
	v_dual_add_f32 v52, v13, v49 :: v_dual_add_f32 v53, v12, v48
	v_dual_add_f32 v131, v9, v49 :: v_dual_add_f32 v132, v8, v48
	;; [unrolled: 1-line block ×4, first 2 shown]
	v_min3_f32 v121, v148, v147, v121
	v_dual_add_f32 v147, v33, v45 :: v_dual_add_f32 v148, v32, v44
	v_min3_f32 v119, v53, v52, v119
	v_min3_f32 v118, v132, v131, v118
	;; [unrolled: 1-line block ×3, first 2 shown]
	v_dual_add_f32 v48, v29, v45 :: v_dual_add_f32 v49, v28, v44
	v_dual_add_f32 v52, v25, v45 :: v_dual_add_f32 v53, v24, v44
	;; [unrolled: 1-line block ×3, first 2 shown]
	v_min3_f32 v117, v140, v139, v117
	v_min3_f32 v115, v148, v147, v115
	v_dual_add_f32 v139, v13, v45 :: v_dual_add_f32 v140, v12, v44
	v_dual_add_f32 v147, v9, v45 :: v_dual_add_f32 v148, v8, v44
	v_min3_f32 v114, v49, v48, v114
	v_min3_f32 v113, v53, v52, v113
	;; [unrolled: 1-line block ×3, first 2 shown]
	v_dual_add_f32 v48, v5, v45 :: v_dual_add_f32 v49, v4, v44
	v_dual_add_f32 v45, v1, v45 :: v_dual_add_f32 v44, v0, v44
	;; [unrolled: 1-line block ×4, first 2 shown]
	v_min3_f32 v110, v140, v139, v110
	v_dual_add_f32 v139, v25, v41 :: v_dual_add_f32 v140, v24, v40
	v_min3_f32 v108, v49, v48, v108
	v_min3_f32 v107, v44, v45, v107
	v_min3_f32 v106, v53, v52, v106
	v_min3_f32 v104, v132, v131, v104
	v_dual_add_f32 v44, v17, v41 :: v_dual_add_f32 v45, v16, v40
	v_dual_add_f32 v48, v13, v41 :: v_dual_add_f32 v49, v12, v40
	;; [unrolled: 1-line block ×5, first 2 shown]
	v_min3_f32 v102, v45, v44, v102
	v_dual_add_f32 v44, v29, v37 :: v_dual_add_f32 v45, v28, v36
	v_min3_f32 v100, v53, v52, v100
	s_delay_alu instid0(VALU_DEP_4) | instskip(SKIP_4) | instid1(VALU_DEP_4)
	v_min3_f32 v98, v40, v41, v98
	v_dual_add_f32 v40, v33, v37 :: v_dual_add_f32 v41, v32, v36
	v_min3_f32 v99, v132, v131, v99
	v_dual_add_f32 v52, v17, v37 :: v_dual_add_f32 v53, v16, v36
	v_dual_add_f32 v131, v13, v37 :: v_dual_add_f32 v132, v12, v36
	v_min3_f32 v97, v41, v40, v97
	v_min3_f32 v96, v45, v44, v96
	v_dual_add_f32 v40, v9, v37 :: v_dual_add_f32 v41, v8, v36
	v_dual_add_f32 v44, v5, v37 :: v_dual_add_f32 v45, v4, v36
	;; [unrolled: 1-line block ×6, first 2 shown]
	v_min3_f32 v125, v157, v156, v125
	v_min3_f32 v120, v155, v154, v120
	;; [unrolled: 1-line block ×3, first 2 shown]
	v_dual_add_f32 v48, v25, v37 :: v_dual_add_f32 v49, v24, v36
	v_dual_add_f32 v37, v1, v37 :: v_dual_add_f32 v36, v0, v36
	;; [unrolled: 1-line block ×4, first 2 shown]
	v_min3_f32 v154, v16, v17, v86
	v_min3_f32 v155, v12, v13, v85
	;; [unrolled: 1-line block ×4, first 2 shown]
	v_dual_add_f32 v1, v1, v21 :: v_dual_add_f32 v0, v0, v20
	v_dual_add_f32 v4, v35, v63 :: v_dual_add_f32 v5, v34, v62
	;; [unrolled: 1-line block ×5, first 2 shown]
	v_min3_f32 v135, v159, v158, v135
	v_min3_f32 v109, v148, v147, v109
	v_dual_add_f32 v33, v33, v21 :: v_dual_add_f32 v32, v32, v20
	v_min3_f32 v147, v28, v29, v88
	v_min3_f32 v148, v24, v25, v87
	;; [unrolled: 1-line block ×7, first 2 shown]
	v_dual_add_f32 v1, v15, v63 :: v_dual_add_f32 v4, v14, v62
	v_dual_add_f32 v5, v11, v63 :: v_dual_add_f32 v8, v10, v62
	;; [unrolled: 1-line block ×5, first 2 shown]
	v_min3_f32 v103, v140, v139, v103
	v_min3_f32 v139, v36, v37, v90
	;; [unrolled: 1-line block ×8, first 2 shown]
	v_dual_add_f32 v4, v31, v59 :: v_dual_add_f32 v5, v30, v58
	v_dual_add_f32 v8, v27, v59 :: v_dual_add_f32 v9, v26, v58
	;; [unrolled: 1-line block ×4, first 2 shown]
	v_min3_f32 v93, v132, v131, v93
	v_min3_f32 v131, v41, v40, v92
	;; [unrolled: 1-line block ×3, first 2 shown]
	v_dual_add_f32 v20, v11, v59 :: v_dual_add_f32 v21, v10, v58
	v_min3_f32 v37, v5, v4, v138
	v_min3_f32 v40, v9, v8, v137
	;; [unrolled: 1-line block ×4, first 2 shown]
	v_dual_add_f32 v5, v7, v59 :: v_dual_add_f32 v8, v6, v58
	v_dual_add_f32 v9, v3, v59 :: v_dual_add_f32 v12, v2, v58
	;; [unrolled: 1-line block ×3, first 2 shown]
	v_min3_f32 v95, v49, v48, v95
	v_min3_f32 v94, v53, v52, v94
	;; [unrolled: 1-line block ×3, first 2 shown]
	v_dual_add_f32 v17, v31, v55 :: v_dual_add_f32 v20, v30, v54
	v_dual_add_f32 v21, v27, v55 :: v_dual_add_f32 v58, v2, v54
	v_add_f32_e32 v53, v26, v54
	v_min3_f32 v45, v8, v5, v133
	v_add_f32_e32 v8, v19, v55
	v_min3_f32 v48, v12, v9, v56
	v_min3_f32 v49, v16, v13, v57
	v_dual_add_f32 v9, v18, v54 :: v_dual_add_f32 v12, v15, v55
	v_dual_add_f32 v13, v14, v54 :: v_dual_add_f32 v16, v11, v55
	v_min3_f32 v52, v20, v17, v130
	v_min3_f32 v5, v53, v21, v129
	v_dual_add_f32 v17, v10, v54 :: v_dual_add_f32 v20, v7, v55
	v_add_f32_e32 v21, v6, v54
	v_add_f32_e32 v57, v3, v55
	v_min3_f32 v53, v9, v8, v128
	v_min3_f32 v54, v13, v12, v127
	v_dual_add_f32 v12, v34, v50 :: v_dual_add_f32 v9, v35, v51
	v_min3_f32 v55, v17, v16, v126
	v_add_f32_e32 v16, v30, v50
	v_min3_f32 v8, v58, v57, v124
	v_add_f32_e32 v13, v31, v51
	v_dual_add_f32 v17, v27, v51 :: v_dual_add_f32 v60, v18, v50
	v_min3_f32 v57, v12, v9, v123
	v_add_f32_e32 v12, v11, v51
	v_min3_f32 v56, v21, v20, v125
	v_dual_add_f32 v20, v26, v50 :: v_dual_add_f32 v21, v19, v51
	v_dual_add_f32 v62, v14, v50 :: v_dual_add_f32 v61, v15, v51
	v_min3_f32 v58, v16, v13, v122
	s_delay_alu instid0(VALU_DEP_3)
	v_min3_f32 v59, v20, v17, v121
	v_dual_add_f32 v13, v10, v50 :: v_dual_add_f32 v16, v7, v51
	v_dual_add_f32 v17, v6, v50 :: v_dual_add_f32 v20, v3, v51
	v_min3_f32 v60, v60, v21, v120
	v_add_f32_e32 v21, v2, v50
	v_dual_add_f32 v63, v34, v46 :: v_dual_add_f32 v70, v31, v47
	v_add_f32_e32 v71, v30, v46
	v_min3_f32 v50, v13, v12, v118
	v_min3_f32 v51, v17, v16, v117
	v_dual_add_f32 v13, v27, v47 :: v_dual_add_f32 v16, v26, v46
	v_min3_f32 v9, v62, v61, v119
	v_add_f32_e32 v62, v35, v47
	v_min3_f32 v61, v21, v20, v116
	v_dual_add_f32 v20, v18, v46 :: v_dual_add_f32 v17, v19, v47
	v_dual_add_f32 v21, v15, v47 :: v_dual_add_f32 v84, v10, v46
	s_delay_alu instid0(VALU_DEP_4)
	v_min3_f32 v62, v63, v62, v115
	v_min3_f32 v63, v16, v13, v113
	v_add_f32_e32 v16, v3, v47
	v_min3_f32 v12, v71, v70, v114
	v_dual_add_f32 v70, v14, v46 :: v_dual_add_f32 v71, v11, v47
	v_dual_add_f32 v86, v6, v46 :: v_dual_add_f32 v85, v7, v47
	v_min3_f32 v82, v20, v17, v111
	s_delay_alu instid0(VALU_DEP_3)
	v_min3_f32 v83, v70, v21, v110
	v_dual_add_f32 v17, v2, v46 :: v_dual_add_f32 v20, v35, v43
	v_dual_add_f32 v21, v34, v42 :: v_dual_add_f32 v70, v31, v43
	v_min3_f32 v84, v84, v71, v109
	v_add_f32_e32 v71, v30, v42
	v_dual_add_f32 v87, v26, v42 :: v_dual_add_f32 v88, v19, v43
	v_add_f32_e32 v89, v18, v42
	v_min3_f32 v47, v21, v20, v106
	v_add_f32_e32 v20, v14, v42
	v_min3_f32 v13, v86, v85, v108
	;; [unrolled: 2-line block ×3, first 2 shown]
	v_min3_f32 v85, v71, v70, v104
	v_min3_f32 v16, v89, v88, v102
	v_add_f32_e32 v88, v3, v43
	v_min3_f32 v86, v87, v86, v103
	v_dual_add_f32 v17, v15, v43 :: v_dual_add_f32 v70, v10, v42
	v_dual_add_f32 v21, v11, v43 :: v_dual_add_f32 v92, v18, v38
	v_add_f32_e32 v71, v7, v43
	v_dual_add_f32 v87, v6, v42 :: v_dual_add_f32 v90, v35, v39
	v_add_f32_e32 v89, v2, v42
	v_add_f32_e32 v91, v34, v38
	v_min3_f32 v42, v20, v17, v101
	v_min3_f32 v43, v70, v21, v100
	v_add_f32_e32 v70, v27, v39
	v_add_f32_e32 v20, v31, v39
	v_min3_f32 v88, v89, v88, v98
	v_min3_f32 v17, v91, v90, v97
	v_add_f32_e32 v21, v30, v38
	v_dual_add_f32 v91, v19, v39 :: v_dual_add_f32 v100, v10, v38
	v_dual_add_f32 v97, v15, v39 :: v_dual_add_f32 v98, v14, v38
	v_min3_f32 v87, v87, v71, v99
	v_add_f32_e32 v71, v26, v38
	v_dual_add_f32 v35, v35, v23 :: v_dual_add_f32 v34, v34, v22
	v_add_f32_e32 v99, v11, v39
	v_min3_f32 v91, v92, v91, v94
	s_delay_alu instid0(VALU_DEP_4)
	v_min3_f32 v90, v71, v70, v95
	v_add_f32_e32 v70, v6, v38
	v_add_f32_e32 v38, v2, v38
	v_min3_f32 v92, v98, v97, v93
	v_dual_add_f32 v31, v31, v23 :: v_dual_add_f32 v14, v14, v22
	v_add_f32_e32 v71, v30, v22
	v_dual_add_f32 v93, v27, v23 :: v_dual_add_f32 v10, v10, v22
	v_add_f32_e32 v94, v26, v22
	v_min3_f32 v30, v34, v35, v140
	v_dual_add_f32 v19, v19, v23 :: v_dual_add_f32 v2, v2, v22
	v_dual_add_f32 v18, v18, v22 :: v_dual_add_f32 v15, v15, v23
	v_add_f32_e32 v11, v11, v23
	v_add_f32_e32 v34, v7, v23
	v_min3_f32 v89, v21, v20, v96
	v_add_f32_e32 v21, v7, v39
	v_add_f32_e32 v39, v3, v39
	;; [unrolled: 1-line block ×4, first 2 shown]
	v_min3_f32 v20, v100, v99, v131
	v_min3_f32 v26, v70, v21, v132
	v_min3_f32 v27, v38, v39, v139
	v_min3_f32 v31, v71, v31, v147
	v_min3_f32 v21, v94, v93, v148
	v_min3_f32 v3, v18, v19, v154
	v_min3_f32 v6, v14, v15, v155
	v_min3_f32 v7, v10, v11, v156
	v_min3_f32 v10, v35, v34, v157
	v_min3_f32 v2, v2, v23, v158
	s_or_b32 s5, s4, s5
	s_delay_alu instid0(SALU_CYCLE_1) | instskip(NEXT) | instid1(SALU_CYCLE_1)
	s_xor_b32 s5, s5, -1
	s_and_saveexec_b32 s6, s5
	s_cbranch_execz .LBB25_31
; %bb.51:                               ;   in Loop: Header=BB25_32 Depth=1
	v_add_co_u32 v14, s5, v112, v66
	s_delay_alu instid0(VALU_DEP_1)
	v_add_co_ci_u32_e64 v15, s5, v142, v67, s5
	flat_load_b32 v152, v[14:15] offset:768
	s_branch .LBB25_31
.LBB25_52:
	s_clause 0x1
	scratch_load_b32 v202, off, off offset:16
	scratch_load_b32 v203, off, off offset:20
.LBB25_53:
	s_clause 0x2
	s_load_b32 s14, s[0:1], 0x50
	s_load_b32 s9, s[0:1], 0x68
	s_load_b64 s[0:1], s[0:1], 0x70
	s_waitcnt vmcnt(0)
	v_add_nc_u32_e32 v112, s24, v203
	ds_load_b128 v[32:35], v75 offset:9216
	ds_load_b128 v[28:31], v75 offset:9344
	;; [unrolled: 1-line block ×16, first 2 shown]
	v_add_nc_u32_e32 v64, s7, v202
	v_cmp_gt_i32_e64 s8, s17, v112
	v_cndmask_b32_e64 v105, 0, 1, s19
	s_waitcnt lgkmcnt(0)
	v_mad_i64_i32 v[65:66], null, v112, s14, 0
	v_mad_i64_i32 v[67:68], null, v112, s9, 0
	s_lshl_b64 s[0:1], s[0:1], 2
	s_delay_alu instid0(SALU_CYCLE_1) | instskip(SKIP_1) | instid1(VALU_DEP_2)
	s_add_u32 s12, s12, s0
	s_addc_u32 s13, s13, s1
	v_lshlrev_b64 v[65:66], 2, v[65:66]
	v_cmp_gt_i32_e64 s0, s16, v64
	s_delay_alu instid0(VALU_DEP_3) | instskip(NEXT) | instid1(VALU_DEP_2)
	v_lshlrev_b64 v[67:68], 2, v[67:68]
	s_and_b32 s2, s0, s8
	s_delay_alu instid0(VALU_DEP_3) | instskip(NEXT) | instid1(VALU_DEP_4)
	v_add_co_u32 v150, vcc_lo, s10, v65
	v_add_co_ci_u32_e32 v151, vcc_lo, s11, v66, vcc_lo
	s_delay_alu instid0(VALU_DEP_3) | instskip(NEXT) | instid1(VALU_DEP_4)
	v_add_co_u32 v142, vcc_lo, s12, v67
	v_add_co_ci_u32_e32 v149, vcc_lo, s13, v68, vcc_lo
	v_ashrrev_i32_e32 v65, 31, v64
	s_and_saveexec_b32 s1, s2
	s_cbranch_execz .LBB25_58
; %bb.54:
	s_delay_alu instid0(VALU_DEP_1)
	v_lshlrev_b64 v[66:67], 2, v[64:65]
	s_and_not1_b32 vcc_lo, exec_lo, s19
	s_cbranch_vccnz .LBB25_56
; %bb.55:
	s_delay_alu instid0(VALU_DEP_1) | instskip(NEXT) | instid1(VALU_DEP_2)
	v_add_co_u32 v68, vcc_lo, v150, v66
	v_add_co_ci_u32_e32 v69, vcc_lo, v151, v67, vcc_lo
	flat_load_b32 v68, v[68:69]
	s_waitcnt vmcnt(0) lgkmcnt(0)
	v_mul_f32_e32 v68, s15, v68
	s_branch .LBB25_57
.LBB25_56:
	v_mov_b32_e32 v68, 0
.LBB25_57:
	v_dual_add_f32 v69, v33, v61 :: v_dual_add_f32 v70, v32, v60
	v_dual_add_f32 v71, v35, v63 :: v_dual_add_f32 v72, v34, v62
	v_add_co_u32 v66, vcc_lo, v142, v66
	s_delay_alu instid0(VALU_DEP_3) | instskip(SKIP_1) | instid1(VALU_DEP_4)
	v_min3_f32 v69, v70, v69, v148
	v_add_co_ci_u32_e32 v67, vcc_lo, v149, v67, vcc_lo
	v_min_f32_e32 v70, v72, v71
	s_delay_alu instid0(VALU_DEP_1)
	v_min3_f32 v68, v68, v70, v69
	global_store_b32 v[66:67], v68, off
.LBB25_58:
	s_or_b32 exec_lo, exec_lo, s1
	v_add_nc_u32_e32 v66, 8, v64
	s_delay_alu instid0(VALU_DEP_1) | instskip(SKIP_1) | instid1(VALU_DEP_2)
	v_cmp_gt_i32_e64 s1, s16, v66
	v_ashrrev_i32_e32 v67, 31, v66
	s_and_b32 s3, s1, s8
	s_delay_alu instid0(SALU_CYCLE_1)
	s_and_saveexec_b32 s2, s3
	s_cbranch_execz .LBB25_63
; %bb.59:
	v_cmp_ne_u32_e32 vcc_lo, 1, v105
	v_lshlrev_b64 v[68:69], 2, v[66:67]
	s_cbranch_vccnz .LBB25_61
; %bb.60:
	s_delay_alu instid0(VALU_DEP_1) | instskip(NEXT) | instid1(VALU_DEP_2)
	v_add_co_u32 v70, vcc_lo, v150, v68
	v_add_co_ci_u32_e32 v71, vcc_lo, v151, v69, vcc_lo
	flat_load_b32 v70, v[70:71]
	s_waitcnt vmcnt(0) lgkmcnt(0)
	v_mul_f32_e32 v70, s15, v70
	s_branch .LBB25_62
.LBB25_61:
	v_mov_b32_e32 v70, 0
.LBB25_62:
	v_dual_add_f32 v71, v29, v61 :: v_dual_add_f32 v72, v28, v60
	v_dual_add_f32 v73, v31, v63 :: v_dual_add_f32 v74, v30, v62
	s_delay_alu instid0(VALU_DEP_4) | instskip(NEXT) | instid1(VALU_DEP_3)
	v_add_co_u32 v68, vcc_lo, v142, v68
	v_min3_f32 v71, v72, v71, v147
	v_add_co_ci_u32_e32 v69, vcc_lo, v149, v69, vcc_lo
	s_delay_alu instid0(VALU_DEP_4) | instskip(NEXT) | instid1(VALU_DEP_1)
	v_min_f32_e32 v72, v74, v73
	v_min3_f32 v70, v70, v72, v71
	global_store_b32 v[68:69], v70, off
.LBB25_63:
	s_or_b32 exec_lo, exec_lo, s2
	v_add_nc_u32_e32 v68, 16, v64
	s_delay_alu instid0(VALU_DEP_1) | instskip(SKIP_1) | instid1(VALU_DEP_2)
	v_cmp_gt_i32_e64 s2, s16, v68
	v_ashrrev_i32_e32 v69, 31, v68
	s_and_b32 s4, s2, s8
	s_delay_alu instid0(SALU_CYCLE_1)
	s_and_saveexec_b32 s3, s4
	s_cbranch_execz .LBB25_68
; %bb.64:
	v_cmp_ne_u32_e32 vcc_lo, 1, v105
	v_lshlrev_b64 v[70:71], 2, v[68:69]
	s_cbranch_vccnz .LBB25_66
; %bb.65:
	s_delay_alu instid0(VALU_DEP_1) | instskip(NEXT) | instid1(VALU_DEP_2)
	v_add_co_u32 v72, vcc_lo, v150, v70
	v_add_co_ci_u32_e32 v73, vcc_lo, v151, v71, vcc_lo
	flat_load_b32 v72, v[72:73]
	s_waitcnt vmcnt(0) lgkmcnt(0)
	v_mul_f32_e32 v72, s15, v72
	s_branch .LBB25_67
.LBB25_66:
	v_mov_b32_e32 v72, 0
.LBB25_67:
	v_dual_add_f32 v73, v25, v61 :: v_dual_add_f32 v74, v24, v60
	v_dual_add_f32 v75, v27, v63 :: v_dual_add_f32 v76, v26, v62
	s_delay_alu instid0(VALU_DEP_4) | instskip(NEXT) | instid1(VALU_DEP_3)
	v_add_co_u32 v70, vcc_lo, v142, v70
	v_min3_f32 v73, v74, v73, v146
	v_add_co_ci_u32_e32 v71, vcc_lo, v149, v71, vcc_lo
	s_delay_alu instid0(VALU_DEP_4) | instskip(NEXT) | instid1(VALU_DEP_1)
	v_min_f32_e32 v74, v76, v75
	v_min3_f32 v72, v72, v74, v73
	global_store_b32 v[70:71], v72, off
.LBB25_68:
	;; [unrolled: 35-line block ×5, first 2 shown]
	s_or_b32 exec_lo, exec_lo, s6
	v_add_nc_u32_e32 v76, 48, v64
	s_delay_alu instid0(VALU_DEP_1) | instskip(SKIP_1) | instid1(VALU_DEP_2)
	v_cmp_gt_i32_e64 s6, s16, v76
	v_ashrrev_i32_e32 v77, 31, v76
	s_and_b32 s18, s6, s8
	s_delay_alu instid0(SALU_CYCLE_1)
	s_and_saveexec_b32 s7, s18
	s_cbranch_execz .LBB25_88
; %bb.84:
	v_cmp_ne_u32_e32 vcc_lo, 1, v105
	v_lshlrev_b64 v[78:79], 2, v[76:77]
	s_cbranch_vccnz .LBB25_86
; %bb.85:
	s_delay_alu instid0(VALU_DEP_1) | instskip(NEXT) | instid1(VALU_DEP_2)
	v_add_co_u32 v80, vcc_lo, v150, v78
	v_add_co_ci_u32_e32 v81, vcc_lo, v151, v79, vcc_lo
	flat_load_b32 v80, v[80:81]
	s_waitcnt vmcnt(0) lgkmcnt(0)
	v_mul_f32_e32 v80, s15, v80
	s_branch .LBB25_87
.LBB25_86:
	v_mov_b32_e32 v80, 0
.LBB25_87:
	v_dual_add_f32 v81, v9, v61 :: v_dual_add_f32 v144, v11, v63
	v_add_f32_e32 v143, v8, v60
	v_add_f32_e32 v145, v10, v62
	v_add_co_u32 v78, vcc_lo, v142, v78
	v_add_co_ci_u32_e32 v79, vcc_lo, v149, v79, vcc_lo
	s_delay_alu instid0(VALU_DEP_4) | instskip(NEXT) | instid1(VALU_DEP_4)
	v_min3_f32 v81, v143, v81, v141
	v_min_f32_e32 v141, v145, v144
	s_delay_alu instid0(VALU_DEP_1)
	v_min3_f32 v80, v80, v141, v81
	global_store_b32 v[78:79], v80, off
.LBB25_88:
	s_or_b32 exec_lo, exec_lo, s7
	v_add_nc_u32_e32 v78, 56, v64
	s_delay_alu instid0(VALU_DEP_1) | instskip(SKIP_1) | instid1(VALU_DEP_2)
	v_cmp_gt_i32_e64 s7, s16, v78
	v_ashrrev_i32_e32 v79, 31, v78
	s_and_b32 s16, s7, s8
	s_delay_alu instid0(SALU_CYCLE_1)
	s_and_saveexec_b32 s8, s16
	s_cbranch_execz .LBB25_93
; %bb.89:
	v_cmp_ne_u32_e32 vcc_lo, 1, v105
	v_lshlrev_b64 v[80:81], 2, v[78:79]
	s_cbranch_vccnz .LBB25_91
; %bb.90:
	s_delay_alu instid0(VALU_DEP_1) | instskip(NEXT) | instid1(VALU_DEP_2)
	v_add_co_u32 v143, vcc_lo, v150, v80
	v_add_co_ci_u32_e32 v144, vcc_lo, v151, v81, vcc_lo
	flat_load_b32 v141, v[143:144]
	s_waitcnt vmcnt(0) lgkmcnt(0)
	v_mul_f32_e32 v141, s15, v141
	s_branch .LBB25_92
.LBB25_91:
	v_mov_b32_e32 v141, 0
.LBB25_92:
	v_dual_add_f32 v61, v1, v61 :: v_dual_add_f32 v60, v0, v60
	v_dual_add_f32 v63, v3, v63 :: v_dual_add_f32 v62, v2, v62
	s_delay_alu instid0(VALU_DEP_2) | instskip(NEXT) | instid1(VALU_DEP_2)
	v_min3_f32 v60, v60, v61, v140
	v_min_f32_e32 v61, v62, v63
	s_delay_alu instid0(VALU_DEP_1)
	v_min3_f32 v62, v141, v61, v60
	v_add_co_u32 v60, vcc_lo, v142, v80
	v_add_co_ci_u32_e32 v61, vcc_lo, v149, v81, vcc_lo
	global_store_b32 v[60:61], v62, off
.LBB25_93:
	s_or_b32 exec_lo, exec_lo, s8
	v_add_nc_u32_e32 v80, 32, v112
	s_delay_alu instid0(VALU_DEP_1) | instskip(SKIP_2) | instid1(VALU_DEP_3)
	v_mad_i64_i32 v[60:61], null, v80, s14, 0
	v_mad_i64_i32 v[62:63], null, v80, s9, 0
	v_cmp_gt_i32_e64 s8, s17, v80
	v_lshlrev_b64 v[60:61], 2, v[60:61]
	s_delay_alu instid0(VALU_DEP_2) | instskip(NEXT) | instid1(VALU_DEP_3)
	s_and_b32 s18, s0, s8
	v_lshlrev_b64 v[62:63], 2, v[62:63]
	s_delay_alu instid0(VALU_DEP_2) | instskip(NEXT) | instid1(VALU_DEP_3)
	v_add_co_u32 v80, vcc_lo, s10, v60
	v_add_co_ci_u32_e32 v81, vcc_lo, s11, v61, vcc_lo
	s_delay_alu instid0(VALU_DEP_3) | instskip(NEXT) | instid1(VALU_DEP_4)
	v_add_co_u32 v62, vcc_lo, s12, v62
	v_add_co_ci_u32_e32 v63, vcc_lo, s13, v63, vcc_lo
	s_and_saveexec_b32 s16, s18
	s_cbranch_execnz .LBB25_101
; %bb.94:
	s_or_b32 exec_lo, exec_lo, s16
	s_and_b32 s18, s1, s8
	s_delay_alu instid0(SALU_CYCLE_1)
	s_and_saveexec_b32 s16, s18
	s_cbranch_execnz .LBB25_105
.LBB25_95:
	s_or_b32 exec_lo, exec_lo, s16
	s_and_b32 s18, s2, s8
	s_delay_alu instid0(SALU_CYCLE_1)
	s_and_saveexec_b32 s16, s18
	s_cbranch_execnz .LBB25_109
.LBB25_96:
	s_or_b32 exec_lo, exec_lo, s16
	s_and_b32 s18, s3, s8
	s_delay_alu instid0(SALU_CYCLE_1)
	s_and_saveexec_b32 s16, s18
	s_cbranch_execnz .LBB25_113
.LBB25_97:
	s_or_b32 exec_lo, exec_lo, s16
	s_and_b32 s18, s4, s8
	s_delay_alu instid0(SALU_CYCLE_1)
	s_and_saveexec_b32 s16, s18
	s_cbranch_execnz .LBB25_117
.LBB25_98:
	s_or_b32 exec_lo, exec_lo, s16
	s_and_b32 s18, s5, s8
	s_delay_alu instid0(SALU_CYCLE_1)
	s_and_saveexec_b32 s16, s18
	s_cbranch_execnz .LBB25_121
.LBB25_99:
	s_or_b32 exec_lo, exec_lo, s16
	s_and_b32 s18, s6, s8
	s_delay_alu instid0(SALU_CYCLE_1)
	s_and_saveexec_b32 s16, s18
	s_cbranch_execnz .LBB25_125
.LBB25_100:
	s_or_b32 exec_lo, exec_lo, s16
	s_and_b32 s16, s7, s8
	s_delay_alu instid0(SALU_CYCLE_1)
	s_and_saveexec_b32 s8, s16
	s_cbranch_execnz .LBB25_129
	s_branch .LBB25_133
.LBB25_101:
	v_cmp_ne_u32_e32 vcc_lo, 1, v105
	v_lshlrev_b64 v[60:61], 2, v[64:65]
	s_cbranch_vccnz .LBB25_103
; %bb.102:
	s_delay_alu instid0(VALU_DEP_1) | instskip(NEXT) | instid1(VALU_DEP_2)
	v_add_co_u32 v140, vcc_lo, v80, v60
	v_add_co_ci_u32_e32 v141, vcc_lo, v81, v61, vcc_lo
	flat_load_b32 v140, v[140:141]
	s_waitcnt vmcnt(0) lgkmcnt(0)
	v_mul_f32_e32 v140, s15, v140
	s_branch .LBB25_104
.LBB25_103:
	v_mov_b32_e32 v140, 0
.LBB25_104:
	v_dual_add_f32 v141, v33, v57 :: v_dual_add_f32 v142, v32, v56
	v_dual_add_f32 v143, v35, v59 :: v_dual_add_f32 v144, v34, v58
	s_delay_alu instid0(VALU_DEP_4) | instskip(NEXT) | instid1(VALU_DEP_3)
	v_add_co_u32 v60, vcc_lo, v62, v60
	v_min3_f32 v139, v142, v141, v139
	v_add_co_ci_u32_e32 v61, vcc_lo, v63, v61, vcc_lo
	s_delay_alu instid0(VALU_DEP_4) | instskip(NEXT) | instid1(VALU_DEP_1)
	v_min_f32_e32 v141, v144, v143
	v_min3_f32 v139, v140, v141, v139
	global_store_b32 v[60:61], v139, off
	s_or_b32 exec_lo, exec_lo, s16
	s_and_b32 s18, s1, s8
	s_delay_alu instid0(SALU_CYCLE_1)
	s_and_saveexec_b32 s16, s18
	s_cbranch_execz .LBB25_95
.LBB25_105:
	v_cmp_ne_u32_e32 vcc_lo, 1, v105
	v_lshlrev_b64 v[60:61], 2, v[66:67]
	s_cbranch_vccnz .LBB25_107
; %bb.106:
	s_delay_alu instid0(VALU_DEP_1) | instskip(NEXT) | instid1(VALU_DEP_2)
	v_add_co_u32 v139, vcc_lo, v80, v60
	v_add_co_ci_u32_e32 v140, vcc_lo, v81, v61, vcc_lo
	flat_load_b32 v139, v[139:140]
	s_waitcnt vmcnt(0) lgkmcnt(0)
	v_mul_f32_e32 v139, s15, v139
	s_branch .LBB25_108
.LBB25_107:
	v_mov_b32_e32 v139, 0
.LBB25_108:
	v_dual_add_f32 v140, v29, v57 :: v_dual_add_f32 v141, v28, v56
	v_dual_add_f32 v142, v31, v59 :: v_dual_add_f32 v143, v30, v58
	s_delay_alu instid0(VALU_DEP_4) | instskip(NEXT) | instid1(VALU_DEP_3)
	v_add_co_u32 v60, vcc_lo, v62, v60
	v_min3_f32 v138, v141, v140, v138
	v_add_co_ci_u32_e32 v61, vcc_lo, v63, v61, vcc_lo
	s_delay_alu instid0(VALU_DEP_4) | instskip(NEXT) | instid1(VALU_DEP_1)
	v_min_f32_e32 v140, v143, v142
	v_min3_f32 v138, v139, v140, v138
	global_store_b32 v[60:61], v138, off
	s_or_b32 exec_lo, exec_lo, s16
	s_and_b32 s18, s2, s8
	s_delay_alu instid0(SALU_CYCLE_1)
	s_and_saveexec_b32 s16, s18
	s_cbranch_execz .LBB25_96
.LBB25_109:
	v_cmp_ne_u32_e32 vcc_lo, 1, v105
	v_lshlrev_b64 v[60:61], 2, v[68:69]
	s_cbranch_vccnz .LBB25_111
; %bb.110:
	s_delay_alu instid0(VALU_DEP_1) | instskip(NEXT) | instid1(VALU_DEP_2)
	v_add_co_u32 v138, vcc_lo, v80, v60
	v_add_co_ci_u32_e32 v139, vcc_lo, v81, v61, vcc_lo
	flat_load_b32 v138, v[138:139]
	s_waitcnt vmcnt(0) lgkmcnt(0)
	v_mul_f32_e32 v138, s15, v138
	s_branch .LBB25_112
.LBB25_111:
	v_mov_b32_e32 v138, 0
.LBB25_112:
	v_dual_add_f32 v139, v25, v57 :: v_dual_add_f32 v140, v24, v56
	v_dual_add_f32 v141, v27, v59 :: v_dual_add_f32 v142, v26, v58
	s_delay_alu instid0(VALU_DEP_4) | instskip(NEXT) | instid1(VALU_DEP_3)
	v_add_co_u32 v60, vcc_lo, v62, v60
	v_min3_f32 v137, v140, v139, v137
	v_add_co_ci_u32_e32 v61, vcc_lo, v63, v61, vcc_lo
	s_delay_alu instid0(VALU_DEP_4) | instskip(NEXT) | instid1(VALU_DEP_1)
	v_min_f32_e32 v139, v142, v141
	v_min3_f32 v137, v138, v139, v137
	global_store_b32 v[60:61], v137, off
	s_or_b32 exec_lo, exec_lo, s16
	s_and_b32 s18, s3, s8
	s_delay_alu instid0(SALU_CYCLE_1)
	s_and_saveexec_b32 s16, s18
	s_cbranch_execz .LBB25_97
.LBB25_113:
	v_cmp_ne_u32_e32 vcc_lo, 1, v105
	v_lshlrev_b64 v[60:61], 2, v[70:71]
	s_cbranch_vccnz .LBB25_115
; %bb.114:
	s_delay_alu instid0(VALU_DEP_1) | instskip(NEXT) | instid1(VALU_DEP_2)
	v_add_co_u32 v137, vcc_lo, v80, v60
	v_add_co_ci_u32_e32 v138, vcc_lo, v81, v61, vcc_lo
	flat_load_b32 v137, v[137:138]
	s_waitcnt vmcnt(0) lgkmcnt(0)
	v_mul_f32_e32 v137, s15, v137
	s_branch .LBB25_116
.LBB25_115:
	v_mov_b32_e32 v137, 0
.LBB25_116:
	v_dual_add_f32 v138, v21, v57 :: v_dual_add_f32 v139, v20, v56
	v_dual_add_f32 v140, v23, v59 :: v_dual_add_f32 v141, v22, v58
	s_delay_alu instid0(VALU_DEP_4) | instskip(NEXT) | instid1(VALU_DEP_3)
	v_add_co_u32 v60, vcc_lo, v62, v60
	v_min3_f32 v136, v139, v138, v136
	v_add_co_ci_u32_e32 v61, vcc_lo, v63, v61, vcc_lo
	s_delay_alu instid0(VALU_DEP_4) | instskip(NEXT) | instid1(VALU_DEP_1)
	v_min_f32_e32 v138, v141, v140
	v_min3_f32 v136, v137, v138, v136
	global_store_b32 v[60:61], v136, off
	s_or_b32 exec_lo, exec_lo, s16
	s_and_b32 s18, s4, s8
	s_delay_alu instid0(SALU_CYCLE_1)
	s_and_saveexec_b32 s16, s18
	s_cbranch_execz .LBB25_98
.LBB25_117:
	v_cmp_ne_u32_e32 vcc_lo, 1, v105
	v_lshlrev_b64 v[60:61], 2, v[72:73]
	s_cbranch_vccnz .LBB25_119
; %bb.118:
	s_delay_alu instid0(VALU_DEP_1) | instskip(NEXT) | instid1(VALU_DEP_2)
	v_add_co_u32 v136, vcc_lo, v80, v60
	v_add_co_ci_u32_e32 v137, vcc_lo, v81, v61, vcc_lo
	flat_load_b32 v136, v[136:137]
	s_waitcnt vmcnt(0) lgkmcnt(0)
	v_mul_f32_e32 v136, s15, v136
	s_branch .LBB25_120
.LBB25_119:
	v_mov_b32_e32 v136, 0
.LBB25_120:
	v_dual_add_f32 v137, v17, v57 :: v_dual_add_f32 v138, v16, v56
	v_dual_add_f32 v139, v19, v59 :: v_dual_add_f32 v140, v18, v58
	s_delay_alu instid0(VALU_DEP_4) | instskip(NEXT) | instid1(VALU_DEP_3)
	v_add_co_u32 v60, vcc_lo, v62, v60
	v_min3_f32 v135, v138, v137, v135
	v_add_co_ci_u32_e32 v61, vcc_lo, v63, v61, vcc_lo
	s_delay_alu instid0(VALU_DEP_4) | instskip(NEXT) | instid1(VALU_DEP_1)
	v_min_f32_e32 v137, v140, v139
	v_min3_f32 v135, v136, v137, v135
	global_store_b32 v[60:61], v135, off
	s_or_b32 exec_lo, exec_lo, s16
	s_and_b32 s18, s5, s8
	s_delay_alu instid0(SALU_CYCLE_1)
	s_and_saveexec_b32 s16, s18
	s_cbranch_execz .LBB25_99
.LBB25_121:
	v_cmp_ne_u32_e32 vcc_lo, 1, v105
	v_lshlrev_b64 v[60:61], 2, v[74:75]
	s_cbranch_vccnz .LBB25_123
; %bb.122:
	s_delay_alu instid0(VALU_DEP_1) | instskip(NEXT) | instid1(VALU_DEP_2)
	v_add_co_u32 v135, vcc_lo, v80, v60
	v_add_co_ci_u32_e32 v136, vcc_lo, v81, v61, vcc_lo
	flat_load_b32 v135, v[135:136]
	s_waitcnt vmcnt(0) lgkmcnt(0)
	v_mul_f32_e32 v135, s15, v135
	s_branch .LBB25_124
.LBB25_123:
	v_mov_b32_e32 v135, 0
.LBB25_124:
	v_dual_add_f32 v136, v13, v57 :: v_dual_add_f32 v137, v12, v56
	v_dual_add_f32 v138, v15, v59 :: v_dual_add_f32 v139, v14, v58
	s_delay_alu instid0(VALU_DEP_4) | instskip(NEXT) | instid1(VALU_DEP_3)
	v_add_co_u32 v60, vcc_lo, v62, v60
	v_min3_f32 v134, v137, v136, v134
	v_add_co_ci_u32_e32 v61, vcc_lo, v63, v61, vcc_lo
	s_delay_alu instid0(VALU_DEP_4) | instskip(NEXT) | instid1(VALU_DEP_1)
	v_min_f32_e32 v136, v139, v138
	v_min3_f32 v134, v135, v136, v134
	global_store_b32 v[60:61], v134, off
	s_or_b32 exec_lo, exec_lo, s16
	s_and_b32 s18, s6, s8
	s_delay_alu instid0(SALU_CYCLE_1)
	s_and_saveexec_b32 s16, s18
	s_cbranch_execz .LBB25_100
.LBB25_125:
	v_cmp_ne_u32_e32 vcc_lo, 1, v105
	v_lshlrev_b64 v[60:61], 2, v[76:77]
	s_cbranch_vccnz .LBB25_127
; %bb.126:
	s_delay_alu instid0(VALU_DEP_1) | instskip(NEXT) | instid1(VALU_DEP_2)
	v_add_co_u32 v134, vcc_lo, v80, v60
	v_add_co_ci_u32_e32 v135, vcc_lo, v81, v61, vcc_lo
	flat_load_b32 v134, v[134:135]
	s_waitcnt vmcnt(0) lgkmcnt(0)
	v_mul_f32_e32 v134, s15, v134
	s_branch .LBB25_128
.LBB25_127:
	v_mov_b32_e32 v134, 0
.LBB25_128:
	v_dual_add_f32 v135, v9, v57 :: v_dual_add_f32 v136, v8, v56
	v_dual_add_f32 v137, v11, v59 :: v_dual_add_f32 v138, v10, v58
	s_delay_alu instid0(VALU_DEP_4) | instskip(NEXT) | instid1(VALU_DEP_3)
	v_add_co_u32 v60, vcc_lo, v62, v60
	v_min3_f32 v133, v136, v135, v133
	v_add_co_ci_u32_e32 v61, vcc_lo, v63, v61, vcc_lo
	s_delay_alu instid0(VALU_DEP_4) | instskip(NEXT) | instid1(VALU_DEP_1)
	v_min_f32_e32 v135, v138, v137
	v_min3_f32 v133, v134, v135, v133
	global_store_b32 v[60:61], v133, off
	s_or_b32 exec_lo, exec_lo, s16
	s_and_b32 s16, s7, s8
	s_delay_alu instid0(SALU_CYCLE_1)
	s_and_saveexec_b32 s8, s16
	s_cbranch_execz .LBB25_133
.LBB25_129:
	v_cmp_ne_u32_e32 vcc_lo, 1, v105
	v_lshlrev_b64 v[60:61], 2, v[78:79]
	s_cbranch_vccnz .LBB25_131
; %bb.130:
	s_delay_alu instid0(VALU_DEP_1) | instskip(NEXT) | instid1(VALU_DEP_2)
	v_add_co_u32 v80, vcc_lo, v80, v60
	v_add_co_ci_u32_e32 v81, vcc_lo, v81, v61, vcc_lo
	flat_load_b32 v80, v[80:81]
	s_waitcnt vmcnt(0) lgkmcnt(0)
	v_mul_f32_e32 v80, s15, v80
	s_branch .LBB25_132
.LBB25_131:
	v_mov_b32_e32 v80, 0
.LBB25_132:
	v_dual_add_f32 v57, v1, v57 :: v_dual_add_f32 v56, v0, v56
	v_dual_add_f32 v59, v3, v59 :: v_dual_add_f32 v58, v2, v58
	s_delay_alu instid0(VALU_DEP_2) | instskip(NEXT) | instid1(VALU_DEP_2)
	v_min3_f32 v56, v56, v57, v132
	v_min_f32_e32 v57, v58, v59
	s_delay_alu instid0(VALU_DEP_1)
	v_min3_f32 v58, v80, v57, v56
	v_add_co_u32 v56, vcc_lo, v62, v60
	v_add_co_ci_u32_e32 v57, vcc_lo, v63, v61, vcc_lo
	global_store_b32 v[56:57], v58, off
.LBB25_133:
	s_or_b32 exec_lo, exec_lo, s8
	v_add_nc_u32_e32 v60, 64, v112
	s_delay_alu instid0(VALU_DEP_1) | instskip(SKIP_2) | instid1(VALU_DEP_3)
	v_mad_i64_i32 v[56:57], null, v60, s14, 0
	v_mad_i64_i32 v[58:59], null, v60, s9, 0
	v_cmp_gt_i32_e64 s8, s17, v60
	v_lshlrev_b64 v[56:57], 2, v[56:57]
	s_delay_alu instid0(VALU_DEP_2) | instskip(NEXT) | instid1(VALU_DEP_3)
	s_and_b32 s18, s0, s8
	v_lshlrev_b64 v[58:59], 2, v[58:59]
	s_delay_alu instid0(VALU_DEP_2) | instskip(NEXT) | instid1(VALU_DEP_3)
	v_add_co_u32 v60, vcc_lo, s10, v56
	v_add_co_ci_u32_e32 v61, vcc_lo, s11, v57, vcc_lo
	s_delay_alu instid0(VALU_DEP_3) | instskip(NEXT) | instid1(VALU_DEP_4)
	v_add_co_u32 v58, vcc_lo, s12, v58
	v_add_co_ci_u32_e32 v59, vcc_lo, s13, v59, vcc_lo
	s_and_saveexec_b32 s16, s18
	s_cbranch_execnz .LBB25_141
; %bb.134:
	s_or_b32 exec_lo, exec_lo, s16
	s_and_b32 s18, s1, s8
	s_delay_alu instid0(SALU_CYCLE_1)
	s_and_saveexec_b32 s16, s18
	s_cbranch_execnz .LBB25_145
.LBB25_135:
	s_or_b32 exec_lo, exec_lo, s16
	s_and_b32 s18, s2, s8
	s_delay_alu instid0(SALU_CYCLE_1)
	s_and_saveexec_b32 s16, s18
	s_cbranch_execnz .LBB25_149
.LBB25_136:
	s_or_b32 exec_lo, exec_lo, s16
	s_and_b32 s18, s3, s8
	s_delay_alu instid0(SALU_CYCLE_1)
	s_and_saveexec_b32 s16, s18
	s_cbranch_execnz .LBB25_153
.LBB25_137:
	s_or_b32 exec_lo, exec_lo, s16
	s_and_b32 s18, s4, s8
	s_delay_alu instid0(SALU_CYCLE_1)
	s_and_saveexec_b32 s16, s18
	s_cbranch_execnz .LBB25_157
.LBB25_138:
	s_or_b32 exec_lo, exec_lo, s16
	s_and_b32 s18, s5, s8
	s_delay_alu instid0(SALU_CYCLE_1)
	s_and_saveexec_b32 s16, s18
	s_cbranch_execnz .LBB25_161
.LBB25_139:
	s_or_b32 exec_lo, exec_lo, s16
	s_and_b32 s18, s6, s8
	s_delay_alu instid0(SALU_CYCLE_1)
	s_and_saveexec_b32 s16, s18
	s_cbranch_execnz .LBB25_165
.LBB25_140:
	s_or_b32 exec_lo, exec_lo, s16
	s_and_b32 s16, s7, s8
	s_delay_alu instid0(SALU_CYCLE_1)
	s_and_saveexec_b32 s8, s16
	s_cbranch_execnz .LBB25_169
	s_branch .LBB25_173
.LBB25_141:
	v_cmp_ne_u32_e32 vcc_lo, 1, v105
	v_lshlrev_b64 v[56:57], 2, v[64:65]
	s_cbranch_vccnz .LBB25_143
; %bb.142:
	s_delay_alu instid0(VALU_DEP_1) | instskip(NEXT) | instid1(VALU_DEP_2)
	v_add_co_u32 v62, vcc_lo, v60, v56
	v_add_co_ci_u32_e32 v63, vcc_lo, v61, v57, vcc_lo
	flat_load_b32 v62, v[62:63]
	s_waitcnt vmcnt(0) lgkmcnt(0)
	v_mul_f32_e32 v62, s15, v62
	s_branch .LBB25_144
.LBB25_143:
	v_mov_b32_e32 v62, 0
.LBB25_144:
	v_dual_add_f32 v63, v33, v53 :: v_dual_add_f32 v80, v32, v52
	v_dual_add_f32 v81, v35, v55 :: v_dual_add_f32 v132, v34, v54
	s_delay_alu instid0(VALU_DEP_4) | instskip(NEXT) | instid1(VALU_DEP_3)
	v_add_co_u32 v56, vcc_lo, v58, v56
	v_min3_f32 v63, v80, v63, v131
	v_add_co_ci_u32_e32 v57, vcc_lo, v59, v57, vcc_lo
	s_delay_alu instid0(VALU_DEP_4) | instskip(NEXT) | instid1(VALU_DEP_1)
	v_min_f32_e32 v80, v132, v81
	v_min3_f32 v62, v62, v80, v63
	global_store_b32 v[56:57], v62, off
	s_or_b32 exec_lo, exec_lo, s16
	s_and_b32 s18, s1, s8
	s_delay_alu instid0(SALU_CYCLE_1)
	s_and_saveexec_b32 s16, s18
	s_cbranch_execz .LBB25_135
.LBB25_145:
	v_cmp_ne_u32_e32 vcc_lo, 1, v105
	v_lshlrev_b64 v[56:57], 2, v[66:67]
	s_cbranch_vccnz .LBB25_147
; %bb.146:
	s_delay_alu instid0(VALU_DEP_1) | instskip(NEXT) | instid1(VALU_DEP_2)
	v_add_co_u32 v62, vcc_lo, v60, v56
	v_add_co_ci_u32_e32 v63, vcc_lo, v61, v57, vcc_lo
	flat_load_b32 v62, v[62:63]
	s_waitcnt vmcnt(0) lgkmcnt(0)
	v_mul_f32_e32 v62, s15, v62
	s_branch .LBB25_148
.LBB25_147:
	v_mov_b32_e32 v62, 0
.LBB25_148:
	v_dual_add_f32 v63, v29, v53 :: v_dual_add_f32 v80, v28, v52
	v_add_f32_e32 v81, v31, v55
	v_add_f32_e32 v131, v30, v54
	v_add_co_u32 v56, vcc_lo, v58, v56
	s_delay_alu instid0(VALU_DEP_4) | instskip(SKIP_1) | instid1(VALU_DEP_4)
	v_min3_f32 v63, v80, v63, v130
	v_add_co_ci_u32_e32 v57, vcc_lo, v59, v57, vcc_lo
	v_min_f32_e32 v80, v131, v81
	s_delay_alu instid0(VALU_DEP_1) | instskip(SKIP_3) | instid1(SALU_CYCLE_1)
	v_min3_f32 v62, v62, v80, v63
	global_store_b32 v[56:57], v62, off
	s_or_b32 exec_lo, exec_lo, s16
	s_and_b32 s18, s2, s8
	s_and_saveexec_b32 s16, s18
	s_cbranch_execz .LBB25_136
.LBB25_149:
	v_cmp_ne_u32_e32 vcc_lo, 1, v105
	v_lshlrev_b64 v[56:57], 2, v[68:69]
	s_cbranch_vccnz .LBB25_151
; %bb.150:
	s_delay_alu instid0(VALU_DEP_1) | instskip(NEXT) | instid1(VALU_DEP_2)
	v_add_co_u32 v62, vcc_lo, v60, v56
	v_add_co_ci_u32_e32 v63, vcc_lo, v61, v57, vcc_lo
	flat_load_b32 v62, v[62:63]
	s_waitcnt vmcnt(0) lgkmcnt(0)
	v_mul_f32_e32 v62, s15, v62
	s_branch .LBB25_152
.LBB25_151:
	v_mov_b32_e32 v62, 0
.LBB25_152:
	v_dual_add_f32 v63, v25, v53 :: v_dual_add_f32 v80, v24, v52
	v_dual_add_f32 v81, v27, v55 :: v_dual_add_f32 v130, v26, v54
	s_delay_alu instid0(VALU_DEP_4) | instskip(NEXT) | instid1(VALU_DEP_3)
	v_add_co_u32 v56, vcc_lo, v58, v56
	v_min3_f32 v63, v80, v63, v129
	v_add_co_ci_u32_e32 v57, vcc_lo, v59, v57, vcc_lo
	s_delay_alu instid0(VALU_DEP_4) | instskip(NEXT) | instid1(VALU_DEP_1)
	v_min_f32_e32 v80, v130, v81
	v_min3_f32 v62, v62, v80, v63
	global_store_b32 v[56:57], v62, off
	s_or_b32 exec_lo, exec_lo, s16
	s_and_b32 s18, s3, s8
	s_delay_alu instid0(SALU_CYCLE_1)
	s_and_saveexec_b32 s16, s18
	s_cbranch_execz .LBB25_137
.LBB25_153:
	v_cmp_ne_u32_e32 vcc_lo, 1, v105
	v_lshlrev_b64 v[56:57], 2, v[70:71]
	s_cbranch_vccnz .LBB25_155
; %bb.154:
	s_delay_alu instid0(VALU_DEP_1) | instskip(NEXT) | instid1(VALU_DEP_2)
	v_add_co_u32 v62, vcc_lo, v60, v56
	v_add_co_ci_u32_e32 v63, vcc_lo, v61, v57, vcc_lo
	flat_load_b32 v62, v[62:63]
	s_waitcnt vmcnt(0) lgkmcnt(0)
	v_mul_f32_e32 v62, s15, v62
	s_branch .LBB25_156
.LBB25_155:
	v_mov_b32_e32 v62, 0
.LBB25_156:
	v_dual_add_f32 v63, v21, v53 :: v_dual_add_f32 v80, v20, v52
	v_add_f32_e32 v81, v23, v55
	v_add_f32_e32 v129, v22, v54
	v_add_co_u32 v56, vcc_lo, v58, v56
	s_delay_alu instid0(VALU_DEP_4) | instskip(SKIP_1) | instid1(VALU_DEP_4)
	v_min3_f32 v63, v80, v63, v128
	v_add_co_ci_u32_e32 v57, vcc_lo, v59, v57, vcc_lo
	v_min_f32_e32 v80, v129, v81
	s_delay_alu instid0(VALU_DEP_1) | instskip(SKIP_3) | instid1(SALU_CYCLE_1)
	v_min3_f32 v62, v62, v80, v63
	global_store_b32 v[56:57], v62, off
	s_or_b32 exec_lo, exec_lo, s16
	s_and_b32 s18, s4, s8
	s_and_saveexec_b32 s16, s18
	s_cbranch_execz .LBB25_138
.LBB25_157:
	v_cmp_ne_u32_e32 vcc_lo, 1, v105
	v_lshlrev_b64 v[56:57], 2, v[72:73]
	s_cbranch_vccnz .LBB25_159
; %bb.158:
	s_delay_alu instid0(VALU_DEP_1) | instskip(NEXT) | instid1(VALU_DEP_2)
	v_add_co_u32 v62, vcc_lo, v60, v56
	v_add_co_ci_u32_e32 v63, vcc_lo, v61, v57, vcc_lo
	flat_load_b32 v62, v[62:63]
	s_waitcnt vmcnt(0) lgkmcnt(0)
	v_mul_f32_e32 v62, s15, v62
	s_branch .LBB25_160
.LBB25_159:
	v_mov_b32_e32 v62, 0
.LBB25_160:
	v_dual_add_f32 v63, v17, v53 :: v_dual_add_f32 v80, v16, v52
	v_dual_add_f32 v81, v19, v55 :: v_dual_add_f32 v128, v18, v54
	s_delay_alu instid0(VALU_DEP_4) | instskip(NEXT) | instid1(VALU_DEP_3)
	v_add_co_u32 v56, vcc_lo, v58, v56
	v_min3_f32 v63, v80, v63, v127
	v_add_co_ci_u32_e32 v57, vcc_lo, v59, v57, vcc_lo
	s_delay_alu instid0(VALU_DEP_4) | instskip(NEXT) | instid1(VALU_DEP_1)
	v_min_f32_e32 v80, v128, v81
	v_min3_f32 v62, v62, v80, v63
	global_store_b32 v[56:57], v62, off
	s_or_b32 exec_lo, exec_lo, s16
	s_and_b32 s18, s5, s8
	s_delay_alu instid0(SALU_CYCLE_1)
	s_and_saveexec_b32 s16, s18
	s_cbranch_execz .LBB25_139
.LBB25_161:
	v_cmp_ne_u32_e32 vcc_lo, 1, v105
	v_lshlrev_b64 v[56:57], 2, v[74:75]
	s_cbranch_vccnz .LBB25_163
; %bb.162:
	s_delay_alu instid0(VALU_DEP_1) | instskip(NEXT) | instid1(VALU_DEP_2)
	v_add_co_u32 v62, vcc_lo, v60, v56
	v_add_co_ci_u32_e32 v63, vcc_lo, v61, v57, vcc_lo
	flat_load_b32 v62, v[62:63]
	s_waitcnt vmcnt(0) lgkmcnt(0)
	v_mul_f32_e32 v62, s15, v62
	s_branch .LBB25_164
.LBB25_163:
	v_mov_b32_e32 v62, 0
.LBB25_164:
	v_dual_add_f32 v63, v13, v53 :: v_dual_add_f32 v80, v12, v52
	v_add_f32_e32 v81, v15, v55
	v_add_f32_e32 v127, v14, v54
	v_add_co_u32 v56, vcc_lo, v58, v56
	s_delay_alu instid0(VALU_DEP_4) | instskip(SKIP_1) | instid1(VALU_DEP_4)
	v_min3_f32 v63, v80, v63, v126
	v_add_co_ci_u32_e32 v57, vcc_lo, v59, v57, vcc_lo
	v_min_f32_e32 v80, v127, v81
	s_delay_alu instid0(VALU_DEP_1) | instskip(SKIP_3) | instid1(SALU_CYCLE_1)
	v_min3_f32 v62, v62, v80, v63
	global_store_b32 v[56:57], v62, off
	s_or_b32 exec_lo, exec_lo, s16
	s_and_b32 s18, s6, s8
	s_and_saveexec_b32 s16, s18
	s_cbranch_execz .LBB25_140
.LBB25_165:
	v_cmp_ne_u32_e32 vcc_lo, 1, v105
	v_lshlrev_b64 v[56:57], 2, v[76:77]
	s_cbranch_vccnz .LBB25_167
; %bb.166:
	s_delay_alu instid0(VALU_DEP_1) | instskip(NEXT) | instid1(VALU_DEP_2)
	v_add_co_u32 v62, vcc_lo, v60, v56
	v_add_co_ci_u32_e32 v63, vcc_lo, v61, v57, vcc_lo
	flat_load_b32 v62, v[62:63]
	s_waitcnt vmcnt(0) lgkmcnt(0)
	v_mul_f32_e32 v62, s15, v62
	s_branch .LBB25_168
.LBB25_167:
	v_mov_b32_e32 v62, 0
.LBB25_168:
	v_dual_add_f32 v63, v9, v53 :: v_dual_add_f32 v80, v8, v52
	v_dual_add_f32 v81, v11, v55 :: v_dual_add_f32 v126, v10, v54
	s_delay_alu instid0(VALU_DEP_4) | instskip(NEXT) | instid1(VALU_DEP_3)
	v_add_co_u32 v56, vcc_lo, v58, v56
	v_min3_f32 v63, v80, v63, v125
	v_add_co_ci_u32_e32 v57, vcc_lo, v59, v57, vcc_lo
	s_delay_alu instid0(VALU_DEP_4) | instskip(NEXT) | instid1(VALU_DEP_1)
	v_min_f32_e32 v80, v126, v81
	v_min3_f32 v62, v62, v80, v63
	global_store_b32 v[56:57], v62, off
	s_or_b32 exec_lo, exec_lo, s16
	s_and_b32 s16, s7, s8
	s_delay_alu instid0(SALU_CYCLE_1)
	s_and_saveexec_b32 s8, s16
	s_cbranch_execz .LBB25_173
.LBB25_169:
	v_cmp_ne_u32_e32 vcc_lo, 1, v105
	v_lshlrev_b64 v[56:57], 2, v[78:79]
	s_cbranch_vccnz .LBB25_171
; %bb.170:
	s_delay_alu instid0(VALU_DEP_1) | instskip(NEXT) | instid1(VALU_DEP_2)
	v_add_co_u32 v60, vcc_lo, v60, v56
	v_add_co_ci_u32_e32 v61, vcc_lo, v61, v57, vcc_lo
	flat_load_b32 v60, v[60:61]
	s_waitcnt vmcnt(0) lgkmcnt(0)
	v_mul_f32_e32 v60, s15, v60
	s_branch .LBB25_172
.LBB25_171:
	v_mov_b32_e32 v60, 0
.LBB25_172:
	v_dual_add_f32 v53, v1, v53 :: v_dual_add_f32 v52, v0, v52
	v_dual_add_f32 v55, v3, v55 :: v_dual_add_f32 v54, v2, v54
	s_delay_alu instid0(VALU_DEP_2) | instskip(NEXT) | instid1(VALU_DEP_2)
	v_min3_f32 v52, v52, v53, v124
	v_min_f32_e32 v53, v54, v55
	s_delay_alu instid0(VALU_DEP_1)
	v_min3_f32 v54, v60, v53, v52
	v_add_co_u32 v52, vcc_lo, v58, v56
	v_add_co_ci_u32_e32 v53, vcc_lo, v59, v57, vcc_lo
	global_store_b32 v[52:53], v54, off
.LBB25_173:
	s_or_b32 exec_lo, exec_lo, s8
	v_add_nc_u32_e32 v56, 0x60, v112
	s_delay_alu instid0(VALU_DEP_1) | instskip(SKIP_2) | instid1(VALU_DEP_3)
	v_mad_i64_i32 v[52:53], null, v56, s14, 0
	v_mad_i64_i32 v[54:55], null, v56, s9, 0
	v_cmp_gt_i32_e64 s8, s17, v56
	v_lshlrev_b64 v[52:53], 2, v[52:53]
	s_delay_alu instid0(VALU_DEP_2) | instskip(NEXT) | instid1(VALU_DEP_3)
	s_and_b32 s18, s0, s8
	v_lshlrev_b64 v[54:55], 2, v[54:55]
	s_delay_alu instid0(VALU_DEP_2) | instskip(NEXT) | instid1(VALU_DEP_3)
	v_add_co_u32 v56, vcc_lo, s10, v52
	v_add_co_ci_u32_e32 v57, vcc_lo, s11, v53, vcc_lo
	s_delay_alu instid0(VALU_DEP_3) | instskip(NEXT) | instid1(VALU_DEP_4)
	v_add_co_u32 v54, vcc_lo, s12, v54
	v_add_co_ci_u32_e32 v55, vcc_lo, s13, v55, vcc_lo
	s_and_saveexec_b32 s16, s18
	s_cbranch_execnz .LBB25_181
; %bb.174:
	s_or_b32 exec_lo, exec_lo, s16
	s_and_b32 s18, s1, s8
	s_delay_alu instid0(SALU_CYCLE_1)
	s_and_saveexec_b32 s16, s18
	s_cbranch_execnz .LBB25_185
.LBB25_175:
	s_or_b32 exec_lo, exec_lo, s16
	s_and_b32 s18, s2, s8
	s_delay_alu instid0(SALU_CYCLE_1)
	s_and_saveexec_b32 s16, s18
	s_cbranch_execnz .LBB25_189
.LBB25_176:
	s_or_b32 exec_lo, exec_lo, s16
	s_and_b32 s18, s3, s8
	s_delay_alu instid0(SALU_CYCLE_1)
	s_and_saveexec_b32 s16, s18
	s_cbranch_execnz .LBB25_193
.LBB25_177:
	s_or_b32 exec_lo, exec_lo, s16
	s_and_b32 s18, s4, s8
	s_delay_alu instid0(SALU_CYCLE_1)
	s_and_saveexec_b32 s16, s18
	s_cbranch_execnz .LBB25_197
.LBB25_178:
	s_or_b32 exec_lo, exec_lo, s16
	s_and_b32 s18, s5, s8
	s_delay_alu instid0(SALU_CYCLE_1)
	s_and_saveexec_b32 s16, s18
	s_cbranch_execnz .LBB25_201
.LBB25_179:
	s_or_b32 exec_lo, exec_lo, s16
	s_and_b32 s18, s6, s8
	s_delay_alu instid0(SALU_CYCLE_1)
	s_and_saveexec_b32 s16, s18
	s_cbranch_execnz .LBB25_205
.LBB25_180:
	s_or_b32 exec_lo, exec_lo, s16
	s_and_b32 s16, s7, s8
	s_delay_alu instid0(SALU_CYCLE_1)
	s_and_saveexec_b32 s8, s16
	s_cbranch_execnz .LBB25_209
	s_branch .LBB25_213
.LBB25_181:
	v_cmp_ne_u32_e32 vcc_lo, 1, v105
	v_lshlrev_b64 v[52:53], 2, v[64:65]
	s_cbranch_vccnz .LBB25_183
; %bb.182:
	s_delay_alu instid0(VALU_DEP_1) | instskip(NEXT) | instid1(VALU_DEP_2)
	v_add_co_u32 v58, vcc_lo, v56, v52
	v_add_co_ci_u32_e32 v59, vcc_lo, v57, v53, vcc_lo
	flat_load_b32 v58, v[58:59]
	s_waitcnt vmcnt(0) lgkmcnt(0)
	v_mul_f32_e32 v58, s15, v58
	s_branch .LBB25_184
.LBB25_183:
	v_mov_b32_e32 v58, 0
.LBB25_184:
	v_dual_add_f32 v59, v33, v49 :: v_dual_add_f32 v60, v32, v48
	v_dual_add_f32 v61, v35, v51 :: v_dual_add_f32 v62, v34, v50
	s_delay_alu instid0(VALU_DEP_4) | instskip(NEXT) | instid1(VALU_DEP_3)
	v_add_co_u32 v52, vcc_lo, v54, v52
	v_min3_f32 v59, v60, v59, v123
	v_add_co_ci_u32_e32 v53, vcc_lo, v55, v53, vcc_lo
	s_delay_alu instid0(VALU_DEP_4) | instskip(NEXT) | instid1(VALU_DEP_1)
	v_min_f32_e32 v60, v62, v61
	v_min3_f32 v58, v58, v60, v59
	global_store_b32 v[52:53], v58, off
	s_or_b32 exec_lo, exec_lo, s16
	s_and_b32 s18, s1, s8
	s_delay_alu instid0(SALU_CYCLE_1)
	s_and_saveexec_b32 s16, s18
	s_cbranch_execz .LBB25_175
.LBB25_185:
	v_cmp_ne_u32_e32 vcc_lo, 1, v105
	v_lshlrev_b64 v[52:53], 2, v[66:67]
	s_cbranch_vccnz .LBB25_187
; %bb.186:
	s_delay_alu instid0(VALU_DEP_1) | instskip(NEXT) | instid1(VALU_DEP_2)
	v_add_co_u32 v58, vcc_lo, v56, v52
	v_add_co_ci_u32_e32 v59, vcc_lo, v57, v53, vcc_lo
	flat_load_b32 v58, v[58:59]
	s_waitcnt vmcnt(0) lgkmcnt(0)
	v_mul_f32_e32 v58, s15, v58
	s_branch .LBB25_188
.LBB25_187:
	v_mov_b32_e32 v58, 0
.LBB25_188:
	v_dual_add_f32 v59, v29, v49 :: v_dual_add_f32 v60, v28, v48
	v_dual_add_f32 v61, v31, v51 :: v_dual_add_f32 v62, v30, v50
	s_delay_alu instid0(VALU_DEP_4) | instskip(NEXT) | instid1(VALU_DEP_3)
	v_add_co_u32 v52, vcc_lo, v54, v52
	v_min3_f32 v59, v60, v59, v122
	v_add_co_ci_u32_e32 v53, vcc_lo, v55, v53, vcc_lo
	s_delay_alu instid0(VALU_DEP_4) | instskip(NEXT) | instid1(VALU_DEP_1)
	v_min_f32_e32 v60, v62, v61
	v_min3_f32 v58, v58, v60, v59
	global_store_b32 v[52:53], v58, off
	s_or_b32 exec_lo, exec_lo, s16
	s_and_b32 s18, s2, s8
	s_delay_alu instid0(SALU_CYCLE_1)
	s_and_saveexec_b32 s16, s18
	s_cbranch_execz .LBB25_176
.LBB25_189:
	v_cmp_ne_u32_e32 vcc_lo, 1, v105
	v_lshlrev_b64 v[52:53], 2, v[68:69]
	s_cbranch_vccnz .LBB25_191
; %bb.190:
	s_delay_alu instid0(VALU_DEP_1) | instskip(NEXT) | instid1(VALU_DEP_2)
	v_add_co_u32 v58, vcc_lo, v56, v52
	v_add_co_ci_u32_e32 v59, vcc_lo, v57, v53, vcc_lo
	flat_load_b32 v58, v[58:59]
	s_waitcnt vmcnt(0) lgkmcnt(0)
	v_mul_f32_e32 v58, s15, v58
	s_branch .LBB25_192
.LBB25_191:
	v_mov_b32_e32 v58, 0
.LBB25_192:
	v_dual_add_f32 v59, v25, v49 :: v_dual_add_f32 v60, v24, v48
	v_dual_add_f32 v61, v27, v51 :: v_dual_add_f32 v62, v26, v50
	s_delay_alu instid0(VALU_DEP_4) | instskip(NEXT) | instid1(VALU_DEP_3)
	v_add_co_u32 v52, vcc_lo, v54, v52
	v_min3_f32 v59, v60, v59, v121
	v_add_co_ci_u32_e32 v53, vcc_lo, v55, v53, vcc_lo
	s_delay_alu instid0(VALU_DEP_4) | instskip(NEXT) | instid1(VALU_DEP_1)
	v_min_f32_e32 v60, v62, v61
	v_min3_f32 v58, v58, v60, v59
	global_store_b32 v[52:53], v58, off
	s_or_b32 exec_lo, exec_lo, s16
	s_and_b32 s18, s3, s8
	s_delay_alu instid0(SALU_CYCLE_1)
	s_and_saveexec_b32 s16, s18
	s_cbranch_execz .LBB25_177
.LBB25_193:
	v_cmp_ne_u32_e32 vcc_lo, 1, v105
	v_lshlrev_b64 v[52:53], 2, v[70:71]
	s_cbranch_vccnz .LBB25_195
; %bb.194:
	s_delay_alu instid0(VALU_DEP_1) | instskip(NEXT) | instid1(VALU_DEP_2)
	v_add_co_u32 v58, vcc_lo, v56, v52
	v_add_co_ci_u32_e32 v59, vcc_lo, v57, v53, vcc_lo
	flat_load_b32 v58, v[58:59]
	s_waitcnt vmcnt(0) lgkmcnt(0)
	v_mul_f32_e32 v58, s15, v58
	s_branch .LBB25_196
.LBB25_195:
	v_mov_b32_e32 v58, 0
.LBB25_196:
	v_dual_add_f32 v59, v21, v49 :: v_dual_add_f32 v60, v20, v48
	v_dual_add_f32 v61, v23, v51 :: v_dual_add_f32 v62, v22, v50
	s_delay_alu instid0(VALU_DEP_4) | instskip(NEXT) | instid1(VALU_DEP_3)
	v_add_co_u32 v52, vcc_lo, v54, v52
	v_min3_f32 v59, v60, v59, v120
	v_add_co_ci_u32_e32 v53, vcc_lo, v55, v53, vcc_lo
	s_delay_alu instid0(VALU_DEP_4) | instskip(NEXT) | instid1(VALU_DEP_1)
	v_min_f32_e32 v60, v62, v61
	v_min3_f32 v58, v58, v60, v59
	global_store_b32 v[52:53], v58, off
	s_or_b32 exec_lo, exec_lo, s16
	s_and_b32 s18, s4, s8
	s_delay_alu instid0(SALU_CYCLE_1)
	s_and_saveexec_b32 s16, s18
	s_cbranch_execz .LBB25_178
.LBB25_197:
	v_cmp_ne_u32_e32 vcc_lo, 1, v105
	v_lshlrev_b64 v[52:53], 2, v[72:73]
	s_cbranch_vccnz .LBB25_199
; %bb.198:
	s_delay_alu instid0(VALU_DEP_1) | instskip(NEXT) | instid1(VALU_DEP_2)
	v_add_co_u32 v58, vcc_lo, v56, v52
	v_add_co_ci_u32_e32 v59, vcc_lo, v57, v53, vcc_lo
	flat_load_b32 v58, v[58:59]
	s_waitcnt vmcnt(0) lgkmcnt(0)
	v_mul_f32_e32 v58, s15, v58
	s_branch .LBB25_200
.LBB25_199:
	v_mov_b32_e32 v58, 0
.LBB25_200:
	v_dual_add_f32 v59, v17, v49 :: v_dual_add_f32 v60, v16, v48
	v_dual_add_f32 v61, v19, v51 :: v_dual_add_f32 v62, v18, v50
	s_delay_alu instid0(VALU_DEP_4) | instskip(NEXT) | instid1(VALU_DEP_3)
	v_add_co_u32 v52, vcc_lo, v54, v52
	v_min3_f32 v59, v60, v59, v119
	v_add_co_ci_u32_e32 v53, vcc_lo, v55, v53, vcc_lo
	s_delay_alu instid0(VALU_DEP_4) | instskip(NEXT) | instid1(VALU_DEP_1)
	v_min_f32_e32 v60, v62, v61
	v_min3_f32 v58, v58, v60, v59
	global_store_b32 v[52:53], v58, off
	s_or_b32 exec_lo, exec_lo, s16
	s_and_b32 s18, s5, s8
	s_delay_alu instid0(SALU_CYCLE_1)
	s_and_saveexec_b32 s16, s18
	s_cbranch_execz .LBB25_179
.LBB25_201:
	v_cmp_ne_u32_e32 vcc_lo, 1, v105
	v_lshlrev_b64 v[52:53], 2, v[74:75]
	s_cbranch_vccnz .LBB25_203
; %bb.202:
	s_delay_alu instid0(VALU_DEP_1) | instskip(NEXT) | instid1(VALU_DEP_2)
	v_add_co_u32 v58, vcc_lo, v56, v52
	v_add_co_ci_u32_e32 v59, vcc_lo, v57, v53, vcc_lo
	flat_load_b32 v58, v[58:59]
	s_waitcnt vmcnt(0) lgkmcnt(0)
	v_mul_f32_e32 v58, s15, v58
	s_branch .LBB25_204
.LBB25_203:
	v_mov_b32_e32 v58, 0
.LBB25_204:
	v_dual_add_f32 v59, v13, v49 :: v_dual_add_f32 v60, v12, v48
	v_dual_add_f32 v61, v15, v51 :: v_dual_add_f32 v62, v14, v50
	s_delay_alu instid0(VALU_DEP_4) | instskip(NEXT) | instid1(VALU_DEP_3)
	v_add_co_u32 v52, vcc_lo, v54, v52
	v_min3_f32 v59, v60, v59, v118
	v_add_co_ci_u32_e32 v53, vcc_lo, v55, v53, vcc_lo
	s_delay_alu instid0(VALU_DEP_4) | instskip(NEXT) | instid1(VALU_DEP_1)
	v_min_f32_e32 v60, v62, v61
	v_min3_f32 v58, v58, v60, v59
	global_store_b32 v[52:53], v58, off
	s_or_b32 exec_lo, exec_lo, s16
	s_and_b32 s18, s6, s8
	s_delay_alu instid0(SALU_CYCLE_1)
	s_and_saveexec_b32 s16, s18
	s_cbranch_execz .LBB25_180
.LBB25_205:
	v_cmp_ne_u32_e32 vcc_lo, 1, v105
	v_lshlrev_b64 v[52:53], 2, v[76:77]
	s_cbranch_vccnz .LBB25_207
; %bb.206:
	s_delay_alu instid0(VALU_DEP_1) | instskip(NEXT) | instid1(VALU_DEP_2)
	v_add_co_u32 v58, vcc_lo, v56, v52
	v_add_co_ci_u32_e32 v59, vcc_lo, v57, v53, vcc_lo
	flat_load_b32 v58, v[58:59]
	s_waitcnt vmcnt(0) lgkmcnt(0)
	v_mul_f32_e32 v58, s15, v58
	s_branch .LBB25_208
.LBB25_207:
	v_mov_b32_e32 v58, 0
.LBB25_208:
	v_dual_add_f32 v59, v9, v49 :: v_dual_add_f32 v60, v8, v48
	v_dual_add_f32 v61, v11, v51 :: v_dual_add_f32 v62, v10, v50
	s_delay_alu instid0(VALU_DEP_4) | instskip(NEXT) | instid1(VALU_DEP_3)
	v_add_co_u32 v52, vcc_lo, v54, v52
	v_min3_f32 v59, v60, v59, v117
	v_add_co_ci_u32_e32 v53, vcc_lo, v55, v53, vcc_lo
	s_delay_alu instid0(VALU_DEP_4) | instskip(NEXT) | instid1(VALU_DEP_1)
	v_min_f32_e32 v60, v62, v61
	v_min3_f32 v58, v58, v60, v59
	global_store_b32 v[52:53], v58, off
	s_or_b32 exec_lo, exec_lo, s16
	s_and_b32 s16, s7, s8
	s_delay_alu instid0(SALU_CYCLE_1)
	s_and_saveexec_b32 s8, s16
	s_cbranch_execz .LBB25_213
.LBB25_209:
	v_cmp_ne_u32_e32 vcc_lo, 1, v105
	v_lshlrev_b64 v[52:53], 2, v[78:79]
	s_cbranch_vccnz .LBB25_211
; %bb.210:
	s_delay_alu instid0(VALU_DEP_1) | instskip(NEXT) | instid1(VALU_DEP_2)
	v_add_co_u32 v56, vcc_lo, v56, v52
	v_add_co_ci_u32_e32 v57, vcc_lo, v57, v53, vcc_lo
	flat_load_b32 v56, v[56:57]
	s_waitcnt vmcnt(0) lgkmcnt(0)
	v_mul_f32_e32 v56, s15, v56
	s_branch .LBB25_212
.LBB25_211:
	v_mov_b32_e32 v56, 0
.LBB25_212:
	v_dual_add_f32 v49, v1, v49 :: v_dual_add_f32 v48, v0, v48
	v_dual_add_f32 v51, v3, v51 :: v_dual_add_f32 v50, v2, v50
	s_delay_alu instid0(VALU_DEP_2) | instskip(NEXT) | instid1(VALU_DEP_2)
	v_min3_f32 v48, v48, v49, v116
	v_min_f32_e32 v49, v50, v51
	s_delay_alu instid0(VALU_DEP_1)
	v_min3_f32 v50, v56, v49, v48
	v_add_co_u32 v48, vcc_lo, v54, v52
	v_add_co_ci_u32_e32 v49, vcc_lo, v55, v53, vcc_lo
	global_store_b32 v[48:49], v50, off
.LBB25_213:
	s_or_b32 exec_lo, exec_lo, s8
	v_add_nc_u32_e32 v52, 0x80, v112
	s_delay_alu instid0(VALU_DEP_1) | instskip(SKIP_2) | instid1(VALU_DEP_3)
	v_mad_i64_i32 v[48:49], null, v52, s14, 0
	v_mad_i64_i32 v[50:51], null, v52, s9, 0
	v_cmp_gt_i32_e64 s8, s17, v52
	v_lshlrev_b64 v[48:49], 2, v[48:49]
	s_delay_alu instid0(VALU_DEP_2) | instskip(NEXT) | instid1(VALU_DEP_3)
	s_and_b32 s18, s0, s8
	v_lshlrev_b64 v[50:51], 2, v[50:51]
	s_delay_alu instid0(VALU_DEP_2) | instskip(NEXT) | instid1(VALU_DEP_3)
	v_add_co_u32 v52, vcc_lo, s10, v48
	v_add_co_ci_u32_e32 v53, vcc_lo, s11, v49, vcc_lo
	s_delay_alu instid0(VALU_DEP_3) | instskip(NEXT) | instid1(VALU_DEP_4)
	v_add_co_u32 v50, vcc_lo, s12, v50
	v_add_co_ci_u32_e32 v51, vcc_lo, s13, v51, vcc_lo
	s_and_saveexec_b32 s16, s18
	s_cbranch_execnz .LBB25_221
; %bb.214:
	s_or_b32 exec_lo, exec_lo, s16
	s_and_b32 s18, s1, s8
	s_delay_alu instid0(SALU_CYCLE_1)
	s_and_saveexec_b32 s16, s18
	s_cbranch_execnz .LBB25_225
.LBB25_215:
	s_or_b32 exec_lo, exec_lo, s16
	s_and_b32 s18, s2, s8
	s_delay_alu instid0(SALU_CYCLE_1)
	s_and_saveexec_b32 s16, s18
	s_cbranch_execnz .LBB25_229
.LBB25_216:
	s_or_b32 exec_lo, exec_lo, s16
	s_and_b32 s18, s3, s8
	s_delay_alu instid0(SALU_CYCLE_1)
	s_and_saveexec_b32 s16, s18
	s_cbranch_execnz .LBB25_233
.LBB25_217:
	s_or_b32 exec_lo, exec_lo, s16
	s_and_b32 s18, s4, s8
	s_delay_alu instid0(SALU_CYCLE_1)
	s_and_saveexec_b32 s16, s18
	s_cbranch_execnz .LBB25_237
.LBB25_218:
	s_or_b32 exec_lo, exec_lo, s16
	s_and_b32 s18, s5, s8
	s_delay_alu instid0(SALU_CYCLE_1)
	s_and_saveexec_b32 s16, s18
	s_cbranch_execnz .LBB25_241
.LBB25_219:
	s_or_b32 exec_lo, exec_lo, s16
	s_and_b32 s18, s6, s8
	s_delay_alu instid0(SALU_CYCLE_1)
	s_and_saveexec_b32 s16, s18
	s_cbranch_execnz .LBB25_245
.LBB25_220:
	s_or_b32 exec_lo, exec_lo, s16
	s_and_b32 s16, s7, s8
	s_delay_alu instid0(SALU_CYCLE_1)
	s_and_saveexec_b32 s8, s16
	s_cbranch_execnz .LBB25_249
	s_branch .LBB25_253
.LBB25_221:
	v_cmp_ne_u32_e32 vcc_lo, 1, v105
	v_lshlrev_b64 v[48:49], 2, v[64:65]
	s_cbranch_vccnz .LBB25_223
; %bb.222:
	s_delay_alu instid0(VALU_DEP_1) | instskip(NEXT) | instid1(VALU_DEP_2)
	v_add_co_u32 v54, vcc_lo, v52, v48
	v_add_co_ci_u32_e32 v55, vcc_lo, v53, v49, vcc_lo
	flat_load_b32 v54, v[54:55]
	s_waitcnt vmcnt(0) lgkmcnt(0)
	v_mul_f32_e32 v54, s15, v54
	s_branch .LBB25_224
.LBB25_223:
	v_mov_b32_e32 v54, 0
.LBB25_224:
	v_dual_add_f32 v55, v33, v45 :: v_dual_add_f32 v56, v32, v44
	v_dual_add_f32 v57, v35, v47 :: v_dual_add_f32 v58, v34, v46
	s_delay_alu instid0(VALU_DEP_4) | instskip(NEXT) | instid1(VALU_DEP_3)
	v_add_co_u32 v48, vcc_lo, v50, v48
	v_min3_f32 v55, v56, v55, v115
	v_add_co_ci_u32_e32 v49, vcc_lo, v51, v49, vcc_lo
	s_delay_alu instid0(VALU_DEP_4) | instskip(NEXT) | instid1(VALU_DEP_1)
	v_min_f32_e32 v56, v58, v57
	v_min3_f32 v54, v54, v56, v55
	global_store_b32 v[48:49], v54, off
	s_or_b32 exec_lo, exec_lo, s16
	s_and_b32 s18, s1, s8
	s_delay_alu instid0(SALU_CYCLE_1)
	s_and_saveexec_b32 s16, s18
	s_cbranch_execz .LBB25_215
.LBB25_225:
	v_cmp_ne_u32_e32 vcc_lo, 1, v105
	v_lshlrev_b64 v[48:49], 2, v[66:67]
	s_cbranch_vccnz .LBB25_227
; %bb.226:
	s_delay_alu instid0(VALU_DEP_1) | instskip(NEXT) | instid1(VALU_DEP_2)
	v_add_co_u32 v54, vcc_lo, v52, v48
	v_add_co_ci_u32_e32 v55, vcc_lo, v53, v49, vcc_lo
	flat_load_b32 v54, v[54:55]
	s_waitcnt vmcnt(0) lgkmcnt(0)
	v_mul_f32_e32 v54, s15, v54
	s_branch .LBB25_228
.LBB25_227:
	v_mov_b32_e32 v54, 0
.LBB25_228:
	v_dual_add_f32 v55, v29, v45 :: v_dual_add_f32 v56, v28, v44
	v_dual_add_f32 v57, v31, v47 :: v_dual_add_f32 v58, v30, v46
	s_delay_alu instid0(VALU_DEP_4) | instskip(NEXT) | instid1(VALU_DEP_3)
	v_add_co_u32 v48, vcc_lo, v50, v48
	v_min3_f32 v55, v56, v55, v114
	v_add_co_ci_u32_e32 v49, vcc_lo, v51, v49, vcc_lo
	s_delay_alu instid0(VALU_DEP_4) | instskip(NEXT) | instid1(VALU_DEP_1)
	v_min_f32_e32 v56, v58, v57
	v_min3_f32 v54, v54, v56, v55
	global_store_b32 v[48:49], v54, off
	s_or_b32 exec_lo, exec_lo, s16
	s_and_b32 s18, s2, s8
	s_delay_alu instid0(SALU_CYCLE_1)
	s_and_saveexec_b32 s16, s18
	s_cbranch_execz .LBB25_216
.LBB25_229:
	v_cmp_ne_u32_e32 vcc_lo, 1, v105
	v_lshlrev_b64 v[48:49], 2, v[68:69]
	s_cbranch_vccnz .LBB25_231
; %bb.230:
	s_delay_alu instid0(VALU_DEP_1) | instskip(NEXT) | instid1(VALU_DEP_2)
	v_add_co_u32 v54, vcc_lo, v52, v48
	v_add_co_ci_u32_e32 v55, vcc_lo, v53, v49, vcc_lo
	flat_load_b32 v54, v[54:55]
	s_waitcnt vmcnt(0) lgkmcnt(0)
	v_mul_f32_e32 v54, s15, v54
	s_branch .LBB25_232
.LBB25_231:
	v_mov_b32_e32 v54, 0
.LBB25_232:
	v_dual_add_f32 v55, v25, v45 :: v_dual_add_f32 v56, v24, v44
	v_dual_add_f32 v57, v27, v47 :: v_dual_add_f32 v58, v26, v46
	s_delay_alu instid0(VALU_DEP_4) | instskip(NEXT) | instid1(VALU_DEP_3)
	v_add_co_u32 v48, vcc_lo, v50, v48
	v_min3_f32 v55, v56, v55, v113
	v_add_co_ci_u32_e32 v49, vcc_lo, v51, v49, vcc_lo
	s_delay_alu instid0(VALU_DEP_4) | instskip(NEXT) | instid1(VALU_DEP_1)
	v_min_f32_e32 v56, v58, v57
	v_min3_f32 v54, v54, v56, v55
	global_store_b32 v[48:49], v54, off
	s_or_b32 exec_lo, exec_lo, s16
	s_and_b32 s18, s3, s8
	s_delay_alu instid0(SALU_CYCLE_1)
	s_and_saveexec_b32 s16, s18
	s_cbranch_execz .LBB25_217
.LBB25_233:
	v_cmp_ne_u32_e32 vcc_lo, 1, v105
	v_lshlrev_b64 v[48:49], 2, v[70:71]
	s_cbranch_vccnz .LBB25_235
; %bb.234:
	s_delay_alu instid0(VALU_DEP_1) | instskip(NEXT) | instid1(VALU_DEP_2)
	v_add_co_u32 v54, vcc_lo, v52, v48
	v_add_co_ci_u32_e32 v55, vcc_lo, v53, v49, vcc_lo
	flat_load_b32 v54, v[54:55]
	s_waitcnt vmcnt(0) lgkmcnt(0)
	v_mul_f32_e32 v54, s15, v54
	s_branch .LBB25_236
.LBB25_235:
	v_mov_b32_e32 v54, 0
.LBB25_236:
	v_dual_add_f32 v55, v21, v45 :: v_dual_add_f32 v56, v20, v44
	v_dual_add_f32 v57, v23, v47 :: v_dual_add_f32 v58, v22, v46
	s_delay_alu instid0(VALU_DEP_4) | instskip(NEXT) | instid1(VALU_DEP_3)
	v_add_co_u32 v48, vcc_lo, v50, v48
	v_min3_f32 v55, v56, v55, v111
	v_add_co_ci_u32_e32 v49, vcc_lo, v51, v49, vcc_lo
	s_delay_alu instid0(VALU_DEP_4) | instskip(NEXT) | instid1(VALU_DEP_1)
	v_min_f32_e32 v56, v58, v57
	v_min3_f32 v54, v54, v56, v55
	global_store_b32 v[48:49], v54, off
	s_or_b32 exec_lo, exec_lo, s16
	s_and_b32 s18, s4, s8
	s_delay_alu instid0(SALU_CYCLE_1)
	s_and_saveexec_b32 s16, s18
	s_cbranch_execz .LBB25_218
.LBB25_237:
	v_cmp_ne_u32_e32 vcc_lo, 1, v105
	v_lshlrev_b64 v[48:49], 2, v[72:73]
	s_cbranch_vccnz .LBB25_239
; %bb.238:
	s_delay_alu instid0(VALU_DEP_1) | instskip(NEXT) | instid1(VALU_DEP_2)
	v_add_co_u32 v54, vcc_lo, v52, v48
	v_add_co_ci_u32_e32 v55, vcc_lo, v53, v49, vcc_lo
	flat_load_b32 v54, v[54:55]
	s_waitcnt vmcnt(0) lgkmcnt(0)
	v_mul_f32_e32 v54, s15, v54
	s_branch .LBB25_240
.LBB25_239:
	v_mov_b32_e32 v54, 0
.LBB25_240:
	v_dual_add_f32 v55, v17, v45 :: v_dual_add_f32 v56, v16, v44
	v_dual_add_f32 v57, v19, v47 :: v_dual_add_f32 v58, v18, v46
	s_delay_alu instid0(VALU_DEP_4) | instskip(NEXT) | instid1(VALU_DEP_3)
	v_add_co_u32 v48, vcc_lo, v50, v48
	v_min3_f32 v55, v56, v55, v110
	v_add_co_ci_u32_e32 v49, vcc_lo, v51, v49, vcc_lo
	s_delay_alu instid0(VALU_DEP_4) | instskip(NEXT) | instid1(VALU_DEP_1)
	v_min_f32_e32 v56, v58, v57
	v_min3_f32 v54, v54, v56, v55
	global_store_b32 v[48:49], v54, off
	s_or_b32 exec_lo, exec_lo, s16
	s_and_b32 s18, s5, s8
	s_delay_alu instid0(SALU_CYCLE_1)
	s_and_saveexec_b32 s16, s18
	s_cbranch_execz .LBB25_219
.LBB25_241:
	v_cmp_ne_u32_e32 vcc_lo, 1, v105
	v_lshlrev_b64 v[48:49], 2, v[74:75]
	s_cbranch_vccnz .LBB25_243
; %bb.242:
	s_delay_alu instid0(VALU_DEP_1) | instskip(NEXT) | instid1(VALU_DEP_2)
	v_add_co_u32 v54, vcc_lo, v52, v48
	v_add_co_ci_u32_e32 v55, vcc_lo, v53, v49, vcc_lo
	flat_load_b32 v54, v[54:55]
	s_waitcnt vmcnt(0) lgkmcnt(0)
	v_mul_f32_e32 v54, s15, v54
	s_branch .LBB25_244
.LBB25_243:
	v_mov_b32_e32 v54, 0
.LBB25_244:
	v_dual_add_f32 v55, v13, v45 :: v_dual_add_f32 v56, v12, v44
	v_dual_add_f32 v57, v15, v47 :: v_dual_add_f32 v58, v14, v46
	s_delay_alu instid0(VALU_DEP_4) | instskip(NEXT) | instid1(VALU_DEP_3)
	v_add_co_u32 v48, vcc_lo, v50, v48
	v_min3_f32 v55, v56, v55, v109
	v_add_co_ci_u32_e32 v49, vcc_lo, v51, v49, vcc_lo
	s_delay_alu instid0(VALU_DEP_4) | instskip(NEXT) | instid1(VALU_DEP_1)
	v_min_f32_e32 v56, v58, v57
	v_min3_f32 v54, v54, v56, v55
	global_store_b32 v[48:49], v54, off
	s_or_b32 exec_lo, exec_lo, s16
	s_and_b32 s18, s6, s8
	s_delay_alu instid0(SALU_CYCLE_1)
	s_and_saveexec_b32 s16, s18
	s_cbranch_execz .LBB25_220
.LBB25_245:
	v_cmp_ne_u32_e32 vcc_lo, 1, v105
	v_lshlrev_b64 v[48:49], 2, v[76:77]
	s_cbranch_vccnz .LBB25_247
; %bb.246:
	s_delay_alu instid0(VALU_DEP_1) | instskip(NEXT) | instid1(VALU_DEP_2)
	v_add_co_u32 v54, vcc_lo, v52, v48
	v_add_co_ci_u32_e32 v55, vcc_lo, v53, v49, vcc_lo
	flat_load_b32 v54, v[54:55]
	s_waitcnt vmcnt(0) lgkmcnt(0)
	v_mul_f32_e32 v54, s15, v54
	s_branch .LBB25_248
.LBB25_247:
	v_mov_b32_e32 v54, 0
.LBB25_248:
	v_dual_add_f32 v55, v9, v45 :: v_dual_add_f32 v56, v8, v44
	v_dual_add_f32 v57, v11, v47 :: v_dual_add_f32 v58, v10, v46
	s_delay_alu instid0(VALU_DEP_4) | instskip(NEXT) | instid1(VALU_DEP_3)
	v_add_co_u32 v48, vcc_lo, v50, v48
	v_min3_f32 v55, v56, v55, v108
	v_add_co_ci_u32_e32 v49, vcc_lo, v51, v49, vcc_lo
	s_delay_alu instid0(VALU_DEP_4) | instskip(NEXT) | instid1(VALU_DEP_1)
	v_min_f32_e32 v56, v58, v57
	v_min3_f32 v54, v54, v56, v55
	global_store_b32 v[48:49], v54, off
	s_or_b32 exec_lo, exec_lo, s16
	s_and_b32 s16, s7, s8
	s_delay_alu instid0(SALU_CYCLE_1)
	s_and_saveexec_b32 s8, s16
	s_cbranch_execz .LBB25_253
.LBB25_249:
	v_cmp_ne_u32_e32 vcc_lo, 1, v105
	v_lshlrev_b64 v[48:49], 2, v[78:79]
	s_cbranch_vccnz .LBB25_251
; %bb.250:
	s_delay_alu instid0(VALU_DEP_1) | instskip(NEXT) | instid1(VALU_DEP_2)
	v_add_co_u32 v52, vcc_lo, v52, v48
	v_add_co_ci_u32_e32 v53, vcc_lo, v53, v49, vcc_lo
	flat_load_b32 v52, v[52:53]
	s_waitcnt vmcnt(0) lgkmcnt(0)
	v_mul_f32_e32 v52, s15, v52
	s_branch .LBB25_252
.LBB25_251:
	v_mov_b32_e32 v52, 0
.LBB25_252:
	v_dual_add_f32 v45, v1, v45 :: v_dual_add_f32 v44, v0, v44
	v_dual_add_f32 v47, v3, v47 :: v_dual_add_f32 v46, v2, v46
	s_delay_alu instid0(VALU_DEP_2) | instskip(NEXT) | instid1(VALU_DEP_2)
	v_min3_f32 v44, v44, v45, v107
	v_min_f32_e32 v45, v46, v47
	s_delay_alu instid0(VALU_DEP_1)
	v_min3_f32 v46, v52, v45, v44
	v_add_co_u32 v44, vcc_lo, v50, v48
	v_add_co_ci_u32_e32 v45, vcc_lo, v51, v49, vcc_lo
	global_store_b32 v[44:45], v46, off
.LBB25_253:
	s_or_b32 exec_lo, exec_lo, s8
	v_add_nc_u32_e32 v48, 0xa0, v112
	s_delay_alu instid0(VALU_DEP_1) | instskip(SKIP_2) | instid1(VALU_DEP_3)
	v_mad_i64_i32 v[44:45], null, v48, s14, 0
	v_mad_i64_i32 v[46:47], null, v48, s9, 0
	v_cmp_gt_i32_e64 s8, s17, v48
	v_lshlrev_b64 v[44:45], 2, v[44:45]
	s_delay_alu instid0(VALU_DEP_2) | instskip(NEXT) | instid1(VALU_DEP_3)
	s_and_b32 s18, s0, s8
	v_lshlrev_b64 v[46:47], 2, v[46:47]
	s_delay_alu instid0(VALU_DEP_2) | instskip(NEXT) | instid1(VALU_DEP_3)
	v_add_co_u32 v48, vcc_lo, s10, v44
	v_add_co_ci_u32_e32 v49, vcc_lo, s11, v45, vcc_lo
	s_delay_alu instid0(VALU_DEP_3) | instskip(NEXT) | instid1(VALU_DEP_4)
	v_add_co_u32 v46, vcc_lo, s12, v46
	v_add_co_ci_u32_e32 v47, vcc_lo, s13, v47, vcc_lo
	s_and_saveexec_b32 s16, s18
	s_cbranch_execnz .LBB25_261
; %bb.254:
	s_or_b32 exec_lo, exec_lo, s16
	s_and_b32 s18, s1, s8
	s_delay_alu instid0(SALU_CYCLE_1)
	s_and_saveexec_b32 s16, s18
	s_cbranch_execnz .LBB25_265
.LBB25_255:
	s_or_b32 exec_lo, exec_lo, s16
	s_and_b32 s18, s2, s8
	s_delay_alu instid0(SALU_CYCLE_1)
	s_and_saveexec_b32 s16, s18
	s_cbranch_execnz .LBB25_269
.LBB25_256:
	s_or_b32 exec_lo, exec_lo, s16
	s_and_b32 s18, s3, s8
	s_delay_alu instid0(SALU_CYCLE_1)
	s_and_saveexec_b32 s16, s18
	s_cbranch_execnz .LBB25_273
.LBB25_257:
	s_or_b32 exec_lo, exec_lo, s16
	s_and_b32 s18, s4, s8
	s_delay_alu instid0(SALU_CYCLE_1)
	s_and_saveexec_b32 s16, s18
	s_cbranch_execnz .LBB25_277
.LBB25_258:
	s_or_b32 exec_lo, exec_lo, s16
	s_and_b32 s18, s5, s8
	s_delay_alu instid0(SALU_CYCLE_1)
	s_and_saveexec_b32 s16, s18
	s_cbranch_execnz .LBB25_281
.LBB25_259:
	s_or_b32 exec_lo, exec_lo, s16
	s_and_b32 s18, s6, s8
	s_delay_alu instid0(SALU_CYCLE_1)
	s_and_saveexec_b32 s16, s18
	s_cbranch_execnz .LBB25_285
.LBB25_260:
	s_or_b32 exec_lo, exec_lo, s16
	s_and_b32 s16, s7, s8
	s_delay_alu instid0(SALU_CYCLE_1)
	s_and_saveexec_b32 s8, s16
	s_cbranch_execnz .LBB25_289
	s_branch .LBB25_293
.LBB25_261:
	v_cmp_ne_u32_e32 vcc_lo, 1, v105
	v_lshlrev_b64 v[44:45], 2, v[64:65]
	s_cbranch_vccnz .LBB25_263
; %bb.262:
	s_delay_alu instid0(VALU_DEP_1) | instskip(NEXT) | instid1(VALU_DEP_2)
	v_add_co_u32 v50, vcc_lo, v48, v44
	v_add_co_ci_u32_e32 v51, vcc_lo, v49, v45, vcc_lo
	flat_load_b32 v50, v[50:51]
	s_waitcnt vmcnt(0) lgkmcnt(0)
	v_mul_f32_e32 v50, s15, v50
	s_branch .LBB25_264
.LBB25_263:
	v_mov_b32_e32 v50, 0
.LBB25_264:
	v_dual_add_f32 v51, v33, v41 :: v_dual_add_f32 v52, v32, v40
	v_dual_add_f32 v53, v35, v43 :: v_dual_add_f32 v54, v34, v42
	s_delay_alu instid0(VALU_DEP_4) | instskip(NEXT) | instid1(VALU_DEP_3)
	v_add_co_u32 v44, vcc_lo, v46, v44
	v_min3_f32 v51, v52, v51, v106
	v_add_co_ci_u32_e32 v45, vcc_lo, v47, v45, vcc_lo
	s_delay_alu instid0(VALU_DEP_4) | instskip(NEXT) | instid1(VALU_DEP_1)
	v_min_f32_e32 v52, v54, v53
	v_min3_f32 v50, v50, v52, v51
	global_store_b32 v[44:45], v50, off
	s_or_b32 exec_lo, exec_lo, s16
	s_and_b32 s18, s1, s8
	s_delay_alu instid0(SALU_CYCLE_1)
	s_and_saveexec_b32 s16, s18
	s_cbranch_execz .LBB25_255
.LBB25_265:
	v_cmp_ne_u32_e32 vcc_lo, 1, v105
	v_lshlrev_b64 v[44:45], 2, v[66:67]
	s_cbranch_vccnz .LBB25_267
; %bb.266:
	s_delay_alu instid0(VALU_DEP_1) | instskip(NEXT) | instid1(VALU_DEP_2)
	v_add_co_u32 v50, vcc_lo, v48, v44
	v_add_co_ci_u32_e32 v51, vcc_lo, v49, v45, vcc_lo
	flat_load_b32 v50, v[50:51]
	s_waitcnt vmcnt(0) lgkmcnt(0)
	v_mul_f32_e32 v50, s15, v50
	s_branch .LBB25_268
.LBB25_267:
	v_mov_b32_e32 v50, 0
.LBB25_268:
	v_dual_add_f32 v51, v29, v41 :: v_dual_add_f32 v52, v28, v40
	v_dual_add_f32 v53, v31, v43 :: v_dual_add_f32 v54, v30, v42
	s_delay_alu instid0(VALU_DEP_4) | instskip(NEXT) | instid1(VALU_DEP_3)
	v_add_co_u32 v44, vcc_lo, v46, v44
	v_min3_f32 v51, v52, v51, v104
	v_add_co_ci_u32_e32 v45, vcc_lo, v47, v45, vcc_lo
	s_delay_alu instid0(VALU_DEP_4) | instskip(NEXT) | instid1(VALU_DEP_1)
	v_min_f32_e32 v52, v54, v53
	v_min3_f32 v50, v50, v52, v51
	global_store_b32 v[44:45], v50, off
	s_or_b32 exec_lo, exec_lo, s16
	s_and_b32 s18, s2, s8
	s_delay_alu instid0(SALU_CYCLE_1)
	s_and_saveexec_b32 s16, s18
	s_cbranch_execz .LBB25_256
.LBB25_269:
	v_cmp_ne_u32_e32 vcc_lo, 1, v105
	v_lshlrev_b64 v[44:45], 2, v[68:69]
	s_cbranch_vccnz .LBB25_271
; %bb.270:
	s_delay_alu instid0(VALU_DEP_1) | instskip(NEXT) | instid1(VALU_DEP_2)
	v_add_co_u32 v50, vcc_lo, v48, v44
	v_add_co_ci_u32_e32 v51, vcc_lo, v49, v45, vcc_lo
	flat_load_b32 v50, v[50:51]
	s_waitcnt vmcnt(0) lgkmcnt(0)
	v_mul_f32_e32 v50, s15, v50
	s_branch .LBB25_272
.LBB25_271:
	v_mov_b32_e32 v50, 0
.LBB25_272:
	v_dual_add_f32 v51, v25, v41 :: v_dual_add_f32 v52, v24, v40
	v_dual_add_f32 v53, v27, v43 :: v_dual_add_f32 v54, v26, v42
	s_delay_alu instid0(VALU_DEP_4) | instskip(NEXT) | instid1(VALU_DEP_3)
	v_add_co_u32 v44, vcc_lo, v46, v44
	v_min3_f32 v51, v52, v51, v103
	v_add_co_ci_u32_e32 v45, vcc_lo, v47, v45, vcc_lo
	s_delay_alu instid0(VALU_DEP_4) | instskip(NEXT) | instid1(VALU_DEP_1)
	v_min_f32_e32 v52, v54, v53
	v_min3_f32 v50, v50, v52, v51
	global_store_b32 v[44:45], v50, off
	s_or_b32 exec_lo, exec_lo, s16
	s_and_b32 s18, s3, s8
	s_delay_alu instid0(SALU_CYCLE_1)
	s_and_saveexec_b32 s16, s18
	s_cbranch_execz .LBB25_257
.LBB25_273:
	v_cmp_ne_u32_e32 vcc_lo, 1, v105
	v_lshlrev_b64 v[44:45], 2, v[70:71]
	s_cbranch_vccnz .LBB25_275
; %bb.274:
	s_delay_alu instid0(VALU_DEP_1) | instskip(NEXT) | instid1(VALU_DEP_2)
	v_add_co_u32 v50, vcc_lo, v48, v44
	v_add_co_ci_u32_e32 v51, vcc_lo, v49, v45, vcc_lo
	flat_load_b32 v50, v[50:51]
	s_waitcnt vmcnt(0) lgkmcnt(0)
	v_mul_f32_e32 v50, s15, v50
	s_branch .LBB25_276
.LBB25_275:
	v_mov_b32_e32 v50, 0
.LBB25_276:
	v_dual_add_f32 v51, v21, v41 :: v_dual_add_f32 v52, v20, v40
	v_dual_add_f32 v53, v23, v43 :: v_dual_add_f32 v54, v22, v42
	s_delay_alu instid0(VALU_DEP_4) | instskip(NEXT) | instid1(VALU_DEP_3)
	v_add_co_u32 v44, vcc_lo, v46, v44
	v_min3_f32 v51, v52, v51, v102
	v_add_co_ci_u32_e32 v45, vcc_lo, v47, v45, vcc_lo
	s_delay_alu instid0(VALU_DEP_4) | instskip(NEXT) | instid1(VALU_DEP_1)
	v_min_f32_e32 v52, v54, v53
	v_min3_f32 v50, v50, v52, v51
	global_store_b32 v[44:45], v50, off
	s_or_b32 exec_lo, exec_lo, s16
	s_and_b32 s18, s4, s8
	s_delay_alu instid0(SALU_CYCLE_1)
	s_and_saveexec_b32 s16, s18
	s_cbranch_execz .LBB25_258
.LBB25_277:
	v_cmp_ne_u32_e32 vcc_lo, 1, v105
	v_lshlrev_b64 v[44:45], 2, v[72:73]
	s_cbranch_vccnz .LBB25_279
; %bb.278:
	s_delay_alu instid0(VALU_DEP_1) | instskip(NEXT) | instid1(VALU_DEP_2)
	v_add_co_u32 v50, vcc_lo, v48, v44
	v_add_co_ci_u32_e32 v51, vcc_lo, v49, v45, vcc_lo
	flat_load_b32 v50, v[50:51]
	s_waitcnt vmcnt(0) lgkmcnt(0)
	v_mul_f32_e32 v50, s15, v50
	s_branch .LBB25_280
.LBB25_279:
	v_mov_b32_e32 v50, 0
.LBB25_280:
	v_dual_add_f32 v51, v17, v41 :: v_dual_add_f32 v52, v16, v40
	v_dual_add_f32 v53, v19, v43 :: v_dual_add_f32 v54, v18, v42
	s_delay_alu instid0(VALU_DEP_4) | instskip(NEXT) | instid1(VALU_DEP_3)
	v_add_co_u32 v44, vcc_lo, v46, v44
	v_min3_f32 v51, v52, v51, v101
	v_add_co_ci_u32_e32 v45, vcc_lo, v47, v45, vcc_lo
	s_delay_alu instid0(VALU_DEP_4) | instskip(NEXT) | instid1(VALU_DEP_1)
	v_min_f32_e32 v52, v54, v53
	v_min3_f32 v50, v50, v52, v51
	global_store_b32 v[44:45], v50, off
	s_or_b32 exec_lo, exec_lo, s16
	s_and_b32 s18, s5, s8
	s_delay_alu instid0(SALU_CYCLE_1)
	s_and_saveexec_b32 s16, s18
	s_cbranch_execz .LBB25_259
.LBB25_281:
	v_cmp_ne_u32_e32 vcc_lo, 1, v105
	v_lshlrev_b64 v[44:45], 2, v[74:75]
	s_cbranch_vccnz .LBB25_283
; %bb.282:
	s_delay_alu instid0(VALU_DEP_1) | instskip(NEXT) | instid1(VALU_DEP_2)
	v_add_co_u32 v50, vcc_lo, v48, v44
	v_add_co_ci_u32_e32 v51, vcc_lo, v49, v45, vcc_lo
	flat_load_b32 v50, v[50:51]
	s_waitcnt vmcnt(0) lgkmcnt(0)
	v_mul_f32_e32 v50, s15, v50
	s_branch .LBB25_284
.LBB25_283:
	v_mov_b32_e32 v50, 0
.LBB25_284:
	v_dual_add_f32 v51, v13, v41 :: v_dual_add_f32 v52, v12, v40
	v_dual_add_f32 v53, v15, v43 :: v_dual_add_f32 v54, v14, v42
	s_delay_alu instid0(VALU_DEP_4) | instskip(NEXT) | instid1(VALU_DEP_3)
	v_add_co_u32 v44, vcc_lo, v46, v44
	v_min3_f32 v51, v52, v51, v100
	v_add_co_ci_u32_e32 v45, vcc_lo, v47, v45, vcc_lo
	s_delay_alu instid0(VALU_DEP_4) | instskip(NEXT) | instid1(VALU_DEP_1)
	v_min_f32_e32 v52, v54, v53
	v_min3_f32 v50, v50, v52, v51
	global_store_b32 v[44:45], v50, off
	s_or_b32 exec_lo, exec_lo, s16
	s_and_b32 s18, s6, s8
	s_delay_alu instid0(SALU_CYCLE_1)
	s_and_saveexec_b32 s16, s18
	s_cbranch_execz .LBB25_260
.LBB25_285:
	v_cmp_ne_u32_e32 vcc_lo, 1, v105
	v_lshlrev_b64 v[44:45], 2, v[76:77]
	s_cbranch_vccnz .LBB25_287
; %bb.286:
	s_delay_alu instid0(VALU_DEP_1) | instskip(NEXT) | instid1(VALU_DEP_2)
	v_add_co_u32 v50, vcc_lo, v48, v44
	v_add_co_ci_u32_e32 v51, vcc_lo, v49, v45, vcc_lo
	flat_load_b32 v50, v[50:51]
	s_waitcnt vmcnt(0) lgkmcnt(0)
	v_mul_f32_e32 v50, s15, v50
	s_branch .LBB25_288
.LBB25_287:
	v_mov_b32_e32 v50, 0
.LBB25_288:
	v_dual_add_f32 v51, v9, v41 :: v_dual_add_f32 v52, v8, v40
	v_dual_add_f32 v53, v11, v43 :: v_dual_add_f32 v54, v10, v42
	s_delay_alu instid0(VALU_DEP_4) | instskip(NEXT) | instid1(VALU_DEP_3)
	v_add_co_u32 v44, vcc_lo, v46, v44
	v_min3_f32 v51, v52, v51, v99
	v_add_co_ci_u32_e32 v45, vcc_lo, v47, v45, vcc_lo
	s_delay_alu instid0(VALU_DEP_4) | instskip(NEXT) | instid1(VALU_DEP_1)
	v_min_f32_e32 v52, v54, v53
	v_min3_f32 v50, v50, v52, v51
	global_store_b32 v[44:45], v50, off
	s_or_b32 exec_lo, exec_lo, s16
	s_and_b32 s16, s7, s8
	s_delay_alu instid0(SALU_CYCLE_1)
	s_and_saveexec_b32 s8, s16
	s_cbranch_execz .LBB25_293
.LBB25_289:
	v_cmp_ne_u32_e32 vcc_lo, 1, v105
	v_lshlrev_b64 v[44:45], 2, v[78:79]
	s_cbranch_vccnz .LBB25_291
; %bb.290:
	s_delay_alu instid0(VALU_DEP_1) | instskip(NEXT) | instid1(VALU_DEP_2)
	v_add_co_u32 v48, vcc_lo, v48, v44
	v_add_co_ci_u32_e32 v49, vcc_lo, v49, v45, vcc_lo
	flat_load_b32 v48, v[48:49]
	s_waitcnt vmcnt(0) lgkmcnt(0)
	v_mul_f32_e32 v48, s15, v48
	s_branch .LBB25_292
.LBB25_291:
	v_mov_b32_e32 v48, 0
.LBB25_292:
	v_dual_add_f32 v41, v1, v41 :: v_dual_add_f32 v40, v0, v40
	v_dual_add_f32 v43, v3, v43 :: v_dual_add_f32 v42, v2, v42
	s_delay_alu instid0(VALU_DEP_2) | instskip(NEXT) | instid1(VALU_DEP_2)
	v_min3_f32 v40, v40, v41, v98
	v_min_f32_e32 v41, v42, v43
	s_delay_alu instid0(VALU_DEP_1)
	v_min3_f32 v42, v48, v41, v40
	v_add_co_u32 v40, vcc_lo, v46, v44
	v_add_co_ci_u32_e32 v41, vcc_lo, v47, v45, vcc_lo
	global_store_b32 v[40:41], v42, off
.LBB25_293:
	s_or_b32 exec_lo, exec_lo, s8
	v_add_nc_u32_e32 v44, 0xc0, v112
	s_delay_alu instid0(VALU_DEP_1) | instskip(SKIP_2) | instid1(VALU_DEP_3)
	v_mad_i64_i32 v[40:41], null, v44, s14, 0
	v_mad_i64_i32 v[42:43], null, v44, s9, 0
	v_cmp_gt_i32_e64 s8, s17, v44
	v_lshlrev_b64 v[40:41], 2, v[40:41]
	s_delay_alu instid0(VALU_DEP_2) | instskip(NEXT) | instid1(VALU_DEP_3)
	s_and_b32 s18, s0, s8
	v_lshlrev_b64 v[42:43], 2, v[42:43]
	s_delay_alu instid0(VALU_DEP_2) | instskip(NEXT) | instid1(VALU_DEP_3)
	v_add_co_u32 v44, vcc_lo, s10, v40
	v_add_co_ci_u32_e32 v45, vcc_lo, s11, v41, vcc_lo
	s_delay_alu instid0(VALU_DEP_3) | instskip(NEXT) | instid1(VALU_DEP_4)
	v_add_co_u32 v42, vcc_lo, s12, v42
	v_add_co_ci_u32_e32 v43, vcc_lo, s13, v43, vcc_lo
	s_and_saveexec_b32 s16, s18
	s_cbranch_execnz .LBB25_301
; %bb.294:
	s_or_b32 exec_lo, exec_lo, s16
	s_and_b32 s18, s1, s8
	s_delay_alu instid0(SALU_CYCLE_1)
	s_and_saveexec_b32 s16, s18
	s_cbranch_execnz .LBB25_305
.LBB25_295:
	s_or_b32 exec_lo, exec_lo, s16
	s_and_b32 s18, s2, s8
	s_delay_alu instid0(SALU_CYCLE_1)
	s_and_saveexec_b32 s16, s18
	s_cbranch_execnz .LBB25_309
.LBB25_296:
	s_or_b32 exec_lo, exec_lo, s16
	s_and_b32 s18, s3, s8
	s_delay_alu instid0(SALU_CYCLE_1)
	s_and_saveexec_b32 s16, s18
	s_cbranch_execnz .LBB25_313
.LBB25_297:
	s_or_b32 exec_lo, exec_lo, s16
	s_and_b32 s18, s4, s8
	s_delay_alu instid0(SALU_CYCLE_1)
	s_and_saveexec_b32 s16, s18
	s_cbranch_execnz .LBB25_317
.LBB25_298:
	s_or_b32 exec_lo, exec_lo, s16
	s_and_b32 s18, s5, s8
	s_delay_alu instid0(SALU_CYCLE_1)
	s_and_saveexec_b32 s16, s18
	s_cbranch_execnz .LBB25_321
.LBB25_299:
	s_or_b32 exec_lo, exec_lo, s16
	s_and_b32 s18, s6, s8
	s_delay_alu instid0(SALU_CYCLE_1)
	s_and_saveexec_b32 s16, s18
	s_cbranch_execnz .LBB25_325
.LBB25_300:
	s_or_b32 exec_lo, exec_lo, s16
	s_and_b32 s16, s7, s8
	s_delay_alu instid0(SALU_CYCLE_1)
	s_and_saveexec_b32 s8, s16
	s_cbranch_execnz .LBB25_329
	s_branch .LBB25_333
.LBB25_301:
	v_cmp_ne_u32_e32 vcc_lo, 1, v105
	v_lshlrev_b64 v[40:41], 2, v[64:65]
	s_cbranch_vccnz .LBB25_303
; %bb.302:
	s_delay_alu instid0(VALU_DEP_1) | instskip(NEXT) | instid1(VALU_DEP_2)
	v_add_co_u32 v46, vcc_lo, v44, v40
	v_add_co_ci_u32_e32 v47, vcc_lo, v45, v41, vcc_lo
	flat_load_b32 v46, v[46:47]
	s_waitcnt vmcnt(0) lgkmcnt(0)
	v_mul_f32_e32 v46, s15, v46
	s_branch .LBB25_304
.LBB25_303:
	v_mov_b32_e32 v46, 0
.LBB25_304:
	v_dual_add_f32 v47, v33, v37 :: v_dual_add_f32 v48, v32, v36
	v_dual_add_f32 v49, v35, v39 :: v_dual_add_f32 v50, v34, v38
	s_delay_alu instid0(VALU_DEP_4) | instskip(NEXT) | instid1(VALU_DEP_3)
	v_add_co_u32 v40, vcc_lo, v42, v40
	v_min3_f32 v47, v48, v47, v97
	v_add_co_ci_u32_e32 v41, vcc_lo, v43, v41, vcc_lo
	s_delay_alu instid0(VALU_DEP_4) | instskip(NEXT) | instid1(VALU_DEP_1)
	v_min_f32_e32 v48, v50, v49
	v_min3_f32 v46, v46, v48, v47
	global_store_b32 v[40:41], v46, off
	s_or_b32 exec_lo, exec_lo, s16
	s_and_b32 s18, s1, s8
	s_delay_alu instid0(SALU_CYCLE_1)
	s_and_saveexec_b32 s16, s18
	s_cbranch_execz .LBB25_295
.LBB25_305:
	v_cmp_ne_u32_e32 vcc_lo, 1, v105
	v_lshlrev_b64 v[40:41], 2, v[66:67]
	s_cbranch_vccnz .LBB25_307
; %bb.306:
	s_delay_alu instid0(VALU_DEP_1) | instskip(NEXT) | instid1(VALU_DEP_2)
	v_add_co_u32 v46, vcc_lo, v44, v40
	v_add_co_ci_u32_e32 v47, vcc_lo, v45, v41, vcc_lo
	flat_load_b32 v46, v[46:47]
	s_waitcnt vmcnt(0) lgkmcnt(0)
	v_mul_f32_e32 v46, s15, v46
	s_branch .LBB25_308
.LBB25_307:
	v_mov_b32_e32 v46, 0
.LBB25_308:
	v_dual_add_f32 v47, v29, v37 :: v_dual_add_f32 v48, v28, v36
	v_dual_add_f32 v49, v31, v39 :: v_dual_add_f32 v50, v30, v38
	s_delay_alu instid0(VALU_DEP_4) | instskip(NEXT) | instid1(VALU_DEP_3)
	v_add_co_u32 v40, vcc_lo, v42, v40
	v_min3_f32 v47, v48, v47, v96
	v_add_co_ci_u32_e32 v41, vcc_lo, v43, v41, vcc_lo
	s_delay_alu instid0(VALU_DEP_4) | instskip(NEXT) | instid1(VALU_DEP_1)
	v_min_f32_e32 v48, v50, v49
	v_min3_f32 v46, v46, v48, v47
	global_store_b32 v[40:41], v46, off
	s_or_b32 exec_lo, exec_lo, s16
	s_and_b32 s18, s2, s8
	s_delay_alu instid0(SALU_CYCLE_1)
	s_and_saveexec_b32 s16, s18
	s_cbranch_execz .LBB25_296
.LBB25_309:
	v_cmp_ne_u32_e32 vcc_lo, 1, v105
	v_lshlrev_b64 v[40:41], 2, v[68:69]
	s_cbranch_vccnz .LBB25_311
; %bb.310:
	s_delay_alu instid0(VALU_DEP_1) | instskip(NEXT) | instid1(VALU_DEP_2)
	v_add_co_u32 v46, vcc_lo, v44, v40
	v_add_co_ci_u32_e32 v47, vcc_lo, v45, v41, vcc_lo
	flat_load_b32 v46, v[46:47]
	s_waitcnt vmcnt(0) lgkmcnt(0)
	v_mul_f32_e32 v46, s15, v46
	s_branch .LBB25_312
.LBB25_311:
	v_mov_b32_e32 v46, 0
.LBB25_312:
	v_dual_add_f32 v47, v25, v37 :: v_dual_add_f32 v48, v24, v36
	v_dual_add_f32 v49, v27, v39 :: v_dual_add_f32 v50, v26, v38
	s_delay_alu instid0(VALU_DEP_4) | instskip(NEXT) | instid1(VALU_DEP_3)
	v_add_co_u32 v40, vcc_lo, v42, v40
	v_min3_f32 v47, v48, v47, v95
	v_add_co_ci_u32_e32 v41, vcc_lo, v43, v41, vcc_lo
	s_delay_alu instid0(VALU_DEP_4) | instskip(NEXT) | instid1(VALU_DEP_1)
	v_min_f32_e32 v48, v50, v49
	v_min3_f32 v46, v46, v48, v47
	global_store_b32 v[40:41], v46, off
	s_or_b32 exec_lo, exec_lo, s16
	s_and_b32 s18, s3, s8
	s_delay_alu instid0(SALU_CYCLE_1)
	s_and_saveexec_b32 s16, s18
	s_cbranch_execz .LBB25_297
.LBB25_313:
	v_cmp_ne_u32_e32 vcc_lo, 1, v105
	v_lshlrev_b64 v[40:41], 2, v[70:71]
	s_cbranch_vccnz .LBB25_315
; %bb.314:
	s_delay_alu instid0(VALU_DEP_1) | instskip(NEXT) | instid1(VALU_DEP_2)
	v_add_co_u32 v46, vcc_lo, v44, v40
	v_add_co_ci_u32_e32 v47, vcc_lo, v45, v41, vcc_lo
	flat_load_b32 v46, v[46:47]
	s_waitcnt vmcnt(0) lgkmcnt(0)
	v_mul_f32_e32 v46, s15, v46
	s_branch .LBB25_316
.LBB25_315:
	v_mov_b32_e32 v46, 0
.LBB25_316:
	v_dual_add_f32 v47, v21, v37 :: v_dual_add_f32 v48, v20, v36
	v_dual_add_f32 v49, v23, v39 :: v_dual_add_f32 v50, v22, v38
	s_delay_alu instid0(VALU_DEP_4) | instskip(NEXT) | instid1(VALU_DEP_3)
	v_add_co_u32 v40, vcc_lo, v42, v40
	v_min3_f32 v47, v48, v47, v94
	v_add_co_ci_u32_e32 v41, vcc_lo, v43, v41, vcc_lo
	s_delay_alu instid0(VALU_DEP_4) | instskip(NEXT) | instid1(VALU_DEP_1)
	v_min_f32_e32 v48, v50, v49
	v_min3_f32 v46, v46, v48, v47
	global_store_b32 v[40:41], v46, off
	s_or_b32 exec_lo, exec_lo, s16
	s_and_b32 s18, s4, s8
	s_delay_alu instid0(SALU_CYCLE_1)
	s_and_saveexec_b32 s16, s18
	s_cbranch_execz .LBB25_298
.LBB25_317:
	v_cmp_ne_u32_e32 vcc_lo, 1, v105
	v_lshlrev_b64 v[40:41], 2, v[72:73]
	s_cbranch_vccnz .LBB25_319
; %bb.318:
	s_delay_alu instid0(VALU_DEP_1) | instskip(NEXT) | instid1(VALU_DEP_2)
	v_add_co_u32 v46, vcc_lo, v44, v40
	v_add_co_ci_u32_e32 v47, vcc_lo, v45, v41, vcc_lo
	flat_load_b32 v46, v[46:47]
	s_waitcnt vmcnt(0) lgkmcnt(0)
	v_mul_f32_e32 v46, s15, v46
	s_branch .LBB25_320
.LBB25_319:
	v_mov_b32_e32 v46, 0
.LBB25_320:
	v_dual_add_f32 v47, v17, v37 :: v_dual_add_f32 v48, v16, v36
	v_dual_add_f32 v49, v19, v39 :: v_dual_add_f32 v50, v18, v38
	s_delay_alu instid0(VALU_DEP_4) | instskip(NEXT) | instid1(VALU_DEP_3)
	v_add_co_u32 v40, vcc_lo, v42, v40
	v_min3_f32 v47, v48, v47, v93
	v_add_co_ci_u32_e32 v41, vcc_lo, v43, v41, vcc_lo
	s_delay_alu instid0(VALU_DEP_4) | instskip(NEXT) | instid1(VALU_DEP_1)
	v_min_f32_e32 v48, v50, v49
	v_min3_f32 v46, v46, v48, v47
	global_store_b32 v[40:41], v46, off
	s_or_b32 exec_lo, exec_lo, s16
	s_and_b32 s18, s5, s8
	s_delay_alu instid0(SALU_CYCLE_1)
	s_and_saveexec_b32 s16, s18
	s_cbranch_execz .LBB25_299
.LBB25_321:
	v_cmp_ne_u32_e32 vcc_lo, 1, v105
	v_lshlrev_b64 v[40:41], 2, v[74:75]
	s_cbranch_vccnz .LBB25_323
; %bb.322:
	s_delay_alu instid0(VALU_DEP_1) | instskip(NEXT) | instid1(VALU_DEP_2)
	v_add_co_u32 v46, vcc_lo, v44, v40
	v_add_co_ci_u32_e32 v47, vcc_lo, v45, v41, vcc_lo
	flat_load_b32 v46, v[46:47]
	s_waitcnt vmcnt(0) lgkmcnt(0)
	v_mul_f32_e32 v46, s15, v46
	s_branch .LBB25_324
.LBB25_323:
	v_mov_b32_e32 v46, 0
.LBB25_324:
	v_dual_add_f32 v47, v13, v37 :: v_dual_add_f32 v48, v12, v36
	v_dual_add_f32 v49, v15, v39 :: v_dual_add_f32 v50, v14, v38
	s_delay_alu instid0(VALU_DEP_4) | instskip(NEXT) | instid1(VALU_DEP_3)
	v_add_co_u32 v40, vcc_lo, v42, v40
	v_min3_f32 v47, v48, v47, v92
	v_add_co_ci_u32_e32 v41, vcc_lo, v43, v41, vcc_lo
	s_delay_alu instid0(VALU_DEP_4) | instskip(NEXT) | instid1(VALU_DEP_1)
	v_min_f32_e32 v48, v50, v49
	v_min3_f32 v46, v46, v48, v47
	global_store_b32 v[40:41], v46, off
	s_or_b32 exec_lo, exec_lo, s16
	s_and_b32 s18, s6, s8
	s_delay_alu instid0(SALU_CYCLE_1)
	s_and_saveexec_b32 s16, s18
	s_cbranch_execz .LBB25_300
.LBB25_325:
	v_cmp_ne_u32_e32 vcc_lo, 1, v105
	v_lshlrev_b64 v[40:41], 2, v[76:77]
	s_cbranch_vccnz .LBB25_327
; %bb.326:
	s_delay_alu instid0(VALU_DEP_1) | instskip(NEXT) | instid1(VALU_DEP_2)
	v_add_co_u32 v46, vcc_lo, v44, v40
	v_add_co_ci_u32_e32 v47, vcc_lo, v45, v41, vcc_lo
	flat_load_b32 v46, v[46:47]
	s_waitcnt vmcnt(0) lgkmcnt(0)
	v_mul_f32_e32 v46, s15, v46
	s_branch .LBB25_328
.LBB25_327:
	v_mov_b32_e32 v46, 0
.LBB25_328:
	v_dual_add_f32 v47, v9, v37 :: v_dual_add_f32 v48, v8, v36
	v_dual_add_f32 v49, v11, v39 :: v_dual_add_f32 v50, v10, v38
	s_delay_alu instid0(VALU_DEP_4) | instskip(NEXT) | instid1(VALU_DEP_3)
	v_add_co_u32 v40, vcc_lo, v42, v40
	v_min3_f32 v47, v48, v47, v91
	v_add_co_ci_u32_e32 v41, vcc_lo, v43, v41, vcc_lo
	s_delay_alu instid0(VALU_DEP_4) | instskip(NEXT) | instid1(VALU_DEP_1)
	v_min_f32_e32 v48, v50, v49
	v_min3_f32 v46, v46, v48, v47
	global_store_b32 v[40:41], v46, off
	s_or_b32 exec_lo, exec_lo, s16
	s_and_b32 s16, s7, s8
	s_delay_alu instid0(SALU_CYCLE_1)
	s_and_saveexec_b32 s8, s16
	s_cbranch_execz .LBB25_333
.LBB25_329:
	v_cmp_ne_u32_e32 vcc_lo, 1, v105
	v_lshlrev_b64 v[40:41], 2, v[78:79]
	s_cbranch_vccnz .LBB25_331
; %bb.330:
	s_delay_alu instid0(VALU_DEP_1) | instskip(NEXT) | instid1(VALU_DEP_2)
	v_add_co_u32 v44, vcc_lo, v44, v40
	v_add_co_ci_u32_e32 v45, vcc_lo, v45, v41, vcc_lo
	flat_load_b32 v44, v[44:45]
	s_waitcnt vmcnt(0) lgkmcnt(0)
	v_mul_f32_e32 v44, s15, v44
	s_branch .LBB25_332
.LBB25_331:
	v_mov_b32_e32 v44, 0
.LBB25_332:
	v_dual_add_f32 v37, v1, v37 :: v_dual_add_f32 v36, v0, v36
	v_dual_add_f32 v39, v3, v39 :: v_dual_add_f32 v38, v2, v38
	s_delay_alu instid0(VALU_DEP_2) | instskip(NEXT) | instid1(VALU_DEP_2)
	v_min3_f32 v36, v36, v37, v90
	v_min_f32_e32 v37, v38, v39
	s_delay_alu instid0(VALU_DEP_1)
	v_min3_f32 v38, v44, v37, v36
	v_add_co_u32 v36, vcc_lo, v42, v40
	v_add_co_ci_u32_e32 v37, vcc_lo, v43, v41, vcc_lo
	global_store_b32 v[36:37], v38, off
.LBB25_333:
	s_or_b32 exec_lo, exec_lo, s8
	v_add_nc_u32_e32 v40, 0xe0, v112
	s_delay_alu instid0(VALU_DEP_1) | instskip(SKIP_2) | instid1(VALU_DEP_3)
	v_mad_i64_i32 v[36:37], null, v40, s14, 0
	v_mad_i64_i32 v[38:39], null, v40, s9, 0
	v_cmp_gt_i32_e64 s8, s17, v40
	v_lshlrev_b64 v[36:37], 2, v[36:37]
	s_delay_alu instid0(VALU_DEP_2) | instskip(NEXT) | instid1(VALU_DEP_3)
	s_and_b32 s9, s0, s8
	v_lshlrev_b64 v[38:39], 2, v[38:39]
	s_delay_alu instid0(VALU_DEP_2) | instskip(NEXT) | instid1(VALU_DEP_3)
	v_add_co_u32 v40, vcc_lo, s10, v36
	v_add_co_ci_u32_e32 v41, vcc_lo, s11, v37, vcc_lo
	s_delay_alu instid0(VALU_DEP_3) | instskip(NEXT) | instid1(VALU_DEP_4)
	v_add_co_u32 v38, vcc_lo, s12, v38
	v_add_co_ci_u32_e32 v39, vcc_lo, s13, v39, vcc_lo
	s_and_saveexec_b32 s0, s9
	s_cbranch_execnz .LBB25_342
; %bb.334:
	s_or_b32 exec_lo, exec_lo, s0
	s_and_b32 s1, s1, s8
	s_delay_alu instid0(SALU_CYCLE_1)
	s_and_saveexec_b32 s0, s1
	s_cbranch_execnz .LBB25_346
.LBB25_335:
	s_or_b32 exec_lo, exec_lo, s0
	s_and_b32 s1, s2, s8
	s_delay_alu instid0(SALU_CYCLE_1)
	s_and_saveexec_b32 s0, s1
	s_cbranch_execnz .LBB25_350
.LBB25_336:
	s_or_b32 exec_lo, exec_lo, s0
	s_and_b32 s1, s3, s8
	s_delay_alu instid0(SALU_CYCLE_1)
	s_and_saveexec_b32 s0, s1
	s_cbranch_execnz .LBB25_354
.LBB25_337:
	s_or_b32 exec_lo, exec_lo, s0
	s_and_b32 s1, s4, s8
	s_delay_alu instid0(SALU_CYCLE_1)
	s_and_saveexec_b32 s0, s1
	s_cbranch_execnz .LBB25_358
.LBB25_338:
	s_or_b32 exec_lo, exec_lo, s0
	s_and_b32 s1, s5, s8
	s_delay_alu instid0(SALU_CYCLE_1)
	s_and_saveexec_b32 s0, s1
	s_cbranch_execnz .LBB25_362
.LBB25_339:
	s_or_b32 exec_lo, exec_lo, s0
	s_and_b32 s1, s6, s8
	s_delay_alu instid0(SALU_CYCLE_1)
	s_and_saveexec_b32 s0, s1
	s_cbranch_execnz .LBB25_366
.LBB25_340:
	s_or_b32 exec_lo, exec_lo, s0
	s_and_b32 s0, s7, s8
	s_delay_alu instid0(SALU_CYCLE_1)
	s_and_saveexec_b32 s1, s0
	s_cbranch_execnz .LBB25_370
.LBB25_341:
	s_nop 0
	s_sendmsg sendmsg(MSG_DEALLOC_VGPRS)
	s_endpgm
.LBB25_342:
	v_cmp_ne_u32_e32 vcc_lo, 1, v105
	v_lshlrev_b64 v[36:37], 2, v[64:65]
	s_cbranch_vccnz .LBB25_344
; %bb.343:
	s_delay_alu instid0(VALU_DEP_1) | instskip(NEXT) | instid1(VALU_DEP_2)
	v_add_co_u32 v42, vcc_lo, v40, v36
	v_add_co_ci_u32_e32 v43, vcc_lo, v41, v37, vcc_lo
	flat_load_b32 v42, v[42:43]
	s_waitcnt vmcnt(0) lgkmcnt(0)
	v_mul_f32_e32 v42, s15, v42
	s_branch .LBB25_345
.LBB25_344:
	v_mov_b32_e32 v42, 0
.LBB25_345:
	v_dual_add_f32 v33, v33, v5 :: v_dual_add_f32 v32, v32, v4
	v_dual_add_f32 v35, v35, v7 :: v_dual_add_f32 v34, v34, v6
	s_delay_alu instid0(VALU_DEP_2) | instskip(NEXT) | instid1(VALU_DEP_2)
	v_min3_f32 v32, v32, v33, v89
	v_min_f32_e32 v33, v34, v35
	s_delay_alu instid0(VALU_DEP_1)
	v_min3_f32 v34, v42, v33, v32
	v_add_co_u32 v32, vcc_lo, v38, v36
	v_add_co_ci_u32_e32 v33, vcc_lo, v39, v37, vcc_lo
	global_store_b32 v[32:33], v34, off
	s_or_b32 exec_lo, exec_lo, s0
	s_and_b32 s1, s1, s8
	s_delay_alu instid0(SALU_CYCLE_1)
	s_and_saveexec_b32 s0, s1
	s_cbranch_execz .LBB25_335
.LBB25_346:
	v_cmp_ne_u32_e32 vcc_lo, 1, v105
	v_lshlrev_b64 v[32:33], 2, v[66:67]
	s_cbranch_vccnz .LBB25_348
; %bb.347:
	s_delay_alu instid0(VALU_DEP_1) | instskip(NEXT) | instid1(VALU_DEP_2)
	v_add_co_u32 v34, vcc_lo, v40, v32
	v_add_co_ci_u32_e32 v35, vcc_lo, v41, v33, vcc_lo
	flat_load_b32 v34, v[34:35]
	s_waitcnt vmcnt(0) lgkmcnt(0)
	v_mul_f32_e32 v34, s15, v34
	s_branch .LBB25_349
.LBB25_348:
	v_mov_b32_e32 v34, 0
.LBB25_349:
	v_dual_add_f32 v29, v29, v5 :: v_dual_add_f32 v28, v28, v4
	v_dual_add_f32 v31, v31, v7 :: v_dual_add_f32 v30, v30, v6
	s_delay_alu instid0(VALU_DEP_2) | instskip(NEXT) | instid1(VALU_DEP_2)
	v_min3_f32 v28, v28, v29, v88
	v_min_f32_e32 v29, v30, v31
	s_delay_alu instid0(VALU_DEP_1)
	v_min3_f32 v30, v34, v29, v28
	v_add_co_u32 v28, vcc_lo, v38, v32
	v_add_co_ci_u32_e32 v29, vcc_lo, v39, v33, vcc_lo
	global_store_b32 v[28:29], v30, off
	s_or_b32 exec_lo, exec_lo, s0
	s_and_b32 s1, s2, s8
	s_delay_alu instid0(SALU_CYCLE_1)
	s_and_saveexec_b32 s0, s1
	s_cbranch_execz .LBB25_336
.LBB25_350:
	v_cmp_ne_u32_e32 vcc_lo, 1, v105
	v_lshlrev_b64 v[28:29], 2, v[68:69]
	s_cbranch_vccnz .LBB25_352
; %bb.351:
	s_delay_alu instid0(VALU_DEP_1) | instskip(NEXT) | instid1(VALU_DEP_2)
	v_add_co_u32 v30, vcc_lo, v40, v28
	v_add_co_ci_u32_e32 v31, vcc_lo, v41, v29, vcc_lo
	flat_load_b32 v30, v[30:31]
	s_waitcnt vmcnt(0) lgkmcnt(0)
	v_mul_f32_e32 v30, s15, v30
	s_branch .LBB25_353
.LBB25_352:
	v_mov_b32_e32 v30, 0
.LBB25_353:
	v_dual_add_f32 v25, v25, v5 :: v_dual_add_f32 v24, v24, v4
	v_dual_add_f32 v27, v27, v7 :: v_dual_add_f32 v26, v26, v6
	s_delay_alu instid0(VALU_DEP_2) | instskip(NEXT) | instid1(VALU_DEP_2)
	v_min3_f32 v24, v24, v25, v87
	v_min_f32_e32 v25, v26, v27
	s_delay_alu instid0(VALU_DEP_1)
	v_min3_f32 v26, v30, v25, v24
	v_add_co_u32 v24, vcc_lo, v38, v28
	v_add_co_ci_u32_e32 v25, vcc_lo, v39, v29, vcc_lo
	global_store_b32 v[24:25], v26, off
	s_or_b32 exec_lo, exec_lo, s0
	s_and_b32 s1, s3, s8
	s_delay_alu instid0(SALU_CYCLE_1)
	s_and_saveexec_b32 s0, s1
	s_cbranch_execz .LBB25_337
.LBB25_354:
	v_cmp_ne_u32_e32 vcc_lo, 1, v105
	v_lshlrev_b64 v[24:25], 2, v[70:71]
	s_cbranch_vccnz .LBB25_356
; %bb.355:
	s_delay_alu instid0(VALU_DEP_1) | instskip(NEXT) | instid1(VALU_DEP_2)
	v_add_co_u32 v26, vcc_lo, v40, v24
	v_add_co_ci_u32_e32 v27, vcc_lo, v41, v25, vcc_lo
	flat_load_b32 v26, v[26:27]
	s_waitcnt vmcnt(0) lgkmcnt(0)
	v_mul_f32_e32 v26, s15, v26
	s_branch .LBB25_357
.LBB25_356:
	v_mov_b32_e32 v26, 0
.LBB25_357:
	v_dual_add_f32 v21, v21, v5 :: v_dual_add_f32 v20, v20, v4
	v_dual_add_f32 v23, v23, v7 :: v_dual_add_f32 v22, v22, v6
	s_delay_alu instid0(VALU_DEP_2) | instskip(NEXT) | instid1(VALU_DEP_2)
	v_min3_f32 v20, v20, v21, v86
	v_min_f32_e32 v21, v22, v23
	s_delay_alu instid0(VALU_DEP_1)
	v_min3_f32 v22, v26, v21, v20
	v_add_co_u32 v20, vcc_lo, v38, v24
	v_add_co_ci_u32_e32 v21, vcc_lo, v39, v25, vcc_lo
	global_store_b32 v[20:21], v22, off
	s_or_b32 exec_lo, exec_lo, s0
	s_and_b32 s1, s4, s8
	s_delay_alu instid0(SALU_CYCLE_1)
	s_and_saveexec_b32 s0, s1
	s_cbranch_execz .LBB25_338
.LBB25_358:
	v_cmp_ne_u32_e32 vcc_lo, 1, v105
	v_lshlrev_b64 v[20:21], 2, v[72:73]
	s_cbranch_vccnz .LBB25_360
; %bb.359:
	s_delay_alu instid0(VALU_DEP_1) | instskip(NEXT) | instid1(VALU_DEP_2)
	v_add_co_u32 v22, vcc_lo, v40, v20
	v_add_co_ci_u32_e32 v23, vcc_lo, v41, v21, vcc_lo
	flat_load_b32 v22, v[22:23]
	s_waitcnt vmcnt(0) lgkmcnt(0)
	v_mul_f32_e32 v22, s15, v22
	s_branch .LBB25_361
.LBB25_360:
	v_mov_b32_e32 v22, 0
.LBB25_361:
	v_dual_add_f32 v17, v17, v5 :: v_dual_add_f32 v16, v16, v4
	v_dual_add_f32 v19, v19, v7 :: v_dual_add_f32 v18, v18, v6
	s_delay_alu instid0(VALU_DEP_2) | instskip(NEXT) | instid1(VALU_DEP_2)
	v_min3_f32 v16, v16, v17, v85
	v_min_f32_e32 v17, v18, v19
	s_delay_alu instid0(VALU_DEP_1)
	v_min3_f32 v18, v22, v17, v16
	v_add_co_u32 v16, vcc_lo, v38, v20
	v_add_co_ci_u32_e32 v17, vcc_lo, v39, v21, vcc_lo
	global_store_b32 v[16:17], v18, off
	s_or_b32 exec_lo, exec_lo, s0
	s_and_b32 s1, s5, s8
	s_delay_alu instid0(SALU_CYCLE_1)
	s_and_saveexec_b32 s0, s1
	s_cbranch_execz .LBB25_339
.LBB25_362:
	v_cmp_ne_u32_e32 vcc_lo, 1, v105
	v_lshlrev_b64 v[16:17], 2, v[74:75]
	s_cbranch_vccnz .LBB25_364
; %bb.363:
	s_delay_alu instid0(VALU_DEP_1) | instskip(NEXT) | instid1(VALU_DEP_2)
	v_add_co_u32 v18, vcc_lo, v40, v16
	v_add_co_ci_u32_e32 v19, vcc_lo, v41, v17, vcc_lo
	flat_load_b32 v18, v[18:19]
	s_waitcnt vmcnt(0) lgkmcnt(0)
	v_mul_f32_e32 v18, s15, v18
	s_branch .LBB25_365
.LBB25_364:
	v_mov_b32_e32 v18, 0
.LBB25_365:
	v_dual_add_f32 v13, v13, v5 :: v_dual_add_f32 v12, v12, v4
	v_dual_add_f32 v15, v15, v7 :: v_dual_add_f32 v14, v14, v6
	s_delay_alu instid0(VALU_DEP_2) | instskip(NEXT) | instid1(VALU_DEP_2)
	v_min3_f32 v12, v12, v13, v84
	v_min_f32_e32 v13, v14, v15
	s_delay_alu instid0(VALU_DEP_1)
	v_min3_f32 v14, v18, v13, v12
	v_add_co_u32 v12, vcc_lo, v38, v16
	v_add_co_ci_u32_e32 v13, vcc_lo, v39, v17, vcc_lo
	global_store_b32 v[12:13], v14, off
	s_or_b32 exec_lo, exec_lo, s0
	s_and_b32 s1, s6, s8
	s_delay_alu instid0(SALU_CYCLE_1)
	s_and_saveexec_b32 s0, s1
	s_cbranch_execz .LBB25_340
.LBB25_366:
	v_cmp_ne_u32_e32 vcc_lo, 1, v105
	v_lshlrev_b64 v[12:13], 2, v[76:77]
	s_cbranch_vccnz .LBB25_368
; %bb.367:
	s_delay_alu instid0(VALU_DEP_1) | instskip(NEXT) | instid1(VALU_DEP_2)
	v_add_co_u32 v14, vcc_lo, v40, v12
	v_add_co_ci_u32_e32 v15, vcc_lo, v41, v13, vcc_lo
	flat_load_b32 v14, v[14:15]
	s_waitcnt vmcnt(0) lgkmcnt(0)
	v_mul_f32_e32 v14, s15, v14
	s_branch .LBB25_369
.LBB25_368:
	v_mov_b32_e32 v14, 0
.LBB25_369:
	v_dual_add_f32 v9, v9, v5 :: v_dual_add_f32 v8, v8, v4
	v_dual_add_f32 v11, v11, v7 :: v_dual_add_f32 v10, v10, v6
	s_delay_alu instid0(VALU_DEP_2) | instskip(NEXT) | instid1(VALU_DEP_2)
	v_min3_f32 v8, v8, v9, v83
	v_min_f32_e32 v9, v10, v11
	s_delay_alu instid0(VALU_DEP_1)
	v_min3_f32 v10, v14, v9, v8
	v_add_co_u32 v8, vcc_lo, v38, v12
	v_add_co_ci_u32_e32 v9, vcc_lo, v39, v13, vcc_lo
	global_store_b32 v[8:9], v10, off
	s_or_b32 exec_lo, exec_lo, s0
	s_and_b32 s0, s7, s8
	s_delay_alu instid0(SALU_CYCLE_1)
	s_and_saveexec_b32 s1, s0
	s_cbranch_execz .LBB25_341
.LBB25_370:
	v_cmp_ne_u32_e32 vcc_lo, 1, v105
	v_lshlrev_b64 v[8:9], 2, v[78:79]
	s_cbranch_vccnz .LBB25_372
; %bb.371:
	s_delay_alu instid0(VALU_DEP_1) | instskip(NEXT) | instid1(VALU_DEP_2)
	v_add_co_u32 v10, vcc_lo, v40, v8
	v_add_co_ci_u32_e32 v11, vcc_lo, v41, v9, vcc_lo
	flat_load_b32 v10, v[10:11]
	s_waitcnt vmcnt(0) lgkmcnt(0)
	v_mul_f32_e32 v10, s15, v10
	s_branch .LBB25_373
.LBB25_372:
	v_mov_b32_e32 v10, 0
.LBB25_373:
	v_dual_add_f32 v1, v1, v5 :: v_dual_add_f32 v0, v0, v4
	v_dual_add_f32 v3, v3, v7 :: v_dual_add_f32 v2, v2, v6
	s_delay_alu instid0(VALU_DEP_2) | instskip(NEXT) | instid1(VALU_DEP_2)
	v_min3_f32 v0, v0, v1, v82
	v_min_f32_e32 v1, v2, v3
	s_delay_alu instid0(VALU_DEP_1)
	v_min3_f32 v2, v10, v1, v0
	v_add_co_u32 v0, vcc_lo, v38, v8
	v_add_co_ci_u32_e32 v1, vcc_lo, v39, v9, vcc_lo
	global_store_b32 v[0:1], v2, off
	s_nop 0
	s_sendmsg sendmsg(MSG_DEALLOC_VGPRS)
	s_endpgm
	.section	.rodata,"a",@progbits
	.p2align	6, 0x0
	.amdhsa_kernel _ZN12_GLOBAL__N_120geam_min_plus_kernelIf15HIP_vector_typeIfLj2EEfLi8ELi32ELi64ELi256ELi4ELi4ELi64ELi64ELi4ELc84ELc84ELb1ELb1ELb1EfKPKfKPfEEviiiT16_PT17_ilSA_ilS8_SA_ilPT18_ili26rocblas_geam_ex_operation_
		.amdhsa_group_segment_fixed_size 10240
		.amdhsa_private_segment_fixed_size 84
		.amdhsa_kernarg_size 128
		.amdhsa_user_sgpr_count 14
		.amdhsa_user_sgpr_dispatch_ptr 0
		.amdhsa_user_sgpr_queue_ptr 0
		.amdhsa_user_sgpr_kernarg_segment_ptr 1
		.amdhsa_user_sgpr_dispatch_id 0
		.amdhsa_user_sgpr_private_segment_size 0
		.amdhsa_wavefront_size32 1
		.amdhsa_uses_dynamic_stack 0
		.amdhsa_enable_private_segment 1
		.amdhsa_system_sgpr_workgroup_id_x 1
		.amdhsa_system_sgpr_workgroup_id_y 0
		.amdhsa_system_sgpr_workgroup_id_z 1
		.amdhsa_system_sgpr_workgroup_info 0
		.amdhsa_system_vgpr_workitem_id 1
		.amdhsa_next_free_vgpr 256
		.amdhsa_next_free_sgpr 29
		.amdhsa_reserve_vcc 1
		.amdhsa_float_round_mode_32 0
		.amdhsa_float_round_mode_16_64 0
		.amdhsa_float_denorm_mode_32 3
		.amdhsa_float_denorm_mode_16_64 3
		.amdhsa_dx10_clamp 1
		.amdhsa_ieee_mode 1
		.amdhsa_fp16_overflow 0
		.amdhsa_workgroup_processor_mode 1
		.amdhsa_memory_ordered 1
		.amdhsa_forward_progress 0
		.amdhsa_shared_vgpr_count 0
		.amdhsa_exception_fp_ieee_invalid_op 0
		.amdhsa_exception_fp_denorm_src 0
		.amdhsa_exception_fp_ieee_div_zero 0
		.amdhsa_exception_fp_ieee_overflow 0
		.amdhsa_exception_fp_ieee_underflow 0
		.amdhsa_exception_fp_ieee_inexact 0
		.amdhsa_exception_int_div_zero 0
	.end_amdhsa_kernel
	.section	.text._ZN12_GLOBAL__N_120geam_min_plus_kernelIf15HIP_vector_typeIfLj2EEfLi8ELi32ELi64ELi256ELi4ELi4ELi64ELi64ELi4ELc84ELc84ELb1ELb1ELb1EfKPKfKPfEEviiiT16_PT17_ilSA_ilS8_SA_ilPT18_ili26rocblas_geam_ex_operation_,"axG",@progbits,_ZN12_GLOBAL__N_120geam_min_plus_kernelIf15HIP_vector_typeIfLj2EEfLi8ELi32ELi64ELi256ELi4ELi4ELi64ELi64ELi4ELc84ELc84ELb1ELb1ELb1EfKPKfKPfEEviiiT16_PT17_ilSA_ilS8_SA_ilPT18_ili26rocblas_geam_ex_operation_,comdat
.Lfunc_end25:
	.size	_ZN12_GLOBAL__N_120geam_min_plus_kernelIf15HIP_vector_typeIfLj2EEfLi8ELi32ELi64ELi256ELi4ELi4ELi64ELi64ELi4ELc84ELc84ELb1ELb1ELb1EfKPKfKPfEEviiiT16_PT17_ilSA_ilS8_SA_ilPT18_ili26rocblas_geam_ex_operation_, .Lfunc_end25-_ZN12_GLOBAL__N_120geam_min_plus_kernelIf15HIP_vector_typeIfLj2EEfLi8ELi32ELi64ELi256ELi4ELi4ELi64ELi64ELi4ELc84ELc84ELb1ELb1ELb1EfKPKfKPfEEviiiT16_PT17_ilSA_ilS8_SA_ilPT18_ili26rocblas_geam_ex_operation_
                                        ; -- End function
	.section	.AMDGPU.csdata,"",@progbits
; Kernel info:
; codeLenInByte = 21076
; NumSgprs: 31
; NumVgprs: 256
; ScratchSize: 84
; MemoryBound: 0
; FloatMode: 240
; IeeeMode: 1
; LDSByteSize: 10240 bytes/workgroup (compile time only)
; SGPRBlocks: 3
; VGPRBlocks: 31
; NumSGPRsForWavesPerEU: 31
; NumVGPRsForWavesPerEU: 256
; Occupancy: 5
; WaveLimiterHint : 1
; COMPUTE_PGM_RSRC2:SCRATCH_EN: 1
; COMPUTE_PGM_RSRC2:USER_SGPR: 14
; COMPUTE_PGM_RSRC2:TRAP_HANDLER: 0
; COMPUTE_PGM_RSRC2:TGID_X_EN: 1
; COMPUTE_PGM_RSRC2:TGID_Y_EN: 0
; COMPUTE_PGM_RSRC2:TGID_Z_EN: 1
; COMPUTE_PGM_RSRC2:TIDIG_COMP_CNT: 1
	.section	.text._ZN12_GLOBAL__N_120geam_min_plus_kernelIf15HIP_vector_typeIfLj2EEfLi8ELi32ELi64ELi256ELi4ELi4ELi64ELi64ELi4ELc84ELc84ELb0ELb1ELb1EfKPKfKPfEEviiiT16_PT17_ilSA_ilS8_SA_ilPT18_ili26rocblas_geam_ex_operation_,"axG",@progbits,_ZN12_GLOBAL__N_120geam_min_plus_kernelIf15HIP_vector_typeIfLj2EEfLi8ELi32ELi64ELi256ELi4ELi4ELi64ELi64ELi4ELc84ELc84ELb0ELb1ELb1EfKPKfKPfEEviiiT16_PT17_ilSA_ilS8_SA_ilPT18_ili26rocblas_geam_ex_operation_,comdat
	.globl	_ZN12_GLOBAL__N_120geam_min_plus_kernelIf15HIP_vector_typeIfLj2EEfLi8ELi32ELi64ELi256ELi4ELi4ELi64ELi64ELi4ELc84ELc84ELb0ELb1ELb1EfKPKfKPfEEviiiT16_PT17_ilSA_ilS8_SA_ilPT18_ili26rocblas_geam_ex_operation_ ; -- Begin function _ZN12_GLOBAL__N_120geam_min_plus_kernelIf15HIP_vector_typeIfLj2EEfLi8ELi32ELi64ELi256ELi4ELi4ELi64ELi64ELi4ELc84ELc84ELb0ELb1ELb1EfKPKfKPfEEviiiT16_PT17_ilSA_ilS8_SA_ilPT18_ili26rocblas_geam_ex_operation_
	.p2align	8
	.type	_ZN12_GLOBAL__N_120geam_min_plus_kernelIf15HIP_vector_typeIfLj2EEfLi8ELi32ELi64ELi256ELi4ELi4ELi64ELi64ELi4ELc84ELc84ELb0ELb1ELb1EfKPKfKPfEEviiiT16_PT17_ilSA_ilS8_SA_ilPT18_ili26rocblas_geam_ex_operation_,@function
_ZN12_GLOBAL__N_120geam_min_plus_kernelIf15HIP_vector_typeIfLj2EEfLi8ELi32ELi64ELi256ELi4ELi4ELi64ELi64ELi4ELc84ELc84ELb0ELb1ELb1EfKPKfKPfEEviiiT16_PT17_ilSA_ilS8_SA_ilPT18_ili26rocblas_geam_ex_operation_: ; @_ZN12_GLOBAL__N_120geam_min_plus_kernelIf15HIP_vector_typeIfLj2EEfLi8ELi32ELi64ELi256ELi4ELi4ELi64ELi64ELi4ELc84ELc84ELb0ELb1ELb1EfKPKfKPfEEviiiT16_PT17_ilSA_ilS8_SA_ilPT18_ili26rocblas_geam_ex_operation_
; %bb.0:
	s_clause 0x1
	s_load_b128 s[16:19], s[0:1], 0x0
	s_load_b128 s[4:7], s[0:1], 0x20
	s_mov_b32 s2, s15
	s_mov_b32 s3, 0
	s_mov_b64 s[20:21], 0
	s_waitcnt lgkmcnt(0)
	v_cmp_eq_f32_e64 s24, s19, 0
	v_cmp_neq_f32_e64 s8, s19, 0
	s_delay_alu instid0(VALU_DEP_2)
	s_and_b32 vcc_lo, exec_lo, s24
	s_cbranch_vccnz .LBB26_2
; %bb.1:
	s_load_b64 s[10:11], s[0:1], 0x10
	s_lshl_b64 s[12:13], s[2:3], 3
	s_waitcnt lgkmcnt(0)
	s_add_u32 s10, s10, s12
	s_addc_u32 s11, s11, s13
	s_lshl_b64 s[4:5], s[4:5], 2
	s_load_b64 s[10:11], s[10:11], 0x0
	s_waitcnt lgkmcnt(0)
	s_add_u32 s20, s10, s4
	s_addc_u32 s21, s11, s5
.LBB26_2:
	s_delay_alu instid0(VALU_DEP_1)
	s_and_b32 vcc_lo, exec_lo, s8
	s_cbranch_vccz .LBB26_4
; %bb.3:
	s_lshl_b64 s[4:5], s[2:3], 3
	s_load_b64 s[8:9], s[0:1], 0x38
	s_add_u32 s4, s6, s4
	s_addc_u32 s5, s7, s5
	s_load_b64 s[4:5], s[4:5], 0x0
	s_waitcnt lgkmcnt(0)
	s_lshl_b64 s[6:7], s[8:9], 2
	s_delay_alu instid0(SALU_CYCLE_1)
	s_add_u32 s8, s4, s6
	s_addc_u32 s9, s5, s7
	s_and_not1_b32 vcc_lo, exec_lo, s3
	s_cbranch_vccz .LBB26_5
	s_branch .LBB26_6
.LBB26_4:
	s_mov_b32 s3, -1
                                        ; implicit-def: $sgpr8_sgpr9
.LBB26_5:
	s_mov_b32 s3, 0
	s_mov_b64 s[8:9], 0
.LBB26_6:
	s_clause 0x1
	s_load_b32 s15, s[0:1], 0x40
	s_load_b128 s[4:7], s[0:1], 0x58
	s_waitcnt lgkmcnt(0)
	v_cmp_eq_f32_e64 s10, s15, 0
	v_cmp_neq_f32_e64 s22, s15, 0
	s_delay_alu instid0(VALU_DEP_2)
	s_and_b32 vcc_lo, exec_lo, s10
	s_cbranch_vccnz .LBB26_8
; %bb.7:
	s_load_b64 s[10:11], s[0:1], 0x48
	s_lshl_b64 s[12:13], s[2:3], 3
	s_waitcnt lgkmcnt(0)
	s_add_u32 s10, s10, s12
	s_addc_u32 s11, s11, s13
	s_lshl_b64 s[4:5], s[4:5], 2
	s_load_b64 s[10:11], s[10:11], 0x0
	s_waitcnt lgkmcnt(0)
	s_add_u32 s10, s10, s4
	s_addc_u32 s11, s11, s5
	s_branch .LBB26_9
.LBB26_8:
	s_mov_b64 s[10:11], 0
.LBB26_9:
	s_lshl_b64 s[2:3], s[2:3], 3
	v_and_b32_e32 v18, 0x3ff, v0
	s_add_u32 s4, s6, s2
	s_addc_u32 s5, s7, s3
	s_add_i32 s6, s16, -1
	v_bfe_u32 v19, v0, 10, 10
	s_ashr_i32 s2, s6, 31
	s_load_b32 s27, s[0:1], 0x18
	s_lshr_b32 s2, s2, 26
	v_and_b32_e32 v70, 3, v18
	s_add_i32 s2, s6, s2
	v_lshl_add_u32 v2, v19, 3, v18
	s_ashr_i32 s2, s2, 6
	s_delay_alu instid0(SALU_CYCLE_1) | instskip(SKIP_4) | instid1(VALU_DEP_3)
	s_add_i32 s7, s2, 1
	s_not_b32 s2, s2
	v_cvt_f32_u32_e32 v1, s7
	v_lshrrev_b32_e32 v0, 2, v2
	v_lshlrev_b32_e32 v11, 2, v70
	v_rcp_iflag_f32_e32 v1, v1
	s_waitcnt_depctr 0xfff
	v_mul_f32_e32 v1, 0x4f7ffffe, v1
	s_delay_alu instid0(VALU_DEP_1) | instskip(NEXT) | instid1(VALU_DEP_1)
	v_cvt_u32_f32_e32 v1, v1
	v_readfirstlane_b32 s3, v1
	s_delay_alu instid0(VALU_DEP_1) | instskip(NEXT) | instid1(SALU_CYCLE_1)
	s_mul_i32 s2, s2, s3
	s_mul_hi_u32 s2, s3, s2
	s_delay_alu instid0(SALU_CYCLE_1) | instskip(NEXT) | instid1(SALU_CYCLE_1)
	s_add_i32 s3, s3, s2
	s_mul_hi_u32 s2, s14, s3
	s_delay_alu instid0(SALU_CYCLE_1) | instskip(SKIP_2) | instid1(SALU_CYCLE_1)
	s_mul_i32 s3, s2, s7
	s_add_i32 s12, s2, 1
	s_sub_i32 s3, s14, s3
	s_sub_i32 s13, s3, s7
	s_cmp_ge_u32 s3, s7
	s_cselect_b32 s2, s12, s2
	s_cselect_b32 s3, s13, s3
	s_add_i32 s12, s2, 1
	s_cmp_ge_u32 s3, s7
	s_cselect_b32 s3, s12, s2
	s_load_b64 s[12:13], s[4:5], 0x0
	s_mul_i32 s2, s3, s7
	s_delay_alu instid0(SALU_CYCLE_1) | instskip(NEXT) | instid1(SALU_CYCLE_1)
	s_sub_i32 s2, s14, s2
	s_lshl_b32 s14, s2, 6
	v_cmp_le_i32_e64 s2, s18, v70
	v_add_nc_u32_e32 v1, s14, v0
	s_delay_alu instid0(VALU_DEP_1) | instskip(SKIP_1) | instid1(VALU_DEP_4)
	v_cmp_le_i32_e32 vcc_lo, s16, v1
	v_min_i32_e32 v1, s6, v1
	s_or_b32 s2, s2, vcc_lo
	scratch_store_b32 off, v1, off          ; 4-byte Folded Spill
	v_cndmask_b32_e64 v1, 0, 0x7f7fffff, s2
	s_or_b32 s2, s24, s2
	s_delay_alu instid0(SALU_CYCLE_1) | instskip(NEXT) | instid1(SALU_CYCLE_1)
	s_xor_b32 s2, s2, -1
	s_and_saveexec_b32 s4, s2
	s_cbranch_execz .LBB26_11
; %bb.10:
	scratch_load_b32 v1, off, off           ; 4-byte Folded Reload
	s_waitcnt vmcnt(0) lgkmcnt(0)
	v_mad_i64_i32 v[3:4], null, v1, s27, 0
	s_delay_alu instid0(VALU_DEP_1) | instskip(NEXT) | instid1(VALU_DEP_1)
	v_lshlrev_b64 v[3:4], 2, v[3:4]
	v_add_co_u32 v1, s2, s20, v3
	s_delay_alu instid0(VALU_DEP_1) | instskip(NEXT) | instid1(VALU_DEP_2)
	v_add_co_ci_u32_e64 v4, s2, s21, v4, s2
	v_add_co_u32 v3, s2, v1, v11
	s_delay_alu instid0(VALU_DEP_1)
	v_add_co_ci_u32_e64 v4, s2, 0, v4, s2
	flat_load_b32 v1, v[3:4]
	s_waitcnt vmcnt(0) lgkmcnt(0)
	v_mul_f32_e32 v1, s19, v1
.LBB26_11:
	s_or_b32 exec_lo, exec_lo, s4
	s_load_b32 s25, s[0:1], 0x30
	v_lshrrev_b32_e32 v71, 6, v2
	s_add_i32 s26, s18, -1
	v_and_b32_e32 v2, 63, v2
	s_lshl_b32 s23, s3, 8
	s_delay_alu instid0(VALU_DEP_2) | instskip(SKIP_1) | instid1(VALU_DEP_3)
	v_min_i32_e32 v5, s26, v71
	v_cmp_le_i32_e64 s6, s18, v71
	v_or_b32_e32 v16, s23, v2
	s_delay_alu instid0(VALU_DEP_1) | instskip(SKIP_1) | instid1(VALU_DEP_2)
	v_cmp_le_i32_e64 s2, s17, v16
	v_ashrrev_i32_e32 v17, 31, v16
	s_or_b32 s4, s2, s6
	s_waitcnt lgkmcnt(0)
	v_mad_i64_i32 v[3:4], null, s25, v5, 0
	s_delay_alu instid0(VALU_DEP_1) | instskip(SKIP_1) | instid1(VALU_DEP_2)
	v_lshlrev_b64 v[4:5], 2, v[3:4]
	v_cndmask_b32_e64 v3, 0, 0x7f7fffff, s4
	v_add_co_u32 v7, s3, s8, v4
	s_delay_alu instid0(VALU_DEP_1) | instskip(SKIP_1) | instid1(SALU_CYCLE_1)
	v_add_co_ci_u32_e64 v8, s3, s9, v5, s3
	s_or_b32 s3, s24, s4
	s_xor_b32 s3, s3, -1
	s_delay_alu instid0(SALU_CYCLE_1)
	s_and_saveexec_b32 s4, s3
	s_cbranch_execz .LBB26_13
; %bb.12:
	v_lshlrev_b64 v[3:4], 2, v[16:17]
	s_delay_alu instid0(VALU_DEP_1) | instskip(NEXT) | instid1(VALU_DEP_1)
	v_add_co_u32 v3, s3, v7, v3
	v_add_co_ci_u32_e64 v4, s3, v8, v4, s3
	flat_load_b32 v3, v[3:4]
	s_waitcnt vmcnt(0) lgkmcnt(0)
	v_mul_f32_e32 v3, s19, v3
.LBB26_13:
	s_or_b32 exec_lo, exec_lo, s4
	v_or_b32_e32 v4, 64, v16
	s_delay_alu instid0(VALU_DEP_1) | instskip(NEXT) | instid1(VALU_DEP_1)
	v_cmp_le_i32_e64 s3, s17, v4
	s_or_b32 s4, s3, s6
	s_delay_alu instid0(SALU_CYCLE_1) | instskip(SKIP_1) | instid1(SALU_CYCLE_1)
	v_cndmask_b32_e64 v4, 0, 0x7f7fffff, s4
	s_or_b32 s4, s24, s4
	s_xor_b32 s4, s4, -1
	s_delay_alu instid0(SALU_CYCLE_1)
	s_and_saveexec_b32 s5, s4
	s_cbranch_execz .LBB26_15
; %bb.14:
	v_lshlrev_b64 v[4:5], 2, v[16:17]
	s_delay_alu instid0(VALU_DEP_1) | instskip(NEXT) | instid1(VALU_DEP_1)
	v_add_co_u32 v4, s4, v7, v4
	v_add_co_ci_u32_e64 v5, s4, v8, v5, s4
	flat_load_b32 v4, v[4:5] offset:256
	s_waitcnt vmcnt(0) lgkmcnt(0)
	v_mul_f32_e32 v4, s19, v4
.LBB26_15:
	s_or_b32 exec_lo, exec_lo, s5
	v_or_b32_e32 v5, 0x80, v16
	s_delay_alu instid0(VALU_DEP_1) | instskip(NEXT) | instid1(VALU_DEP_1)
	v_cmp_le_i32_e64 s4, s17, v5
	s_or_b32 s5, s4, s6
	s_delay_alu instid0(SALU_CYCLE_1) | instskip(SKIP_1) | instid1(SALU_CYCLE_1)
	v_cndmask_b32_e64 v5, 0, 0x7f7fffff, s5
	s_or_b32 s5, s24, s5
	s_xor_b32 s5, s5, -1
	s_delay_alu instid0(SALU_CYCLE_1)
	s_and_saveexec_b32 s7, s5
	s_cbranch_execz .LBB26_17
; %bb.16:
	v_lshlrev_b64 v[5:6], 2, v[16:17]
	s_delay_alu instid0(VALU_DEP_1) | instskip(NEXT) | instid1(VALU_DEP_1)
	v_add_co_u32 v5, s5, v7, v5
	v_add_co_ci_u32_e64 v6, s5, v8, v6, s5
	flat_load_b32 v5, v[5:6] offset:512
	s_waitcnt vmcnt(0) lgkmcnt(0)
	v_mul_f32_e32 v5, s19, v5
.LBB26_17:
	;; [unrolled: 21-line block ×3, first 2 shown]
	s_or_b32 exec_lo, exec_lo, s7
	v_or_b32_e32 v7, 4, v70
	s_delay_alu instid0(VALU_DEP_1) | instskip(NEXT) | instid1(VALU_DEP_1)
	v_cmp_le_i32_e64 s6, s18, v7
	s_or_b32 s6, s6, vcc_lo
	s_delay_alu instid0(SALU_CYCLE_1) | instskip(SKIP_1) | instid1(SALU_CYCLE_1)
	v_cndmask_b32_e64 v12, 0, 0x7f7fffff, s6
	s_or_b32 s6, s24, s6
	s_xor_b32 s6, s6, -1
	s_delay_alu instid0(SALU_CYCLE_1)
	s_and_saveexec_b32 s7, s6
	s_cbranch_execz .LBB26_21
; %bb.20:
	scratch_load_b32 v9, off, off           ; 4-byte Folded Reload
	s_waitcnt vmcnt(0)
	v_mad_i64_i32 v[7:8], null, v9, s27, 0
	s_delay_alu instid0(VALU_DEP_1) | instskip(NEXT) | instid1(VALU_DEP_1)
	v_lshlrev_b64 v[7:8], 2, v[7:8]
	v_add_co_u32 v7, s6, s20, v7
	s_delay_alu instid0(VALU_DEP_1) | instskip(NEXT) | instid1(VALU_DEP_2)
	v_add_co_ci_u32_e64 v8, s6, s21, v8, s6
	v_add_co_u32 v7, s6, v7, v11
	s_delay_alu instid0(VALU_DEP_1)
	v_add_co_ci_u32_e64 v8, s6, 0, v8, s6
	flat_load_b32 v7, v[7:8] offset:16
	s_waitcnt vmcnt(0) lgkmcnt(0)
	v_mul_f32_e32 v12, s19, v7
.LBB26_21:
	s_or_b32 exec_lo, exec_lo, s7
	v_add_nc_u32_e32 v9, 4, v71
	s_delay_alu instid0(VALU_DEP_1) | instskip(SKIP_1) | instid1(VALU_DEP_2)
	v_min_i32_e32 v10, s26, v9
	v_cmp_le_i32_e64 s6, s18, v9
	v_mad_i64_i32 v[7:8], null, s25, v10, 0
	s_delay_alu instid0(VALU_DEP_1) | instskip(NEXT) | instid1(VALU_DEP_1)
	v_lshlrev_b64 v[7:8], 2, v[7:8]
	v_add_co_u32 v7, s7, s8, v7
	s_delay_alu instid0(VALU_DEP_1) | instskip(SKIP_1) | instid1(SALU_CYCLE_1)
	v_add_co_ci_u32_e64 v8, s7, s9, v8, s7
	s_or_b32 s7, s2, s6
	v_cndmask_b32_e64 v9, 0, 0x7f7fffff, s7
	s_or_b32 s7, s24, s7
	s_delay_alu instid0(SALU_CYCLE_1) | instskip(NEXT) | instid1(SALU_CYCLE_1)
	s_xor_b32 s7, s7, -1
	s_and_saveexec_b32 s28, s7
	s_cbranch_execz .LBB26_23
; %bb.22:
	v_lshlrev_b64 v[9:10], 2, v[16:17]
	s_delay_alu instid0(VALU_DEP_1) | instskip(NEXT) | instid1(VALU_DEP_1)
	v_add_co_u32 v9, s7, v7, v9
	v_add_co_ci_u32_e64 v10, s7, v8, v10, s7
	flat_load_b32 v9, v[9:10]
	s_waitcnt vmcnt(0) lgkmcnt(0)
	v_mul_f32_e32 v9, s19, v9
.LBB26_23:
	s_or_b32 exec_lo, exec_lo, s28
	s_or_b32 s7, s3, s6
	scratch_store_b32 off, v9, off offset:8 ; 4-byte Folded Spill
	v_cndmask_b32_e64 v9, 0, 0x7f7fffff, s7
	s_or_b32 s7, s24, s7
	s_delay_alu instid0(SALU_CYCLE_1) | instskip(NEXT) | instid1(SALU_CYCLE_1)
	s_xor_b32 s7, s7, -1
	s_and_saveexec_b32 s28, s7
	s_cbranch_execz .LBB26_25
; %bb.24:
	v_lshlrev_b64 v[9:10], 2, v[16:17]
	s_delay_alu instid0(VALU_DEP_1) | instskip(NEXT) | instid1(VALU_DEP_1)
	v_add_co_u32 v9, s7, v7, v9
	v_add_co_ci_u32_e64 v10, s7, v8, v10, s7
	flat_load_b32 v9, v[9:10] offset:256
	s_waitcnt vmcnt(0) lgkmcnt(0)
	v_mul_f32_e32 v9, s19, v9
.LBB26_25:
	s_or_b32 exec_lo, exec_lo, s28
	s_or_b32 s7, s4, s6
	scratch_store_b32 off, v9, off offset:12 ; 4-byte Folded Spill
	v_cndmask_b32_e64 v151, 0, 0x7f7fffff, s7
	s_or_b32 s7, s24, s7
	s_delay_alu instid0(SALU_CYCLE_1) | instskip(NEXT) | instid1(SALU_CYCLE_1)
	s_xor_b32 s7, s7, -1
	s_and_saveexec_b32 s28, s7
	s_cbranch_execz .LBB26_27
; %bb.26:
	v_lshlrev_b64 v[9:10], 2, v[16:17]
	s_delay_alu instid0(VALU_DEP_1) | instskip(NEXT) | instid1(VALU_DEP_1)
	v_add_co_u32 v9, s7, v7, v9
	v_add_co_ci_u32_e64 v10, s7, v8, v10, s7
	flat_load_b32 v9, v[9:10] offset:512
	s_waitcnt vmcnt(0) lgkmcnt(0)
	v_mul_f32_e32 v151, s19, v9
.LBB26_27:
	;; [unrolled: 18-line block ×3, first 2 shown]
	s_or_b32 exec_lo, exec_lo, s7
	v_lshlrev_b32_e32 v7, 2, v71
	v_lshl_or_b32 v0, v0, 4, v11
	v_lshlrev_b32_e32 v72, 4, v19
	v_lshlrev_b32_e32 v73, 4, v18
	s_cmp_lt_i32 s18, 9
	v_lshl_add_u32 v74, v2, 4, v7
	scratch_store_b32 off, v0, off offset:16 ; 4-byte Folded Spill
	ds_store_b32 v0, v1 offset:8192
	ds_store_2addr_stride64_b32 v74, v3, v4 offset1:4
	ds_store_2addr_stride64_b32 v74, v5, v6 offset0:8 offset1:12
	s_waitcnt lgkmcnt(0)
	s_waitcnt_vscnt null, 0x0
	s_barrier
	buffer_gl0_inv
	ds_load_b128 v[26:29], v72
	ds_load_b128 v[0:3], v73 offset:8192
	ds_load_b128 v[12:15], v73 offset:8320
	;; [unrolled: 1-line block ×5, first 2 shown]
	s_waitcnt lgkmcnt(4)
	v_dual_add_f32 v20, v1, v27 :: v_dual_add_f32 v145, v0, v26
	s_waitcnt lgkmcnt(2)
	v_add_f32_e32 v143, v8, v26
	v_add_f32_e32 v144, v12, v26
	s_waitcnt lgkmcnt(0)
	v_dual_add_f32 v146, v3, v29 :: v_dual_add_f32 v93, v9, v31
	scratch_store_b32 off, v20, off offset:28 ; 4-byte Folded Spill
	v_dual_add_f32 v20, v13, v27 :: v_dual_add_f32 v81, v2, v28
	v_dual_add_f32 v138, v15, v29 :: v_dual_add_f32 v95, v5, v31
	v_add_f32_e32 v139, v11, v29
	scratch_store_b32 off, v20, off offset:32 ; 4-byte Folded Spill
	v_add_f32_e32 v20, v9, v27
	v_add_f32_e32 v140, v7, v29
	v_dual_add_f32 v90, v0, v30 :: v_dual_add_f32 v109, v11, v33
	v_add_f32_e32 v87, v6, v28
	scratch_store_b32 off, v20, off offset:36 ; 4-byte Folded Spill
	v_add_f32_e32 v20, v5, v27
	v_dual_add_f32 v92, v12, v30 :: v_dual_add_f32 v111, v7, v33
	v_add_f32_e32 v86, v3, v33
	v_add_f32_e32 v110, v10, v32
	scratch_store_b32 off, v20, off offset:40 ; 4-byte Folded Spill
	v_add_f32_e32 v20, v4, v26
	v_dual_add_f32 v112, v6, v32 :: v_dual_add_f32 v107, v15, v33
	v_add_f32_e32 v89, v1, v31
	v_add_f32_e32 v91, v13, v31
	scratch_store_b32 off, v20, off offset:44 ; 4-byte Folded Spill
	ds_load_b128 v[34:37], v73 offset:8704
	ds_load_b128 v[38:41], v73 offset:8832
	v_add_f32_e32 v132, v14, v28
	v_add_f32_e32 v134, v10, v28
	;; [unrolled: 1-line block ×4, first 2 shown]
	s_waitcnt lgkmcnt(1)
	v_dual_add_f32 v20, v35, v27 :: v_dual_add_f32 v141, v37, v29
	s_waitcnt lgkmcnt(0)
	v_add_f32_e32 v133, v40, v28
	v_dual_add_f32 v85, v37, v33 :: v_dual_add_f32 v142, v34, v26
	v_add_f32_e32 v131, v36, v28
	scratch_store_b32 off, v20, off offset:48 ; 4-byte Folded Spill
	v_add_f32_e32 v20, v39, v27
	v_add_f32_e32 v97, v35, v31
	v_dual_add_f32 v99, v39, v31 :: v_dual_add_f32 v100, v38, v30
	v_add_f32_e32 v114, v36, v32
	scratch_store_b32 off, v20, off offset:52 ; 4-byte Folded Spill
	v_dual_add_f32 v20, v38, v26 :: v_dual_add_f32 v115, v41, v33
	v_add_f32_e32 v116, v40, v32
	scratch_store_b32 off, v20, off offset:56 ; 4-byte Folded Spill
	ds_load_b128 v[42:45], v73 offset:8960
	ds_load_b128 v[46:49], v73 offset:9088
	v_add_f32_e32 v96, v4, v30
	v_add_f32_e32 v98, v34, v30
	;; [unrolled: 1-line block ×3, first 2 shown]
	s_waitcnt lgkmcnt(0)
	v_dual_add_f32 v20, v43, v27 :: v_dual_add_f32 v137, v49, v29
	v_dual_add_f32 v136, v45, v29 :: v_dual_add_f32 v103, v47, v31
	v_add_f32_e32 v135, v44, v28
	scratch_store_b32 off, v20, off offset:60 ; 4-byte Folded Spill
	v_add_f32_e32 v20, v42, v26
	v_dual_add_f32 v88, v48, v28 :: v_dual_add_f32 v101, v43, v31
	v_add_f32_e32 v102, v42, v30
	v_add_f32_e32 v104, v46, v30
	scratch_store_b32 off, v20, off offset:68 ; 4-byte Folded Spill
	v_dual_add_f32 v20, v47, v27 :: v_dual_add_f32 v117, v45, v33
	v_dual_add_f32 v118, v44, v32 :: v_dual_add_f32 v119, v49, v33
	v_add_f32_e32 v120, v48, v32
	scratch_store_b32 off, v20, off offset:64 ; 4-byte Folded Spill
	v_add_f32_e32 v20, v46, v26
	scratch_store_b32 off, v20, off offset:72 ; 4-byte Folded Spill
	;; [unrolled: 2-line block ×3, first 2 shown]
	ds_load_b128 v[26:29], v72 offset:1024
	ds_load_b128 v[30:33], v72 offset:1536
	s_clause 0x1
	scratch_store_b32 off, v18, off offset:20
	scratch_store_b32 off, v19, off offset:24
	s_waitcnt lgkmcnt(1)
	v_dual_add_f32 v121, v1, v27 :: v_dual_add_f32 v122, v0, v26
	v_add_f32_e32 v165, v45, v29
	v_dual_add_f32 v123, v13, v27 :: v_dual_add_f32 v124, v12, v26
	v_add_f32_e32 v167, v49, v29
	v_dual_add_f32 v125, v9, v27 :: v_dual_add_f32 v126, v8, v26
	s_waitcnt lgkmcnt(0)
	v_add_f32_e32 v171, v13, v31
	v_dual_add_f32 v127, v5, v27 :: v_dual_add_f32 v128, v4, v26
	v_add_f32_e32 v173, v9, v31
	v_dual_add_f32 v82, v35, v27 :: v_dual_add_f32 v193, v37, v33
	v_dual_add_f32 v148, v34, v26 :: v_dual_add_f32 v175, v5, v31
	;; [unrolled: 1-line block ×3, first 2 shown]
	v_add_f32_e32 v177, v35, v31
	v_dual_add_f32 v84, v43, v27 :: v_dual_add_f32 v195, v41, v33
	v_dual_add_f32 v152, v42, v26 :: v_dual_add_f32 v179, v39, v31
	;; [unrolled: 1-line block ×3, first 2 shown]
	v_add_f32_e32 v181, v43, v31
	v_dual_add_f32 v129, v3, v29 :: v_dual_add_f32 v130, v2, v28
	v_add_f32_e32 v183, v47, v31
	v_dual_add_f32 v155, v15, v29 :: v_dual_add_f32 v156, v14, v28
	;; [unrolled: 2-line block ×6, first 2 shown]
	v_dual_add_f32 v197, v45, v33 :: v_dual_add_f32 v166, v44, v28
	v_dual_add_f32 v199, v49, v33 :: v_dual_add_f32 v168, v48, v28
	v_dual_add_f32 v169, v1, v31 :: v_dual_add_f32 v170, v0, v30
	v_add_f32_e32 v172, v12, v30
	v_add_f32_e32 v174, v8, v30
	;; [unrolled: 1-line block ×15, first 2 shown]
	ds_load_b128 v[26:29], v72 offset:2048
	ds_load_b128 v[30:33], v72 offset:2560
	s_waitcnt lgkmcnt(1)
	v_add_f32_e32 v201, v1, v27
	s_waitcnt lgkmcnt(0)
	v_dual_add_f32 v233, v1, v31 :: v_dual_add_f32 v202, v0, v26
	v_add_f32_e32 v235, v13, v31
	v_dual_add_f32 v203, v13, v27 :: v_dual_add_f32 v204, v12, v26
	v_add_f32_e32 v237, v9, v31
	;; [unrolled: 2-line block ×11, first 2 shown]
	v_dual_add_f32 v223, v7, v29 :: v_dual_add_f32 v224, v6, v28
	v_dual_add_f32 v225, v37, v29 :: v_dual_add_f32 v226, v36, v28
	;; [unrolled: 1-line block ×6, first 2 shown]
	v_add_f32_e32 v236, v12, v30
	v_add_f32_e32 v238, v8, v30
	;; [unrolled: 1-line block ×3, first 2 shown]
	v_dual_add_f32 v242, v34, v30 :: v_dual_add_f32 v19, v36, v32
	v_dual_add_f32 v244, v38, v30 :: v_dual_add_f32 v51, v48, v32
	v_add_f32_e32 v246, v42, v30
	v_add_f32_e32 v248, v46, v30
	;; [unrolled: 1-line block ×11, first 2 shown]
	ds_load_b128 v[26:29], v72 offset:3072
	ds_load_b128 v[30:33], v72 offset:3584
	s_waitcnt lgkmcnt(1)
	v_add_f32_e32 v23, v40, v28
	v_add_f32_e32 v55, v0, v26
	;; [unrolled: 1-line block ×9, first 2 shown]
	s_waitcnt lgkmcnt(0)
	v_add_f32_e32 v0, v0, v30
	v_add_f32_e32 v12, v12, v30
	;; [unrolled: 1-line block ×8, first 2 shown]
	scratch_load_b32 v46, off, off offset:28 ; 4-byte Folded Reload
	v_add_f32_e32 v53, v1, v27
	v_add_f32_e32 v57, v13, v27
	v_dual_add_f32 v60, v9, v27 :: v_dual_add_f32 v149, v44, v28
	v_add_f32_e32 v25, v5, v27
	v_add_f32_e32 v62, v35, v27
	;; [unrolled: 1-line block ×6, first 2 shown]
	v_dual_add_f32 v67, v14, v28 :: v_dual_add_f32 v76, v11, v29
	v_dual_add_f32 v9, v9, v31 :: v_dual_add_f32 v80, v7, v29
	v_add_f32_e32 v5, v5, v31
	v_dual_add_f32 v22, v41, v29 :: v_dual_add_f32 v35, v35, v31
	v_dual_add_f32 v1, v1, v31 :: v_dual_add_f32 v2, v2, v32
	v_add_f32_e32 v43, v43, v31
	v_dual_add_f32 v13, v13, v31 :: v_dual_add_f32 v14, v14, v32
	v_add_f32_e32 v39, v39, v31
	v_add_f32_e32 v31, v47, v31
	;; [unrolled: 1-line block ×4, first 2 shown]
	v_min3_f32 v0, v0, v1, 0x7f7fffff
	v_add_f32_e32 v79, v15, v29
	v_add_f32_e32 v147, v45, v29
	;; [unrolled: 1-line block ×3, first 2 shown]
	v_dual_add_f32 v45, v45, v33 :: v_dual_add_f32 v78, v10, v28
	v_add_f32_e32 v11, v11, v33
	v_add_f32_e32 v105, v6, v28
	;; [unrolled: 1-line block ×4, first 2 shown]
	v_dual_add_f32 v28, v48, v28 :: v_dual_add_f32 v7, v7, v33
	v_dual_add_f32 v10, v10, v32 :: v_dual_add_f32 v37, v37, v33
	v_add_f32_e32 v41, v41, v33
	v_dual_add_f32 v33, v49, v33 :: v_dual_add_f32 v6, v6, v32
	v_add_f32_e32 v36, v36, v32
	v_add_f32_e32 v40, v40, v32
	;; [unrolled: 1-line block ×3, first 2 shown]
	v_dual_add_f32 v32, v48, v32 :: v_dual_add_f32 v29, v49, v29
	s_waitcnt vmcnt(0)
	v_min3_f32 v46, v145, v46, 0x7f7fffff
	s_delay_alu instid0(VALU_DEP_1) | instskip(SKIP_3) | instid1(VALU_DEP_1)
	v_min3_f32 v146, v81, v146, v46
	scratch_load_b32 v46, off, off offset:32 ; 4-byte Folded Reload
	s_waitcnt vmcnt(0)
	v_min3_f32 v46, v144, v46, 0x7f7fffff
	v_min3_f32 v145, v132, v138, v46
	scratch_load_b32 v46, off, off offset:36 ; 4-byte Folded Reload
	s_waitcnt vmcnt(0)
	v_min3_f32 v46, v143, v46, 0x7f7fffff
	s_delay_alu instid0(VALU_DEP_1)
	v_min3_f32 v144, v134, v139, v46
	s_clause 0x1
	scratch_load_b32 v46, off, off offset:40
	scratch_load_b32 v47, off, off offset:44
	s_waitcnt vmcnt(0)
	v_min3_f32 v46, v47, v46, 0x7f7fffff
	s_delay_alu instid0(VALU_DEP_1) | instskip(SKIP_3) | instid1(VALU_DEP_1)
	v_min3_f32 v143, v87, v140, v46
	scratch_load_b32 v46, off, off offset:48 ; 4-byte Folded Reload
	s_waitcnt vmcnt(0)
	v_min3_f32 v46, v142, v46, 0x7f7fffff
	v_min3_f32 v142, v131, v141, v46
	s_clause 0x1
	scratch_load_b32 v46, off, off offset:52
	scratch_load_b32 v47, off, off offset:56
	s_waitcnt vmcnt(0)
	v_min3_f32 v46, v47, v46, 0x7f7fffff
	scratch_load_b32 v47, off, off offset:76 ; 4-byte Folded Reload
	s_waitcnt vmcnt(0)
	v_min3_f32 v141, v133, v47, v46
	s_clause 0x1
	scratch_load_b32 v46, off, off offset:60
	scratch_load_b32 v47, off, off offset:68
	s_waitcnt vmcnt(0)
	v_min3_f32 v46, v47, v46, 0x7f7fffff
	s_delay_alu instid0(VALU_DEP_1)
	v_min3_f32 v81, v135, v136, v46
	s_clause 0x1
	scratch_load_b32 v46, off, off offset:64
	scratch_load_b32 v47, off, off offset:72
	s_waitcnt vmcnt(0)
	v_min3_f32 v46, v47, v46, 0x7f7fffff
	s_delay_alu instid0(VALU_DEP_1)
	v_min3_f32 v140, v88, v137, v46
	v_min3_f32 v46, v90, v89, 0x7f7fffff
	;; [unrolled: 1-line block ×4, first 2 shown]
	scratch_load_b32 v3, off, off offset:16 ; 4-byte Folded Reload
	v_min3_f32 v139, v106, v86, v46
	v_min3_f32 v46, v92, v91, 0x7f7fffff
	;; [unrolled: 1-line block ×4, first 2 shown]
	s_delay_alu instid0(VALU_DEP_3) | instskip(SKIP_1) | instid1(VALU_DEP_3)
	v_min3_f32 v138, v108, v107, v46
	v_min3_f32 v46, v94, v93, 0x7f7fffff
	;; [unrolled: 1-line block ×4, first 2 shown]
	s_delay_alu instid0(VALU_DEP_3) | instskip(SKIP_1) | instid1(VALU_DEP_3)
	v_min3_f32 v137, v110, v109, v46
	v_min3_f32 v46, v96, v95, 0x7f7fffff
	;; [unrolled: 1-line block ×4, first 2 shown]
	s_delay_alu instid0(VALU_DEP_3) | instskip(SKIP_1) | instid1(VALU_DEP_1)
	v_min3_f32 v136, v112, v111, v46
	v_min3_f32 v46, v98, v97, 0x7f7fffff
	;; [unrolled: 1-line block ×6, first 2 shown]
	s_delay_alu instid0(VALU_DEP_3) | instskip(SKIP_1) | instid1(VALU_DEP_1)
	v_min3_f32 v134, v116, v115, v46
	v_min3_f32 v46, v102, v101, 0x7f7fffff
	v_min3_f32 v133, v118, v117, v46
	v_min3_f32 v46, v104, v103, 0x7f7fffff
	s_delay_alu instid0(VALU_DEP_1) | instskip(SKIP_1) | instid1(VALU_DEP_1)
	v_min3_f32 v132, v120, v119, v46
	v_min3_f32 v46, v122, v121, 0x7f7fffff
	v_min3_f32 v131, v130, v129, v46
	v_min3_f32 v46, v124, v123, 0x7f7fffff
	s_delay_alu instid0(VALU_DEP_1) | instskip(SKIP_1) | instid1(VALU_DEP_1)
	;; [unrolled: 5-line block ×3, first 2 shown]
	v_min3_f32 v128, v160, v159, v46
	v_min3_f32 v46, v148, v82, 0x7f7fffff
	;; [unrolled: 1-line block ×4, first 2 shown]
	s_delay_alu instid0(VALU_DEP_1) | instskip(SKIP_3) | instid1(VALU_DEP_3)
	v_min3_f32 v126, v164, v163, v46
	v_min3_f32 v46, v152, v84, 0x7f7fffff
	;; [unrolled: 1-line block ×6, first 2 shown]
	s_delay_alu instid0(VALU_DEP_3) | instskip(SKIP_1) | instid1(VALU_DEP_3)
	v_min3_f32 v83, v44, v45, v0
	v_min3_f32 v0, v30, v31, 0x7f7fffff
	;; [unrolled: 1-line block ×4, first 2 shown]
	s_delay_alu instid0(VALU_DEP_3)
	v_min3_f32 v82, v32, v33, v0
	s_clause 0x1
	scratch_load_b32 v0, off, off offset:8
	scratch_load_b32 v1, off, off offset:12
	s_waitcnt vmcnt(0)
	ds_store_2addr_stride64_b32 v74, v0, v1 offset0:16 offset1:20
	ds_store_2addr_stride64_b32 v74, v151, v24 offset0:24 offset1:28
	scratch_load_b32 v0, off, off offset:4  ; 4-byte Folded Reload
	v_min3_f32 v123, v186, v185, v46
	v_min3_f32 v46, v172, v171, 0x7f7fffff
	s_delay_alu instid0(VALU_DEP_1) | instskip(SKIP_1) | instid1(VALU_DEP_1)
	v_min3_f32 v122, v188, v187, v46
	v_min3_f32 v46, v174, v173, 0x7f7fffff
	v_min3_f32 v121, v190, v189, v46
	v_min3_f32 v46, v176, v175, 0x7f7fffff
	s_delay_alu instid0(VALU_DEP_1) | instskip(SKIP_1) | instid1(VALU_DEP_1)
	v_min3_f32 v120, v192, v191, v46
	v_min3_f32 v46, v178, v177, 0x7f7fffff
	;; [unrolled: 5-line block ×15, first 2 shown]
	v_min3_f32 v91, v149, v147, v18
	v_min3_f32 v18, v26, v27, 0x7f7fffff
	s_delay_alu instid0(VALU_DEP_1)
	v_min3_f32 v90, v28, v29, v18
	s_waitcnt vmcnt(0)
	ds_store_b32 v3, v0 offset:9216
	s_waitcnt lgkmcnt(0)
	s_waitcnt_vscnt null, 0x0
	s_barrier
	buffer_gl0_inv
	s_cbranch_scc1 .LBB26_52
; %bb.30:
	s_clause 0x2
	scratch_load_b32 v2, off, off
	scratch_load_b32 v197, off, off offset:20
	scratch_load_b32 v198, off, off offset:24
	v_lshlrev_b64 v[64:65], 2, v[16:17]
	v_add_nc_u32_e32 v75, 0x2000, v3
	v_add_nc_u32_e32 v76, 0x2000, v73
	;; [unrolled: 1-line block ×3, first 2 shown]
	v_or_b32_e32 v78, 0x1000, v74
	s_waitcnt vmcnt(2)
	v_mad_i64_i32 v[0:1], null, v2, s27, 0
	v_lshlrev_b32_e32 v2, 2, v70
	s_waitcnt vmcnt(1)
	v_lshl_add_u32 v79, v197, 4, 0x2400
	s_waitcnt vmcnt(0)
	v_lshl_add_u32 v80, v198, 4, 0x1000
	s_delay_alu instid0(VALU_DEP_4) | instskip(NEXT) | instid1(VALU_DEP_1)
	v_lshlrev_b64 v[0:1], 2, v[0:1]
	v_add_co_u32 v0, s6, v0, v2
	s_delay_alu instid0(VALU_DEP_1) | instskip(NEXT) | instid1(VALU_DEP_2)
	v_add_co_ci_u32_e64 v1, s6, 0, v1, s6
	v_add_co_u32 v0, s6, v0, s20
	s_delay_alu instid0(VALU_DEP_1) | instskip(SKIP_1) | instid1(VALU_DEP_2)
	v_add_co_ci_u32_e64 v1, s6, s21, v1, s6
	s_add_i32 s20, s18, -8
	v_add_co_u32 v66, s6, v0, 48
	s_delay_alu instid0(VALU_DEP_1)
	v_add_co_ci_u32_e64 v67, s6, 0, v1, s6
	s_mov_b32 s21, 0
	s_branch .LBB26_32
.LBB26_31:                              ;   in Loop: Header=BB26_32 Depth=1
	s_or_b32 exec_lo, exec_lo, s7
	ds_load_b128 v[93:96], v72
	ds_load_b128 v[149:152], v76
	ds_load_b128 v[153:156], v76 offset:128
	ds_load_b128 v[157:160], v76 offset:256
	;; [unrolled: 1-line block ×14, first 2 shown]
	v_add_co_u32 v66, s6, v66, 32
	s_delay_alu instid0(VALU_DEP_1)
	v_add_co_ci_u32_e64 v67, s6, 0, v67, s6
	s_add_i32 s21, s21, 8
	ds_store_b32 v77, v105
	ds_store_2addr_stride64_b32 v78, v113, v147 offset1:4
	ds_store_2addr_stride64_b32 v78, v148, v0 offset0:8 offset1:12
	s_waitcnt lgkmcnt(17)
	v_dual_add_f32 v11, v150, v94 :: v_dual_add_f32 v14, v149, v93
	s_waitcnt lgkmcnt(16)
	v_dual_add_f32 v15, v154, v94 :: v_dual_add_f32 v18, v153, v93
	;; [unrolled: 2-line block ×3, first 2 shown]
	s_waitcnt lgkmcnt(14)
	v_add_f32_e32 v23, v162, v94
	v_min3_f32 v11, v14, v11, v25
	v_min3_f32 v14, v18, v15, v28
	v_add_f32_e32 v18, v161, v93
	v_min3_f32 v15, v22, v19, v29
	s_waitcnt lgkmcnt(13)
	v_dual_add_f32 v19, v166, v94 :: v_dual_add_f32 v22, v165, v93
	s_waitcnt lgkmcnt(12)
	v_dual_add_f32 v25, v170, v94 :: v_dual_add_f32 v28, v169, v93
	;; [unrolled: 2-line block ×4, first 2 shown]
	v_min3_f32 v1, v18, v23, v1
	v_min3_f32 v18, v22, v19, v32
	;; [unrolled: 1-line block ×5, first 2 shown]
	s_waitcnt lgkmcnt(9)
	v_dual_add_f32 v25, v150, v98 :: v_dual_add_f32 v28, v149, v97
	v_dual_add_f32 v29, v154, v98 :: v_dual_add_f32 v32, v153, v97
	v_dual_add_f32 v33, v158, v98 :: v_dual_add_f32 v34, v157, v97
	v_dual_add_f32 v35, v162, v98 :: v_dual_add_f32 v36, v161, v97
	v_dual_add_f32 v37, v166, v98 :: v_dual_add_f32 v38, v165, v97
	v_min3_f32 v4, v28, v25, v4
	v_min3_f32 v25, v32, v29, v40
	;; [unrolled: 1-line block ×5, first 2 shown]
	v_dual_add_f32 v33, v170, v98 :: v_dual_add_f32 v34, v169, v97
	v_dual_add_f32 v35, v174, v98 :: v_dual_add_f32 v36, v173, v97
	;; [unrolled: 1-line block ×3, first 2 shown]
	s_waitcnt lgkmcnt(8)
	v_dual_add_f32 v39, v150, v102 :: v_dual_add_f32 v40, v149, v101
	v_dual_add_f32 v41, v154, v102 :: v_dual_add_f32 v44, v153, v101
	v_min3_f32 v5, v34, v33, v5
	v_min3_f32 v33, v36, v35, v48
	;; [unrolled: 1-line block ×5, first 2 shown]
	v_dual_add_f32 v37, v158, v102 :: v_dual_add_f32 v38, v157, v101
	v_dual_add_f32 v39, v162, v102 :: v_dual_add_f32 v40, v161, v101
	;; [unrolled: 1-line block ×5, first 2 shown]
	v_min3_f32 v8, v38, v37, v8
	v_min3_f32 v37, v40, v39, v54
	;; [unrolled: 1-line block ×5, first 2 shown]
	v_dual_add_f32 v41, v178, v102 :: v_dual_add_f32 v44, v177, v101
	s_waitcnt lgkmcnt(7)
	v_dual_add_f32 v45, v150, v107 :: v_dual_add_f32 v48, v149, v106
	v_dual_add_f32 v49, v154, v107 :: v_dual_add_f32 v52, v153, v106
	;; [unrolled: 1-line block ×4, first 2 shown]
	v_min3_f32 v9, v44, v41, v9
	v_min3_f32 v41, v48, v45, v58
	;; [unrolled: 1-line block ×5, first 2 shown]
	v_dual_add_f32 v49, v166, v107 :: v_dual_add_f32 v52, v165, v106
	v_dual_add_f32 v53, v170, v107 :: v_dual_add_f32 v54, v169, v106
	;; [unrolled: 1-line block ×4, first 2 shown]
	s_waitcnt lgkmcnt(6)
	v_dual_add_f32 v59, v150, v182 :: v_dual_add_f32 v60, v149, v181
	v_min3_f32 v12, v52, v49, v12
	v_min3_f32 v49, v54, v53, v50
	;; [unrolled: 1-line block ×5, first 2 shown]
	v_dual_add_f32 v53, v154, v182 :: v_dual_add_f32 v54, v153, v181
	v_dual_add_f32 v55, v158, v182 :: v_dual_add_f32 v56, v157, v181
	;; [unrolled: 1-line block ×5, first 2 shown]
	v_min3_f32 v13, v54, v53, v13
	v_min3_f32 v53, v56, v55, v81
	;; [unrolled: 1-line block ×5, first 2 shown]
	v_dual_add_f32 v57, v174, v182 :: v_dual_add_f32 v58, v173, v181
	v_dual_add_f32 v59, v178, v182 :: v_dual_add_f32 v60, v177, v181
	s_waitcnt lgkmcnt(5)
	v_dual_add_f32 v61, v150, v186 :: v_dual_add_f32 v62, v149, v185
	v_dual_add_f32 v63, v154, v186 :: v_dual_add_f32 v68, v153, v185
	v_add_f32_e32 v69, v158, v186
	v_dual_add_f32 v81, v157, v185 :: v_dual_add_f32 v82, v178, v186
	v_min3_f32 v16, v58, v57, v16
	v_min3_f32 v46, v60, v59, v46
	;; [unrolled: 1-line block ×4, first 2 shown]
	v_dual_add_f32 v59, v162, v186 :: v_dual_add_f32 v62, v165, v185
	v_add_f32_e32 v60, v161, v185
	v_min3_f32 v58, v81, v69, v86
	v_dual_add_f32 v61, v166, v186 :: v_dual_add_f32 v68, v169, v185
	v_add_f32_e32 v63, v170, v186
	v_add_f32_e32 v69, v174, v186
	;; [unrolled: 1-line block ×3, first 2 shown]
	s_waitcnt lgkmcnt(4)
	v_dual_add_f32 v83, v177, v185 :: v_dual_add_f32 v84, v166, v190
	v_min3_f32 v17, v60, v59, v17
	v_min3_f32 v42, v62, v61, v42
	v_add_f32_e32 v61, v150, v190
	s_delay_alu instid0(VALU_DEP_4)
	v_min3_f32 v60, v83, v82, v88
	v_add_f32_e32 v62, v149, v189
	v_min3_f32 v43, v68, v63, v43
	v_dual_add_f32 v63, v154, v190 :: v_dual_add_f32 v68, v153, v189
	v_add_f32_e32 v82, v162, v190
	v_min3_f32 v59, v81, v69, v87
	s_waitcnt lgkmcnt(3)
	v_dual_add_f32 v85, v165, v189 :: v_dual_add_f32 v86, v150, v194
	v_add_f32_e32 v87, v149, v193
	v_add_f32_e32 v69, v158, v190
	;; [unrolled: 1-line block ×4, first 2 shown]
	v_min3_f32 v20, v62, v61, v20
	v_min3_f32 v61, v68, v63, v89
	;; [unrolled: 1-line block ×3, first 2 shown]
	v_dual_add_f32 v84, v178, v190 :: v_dual_add_f32 v85, v177, v189
	v_min3_f32 v30, v87, v86, v30
	v_dual_add_f32 v86, v170, v194 :: v_dual_add_f32 v87, v169, v193
	v_min3_f32 v63, v83, v82, v91
	v_dual_add_f32 v82, v174, v190 :: v_dual_add_f32 v83, v173, v189
	v_dual_add_f32 v88, v154, v194 :: v_dual_add_f32 v89, v153, v193
	v_min3_f32 v27, v85, v84, v27
	v_dual_add_f32 v84, v166, v194 :: v_dual_add_f32 v85, v165, v193
	v_min3_f32 v7, v87, v86, v7
	v_add_f32_e32 v86, v160, v96
	v_min3_f32 v62, v81, v69, v90
	v_add_f32_e32 v81, v169, v189
	v_min3_f32 v26, v83, v82, v26
	v_min3_f32 v31, v89, v88, v31
	v_dual_add_f32 v82, v162, v194 :: v_dual_add_f32 v83, v161, v193
	v_dual_add_f32 v88, v174, v194 :: v_dual_add_f32 v89, v173, v193
	v_min3_f32 v6, v85, v84, v6
	v_dual_add_f32 v84, v156, v96 :: v_dual_add_f32 v85, v155, v95
	v_add_f32_e32 v69, v170, v190
	s_delay_alu instid0(VALU_DEP_4)
	v_min3_f32 v10, v89, v88, v10
	v_dual_add_f32 v88, v164, v96 :: v_dual_add_f32 v87, v159, v95
	v_add_f32_e32 v89, v163, v95
	v_min3_f32 v145, v85, v84, v14
	v_add_f32_e32 v84, v152, v100
	v_min3_f32 v3, v83, v82, v3
	v_dual_add_f32 v82, v152, v96 :: v_dual_add_f32 v83, v151, v95
	v_min3_f32 v21, v81, v69, v21
	v_dual_add_f32 v69, v158, v194 :: v_dual_add_f32 v14, v172, v96
	v_min3_f32 v144, v87, v86, v15
	s_delay_alu instid0(VALU_DEP_4)
	v_min3_f32 v146, v83, v82, v11
	v_min3_f32 v143, v89, v88, v1
	v_add_f32_e32 v1, v168, v96
	v_add_f32_e32 v11, v167, v95
	;; [unrolled: 1-line block ×4, first 2 shown]
	v_dual_add_f32 v81, v157, v193 :: v_dual_add_f32 v82, v180, v96
	s_delay_alu instid0(VALU_DEP_4) | instskip(NEXT) | instid1(VALU_DEP_4)
	v_min3_f32 v142, v11, v1, v18
	v_min3_f32 v141, v15, v14, v19
	v_dual_add_f32 v11, v160, v100 :: v_dual_add_f32 v14, v159, v99
	v_dual_add_f32 v15, v164, v100 :: v_dual_add_f32 v18, v163, v99
	v_min3_f32 v139, v85, v84, v4
	v_dual_add_f32 v1, v156, v100 :: v_dual_add_f32 v4, v155, v99
	s_delay_alu instid0(VALU_DEP_4) | instskip(NEXT) | instid1(VALU_DEP_4)
	v_min3_f32 v137, v14, v11, v28
	v_min3_f32 v136, v18, v15, v29
	v_dual_add_f32 v14, v152, v104 :: v_dual_add_f32 v15, v151, v103
	v_min3_f32 v24, v81, v69, v24
	v_add_f32_e32 v81, v177, v193
	v_add_f32_e32 v69, v178, v194
	;; [unrolled: 1-line block ×3, first 2 shown]
	v_min3_f32 v131, v15, v14, v35
	v_add_f32_e32 v14, v171, v103
	v_min3_f32 v138, v4, v1, v25
	v_dual_add_f32 v1, v176, v100 :: v_dual_add_f32 v4, v175, v99
	v_min3_f32 v2, v81, v69, v2
	v_add_f32_e32 v69, v176, v96
	v_add_f32_e32 v81, v175, v95
	v_min3_f32 v140, v83, v82, v23
	v_min3_f32 v133, v4, v1, v33
	v_dual_add_f32 v1, v164, v104 :: v_dual_add_f32 v4, v163, v103
	s_delay_alu instid0(VALU_DEP_4) | instskip(SKIP_2) | instid1(VALU_DEP_4)
	v_min3_f32 v81, v81, v69, v22
	v_dual_add_f32 v19, v168, v100 :: v_dual_add_f32 v22, v167, v99
	v_add_f32_e32 v23, v172, v100
	v_min3_f32 v128, v4, v1, v37
	v_dual_add_f32 v1, v152, v109 :: v_dual_add_f32 v4, v151, v108
	v_add_f32_e32 v69, v171, v99
	v_min3_f32 v135, v22, v19, v32
	v_dual_add_f32 v11, v179, v99 :: v_dual_add_f32 v22, v160, v104
	s_delay_alu instid0(VALU_DEP_4) | instskip(SKIP_4) | instid1(VALU_DEP_4)
	v_min3_f32 v123, v4, v1, v41
	v_dual_add_f32 v1, v172, v109 :: v_dual_add_f32 v4, v171, v108
	v_min3_f32 v134, v69, v23, v5
	v_add_f32_e32 v5, v180, v100
	v_dual_add_f32 v23, v159, v103 :: v_dual_add_f32 v18, v156, v104
	v_min3_f32 v118, v4, v1, v49
	v_dual_add_f32 v1, v160, v184 :: v_dual_add_f32 v4, v159, v183
	v_add_f32_e32 v19, v155, v103
	v_min3_f32 v132, v11, v5, v34
	v_min3_f32 v129, v23, v22, v8
	v_dual_add_f32 v5, v168, v104 :: v_dual_add_f32 v8, v167, v103
	v_min3_f32 v112, v4, v1, v53
	v_dual_add_f32 v1, v180, v184 :: v_dual_add_f32 v4, v179, v183
	v_min3_f32 v130, v19, v18, v36
	v_add_f32_e32 v11, v172, v104
	v_dual_add_f32 v19, v180, v104 :: v_dual_add_f32 v22, v179, v103
	v_min3_f32 v127, v8, v5, v38
	v_dual_add_f32 v5, v156, v109 :: v_dual_add_f32 v8, v155, v108
	v_min3_f32 v107, v4, v1, v46
	v_dual_add_f32 v1, v168, v188 :: v_dual_add_f32 v4, v167, v187
	v_add_f32_e32 v15, v176, v104
	s_delay_alu instid0(VALU_DEP_4) | instskip(SKIP_1) | instid1(VALU_DEP_4)
	v_min3_f32 v122, v8, v5, v44
	v_dual_add_f32 v5, v176, v109 :: v_dual_add_f32 v8, v175, v108
	v_min3_f32 v101, v4, v1, v42
	v_add_f32_e32 v4, v155, v191
	v_min3_f32 v124, v22, v19, v9
	v_add_f32_e32 v9, v160, v109
	v_min3_f32 v117, v8, v5, v50
	v_dual_add_f32 v5, v164, v184 :: v_dual_add_f32 v8, v163, v183
	v_add_f32_e32 v18, v175, v103
	v_min3_f32 v126, v14, v11, v39
	v_dual_add_f32 v14, v164, v109 :: v_dual_add_f32 v19, v167, v108
	s_delay_alu instid0(VALU_DEP_4)
	v_min3_f32 v111, v8, v5, v54
	v_dual_add_f32 v5, v152, v188 :: v_dual_add_f32 v8, v151, v187
	v_add_f32_e32 v11, v159, v108
	v_add_f32_e32 v1, v156, v192
	s_cmp_ge_i32 s21, s20
	s_waitcnt lgkmcnt(0)
	v_min3_f32 v106, v8, v5, v47
	v_dual_add_f32 v5, v172, v188 :: v_dual_add_f32 v8, v171, v187
	v_min3_f32 v125, v18, v15, v40
	v_dual_add_f32 v15, v163, v108 :: v_dual_add_f32 v18, v168, v109
	v_min3_f32 v121, v11, v9, v45
	s_delay_alu instid0(VALU_DEP_4) | instskip(SKIP_1) | instid1(VALU_DEP_4)
	v_min3_f32 v100, v8, v5, v43
	v_add_f32_e32 v5, v160, v192
	v_min3_f32 v120, v15, v14, v48
	v_min3_f32 v119, v19, v18, v12
	v_add_f32_e32 v12, v152, v184
	v_dual_add_f32 v14, v151, v183 :: v_dual_add_f32 v15, v156, v184
	v_add_f32_e32 v18, v155, v183
	v_add_f32_e32 v8, v159, v191
	;; [unrolled: 1-line block ×3, first 2 shown]
	s_delay_alu instid0(VALU_DEP_4)
	v_min3_f32 v115, v14, v12, v52
	v_add_f32_e32 v14, v176, v184
	v_add_f32_e32 v12, v172, v184
	v_min3_f32 v95, v8, v5, v62
	v_add_f32_e32 v8, v179, v191
	v_min3_f32 v114, v18, v15, v13
	v_add_f32_e32 v15, v175, v183
	v_add_f32_e32 v13, v171, v183
	;; [unrolled: 1-line block ×3, first 2 shown]
	v_min3_f32 v96, v4, v1, v61
	v_add_f32_e32 v4, v175, v191
	v_min3_f32 v108, v15, v14, v16
	v_dual_add_f32 v14, v164, v188 :: v_dual_add_f32 v15, v163, v187
	v_min3_f32 v116, v11, v9, v51
	v_add_f32_e32 v9, v168, v184
	v_add_f32_e32 v11, v167, v183
	;; [unrolled: 1-line block ×3, first 2 shown]
	v_min3_f32 v102, v15, v14, v17
	v_dual_add_f32 v14, v152, v192 :: v_dual_add_f32 v15, v151, v191
	v_add_f32_e32 v5, v180, v192
	s_delay_alu instid0(VALU_DEP_4) | instskip(SKIP_1) | instid1(VALU_DEP_4)
	v_min3_f32 v91, v4, v1, v26
	v_dual_add_f32 v1, v164, v196 :: v_dual_add_f32 v4, v163, v195
	v_min3_f32 v97, v15, v14, v20
	v_dual_add_f32 v14, v172, v192 :: v_dual_add_f32 v15, v171, v191
	;; [unrolled: 2-line block ×3, first 2 shown]
	v_min3_f32 v86, v4, v1, v3
	s_delay_alu instid0(VALU_DEP_4)
	v_min3_f32 v92, v15, v14, v21
	v_add_f32_e32 v14, v160, v196
	v_min3_f32 v109, v13, v12, v56
	v_dual_add_f32 v12, v160, v188 :: v_dual_add_f32 v13, v159, v187
	v_add_f32_e32 v15, v159, v195
	v_min3_f32 v85, v8, v5, v6
	s_barrier
	buffer_gl0_inv
	v_min3_f32 v103, v13, v12, v58
	v_dual_add_f32 v12, v180, v188 :: v_dual_add_f32 v13, v179, v187
	v_min3_f32 v87, v15, v14, v24
	v_dual_add_f32 v14, v180, v196 :: v_dual_add_f32 v15, v179, v195
	s_delay_alu instid0(VALU_DEP_3) | instskip(SKIP_1) | instid1(VALU_DEP_3)
	v_min3_f32 v98, v13, v12, v60
	v_dual_add_f32 v12, v168, v192 :: v_dual_add_f32 v13, v167, v191
	v_min3_f32 v82, v15, v14, v2
	s_delay_alu instid0(VALU_DEP_2)
	v_min3_f32 v93, v13, v12, v68
	v_add_f32_e32 v12, v156, v196
	v_min3_f32 v110, v11, v9, v55
	v_add_f32_e32 v9, v156, v188
	v_add_f32_e32 v11, v155, v187
	;; [unrolled: 1-line block ×3, first 2 shown]
	s_delay_alu instid0(VALU_DEP_2) | instskip(SKIP_2) | instid1(VALU_DEP_4)
	v_min3_f32 v104, v11, v9, v57
	v_add_f32_e32 v9, v176, v188
	v_add_f32_e32 v11, v175, v187
	v_min3_f32 v88, v13, v12, v31
	v_dual_add_f32 v12, v176, v196 :: v_dual_add_f32 v13, v175, v195
	s_delay_alu instid0(VALU_DEP_3) | instskip(SKIP_2) | instid1(VALU_DEP_4)
	v_min3_f32 v99, v11, v9, v59
	v_add_f32_e32 v9, v164, v192
	v_add_f32_e32 v11, v163, v191
	v_min3_f32 v83, v13, v12, v10
	s_delay_alu instid0(VALU_DEP_2) | instskip(SKIP_2) | instid1(VALU_DEP_1)
	v_min3_f32 v94, v11, v9, v63
	v_add_f32_e32 v9, v152, v196
	v_add_f32_e32 v11, v151, v195
	v_min3_f32 v89, v11, v9, v30
	v_add_f32_e32 v9, v172, v196
	v_add_f32_e32 v11, v171, v195
	s_delay_alu instid0(VALU_DEP_1)
	v_min3_f32 v84, v11, v9, v7
	s_cbranch_scc1 .LBB26_53
.LBB26_32:                              ; =>This Inner Loop Header: Depth=1
	v_add_nc_u32_e32 v105, s21, v70
	s_delay_alu instid0(VALU_DEP_1) | instskip(NEXT) | instid1(VALU_DEP_1)
	v_add_nc_u32_e32 v0, 8, v105
	v_cmp_le_i32_e64 s6, s18, v0
	s_delay_alu instid0(VALU_DEP_1) | instskip(NEXT) | instid1(SALU_CYCLE_1)
	s_or_b32 s6, s6, vcc_lo
	v_cndmask_b32_e64 v147, 0, 0x7f7fffff, s6
	s_or_b32 s6, s24, s6
	s_delay_alu instid0(SALU_CYCLE_1) | instskip(NEXT) | instid1(SALU_CYCLE_1)
	s_xor_b32 s6, s6, -1
	s_and_saveexec_b32 s7, s6
	s_cbranch_execz .LBB26_34
; %bb.33:                               ;   in Loop: Header=BB26_32 Depth=1
	v_add_co_u32 v0, s6, -16, v66
	s_delay_alu instid0(VALU_DEP_1)
	v_add_co_ci_u32_e64 v1, s6, -1, v67, s6
	flat_load_b32 v0, v[0:1]
	s_waitcnt vmcnt(0) lgkmcnt(0)
	v_mul_f32_e32 v147, s19, v0
.LBB26_34:                              ;   in Loop: Header=BB26_32 Depth=1
	s_or_b32 exec_lo, exec_lo, s7
	v_add_nc_u32_e32 v113, s21, v71
	s_delay_alu instid0(VALU_DEP_1) | instskip(NEXT) | instid1(VALU_DEP_1)
	v_add_nc_u32_e32 v2, 8, v113
	v_min_i32_e32 v3, s26, v2
	v_cmp_le_i32_e64 s6, s18, v2
	s_delay_alu instid0(VALU_DEP_2) | instskip(NEXT) | instid1(VALU_DEP_1)
	v_mad_i64_i32 v[0:1], null, v3, s25, 0
	v_lshlrev_b64 v[0:1], 2, v[0:1]
	s_delay_alu instid0(VALU_DEP_1) | instskip(NEXT) | instid1(VALU_DEP_1)
	v_add_co_u32 v0, s7, s8, v0
	v_add_co_ci_u32_e64 v1, s7, s9, v1, s7
	s_or_b32 s7, s2, s6
	s_delay_alu instid0(SALU_CYCLE_1) | instskip(SKIP_1) | instid1(SALU_CYCLE_1)
	v_cndmask_b32_e64 v148, 0, 0x7f7fffff, s7
	s_or_b32 s7, s24, s7
	s_xor_b32 s7, s7, -1
	s_delay_alu instid0(SALU_CYCLE_1)
	s_and_saveexec_b32 s27, s7
	s_cbranch_execz .LBB26_36
; %bb.35:                               ;   in Loop: Header=BB26_32 Depth=1
	v_add_co_u32 v2, s7, v0, v64
	s_delay_alu instid0(VALU_DEP_1)
	v_add_co_ci_u32_e64 v3, s7, v1, v65, s7
	flat_load_b32 v2, v[2:3]
	s_waitcnt vmcnt(0) lgkmcnt(0)
	v_mul_f32_e32 v148, s19, v2
.LBB26_36:                              ;   in Loop: Header=BB26_32 Depth=1
	s_or_b32 exec_lo, exec_lo, s27
	s_or_b32 s7, s3, s6
	s_delay_alu instid0(SALU_CYCLE_1) | instskip(SKIP_1) | instid1(SALU_CYCLE_1)
	v_cndmask_b32_e64 v149, 0, 0x7f7fffff, s7
	s_or_b32 s7, s24, s7
	s_xor_b32 s7, s7, -1
	s_delay_alu instid0(SALU_CYCLE_1)
	s_and_saveexec_b32 s27, s7
	s_cbranch_execz .LBB26_38
; %bb.37:                               ;   in Loop: Header=BB26_32 Depth=1
	v_add_co_u32 v2, s7, v0, v64
	s_delay_alu instid0(VALU_DEP_1)
	v_add_co_ci_u32_e64 v3, s7, v1, v65, s7
	flat_load_b32 v2, v[2:3] offset:256
	s_waitcnt vmcnt(0) lgkmcnt(0)
	v_mul_f32_e32 v149, s19, v2
.LBB26_38:                              ;   in Loop: Header=BB26_32 Depth=1
	s_or_b32 exec_lo, exec_lo, s27
	s_or_b32 s7, s4, s6
	s_delay_alu instid0(SALU_CYCLE_1) | instskip(SKIP_1) | instid1(SALU_CYCLE_1)
	v_cndmask_b32_e64 v150, 0, 0x7f7fffff, s7
	s_or_b32 s7, s24, s7
	s_xor_b32 s7, s7, -1
	s_delay_alu instid0(SALU_CYCLE_1)
	s_and_saveexec_b32 s27, s7
	s_cbranch_execz .LBB26_40
; %bb.39:                               ;   in Loop: Header=BB26_32 Depth=1
	v_add_co_u32 v2, s7, v0, v64
	s_delay_alu instid0(VALU_DEP_1)
	v_add_co_ci_u32_e64 v3, s7, v1, v65, s7
	flat_load_b32 v2, v[2:3] offset:512
	s_waitcnt vmcnt(0) lgkmcnt(0)
	v_mul_f32_e32 v150, s19, v2
.LBB26_40:                              ;   in Loop: Header=BB26_32 Depth=1
	;; [unrolled: 17-line block ×3, first 2 shown]
	s_or_b32 exec_lo, exec_lo, s7
	ds_load_b128 v[32:35], v79
	ds_load_b128 v[28:31], v79 offset:128
	ds_load_b128 v[24:27], v79 offset:256
	;; [unrolled: 1-line block ×7, first 2 shown]
	ds_load_b128 v[60:63], v80
	ds_load_b128 v[56:59], v80 offset:512
	ds_load_b128 v[52:55], v80 offset:1024
	;; [unrolled: 1-line block ×7, first 2 shown]
	v_add_nc_u32_e32 v68, 12, v105
	ds_store_b32 v75, v147
	ds_store_2addr_stride64_b32 v74, v148, v149 offset1:4
	ds_store_2addr_stride64_b32 v74, v150, v151 offset0:8 offset1:12
	s_waitcnt lgkmcnt(0)
	s_barrier
	buffer_gl0_inv
	v_cmp_le_i32_e64 s6, s18, v68
	s_delay_alu instid0(VALU_DEP_1) | instskip(NEXT) | instid1(SALU_CYCLE_1)
	s_or_b32 s6, s6, vcc_lo
	v_cndmask_b32_e64 v105, 0, 0x7f7fffff, s6
	s_or_b32 s6, s24, s6
	s_delay_alu instid0(SALU_CYCLE_1) | instskip(NEXT) | instid1(SALU_CYCLE_1)
	s_xor_b32 s7, s6, -1
	s_and_saveexec_b32 s6, s7
	s_cbranch_execz .LBB26_44
; %bb.43:                               ;   in Loop: Header=BB26_32 Depth=1
	flat_load_b32 v68, v[66:67]
	s_waitcnt vmcnt(0) lgkmcnt(0)
	v_mul_f32_e32 v105, s19, v68
.LBB26_44:                              ;   in Loop: Header=BB26_32 Depth=1
	s_or_b32 exec_lo, exec_lo, s6
	v_add_nc_u32_e32 v68, 12, v113
	s_delay_alu instid0(VALU_DEP_1) | instskip(SKIP_1) | instid1(VALU_DEP_2)
	v_min_i32_e32 v69, s26, v68
	v_cmp_le_i32_e64 s6, s18, v68
	v_mad_i64_i32 v[147:148], null, v69, s25, 0
	s_delay_alu instid0(VALU_DEP_1) | instskip(NEXT) | instid1(VALU_DEP_1)
	v_lshlrev_b64 v[147:148], 2, v[147:148]
	v_add_co_u32 v149, s7, s8, v147
	s_delay_alu instid0(VALU_DEP_1) | instskip(SKIP_1) | instid1(SALU_CYCLE_1)
	v_add_co_ci_u32_e64 v150, s7, s9, v148, s7
	s_or_b32 s7, s2, s6
	v_cndmask_b32_e64 v113, 0, 0x7f7fffff, s7
	s_or_b32 s7, s24, s7
	s_delay_alu instid0(SALU_CYCLE_1) | instskip(NEXT) | instid1(SALU_CYCLE_1)
	s_xor_b32 s7, s7, -1
	s_and_saveexec_b32 s27, s7
	s_cbranch_execz .LBB26_46
; %bb.45:                               ;   in Loop: Header=BB26_32 Depth=1
	v_add_co_u32 v147, s7, v149, v64
	s_delay_alu instid0(VALU_DEP_1)
	v_add_co_ci_u32_e64 v148, s7, v150, v65, s7
	flat_load_b32 v68, v[147:148]
	s_waitcnt vmcnt(0) lgkmcnt(0)
	v_mul_f32_e32 v113, s19, v68
.LBB26_46:                              ;   in Loop: Header=BB26_32 Depth=1
	s_or_b32 exec_lo, exec_lo, s27
	s_or_b32 s7, s3, s6
	s_delay_alu instid0(SALU_CYCLE_1) | instskip(SKIP_1) | instid1(SALU_CYCLE_1)
	v_cndmask_b32_e64 v147, 0, 0x7f7fffff, s7
	s_or_b32 s7, s24, s7
	s_xor_b32 s7, s7, -1
	s_delay_alu instid0(SALU_CYCLE_1)
	s_and_saveexec_b32 s27, s7
	s_cbranch_execz .LBB26_48
; %bb.47:                               ;   in Loop: Header=BB26_32 Depth=1
	v_add_co_u32 v147, s7, v149, v64
	s_delay_alu instid0(VALU_DEP_1)
	v_add_co_ci_u32_e64 v148, s7, v150, v65, s7
	flat_load_b32 v68, v[147:148] offset:256
	s_waitcnt vmcnt(0) lgkmcnt(0)
	v_mul_f32_e32 v147, s19, v68
.LBB26_48:                              ;   in Loop: Header=BB26_32 Depth=1
	s_or_b32 exec_lo, exec_lo, s27
	s_or_b32 s7, s4, s6
	s_delay_alu instid0(SALU_CYCLE_1) | instskip(SKIP_1) | instid1(SALU_CYCLE_1)
	v_cndmask_b32_e64 v148, 0, 0x7f7fffff, s7
	s_or_b32 s7, s24, s7
	s_xor_b32 s7, s7, -1
	s_delay_alu instid0(SALU_CYCLE_1)
	s_and_saveexec_b32 s27, s7
	s_cbranch_execz .LBB26_50
; %bb.49:                               ;   in Loop: Header=BB26_32 Depth=1
	v_add_co_u32 v151, s7, v149, v64
	s_delay_alu instid0(VALU_DEP_1)
	v_add_co_ci_u32_e64 v152, s7, v150, v65, s7
	flat_load_b32 v68, v[151:152] offset:512
	s_waitcnt vmcnt(0) lgkmcnt(0)
	v_mul_f32_e32 v148, s19, v68
.LBB26_50:                              ;   in Loop: Header=BB26_32 Depth=1
	s_or_b32 exec_lo, exec_lo, s27
	v_dual_add_f32 v68, v33, v61 :: v_dual_add_f32 v69, v32, v60
	v_dual_add_f32 v151, v29, v61 :: v_dual_add_f32 v152, v28, v60
	;; [unrolled: 1-line block ×3, first 2 shown]
	s_delay_alu instid0(VALU_DEP_3) | instskip(SKIP_1) | instid1(VALU_DEP_4)
	v_min3_f32 v68, v69, v68, v146
	v_add_f32_e32 v146, v16, v60
	v_min3_f32 v69, v152, v151, v145
	v_add_f32_e32 v145, v17, v61
	v_min3_f32 v144, v154, v153, v144
	v_dual_add_f32 v151, v13, v61 :: v_dual_add_f32 v152, v12, v60
	v_dual_add_f32 v153, v9, v61 :: v_dual_add_f32 v154, v8, v60
	;; [unrolled: 1-line block ×4, first 2 shown]
	v_min3_f32 v143, v146, v145, v143
	v_min3_f32 v142, v152, v151, v142
	v_dual_add_f32 v145, v29, v57 :: v_dual_add_f32 v146, v28, v56
	s_delay_alu instid0(VALU_DEP_4)
	v_min3_f32 v60, v60, v61, v140
	v_dual_add_f32 v61, v33, v57 :: v_dual_add_f32 v140, v32, v56
	v_dual_add_f32 v151, v25, v57 :: v_dual_add_f32 v152, v24, v56
	v_min3_f32 v141, v154, v153, v141
	v_min3_f32 v81, v156, v155, v81
	v_dual_add_f32 v153, v17, v57 :: v_dual_add_f32 v154, v16, v56
	v_dual_add_f32 v155, v13, v57 :: v_dual_add_f32 v156, v12, v56
	v_min3_f32 v61, v140, v61, v139
	v_min3_f32 v138, v146, v145, v138
	v_min3_f32 v137, v152, v151, v137
	v_dual_add_f32 v139, v9, v57 :: v_dual_add_f32 v140, v8, v56
	v_dual_add_f32 v145, v5, v57 :: v_dual_add_f32 v146, v4, v56
	;; [unrolled: 1-line block ×4, first 2 shown]
	v_min3_f32 v136, v154, v153, v136
	v_dual_add_f32 v153, v29, v53 :: v_dual_add_f32 v154, v28, v52
	v_min3_f32 v134, v140, v139, v134
	v_min3_f32 v56, v56, v57, v132
	;; [unrolled: 1-line block ×3, first 2 shown]
	v_dual_add_f32 v131, v25, v53 :: v_dual_add_f32 v132, v24, v52
	v_dual_add_f32 v139, v17, v53 :: v_dual_add_f32 v140, v16, v52
	v_min3_f32 v133, v146, v145, v133
	v_min3_f32 v130, v154, v153, v130
	v_dual_add_f32 v145, v13, v53 :: v_dual_add_f32 v146, v12, v52
	v_dual_add_f32 v151, v9, v53 :: v_dual_add_f32 v152, v8, v52
	v_dual_add_f32 v153, v5, v53 :: v_dual_add_f32 v154, v4, v52
	v_min3_f32 v129, v132, v131, v129
	v_min3_f32 v128, v140, v139, v128
	v_dual_add_f32 v53, v1, v53 :: v_dual_add_f32 v52, v0, v52
	;; [unrolled: 5-line block ×3, first 2 shown]
	v_dual_add_f32 v151, v17, v49 :: v_dual_add_f32 v152, v16, v48
	v_min3_f32 v124, v52, v53, v124
	v_min3_f32 v123, v132, v131, v123
	;; [unrolled: 1-line block ×3, first 2 shown]
	v_dual_add_f32 v52, v13, v49 :: v_dual_add_f32 v53, v12, v48
	v_dual_add_f32 v131, v9, v49 :: v_dual_add_f32 v132, v8, v48
	;; [unrolled: 1-line block ×4, first 2 shown]
	v_min3_f32 v121, v146, v145, v121
	v_dual_add_f32 v145, v33, v45 :: v_dual_add_f32 v146, v32, v44
	v_min3_f32 v119, v53, v52, v119
	v_min3_f32 v118, v132, v131, v118
	;; [unrolled: 1-line block ×3, first 2 shown]
	v_dual_add_f32 v48, v29, v45 :: v_dual_add_f32 v49, v28, v44
	v_dual_add_f32 v52, v25, v45 :: v_dual_add_f32 v53, v24, v44
	;; [unrolled: 1-line block ×3, first 2 shown]
	v_min3_f32 v117, v140, v139, v117
	v_min3_f32 v115, v146, v145, v115
	v_dual_add_f32 v139, v13, v45 :: v_dual_add_f32 v140, v12, v44
	v_dual_add_f32 v145, v9, v45 :: v_dual_add_f32 v146, v8, v44
	v_min3_f32 v114, v49, v48, v114
	v_min3_f32 v112, v53, v52, v112
	;; [unrolled: 1-line block ×3, first 2 shown]
	v_dual_add_f32 v48, v5, v45 :: v_dual_add_f32 v49, v4, v44
	v_dual_add_f32 v45, v1, v45 :: v_dual_add_f32 v44, v0, v44
	;; [unrolled: 1-line block ×4, first 2 shown]
	v_min3_f32 v110, v140, v139, v110
	v_dual_add_f32 v139, v25, v41 :: v_dual_add_f32 v140, v24, v40
	v_min3_f32 v108, v49, v48, v108
	v_min3_f32 v107, v44, v45, v107
	;; [unrolled: 1-line block ×4, first 2 shown]
	v_dual_add_f32 v44, v17, v41 :: v_dual_add_f32 v45, v16, v40
	v_dual_add_f32 v48, v13, v41 :: v_dual_add_f32 v49, v12, v40
	;; [unrolled: 1-line block ×5, first 2 shown]
	v_min3_f32 v102, v45, v44, v102
	v_dual_add_f32 v44, v29, v37 :: v_dual_add_f32 v45, v28, v36
	v_min3_f32 v100, v53, v52, v100
	s_delay_alu instid0(VALU_DEP_4) | instskip(SKIP_4) | instid1(VALU_DEP_4)
	v_min3_f32 v98, v40, v41, v98
	v_dual_add_f32 v40, v33, v37 :: v_dual_add_f32 v41, v32, v36
	v_min3_f32 v99, v132, v131, v99
	v_dual_add_f32 v52, v17, v37 :: v_dual_add_f32 v53, v16, v36
	v_dual_add_f32 v131, v13, v37 :: v_dual_add_f32 v132, v12, v36
	v_min3_f32 v97, v41, v40, v97
	v_min3_f32 v96, v45, v44, v96
	v_dual_add_f32 v40, v9, v37 :: v_dual_add_f32 v41, v8, v36
	v_dual_add_f32 v44, v5, v37 :: v_dual_add_f32 v45, v4, v36
	;; [unrolled: 1-line block ×6, first 2 shown]
	v_min3_f32 v125, v154, v153, v125
	v_min3_f32 v120, v152, v151, v120
	;; [unrolled: 1-line block ×4, first 2 shown]
	v_dual_add_f32 v48, v25, v37 :: v_dual_add_f32 v49, v24, v36
	v_dual_add_f32 v37, v1, v37 :: v_dual_add_f32 v36, v0, v36
	;; [unrolled: 1-line block ×4, first 2 shown]
	v_min3_f32 v146, v16, v17, v86
	v_min3_f32 v151, v12, v13, v85
	;; [unrolled: 1-line block ×4, first 2 shown]
	v_dual_add_f32 v1, v1, v21 :: v_dual_add_f32 v0, v0, v20
	v_dual_add_f32 v4, v35, v63 :: v_dual_add_f32 v5, v34, v62
	;; [unrolled: 1-line block ×6, first 2 shown]
	v_min3_f32 v145, v28, v29, v88
	v_min3_f32 v24, v24, v25, v87
	;; [unrolled: 1-line block ×7, first 2 shown]
	v_dual_add_f32 v4, v15, v63 :: v_dual_add_f32 v5, v14, v62
	v_dual_add_f32 v8, v11, v63 :: v_dual_add_f32 v9, v10, v62
	v_dual_add_f32 v12, v7, v63 :: v_dual_add_f32 v13, v6, v62
	v_dual_add_f32 v16, v3, v63 :: v_dual_add_f32 v17, v2, v62
	v_dual_add_f32 v20, v35, v59 :: v_dual_add_f32 v21, v34, v58
	v_min3_f32 v135, v156, v155, v135
	v_min3_f32 v103, v140, v139, v103
	;; [unrolled: 1-line block ×10, first 2 shown]
	v_dual_add_f32 v5, v31, v59 :: v_dual_add_f32 v8, v30, v58
	v_dual_add_f32 v9, v27, v59 :: v_dual_add_f32 v12, v26, v58
	;; [unrolled: 1-line block ×5, first 2 shown]
	v_min3_f32 v93, v132, v131, v93
	v_min3_f32 v131, v41, v40, v92
	;; [unrolled: 1-line block ×8, first 2 shown]
	v_dual_add_f32 v8, v7, v59 :: v_dual_add_f32 v9, v6, v58
	v_dual_add_f32 v12, v3, v59 :: v_dual_add_f32 v13, v2, v58
	;; [unrolled: 1-line block ×4, first 2 shown]
	v_min3_f32 v94, v53, v52, v94
	v_dual_add_f32 v58, v27, v55 :: v_dual_add_f32 v59, v26, v54
	v_min3_f32 v48, v9, v8, v133
	v_min3_f32 v49, v13, v12, v56
	v_min3_f32 v52, v17, v16, v57
	v_min3_f32 v53, v21, v20, v130
	v_dual_add_f32 v9, v19, v55 :: v_dual_add_f32 v12, v18, v54
	v_dual_add_f32 v13, v15, v55 :: v_dual_add_f32 v16, v14, v54
	;; [unrolled: 1-line block ×4, first 2 shown]
	v_add_f32_e32 v57, v6, v54
	v_min3_f32 v8, v59, v58, v129
	v_dual_add_f32 v58, v3, v55 :: v_dual_add_f32 v59, v2, v54
	v_min3_f32 v54, v12, v9, v128
	v_add_f32_e32 v12, v35, v51
	v_min3_f32 v55, v16, v13, v127
	v_min3_f32 v56, v20, v17, v126
	;; [unrolled: 1-line block ×3, first 2 shown]
	v_dual_add_f32 v13, v34, v50 :: v_dual_add_f32 v16, v31, v51
	v_dual_add_f32 v17, v30, v50 :: v_dual_add_f32 v20, v27, v51
	v_add_f32_e32 v21, v26, v50
	v_dual_add_f32 v61, v19, v51 :: v_dual_add_f32 v68, v14, v50
	v_min3_f32 v9, v59, v58, v124
	v_add_f32_e32 v63, v15, v51
	v_min3_f32 v58, v13, v12, v123
	v_min3_f32 v59, v17, v16, v122
	v_add_f32_e32 v16, v10, v50
	v_min3_f32 v60, v21, v20, v121
	v_min3_f32 v61, v62, v61, v120
	v_dual_add_f32 v13, v11, v51 :: v_dual_add_f32 v20, v6, v50
	v_dual_add_f32 v17, v7, v51 :: v_dual_add_f32 v62, v2, v50
	v_add_f32_e32 v21, v3, v51
	v_min3_f32 v12, v68, v63, v119
	v_dual_add_f32 v68, v34, v46 :: v_dual_add_f32 v63, v35, v47
	v_add_f32_e32 v69, v31, v47
	v_add_f32_e32 v81, v30, v46
	v_min3_f32 v51, v20, v17, v117
	v_add_f32_e32 v20, v19, v47
	v_min3_f32 v62, v62, v21, v116
	v_dual_add_f32 v21, v18, v46 :: v_dual_add_f32 v84, v11, v47
	v_min3_f32 v50, v16, v13, v118
	v_min3_f32 v13, v81, v69, v114
	v_dual_add_f32 v16, v27, v47 :: v_dual_add_f32 v17, v26, v46
	v_dual_add_f32 v69, v14, v46 :: v_dual_add_f32 v86, v7, v47
	v_add_f32_e32 v87, v6, v46
	v_min3_f32 v82, v21, v20, v111
	v_add_f32_e32 v20, v2, v46
	v_min3_f32 v63, v68, v63, v115
	v_dual_add_f32 v68, v15, v47 :: v_dual_add_f32 v85, v10, v46
	v_min3_f32 v81, v17, v16, v112
	v_min3_f32 v16, v87, v86, v108
	v_dual_add_f32 v17, v3, v47 :: v_dual_add_f32 v90, v2, v42
	s_delay_alu instid0(VALU_DEP_4)
	v_min3_f32 v83, v69, v68, v110
	v_dual_add_f32 v21, v35, v43 :: v_dual_add_f32 v92, v34, v38
	v_dual_add_f32 v47, v34, v42 :: v_dual_add_f32 v88, v19, v43
	;; [unrolled: 1-line block ×4, first 2 shown]
	v_add_f32_e32 v89, v18, v42
	v_min3_f32 v84, v85, v84, v109
	v_min3_f32 v46, v20, v17, v107
	;; [unrolled: 1-line block ×3, first 2 shown]
	v_add_f32_e32 v20, v15, v43
	v_min3_f32 v85, v69, v68, v104
	v_min3_f32 v17, v89, v88, v102
	v_dual_add_f32 v21, v14, v42 :: v_dual_add_f32 v68, v11, v43
	v_min3_f32 v86, v87, v86, v103
	v_add_f32_e32 v69, v10, v42
	v_dual_add_f32 v87, v7, v43 :: v_dual_add_f32 v88, v6, v42
	v_add_f32_e32 v89, v3, v43
	v_add_f32_e32 v91, v35, v39
	v_min3_f32 v42, v21, v20, v101
	v_min3_f32 v43, v69, v68, v100
	v_dual_add_f32 v21, v31, v39 :: v_dual_add_f32 v68, v30, v38
	v_min3_f32 v87, v88, v87, v99
	v_min3_f32 v88, v90, v89, v98
	v_add_f32_e32 v98, v14, v38
	v_min3_f32 v20, v92, v91, v97
	v_dual_add_f32 v69, v27, v39 :: v_dual_add_f32 v100, v10, v38
	v_dual_add_f32 v90, v26, v38 :: v_dual_add_f32 v91, v19, v39
	;; [unrolled: 1-line block ×5, first 2 shown]
	v_add_f32_e32 v18, v18, v22
	v_min3_f32 v89, v68, v21, v96
	v_min3_f32 v90, v90, v69, v95
	v_dual_add_f32 v68, v7, v39 :: v_dual_add_f32 v69, v6, v38
	v_dual_add_f32 v39, v3, v39 :: v_dual_add_f32 v14, v14, v22
	v_add_f32_e32 v38, v2, v38
	v_min3_f32 v91, v92, v91, v94
	v_min3_f32 v92, v98, v97, v93
	v_dual_add_f32 v31, v31, v23 :: v_dual_add_f32 v2, v2, v22
	v_dual_add_f32 v93, v30, v22 :: v_dual_add_f32 v94, v27, v23
	v_add_f32_e32 v95, v26, v22
	v_min3_f32 v30, v34, v35, v140
	v_add_f32_e32 v19, v19, v23
	v_add_f32_e32 v15, v15, v23
	;; [unrolled: 1-line block ×3, first 2 shown]
	v_dual_add_f32 v34, v7, v23 :: v_dual_add_f32 v35, v6, v22
	v_add_f32_e32 v23, v3, v23
	s_or_b32 s6, s5, s6
	v_min3_f32 v21, v100, v99, v131
	v_min3_f32 v26, v69, v68, v132
	;; [unrolled: 1-line block ×10, first 2 shown]
	v_cndmask_b32_e64 v0, 0, 0x7f7fffff, s6
	s_or_b32 s6, s24, s6
	s_delay_alu instid0(SALU_CYCLE_1) | instskip(NEXT) | instid1(SALU_CYCLE_1)
	s_xor_b32 s6, s6, -1
	s_and_saveexec_b32 s7, s6
	s_cbranch_execz .LBB26_31
; %bb.51:                               ;   in Loop: Header=BB26_32 Depth=1
	v_add_co_u32 v14, s6, v149, v64
	s_delay_alu instid0(VALU_DEP_1)
	v_add_co_ci_u32_e64 v15, s6, v150, v65, s6
	flat_load_b32 v0, v[14:15] offset:768
	s_waitcnt vmcnt(0) lgkmcnt(0)
	v_mul_f32_e32 v0, s19, v0
	s_branch .LBB26_31
.LBB26_52:
	s_clause 0x1
	scratch_load_b32 v197, off, off offset:20
	scratch_load_b32 v198, off, off offset:24
.LBB26_53:
	s_clause 0x2
	s_load_b32 s18, s[0:1], 0x50
	s_load_b32 s9, s[0:1], 0x68
	s_load_b64 s[0:1], s[0:1], 0x70
	s_waitcnt vmcnt(0)
	v_add_nc_u32_e32 v113, s23, v198
	ds_load_b128 v[32:35], v73 offset:9216
	ds_load_b128 v[28:31], v73 offset:9344
	;; [unrolled: 1-line block ×16, first 2 shown]
	v_add_nc_u32_e32 v64, s14, v197
	v_cmp_gt_i32_e64 s8, s17, v113
	v_cndmask_b32_e64 v105, 0, 1, s22
	s_waitcnt lgkmcnt(0)
	v_mad_i64_i32 v[65:66], null, v113, s18, 0
	v_mad_i64_i32 v[69:70], null, v113, s9, 0
	s_lshl_b64 s[0:1], s[0:1], 2
	s_delay_alu instid0(SALU_CYCLE_1) | instskip(SKIP_1) | instid1(VALU_DEP_2)
	s_add_u32 s12, s12, s0
	s_addc_u32 s13, s13, s1
	v_lshlrev_b64 v[65:66], 2, v[65:66]
	v_cmp_gt_i32_e64 s0, s16, v64
	s_delay_alu instid0(VALU_DEP_3) | instskip(NEXT) | instid1(VALU_DEP_2)
	v_lshlrev_b64 v[67:68], 2, v[69:70]
	s_and_b32 s2, s0, s8
	s_delay_alu instid0(VALU_DEP_3) | instskip(NEXT) | instid1(VALU_DEP_4)
	v_add_co_u32 v149, vcc_lo, s10, v65
	v_add_co_ci_u32_e32 v150, vcc_lo, s11, v66, vcc_lo
	s_delay_alu instid0(VALU_DEP_3) | instskip(NEXT) | instid1(VALU_DEP_4)
	v_add_co_u32 v147, vcc_lo, s12, v67
	v_add_co_ci_u32_e32 v148, vcc_lo, s13, v68, vcc_lo
	v_ashrrev_i32_e32 v65, 31, v64
	s_and_saveexec_b32 s1, s2
	s_cbranch_execz .LBB26_58
; %bb.54:
	s_delay_alu instid0(VALU_DEP_1)
	v_lshlrev_b64 v[66:67], 2, v[64:65]
	s_and_not1_b32 vcc_lo, exec_lo, s22
	s_cbranch_vccnz .LBB26_56
; %bb.55:
	s_delay_alu instid0(VALU_DEP_1) | instskip(NEXT) | instid1(VALU_DEP_2)
	v_add_co_u32 v68, vcc_lo, v149, v66
	v_add_co_ci_u32_e32 v69, vcc_lo, v150, v67, vcc_lo
	flat_load_b32 v68, v[68:69]
	s_waitcnt vmcnt(0) lgkmcnt(0)
	v_mul_f32_e32 v68, s15, v68
	s_branch .LBB26_57
.LBB26_56:
	v_mov_b32_e32 v68, 0
.LBB26_57:
	v_dual_add_f32 v69, v33, v61 :: v_dual_add_f32 v70, v32, v60
	v_dual_add_f32 v71, v35, v63 :: v_dual_add_f32 v72, v34, v62
	v_add_co_u32 v66, vcc_lo, v147, v66
	s_delay_alu instid0(VALU_DEP_3) | instskip(SKIP_1) | instid1(VALU_DEP_4)
	v_min3_f32 v69, v70, v69, v146
	v_add_co_ci_u32_e32 v67, vcc_lo, v148, v67, vcc_lo
	v_min_f32_e32 v70, v72, v71
	s_delay_alu instid0(VALU_DEP_1)
	v_min3_f32 v68, v68, v70, v69
	global_store_b32 v[66:67], v68, off
.LBB26_58:
	s_or_b32 exec_lo, exec_lo, s1
	v_add_nc_u32_e32 v66, 8, v64
	s_delay_alu instid0(VALU_DEP_1) | instskip(SKIP_1) | instid1(VALU_DEP_2)
	v_cmp_gt_i32_e64 s1, s16, v66
	v_ashrrev_i32_e32 v67, 31, v66
	s_and_b32 s3, s1, s8
	s_delay_alu instid0(SALU_CYCLE_1)
	s_and_saveexec_b32 s2, s3
	s_cbranch_execz .LBB26_63
; %bb.59:
	v_cmp_ne_u32_e32 vcc_lo, 1, v105
	v_lshlrev_b64 v[68:69], 2, v[66:67]
	s_cbranch_vccnz .LBB26_61
; %bb.60:
	s_delay_alu instid0(VALU_DEP_1) | instskip(NEXT) | instid1(VALU_DEP_2)
	v_add_co_u32 v70, vcc_lo, v149, v68
	v_add_co_ci_u32_e32 v71, vcc_lo, v150, v69, vcc_lo
	flat_load_b32 v70, v[70:71]
	s_waitcnt vmcnt(0) lgkmcnt(0)
	v_mul_f32_e32 v70, s15, v70
	s_branch .LBB26_62
.LBB26_61:
	v_mov_b32_e32 v70, 0
.LBB26_62:
	v_dual_add_f32 v71, v29, v61 :: v_dual_add_f32 v72, v28, v60
	v_dual_add_f32 v73, v31, v63 :: v_dual_add_f32 v74, v30, v62
	s_delay_alu instid0(VALU_DEP_4) | instskip(NEXT) | instid1(VALU_DEP_3)
	v_add_co_u32 v68, vcc_lo, v147, v68
	v_min3_f32 v71, v72, v71, v145
	v_add_co_ci_u32_e32 v69, vcc_lo, v148, v69, vcc_lo
	s_delay_alu instid0(VALU_DEP_4) | instskip(NEXT) | instid1(VALU_DEP_1)
	v_min_f32_e32 v72, v74, v73
	v_min3_f32 v70, v70, v72, v71
	global_store_b32 v[68:69], v70, off
.LBB26_63:
	s_or_b32 exec_lo, exec_lo, s2
	v_add_nc_u32_e32 v68, 16, v64
	s_delay_alu instid0(VALU_DEP_1) | instskip(SKIP_1) | instid1(VALU_DEP_2)
	v_cmp_gt_i32_e64 s2, s16, v68
	v_ashrrev_i32_e32 v69, 31, v68
	s_and_b32 s4, s2, s8
	s_delay_alu instid0(SALU_CYCLE_1)
	s_and_saveexec_b32 s3, s4
	s_cbranch_execz .LBB26_68
; %bb.64:
	v_cmp_ne_u32_e32 vcc_lo, 1, v105
	v_lshlrev_b64 v[70:71], 2, v[68:69]
	s_cbranch_vccnz .LBB26_66
; %bb.65:
	s_delay_alu instid0(VALU_DEP_1) | instskip(NEXT) | instid1(VALU_DEP_2)
	v_add_co_u32 v72, vcc_lo, v149, v70
	v_add_co_ci_u32_e32 v73, vcc_lo, v150, v71, vcc_lo
	flat_load_b32 v72, v[72:73]
	s_waitcnt vmcnt(0) lgkmcnt(0)
	v_mul_f32_e32 v72, s15, v72
	s_branch .LBB26_67
.LBB26_66:
	v_mov_b32_e32 v72, 0
.LBB26_67:
	v_dual_add_f32 v73, v25, v61 :: v_dual_add_f32 v74, v24, v60
	v_dual_add_f32 v75, v27, v63 :: v_dual_add_f32 v76, v26, v62
	s_delay_alu instid0(VALU_DEP_4) | instskip(NEXT) | instid1(VALU_DEP_3)
	v_add_co_u32 v70, vcc_lo, v147, v70
	v_min3_f32 v73, v74, v73, v144
	v_add_co_ci_u32_e32 v71, vcc_lo, v148, v71, vcc_lo
	s_delay_alu instid0(VALU_DEP_4) | instskip(NEXT) | instid1(VALU_DEP_1)
	v_min_f32_e32 v74, v76, v75
	v_min3_f32 v72, v72, v74, v73
	global_store_b32 v[70:71], v72, off
.LBB26_68:
	;; [unrolled: 35-line block ×6, first 2 shown]
	s_or_b32 exec_lo, exec_lo, s7
	v_add_nc_u32_e32 v78, 56, v64
	s_delay_alu instid0(VALU_DEP_1) | instskip(SKIP_1) | instid1(VALU_DEP_2)
	v_cmp_gt_i32_e64 s7, s16, v78
	v_ashrrev_i32_e32 v79, 31, v78
	s_and_b32 s14, s7, s8
	s_delay_alu instid0(SALU_CYCLE_1)
	s_and_saveexec_b32 s8, s14
	s_cbranch_execz .LBB26_93
; %bb.89:
	v_cmp_ne_u32_e32 vcc_lo, 1, v105
	v_lshlrev_b64 v[80:81], 2, v[78:79]
	s_cbranch_vccnz .LBB26_91
; %bb.90:
	s_delay_alu instid0(VALU_DEP_1) | instskip(NEXT) | instid1(VALU_DEP_2)
	v_add_co_u32 v141, vcc_lo, v149, v80
	v_add_co_ci_u32_e32 v142, vcc_lo, v150, v81, vcc_lo
	flat_load_b32 v141, v[141:142]
	s_waitcnt vmcnt(0) lgkmcnt(0)
	v_mul_f32_e32 v141, s15, v141
	s_branch .LBB26_92
.LBB26_91:
	v_mov_b32_e32 v141, 0
.LBB26_92:
	v_dual_add_f32 v61, v1, v61 :: v_dual_add_f32 v60, v0, v60
	v_dual_add_f32 v63, v3, v63 :: v_dual_add_f32 v62, v2, v62
	s_delay_alu instid0(VALU_DEP_2) | instskip(NEXT) | instid1(VALU_DEP_2)
	v_min3_f32 v60, v60, v61, v140
	v_min_f32_e32 v61, v62, v63
	s_delay_alu instid0(VALU_DEP_1)
	v_min3_f32 v62, v141, v61, v60
	v_add_co_u32 v60, vcc_lo, v147, v80
	v_add_co_ci_u32_e32 v61, vcc_lo, v148, v81, vcc_lo
	global_store_b32 v[60:61], v62, off
.LBB26_93:
	s_or_b32 exec_lo, exec_lo, s8
	v_add_nc_u32_e32 v80, 32, v113
	s_delay_alu instid0(VALU_DEP_1) | instskip(SKIP_2) | instid1(VALU_DEP_3)
	v_mad_i64_i32 v[60:61], null, v80, s18, 0
	v_mad_i64_i32 v[62:63], null, v80, s9, 0
	v_cmp_gt_i32_e64 s8, s17, v80
	v_lshlrev_b64 v[60:61], 2, v[60:61]
	s_delay_alu instid0(VALU_DEP_2) | instskip(NEXT) | instid1(VALU_DEP_3)
	s_and_b32 s16, s0, s8
	v_lshlrev_b64 v[62:63], 2, v[62:63]
	s_delay_alu instid0(VALU_DEP_2) | instskip(NEXT) | instid1(VALU_DEP_3)
	v_add_co_u32 v80, vcc_lo, s10, v60
	v_add_co_ci_u32_e32 v81, vcc_lo, s11, v61, vcc_lo
	s_delay_alu instid0(VALU_DEP_3) | instskip(NEXT) | instid1(VALU_DEP_4)
	v_add_co_u32 v62, vcc_lo, s12, v62
	v_add_co_ci_u32_e32 v63, vcc_lo, s13, v63, vcc_lo
	s_and_saveexec_b32 s14, s16
	s_cbranch_execnz .LBB26_101
; %bb.94:
	s_or_b32 exec_lo, exec_lo, s14
	s_and_b32 s16, s1, s8
	s_delay_alu instid0(SALU_CYCLE_1)
	s_and_saveexec_b32 s14, s16
	s_cbranch_execnz .LBB26_105
.LBB26_95:
	s_or_b32 exec_lo, exec_lo, s14
	s_and_b32 s16, s2, s8
	s_delay_alu instid0(SALU_CYCLE_1)
	s_and_saveexec_b32 s14, s16
	s_cbranch_execnz .LBB26_109
.LBB26_96:
	s_or_b32 exec_lo, exec_lo, s14
	s_and_b32 s16, s3, s8
	s_delay_alu instid0(SALU_CYCLE_1)
	s_and_saveexec_b32 s14, s16
	s_cbranch_execnz .LBB26_113
.LBB26_97:
	s_or_b32 exec_lo, exec_lo, s14
	s_and_b32 s16, s4, s8
	s_delay_alu instid0(SALU_CYCLE_1)
	s_and_saveexec_b32 s14, s16
	s_cbranch_execnz .LBB26_117
.LBB26_98:
	s_or_b32 exec_lo, exec_lo, s14
	s_and_b32 s16, s5, s8
	s_delay_alu instid0(SALU_CYCLE_1)
	s_and_saveexec_b32 s14, s16
	s_cbranch_execnz .LBB26_121
.LBB26_99:
	s_or_b32 exec_lo, exec_lo, s14
	s_and_b32 s16, s6, s8
	s_delay_alu instid0(SALU_CYCLE_1)
	s_and_saveexec_b32 s14, s16
	s_cbranch_execnz .LBB26_125
.LBB26_100:
	s_or_b32 exec_lo, exec_lo, s14
	s_and_b32 s14, s7, s8
	s_delay_alu instid0(SALU_CYCLE_1)
	s_and_saveexec_b32 s8, s14
	s_cbranch_execnz .LBB26_129
	s_branch .LBB26_133
.LBB26_101:
	v_cmp_ne_u32_e32 vcc_lo, 1, v105
	v_lshlrev_b64 v[60:61], 2, v[64:65]
	s_cbranch_vccnz .LBB26_103
; %bb.102:
	s_delay_alu instid0(VALU_DEP_1) | instskip(NEXT) | instid1(VALU_DEP_2)
	v_add_co_u32 v140, vcc_lo, v80, v60
	v_add_co_ci_u32_e32 v141, vcc_lo, v81, v61, vcc_lo
	flat_load_b32 v140, v[140:141]
	s_waitcnt vmcnt(0) lgkmcnt(0)
	v_mul_f32_e32 v140, s15, v140
	s_branch .LBB26_104
.LBB26_103:
	v_mov_b32_e32 v140, 0
.LBB26_104:
	v_dual_add_f32 v141, v33, v57 :: v_dual_add_f32 v142, v32, v56
	v_dual_add_f32 v143, v35, v59 :: v_dual_add_f32 v144, v34, v58
	s_delay_alu instid0(VALU_DEP_4) | instskip(NEXT) | instid1(VALU_DEP_3)
	v_add_co_u32 v60, vcc_lo, v62, v60
	v_min3_f32 v139, v142, v141, v139
	v_add_co_ci_u32_e32 v61, vcc_lo, v63, v61, vcc_lo
	s_delay_alu instid0(VALU_DEP_4) | instskip(NEXT) | instid1(VALU_DEP_1)
	v_min_f32_e32 v141, v144, v143
	v_min3_f32 v139, v140, v141, v139
	global_store_b32 v[60:61], v139, off
	s_or_b32 exec_lo, exec_lo, s14
	s_and_b32 s16, s1, s8
	s_delay_alu instid0(SALU_CYCLE_1)
	s_and_saveexec_b32 s14, s16
	s_cbranch_execz .LBB26_95
.LBB26_105:
	v_cmp_ne_u32_e32 vcc_lo, 1, v105
	v_lshlrev_b64 v[60:61], 2, v[66:67]
	s_cbranch_vccnz .LBB26_107
; %bb.106:
	s_delay_alu instid0(VALU_DEP_1) | instskip(NEXT) | instid1(VALU_DEP_2)
	v_add_co_u32 v139, vcc_lo, v80, v60
	v_add_co_ci_u32_e32 v140, vcc_lo, v81, v61, vcc_lo
	flat_load_b32 v139, v[139:140]
	s_waitcnt vmcnt(0) lgkmcnt(0)
	v_mul_f32_e32 v139, s15, v139
	s_branch .LBB26_108
.LBB26_107:
	v_mov_b32_e32 v139, 0
.LBB26_108:
	v_dual_add_f32 v140, v29, v57 :: v_dual_add_f32 v141, v28, v56
	v_dual_add_f32 v142, v31, v59 :: v_dual_add_f32 v143, v30, v58
	s_delay_alu instid0(VALU_DEP_4) | instskip(NEXT) | instid1(VALU_DEP_3)
	v_add_co_u32 v60, vcc_lo, v62, v60
	v_min3_f32 v138, v141, v140, v138
	v_add_co_ci_u32_e32 v61, vcc_lo, v63, v61, vcc_lo
	s_delay_alu instid0(VALU_DEP_4) | instskip(NEXT) | instid1(VALU_DEP_1)
	v_min_f32_e32 v140, v143, v142
	v_min3_f32 v138, v139, v140, v138
	global_store_b32 v[60:61], v138, off
	s_or_b32 exec_lo, exec_lo, s14
	s_and_b32 s16, s2, s8
	s_delay_alu instid0(SALU_CYCLE_1)
	s_and_saveexec_b32 s14, s16
	s_cbranch_execz .LBB26_96
.LBB26_109:
	v_cmp_ne_u32_e32 vcc_lo, 1, v105
	v_lshlrev_b64 v[60:61], 2, v[68:69]
	s_cbranch_vccnz .LBB26_111
; %bb.110:
	s_delay_alu instid0(VALU_DEP_1) | instskip(NEXT) | instid1(VALU_DEP_2)
	v_add_co_u32 v138, vcc_lo, v80, v60
	v_add_co_ci_u32_e32 v139, vcc_lo, v81, v61, vcc_lo
	flat_load_b32 v138, v[138:139]
	s_waitcnt vmcnt(0) lgkmcnt(0)
	v_mul_f32_e32 v138, s15, v138
	s_branch .LBB26_112
.LBB26_111:
	v_mov_b32_e32 v138, 0
.LBB26_112:
	v_dual_add_f32 v139, v25, v57 :: v_dual_add_f32 v140, v24, v56
	v_dual_add_f32 v141, v27, v59 :: v_dual_add_f32 v142, v26, v58
	s_delay_alu instid0(VALU_DEP_4) | instskip(NEXT) | instid1(VALU_DEP_3)
	v_add_co_u32 v60, vcc_lo, v62, v60
	v_min3_f32 v137, v140, v139, v137
	v_add_co_ci_u32_e32 v61, vcc_lo, v63, v61, vcc_lo
	s_delay_alu instid0(VALU_DEP_4) | instskip(NEXT) | instid1(VALU_DEP_1)
	v_min_f32_e32 v139, v142, v141
	v_min3_f32 v137, v138, v139, v137
	global_store_b32 v[60:61], v137, off
	s_or_b32 exec_lo, exec_lo, s14
	s_and_b32 s16, s3, s8
	s_delay_alu instid0(SALU_CYCLE_1)
	s_and_saveexec_b32 s14, s16
	s_cbranch_execz .LBB26_97
.LBB26_113:
	v_cmp_ne_u32_e32 vcc_lo, 1, v105
	v_lshlrev_b64 v[60:61], 2, v[70:71]
	s_cbranch_vccnz .LBB26_115
; %bb.114:
	s_delay_alu instid0(VALU_DEP_1) | instskip(NEXT) | instid1(VALU_DEP_2)
	v_add_co_u32 v137, vcc_lo, v80, v60
	v_add_co_ci_u32_e32 v138, vcc_lo, v81, v61, vcc_lo
	flat_load_b32 v137, v[137:138]
	s_waitcnt vmcnt(0) lgkmcnt(0)
	v_mul_f32_e32 v137, s15, v137
	s_branch .LBB26_116
.LBB26_115:
	v_mov_b32_e32 v137, 0
.LBB26_116:
	v_dual_add_f32 v138, v21, v57 :: v_dual_add_f32 v139, v20, v56
	v_dual_add_f32 v140, v23, v59 :: v_dual_add_f32 v141, v22, v58
	s_delay_alu instid0(VALU_DEP_4) | instskip(NEXT) | instid1(VALU_DEP_3)
	v_add_co_u32 v60, vcc_lo, v62, v60
	v_min3_f32 v136, v139, v138, v136
	v_add_co_ci_u32_e32 v61, vcc_lo, v63, v61, vcc_lo
	s_delay_alu instid0(VALU_DEP_4) | instskip(NEXT) | instid1(VALU_DEP_1)
	v_min_f32_e32 v138, v141, v140
	v_min3_f32 v136, v137, v138, v136
	global_store_b32 v[60:61], v136, off
	s_or_b32 exec_lo, exec_lo, s14
	s_and_b32 s16, s4, s8
	s_delay_alu instid0(SALU_CYCLE_1)
	s_and_saveexec_b32 s14, s16
	s_cbranch_execz .LBB26_98
.LBB26_117:
	v_cmp_ne_u32_e32 vcc_lo, 1, v105
	v_lshlrev_b64 v[60:61], 2, v[72:73]
	s_cbranch_vccnz .LBB26_119
; %bb.118:
	s_delay_alu instid0(VALU_DEP_1) | instskip(NEXT) | instid1(VALU_DEP_2)
	v_add_co_u32 v136, vcc_lo, v80, v60
	v_add_co_ci_u32_e32 v137, vcc_lo, v81, v61, vcc_lo
	flat_load_b32 v136, v[136:137]
	s_waitcnt vmcnt(0) lgkmcnt(0)
	v_mul_f32_e32 v136, s15, v136
	s_branch .LBB26_120
.LBB26_119:
	v_mov_b32_e32 v136, 0
.LBB26_120:
	v_dual_add_f32 v137, v17, v57 :: v_dual_add_f32 v138, v16, v56
	v_dual_add_f32 v139, v19, v59 :: v_dual_add_f32 v140, v18, v58
	s_delay_alu instid0(VALU_DEP_4) | instskip(NEXT) | instid1(VALU_DEP_3)
	v_add_co_u32 v60, vcc_lo, v62, v60
	v_min3_f32 v135, v138, v137, v135
	v_add_co_ci_u32_e32 v61, vcc_lo, v63, v61, vcc_lo
	s_delay_alu instid0(VALU_DEP_4) | instskip(NEXT) | instid1(VALU_DEP_1)
	v_min_f32_e32 v137, v140, v139
	v_min3_f32 v135, v136, v137, v135
	global_store_b32 v[60:61], v135, off
	s_or_b32 exec_lo, exec_lo, s14
	s_and_b32 s16, s5, s8
	s_delay_alu instid0(SALU_CYCLE_1)
	s_and_saveexec_b32 s14, s16
	s_cbranch_execz .LBB26_99
.LBB26_121:
	v_cmp_ne_u32_e32 vcc_lo, 1, v105
	v_lshlrev_b64 v[60:61], 2, v[74:75]
	s_cbranch_vccnz .LBB26_123
; %bb.122:
	s_delay_alu instid0(VALU_DEP_1) | instskip(NEXT) | instid1(VALU_DEP_2)
	v_add_co_u32 v135, vcc_lo, v80, v60
	v_add_co_ci_u32_e32 v136, vcc_lo, v81, v61, vcc_lo
	flat_load_b32 v135, v[135:136]
	s_waitcnt vmcnt(0) lgkmcnt(0)
	v_mul_f32_e32 v135, s15, v135
	s_branch .LBB26_124
.LBB26_123:
	v_mov_b32_e32 v135, 0
.LBB26_124:
	v_dual_add_f32 v136, v13, v57 :: v_dual_add_f32 v137, v12, v56
	v_dual_add_f32 v138, v15, v59 :: v_dual_add_f32 v139, v14, v58
	s_delay_alu instid0(VALU_DEP_4) | instskip(NEXT) | instid1(VALU_DEP_3)
	v_add_co_u32 v60, vcc_lo, v62, v60
	v_min3_f32 v134, v137, v136, v134
	v_add_co_ci_u32_e32 v61, vcc_lo, v63, v61, vcc_lo
	s_delay_alu instid0(VALU_DEP_4) | instskip(NEXT) | instid1(VALU_DEP_1)
	v_min_f32_e32 v136, v139, v138
	v_min3_f32 v134, v135, v136, v134
	global_store_b32 v[60:61], v134, off
	s_or_b32 exec_lo, exec_lo, s14
	s_and_b32 s16, s6, s8
	s_delay_alu instid0(SALU_CYCLE_1)
	s_and_saveexec_b32 s14, s16
	s_cbranch_execz .LBB26_100
.LBB26_125:
	v_cmp_ne_u32_e32 vcc_lo, 1, v105
	v_lshlrev_b64 v[60:61], 2, v[76:77]
	s_cbranch_vccnz .LBB26_127
; %bb.126:
	s_delay_alu instid0(VALU_DEP_1) | instskip(NEXT) | instid1(VALU_DEP_2)
	v_add_co_u32 v134, vcc_lo, v80, v60
	v_add_co_ci_u32_e32 v135, vcc_lo, v81, v61, vcc_lo
	flat_load_b32 v134, v[134:135]
	s_waitcnt vmcnt(0) lgkmcnt(0)
	v_mul_f32_e32 v134, s15, v134
	s_branch .LBB26_128
.LBB26_127:
	v_mov_b32_e32 v134, 0
.LBB26_128:
	v_dual_add_f32 v135, v9, v57 :: v_dual_add_f32 v136, v8, v56
	v_dual_add_f32 v137, v11, v59 :: v_dual_add_f32 v138, v10, v58
	s_delay_alu instid0(VALU_DEP_4) | instskip(NEXT) | instid1(VALU_DEP_3)
	v_add_co_u32 v60, vcc_lo, v62, v60
	v_min3_f32 v133, v136, v135, v133
	v_add_co_ci_u32_e32 v61, vcc_lo, v63, v61, vcc_lo
	s_delay_alu instid0(VALU_DEP_4) | instskip(NEXT) | instid1(VALU_DEP_1)
	v_min_f32_e32 v135, v138, v137
	v_min3_f32 v133, v134, v135, v133
	global_store_b32 v[60:61], v133, off
	s_or_b32 exec_lo, exec_lo, s14
	s_and_b32 s14, s7, s8
	s_delay_alu instid0(SALU_CYCLE_1)
	s_and_saveexec_b32 s8, s14
	s_cbranch_execz .LBB26_133
.LBB26_129:
	v_cmp_ne_u32_e32 vcc_lo, 1, v105
	v_lshlrev_b64 v[60:61], 2, v[78:79]
	s_cbranch_vccnz .LBB26_131
; %bb.130:
	s_delay_alu instid0(VALU_DEP_1) | instskip(NEXT) | instid1(VALU_DEP_2)
	v_add_co_u32 v80, vcc_lo, v80, v60
	v_add_co_ci_u32_e32 v81, vcc_lo, v81, v61, vcc_lo
	flat_load_b32 v80, v[80:81]
	s_waitcnt vmcnt(0) lgkmcnt(0)
	v_mul_f32_e32 v80, s15, v80
	s_branch .LBB26_132
.LBB26_131:
	v_mov_b32_e32 v80, 0
.LBB26_132:
	v_dual_add_f32 v57, v1, v57 :: v_dual_add_f32 v56, v0, v56
	v_dual_add_f32 v59, v3, v59 :: v_dual_add_f32 v58, v2, v58
	s_delay_alu instid0(VALU_DEP_2) | instskip(NEXT) | instid1(VALU_DEP_2)
	v_min3_f32 v56, v56, v57, v132
	v_min_f32_e32 v57, v58, v59
	s_delay_alu instid0(VALU_DEP_1)
	v_min3_f32 v58, v80, v57, v56
	v_add_co_u32 v56, vcc_lo, v62, v60
	v_add_co_ci_u32_e32 v57, vcc_lo, v63, v61, vcc_lo
	global_store_b32 v[56:57], v58, off
.LBB26_133:
	s_or_b32 exec_lo, exec_lo, s8
	v_add_nc_u32_e32 v60, 64, v113
	s_delay_alu instid0(VALU_DEP_1) | instskip(SKIP_2) | instid1(VALU_DEP_3)
	v_mad_i64_i32 v[56:57], null, v60, s18, 0
	v_mad_i64_i32 v[58:59], null, v60, s9, 0
	v_cmp_gt_i32_e64 s8, s17, v60
	v_lshlrev_b64 v[56:57], 2, v[56:57]
	s_delay_alu instid0(VALU_DEP_2) | instskip(NEXT) | instid1(VALU_DEP_3)
	s_and_b32 s16, s0, s8
	v_lshlrev_b64 v[58:59], 2, v[58:59]
	s_delay_alu instid0(VALU_DEP_2) | instskip(NEXT) | instid1(VALU_DEP_3)
	v_add_co_u32 v60, vcc_lo, s10, v56
	v_add_co_ci_u32_e32 v61, vcc_lo, s11, v57, vcc_lo
	s_delay_alu instid0(VALU_DEP_3) | instskip(NEXT) | instid1(VALU_DEP_4)
	v_add_co_u32 v58, vcc_lo, s12, v58
	v_add_co_ci_u32_e32 v59, vcc_lo, s13, v59, vcc_lo
	s_and_saveexec_b32 s14, s16
	s_cbranch_execnz .LBB26_141
; %bb.134:
	s_or_b32 exec_lo, exec_lo, s14
	s_and_b32 s16, s1, s8
	s_delay_alu instid0(SALU_CYCLE_1)
	s_and_saveexec_b32 s14, s16
	s_cbranch_execnz .LBB26_145
.LBB26_135:
	s_or_b32 exec_lo, exec_lo, s14
	s_and_b32 s16, s2, s8
	s_delay_alu instid0(SALU_CYCLE_1)
	s_and_saveexec_b32 s14, s16
	s_cbranch_execnz .LBB26_149
.LBB26_136:
	s_or_b32 exec_lo, exec_lo, s14
	s_and_b32 s16, s3, s8
	s_delay_alu instid0(SALU_CYCLE_1)
	s_and_saveexec_b32 s14, s16
	s_cbranch_execnz .LBB26_153
.LBB26_137:
	s_or_b32 exec_lo, exec_lo, s14
	s_and_b32 s16, s4, s8
	s_delay_alu instid0(SALU_CYCLE_1)
	s_and_saveexec_b32 s14, s16
	s_cbranch_execnz .LBB26_157
.LBB26_138:
	s_or_b32 exec_lo, exec_lo, s14
	s_and_b32 s16, s5, s8
	s_delay_alu instid0(SALU_CYCLE_1)
	s_and_saveexec_b32 s14, s16
	s_cbranch_execnz .LBB26_161
.LBB26_139:
	s_or_b32 exec_lo, exec_lo, s14
	s_and_b32 s16, s6, s8
	s_delay_alu instid0(SALU_CYCLE_1)
	s_and_saveexec_b32 s14, s16
	s_cbranch_execnz .LBB26_165
.LBB26_140:
	s_or_b32 exec_lo, exec_lo, s14
	s_and_b32 s14, s7, s8
	s_delay_alu instid0(SALU_CYCLE_1)
	s_and_saveexec_b32 s8, s14
	s_cbranch_execnz .LBB26_169
	s_branch .LBB26_173
.LBB26_141:
	v_cmp_ne_u32_e32 vcc_lo, 1, v105
	v_lshlrev_b64 v[56:57], 2, v[64:65]
	s_cbranch_vccnz .LBB26_143
; %bb.142:
	s_delay_alu instid0(VALU_DEP_1) | instskip(NEXT) | instid1(VALU_DEP_2)
	v_add_co_u32 v62, vcc_lo, v60, v56
	v_add_co_ci_u32_e32 v63, vcc_lo, v61, v57, vcc_lo
	flat_load_b32 v62, v[62:63]
	s_waitcnt vmcnt(0) lgkmcnt(0)
	v_mul_f32_e32 v62, s15, v62
	s_branch .LBB26_144
.LBB26_143:
	v_mov_b32_e32 v62, 0
.LBB26_144:
	v_dual_add_f32 v63, v33, v53 :: v_dual_add_f32 v80, v32, v52
	v_dual_add_f32 v81, v35, v55 :: v_dual_add_f32 v132, v34, v54
	s_delay_alu instid0(VALU_DEP_4) | instskip(NEXT) | instid1(VALU_DEP_3)
	v_add_co_u32 v56, vcc_lo, v58, v56
	v_min3_f32 v63, v80, v63, v131
	v_add_co_ci_u32_e32 v57, vcc_lo, v59, v57, vcc_lo
	s_delay_alu instid0(VALU_DEP_4) | instskip(NEXT) | instid1(VALU_DEP_1)
	v_min_f32_e32 v80, v132, v81
	v_min3_f32 v62, v62, v80, v63
	global_store_b32 v[56:57], v62, off
	s_or_b32 exec_lo, exec_lo, s14
	s_and_b32 s16, s1, s8
	s_delay_alu instid0(SALU_CYCLE_1)
	s_and_saveexec_b32 s14, s16
	s_cbranch_execz .LBB26_135
.LBB26_145:
	v_cmp_ne_u32_e32 vcc_lo, 1, v105
	v_lshlrev_b64 v[56:57], 2, v[66:67]
	s_cbranch_vccnz .LBB26_147
; %bb.146:
	s_delay_alu instid0(VALU_DEP_1) | instskip(NEXT) | instid1(VALU_DEP_2)
	v_add_co_u32 v62, vcc_lo, v60, v56
	v_add_co_ci_u32_e32 v63, vcc_lo, v61, v57, vcc_lo
	flat_load_b32 v62, v[62:63]
	s_waitcnt vmcnt(0) lgkmcnt(0)
	v_mul_f32_e32 v62, s15, v62
	s_branch .LBB26_148
.LBB26_147:
	v_mov_b32_e32 v62, 0
.LBB26_148:
	v_dual_add_f32 v63, v29, v53 :: v_dual_add_f32 v80, v28, v52
	v_add_f32_e32 v81, v31, v55
	v_add_f32_e32 v131, v30, v54
	v_add_co_u32 v56, vcc_lo, v58, v56
	s_delay_alu instid0(VALU_DEP_4) | instskip(SKIP_1) | instid1(VALU_DEP_4)
	v_min3_f32 v63, v80, v63, v130
	v_add_co_ci_u32_e32 v57, vcc_lo, v59, v57, vcc_lo
	v_min_f32_e32 v80, v131, v81
	s_delay_alu instid0(VALU_DEP_1) | instskip(SKIP_3) | instid1(SALU_CYCLE_1)
	v_min3_f32 v62, v62, v80, v63
	global_store_b32 v[56:57], v62, off
	s_or_b32 exec_lo, exec_lo, s14
	s_and_b32 s16, s2, s8
	s_and_saveexec_b32 s14, s16
	s_cbranch_execz .LBB26_136
.LBB26_149:
	v_cmp_ne_u32_e32 vcc_lo, 1, v105
	v_lshlrev_b64 v[56:57], 2, v[68:69]
	s_cbranch_vccnz .LBB26_151
; %bb.150:
	s_delay_alu instid0(VALU_DEP_1) | instskip(NEXT) | instid1(VALU_DEP_2)
	v_add_co_u32 v62, vcc_lo, v60, v56
	v_add_co_ci_u32_e32 v63, vcc_lo, v61, v57, vcc_lo
	flat_load_b32 v62, v[62:63]
	s_waitcnt vmcnt(0) lgkmcnt(0)
	v_mul_f32_e32 v62, s15, v62
	s_branch .LBB26_152
.LBB26_151:
	v_mov_b32_e32 v62, 0
.LBB26_152:
	v_dual_add_f32 v63, v25, v53 :: v_dual_add_f32 v80, v24, v52
	v_dual_add_f32 v81, v27, v55 :: v_dual_add_f32 v130, v26, v54
	s_delay_alu instid0(VALU_DEP_4) | instskip(NEXT) | instid1(VALU_DEP_3)
	v_add_co_u32 v56, vcc_lo, v58, v56
	v_min3_f32 v63, v80, v63, v129
	v_add_co_ci_u32_e32 v57, vcc_lo, v59, v57, vcc_lo
	s_delay_alu instid0(VALU_DEP_4) | instskip(NEXT) | instid1(VALU_DEP_1)
	v_min_f32_e32 v80, v130, v81
	v_min3_f32 v62, v62, v80, v63
	global_store_b32 v[56:57], v62, off
	s_or_b32 exec_lo, exec_lo, s14
	s_and_b32 s16, s3, s8
	s_delay_alu instid0(SALU_CYCLE_1)
	s_and_saveexec_b32 s14, s16
	s_cbranch_execz .LBB26_137
.LBB26_153:
	v_cmp_ne_u32_e32 vcc_lo, 1, v105
	v_lshlrev_b64 v[56:57], 2, v[70:71]
	s_cbranch_vccnz .LBB26_155
; %bb.154:
	s_delay_alu instid0(VALU_DEP_1) | instskip(NEXT) | instid1(VALU_DEP_2)
	v_add_co_u32 v62, vcc_lo, v60, v56
	v_add_co_ci_u32_e32 v63, vcc_lo, v61, v57, vcc_lo
	flat_load_b32 v62, v[62:63]
	s_waitcnt vmcnt(0) lgkmcnt(0)
	v_mul_f32_e32 v62, s15, v62
	s_branch .LBB26_156
.LBB26_155:
	v_mov_b32_e32 v62, 0
.LBB26_156:
	v_dual_add_f32 v63, v21, v53 :: v_dual_add_f32 v80, v20, v52
	v_add_f32_e32 v81, v23, v55
	v_add_f32_e32 v129, v22, v54
	v_add_co_u32 v56, vcc_lo, v58, v56
	s_delay_alu instid0(VALU_DEP_4) | instskip(SKIP_1) | instid1(VALU_DEP_4)
	v_min3_f32 v63, v80, v63, v128
	v_add_co_ci_u32_e32 v57, vcc_lo, v59, v57, vcc_lo
	v_min_f32_e32 v80, v129, v81
	s_delay_alu instid0(VALU_DEP_1) | instskip(SKIP_3) | instid1(SALU_CYCLE_1)
	v_min3_f32 v62, v62, v80, v63
	global_store_b32 v[56:57], v62, off
	s_or_b32 exec_lo, exec_lo, s14
	s_and_b32 s16, s4, s8
	s_and_saveexec_b32 s14, s16
	s_cbranch_execz .LBB26_138
.LBB26_157:
	v_cmp_ne_u32_e32 vcc_lo, 1, v105
	v_lshlrev_b64 v[56:57], 2, v[72:73]
	s_cbranch_vccnz .LBB26_159
; %bb.158:
	s_delay_alu instid0(VALU_DEP_1) | instskip(NEXT) | instid1(VALU_DEP_2)
	v_add_co_u32 v62, vcc_lo, v60, v56
	v_add_co_ci_u32_e32 v63, vcc_lo, v61, v57, vcc_lo
	flat_load_b32 v62, v[62:63]
	s_waitcnt vmcnt(0) lgkmcnt(0)
	v_mul_f32_e32 v62, s15, v62
	s_branch .LBB26_160
.LBB26_159:
	v_mov_b32_e32 v62, 0
.LBB26_160:
	v_dual_add_f32 v63, v17, v53 :: v_dual_add_f32 v80, v16, v52
	v_dual_add_f32 v81, v19, v55 :: v_dual_add_f32 v128, v18, v54
	s_delay_alu instid0(VALU_DEP_4) | instskip(NEXT) | instid1(VALU_DEP_3)
	v_add_co_u32 v56, vcc_lo, v58, v56
	v_min3_f32 v63, v80, v63, v127
	v_add_co_ci_u32_e32 v57, vcc_lo, v59, v57, vcc_lo
	s_delay_alu instid0(VALU_DEP_4) | instskip(NEXT) | instid1(VALU_DEP_1)
	v_min_f32_e32 v80, v128, v81
	v_min3_f32 v62, v62, v80, v63
	global_store_b32 v[56:57], v62, off
	s_or_b32 exec_lo, exec_lo, s14
	s_and_b32 s16, s5, s8
	s_delay_alu instid0(SALU_CYCLE_1)
	s_and_saveexec_b32 s14, s16
	s_cbranch_execz .LBB26_139
.LBB26_161:
	v_cmp_ne_u32_e32 vcc_lo, 1, v105
	v_lshlrev_b64 v[56:57], 2, v[74:75]
	s_cbranch_vccnz .LBB26_163
; %bb.162:
	s_delay_alu instid0(VALU_DEP_1) | instskip(NEXT) | instid1(VALU_DEP_2)
	v_add_co_u32 v62, vcc_lo, v60, v56
	v_add_co_ci_u32_e32 v63, vcc_lo, v61, v57, vcc_lo
	flat_load_b32 v62, v[62:63]
	s_waitcnt vmcnt(0) lgkmcnt(0)
	v_mul_f32_e32 v62, s15, v62
	s_branch .LBB26_164
.LBB26_163:
	v_mov_b32_e32 v62, 0
.LBB26_164:
	v_dual_add_f32 v63, v13, v53 :: v_dual_add_f32 v80, v12, v52
	v_add_f32_e32 v81, v15, v55
	v_add_f32_e32 v127, v14, v54
	v_add_co_u32 v56, vcc_lo, v58, v56
	s_delay_alu instid0(VALU_DEP_4) | instskip(SKIP_1) | instid1(VALU_DEP_4)
	v_min3_f32 v63, v80, v63, v126
	v_add_co_ci_u32_e32 v57, vcc_lo, v59, v57, vcc_lo
	v_min_f32_e32 v80, v127, v81
	s_delay_alu instid0(VALU_DEP_1) | instskip(SKIP_3) | instid1(SALU_CYCLE_1)
	v_min3_f32 v62, v62, v80, v63
	global_store_b32 v[56:57], v62, off
	s_or_b32 exec_lo, exec_lo, s14
	s_and_b32 s16, s6, s8
	s_and_saveexec_b32 s14, s16
	s_cbranch_execz .LBB26_140
.LBB26_165:
	v_cmp_ne_u32_e32 vcc_lo, 1, v105
	v_lshlrev_b64 v[56:57], 2, v[76:77]
	s_cbranch_vccnz .LBB26_167
; %bb.166:
	s_delay_alu instid0(VALU_DEP_1) | instskip(NEXT) | instid1(VALU_DEP_2)
	v_add_co_u32 v62, vcc_lo, v60, v56
	v_add_co_ci_u32_e32 v63, vcc_lo, v61, v57, vcc_lo
	flat_load_b32 v62, v[62:63]
	s_waitcnt vmcnt(0) lgkmcnt(0)
	v_mul_f32_e32 v62, s15, v62
	s_branch .LBB26_168
.LBB26_167:
	v_mov_b32_e32 v62, 0
.LBB26_168:
	v_dual_add_f32 v63, v9, v53 :: v_dual_add_f32 v80, v8, v52
	v_dual_add_f32 v81, v11, v55 :: v_dual_add_f32 v126, v10, v54
	s_delay_alu instid0(VALU_DEP_4) | instskip(NEXT) | instid1(VALU_DEP_3)
	v_add_co_u32 v56, vcc_lo, v58, v56
	v_min3_f32 v63, v80, v63, v125
	v_add_co_ci_u32_e32 v57, vcc_lo, v59, v57, vcc_lo
	s_delay_alu instid0(VALU_DEP_4) | instskip(NEXT) | instid1(VALU_DEP_1)
	v_min_f32_e32 v80, v126, v81
	v_min3_f32 v62, v62, v80, v63
	global_store_b32 v[56:57], v62, off
	s_or_b32 exec_lo, exec_lo, s14
	s_and_b32 s14, s7, s8
	s_delay_alu instid0(SALU_CYCLE_1)
	s_and_saveexec_b32 s8, s14
	s_cbranch_execz .LBB26_173
.LBB26_169:
	v_cmp_ne_u32_e32 vcc_lo, 1, v105
	v_lshlrev_b64 v[56:57], 2, v[78:79]
	s_cbranch_vccnz .LBB26_171
; %bb.170:
	s_delay_alu instid0(VALU_DEP_1) | instskip(NEXT) | instid1(VALU_DEP_2)
	v_add_co_u32 v60, vcc_lo, v60, v56
	v_add_co_ci_u32_e32 v61, vcc_lo, v61, v57, vcc_lo
	flat_load_b32 v60, v[60:61]
	s_waitcnt vmcnt(0) lgkmcnt(0)
	v_mul_f32_e32 v60, s15, v60
	s_branch .LBB26_172
.LBB26_171:
	v_mov_b32_e32 v60, 0
.LBB26_172:
	v_dual_add_f32 v53, v1, v53 :: v_dual_add_f32 v52, v0, v52
	v_dual_add_f32 v55, v3, v55 :: v_dual_add_f32 v54, v2, v54
	s_delay_alu instid0(VALU_DEP_2) | instskip(NEXT) | instid1(VALU_DEP_2)
	v_min3_f32 v52, v52, v53, v124
	v_min_f32_e32 v53, v54, v55
	s_delay_alu instid0(VALU_DEP_1)
	v_min3_f32 v54, v60, v53, v52
	v_add_co_u32 v52, vcc_lo, v58, v56
	v_add_co_ci_u32_e32 v53, vcc_lo, v59, v57, vcc_lo
	global_store_b32 v[52:53], v54, off
.LBB26_173:
	s_or_b32 exec_lo, exec_lo, s8
	v_add_nc_u32_e32 v56, 0x60, v113
	s_delay_alu instid0(VALU_DEP_1) | instskip(SKIP_2) | instid1(VALU_DEP_3)
	v_mad_i64_i32 v[52:53], null, v56, s18, 0
	v_mad_i64_i32 v[54:55], null, v56, s9, 0
	v_cmp_gt_i32_e64 s8, s17, v56
	v_lshlrev_b64 v[52:53], 2, v[52:53]
	s_delay_alu instid0(VALU_DEP_2) | instskip(NEXT) | instid1(VALU_DEP_3)
	s_and_b32 s16, s0, s8
	v_lshlrev_b64 v[54:55], 2, v[54:55]
	s_delay_alu instid0(VALU_DEP_2) | instskip(NEXT) | instid1(VALU_DEP_3)
	v_add_co_u32 v56, vcc_lo, s10, v52
	v_add_co_ci_u32_e32 v57, vcc_lo, s11, v53, vcc_lo
	s_delay_alu instid0(VALU_DEP_3) | instskip(NEXT) | instid1(VALU_DEP_4)
	v_add_co_u32 v54, vcc_lo, s12, v54
	v_add_co_ci_u32_e32 v55, vcc_lo, s13, v55, vcc_lo
	s_and_saveexec_b32 s14, s16
	s_cbranch_execnz .LBB26_181
; %bb.174:
	s_or_b32 exec_lo, exec_lo, s14
	s_and_b32 s16, s1, s8
	s_delay_alu instid0(SALU_CYCLE_1)
	s_and_saveexec_b32 s14, s16
	s_cbranch_execnz .LBB26_185
.LBB26_175:
	s_or_b32 exec_lo, exec_lo, s14
	s_and_b32 s16, s2, s8
	s_delay_alu instid0(SALU_CYCLE_1)
	s_and_saveexec_b32 s14, s16
	s_cbranch_execnz .LBB26_189
.LBB26_176:
	s_or_b32 exec_lo, exec_lo, s14
	s_and_b32 s16, s3, s8
	s_delay_alu instid0(SALU_CYCLE_1)
	s_and_saveexec_b32 s14, s16
	s_cbranch_execnz .LBB26_193
.LBB26_177:
	s_or_b32 exec_lo, exec_lo, s14
	s_and_b32 s16, s4, s8
	s_delay_alu instid0(SALU_CYCLE_1)
	s_and_saveexec_b32 s14, s16
	s_cbranch_execnz .LBB26_197
.LBB26_178:
	s_or_b32 exec_lo, exec_lo, s14
	s_and_b32 s16, s5, s8
	s_delay_alu instid0(SALU_CYCLE_1)
	s_and_saveexec_b32 s14, s16
	s_cbranch_execnz .LBB26_201
.LBB26_179:
	s_or_b32 exec_lo, exec_lo, s14
	s_and_b32 s16, s6, s8
	s_delay_alu instid0(SALU_CYCLE_1)
	s_and_saveexec_b32 s14, s16
	s_cbranch_execnz .LBB26_205
.LBB26_180:
	s_or_b32 exec_lo, exec_lo, s14
	s_and_b32 s14, s7, s8
	s_delay_alu instid0(SALU_CYCLE_1)
	s_and_saveexec_b32 s8, s14
	s_cbranch_execnz .LBB26_209
	s_branch .LBB26_213
.LBB26_181:
	v_cmp_ne_u32_e32 vcc_lo, 1, v105
	v_lshlrev_b64 v[52:53], 2, v[64:65]
	s_cbranch_vccnz .LBB26_183
; %bb.182:
	s_delay_alu instid0(VALU_DEP_1) | instskip(NEXT) | instid1(VALU_DEP_2)
	v_add_co_u32 v58, vcc_lo, v56, v52
	v_add_co_ci_u32_e32 v59, vcc_lo, v57, v53, vcc_lo
	flat_load_b32 v58, v[58:59]
	s_waitcnt vmcnt(0) lgkmcnt(0)
	v_mul_f32_e32 v58, s15, v58
	s_branch .LBB26_184
.LBB26_183:
	v_mov_b32_e32 v58, 0
.LBB26_184:
	v_dual_add_f32 v59, v33, v49 :: v_dual_add_f32 v60, v32, v48
	v_dual_add_f32 v61, v35, v51 :: v_dual_add_f32 v62, v34, v50
	s_delay_alu instid0(VALU_DEP_4) | instskip(NEXT) | instid1(VALU_DEP_3)
	v_add_co_u32 v52, vcc_lo, v54, v52
	v_min3_f32 v59, v60, v59, v123
	v_add_co_ci_u32_e32 v53, vcc_lo, v55, v53, vcc_lo
	s_delay_alu instid0(VALU_DEP_4) | instskip(NEXT) | instid1(VALU_DEP_1)
	v_min_f32_e32 v60, v62, v61
	v_min3_f32 v58, v58, v60, v59
	global_store_b32 v[52:53], v58, off
	s_or_b32 exec_lo, exec_lo, s14
	s_and_b32 s16, s1, s8
	s_delay_alu instid0(SALU_CYCLE_1)
	s_and_saveexec_b32 s14, s16
	s_cbranch_execz .LBB26_175
.LBB26_185:
	v_cmp_ne_u32_e32 vcc_lo, 1, v105
	v_lshlrev_b64 v[52:53], 2, v[66:67]
	s_cbranch_vccnz .LBB26_187
; %bb.186:
	s_delay_alu instid0(VALU_DEP_1) | instskip(NEXT) | instid1(VALU_DEP_2)
	v_add_co_u32 v58, vcc_lo, v56, v52
	v_add_co_ci_u32_e32 v59, vcc_lo, v57, v53, vcc_lo
	flat_load_b32 v58, v[58:59]
	s_waitcnt vmcnt(0) lgkmcnt(0)
	v_mul_f32_e32 v58, s15, v58
	s_branch .LBB26_188
.LBB26_187:
	v_mov_b32_e32 v58, 0
.LBB26_188:
	v_dual_add_f32 v59, v29, v49 :: v_dual_add_f32 v60, v28, v48
	v_dual_add_f32 v61, v31, v51 :: v_dual_add_f32 v62, v30, v50
	s_delay_alu instid0(VALU_DEP_4) | instskip(NEXT) | instid1(VALU_DEP_3)
	v_add_co_u32 v52, vcc_lo, v54, v52
	v_min3_f32 v59, v60, v59, v122
	v_add_co_ci_u32_e32 v53, vcc_lo, v55, v53, vcc_lo
	s_delay_alu instid0(VALU_DEP_4) | instskip(NEXT) | instid1(VALU_DEP_1)
	v_min_f32_e32 v60, v62, v61
	v_min3_f32 v58, v58, v60, v59
	global_store_b32 v[52:53], v58, off
	s_or_b32 exec_lo, exec_lo, s14
	s_and_b32 s16, s2, s8
	s_delay_alu instid0(SALU_CYCLE_1)
	s_and_saveexec_b32 s14, s16
	s_cbranch_execz .LBB26_176
.LBB26_189:
	v_cmp_ne_u32_e32 vcc_lo, 1, v105
	v_lshlrev_b64 v[52:53], 2, v[68:69]
	s_cbranch_vccnz .LBB26_191
; %bb.190:
	s_delay_alu instid0(VALU_DEP_1) | instskip(NEXT) | instid1(VALU_DEP_2)
	v_add_co_u32 v58, vcc_lo, v56, v52
	v_add_co_ci_u32_e32 v59, vcc_lo, v57, v53, vcc_lo
	flat_load_b32 v58, v[58:59]
	s_waitcnt vmcnt(0) lgkmcnt(0)
	v_mul_f32_e32 v58, s15, v58
	s_branch .LBB26_192
.LBB26_191:
	v_mov_b32_e32 v58, 0
.LBB26_192:
	v_dual_add_f32 v59, v25, v49 :: v_dual_add_f32 v60, v24, v48
	v_dual_add_f32 v61, v27, v51 :: v_dual_add_f32 v62, v26, v50
	s_delay_alu instid0(VALU_DEP_4) | instskip(NEXT) | instid1(VALU_DEP_3)
	v_add_co_u32 v52, vcc_lo, v54, v52
	v_min3_f32 v59, v60, v59, v121
	v_add_co_ci_u32_e32 v53, vcc_lo, v55, v53, vcc_lo
	s_delay_alu instid0(VALU_DEP_4) | instskip(NEXT) | instid1(VALU_DEP_1)
	v_min_f32_e32 v60, v62, v61
	v_min3_f32 v58, v58, v60, v59
	global_store_b32 v[52:53], v58, off
	s_or_b32 exec_lo, exec_lo, s14
	s_and_b32 s16, s3, s8
	s_delay_alu instid0(SALU_CYCLE_1)
	s_and_saveexec_b32 s14, s16
	s_cbranch_execz .LBB26_177
.LBB26_193:
	v_cmp_ne_u32_e32 vcc_lo, 1, v105
	v_lshlrev_b64 v[52:53], 2, v[70:71]
	s_cbranch_vccnz .LBB26_195
; %bb.194:
	s_delay_alu instid0(VALU_DEP_1) | instskip(NEXT) | instid1(VALU_DEP_2)
	v_add_co_u32 v58, vcc_lo, v56, v52
	v_add_co_ci_u32_e32 v59, vcc_lo, v57, v53, vcc_lo
	flat_load_b32 v58, v[58:59]
	s_waitcnt vmcnt(0) lgkmcnt(0)
	v_mul_f32_e32 v58, s15, v58
	s_branch .LBB26_196
.LBB26_195:
	v_mov_b32_e32 v58, 0
.LBB26_196:
	v_dual_add_f32 v59, v21, v49 :: v_dual_add_f32 v60, v20, v48
	v_dual_add_f32 v61, v23, v51 :: v_dual_add_f32 v62, v22, v50
	s_delay_alu instid0(VALU_DEP_4) | instskip(NEXT) | instid1(VALU_DEP_3)
	v_add_co_u32 v52, vcc_lo, v54, v52
	v_min3_f32 v59, v60, v59, v120
	v_add_co_ci_u32_e32 v53, vcc_lo, v55, v53, vcc_lo
	s_delay_alu instid0(VALU_DEP_4) | instskip(NEXT) | instid1(VALU_DEP_1)
	v_min_f32_e32 v60, v62, v61
	v_min3_f32 v58, v58, v60, v59
	global_store_b32 v[52:53], v58, off
	s_or_b32 exec_lo, exec_lo, s14
	s_and_b32 s16, s4, s8
	s_delay_alu instid0(SALU_CYCLE_1)
	s_and_saveexec_b32 s14, s16
	s_cbranch_execz .LBB26_178
.LBB26_197:
	v_cmp_ne_u32_e32 vcc_lo, 1, v105
	v_lshlrev_b64 v[52:53], 2, v[72:73]
	s_cbranch_vccnz .LBB26_199
; %bb.198:
	s_delay_alu instid0(VALU_DEP_1) | instskip(NEXT) | instid1(VALU_DEP_2)
	v_add_co_u32 v58, vcc_lo, v56, v52
	v_add_co_ci_u32_e32 v59, vcc_lo, v57, v53, vcc_lo
	flat_load_b32 v58, v[58:59]
	s_waitcnt vmcnt(0) lgkmcnt(0)
	v_mul_f32_e32 v58, s15, v58
	s_branch .LBB26_200
.LBB26_199:
	v_mov_b32_e32 v58, 0
.LBB26_200:
	v_dual_add_f32 v59, v17, v49 :: v_dual_add_f32 v60, v16, v48
	v_dual_add_f32 v61, v19, v51 :: v_dual_add_f32 v62, v18, v50
	s_delay_alu instid0(VALU_DEP_4) | instskip(NEXT) | instid1(VALU_DEP_3)
	v_add_co_u32 v52, vcc_lo, v54, v52
	v_min3_f32 v59, v60, v59, v119
	v_add_co_ci_u32_e32 v53, vcc_lo, v55, v53, vcc_lo
	s_delay_alu instid0(VALU_DEP_4) | instskip(NEXT) | instid1(VALU_DEP_1)
	v_min_f32_e32 v60, v62, v61
	v_min3_f32 v58, v58, v60, v59
	global_store_b32 v[52:53], v58, off
	s_or_b32 exec_lo, exec_lo, s14
	s_and_b32 s16, s5, s8
	s_delay_alu instid0(SALU_CYCLE_1)
	s_and_saveexec_b32 s14, s16
	s_cbranch_execz .LBB26_179
.LBB26_201:
	v_cmp_ne_u32_e32 vcc_lo, 1, v105
	v_lshlrev_b64 v[52:53], 2, v[74:75]
	s_cbranch_vccnz .LBB26_203
; %bb.202:
	s_delay_alu instid0(VALU_DEP_1) | instskip(NEXT) | instid1(VALU_DEP_2)
	v_add_co_u32 v58, vcc_lo, v56, v52
	v_add_co_ci_u32_e32 v59, vcc_lo, v57, v53, vcc_lo
	flat_load_b32 v58, v[58:59]
	s_waitcnt vmcnt(0) lgkmcnt(0)
	v_mul_f32_e32 v58, s15, v58
	s_branch .LBB26_204
.LBB26_203:
	v_mov_b32_e32 v58, 0
.LBB26_204:
	v_dual_add_f32 v59, v13, v49 :: v_dual_add_f32 v60, v12, v48
	v_dual_add_f32 v61, v15, v51 :: v_dual_add_f32 v62, v14, v50
	s_delay_alu instid0(VALU_DEP_4) | instskip(NEXT) | instid1(VALU_DEP_3)
	v_add_co_u32 v52, vcc_lo, v54, v52
	v_min3_f32 v59, v60, v59, v118
	v_add_co_ci_u32_e32 v53, vcc_lo, v55, v53, vcc_lo
	s_delay_alu instid0(VALU_DEP_4) | instskip(NEXT) | instid1(VALU_DEP_1)
	v_min_f32_e32 v60, v62, v61
	v_min3_f32 v58, v58, v60, v59
	global_store_b32 v[52:53], v58, off
	s_or_b32 exec_lo, exec_lo, s14
	s_and_b32 s16, s6, s8
	s_delay_alu instid0(SALU_CYCLE_1)
	s_and_saveexec_b32 s14, s16
	s_cbranch_execz .LBB26_180
.LBB26_205:
	v_cmp_ne_u32_e32 vcc_lo, 1, v105
	v_lshlrev_b64 v[52:53], 2, v[76:77]
	s_cbranch_vccnz .LBB26_207
; %bb.206:
	s_delay_alu instid0(VALU_DEP_1) | instskip(NEXT) | instid1(VALU_DEP_2)
	v_add_co_u32 v58, vcc_lo, v56, v52
	v_add_co_ci_u32_e32 v59, vcc_lo, v57, v53, vcc_lo
	flat_load_b32 v58, v[58:59]
	s_waitcnt vmcnt(0) lgkmcnt(0)
	v_mul_f32_e32 v58, s15, v58
	s_branch .LBB26_208
.LBB26_207:
	v_mov_b32_e32 v58, 0
.LBB26_208:
	v_dual_add_f32 v59, v9, v49 :: v_dual_add_f32 v60, v8, v48
	v_dual_add_f32 v61, v11, v51 :: v_dual_add_f32 v62, v10, v50
	s_delay_alu instid0(VALU_DEP_4) | instskip(NEXT) | instid1(VALU_DEP_3)
	v_add_co_u32 v52, vcc_lo, v54, v52
	v_min3_f32 v59, v60, v59, v117
	v_add_co_ci_u32_e32 v53, vcc_lo, v55, v53, vcc_lo
	s_delay_alu instid0(VALU_DEP_4) | instskip(NEXT) | instid1(VALU_DEP_1)
	v_min_f32_e32 v60, v62, v61
	v_min3_f32 v58, v58, v60, v59
	global_store_b32 v[52:53], v58, off
	s_or_b32 exec_lo, exec_lo, s14
	s_and_b32 s14, s7, s8
	s_delay_alu instid0(SALU_CYCLE_1)
	s_and_saveexec_b32 s8, s14
	s_cbranch_execz .LBB26_213
.LBB26_209:
	v_cmp_ne_u32_e32 vcc_lo, 1, v105
	v_lshlrev_b64 v[52:53], 2, v[78:79]
	s_cbranch_vccnz .LBB26_211
; %bb.210:
	s_delay_alu instid0(VALU_DEP_1) | instskip(NEXT) | instid1(VALU_DEP_2)
	v_add_co_u32 v56, vcc_lo, v56, v52
	v_add_co_ci_u32_e32 v57, vcc_lo, v57, v53, vcc_lo
	flat_load_b32 v56, v[56:57]
	s_waitcnt vmcnt(0) lgkmcnt(0)
	v_mul_f32_e32 v56, s15, v56
	s_branch .LBB26_212
.LBB26_211:
	v_mov_b32_e32 v56, 0
.LBB26_212:
	v_dual_add_f32 v49, v1, v49 :: v_dual_add_f32 v48, v0, v48
	v_dual_add_f32 v51, v3, v51 :: v_dual_add_f32 v50, v2, v50
	s_delay_alu instid0(VALU_DEP_2) | instskip(NEXT) | instid1(VALU_DEP_2)
	v_min3_f32 v48, v48, v49, v116
	v_min_f32_e32 v49, v50, v51
	s_delay_alu instid0(VALU_DEP_1)
	v_min3_f32 v50, v56, v49, v48
	v_add_co_u32 v48, vcc_lo, v54, v52
	v_add_co_ci_u32_e32 v49, vcc_lo, v55, v53, vcc_lo
	global_store_b32 v[48:49], v50, off
.LBB26_213:
	s_or_b32 exec_lo, exec_lo, s8
	v_add_nc_u32_e32 v52, 0x80, v113
	s_delay_alu instid0(VALU_DEP_1) | instskip(SKIP_2) | instid1(VALU_DEP_3)
	v_mad_i64_i32 v[48:49], null, v52, s18, 0
	v_mad_i64_i32 v[50:51], null, v52, s9, 0
	v_cmp_gt_i32_e64 s8, s17, v52
	v_lshlrev_b64 v[48:49], 2, v[48:49]
	s_delay_alu instid0(VALU_DEP_2) | instskip(NEXT) | instid1(VALU_DEP_3)
	s_and_b32 s16, s0, s8
	v_lshlrev_b64 v[50:51], 2, v[50:51]
	s_delay_alu instid0(VALU_DEP_2) | instskip(NEXT) | instid1(VALU_DEP_3)
	v_add_co_u32 v52, vcc_lo, s10, v48
	v_add_co_ci_u32_e32 v53, vcc_lo, s11, v49, vcc_lo
	s_delay_alu instid0(VALU_DEP_3) | instskip(NEXT) | instid1(VALU_DEP_4)
	v_add_co_u32 v50, vcc_lo, s12, v50
	v_add_co_ci_u32_e32 v51, vcc_lo, s13, v51, vcc_lo
	s_and_saveexec_b32 s14, s16
	s_cbranch_execnz .LBB26_221
; %bb.214:
	s_or_b32 exec_lo, exec_lo, s14
	s_and_b32 s16, s1, s8
	s_delay_alu instid0(SALU_CYCLE_1)
	s_and_saveexec_b32 s14, s16
	s_cbranch_execnz .LBB26_225
.LBB26_215:
	s_or_b32 exec_lo, exec_lo, s14
	s_and_b32 s16, s2, s8
	s_delay_alu instid0(SALU_CYCLE_1)
	s_and_saveexec_b32 s14, s16
	s_cbranch_execnz .LBB26_229
.LBB26_216:
	s_or_b32 exec_lo, exec_lo, s14
	s_and_b32 s16, s3, s8
	s_delay_alu instid0(SALU_CYCLE_1)
	s_and_saveexec_b32 s14, s16
	s_cbranch_execnz .LBB26_233
.LBB26_217:
	s_or_b32 exec_lo, exec_lo, s14
	s_and_b32 s16, s4, s8
	s_delay_alu instid0(SALU_CYCLE_1)
	s_and_saveexec_b32 s14, s16
	s_cbranch_execnz .LBB26_237
.LBB26_218:
	s_or_b32 exec_lo, exec_lo, s14
	s_and_b32 s16, s5, s8
	s_delay_alu instid0(SALU_CYCLE_1)
	s_and_saveexec_b32 s14, s16
	s_cbranch_execnz .LBB26_241
.LBB26_219:
	s_or_b32 exec_lo, exec_lo, s14
	s_and_b32 s16, s6, s8
	s_delay_alu instid0(SALU_CYCLE_1)
	s_and_saveexec_b32 s14, s16
	s_cbranch_execnz .LBB26_245
.LBB26_220:
	s_or_b32 exec_lo, exec_lo, s14
	s_and_b32 s14, s7, s8
	s_delay_alu instid0(SALU_CYCLE_1)
	s_and_saveexec_b32 s8, s14
	s_cbranch_execnz .LBB26_249
	s_branch .LBB26_253
.LBB26_221:
	v_cmp_ne_u32_e32 vcc_lo, 1, v105
	v_lshlrev_b64 v[48:49], 2, v[64:65]
	s_cbranch_vccnz .LBB26_223
; %bb.222:
	s_delay_alu instid0(VALU_DEP_1) | instskip(NEXT) | instid1(VALU_DEP_2)
	v_add_co_u32 v54, vcc_lo, v52, v48
	v_add_co_ci_u32_e32 v55, vcc_lo, v53, v49, vcc_lo
	flat_load_b32 v54, v[54:55]
	s_waitcnt vmcnt(0) lgkmcnt(0)
	v_mul_f32_e32 v54, s15, v54
	s_branch .LBB26_224
.LBB26_223:
	v_mov_b32_e32 v54, 0
.LBB26_224:
	v_dual_add_f32 v55, v33, v45 :: v_dual_add_f32 v56, v32, v44
	v_dual_add_f32 v57, v35, v47 :: v_dual_add_f32 v58, v34, v46
	s_delay_alu instid0(VALU_DEP_4) | instskip(NEXT) | instid1(VALU_DEP_3)
	v_add_co_u32 v48, vcc_lo, v50, v48
	v_min3_f32 v55, v56, v55, v115
	v_add_co_ci_u32_e32 v49, vcc_lo, v51, v49, vcc_lo
	s_delay_alu instid0(VALU_DEP_4) | instskip(NEXT) | instid1(VALU_DEP_1)
	v_min_f32_e32 v56, v58, v57
	v_min3_f32 v54, v54, v56, v55
	global_store_b32 v[48:49], v54, off
	s_or_b32 exec_lo, exec_lo, s14
	s_and_b32 s16, s1, s8
	s_delay_alu instid0(SALU_CYCLE_1)
	s_and_saveexec_b32 s14, s16
	s_cbranch_execz .LBB26_215
.LBB26_225:
	v_cmp_ne_u32_e32 vcc_lo, 1, v105
	v_lshlrev_b64 v[48:49], 2, v[66:67]
	s_cbranch_vccnz .LBB26_227
; %bb.226:
	s_delay_alu instid0(VALU_DEP_1) | instskip(NEXT) | instid1(VALU_DEP_2)
	v_add_co_u32 v54, vcc_lo, v52, v48
	v_add_co_ci_u32_e32 v55, vcc_lo, v53, v49, vcc_lo
	flat_load_b32 v54, v[54:55]
	s_waitcnt vmcnt(0) lgkmcnt(0)
	v_mul_f32_e32 v54, s15, v54
	s_branch .LBB26_228
.LBB26_227:
	v_mov_b32_e32 v54, 0
.LBB26_228:
	v_dual_add_f32 v55, v29, v45 :: v_dual_add_f32 v56, v28, v44
	v_dual_add_f32 v57, v31, v47 :: v_dual_add_f32 v58, v30, v46
	s_delay_alu instid0(VALU_DEP_4) | instskip(NEXT) | instid1(VALU_DEP_3)
	v_add_co_u32 v48, vcc_lo, v50, v48
	v_min3_f32 v55, v56, v55, v114
	v_add_co_ci_u32_e32 v49, vcc_lo, v51, v49, vcc_lo
	s_delay_alu instid0(VALU_DEP_4) | instskip(NEXT) | instid1(VALU_DEP_1)
	v_min_f32_e32 v56, v58, v57
	v_min3_f32 v54, v54, v56, v55
	global_store_b32 v[48:49], v54, off
	s_or_b32 exec_lo, exec_lo, s14
	s_and_b32 s16, s2, s8
	s_delay_alu instid0(SALU_CYCLE_1)
	s_and_saveexec_b32 s14, s16
	s_cbranch_execz .LBB26_216
.LBB26_229:
	v_cmp_ne_u32_e32 vcc_lo, 1, v105
	v_lshlrev_b64 v[48:49], 2, v[68:69]
	s_cbranch_vccnz .LBB26_231
; %bb.230:
	s_delay_alu instid0(VALU_DEP_1) | instskip(NEXT) | instid1(VALU_DEP_2)
	v_add_co_u32 v54, vcc_lo, v52, v48
	v_add_co_ci_u32_e32 v55, vcc_lo, v53, v49, vcc_lo
	flat_load_b32 v54, v[54:55]
	s_waitcnt vmcnt(0) lgkmcnt(0)
	v_mul_f32_e32 v54, s15, v54
	s_branch .LBB26_232
.LBB26_231:
	v_mov_b32_e32 v54, 0
.LBB26_232:
	v_dual_add_f32 v55, v25, v45 :: v_dual_add_f32 v56, v24, v44
	v_dual_add_f32 v57, v27, v47 :: v_dual_add_f32 v58, v26, v46
	s_delay_alu instid0(VALU_DEP_4) | instskip(NEXT) | instid1(VALU_DEP_3)
	v_add_co_u32 v48, vcc_lo, v50, v48
	v_min3_f32 v55, v56, v55, v112
	v_add_co_ci_u32_e32 v49, vcc_lo, v51, v49, vcc_lo
	s_delay_alu instid0(VALU_DEP_4) | instskip(NEXT) | instid1(VALU_DEP_1)
	v_min_f32_e32 v56, v58, v57
	v_min3_f32 v54, v54, v56, v55
	global_store_b32 v[48:49], v54, off
	s_or_b32 exec_lo, exec_lo, s14
	s_and_b32 s16, s3, s8
	s_delay_alu instid0(SALU_CYCLE_1)
	s_and_saveexec_b32 s14, s16
	s_cbranch_execz .LBB26_217
.LBB26_233:
	v_cmp_ne_u32_e32 vcc_lo, 1, v105
	v_lshlrev_b64 v[48:49], 2, v[70:71]
	s_cbranch_vccnz .LBB26_235
; %bb.234:
	s_delay_alu instid0(VALU_DEP_1) | instskip(NEXT) | instid1(VALU_DEP_2)
	v_add_co_u32 v54, vcc_lo, v52, v48
	v_add_co_ci_u32_e32 v55, vcc_lo, v53, v49, vcc_lo
	flat_load_b32 v54, v[54:55]
	s_waitcnt vmcnt(0) lgkmcnt(0)
	v_mul_f32_e32 v54, s15, v54
	s_branch .LBB26_236
.LBB26_235:
	v_mov_b32_e32 v54, 0
.LBB26_236:
	v_dual_add_f32 v55, v21, v45 :: v_dual_add_f32 v56, v20, v44
	v_dual_add_f32 v57, v23, v47 :: v_dual_add_f32 v58, v22, v46
	s_delay_alu instid0(VALU_DEP_4) | instskip(NEXT) | instid1(VALU_DEP_3)
	v_add_co_u32 v48, vcc_lo, v50, v48
	v_min3_f32 v55, v56, v55, v111
	v_add_co_ci_u32_e32 v49, vcc_lo, v51, v49, vcc_lo
	s_delay_alu instid0(VALU_DEP_4) | instskip(NEXT) | instid1(VALU_DEP_1)
	v_min_f32_e32 v56, v58, v57
	v_min3_f32 v54, v54, v56, v55
	global_store_b32 v[48:49], v54, off
	s_or_b32 exec_lo, exec_lo, s14
	s_and_b32 s16, s4, s8
	s_delay_alu instid0(SALU_CYCLE_1)
	s_and_saveexec_b32 s14, s16
	s_cbranch_execz .LBB26_218
.LBB26_237:
	v_cmp_ne_u32_e32 vcc_lo, 1, v105
	v_lshlrev_b64 v[48:49], 2, v[72:73]
	s_cbranch_vccnz .LBB26_239
; %bb.238:
	s_delay_alu instid0(VALU_DEP_1) | instskip(NEXT) | instid1(VALU_DEP_2)
	v_add_co_u32 v54, vcc_lo, v52, v48
	v_add_co_ci_u32_e32 v55, vcc_lo, v53, v49, vcc_lo
	flat_load_b32 v54, v[54:55]
	s_waitcnt vmcnt(0) lgkmcnt(0)
	v_mul_f32_e32 v54, s15, v54
	s_branch .LBB26_240
.LBB26_239:
	v_mov_b32_e32 v54, 0
.LBB26_240:
	v_dual_add_f32 v55, v17, v45 :: v_dual_add_f32 v56, v16, v44
	v_dual_add_f32 v57, v19, v47 :: v_dual_add_f32 v58, v18, v46
	s_delay_alu instid0(VALU_DEP_4) | instskip(NEXT) | instid1(VALU_DEP_3)
	v_add_co_u32 v48, vcc_lo, v50, v48
	v_min3_f32 v55, v56, v55, v110
	v_add_co_ci_u32_e32 v49, vcc_lo, v51, v49, vcc_lo
	s_delay_alu instid0(VALU_DEP_4) | instskip(NEXT) | instid1(VALU_DEP_1)
	v_min_f32_e32 v56, v58, v57
	v_min3_f32 v54, v54, v56, v55
	global_store_b32 v[48:49], v54, off
	s_or_b32 exec_lo, exec_lo, s14
	s_and_b32 s16, s5, s8
	s_delay_alu instid0(SALU_CYCLE_1)
	s_and_saveexec_b32 s14, s16
	s_cbranch_execz .LBB26_219
.LBB26_241:
	v_cmp_ne_u32_e32 vcc_lo, 1, v105
	v_lshlrev_b64 v[48:49], 2, v[74:75]
	s_cbranch_vccnz .LBB26_243
; %bb.242:
	s_delay_alu instid0(VALU_DEP_1) | instskip(NEXT) | instid1(VALU_DEP_2)
	v_add_co_u32 v54, vcc_lo, v52, v48
	v_add_co_ci_u32_e32 v55, vcc_lo, v53, v49, vcc_lo
	flat_load_b32 v54, v[54:55]
	s_waitcnt vmcnt(0) lgkmcnt(0)
	v_mul_f32_e32 v54, s15, v54
	s_branch .LBB26_244
.LBB26_243:
	v_mov_b32_e32 v54, 0
.LBB26_244:
	v_dual_add_f32 v55, v13, v45 :: v_dual_add_f32 v56, v12, v44
	v_dual_add_f32 v57, v15, v47 :: v_dual_add_f32 v58, v14, v46
	s_delay_alu instid0(VALU_DEP_4) | instskip(NEXT) | instid1(VALU_DEP_3)
	v_add_co_u32 v48, vcc_lo, v50, v48
	v_min3_f32 v55, v56, v55, v109
	v_add_co_ci_u32_e32 v49, vcc_lo, v51, v49, vcc_lo
	s_delay_alu instid0(VALU_DEP_4) | instskip(NEXT) | instid1(VALU_DEP_1)
	v_min_f32_e32 v56, v58, v57
	v_min3_f32 v54, v54, v56, v55
	global_store_b32 v[48:49], v54, off
	s_or_b32 exec_lo, exec_lo, s14
	s_and_b32 s16, s6, s8
	s_delay_alu instid0(SALU_CYCLE_1)
	s_and_saveexec_b32 s14, s16
	s_cbranch_execz .LBB26_220
.LBB26_245:
	v_cmp_ne_u32_e32 vcc_lo, 1, v105
	v_lshlrev_b64 v[48:49], 2, v[76:77]
	s_cbranch_vccnz .LBB26_247
; %bb.246:
	s_delay_alu instid0(VALU_DEP_1) | instskip(NEXT) | instid1(VALU_DEP_2)
	v_add_co_u32 v54, vcc_lo, v52, v48
	v_add_co_ci_u32_e32 v55, vcc_lo, v53, v49, vcc_lo
	flat_load_b32 v54, v[54:55]
	s_waitcnt vmcnt(0) lgkmcnt(0)
	v_mul_f32_e32 v54, s15, v54
	s_branch .LBB26_248
.LBB26_247:
	v_mov_b32_e32 v54, 0
.LBB26_248:
	v_dual_add_f32 v55, v9, v45 :: v_dual_add_f32 v56, v8, v44
	v_dual_add_f32 v57, v11, v47 :: v_dual_add_f32 v58, v10, v46
	s_delay_alu instid0(VALU_DEP_4) | instskip(NEXT) | instid1(VALU_DEP_3)
	v_add_co_u32 v48, vcc_lo, v50, v48
	v_min3_f32 v55, v56, v55, v108
	v_add_co_ci_u32_e32 v49, vcc_lo, v51, v49, vcc_lo
	s_delay_alu instid0(VALU_DEP_4) | instskip(NEXT) | instid1(VALU_DEP_1)
	v_min_f32_e32 v56, v58, v57
	v_min3_f32 v54, v54, v56, v55
	global_store_b32 v[48:49], v54, off
	s_or_b32 exec_lo, exec_lo, s14
	s_and_b32 s14, s7, s8
	s_delay_alu instid0(SALU_CYCLE_1)
	s_and_saveexec_b32 s8, s14
	s_cbranch_execz .LBB26_253
.LBB26_249:
	v_cmp_ne_u32_e32 vcc_lo, 1, v105
	v_lshlrev_b64 v[48:49], 2, v[78:79]
	s_cbranch_vccnz .LBB26_251
; %bb.250:
	s_delay_alu instid0(VALU_DEP_1) | instskip(NEXT) | instid1(VALU_DEP_2)
	v_add_co_u32 v52, vcc_lo, v52, v48
	v_add_co_ci_u32_e32 v53, vcc_lo, v53, v49, vcc_lo
	flat_load_b32 v52, v[52:53]
	s_waitcnt vmcnt(0) lgkmcnt(0)
	v_mul_f32_e32 v52, s15, v52
	s_branch .LBB26_252
.LBB26_251:
	v_mov_b32_e32 v52, 0
.LBB26_252:
	v_dual_add_f32 v45, v1, v45 :: v_dual_add_f32 v44, v0, v44
	v_dual_add_f32 v47, v3, v47 :: v_dual_add_f32 v46, v2, v46
	s_delay_alu instid0(VALU_DEP_2) | instskip(NEXT) | instid1(VALU_DEP_2)
	v_min3_f32 v44, v44, v45, v107
	v_min_f32_e32 v45, v46, v47
	s_delay_alu instid0(VALU_DEP_1)
	v_min3_f32 v46, v52, v45, v44
	v_add_co_u32 v44, vcc_lo, v50, v48
	v_add_co_ci_u32_e32 v45, vcc_lo, v51, v49, vcc_lo
	global_store_b32 v[44:45], v46, off
.LBB26_253:
	s_or_b32 exec_lo, exec_lo, s8
	v_add_nc_u32_e32 v48, 0xa0, v113
	s_delay_alu instid0(VALU_DEP_1) | instskip(SKIP_2) | instid1(VALU_DEP_3)
	v_mad_i64_i32 v[44:45], null, v48, s18, 0
	v_mad_i64_i32 v[46:47], null, v48, s9, 0
	v_cmp_gt_i32_e64 s8, s17, v48
	v_lshlrev_b64 v[44:45], 2, v[44:45]
	s_delay_alu instid0(VALU_DEP_2) | instskip(NEXT) | instid1(VALU_DEP_3)
	s_and_b32 s16, s0, s8
	v_lshlrev_b64 v[46:47], 2, v[46:47]
	s_delay_alu instid0(VALU_DEP_2) | instskip(NEXT) | instid1(VALU_DEP_3)
	v_add_co_u32 v48, vcc_lo, s10, v44
	v_add_co_ci_u32_e32 v49, vcc_lo, s11, v45, vcc_lo
	s_delay_alu instid0(VALU_DEP_3) | instskip(NEXT) | instid1(VALU_DEP_4)
	v_add_co_u32 v46, vcc_lo, s12, v46
	v_add_co_ci_u32_e32 v47, vcc_lo, s13, v47, vcc_lo
	s_and_saveexec_b32 s14, s16
	s_cbranch_execnz .LBB26_261
; %bb.254:
	s_or_b32 exec_lo, exec_lo, s14
	s_and_b32 s16, s1, s8
	s_delay_alu instid0(SALU_CYCLE_1)
	s_and_saveexec_b32 s14, s16
	s_cbranch_execnz .LBB26_265
.LBB26_255:
	s_or_b32 exec_lo, exec_lo, s14
	s_and_b32 s16, s2, s8
	s_delay_alu instid0(SALU_CYCLE_1)
	s_and_saveexec_b32 s14, s16
	s_cbranch_execnz .LBB26_269
.LBB26_256:
	s_or_b32 exec_lo, exec_lo, s14
	s_and_b32 s16, s3, s8
	s_delay_alu instid0(SALU_CYCLE_1)
	s_and_saveexec_b32 s14, s16
	s_cbranch_execnz .LBB26_273
.LBB26_257:
	s_or_b32 exec_lo, exec_lo, s14
	s_and_b32 s16, s4, s8
	s_delay_alu instid0(SALU_CYCLE_1)
	s_and_saveexec_b32 s14, s16
	s_cbranch_execnz .LBB26_277
.LBB26_258:
	s_or_b32 exec_lo, exec_lo, s14
	s_and_b32 s16, s5, s8
	s_delay_alu instid0(SALU_CYCLE_1)
	s_and_saveexec_b32 s14, s16
	s_cbranch_execnz .LBB26_281
.LBB26_259:
	s_or_b32 exec_lo, exec_lo, s14
	s_and_b32 s16, s6, s8
	s_delay_alu instid0(SALU_CYCLE_1)
	s_and_saveexec_b32 s14, s16
	s_cbranch_execnz .LBB26_285
.LBB26_260:
	s_or_b32 exec_lo, exec_lo, s14
	s_and_b32 s14, s7, s8
	s_delay_alu instid0(SALU_CYCLE_1)
	s_and_saveexec_b32 s8, s14
	s_cbranch_execnz .LBB26_289
	s_branch .LBB26_293
.LBB26_261:
	v_cmp_ne_u32_e32 vcc_lo, 1, v105
	v_lshlrev_b64 v[44:45], 2, v[64:65]
	s_cbranch_vccnz .LBB26_263
; %bb.262:
	s_delay_alu instid0(VALU_DEP_1) | instskip(NEXT) | instid1(VALU_DEP_2)
	v_add_co_u32 v50, vcc_lo, v48, v44
	v_add_co_ci_u32_e32 v51, vcc_lo, v49, v45, vcc_lo
	flat_load_b32 v50, v[50:51]
	s_waitcnt vmcnt(0) lgkmcnt(0)
	v_mul_f32_e32 v50, s15, v50
	s_branch .LBB26_264
.LBB26_263:
	v_mov_b32_e32 v50, 0
.LBB26_264:
	v_dual_add_f32 v51, v33, v41 :: v_dual_add_f32 v52, v32, v40
	v_dual_add_f32 v53, v35, v43 :: v_dual_add_f32 v54, v34, v42
	s_delay_alu instid0(VALU_DEP_4) | instskip(NEXT) | instid1(VALU_DEP_3)
	v_add_co_u32 v44, vcc_lo, v46, v44
	v_min3_f32 v51, v52, v51, v106
	v_add_co_ci_u32_e32 v45, vcc_lo, v47, v45, vcc_lo
	s_delay_alu instid0(VALU_DEP_4) | instskip(NEXT) | instid1(VALU_DEP_1)
	v_min_f32_e32 v52, v54, v53
	v_min3_f32 v50, v50, v52, v51
	global_store_b32 v[44:45], v50, off
	s_or_b32 exec_lo, exec_lo, s14
	s_and_b32 s16, s1, s8
	s_delay_alu instid0(SALU_CYCLE_1)
	s_and_saveexec_b32 s14, s16
	s_cbranch_execz .LBB26_255
.LBB26_265:
	v_cmp_ne_u32_e32 vcc_lo, 1, v105
	v_lshlrev_b64 v[44:45], 2, v[66:67]
	s_cbranch_vccnz .LBB26_267
; %bb.266:
	s_delay_alu instid0(VALU_DEP_1) | instskip(NEXT) | instid1(VALU_DEP_2)
	v_add_co_u32 v50, vcc_lo, v48, v44
	v_add_co_ci_u32_e32 v51, vcc_lo, v49, v45, vcc_lo
	flat_load_b32 v50, v[50:51]
	s_waitcnt vmcnt(0) lgkmcnt(0)
	v_mul_f32_e32 v50, s15, v50
	s_branch .LBB26_268
.LBB26_267:
	v_mov_b32_e32 v50, 0
.LBB26_268:
	v_dual_add_f32 v51, v29, v41 :: v_dual_add_f32 v52, v28, v40
	v_dual_add_f32 v53, v31, v43 :: v_dual_add_f32 v54, v30, v42
	s_delay_alu instid0(VALU_DEP_4) | instskip(NEXT) | instid1(VALU_DEP_3)
	v_add_co_u32 v44, vcc_lo, v46, v44
	v_min3_f32 v51, v52, v51, v104
	v_add_co_ci_u32_e32 v45, vcc_lo, v47, v45, vcc_lo
	s_delay_alu instid0(VALU_DEP_4) | instskip(NEXT) | instid1(VALU_DEP_1)
	v_min_f32_e32 v52, v54, v53
	v_min3_f32 v50, v50, v52, v51
	global_store_b32 v[44:45], v50, off
	s_or_b32 exec_lo, exec_lo, s14
	s_and_b32 s16, s2, s8
	s_delay_alu instid0(SALU_CYCLE_1)
	s_and_saveexec_b32 s14, s16
	s_cbranch_execz .LBB26_256
.LBB26_269:
	v_cmp_ne_u32_e32 vcc_lo, 1, v105
	v_lshlrev_b64 v[44:45], 2, v[68:69]
	s_cbranch_vccnz .LBB26_271
; %bb.270:
	s_delay_alu instid0(VALU_DEP_1) | instskip(NEXT) | instid1(VALU_DEP_2)
	v_add_co_u32 v50, vcc_lo, v48, v44
	v_add_co_ci_u32_e32 v51, vcc_lo, v49, v45, vcc_lo
	flat_load_b32 v50, v[50:51]
	s_waitcnt vmcnt(0) lgkmcnt(0)
	v_mul_f32_e32 v50, s15, v50
	s_branch .LBB26_272
.LBB26_271:
	v_mov_b32_e32 v50, 0
.LBB26_272:
	v_dual_add_f32 v51, v25, v41 :: v_dual_add_f32 v52, v24, v40
	v_dual_add_f32 v53, v27, v43 :: v_dual_add_f32 v54, v26, v42
	s_delay_alu instid0(VALU_DEP_4) | instskip(NEXT) | instid1(VALU_DEP_3)
	v_add_co_u32 v44, vcc_lo, v46, v44
	v_min3_f32 v51, v52, v51, v103
	v_add_co_ci_u32_e32 v45, vcc_lo, v47, v45, vcc_lo
	s_delay_alu instid0(VALU_DEP_4) | instskip(NEXT) | instid1(VALU_DEP_1)
	v_min_f32_e32 v52, v54, v53
	v_min3_f32 v50, v50, v52, v51
	global_store_b32 v[44:45], v50, off
	s_or_b32 exec_lo, exec_lo, s14
	s_and_b32 s16, s3, s8
	s_delay_alu instid0(SALU_CYCLE_1)
	s_and_saveexec_b32 s14, s16
	s_cbranch_execz .LBB26_257
.LBB26_273:
	v_cmp_ne_u32_e32 vcc_lo, 1, v105
	v_lshlrev_b64 v[44:45], 2, v[70:71]
	s_cbranch_vccnz .LBB26_275
; %bb.274:
	s_delay_alu instid0(VALU_DEP_1) | instskip(NEXT) | instid1(VALU_DEP_2)
	v_add_co_u32 v50, vcc_lo, v48, v44
	v_add_co_ci_u32_e32 v51, vcc_lo, v49, v45, vcc_lo
	flat_load_b32 v50, v[50:51]
	s_waitcnt vmcnt(0) lgkmcnt(0)
	v_mul_f32_e32 v50, s15, v50
	s_branch .LBB26_276
.LBB26_275:
	v_mov_b32_e32 v50, 0
.LBB26_276:
	v_dual_add_f32 v51, v21, v41 :: v_dual_add_f32 v52, v20, v40
	v_dual_add_f32 v53, v23, v43 :: v_dual_add_f32 v54, v22, v42
	s_delay_alu instid0(VALU_DEP_4) | instskip(NEXT) | instid1(VALU_DEP_3)
	v_add_co_u32 v44, vcc_lo, v46, v44
	v_min3_f32 v51, v52, v51, v102
	v_add_co_ci_u32_e32 v45, vcc_lo, v47, v45, vcc_lo
	s_delay_alu instid0(VALU_DEP_4) | instskip(NEXT) | instid1(VALU_DEP_1)
	v_min_f32_e32 v52, v54, v53
	v_min3_f32 v50, v50, v52, v51
	global_store_b32 v[44:45], v50, off
	s_or_b32 exec_lo, exec_lo, s14
	s_and_b32 s16, s4, s8
	s_delay_alu instid0(SALU_CYCLE_1)
	s_and_saveexec_b32 s14, s16
	s_cbranch_execz .LBB26_258
.LBB26_277:
	v_cmp_ne_u32_e32 vcc_lo, 1, v105
	v_lshlrev_b64 v[44:45], 2, v[72:73]
	s_cbranch_vccnz .LBB26_279
; %bb.278:
	s_delay_alu instid0(VALU_DEP_1) | instskip(NEXT) | instid1(VALU_DEP_2)
	v_add_co_u32 v50, vcc_lo, v48, v44
	v_add_co_ci_u32_e32 v51, vcc_lo, v49, v45, vcc_lo
	flat_load_b32 v50, v[50:51]
	s_waitcnt vmcnt(0) lgkmcnt(0)
	v_mul_f32_e32 v50, s15, v50
	s_branch .LBB26_280
.LBB26_279:
	v_mov_b32_e32 v50, 0
.LBB26_280:
	v_dual_add_f32 v51, v17, v41 :: v_dual_add_f32 v52, v16, v40
	v_dual_add_f32 v53, v19, v43 :: v_dual_add_f32 v54, v18, v42
	s_delay_alu instid0(VALU_DEP_4) | instskip(NEXT) | instid1(VALU_DEP_3)
	v_add_co_u32 v44, vcc_lo, v46, v44
	v_min3_f32 v51, v52, v51, v101
	v_add_co_ci_u32_e32 v45, vcc_lo, v47, v45, vcc_lo
	s_delay_alu instid0(VALU_DEP_4) | instskip(NEXT) | instid1(VALU_DEP_1)
	v_min_f32_e32 v52, v54, v53
	v_min3_f32 v50, v50, v52, v51
	global_store_b32 v[44:45], v50, off
	s_or_b32 exec_lo, exec_lo, s14
	s_and_b32 s16, s5, s8
	s_delay_alu instid0(SALU_CYCLE_1)
	s_and_saveexec_b32 s14, s16
	s_cbranch_execz .LBB26_259
.LBB26_281:
	v_cmp_ne_u32_e32 vcc_lo, 1, v105
	v_lshlrev_b64 v[44:45], 2, v[74:75]
	s_cbranch_vccnz .LBB26_283
; %bb.282:
	s_delay_alu instid0(VALU_DEP_1) | instskip(NEXT) | instid1(VALU_DEP_2)
	v_add_co_u32 v50, vcc_lo, v48, v44
	v_add_co_ci_u32_e32 v51, vcc_lo, v49, v45, vcc_lo
	flat_load_b32 v50, v[50:51]
	s_waitcnt vmcnt(0) lgkmcnt(0)
	v_mul_f32_e32 v50, s15, v50
	s_branch .LBB26_284
.LBB26_283:
	v_mov_b32_e32 v50, 0
.LBB26_284:
	v_dual_add_f32 v51, v13, v41 :: v_dual_add_f32 v52, v12, v40
	v_dual_add_f32 v53, v15, v43 :: v_dual_add_f32 v54, v14, v42
	s_delay_alu instid0(VALU_DEP_4) | instskip(NEXT) | instid1(VALU_DEP_3)
	v_add_co_u32 v44, vcc_lo, v46, v44
	v_min3_f32 v51, v52, v51, v100
	v_add_co_ci_u32_e32 v45, vcc_lo, v47, v45, vcc_lo
	s_delay_alu instid0(VALU_DEP_4) | instskip(NEXT) | instid1(VALU_DEP_1)
	v_min_f32_e32 v52, v54, v53
	v_min3_f32 v50, v50, v52, v51
	global_store_b32 v[44:45], v50, off
	s_or_b32 exec_lo, exec_lo, s14
	s_and_b32 s16, s6, s8
	s_delay_alu instid0(SALU_CYCLE_1)
	s_and_saveexec_b32 s14, s16
	s_cbranch_execz .LBB26_260
.LBB26_285:
	v_cmp_ne_u32_e32 vcc_lo, 1, v105
	v_lshlrev_b64 v[44:45], 2, v[76:77]
	s_cbranch_vccnz .LBB26_287
; %bb.286:
	s_delay_alu instid0(VALU_DEP_1) | instskip(NEXT) | instid1(VALU_DEP_2)
	v_add_co_u32 v50, vcc_lo, v48, v44
	v_add_co_ci_u32_e32 v51, vcc_lo, v49, v45, vcc_lo
	flat_load_b32 v50, v[50:51]
	s_waitcnt vmcnt(0) lgkmcnt(0)
	v_mul_f32_e32 v50, s15, v50
	s_branch .LBB26_288
.LBB26_287:
	v_mov_b32_e32 v50, 0
.LBB26_288:
	v_dual_add_f32 v51, v9, v41 :: v_dual_add_f32 v52, v8, v40
	v_dual_add_f32 v53, v11, v43 :: v_dual_add_f32 v54, v10, v42
	s_delay_alu instid0(VALU_DEP_4) | instskip(NEXT) | instid1(VALU_DEP_3)
	v_add_co_u32 v44, vcc_lo, v46, v44
	v_min3_f32 v51, v52, v51, v99
	v_add_co_ci_u32_e32 v45, vcc_lo, v47, v45, vcc_lo
	s_delay_alu instid0(VALU_DEP_4) | instskip(NEXT) | instid1(VALU_DEP_1)
	v_min_f32_e32 v52, v54, v53
	v_min3_f32 v50, v50, v52, v51
	global_store_b32 v[44:45], v50, off
	s_or_b32 exec_lo, exec_lo, s14
	s_and_b32 s14, s7, s8
	s_delay_alu instid0(SALU_CYCLE_1)
	s_and_saveexec_b32 s8, s14
	s_cbranch_execz .LBB26_293
.LBB26_289:
	v_cmp_ne_u32_e32 vcc_lo, 1, v105
	v_lshlrev_b64 v[44:45], 2, v[78:79]
	s_cbranch_vccnz .LBB26_291
; %bb.290:
	s_delay_alu instid0(VALU_DEP_1) | instskip(NEXT) | instid1(VALU_DEP_2)
	v_add_co_u32 v48, vcc_lo, v48, v44
	v_add_co_ci_u32_e32 v49, vcc_lo, v49, v45, vcc_lo
	flat_load_b32 v48, v[48:49]
	s_waitcnt vmcnt(0) lgkmcnt(0)
	v_mul_f32_e32 v48, s15, v48
	s_branch .LBB26_292
.LBB26_291:
	v_mov_b32_e32 v48, 0
.LBB26_292:
	v_dual_add_f32 v41, v1, v41 :: v_dual_add_f32 v40, v0, v40
	v_dual_add_f32 v43, v3, v43 :: v_dual_add_f32 v42, v2, v42
	s_delay_alu instid0(VALU_DEP_2) | instskip(NEXT) | instid1(VALU_DEP_2)
	v_min3_f32 v40, v40, v41, v98
	v_min_f32_e32 v41, v42, v43
	s_delay_alu instid0(VALU_DEP_1)
	v_min3_f32 v42, v48, v41, v40
	v_add_co_u32 v40, vcc_lo, v46, v44
	v_add_co_ci_u32_e32 v41, vcc_lo, v47, v45, vcc_lo
	global_store_b32 v[40:41], v42, off
.LBB26_293:
	s_or_b32 exec_lo, exec_lo, s8
	v_add_nc_u32_e32 v44, 0xc0, v113
	s_delay_alu instid0(VALU_DEP_1) | instskip(SKIP_2) | instid1(VALU_DEP_3)
	v_mad_i64_i32 v[40:41], null, v44, s18, 0
	v_mad_i64_i32 v[42:43], null, v44, s9, 0
	v_cmp_gt_i32_e64 s8, s17, v44
	v_lshlrev_b64 v[40:41], 2, v[40:41]
	s_delay_alu instid0(VALU_DEP_2) | instskip(NEXT) | instid1(VALU_DEP_3)
	s_and_b32 s16, s0, s8
	v_lshlrev_b64 v[42:43], 2, v[42:43]
	s_delay_alu instid0(VALU_DEP_2) | instskip(NEXT) | instid1(VALU_DEP_3)
	v_add_co_u32 v44, vcc_lo, s10, v40
	v_add_co_ci_u32_e32 v45, vcc_lo, s11, v41, vcc_lo
	s_delay_alu instid0(VALU_DEP_3) | instskip(NEXT) | instid1(VALU_DEP_4)
	v_add_co_u32 v42, vcc_lo, s12, v42
	v_add_co_ci_u32_e32 v43, vcc_lo, s13, v43, vcc_lo
	s_and_saveexec_b32 s14, s16
	s_cbranch_execnz .LBB26_301
; %bb.294:
	s_or_b32 exec_lo, exec_lo, s14
	s_and_b32 s16, s1, s8
	s_delay_alu instid0(SALU_CYCLE_1)
	s_and_saveexec_b32 s14, s16
	s_cbranch_execnz .LBB26_305
.LBB26_295:
	s_or_b32 exec_lo, exec_lo, s14
	s_and_b32 s16, s2, s8
	s_delay_alu instid0(SALU_CYCLE_1)
	s_and_saveexec_b32 s14, s16
	s_cbranch_execnz .LBB26_309
.LBB26_296:
	s_or_b32 exec_lo, exec_lo, s14
	s_and_b32 s16, s3, s8
	s_delay_alu instid0(SALU_CYCLE_1)
	s_and_saveexec_b32 s14, s16
	s_cbranch_execnz .LBB26_313
.LBB26_297:
	s_or_b32 exec_lo, exec_lo, s14
	s_and_b32 s16, s4, s8
	s_delay_alu instid0(SALU_CYCLE_1)
	s_and_saveexec_b32 s14, s16
	s_cbranch_execnz .LBB26_317
.LBB26_298:
	s_or_b32 exec_lo, exec_lo, s14
	s_and_b32 s16, s5, s8
	s_delay_alu instid0(SALU_CYCLE_1)
	s_and_saveexec_b32 s14, s16
	s_cbranch_execnz .LBB26_321
.LBB26_299:
	s_or_b32 exec_lo, exec_lo, s14
	s_and_b32 s16, s6, s8
	s_delay_alu instid0(SALU_CYCLE_1)
	s_and_saveexec_b32 s14, s16
	s_cbranch_execnz .LBB26_325
.LBB26_300:
	s_or_b32 exec_lo, exec_lo, s14
	s_and_b32 s14, s7, s8
	s_delay_alu instid0(SALU_CYCLE_1)
	s_and_saveexec_b32 s8, s14
	s_cbranch_execnz .LBB26_329
	s_branch .LBB26_333
.LBB26_301:
	v_cmp_ne_u32_e32 vcc_lo, 1, v105
	v_lshlrev_b64 v[40:41], 2, v[64:65]
	s_cbranch_vccnz .LBB26_303
; %bb.302:
	s_delay_alu instid0(VALU_DEP_1) | instskip(NEXT) | instid1(VALU_DEP_2)
	v_add_co_u32 v46, vcc_lo, v44, v40
	v_add_co_ci_u32_e32 v47, vcc_lo, v45, v41, vcc_lo
	flat_load_b32 v46, v[46:47]
	s_waitcnt vmcnt(0) lgkmcnt(0)
	v_mul_f32_e32 v46, s15, v46
	s_branch .LBB26_304
.LBB26_303:
	v_mov_b32_e32 v46, 0
.LBB26_304:
	v_dual_add_f32 v47, v33, v37 :: v_dual_add_f32 v48, v32, v36
	v_dual_add_f32 v49, v35, v39 :: v_dual_add_f32 v50, v34, v38
	s_delay_alu instid0(VALU_DEP_4) | instskip(NEXT) | instid1(VALU_DEP_3)
	v_add_co_u32 v40, vcc_lo, v42, v40
	v_min3_f32 v47, v48, v47, v97
	v_add_co_ci_u32_e32 v41, vcc_lo, v43, v41, vcc_lo
	s_delay_alu instid0(VALU_DEP_4) | instskip(NEXT) | instid1(VALU_DEP_1)
	v_min_f32_e32 v48, v50, v49
	v_min3_f32 v46, v46, v48, v47
	global_store_b32 v[40:41], v46, off
	s_or_b32 exec_lo, exec_lo, s14
	s_and_b32 s16, s1, s8
	s_delay_alu instid0(SALU_CYCLE_1)
	s_and_saveexec_b32 s14, s16
	s_cbranch_execz .LBB26_295
.LBB26_305:
	v_cmp_ne_u32_e32 vcc_lo, 1, v105
	v_lshlrev_b64 v[40:41], 2, v[66:67]
	s_cbranch_vccnz .LBB26_307
; %bb.306:
	s_delay_alu instid0(VALU_DEP_1) | instskip(NEXT) | instid1(VALU_DEP_2)
	v_add_co_u32 v46, vcc_lo, v44, v40
	v_add_co_ci_u32_e32 v47, vcc_lo, v45, v41, vcc_lo
	flat_load_b32 v46, v[46:47]
	s_waitcnt vmcnt(0) lgkmcnt(0)
	v_mul_f32_e32 v46, s15, v46
	s_branch .LBB26_308
.LBB26_307:
	v_mov_b32_e32 v46, 0
.LBB26_308:
	v_dual_add_f32 v47, v29, v37 :: v_dual_add_f32 v48, v28, v36
	v_dual_add_f32 v49, v31, v39 :: v_dual_add_f32 v50, v30, v38
	s_delay_alu instid0(VALU_DEP_4) | instskip(NEXT) | instid1(VALU_DEP_3)
	v_add_co_u32 v40, vcc_lo, v42, v40
	v_min3_f32 v47, v48, v47, v96
	v_add_co_ci_u32_e32 v41, vcc_lo, v43, v41, vcc_lo
	s_delay_alu instid0(VALU_DEP_4) | instskip(NEXT) | instid1(VALU_DEP_1)
	v_min_f32_e32 v48, v50, v49
	v_min3_f32 v46, v46, v48, v47
	global_store_b32 v[40:41], v46, off
	s_or_b32 exec_lo, exec_lo, s14
	s_and_b32 s16, s2, s8
	s_delay_alu instid0(SALU_CYCLE_1)
	s_and_saveexec_b32 s14, s16
	s_cbranch_execz .LBB26_296
.LBB26_309:
	v_cmp_ne_u32_e32 vcc_lo, 1, v105
	v_lshlrev_b64 v[40:41], 2, v[68:69]
	s_cbranch_vccnz .LBB26_311
; %bb.310:
	s_delay_alu instid0(VALU_DEP_1) | instskip(NEXT) | instid1(VALU_DEP_2)
	v_add_co_u32 v46, vcc_lo, v44, v40
	v_add_co_ci_u32_e32 v47, vcc_lo, v45, v41, vcc_lo
	flat_load_b32 v46, v[46:47]
	s_waitcnt vmcnt(0) lgkmcnt(0)
	v_mul_f32_e32 v46, s15, v46
	s_branch .LBB26_312
.LBB26_311:
	v_mov_b32_e32 v46, 0
.LBB26_312:
	v_dual_add_f32 v47, v25, v37 :: v_dual_add_f32 v48, v24, v36
	v_dual_add_f32 v49, v27, v39 :: v_dual_add_f32 v50, v26, v38
	s_delay_alu instid0(VALU_DEP_4) | instskip(NEXT) | instid1(VALU_DEP_3)
	v_add_co_u32 v40, vcc_lo, v42, v40
	v_min3_f32 v47, v48, v47, v95
	v_add_co_ci_u32_e32 v41, vcc_lo, v43, v41, vcc_lo
	s_delay_alu instid0(VALU_DEP_4) | instskip(NEXT) | instid1(VALU_DEP_1)
	v_min_f32_e32 v48, v50, v49
	v_min3_f32 v46, v46, v48, v47
	global_store_b32 v[40:41], v46, off
	s_or_b32 exec_lo, exec_lo, s14
	s_and_b32 s16, s3, s8
	s_delay_alu instid0(SALU_CYCLE_1)
	s_and_saveexec_b32 s14, s16
	s_cbranch_execz .LBB26_297
.LBB26_313:
	v_cmp_ne_u32_e32 vcc_lo, 1, v105
	v_lshlrev_b64 v[40:41], 2, v[70:71]
	s_cbranch_vccnz .LBB26_315
; %bb.314:
	s_delay_alu instid0(VALU_DEP_1) | instskip(NEXT) | instid1(VALU_DEP_2)
	v_add_co_u32 v46, vcc_lo, v44, v40
	v_add_co_ci_u32_e32 v47, vcc_lo, v45, v41, vcc_lo
	flat_load_b32 v46, v[46:47]
	s_waitcnt vmcnt(0) lgkmcnt(0)
	v_mul_f32_e32 v46, s15, v46
	s_branch .LBB26_316
.LBB26_315:
	v_mov_b32_e32 v46, 0
.LBB26_316:
	v_dual_add_f32 v47, v21, v37 :: v_dual_add_f32 v48, v20, v36
	v_dual_add_f32 v49, v23, v39 :: v_dual_add_f32 v50, v22, v38
	s_delay_alu instid0(VALU_DEP_4) | instskip(NEXT) | instid1(VALU_DEP_3)
	v_add_co_u32 v40, vcc_lo, v42, v40
	v_min3_f32 v47, v48, v47, v94
	v_add_co_ci_u32_e32 v41, vcc_lo, v43, v41, vcc_lo
	s_delay_alu instid0(VALU_DEP_4) | instskip(NEXT) | instid1(VALU_DEP_1)
	v_min_f32_e32 v48, v50, v49
	v_min3_f32 v46, v46, v48, v47
	global_store_b32 v[40:41], v46, off
	s_or_b32 exec_lo, exec_lo, s14
	s_and_b32 s16, s4, s8
	s_delay_alu instid0(SALU_CYCLE_1)
	s_and_saveexec_b32 s14, s16
	s_cbranch_execz .LBB26_298
.LBB26_317:
	v_cmp_ne_u32_e32 vcc_lo, 1, v105
	v_lshlrev_b64 v[40:41], 2, v[72:73]
	s_cbranch_vccnz .LBB26_319
; %bb.318:
	s_delay_alu instid0(VALU_DEP_1) | instskip(NEXT) | instid1(VALU_DEP_2)
	v_add_co_u32 v46, vcc_lo, v44, v40
	v_add_co_ci_u32_e32 v47, vcc_lo, v45, v41, vcc_lo
	flat_load_b32 v46, v[46:47]
	s_waitcnt vmcnt(0) lgkmcnt(0)
	v_mul_f32_e32 v46, s15, v46
	s_branch .LBB26_320
.LBB26_319:
	v_mov_b32_e32 v46, 0
.LBB26_320:
	v_dual_add_f32 v47, v17, v37 :: v_dual_add_f32 v48, v16, v36
	v_dual_add_f32 v49, v19, v39 :: v_dual_add_f32 v50, v18, v38
	s_delay_alu instid0(VALU_DEP_4) | instskip(NEXT) | instid1(VALU_DEP_3)
	v_add_co_u32 v40, vcc_lo, v42, v40
	v_min3_f32 v47, v48, v47, v93
	v_add_co_ci_u32_e32 v41, vcc_lo, v43, v41, vcc_lo
	s_delay_alu instid0(VALU_DEP_4) | instskip(NEXT) | instid1(VALU_DEP_1)
	v_min_f32_e32 v48, v50, v49
	v_min3_f32 v46, v46, v48, v47
	global_store_b32 v[40:41], v46, off
	s_or_b32 exec_lo, exec_lo, s14
	s_and_b32 s16, s5, s8
	s_delay_alu instid0(SALU_CYCLE_1)
	s_and_saveexec_b32 s14, s16
	s_cbranch_execz .LBB26_299
.LBB26_321:
	v_cmp_ne_u32_e32 vcc_lo, 1, v105
	v_lshlrev_b64 v[40:41], 2, v[74:75]
	s_cbranch_vccnz .LBB26_323
; %bb.322:
	s_delay_alu instid0(VALU_DEP_1) | instskip(NEXT) | instid1(VALU_DEP_2)
	v_add_co_u32 v46, vcc_lo, v44, v40
	v_add_co_ci_u32_e32 v47, vcc_lo, v45, v41, vcc_lo
	flat_load_b32 v46, v[46:47]
	s_waitcnt vmcnt(0) lgkmcnt(0)
	v_mul_f32_e32 v46, s15, v46
	s_branch .LBB26_324
.LBB26_323:
	v_mov_b32_e32 v46, 0
.LBB26_324:
	v_dual_add_f32 v47, v13, v37 :: v_dual_add_f32 v48, v12, v36
	v_dual_add_f32 v49, v15, v39 :: v_dual_add_f32 v50, v14, v38
	s_delay_alu instid0(VALU_DEP_4) | instskip(NEXT) | instid1(VALU_DEP_3)
	v_add_co_u32 v40, vcc_lo, v42, v40
	v_min3_f32 v47, v48, v47, v92
	v_add_co_ci_u32_e32 v41, vcc_lo, v43, v41, vcc_lo
	s_delay_alu instid0(VALU_DEP_4) | instskip(NEXT) | instid1(VALU_DEP_1)
	v_min_f32_e32 v48, v50, v49
	v_min3_f32 v46, v46, v48, v47
	global_store_b32 v[40:41], v46, off
	s_or_b32 exec_lo, exec_lo, s14
	s_and_b32 s16, s6, s8
	s_delay_alu instid0(SALU_CYCLE_1)
	s_and_saveexec_b32 s14, s16
	s_cbranch_execz .LBB26_300
.LBB26_325:
	v_cmp_ne_u32_e32 vcc_lo, 1, v105
	v_lshlrev_b64 v[40:41], 2, v[76:77]
	s_cbranch_vccnz .LBB26_327
; %bb.326:
	s_delay_alu instid0(VALU_DEP_1) | instskip(NEXT) | instid1(VALU_DEP_2)
	v_add_co_u32 v46, vcc_lo, v44, v40
	v_add_co_ci_u32_e32 v47, vcc_lo, v45, v41, vcc_lo
	flat_load_b32 v46, v[46:47]
	s_waitcnt vmcnt(0) lgkmcnt(0)
	v_mul_f32_e32 v46, s15, v46
	s_branch .LBB26_328
.LBB26_327:
	v_mov_b32_e32 v46, 0
.LBB26_328:
	v_dual_add_f32 v47, v9, v37 :: v_dual_add_f32 v48, v8, v36
	v_dual_add_f32 v49, v11, v39 :: v_dual_add_f32 v50, v10, v38
	s_delay_alu instid0(VALU_DEP_4) | instskip(NEXT) | instid1(VALU_DEP_3)
	v_add_co_u32 v40, vcc_lo, v42, v40
	v_min3_f32 v47, v48, v47, v91
	v_add_co_ci_u32_e32 v41, vcc_lo, v43, v41, vcc_lo
	s_delay_alu instid0(VALU_DEP_4) | instskip(NEXT) | instid1(VALU_DEP_1)
	v_min_f32_e32 v48, v50, v49
	v_min3_f32 v46, v46, v48, v47
	global_store_b32 v[40:41], v46, off
	s_or_b32 exec_lo, exec_lo, s14
	s_and_b32 s14, s7, s8
	s_delay_alu instid0(SALU_CYCLE_1)
	s_and_saveexec_b32 s8, s14
	s_cbranch_execz .LBB26_333
.LBB26_329:
	v_cmp_ne_u32_e32 vcc_lo, 1, v105
	v_lshlrev_b64 v[40:41], 2, v[78:79]
	s_cbranch_vccnz .LBB26_331
; %bb.330:
	s_delay_alu instid0(VALU_DEP_1) | instskip(NEXT) | instid1(VALU_DEP_2)
	v_add_co_u32 v44, vcc_lo, v44, v40
	v_add_co_ci_u32_e32 v45, vcc_lo, v45, v41, vcc_lo
	flat_load_b32 v44, v[44:45]
	s_waitcnt vmcnt(0) lgkmcnt(0)
	v_mul_f32_e32 v44, s15, v44
	s_branch .LBB26_332
.LBB26_331:
	v_mov_b32_e32 v44, 0
.LBB26_332:
	v_dual_add_f32 v37, v1, v37 :: v_dual_add_f32 v36, v0, v36
	v_dual_add_f32 v39, v3, v39 :: v_dual_add_f32 v38, v2, v38
	s_delay_alu instid0(VALU_DEP_2) | instskip(NEXT) | instid1(VALU_DEP_2)
	v_min3_f32 v36, v36, v37, v90
	v_min_f32_e32 v37, v38, v39
	s_delay_alu instid0(VALU_DEP_1)
	v_min3_f32 v38, v44, v37, v36
	v_add_co_u32 v36, vcc_lo, v42, v40
	v_add_co_ci_u32_e32 v37, vcc_lo, v43, v41, vcc_lo
	global_store_b32 v[36:37], v38, off
.LBB26_333:
	s_or_b32 exec_lo, exec_lo, s8
	v_add_nc_u32_e32 v40, 0xe0, v113
	s_delay_alu instid0(VALU_DEP_1) | instskip(SKIP_2) | instid1(VALU_DEP_3)
	v_mad_i64_i32 v[36:37], null, v40, s18, 0
	v_mad_i64_i32 v[38:39], null, v40, s9, 0
	v_cmp_gt_i32_e64 s8, s17, v40
	v_lshlrev_b64 v[36:37], 2, v[36:37]
	s_delay_alu instid0(VALU_DEP_2) | instskip(NEXT) | instid1(VALU_DEP_3)
	s_and_b32 s9, s0, s8
	v_lshlrev_b64 v[38:39], 2, v[38:39]
	s_delay_alu instid0(VALU_DEP_2) | instskip(NEXT) | instid1(VALU_DEP_3)
	v_add_co_u32 v40, vcc_lo, s10, v36
	v_add_co_ci_u32_e32 v41, vcc_lo, s11, v37, vcc_lo
	s_delay_alu instid0(VALU_DEP_3) | instskip(NEXT) | instid1(VALU_DEP_4)
	v_add_co_u32 v38, vcc_lo, s12, v38
	v_add_co_ci_u32_e32 v39, vcc_lo, s13, v39, vcc_lo
	s_and_saveexec_b32 s0, s9
	s_cbranch_execnz .LBB26_342
; %bb.334:
	s_or_b32 exec_lo, exec_lo, s0
	s_and_b32 s1, s1, s8
	s_delay_alu instid0(SALU_CYCLE_1)
	s_and_saveexec_b32 s0, s1
	s_cbranch_execnz .LBB26_346
.LBB26_335:
	s_or_b32 exec_lo, exec_lo, s0
	s_and_b32 s1, s2, s8
	s_delay_alu instid0(SALU_CYCLE_1)
	s_and_saveexec_b32 s0, s1
	s_cbranch_execnz .LBB26_350
.LBB26_336:
	s_or_b32 exec_lo, exec_lo, s0
	s_and_b32 s1, s3, s8
	s_delay_alu instid0(SALU_CYCLE_1)
	s_and_saveexec_b32 s0, s1
	s_cbranch_execnz .LBB26_354
.LBB26_337:
	s_or_b32 exec_lo, exec_lo, s0
	s_and_b32 s1, s4, s8
	s_delay_alu instid0(SALU_CYCLE_1)
	s_and_saveexec_b32 s0, s1
	s_cbranch_execnz .LBB26_358
.LBB26_338:
	s_or_b32 exec_lo, exec_lo, s0
	s_and_b32 s1, s5, s8
	s_delay_alu instid0(SALU_CYCLE_1)
	s_and_saveexec_b32 s0, s1
	s_cbranch_execnz .LBB26_362
.LBB26_339:
	s_or_b32 exec_lo, exec_lo, s0
	s_and_b32 s1, s6, s8
	s_delay_alu instid0(SALU_CYCLE_1)
	s_and_saveexec_b32 s0, s1
	s_cbranch_execnz .LBB26_366
.LBB26_340:
	s_or_b32 exec_lo, exec_lo, s0
	s_and_b32 s0, s7, s8
	s_delay_alu instid0(SALU_CYCLE_1)
	s_and_saveexec_b32 s1, s0
	s_cbranch_execnz .LBB26_370
.LBB26_341:
	s_nop 0
	s_sendmsg sendmsg(MSG_DEALLOC_VGPRS)
	s_endpgm
.LBB26_342:
	v_cmp_ne_u32_e32 vcc_lo, 1, v105
	v_lshlrev_b64 v[36:37], 2, v[64:65]
	s_cbranch_vccnz .LBB26_344
; %bb.343:
	s_delay_alu instid0(VALU_DEP_1) | instskip(NEXT) | instid1(VALU_DEP_2)
	v_add_co_u32 v42, vcc_lo, v40, v36
	v_add_co_ci_u32_e32 v43, vcc_lo, v41, v37, vcc_lo
	flat_load_b32 v42, v[42:43]
	s_waitcnt vmcnt(0) lgkmcnt(0)
	v_mul_f32_e32 v42, s15, v42
	s_branch .LBB26_345
.LBB26_344:
	v_mov_b32_e32 v42, 0
.LBB26_345:
	v_dual_add_f32 v33, v33, v5 :: v_dual_add_f32 v32, v32, v4
	v_dual_add_f32 v35, v35, v7 :: v_dual_add_f32 v34, v34, v6
	s_delay_alu instid0(VALU_DEP_2) | instskip(NEXT) | instid1(VALU_DEP_2)
	v_min3_f32 v32, v32, v33, v89
	v_min_f32_e32 v33, v34, v35
	s_delay_alu instid0(VALU_DEP_1)
	v_min3_f32 v34, v42, v33, v32
	v_add_co_u32 v32, vcc_lo, v38, v36
	v_add_co_ci_u32_e32 v33, vcc_lo, v39, v37, vcc_lo
	global_store_b32 v[32:33], v34, off
	s_or_b32 exec_lo, exec_lo, s0
	s_and_b32 s1, s1, s8
	s_delay_alu instid0(SALU_CYCLE_1)
	s_and_saveexec_b32 s0, s1
	s_cbranch_execz .LBB26_335
.LBB26_346:
	v_cmp_ne_u32_e32 vcc_lo, 1, v105
	v_lshlrev_b64 v[32:33], 2, v[66:67]
	s_cbranch_vccnz .LBB26_348
; %bb.347:
	s_delay_alu instid0(VALU_DEP_1) | instskip(NEXT) | instid1(VALU_DEP_2)
	v_add_co_u32 v34, vcc_lo, v40, v32
	v_add_co_ci_u32_e32 v35, vcc_lo, v41, v33, vcc_lo
	flat_load_b32 v34, v[34:35]
	s_waitcnt vmcnt(0) lgkmcnt(0)
	v_mul_f32_e32 v34, s15, v34
	s_branch .LBB26_349
.LBB26_348:
	v_mov_b32_e32 v34, 0
.LBB26_349:
	v_dual_add_f32 v29, v29, v5 :: v_dual_add_f32 v28, v28, v4
	v_dual_add_f32 v31, v31, v7 :: v_dual_add_f32 v30, v30, v6
	s_delay_alu instid0(VALU_DEP_2) | instskip(NEXT) | instid1(VALU_DEP_2)
	v_min3_f32 v28, v28, v29, v88
	v_min_f32_e32 v29, v30, v31
	s_delay_alu instid0(VALU_DEP_1)
	v_min3_f32 v30, v34, v29, v28
	v_add_co_u32 v28, vcc_lo, v38, v32
	v_add_co_ci_u32_e32 v29, vcc_lo, v39, v33, vcc_lo
	global_store_b32 v[28:29], v30, off
	s_or_b32 exec_lo, exec_lo, s0
	s_and_b32 s1, s2, s8
	s_delay_alu instid0(SALU_CYCLE_1)
	s_and_saveexec_b32 s0, s1
	s_cbranch_execz .LBB26_336
.LBB26_350:
	v_cmp_ne_u32_e32 vcc_lo, 1, v105
	v_lshlrev_b64 v[28:29], 2, v[68:69]
	s_cbranch_vccnz .LBB26_352
; %bb.351:
	s_delay_alu instid0(VALU_DEP_1) | instskip(NEXT) | instid1(VALU_DEP_2)
	v_add_co_u32 v30, vcc_lo, v40, v28
	v_add_co_ci_u32_e32 v31, vcc_lo, v41, v29, vcc_lo
	flat_load_b32 v30, v[30:31]
	s_waitcnt vmcnt(0) lgkmcnt(0)
	v_mul_f32_e32 v30, s15, v30
	s_branch .LBB26_353
.LBB26_352:
	v_mov_b32_e32 v30, 0
.LBB26_353:
	v_dual_add_f32 v25, v25, v5 :: v_dual_add_f32 v24, v24, v4
	v_dual_add_f32 v27, v27, v7 :: v_dual_add_f32 v26, v26, v6
	s_delay_alu instid0(VALU_DEP_2) | instskip(NEXT) | instid1(VALU_DEP_2)
	v_min3_f32 v24, v24, v25, v87
	v_min_f32_e32 v25, v26, v27
	s_delay_alu instid0(VALU_DEP_1)
	v_min3_f32 v26, v30, v25, v24
	v_add_co_u32 v24, vcc_lo, v38, v28
	v_add_co_ci_u32_e32 v25, vcc_lo, v39, v29, vcc_lo
	global_store_b32 v[24:25], v26, off
	s_or_b32 exec_lo, exec_lo, s0
	s_and_b32 s1, s3, s8
	s_delay_alu instid0(SALU_CYCLE_1)
	s_and_saveexec_b32 s0, s1
	s_cbranch_execz .LBB26_337
.LBB26_354:
	v_cmp_ne_u32_e32 vcc_lo, 1, v105
	v_lshlrev_b64 v[24:25], 2, v[70:71]
	s_cbranch_vccnz .LBB26_356
; %bb.355:
	s_delay_alu instid0(VALU_DEP_1) | instskip(NEXT) | instid1(VALU_DEP_2)
	v_add_co_u32 v26, vcc_lo, v40, v24
	v_add_co_ci_u32_e32 v27, vcc_lo, v41, v25, vcc_lo
	flat_load_b32 v26, v[26:27]
	s_waitcnt vmcnt(0) lgkmcnt(0)
	v_mul_f32_e32 v26, s15, v26
	s_branch .LBB26_357
.LBB26_356:
	v_mov_b32_e32 v26, 0
.LBB26_357:
	v_dual_add_f32 v21, v21, v5 :: v_dual_add_f32 v20, v20, v4
	v_dual_add_f32 v23, v23, v7 :: v_dual_add_f32 v22, v22, v6
	s_delay_alu instid0(VALU_DEP_2) | instskip(NEXT) | instid1(VALU_DEP_2)
	v_min3_f32 v20, v20, v21, v86
	v_min_f32_e32 v21, v22, v23
	s_delay_alu instid0(VALU_DEP_1)
	v_min3_f32 v22, v26, v21, v20
	v_add_co_u32 v20, vcc_lo, v38, v24
	v_add_co_ci_u32_e32 v21, vcc_lo, v39, v25, vcc_lo
	global_store_b32 v[20:21], v22, off
	s_or_b32 exec_lo, exec_lo, s0
	s_and_b32 s1, s4, s8
	s_delay_alu instid0(SALU_CYCLE_1)
	s_and_saveexec_b32 s0, s1
	s_cbranch_execz .LBB26_338
.LBB26_358:
	v_cmp_ne_u32_e32 vcc_lo, 1, v105
	v_lshlrev_b64 v[20:21], 2, v[72:73]
	s_cbranch_vccnz .LBB26_360
; %bb.359:
	s_delay_alu instid0(VALU_DEP_1) | instskip(NEXT) | instid1(VALU_DEP_2)
	v_add_co_u32 v22, vcc_lo, v40, v20
	v_add_co_ci_u32_e32 v23, vcc_lo, v41, v21, vcc_lo
	flat_load_b32 v22, v[22:23]
	s_waitcnt vmcnt(0) lgkmcnt(0)
	v_mul_f32_e32 v22, s15, v22
	s_branch .LBB26_361
.LBB26_360:
	v_mov_b32_e32 v22, 0
.LBB26_361:
	v_dual_add_f32 v17, v17, v5 :: v_dual_add_f32 v16, v16, v4
	v_dual_add_f32 v19, v19, v7 :: v_dual_add_f32 v18, v18, v6
	s_delay_alu instid0(VALU_DEP_2) | instskip(NEXT) | instid1(VALU_DEP_2)
	v_min3_f32 v16, v16, v17, v85
	v_min_f32_e32 v17, v18, v19
	s_delay_alu instid0(VALU_DEP_1)
	v_min3_f32 v18, v22, v17, v16
	v_add_co_u32 v16, vcc_lo, v38, v20
	v_add_co_ci_u32_e32 v17, vcc_lo, v39, v21, vcc_lo
	global_store_b32 v[16:17], v18, off
	s_or_b32 exec_lo, exec_lo, s0
	s_and_b32 s1, s5, s8
	s_delay_alu instid0(SALU_CYCLE_1)
	s_and_saveexec_b32 s0, s1
	s_cbranch_execz .LBB26_339
.LBB26_362:
	v_cmp_ne_u32_e32 vcc_lo, 1, v105
	v_lshlrev_b64 v[16:17], 2, v[74:75]
	s_cbranch_vccnz .LBB26_364
; %bb.363:
	s_delay_alu instid0(VALU_DEP_1) | instskip(NEXT) | instid1(VALU_DEP_2)
	v_add_co_u32 v18, vcc_lo, v40, v16
	v_add_co_ci_u32_e32 v19, vcc_lo, v41, v17, vcc_lo
	flat_load_b32 v18, v[18:19]
	s_waitcnt vmcnt(0) lgkmcnt(0)
	v_mul_f32_e32 v18, s15, v18
	s_branch .LBB26_365
.LBB26_364:
	v_mov_b32_e32 v18, 0
.LBB26_365:
	v_dual_add_f32 v13, v13, v5 :: v_dual_add_f32 v12, v12, v4
	v_dual_add_f32 v15, v15, v7 :: v_dual_add_f32 v14, v14, v6
	s_delay_alu instid0(VALU_DEP_2) | instskip(NEXT) | instid1(VALU_DEP_2)
	v_min3_f32 v12, v12, v13, v84
	v_min_f32_e32 v13, v14, v15
	s_delay_alu instid0(VALU_DEP_1)
	v_min3_f32 v14, v18, v13, v12
	v_add_co_u32 v12, vcc_lo, v38, v16
	v_add_co_ci_u32_e32 v13, vcc_lo, v39, v17, vcc_lo
	global_store_b32 v[12:13], v14, off
	s_or_b32 exec_lo, exec_lo, s0
	s_and_b32 s1, s6, s8
	s_delay_alu instid0(SALU_CYCLE_1)
	s_and_saveexec_b32 s0, s1
	s_cbranch_execz .LBB26_340
.LBB26_366:
	v_cmp_ne_u32_e32 vcc_lo, 1, v105
	v_lshlrev_b64 v[12:13], 2, v[76:77]
	s_cbranch_vccnz .LBB26_368
; %bb.367:
	s_delay_alu instid0(VALU_DEP_1) | instskip(NEXT) | instid1(VALU_DEP_2)
	v_add_co_u32 v14, vcc_lo, v40, v12
	v_add_co_ci_u32_e32 v15, vcc_lo, v41, v13, vcc_lo
	flat_load_b32 v14, v[14:15]
	s_waitcnt vmcnt(0) lgkmcnt(0)
	v_mul_f32_e32 v14, s15, v14
	s_branch .LBB26_369
.LBB26_368:
	v_mov_b32_e32 v14, 0
.LBB26_369:
	v_dual_add_f32 v9, v9, v5 :: v_dual_add_f32 v8, v8, v4
	v_dual_add_f32 v11, v11, v7 :: v_dual_add_f32 v10, v10, v6
	s_delay_alu instid0(VALU_DEP_2) | instskip(NEXT) | instid1(VALU_DEP_2)
	v_min3_f32 v8, v8, v9, v83
	v_min_f32_e32 v9, v10, v11
	s_delay_alu instid0(VALU_DEP_1)
	v_min3_f32 v10, v14, v9, v8
	v_add_co_u32 v8, vcc_lo, v38, v12
	v_add_co_ci_u32_e32 v9, vcc_lo, v39, v13, vcc_lo
	global_store_b32 v[8:9], v10, off
	s_or_b32 exec_lo, exec_lo, s0
	s_and_b32 s0, s7, s8
	s_delay_alu instid0(SALU_CYCLE_1)
	s_and_saveexec_b32 s1, s0
	s_cbranch_execz .LBB26_341
.LBB26_370:
	v_cmp_ne_u32_e32 vcc_lo, 1, v105
	v_lshlrev_b64 v[8:9], 2, v[78:79]
	s_cbranch_vccnz .LBB26_372
; %bb.371:
	s_delay_alu instid0(VALU_DEP_1) | instskip(NEXT) | instid1(VALU_DEP_2)
	v_add_co_u32 v10, vcc_lo, v40, v8
	v_add_co_ci_u32_e32 v11, vcc_lo, v41, v9, vcc_lo
	flat_load_b32 v10, v[10:11]
	s_waitcnt vmcnt(0) lgkmcnt(0)
	v_mul_f32_e32 v10, s15, v10
	s_branch .LBB26_373
.LBB26_372:
	v_mov_b32_e32 v10, 0
.LBB26_373:
	v_dual_add_f32 v1, v1, v5 :: v_dual_add_f32 v0, v0, v4
	v_dual_add_f32 v3, v3, v7 :: v_dual_add_f32 v2, v2, v6
	s_delay_alu instid0(VALU_DEP_2) | instskip(NEXT) | instid1(VALU_DEP_2)
	v_min3_f32 v0, v0, v1, v82
	v_min_f32_e32 v1, v2, v3
	s_delay_alu instid0(VALU_DEP_1)
	v_min3_f32 v2, v10, v1, v0
	v_add_co_u32 v0, vcc_lo, v38, v8
	v_add_co_ci_u32_e32 v1, vcc_lo, v39, v9, vcc_lo
	global_store_b32 v[0:1], v2, off
	s_nop 0
	s_sendmsg sendmsg(MSG_DEALLOC_VGPRS)
	s_endpgm
	.section	.rodata,"a",@progbits
	.p2align	6, 0x0
	.amdhsa_kernel _ZN12_GLOBAL__N_120geam_min_plus_kernelIf15HIP_vector_typeIfLj2EEfLi8ELi32ELi64ELi256ELi4ELi4ELi64ELi64ELi4ELc84ELc84ELb0ELb1ELb1EfKPKfKPfEEviiiT16_PT17_ilSA_ilS8_SA_ilPT18_ili26rocblas_geam_ex_operation_
		.amdhsa_group_segment_fixed_size 10240
		.amdhsa_private_segment_fixed_size 84
		.amdhsa_kernarg_size 128
		.amdhsa_user_sgpr_count 14
		.amdhsa_user_sgpr_dispatch_ptr 0
		.amdhsa_user_sgpr_queue_ptr 0
		.amdhsa_user_sgpr_kernarg_segment_ptr 1
		.amdhsa_user_sgpr_dispatch_id 0
		.amdhsa_user_sgpr_private_segment_size 0
		.amdhsa_wavefront_size32 1
		.amdhsa_uses_dynamic_stack 0
		.amdhsa_enable_private_segment 1
		.amdhsa_system_sgpr_workgroup_id_x 1
		.amdhsa_system_sgpr_workgroup_id_y 0
		.amdhsa_system_sgpr_workgroup_id_z 1
		.amdhsa_system_sgpr_workgroup_info 0
		.amdhsa_system_vgpr_workitem_id 1
		.amdhsa_next_free_vgpr 256
		.amdhsa_next_free_sgpr 29
		.amdhsa_reserve_vcc 1
		.amdhsa_float_round_mode_32 0
		.amdhsa_float_round_mode_16_64 0
		.amdhsa_float_denorm_mode_32 3
		.amdhsa_float_denorm_mode_16_64 3
		.amdhsa_dx10_clamp 1
		.amdhsa_ieee_mode 1
		.amdhsa_fp16_overflow 0
		.amdhsa_workgroup_processor_mode 1
		.amdhsa_memory_ordered 1
		.amdhsa_forward_progress 0
		.amdhsa_shared_vgpr_count 0
		.amdhsa_exception_fp_ieee_invalid_op 0
		.amdhsa_exception_fp_denorm_src 0
		.amdhsa_exception_fp_ieee_div_zero 0
		.amdhsa_exception_fp_ieee_overflow 0
		.amdhsa_exception_fp_ieee_underflow 0
		.amdhsa_exception_fp_ieee_inexact 0
		.amdhsa_exception_int_div_zero 0
	.end_amdhsa_kernel
	.section	.text._ZN12_GLOBAL__N_120geam_min_plus_kernelIf15HIP_vector_typeIfLj2EEfLi8ELi32ELi64ELi256ELi4ELi4ELi64ELi64ELi4ELc84ELc84ELb0ELb1ELb1EfKPKfKPfEEviiiT16_PT17_ilSA_ilS8_SA_ilPT18_ili26rocblas_geam_ex_operation_,"axG",@progbits,_ZN12_GLOBAL__N_120geam_min_plus_kernelIf15HIP_vector_typeIfLj2EEfLi8ELi32ELi64ELi256ELi4ELi4ELi64ELi64ELi4ELc84ELc84ELb0ELb1ELb1EfKPKfKPfEEviiiT16_PT17_ilSA_ilS8_SA_ilPT18_ili26rocblas_geam_ex_operation_,comdat
.Lfunc_end26:
	.size	_ZN12_GLOBAL__N_120geam_min_plus_kernelIf15HIP_vector_typeIfLj2EEfLi8ELi32ELi64ELi256ELi4ELi4ELi64ELi64ELi4ELc84ELc84ELb0ELb1ELb1EfKPKfKPfEEviiiT16_PT17_ilSA_ilS8_SA_ilPT18_ili26rocblas_geam_ex_operation_, .Lfunc_end26-_ZN12_GLOBAL__N_120geam_min_plus_kernelIf15HIP_vector_typeIfLj2EEfLi8ELi32ELi64ELi256ELi4ELi4ELi64ELi64ELi4ELc84ELc84ELb0ELb1ELb1EfKPKfKPfEEviiiT16_PT17_ilSA_ilS8_SA_ilPT18_ili26rocblas_geam_ex_operation_
                                        ; -- End function
	.section	.AMDGPU.csdata,"",@progbits
; Kernel info:
; codeLenInByte = 21556
; NumSgprs: 31
; NumVgprs: 256
; ScratchSize: 84
; MemoryBound: 0
; FloatMode: 240
; IeeeMode: 1
; LDSByteSize: 10240 bytes/workgroup (compile time only)
; SGPRBlocks: 3
; VGPRBlocks: 31
; NumSGPRsForWavesPerEU: 31
; NumVGPRsForWavesPerEU: 256
; Occupancy: 5
; WaveLimiterHint : 1
; COMPUTE_PGM_RSRC2:SCRATCH_EN: 1
; COMPUTE_PGM_RSRC2:USER_SGPR: 14
; COMPUTE_PGM_RSRC2:TRAP_HANDLER: 0
; COMPUTE_PGM_RSRC2:TGID_X_EN: 1
; COMPUTE_PGM_RSRC2:TGID_Y_EN: 0
; COMPUTE_PGM_RSRC2:TGID_Z_EN: 1
; COMPUTE_PGM_RSRC2:TIDIG_COMP_CNT: 1
	.section	.text._ZN12_GLOBAL__N_120geam_min_plus_kernelIf15HIP_vector_typeIfLj2EES2_Li8ELi32ELi64ELi128ELi4ELi64ELi4ELi4ELi64ELc78ELc78ELb0ELb0ELb0EPKfKS4_KPfEEviiiT16_PT17_ilSA_ilS8_SA_ilPT18_ili26rocblas_geam_ex_operation_,"axG",@progbits,_ZN12_GLOBAL__N_120geam_min_plus_kernelIf15HIP_vector_typeIfLj2EES2_Li8ELi32ELi64ELi128ELi4ELi64ELi4ELi4ELi64ELc78ELc78ELb0ELb0ELb0EPKfKS4_KPfEEviiiT16_PT17_ilSA_ilS8_SA_ilPT18_ili26rocblas_geam_ex_operation_,comdat
	.globl	_ZN12_GLOBAL__N_120geam_min_plus_kernelIf15HIP_vector_typeIfLj2EES2_Li8ELi32ELi64ELi128ELi4ELi64ELi4ELi4ELi64ELc78ELc78ELb0ELb0ELb0EPKfKS4_KPfEEviiiT16_PT17_ilSA_ilS8_SA_ilPT18_ili26rocblas_geam_ex_operation_ ; -- Begin function _ZN12_GLOBAL__N_120geam_min_plus_kernelIf15HIP_vector_typeIfLj2EES2_Li8ELi32ELi64ELi128ELi4ELi64ELi4ELi4ELi64ELc78ELc78ELb0ELb0ELb0EPKfKS4_KPfEEviiiT16_PT17_ilSA_ilS8_SA_ilPT18_ili26rocblas_geam_ex_operation_
	.p2align	8
	.type	_ZN12_GLOBAL__N_120geam_min_plus_kernelIf15HIP_vector_typeIfLj2EES2_Li8ELi32ELi64ELi128ELi4ELi64ELi4ELi4ELi64ELc78ELc78ELb0ELb0ELb0EPKfKS4_KPfEEviiiT16_PT17_ilSA_ilS8_SA_ilPT18_ili26rocblas_geam_ex_operation_,@function
_ZN12_GLOBAL__N_120geam_min_plus_kernelIf15HIP_vector_typeIfLj2EES2_Li8ELi32ELi64ELi128ELi4ELi64ELi4ELi4ELi64ELc78ELc78ELb0ELb0ELb0EPKfKS4_KPfEEviiiT16_PT17_ilSA_ilS8_SA_ilPT18_ili26rocblas_geam_ex_operation_: ; @_ZN12_GLOBAL__N_120geam_min_plus_kernelIf15HIP_vector_typeIfLj2EES2_Li8ELi32ELi64ELi128ELi4ELi64ELi4ELi4ELi64ELc78ELc78ELb0ELb0ELb0EPKfKS4_KPfEEviiiT16_PT17_ilSA_ilS8_SA_ilPT18_ili26rocblas_geam_ex_operation_
; %bb.0:
	s_clause 0x1
	s_load_b128 s[16:19], s[0:1], 0x10
	s_load_b128 s[4:7], s[0:1], 0x28
	s_mov_b32 s20, s15
	s_mov_b32 s21, 0
	s_mov_b64 s[12:13], 0
	s_lshl_b64 s[2:3], s[20:21], 2
	s_waitcnt lgkmcnt(0)
	s_add_u32 s8, s16, s2
	s_addc_u32 s9, s17, s3
	s_load_b32 s22, s[8:9], 0x0
	s_clause 0x1
	s_load_b128 s[8:11], s[0:1], 0x40
	s_load_b64 s[16:17], s[0:1], 0x50
	s_waitcnt lgkmcnt(0)
	v_cmp_eq_f32_e64 s15, s22, 0
	v_cmp_neq_f32_e64 s23, s22, 0
	s_add_u32 s2, s10, s2
	s_addc_u32 s3, s11, s3
	s_mov_b64 s[10:11], 0
	s_and_b32 vcc_lo, exec_lo, s15
	s_cbranch_vccnz .LBB27_2
; %bb.1:
	s_lshl_b64 s[10:11], s[20:21], 3
	s_delay_alu instid0(SALU_CYCLE_1)
	s_add_u32 s10, s18, s10
	s_addc_u32 s11, s19, s11
	s_lshl_b64 s[4:5], s[4:5], 2
	s_load_b64 s[10:11], s[10:11], 0x0
	s_waitcnt lgkmcnt(0)
	s_add_u32 s10, s10, s4
	s_addc_u32 s11, s11, s5
.LBB27_2:
	s_load_b32 s15, s[2:3], 0x0
	v_cndmask_b32_e64 v1, 0, 1, s23
	s_and_not1_b32 vcc_lo, exec_lo, s23
	s_delay_alu instid0(VALU_DEP_1)
	v_cmp_ne_u32_e64 s3, 1, v1
	s_cbranch_vccnz .LBB27_4
; %bb.3:
	s_lshl_b64 s[4:5], s[20:21], 3
	s_delay_alu instid0(SALU_CYCLE_1)
	s_add_u32 s4, s6, s4
	s_addc_u32 s5, s7, s5
	s_lshl_b64 s[6:7], s[8:9], 2
	s_load_b64 s[4:5], s[4:5], 0x0
	s_waitcnt lgkmcnt(0)
	s_add_u32 s12, s4, s6
	s_addc_u32 s13, s5, s7
.LBB27_4:
	s_load_b128 s[4:7], s[0:1], 0x60
	s_waitcnt lgkmcnt(0)
	v_cmp_eq_f32_e64 s2, s15, 0
	s_delay_alu instid0(VALU_DEP_1) | instskip(NEXT) | instid1(SALU_CYCLE_1)
	s_and_b32 s2, exec_lo, s2
	s_mov_b32 vcc_lo, s2
	s_cbranch_vccnz .LBB27_6
; %bb.5:
	s_lshl_b64 s[8:9], s[20:21], 3
	s_delay_alu instid0(SALU_CYCLE_1)
	s_add_u32 s8, s16, s8
	s_addc_u32 s9, s17, s9
	s_lshl_b64 s[4:5], s[4:5], 2
	s_load_b64 s[8:9], s[8:9], 0x0
	s_waitcnt lgkmcnt(0)
	s_add_u32 s4, s8, s4
	s_addc_u32 s5, s9, s5
	s_branch .LBB27_7
.LBB27_6:
	s_mov_b64 s[4:5], 0
.LBB27_7:
	s_clause 0x1
	s_load_b32 s8, s[0:1], 0x20
	s_load_b32 s18, s[0:1], 0x0
	s_lshl_b64 s[16:17], s[20:21], 3
	v_and_b32_e32 v52, 0x3ff, v0
	v_bfe_u32 v53, v0, 10, 10
	s_delay_alu instid0(VALU_DEP_1) | instskip(NEXT) | instid1(VALU_DEP_1)
	v_lshl_add_u32 v4, v53, 3, v52
	v_and_b32_e32 v3, 63, v4
	v_lshrrev_b32_e32 v2, 6, v4
	s_waitcnt lgkmcnt(0)
	s_ashr_i32 s9, s8, 31
	s_add_u32 s6, s6, s16
	s_addc_u32 s7, s7, s17
	s_add_i32 s16, s18, -1
	s_delay_alu instid0(SALU_CYCLE_1) | instskip(NEXT) | instid1(SALU_CYCLE_1)
	s_ashr_i32 s17, s16, 31
	s_lshr_b32 s17, s17, 26
	s_delay_alu instid0(SALU_CYCLE_1) | instskip(NEXT) | instid1(SALU_CYCLE_1)
	s_add_i32 s16, s16, s17
	s_ashr_i32 s16, s16, 6
	s_delay_alu instid0(SALU_CYCLE_1) | instskip(SKIP_2) | instid1(VALU_DEP_1)
	s_add_i32 s18, s16, 1
	s_not_b32 s16, s16
	v_cvt_f32_u32_e32 v1, s18
	v_rcp_iflag_f32_e32 v1, v1
	s_waitcnt_depctr 0xfff
	v_mul_f32_e32 v1, 0x4f7ffffe, v1
	s_delay_alu instid0(VALU_DEP_1) | instskip(NEXT) | instid1(VALU_DEP_1)
	v_cvt_u32_f32_e32 v1, v1
	v_readfirstlane_b32 s17, v1
	s_delay_alu instid0(VALU_DEP_1) | instskip(NEXT) | instid1(SALU_CYCLE_1)
	s_mul_i32 s16, s16, s17
	s_mul_hi_u32 s16, s17, s16
	s_delay_alu instid0(SALU_CYCLE_1) | instskip(NEXT) | instid1(SALU_CYCLE_1)
	s_add_i32 s17, s17, s16
	s_mul_hi_u32 s16, s14, s17
	s_delay_alu instid0(SALU_CYCLE_1) | instskip(SKIP_2) | instid1(SALU_CYCLE_1)
	s_mul_i32 s17, s16, s18
	s_add_i32 s19, s16, 1
	s_sub_i32 s17, s14, s17
	s_sub_i32 s20, s17, s18
	s_cmp_ge_u32 s17, s18
	s_cselect_b32 s16, s19, s16
	s_cselect_b32 s17, s20, s17
	s_add_i32 s19, s16, 1
	s_cmp_ge_u32 s17, s18
	s_cselect_b32 s17, s19, s16
	s_and_b32 vcc_lo, exec_lo, s3
	s_mul_i32 s18, s17, s18
	s_delay_alu instid0(SALU_CYCLE_1) | instskip(NEXT) | instid1(SALU_CYCLE_1)
	s_sub_i32 s16, s14, s18
	s_lshl_b32 s16, s16, 6
	s_delay_alu instid0(SALU_CYCLE_1) | instskip(NEXT) | instid1(VALU_DEP_1)
	v_or_b32_e32 v0, s16, v3
	v_ashrrev_i32_e32 v1, 31, v0
	s_cbranch_vccnz .LBB27_9
; %bb.8:
	v_mad_i64_i32 v[5:6], null, s8, v2, 0
	s_delay_alu instid0(VALU_DEP_2) | instskip(NEXT) | instid1(VALU_DEP_2)
	v_lshlrev_b64 v[7:8], 2, v[0:1]
	v_lshlrev_b64 v[5:6], 2, v[5:6]
	s_delay_alu instid0(VALU_DEP_1) | instskip(NEXT) | instid1(VALU_DEP_2)
	v_add_co_u32 v5, vcc_lo, s10, v5
	v_add_co_ci_u32_e32 v6, vcc_lo, s11, v6, vcc_lo
	s_delay_alu instid0(VALU_DEP_2) | instskip(NEXT) | instid1(VALU_DEP_2)
	v_add_co_u32 v5, vcc_lo, v5, v7
	v_add_co_ci_u32_e32 v6, vcc_lo, v6, v8, vcc_lo
	flat_load_b32 v5, v[5:6]
	s_waitcnt vmcnt(0) lgkmcnt(0)
	v_mul_f32_e32 v8, s22, v5
	s_branch .LBB27_10
.LBB27_9:
	v_mov_b32_e32 v8, 0
.LBB27_10:
	s_load_b32 s19, s[0:1], 0x38
	v_lshrrev_b32_e32 v9, 2, v4
	s_lshl_b32 s17, s17, 7
	v_and_b32_e32 v5, 3, v52
	s_and_b32 vcc_lo, exec_lo, s3
	s_delay_alu instid0(VALU_DEP_2) | instskip(NEXT) | instid1(VALU_DEP_2)
	v_add_nc_u32_e32 v4, s17, v9
	v_lshlrev_b32_e32 v58, 2, v5
	s_delay_alu instid0(VALU_DEP_2)
	v_add_nc_u32_e32 v5, 64, v4
	s_cbranch_vccnz .LBB27_14
; %bb.11:
	s_waitcnt lgkmcnt(0)
	v_mad_i64_i32 v[6:7], null, v4, s19, 0
	s_delay_alu instid0(VALU_DEP_2) | instskip(SKIP_1) | instid1(VALU_DEP_1)
	v_mad_i64_i32 v[10:11], null, v5, s19, 0
	v_add_co_u32 v12, s20, s12, v58
	v_add_co_ci_u32_e64 v13, null, s13, 0, s20
	s_delay_alu instid0(VALU_DEP_4) | instskip(NEXT) | instid1(VALU_DEP_4)
	v_lshlrev_b64 v[6:7], 2, v[6:7]
	v_lshlrev_b64 v[10:11], 2, v[10:11]
	s_delay_alu instid0(VALU_DEP_2) | instskip(NEXT) | instid1(VALU_DEP_3)
	v_add_co_u32 v6, vcc_lo, v12, v6
	v_add_co_ci_u32_e32 v7, vcc_lo, v13, v7, vcc_lo
	s_delay_alu instid0(VALU_DEP_3) | instskip(NEXT) | instid1(VALU_DEP_4)
	v_add_co_u32 v10, vcc_lo, v12, v10
	v_add_co_ci_u32_e32 v11, vcc_lo, v13, v11, vcc_lo
	s_clause 0x1
	flat_load_b32 v6, v[6:7]
	flat_load_b32 v7, v[10:11]
	s_waitcnt vmcnt(0) lgkmcnt(0)
	v_dual_mul_f32 v10, s22, v6 :: v_dual_mul_f32 v11, s22, v7
	s_and_b32 vcc_lo, exec_lo, s3
	s_cbranch_vccnz .LBB27_15
.LBB27_12:
	v_add_nc_u32_e32 v12, 4, v2
	v_lshlrev_b64 v[0:1], 2, v[0:1]
	s_delay_alu instid0(VALU_DEP_2) | instskip(NEXT) | instid1(VALU_DEP_1)
	v_mad_i64_i32 v[6:7], null, s8, v12, 0
	v_lshlrev_b64 v[6:7], 2, v[6:7]
	s_delay_alu instid0(VALU_DEP_1) | instskip(NEXT) | instid1(VALU_DEP_2)
	v_add_co_u32 v6, vcc_lo, s10, v6
	v_add_co_ci_u32_e32 v7, vcc_lo, s11, v7, vcc_lo
	s_delay_alu instid0(VALU_DEP_2) | instskip(NEXT) | instid1(VALU_DEP_2)
	v_add_co_u32 v0, vcc_lo, v6, v0
	v_add_co_ci_u32_e32 v1, vcc_lo, v7, v1, vcc_lo
	flat_load_b32 v0, v[0:1]
	s_waitcnt vmcnt(0) lgkmcnt(0)
	v_mul_f32_e32 v0, s22, v0
	s_and_b32 vcc_lo, exec_lo, s3
	s_cbranch_vccnz .LBB27_16
.LBB27_13:
	s_waitcnt lgkmcnt(0)
	v_mad_i64_i32 v[6:7], null, v4, s19, 0
	v_mad_i64_i32 v[12:13], null, v5, s19, 0
	v_add_co_u32 v1, s20, s12, v58
	s_delay_alu instid0(VALU_DEP_1) | instskip(NEXT) | instid1(VALU_DEP_4)
	v_add_co_ci_u32_e64 v14, null, s13, 0, s20
	v_lshlrev_b64 v[6:7], 2, v[6:7]
	s_delay_alu instid0(VALU_DEP_4) | instskip(NEXT) | instid1(VALU_DEP_2)
	v_lshlrev_b64 v[12:13], 2, v[12:13]
	v_add_co_u32 v6, vcc_lo, v1, v6
	s_delay_alu instid0(VALU_DEP_3) | instskip(NEXT) | instid1(VALU_DEP_3)
	v_add_co_ci_u32_e32 v7, vcc_lo, v14, v7, vcc_lo
	v_add_co_u32 v12, vcc_lo, v1, v12
	s_delay_alu instid0(VALU_DEP_4)
	v_add_co_ci_u32_e32 v13, vcc_lo, v14, v13, vcc_lo
	s_clause 0x1
	flat_load_b32 v1, v[6:7] offset:16
	flat_load_b32 v7, v[12:13] offset:16
	s_waitcnt vmcnt(0) lgkmcnt(0)
	v_dual_mul_f32 v6, s22, v1 :: v_dual_mul_f32 v7, s22, v7
	s_branch .LBB27_17
.LBB27_14:
	v_dual_mov_b32 v10, 0 :: v_dual_mov_b32 v11, 0
	s_and_b32 vcc_lo, exec_lo, s3
	s_cbranch_vccz .LBB27_12
.LBB27_15:
	v_mov_b32_e32 v0, 0
	s_and_b32 vcc_lo, exec_lo, s3
	s_cbranch_vccz .LBB27_13
.LBB27_16:
	v_dual_mov_b32 v6, 0 :: v_dual_mov_b32 v7, 0
.LBB27_17:
	v_lshlrev_b32_e32 v1, 4, v3
	v_lshl_or_b32 v69, v9, 4, v58
	v_lshlrev_b32_e32 v54, 4, v53
	v_lshlrev_b32_e32 v55, 4, v52
	s_load_b64 s[6:7], s[6:7], 0x0
	v_lshl_add_u32 v1, v2, 2, v1
	s_load_b32 s20, s[0:1], 0x8
	ds_store_2addr_stride64_b32 v69, v10, v11 offset1:4
	ds_store_b32 v1, v8 offset:4096
	s_waitcnt lgkmcnt(0)
	s_barrier
	buffer_gl0_inv
	ds_load_b128 v[8:11], v54
	ds_load_b128 v[12:15], v55 offset:4096
	ds_load_b128 v[16:19], v55 offset:4224
	;; [unrolled: 1-line block ×11, first 2 shown]
	ds_store_b32 v1, v0 offset:5120
	ds_store_2addr_stride64_b32 v69, v6, v7 offset0:8 offset1:12
	s_waitcnt lgkmcnt(0)
	s_barrier
	buffer_gl0_inv
	v_max_f32_e32 v8, v8, v8
	v_dual_max_f32 v12, v12, v12 :: v_dual_max_f32 v9, v9, v9
	v_dual_max_f32 v13, v13, v13 :: v_dual_max_f32 v16, v16, v16
	v_dual_max_f32 v25, v25, v25 :: v_dual_max_f32 v28, v28, v28
	v_max_f32_e32 v29, v29, v29
	v_dual_max_f32 v17, v17, v17 :: v_dual_max_f32 v20, v20, v20
	v_dual_max_f32 v21, v21, v21 :: v_dual_min_f32 v56, v12, v8
	v_dual_min_f32 v57, v13, v9 :: v_dual_max_f32 v24, v24, v24
	s_delay_alu instid0(VALU_DEP_4)
	v_dual_min_f32 v70, v28, v8 :: v_dual_min_f32 v71, v29, v9
	v_dual_max_f32 v32, v32, v32 :: v_dual_max_f32 v33, v33, v33
	v_dual_max_f32 v36, v36, v36 :: v_dual_max_f32 v37, v37, v37
	v_max_f32_e32 v40, v40, v40
	v_dual_max_f32 v10, v10, v10 :: v_dual_max_f32 v41, v41, v41
	v_dual_max_f32 v44, v44, v44 :: v_dual_max_f32 v15, v15, v15
	;; [unrolled: 1-line block ×3, first 2 shown]
	v_dual_min_f32 v63, v16, v8 :: v_dual_min_f32 v64, v17, v9
	v_dual_min_f32 v65, v20, v8 :: v_dual_min_f32 v66, v21, v9
	;; [unrolled: 1-line block ×5, first 2 shown]
	v_dual_min_f32 v8, v40, v8 :: v_dual_max_f32 v11, v11, v11
	v_dual_min_f32 v9, v41, v9 :: v_dual_min_f32 v76, v12, v44
	v_dual_max_f32 v18, v18, v18 :: v_dual_max_f32 v19, v19, v19
	v_dual_min_f32 v77, v13, v45 :: v_dual_min_f32 v78, v16, v44
	v_dual_min_f32 v79, v17, v45 :: v_dual_min_f32 v80, v20, v44
	;; [unrolled: 1-line block ×4, first 2 shown]
	v_dual_min_f32 v85, v32, v44 :: v_dual_max_f32 v38, v38, v38
	v_dual_max_f32 v48, v48, v48 :: v_dual_max_f32 v39, v39, v39
	v_dual_min_f32 v86, v36, v44 :: v_dual_max_f32 v43, v43, v43
	v_dual_min_f32 v44, v40, v44 :: v_dual_max_f32 v49, v49, v49
	v_dual_max_f32 v50, v50, v50 :: v_dual_max_f32 v59, v59, v59
	v_dual_max_f32 v60, v60, v60 :: v_dual_max_f32 v61, v61, v61
	v_dual_max_f32 v22, v22, v22 :: v_dual_max_f32 v23, v23, v23
	v_dual_max_f32 v30, v30, v30 :: v_dual_max_f32 v31, v31, v31
	v_dual_min_f32 v87, v12, v48 :: v_dual_max_f32 v42, v42, v42
	v_dual_min_f32 v122, v16, v48 :: v_dual_max_f32 v47, v47, v47
	v_dual_max_f32 v46, v46, v46 :: v_dual_min_f32 v123, v20, v48
	v_dual_min_f32 v124, v24, v48 :: v_dual_max_f32 v51, v51, v51
	v_dual_max_f32 v62, v62, v62 :: v_dual_min_f32 v125, v28, v48
	v_min_f32_e32 v126, v32, v48
	v_dual_min_f32 v127, v36, v48 :: v_dual_min_f32 v88, v33, v45
	v_dual_min_f32 v48, v40, v48 :: v_dual_min_f32 v89, v37, v45
	v_min_f32_e32 v12, v12, v59
	v_dual_min_f32 v16, v16, v59 :: v_dual_min_f32 v91, v17, v49
	v_dual_min_f32 v20, v20, v59 :: v_dual_min_f32 v129, v25, v49
	;; [unrolled: 1-line block ×3, first 2 shown]
	v_min_f32_e32 v28, v28, v59
	v_min_f32_e32 v32, v32, v59
	v_dual_min_f32 v36, v36, v59 :: v_dual_min_f32 v17, v17, v60
	v_dual_min_f32 v40, v40, v59 :: v_dual_min_f32 v59, v29, v45
	v_min_f32_e32 v45, v41, v45
	v_dual_min_f32 v90, v13, v49 :: v_dual_min_f32 v93, v19, v11
	v_dual_min_f32 v128, v21, v49 :: v_dual_add_f32 v63, 0, v63
	v_dual_min_f32 v130, v29, v49 :: v_dual_min_f32 v95, v23, v11
	v_min_f32_e32 v13, v13, v60
	v_min_f32_e32 v21, v21, v60
	;; [unrolled: 1-line block ×3, first 2 shown]
	v_dual_min_f32 v29, v29, v60 :: v_dual_min_f32 v92, v14, v10
	v_dual_min_f32 v33, v33, v60 :: v_dual_min_f32 v94, v18, v10
	v_dual_add_f32 v57, 0, v57 :: v_dual_add_f32 v56, 0, v56
	v_min_f32_e32 v132, v37, v49
	v_min_f32_e32 v49, v41, v49
	v_dual_min_f32 v37, v37, v60 :: v_dual_add_f32 v66, 0, v66
	v_dual_min_f32 v41, v41, v60 :: v_dual_min_f32 v60, v15, v11
	v_dual_add_f32 v64, 0, v64 :: v_dual_add_f32 v119, v94, v63
	v_dual_max_f32 v26, v26, v26 :: v_dual_max_f32 v27, v27, v27
	v_dual_max_f32 v34, v34, v34 :: v_dual_max_f32 v35, v35, v35
	s_delay_alu instid0(VALU_DEP_4)
	v_add_f32_e32 v120, v60, v57
	v_add_f32_e32 v121, v92, v56
	v_dual_add_f32 v118, v93, v64 :: v_dual_min_f32 v57, v22, v10
	v_dual_add_f32 v56, 0, v65 :: v_dual_min_f32 v63, v27, v11
	;; [unrolled: 1-line block ×3, first 2 shown]
	v_add_f32_e32 v68, 0, v70
	v_min_f32_e32 v70, v30, v10
	s_delay_alu instid0(VALU_DEP_4) | instskip(SKIP_1) | instid1(VALU_DEP_3)
	v_dual_add_f32 v116, v95, v66 :: v_dual_add_f32 v117, v57, v56
	v_min_f32_e32 v57, v35, v11
	v_dual_add_f32 v64, 0, v67 :: v_dual_add_f32 v113, v70, v68
	v_add_f32_e32 v66, 0, v71
	v_dual_min_f32 v67, v31, v11 :: v_dual_add_f32 v56, 0, v73
	v_dual_add_f32 v114, v63, v60 :: v_dual_min_f32 v63, v34, v10
	s_delay_alu instid0(VALU_DEP_2) | instskip(SKIP_4) | instid1(VALU_DEP_4)
	v_dual_add_f32 v115, v65, v64 :: v_dual_add_f32 v112, v67, v66
	v_dual_add_f32 v9, 0, v9 :: v_dual_add_f32 v60, 0, v72
	v_dual_min_f32 v67, v38, v10 :: v_dual_add_f32 v64, 0, v75
	v_dual_min_f32 v65, v39, v11 :: v_dual_add_f32 v66, 0, v74
	;; [unrolled: 1-line block ×3, first 2 shown]
	v_add_f32_e32 v111, v63, v60
	s_delay_alu instid0(VALU_DEP_3) | instskip(SKIP_1) | instid1(VALU_DEP_4)
	v_add_f32_e32 v108, v65, v64
	v_add_f32_e32 v8, 0, v8
	v_dual_add_f32 v106, v11, v9 :: v_dual_min_f32 v57, v14, v46
	v_dual_min_f32 v9, v42, v10 :: v_dual_add_f32 v10, 0, v77
	v_min_f32_e32 v63, v19, v47
	v_dual_min_f32 v11, v15, v47 :: v_dual_add_f32 v56, 0, v76
	v_dual_min_f32 v65, v18, v46 :: v_dual_add_f32 v60, 0, v79
	s_delay_alu instid0(VALU_DEP_4) | instskip(NEXT) | instid1(VALU_DEP_3)
	v_dual_add_f32 v107, v9, v8 :: v_dual_add_f32 v64, 0, v78
	v_dual_add_f32 v105, v57, v56 :: v_dual_add_f32 v104, v11, v10
	s_delay_alu instid0(VALU_DEP_3) | instskip(NEXT) | instid1(VALU_DEP_3)
	v_dual_add_f32 v102, v63, v60 :: v_dual_min_f32 v11, v22, v46
	v_dual_add_f32 v103, v65, v64 :: v_dual_add_f32 v8, 0, v81
	v_dual_min_f32 v9, v23, v47 :: v_dual_add_f32 v10, 0, v80
	v_min_f32_e32 v57, v27, v47
	v_dual_add_f32 v56, 0, v83 :: v_dual_min_f32 v63, v26, v46
	v_dual_add_f32 v60, 0, v82 :: v_dual_add_f32 v59, 0, v59
	s_delay_alu instid0(VALU_DEP_2) | instskip(SKIP_1) | instid1(VALU_DEP_2)
	v_dual_min_f32 v64, v31, v47 :: v_dual_add_f32 v97, v57, v56
	v_dual_add_f32 v100, v9, v8 :: v_dual_add_f32 v101, v11, v10
	v_dual_add_f32 v99, v63, v60 :: v_dual_add_f32 v96, v64, v59
	v_dual_add_f32 v8, 0, v84 :: v_dual_min_f32 v9, v30, v46
	v_dual_add_f32 v10, 0, v88 :: v_dual_min_f32 v11, v35, v47
	;; [unrolled: 1-line block ×4, first 2 shown]
	s_delay_alu instid0(VALU_DEP_4) | instskip(NEXT) | instid1(VALU_DEP_3)
	v_dual_add_f32 v63, 0, v86 :: v_dual_add_f32 v98, v9, v8
	v_dual_min_f32 v64, v38, v46 :: v_dual_add_f32 v95, v57, v56
	v_add_f32_e32 v94, v11, v10
	s_delay_alu instid0(VALU_DEP_4) | instskip(SKIP_4) | instid1(VALU_DEP_3)
	v_dual_add_f32 v92, v60, v59 :: v_dual_min_f32 v11, v42, v46
	v_dual_add_f32 v8, 0, v45 :: v_dual_min_f32 v9, v43, v47
	;; [unrolled: 1-line block ×5, first 2 shown]
	v_dual_add_f32 v56, 0, v91 :: v_dual_add_f32 v91, v11, v10
	v_add_f32_e32 v90, v9, v8
	s_delay_alu instid0(VALU_DEP_4) | instskip(NEXT) | instid1(VALU_DEP_3)
	v_dual_add_f32 v88, v45, v44 :: v_dual_min_f32 v9, v18, v50
	v_dual_add_f32 v89, v47, v46 :: v_dual_add_f32 v86, v57, v56
	v_dual_min_f32 v11, v23, v51 :: v_dual_add_f32 v8, 0, v122
	v_dual_min_f32 v47, v27, v51 :: v_dual_add_f32 v10, 0, v128
	;; [unrolled: 1-line block ×4, first 2 shown]
	s_delay_alu instid0(VALU_DEP_4) | instskip(SKIP_1) | instid1(VALU_DEP_4)
	v_add_f32_e32 v87, v9, v8
	v_dual_add_f32 v56, 0, v124 :: v_dual_min_f32 v9, v31, v51
	v_dual_add_f32 v84, v11, v10 :: v_dual_add_f32 v85, v45, v44
	s_delay_alu instid0(VALU_DEP_2) | instskip(SKIP_4) | instid1(VALU_DEP_3)
	v_dual_add_f32 v82, v47, v46 :: v_dual_add_f32 v83, v57, v56
	v_dual_add_f32 v8, 0, v130 :: v_dual_min_f32 v45, v35, v51
	v_dual_add_f32 v10, 0, v125 :: v_dual_min_f32 v11, v30, v50
	;; [unrolled: 1-line block ×4, first 2 shown]
	v_dual_add_f32 v56, 0, v132 :: v_dual_add_f32 v81, v11, v10
	s_delay_alu instid0(VALU_DEP_2) | instskip(NEXT) | instid1(VALU_DEP_4)
	v_dual_add_f32 v80, v9, v8 :: v_dual_add_f32 v79, v47, v46
	v_dual_add_f32 v77, v45, v44 :: v_dual_add_f32 v8, 0, v127
	s_delay_alu instid0(VALU_DEP_3)
	v_dual_add_f32 v76, v57, v56 :: v_dual_min_f32 v9, v38, v50
	v_dual_add_f32 v10, 0, v49 :: v_dual_min_f32 v11, v43, v51
	v_dual_add_f32 v13, 0, v13 :: v_dual_add_f32 v12, 0, v12
	v_dual_min_f32 v15, v15, v62 :: v_dual_min_f32 v14, v14, v61
	v_dual_add_f32 v44, 0, v48 :: v_dual_min_f32 v45, v42, v50
	v_dual_add_f32 v78, v9, v8 :: v_dual_add_f32 v9, 0, v17
	v_add_f32_e32 v74, v11, v10
	s_delay_alu instid0(VALU_DEP_4)
	v_dual_add_f32 v70, v15, v13 :: v_dual_add_f32 v73, v14, v12
	v_dual_add_f32 v8, 0, v16 :: v_dual_add_f32 v11, 0, v21
	;; [unrolled: 1-line block ×3, first 2 shown]
	v_dual_add_f32 v24, 0, v40 :: v_dual_min_f32 v23, v23, v62
	v_dual_add_f32 v109, v67, v66 :: v_dual_add_f32 v10, 0, v20
	v_dual_add_f32 v13, 0, v25 :: v_dual_add_f32 v14, 0, v28
	;; [unrolled: 1-line block ×3, first 2 shown]
	v_min_f32_e32 v19, v19, v62
	v_dual_add_f32 v66, v23, v11 :: v_dual_min_f32 v11, v30, v61
	v_dual_add_f32 v93, v64, v63 :: v_dual_min_f32 v22, v22, v61
	v_dual_add_f32 v16, 0, v32 :: v_dual_add_f32 v21, 0, v37
	s_delay_alu instid0(VALU_DEP_3) | instskip(SKIP_1) | instid1(VALU_DEP_4)
	v_add_f32_e32 v64, v11, v14
	v_min_f32_e32 v11, v43, v62
	v_dual_add_f32 v71, v19, v9 :: v_dual_add_f32 v68, v22, v10
	v_min_f32_e32 v9, v26, v61
	v_min_f32_e32 v18, v18, v61
	v_dual_min_f32 v10, v31, v62 :: v_dual_add_f32 v75, v45, v44
	s_cmp_lt_i32 s20, 9
	s_delay_alu instid0(VALU_DEP_3) | instskip(NEXT) | instid1(VALU_DEP_3)
	v_add_f32_e32 v67, v9, v12
	v_dual_add_f32 v25, 0, v41 :: v_dual_add_f32 v72, v18, v8
	s_delay_alu instid0(VALU_DEP_3) | instskip(SKIP_3) | instid1(VALU_DEP_4)
	v_dual_min_f32 v8, v27, v62 :: v_dual_add_f32 v63, v10, v15
	v_min_f32_e32 v9, v34, v61
	v_min_f32_e32 v12, v42, v61
	v_min_f32_e32 v10, v38, v61
	v_dual_add_f32 v65, v8, v13 :: v_dual_min_f32 v8, v35, v62
	s_delay_alu instid0(VALU_DEP_3) | instskip(NEXT) | instid1(VALU_DEP_2)
	v_dual_add_f32 v56, v11, v25 :: v_dual_add_f32 v57, v12, v24
	v_dual_add_f32 v60, v10, v20 :: v_dual_add_f32 v59, v8, v17
	v_min_f32_e32 v8, v39, v62
	s_delay_alu instid0(VALU_DEP_1)
	v_dual_add_f32 v62, v9, v16 :: v_dual_add_f32 v61, v8, v21
	s_cbranch_scc1 .LBB27_31
; %bb.18:
	v_mad_i64_i32 v[6:7], null, s19, v5, 0
	v_lshl_or_b32 v5, s14, 6, v3
	s_lshl_b32 s14, s18, 6
	v_or_b32_e32 v122, 0x1000, v1
	v_add_nc_u32_e32 v124, 0x1400, v1
	v_mad_i64_i32 v[0:1], null, s19, v4, 0
	v_lshlrev_b64 v[3:4], 2, v[6:7]
	v_add_nc_u32_e32 v6, 8, v2
	v_subrev_nc_u32_e32 v5, s14, v5
	v_add_nc_u32_e32 v2, 12, v2
	v_add_nc_u32_e32 v123, 0x1000, v55
	;; [unrolled: 1-line block ×3, first 2 shown]
	v_mad_i64_i32 v[7:8], null, v6, s8, 0
	v_ashrrev_i32_e32 v6, 31, v5
	v_lshlrev_b64 v[0:1], 2, v[0:1]
	v_mad_i64_i32 v[9:10], null, v2, s8, 0
	v_add_co_u32 v128, vcc_lo, s12, v3
	s_delay_alu instid0(VALU_DEP_4) | instskip(SKIP_3) | instid1(VALU_DEP_4)
	v_lshlrev_b64 v[2:3], 2, v[5:6]
	v_add_co_ci_u32_e32 v129, vcc_lo, s13, v4, vcc_lo
	v_add_co_u32 v130, vcc_lo, s12, v0
	v_add_co_ci_u32_e32 v131, vcc_lo, s13, v1, vcc_lo
	v_add_co_u32 v132, vcc_lo, s10, v2
	v_lshlrev_b64 v[48:49], 2, v[7:8]
	v_lshlrev_b64 v[50:51], 2, v[9:10]
	v_lshl_add_u32 v126, v52, 4, 0x1400
	v_lshl_add_u32 v127, v53, 4, 0x800
	v_add_co_ci_u32_e32 v133, vcc_lo, s11, v3, vcc_lo
	s_add_i32 s10, s20, -8
	s_lshl_b64 s[8:9], s[8:9], 5
	s_mov_b32 s11, 0
	s_branch .LBB27_21
.LBB27_19:                              ;   in Loop: Header=BB27_21 Depth=1
	v_add_co_u32 v0, vcc_lo, v130, v58
	v_add_co_ci_u32_e32 v1, vcc_lo, 0, v131, vcc_lo
	v_add_co_u32 v217, vcc_lo, v128, v58
	v_add_co_ci_u32_e32 v218, vcc_lo, 0, v129, vcc_lo
	flat_load_b32 v0, v[0:1] offset:48
	flat_load_b32 v1, v[217:218] offset:48
	s_waitcnt vmcnt(0) lgkmcnt(0)
	v_dual_mul_f32 v0, s22, v0 :: v_dual_mul_f32 v1, s22, v1
.LBB27_20:                              ;   in Loop: Header=BB27_21 Depth=1
	v_dual_add_f32 v40, v40, v120 :: v_dual_add_f32 v29, v29, v117
	v_dual_add_f32 v28, v28, v118 :: v_dual_add_f32 v33, v33, v115
	;; [unrolled: 1-line block ×19, first 2 shown]
	ds_load_b128 v[20:23], v54
	ds_load_b128 v[28:31], v123
	v_dual_add_f32 v68, v10, v68 :: v_dual_add_f32 v67, v11, v67
	ds_load_b128 v[8:11], v123 offset:128
	v_dual_add_f32 v93, v143, v93 :: v_dual_add_f32 v4, v4, v92
	v_dual_add_f32 v66, v166, v66 :: v_dual_add_f32 v65, v168, v65
	;; [unrolled: 1-line block ×14, first 2 shown]
	s_waitcnt lgkmcnt(2)
	v_dual_add_f32 v136, v19, v46 :: v_dual_max_f32 v21, v21, v21
	ds_load_b128 v[2:5], v123 offset:256
	ds_load_b128 v[12:15], v123 offset:384
	;; [unrolled: 1-line block ×5, first 2 shown]
	v_dual_add_f32 v7, v7, v43 :: v_dual_max_f32 v20, v20, v20
	s_waitcnt lgkmcnt(6)
	v_dual_max_f32 v28, v28, v28 :: v_dual_max_f32 v29, v29, v29
	s_waitcnt lgkmcnt(5)
	v_dual_max_f32 v8, v8, v8 :: v_dual_max_f32 v9, v9, v9
	v_dual_add_f32 v57, v38, v36 :: v_dual_add_f32 v104, v39, v37
	v_dual_add_f32 v92, v42, v41 :: v_dual_add_f32 v117, v180, v44
	ds_load_b128 v[36:39], v123 offset:768
	ds_load_b128 v[40:43], v123 offset:896
	v_dual_add_f32 v99, v137, v99 :: v_dual_add_f32 v98, v139, v98
	v_dual_add_f32 v97, v138, v97 :: v_dual_add_f32 v96, v140, v96
	v_dual_min_f32 v137, v28, v20 :: v_dual_min_f32 v138, v29, v21
	s_waitcnt lgkmcnt(6)
	v_dual_min_f32 v139, v8, v20 :: v_dual_max_f32 v2, v2, v2
	s_waitcnt lgkmcnt(5)
	v_dual_max_f32 v3, v3, v3 :: v_dual_max_f32 v12, v12, v12
	v_dual_add_f32 v57, v137, v57 :: v_dual_add_f32 v56, v138, v56
	s_delay_alu instid0(VALU_DEP_3) | instskip(SKIP_2) | instid1(VALU_DEP_2)
	v_dual_min_f32 v137, v9, v21 :: v_dual_add_f32 v92, v139, v92
	v_dual_min_f32 v138, v2, v20 :: v_dual_max_f32 v13, v13, v13
	s_waitcnt lgkmcnt(4)
	v_dual_max_f32 v16, v16, v16 :: v_dual_add_f32 v91, v137, v91
	v_min_f32_e32 v139, v12, v20
	s_delay_alu instid0(VALU_DEP_3)
	v_dual_add_f32 v103, v138, v103 :: v_dual_min_f32 v138, v13, v21
	v_min_f32_e32 v137, v3, v21
	s_waitcnt lgkmcnt(1)
	v_dual_max_f32 v17, v17, v17 :: v_dual_max_f32 v36, v36, v36
	v_dual_add_f32 v105, v139, v105 :: v_dual_max_f32 v24, v24, v24
	v_add_f32_e32 v104, v138, v104
	v_dual_add_f32 v102, v137, v102 :: v_dual_min_f32 v137, v16, v20
	s_delay_alu instid0(VALU_DEP_4) | instskip(SKIP_2) | instid1(VALU_DEP_3)
	v_min_f32_e32 v138, v17, v21
	s_waitcnt lgkmcnt(0)
	v_dual_max_f32 v25, v25, v25 :: v_dual_max_f32 v40, v40, v40
	v_dual_max_f32 v32, v32, v32 :: v_dual_add_f32 v107, v137, v107
	s_delay_alu instid0(VALU_DEP_3) | instskip(SKIP_4) | instid1(VALU_DEP_4)
	v_add_f32_e32 v106, v138, v106
	v_min_f32_e32 v138, v36, v20
	v_min_f32_e32 v137, v24, v20
	;; [unrolled: 1-line block ×3, first 2 shown]
	v_max_f32_e32 v37, v37, v37
	v_dual_max_f32 v33, v33, v33 :: v_dual_add_f32 v138, v138, v111
	s_delay_alu instid0(VALU_DEP_3) | instskip(NEXT) | instid1(VALU_DEP_3)
	v_dual_add_f32 v109, v137, v109 :: v_dual_add_f32 v108, v139, v108
	v_dual_min_f32 v137, v37, v21 :: v_dual_min_f32 v20, v40, v20
	v_dual_add_f32 v100, v190, v100 :: v_dual_add_f32 v101, v181, v101
	v_max_f32_e32 v41, v41, v41
	s_delay_alu instid0(VALU_DEP_3)
	v_dual_add_f32 v137, v137, v110 :: v_dual_add_f32 v20, v20, v113
	v_dual_min_f32 v110, v28, v32 :: v_dual_min_f32 v111, v29, v33
	ds_load_b128 v[44:47], v54 offset:1024
	ds_load_b128 v[59:62], v54 offset:1536
	v_dual_add_f32 v95, v141, v95 :: v_dual_add_f32 v94, v142, v94
	v_dual_add_f32 v97, v191, v97 :: v_dual_add_f32 v96, v192, v96
	v_dual_add_f32 v140, v111, v114 :: v_dual_min_f32 v113, v8, v32
	v_dual_add_f32 v139, v110, v115 :: v_dual_min_f32 v110, v9, v33
	v_min_f32_e32 v21, v41, v21
	v_min_f32_e32 v111, v2, v32
	v_dual_add_f32 v99, v182, v99 :: v_dual_add_f32 v98, v183, v98
	s_delay_alu instid0(VALU_DEP_4) | instskip(SKIP_4) | instid1(VALU_DEP_4)
	v_add_f32_e32 v142, v110, v116
	v_min_f32_e32 v110, v13, v33
	v_dual_add_f32 v94, v193, v94 :: v_dual_add_f32 v95, v184, v95
	v_dual_add_f32 v21, v21, v112 :: v_dual_min_f32 v112, v3, v33
	v_add_f32_e32 v141, v113, v117
	v_add_f32_e32 v97, v110, v97
	v_min_f32_e32 v110, v17, v33
	v_add_f32_e32 v101, v111, v101
	v_min_f32_e32 v111, v16, v32
	v_min_f32_e32 v113, v12, v32
	v_dual_add_f32 v89, v145, v89 :: v_dual_add_f32 v88, v146, v88
	v_dual_add_f32 v87, v147, v87 :: v_dual_add_f32 v86, v148, v86
	v_add_f32_e32 v100, v112, v100
	v_min_f32_e32 v112, v24, v32
	v_dual_add_f32 v98, v111, v98 :: v_dual_add_f32 v99, v113, v99
	s_waitcnt lgkmcnt(1)
	v_max_f32_e32 v44, v44, v44
	v_min_f32_e32 v111, v36, v32
	v_add_f32_e32 v96, v110, v96
	v_min_f32_e32 v110, v37, v33
	v_max_f32_e32 v45, v45, v45
	v_dual_add_f32 v85, v149, v85 :: v_dual_add_f32 v84, v150, v84
	v_dual_add_f32 v83, v151, v83 :: v_dual_add_f32 v82, v152, v82
	;; [unrolled: 1-line block ×4, first 2 shown]
	v_dual_min_f32 v113, v25, v33 :: v_dual_min_f32 v32, v40, v32
	v_add_f32_e32 v93, v111, v93
	v_min_f32_e32 v33, v41, v33
	v_min_f32_e32 v111, v29, v45
	v_add_f32_e32 v95, v112, v95
	v_dual_min_f32 v112, v8, v44 :: v_dual_add_f32 v143, v110, v118
	v_dual_min_f32 v110, v28, v44 :: v_dual_add_f32 v81, v153, v81
	v_add_f32_e32 v80, v154, v80
	v_dual_add_f32 v84, v206, v84 :: v_dual_add_f32 v85, v197, v85
	v_dual_add_f32 v82, v207, v82 :: v_dual_add_f32 v83, v198, v83
	s_delay_alu instid0(VALU_DEP_4)
	v_add_f32_e32 v89, v110, v89
	v_dual_add_f32 v87, v112, v87 :: v_dual_min_f32 v110, v2, v44
	v_min_f32_e32 v112, v12, v44
	v_add_f32_e32 v88, v111, v88
	v_min_f32_e32 v111, v3, v45
	v_add_f32_e32 v33, v33, v90
	v_dual_min_f32 v90, v9, v45 :: v_dual_add_f32 v79, v155, v79
	v_add_f32_e32 v78, v157, v78
	v_dual_add_f32 v80, v208, v80 :: v_dual_add_f32 v81, v199, v81
	s_delay_alu instid0(VALU_DEP_3)
	v_add_f32_e32 v86, v90, v86
	v_dual_min_f32 v90, v13, v45 :: v_dual_add_f32 v83, v112, v83
	v_dual_add_f32 v85, v110, v85 :: v_dual_min_f32 v110, v16, v44
	v_dual_add_f32 v77, v156, v77 :: v_dual_add_f32 v76, v158, v76
	v_dual_add_f32 v75, v159, v75 :: v_dual_add_f32 v74, v160, v74
	;; [unrolled: 1-line block ×3, first 2 shown]
	v_add_f32_e32 v82, v90, v82
	s_delay_alu instid0(VALU_DEP_3)
	v_dual_add_f32 v75, v210, v75 :: v_dual_add_f32 v84, v111, v84
	v_dual_min_f32 v90, v17, v45 :: v_dual_min_f32 v111, v24, v44
	v_dual_add_f32 v81, v110, v81 :: v_dual_min_f32 v110, v36, v44
	v_dual_min_f32 v44, v40, v44 :: v_dual_add_f32 v77, v209, v77
	v_add_f32_e32 v74, v214, v74
	v_add_f32_e32 v76, v213, v76
	v_dual_min_f32 v112, v25, v45 :: v_dual_add_f32 v79, v111, v79
	v_add_f32_e32 v80, v90, v80
	s_waitcnt lgkmcnt(0)
	v_dual_min_f32 v90, v37, v45 :: v_dual_max_f32 v59, v59, v59
	v_dual_add_f32 v78, v110, v78 :: v_dual_min_f32 v45, v41, v45
	v_max_f32_e32 v60, v60, v60
	v_dual_max_f32 v22, v22, v22 :: v_dual_max_f32 v11, v11, v11
	v_max_f32_e32 v23, v23, v23
	s_delay_alu instid0(VALU_DEP_4) | instskip(NEXT) | instid1(VALU_DEP_4)
	v_dual_add_f32 v45, v45, v74 :: v_dual_min_f32 v2, v2, v59
	v_dual_min_f32 v13, v13, v60 :: v_dual_min_f32 v12, v12, v59
	v_dual_min_f32 v16, v16, v59 :: v_dual_min_f32 v17, v17, v60
	;; [unrolled: 1-line block ×3, first 2 shown]
	s_delay_alu instid0(VALU_DEP_3) | instskip(SKIP_1) | instid1(VALU_DEP_4)
	v_dual_add_f32 v13, v13, v65 :: v_dual_add_f32 v12, v12, v67
	v_dual_min_f32 v25, v25, v60 :: v_dual_min_f32 v36, v36, v59
	v_add_f32_e32 v16, v16, v64
	s_delay_alu instid0(VALU_DEP_4) | instskip(NEXT) | instid1(VALU_DEP_3)
	v_dual_add_f32 v24, v24, v121 :: v_dual_max_f32 v31, v31, v31
	v_dual_add_f32 v25, v25, v120 :: v_dual_add_f32 v6, v36, v6
	v_max_f32_e32 v30, v30, v30
	v_add_f32_e32 v36, v37, v135
	v_dual_min_f32 v37, v40, v59 :: v_dual_min_f32 v40, v41, v60
	v_dual_min_f32 v28, v28, v59 :: v_dual_min_f32 v9, v9, v60
	;; [unrolled: 1-line block ×3, first 2 shown]
	s_delay_alu instid0(VALU_DEP_3)
	v_add_f32_e32 v7, v37, v7
	v_min_f32_e32 v37, v31, v23
	v_min_f32_e32 v41, v30, v22
	v_max_f32_e32 v10, v10, v10
	v_dual_add_f32 v40, v40, v136 :: v_dual_min_f32 v59, v11, v23
	v_max_f32_e32 v5, v5, v5
	s_delay_alu instid0(VALU_DEP_4) | instskip(NEXT) | instid1(VALU_DEP_4)
	v_add_f32_e32 v121, v41, v57
	v_dual_add_f32 v120, v37, v56 :: v_dual_min_f32 v37, v10, v22
	v_dual_max_f32 v4, v4, v4 :: v_dual_max_f32 v15, v15, v15
	v_add_f32_e32 v32, v32, v119
	v_add_f32_e32 v118, v59, v91
	v_dual_min_f32 v41, v5, v23 :: v_dual_max_f32 v14, v14, v14
	s_delay_alu instid0(VALU_DEP_4) | instskip(SKIP_1) | instid1(VALU_DEP_3)
	v_dual_add_f32 v119, v37, v92 :: v_dual_min_f32 v56, v15, v23
	v_min_f32_e32 v37, v4, v22
	v_dual_add_f32 v116, v41, v102 :: v_dual_max_f32 v19, v19, v19
	s_delay_alu instid0(VALU_DEP_3) | instskip(NEXT) | instid1(VALU_DEP_3)
	v_dual_min_f32 v41, v14, v22 :: v_dual_add_f32 v114, v56, v104
	v_dual_add_f32 v117, v37, v103 :: v_dual_max_f32 v18, v18, v18
	s_delay_alu instid0(VALU_DEP_3) | instskip(NEXT) | instid1(VALU_DEP_3)
	v_dual_min_f32 v37, v19, v23 :: v_dual_max_f32 v26, v26, v26
	v_add_f32_e32 v115, v41, v105
	v_add_f32_e32 v94, v113, v94
	s_delay_alu instid0(VALU_DEP_4) | instskip(SKIP_3) | instid1(VALU_DEP_4)
	v_min_f32_e32 v41, v18, v22
	v_add_f32_e32 v77, v112, v77
	v_dual_max_f32 v27, v27, v27 :: v_dual_add_f32 v112, v37, v106
	v_dual_max_f32 v37, v39, v39 :: v_dual_max_f32 v38, v38, v38
	v_dual_add_f32 v113, v41, v107 :: v_dual_max_f32 v34, v34, v34
	v_max_f32_e32 v43, v43, v43
	s_delay_alu instid0(VALU_DEP_3) | instskip(SKIP_2) | instid1(VALU_DEP_4)
	v_min_f32_e32 v41, v37, v23
	v_min_f32_e32 v39, v27, v23
	v_dual_max_f32 v35, v35, v35 :: v_dual_min_f32 v56, v26, v22
	v_min_f32_e32 v23, v43, v23
	v_dual_add_f32 v73, v161, v73 :: v_dual_add_f32 v70, v162, v70
	s_delay_alu instid0(VALU_DEP_4) | instskip(SKIP_1) | instid1(VALU_DEP_4)
	v_add_f32_e32 v110, v39, v108
	v_add_f32_e32 v108, v41, v137
	v_add_f32_e32 v106, v23, v21
	v_min_f32_e32 v21, v11, v35
	v_max_f32_e32 v41, v42, v42
	v_dual_add_f32 v111, v56, v109 :: v_dual_min_f32 v42, v30, v34
	v_dual_add_f32 v72, v163, v72 :: v_dual_add_f32 v71, v164, v71
	s_delay_alu instid0(VALU_DEP_4) | instskip(SKIP_4) | instid1(VALU_DEP_4)
	v_add_f32_e32 v102, v21, v142
	v_min_f32_e32 v21, v5, v35
	v_min_f32_e32 v39, v38, v22
	;; [unrolled: 1-line block ×3, first 2 shown]
	v_dual_add_f32 v70, v215, v70 :: v_dual_add_f32 v71, v216, v71
	v_dual_add_f32 v100, v21, v100 :: v_dual_min_f32 v21, v19, v35
	s_delay_alu instid0(VALU_DEP_4) | instskip(SKIP_2) | instid1(VALU_DEP_4)
	v_add_f32_e32 v109, v39, v138
	v_min_f32_e32 v39, v31, v35
	v_dual_add_f32 v44, v44, v75 :: v_dual_min_f32 v29, v29, v60
	v_add_f32_e32 v96, v21, v96
	s_delay_alu instid0(VALU_DEP_3) | instskip(SKIP_1) | instid1(VALU_DEP_4)
	v_dual_min_f32 v21, v37, v35 :: v_dual_add_f32 v104, v39, v140
	v_min_f32_e32 v22, v41, v22
	v_dual_add_f32 v76, v90, v76 :: v_dual_add_f32 v29, v29, v70
	s_delay_alu instid0(VALU_DEP_3) | instskip(SKIP_1) | instid1(VALU_DEP_4)
	v_add_f32_e32 v92, v21, v143
	v_max_f32_e32 v21, v47, v47
	v_add_f32_e32 v107, v22, v20
	v_min_f32_e32 v20, v10, v34
	v_dual_min_f32 v22, v4, v34 :: v_dual_add_f32 v73, v211, v73
	v_dual_add_f32 v72, v212, v72 :: v_dual_add_f32 v3, v3, v66
	s_delay_alu instid0(VALU_DEP_3) | instskip(NEXT) | instid1(VALU_DEP_3)
	v_dual_add_f32 v103, v20, v141 :: v_dual_min_f32 v20, v14, v34
	v_dual_add_f32 v101, v22, v101 :: v_dual_min_f32 v22, v27, v35
	s_delay_alu instid0(VALU_DEP_3) | instskip(SKIP_1) | instid1(VALU_DEP_4)
	v_add_f32_e32 v8, v8, v72
	v_dual_add_f32 v2, v2, v68 :: v_dual_add_f32 v17, v17, v63
	v_dual_add_f32 v99, v20, v99 :: v_dual_min_f32 v20, v18, v34
	v_add_f32_e32 v105, v42, v139
	v_add_f32_e32 v94, v22, v94
	v_max_f32_e32 v22, v46, v46
	v_dual_add_f32 v28, v28, v73 :: v_dual_add_f32 v9, v9, v71
	v_add_f32_e32 v98, v20, v98
	v_dual_min_f32 v20, v38, v34 :: v_dual_add_f32 v97, v23, v97
	v_min_f32_e32 v23, v26, v34
	v_min_f32_e32 v34, v41, v34
	v_add_co_u32 v128, vcc_lo, v128, 32
	s_delay_alu instid0(VALU_DEP_4) | instskip(SKIP_1) | instid1(VALU_DEP_4)
	v_add_f32_e32 v93, v20, v93
	v_add_co_ci_u32_e32 v129, vcc_lo, 0, v129, vcc_lo
	v_dual_add_f32 v91, v34, v32 :: v_dual_min_f32 v32, v5, v21
	v_add_f32_e32 v95, v23, v95
	v_min_f32_e32 v23, v43, v35
	v_add_co_u32 v130, vcc_lo, v130, 32
	s_delay_alu instid0(VALU_DEP_4) | instskip(SKIP_3) | instid1(VALU_DEP_3)
	v_add_f32_e32 v84, v32, v84
	v_dual_min_f32 v20, v31, v21 :: v_dual_min_f32 v35, v30, v22
	v_min_f32_e32 v32, v18, v22
	v_add_co_ci_u32_e32 v131, vcc_lo, 0, v131, vcc_lo
	v_add_f32_e32 v88, v20, v88
	v_min_f32_e32 v20, v10, v22
	v_add_co_u32 v132, vcc_lo, v132, s8
	v_add_co_ci_u32_e32 v133, vcc_lo, s9, v133, vcc_lo
	s_delay_alu instid0(VALU_DEP_3)
	v_dual_add_f32 v87, v20, v87 :: v_dual_min_f32 v20, v14, v22
	v_add_f32_e32 v90, v23, v33
	v_min_f32_e32 v23, v11, v21
	v_min_f32_e32 v33, v15, v21
	s_add_i32 s11, s11, 8
	v_dual_add_f32 v83, v20, v83 :: v_dual_min_f32 v20, v27, v21
	s_delay_alu instid0(VALU_DEP_3) | instskip(SKIP_4) | instid1(VALU_DEP_3)
	v_add_f32_e32 v86, v23, v86
	v_min_f32_e32 v23, v4, v22
	v_add_f32_e32 v89, v35, v89
	s_cmp_ge_i32 s11, s10
	v_dual_add_f32 v77, v20, v77 :: v_dual_min_f32 v20, v38, v22
	v_add_f32_e32 v85, v23, v85
	v_min_f32_e32 v23, v19, v21
	ds_store_b32 v124, v134
	ds_store_2addr_stride64_b32 v125, v0, v1 offset1:4
	s_waitcnt lgkmcnt(0)
	v_add_f32_e32 v78, v20, v78
	s_barrier
	v_dual_add_f32 v80, v23, v80 :: v_dual_min_f32 v23, v37, v21
	buffer_gl0_inv
	v_dual_add_f32 v76, v23, v76 :: v_dual_max_f32 v23, v61, v61
	v_dual_add_f32 v81, v32, v81 :: v_dual_max_f32 v32, v62, v62
	v_dual_add_f32 v82, v33, v82 :: v_dual_min_f32 v21, v43, v21
	s_delay_alu instid0(VALU_DEP_2) | instskip(NEXT) | instid1(VALU_DEP_2)
	v_dual_min_f32 v4, v4, v23 :: v_dual_min_f32 v5, v5, v32
	v_dual_min_f32 v31, v31, v32 :: v_dual_add_f32 v74, v21, v45
	s_delay_alu instid0(VALU_DEP_2) | instskip(SKIP_1) | instid1(VALU_DEP_4)
	v_add_f32_e32 v68, v4, v2
	v_min_f32_e32 v4, v19, v32
	v_dual_add_f32 v66, v5, v3 :: v_dual_min_f32 v33, v26, v22
	s_delay_alu instid0(VALU_DEP_4) | instskip(SKIP_2) | instid1(VALU_DEP_4)
	v_add_f32_e32 v70, v31, v29
	v_dual_min_f32 v20, v30, v23 :: v_dual_min_f32 v11, v11, v32
	v_min_f32_e32 v2, v14, v23
	v_add_f32_e32 v79, v33, v79
	v_min_f32_e32 v5, v18, v23
	s_delay_alu instid0(VALU_DEP_4) | instskip(SKIP_2) | instid1(VALU_DEP_4)
	v_add_f32_e32 v73, v20, v28
	v_dual_add_f32 v71, v11, v9 :: v_dual_min_f32 v22, v41, v22
	v_min_f32_e32 v10, v10, v23
	v_add_f32_e32 v64, v5, v16
	v_min_f32_e32 v5, v43, v32
	v_dual_add_f32 v63, v4, v17 :: v_dual_min_f32 v4, v38, v23
	v_min_f32_e32 v3, v15, v32
	v_add_f32_e32 v67, v2, v12
	v_min_f32_e32 v2, v26, v23
	s_delay_alu instid0(VALU_DEP_4) | instskip(NEXT) | instid1(VALU_DEP_4)
	v_dual_add_f32 v75, v22, v44 :: v_dual_add_f32 v60, v4, v6
	v_add_f32_e32 v65, v3, v13
	v_min_f32_e32 v3, v27, v32
	s_delay_alu instid0(VALU_DEP_4) | instskip(SKIP_2) | instid1(VALU_DEP_4)
	v_add_f32_e32 v62, v2, v24
	v_add_f32_e32 v72, v10, v8
	v_min_f32_e32 v8, v41, v23
	v_dual_add_f32 v56, v5, v40 :: v_dual_add_f32 v59, v3, v25
	v_min_f32_e32 v3, v37, v32
	s_delay_alu instid0(VALU_DEP_3) | instskip(NEXT) | instid1(VALU_DEP_2)
	v_add_f32_e32 v57, v8, v7
	v_add_f32_e32 v61, v3, v36
	s_cbranch_scc1 .LBB27_31
.LBB27_21:                              ; =>This Inner Loop Header: Depth=1
	v_mov_b32_e32 v134, 0
	s_and_b32 vcc_lo, exec_lo, s3
	s_cbranch_vccnz .LBB27_23
; %bb.22:                               ;   in Loop: Header=BB27_21 Depth=1
	v_add_co_u32 v0, vcc_lo, v132, v48
	v_add_co_ci_u32_e32 v1, vcc_lo, v133, v49, vcc_lo
	flat_load_b32 v0, v[0:1]
	s_waitcnt vmcnt(0) lgkmcnt(0)
	v_mul_f32_e32 v134, s22, v0
.LBB27_23:                              ;   in Loop: Header=BB27_21 Depth=1
	s_and_b32 vcc_lo, exec_lo, s3
	s_cbranch_vccnz .LBB27_25
; %bb.24:                               ;   in Loop: Header=BB27_21 Depth=1
	v_add_co_u32 v0, vcc_lo, v130, v58
	v_add_co_ci_u32_e32 v1, vcc_lo, 0, v131, vcc_lo
	v_add_co_u32 v2, vcc_lo, v128, v58
	v_add_co_ci_u32_e32 v3, vcc_lo, 0, v129, vcc_lo
	flat_load_b32 v0, v[0:1] offset:32
	flat_load_b32 v1, v[2:3] offset:32
	s_waitcnt vmcnt(0) lgkmcnt(0)
	v_dual_mul_f32 v135, s22, v0 :: v_dual_mul_f32 v136, s22, v1
	s_branch .LBB27_26
.LBB27_25:                              ;   in Loop: Header=BB27_21 Depth=1
	v_dual_mov_b32 v135, 0 :: v_dual_mov_b32 v136, 0
.LBB27_26:                              ;   in Loop: Header=BB27_21 Depth=1
	ds_load_b128 v[40:43], v126
	ds_load_b128 v[36:39], v126 offset:128
	ds_load_b128 v[32:35], v126 offset:256
	;; [unrolled: 1-line block ×7, first 2 shown]
	ds_load_b128 v[44:47], v127
	ds_load_b128 v[8:11], v127 offset:512
	ds_load_b128 v[4:7], v127 offset:1024
	;; [unrolled: 1-line block ×3, first 2 shown]
	s_and_b32 vcc_lo, exec_lo, s3
	ds_store_b32 v122, v134
	ds_store_2addr_stride64_b32 v69, v135, v136 offset1:4
	s_waitcnt lgkmcnt(0)
	s_barrier
	buffer_gl0_inv
	s_cbranch_vccnz .LBB27_28
; %bb.27:                               ;   in Loop: Header=BB27_21 Depth=1
	v_add_co_u32 v134, vcc_lo, v132, v50
	v_add_co_ci_u32_e32 v135, vcc_lo, v133, v51, vcc_lo
	flat_load_b32 v134, v[134:135]
	s_waitcnt vmcnt(0) lgkmcnt(0)
	v_mul_f32_e32 v134, s22, v134
	s_branch .LBB27_29
.LBB27_28:                              ;   in Loop: Header=BB27_21 Depth=1
	v_mov_b32_e32 v134, 0
.LBB27_29:                              ;   in Loop: Header=BB27_21 Depth=1
	v_dual_max_f32 v44, v44, v44 :: v_dual_max_f32 v45, v45, v45
	v_dual_max_f32 v161, v40, v40 :: v_dual_max_f32 v162, v41, v41
	v_max_f32_e32 v163, v36, v36
	v_dual_max_f32 v169, v24, v24 :: v_dual_max_f32 v170, v25, v25
	v_max_f32_e32 v173, v16, v16
	v_dual_max_f32 v159, v4, v4 :: v_dual_max_f32 v160, v5, v5
	s_delay_alu instid0(VALU_DEP_4)
	v_dual_min_f32 v40, v162, v45 :: v_dual_min_f32 v41, v163, v44
	v_dual_max_f32 v164, v37, v37 :: v_dual_max_f32 v165, v32, v32
	v_dual_max_f32 v166, v33, v33 :: v_dual_max_f32 v167, v28, v28
	;; [unrolled: 1-line block ×3, first 2 shown]
	v_max_f32_e32 v172, v21, v21
	v_min_f32_e32 v20, v170, v45
	v_dual_max_f32 v174, v17, v17 :: v_dual_max_f32 v175, v12, v12
	v_max_f32_e32 v176, v13, v13
	v_dual_max_f32 v144, v8, v8 :: v_dual_max_f32 v145, v9, v9
	v_dual_min_f32 v157, v173, v159 :: v_dual_max_f32 v0, v0, v0
	v_dual_min_f32 v36, v161, v44 :: v_dual_min_f32 v37, v168, v45
	v_dual_min_f32 v28, v164, v45 :: v_dual_min_f32 v29, v165, v44
	;; [unrolled: 1-line block ×7, first 2 shown]
	v_min_f32_e32 v13, v161, v144
	v_dual_min_f32 v44, v163, v144 :: v_dual_min_f32 v45, v164, v145
	v_dual_min_f32 v135, v165, v144 :: v_dual_min_f32 v136, v166, v145
	;; [unrolled: 1-line block ×13, first 2 shown]
	v_dual_max_f32 v1, v1, v1 :: v_dual_min_f32 v158, v174, v160
	v_min_f32_e32 v161, v161, v0
	v_min_f32_e32 v163, v163, v0
	s_delay_alu instid0(VALU_DEP_3)
	v_dual_min_f32 v165, v165, v0 :: v_dual_min_f32 v166, v166, v1
	v_dual_min_f32 v167, v167, v0 :: v_dual_min_f32 v168, v168, v1
	;; [unrolled: 1-line block ×5, first 2 shown]
	v_dual_max_f32 v178, v46, v46 :: v_dual_max_f32 v179, v47, v47
	v_dual_max_f32 v211, v42, v42 :: v_dual_max_f32 v212, v43, v43
	v_dual_max_f32 v216, v38, v38 :: v_dual_min_f32 v43, v175, v0
	v_dual_max_f32 v0, v39, v39 :: v_dual_max_f32 v217, v30, v30
	v_dual_min_f32 v159, v175, v159 :: v_dual_min_f32 v160, v176, v160
	v_min_f32_e32 v162, v162, v1
	v_min_f32_e32 v164, v164, v1
	v_dual_min_f32 v46, v176, v1 :: v_dual_max_f32 v1, v34, v34
	v_dual_min_f32 v42, v216, v178 :: v_dual_max_f32 v175, v35, v35
	v_dual_max_f32 v218, v31, v31 :: v_dual_min_f32 v31, v217, v178
	v_dual_min_f32 v34, v0, v179 :: v_dual_max_f32 v219, v26, v26
	v_dual_max_f32 v220, v27, v27 :: v_dual_max_f32 v221, v22, v22
	v_dual_max_f32 v222, v23, v23 :: v_dual_max_f32 v223, v18, v18
	;; [unrolled: 1-line block ×6, first 2 shown]
	v_max_f32_e32 v227, v3, v3
	v_dual_min_f32 v38, v211, v178 :: v_dual_min_f32 v47, v212, v179
	v_dual_min_f32 v30, v1, v178 :: v_dual_min_f32 v35, v175, v179
	v_dual_min_f32 v39, v218, v179 :: v_dual_min_f32 v18, v219, v178
	v_dual_min_f32 v176, v220, v179 :: v_dual_min_f32 v23, v223, v178
	v_dual_min_f32 v22, v221, v178 :: v_dual_min_f32 v177, v222, v179
	v_dual_min_f32 v186, v19, v179 :: v_dual_min_f32 v181, v1, v10
	v_dual_min_f32 v178, v224, v178 :: v_dual_min_f32 v187, v225, v179
	v_min_f32_e32 v180, v216, v10
	v_dual_min_f32 v179, v211, v10 :: v_dual_min_f32 v188, v212, v11
	v_dual_min_f32 v189, v0, v11 :: v_dual_min_f32 v182, v217, v10
	v_dual_min_f32 v190, v175, v11 :: v_dual_min_f32 v197, v1, v6
	v_dual_min_f32 v191, v218, v11 :: v_dual_min_f32 v184, v221, v10
	v_dual_min_f32 v183, v219, v10 :: v_dual_min_f32 v192, v220, v11
	v_dual_min_f32 v193, v222, v11 :: v_dual_min_f32 v194, v224, v10
	v_dual_min_f32 v185, v223, v10 :: v_dual_min_f32 v204, v212, v7
	v_min_f32_e32 v202, v19, v11
	v_dual_min_f32 v203, v225, v11 :: v_dual_min_f32 v196, v216, v6
	v_dual_min_f32 v195, v211, v6 :: v_dual_min_f32 v208, v220, v7
	v_dual_min_f32 v205, v0, v7 :: v_dual_min_f32 v198, v217, v6
	v_dual_min_f32 v206, v175, v7 :: v_dual_min_f32 v3, v221, v226
	v_dual_min_f32 v207, v218, v7 :: v_dual_min_f32 v200, v221, v6
	v_dual_min_f32 v199, v219, v6 :: v_dual_min_f32 v214, v225, v7
	v_dual_min_f32 v209, v222, v7 :: v_dual_min_f32 v210, v224, v6
	v_min_f32_e32 v201, v223, v6
	v_min_f32_e32 v213, v19, v7
	v_dual_min_f32 v211, v211, v226 :: v_dual_min_f32 v14, v222, v227
	v_dual_min_f32 v215, v212, v227 :: v_dual_min_f32 v10, v1, v226
	v_min_f32_e32 v212, v216, v226
	v_min_f32_e32 v216, v0, v227
	v_dual_min_f32 v26, v175, v227 :: v_dual_min_f32 v7, v224, v226
	v_min_f32_e32 v11, v217, v226
	v_dual_min_f32 v27, v218, v227 :: v_dual_min_f32 v2, v219, v226
	v_dual_min_f32 v175, v220, v227 :: v_dual_min_f32 v6, v223, v226
	v_min_f32_e32 v15, v19, v227
	v_min_f32_e32 v19, v225, v227
	s_and_b32 vcc_lo, exec_lo, s3
	s_cbranch_vccz .LBB27_19
; %bb.30:                               ;   in Loop: Header=BB27_21 Depth=1
	v_dual_mov_b32 v0, 0 :: v_dual_mov_b32 v1, 0
	s_branch .LBB27_20
.LBB27_31:
	s_load_b32 s8, s[0:1], 0x58
	v_add_nc_u32_e32 v48, s17, v53
	ds_load_b128 v[0:3], v55 offset:5120
	ds_load_b128 v[40:43], v54 offset:2048
	v_add_nc_u32_e32 v46, s16, v52
	v_cmp_neq_f32_e64 s9, s15, 0
	v_mov_b32_e32 v52, 0
	v_mov_b32_e32 v50, 0
	s_delay_alu instid0(VALU_DEP_4) | instskip(NEXT) | instid1(VALU_DEP_4)
	v_ashrrev_i32_e32 v47, 31, v46
	s_and_b32 vcc_lo, exec_lo, s9
	s_delay_alu instid0(VALU_DEP_1) | instskip(SKIP_2) | instid1(VALU_DEP_1)
	v_lshlrev_b64 v[44:45], 2, v[46:47]
	s_waitcnt lgkmcnt(0)
	v_mad_i64_i32 v[4:5], null, v48, s8, 0
	v_lshlrev_b64 v[4:5], 2, v[4:5]
	s_delay_alu instid0(VALU_DEP_1) | instskip(NEXT) | instid1(VALU_DEP_1)
	v_add_co_u32 v122, s3, s4, v4
	v_add_co_ci_u32_e64 v123, s3, s5, v5, s3
	s_cbranch_vccz .LBB27_33
; %bb.32:
	s_delay_alu instid0(VALU_DEP_2) | instskip(NEXT) | instid1(VALU_DEP_2)
	v_add_co_u32 v4, vcc_lo, v122, v44
	v_add_co_ci_u32_e32 v5, vcc_lo, v123, v45, vcc_lo
	flat_load_b32 v4, v[4:5]
	s_waitcnt vmcnt(0) lgkmcnt(0)
	v_mul_f32_e32 v50, s15, v4
.LBB27_33:
	ds_load_b128 v[36:39], v55 offset:5248
	ds_load_b128 v[32:35], v55 offset:5376
	;; [unrolled: 1-line block ×4, first 2 shown]
	s_clause 0x1
	s_load_b32 s3, s[0:1], 0x70
	s_load_b64 s[0:1], s[0:1], 0x78
	v_dual_max_f32 v124, v40, v40 :: v_dual_max_f32 v125, v41, v41
	v_dual_max_f32 v47, v0, v0 :: v_dual_max_f32 v126, v43, v43
	v_max_f32_e32 v49, v1, v1
	ds_load_b128 v[20:23], v55 offset:5760
	ds_load_b128 v[16:19], v55 offset:5888
	ds_load_b128 v[12:15], v55 offset:6016
	v_min_f32_e32 v0, v47, v124
	ds_load_b128 v[8:11], v54 offset:2560
	ds_load_b128 v[4:7], v54 offset:3072
	v_min_f32_e32 v1, v49, v125
	v_add_f32_e32 v51, v0, v121
	v_max_f32_e32 v121, v42, v42
	v_dual_max_f32 v42, v2, v2 :: v_dual_max_f32 v43, v3, v3
	s_delay_alu instid0(VALU_DEP_4)
	v_add_f32_e32 v53, v1, v120
	ds_load_b128 v[0:3], v54 offset:3584
	s_waitcnt lgkmcnt(0)
	v_mad_i64_i32 v[40:41], null, v48, s3, 0
	v_dual_min_f32 v58, v42, v121 :: v_dual_min_f32 v55, v43, v126
	s_lshl_b64 s[10:11], s[0:1], 2
	s_delay_alu instid0(SALU_CYCLE_1) | instskip(NEXT) | instid1(VALU_DEP_1)
	s_add_u32 s1, s6, s10
	v_add_f32_e32 v51, v58, v51
	s_delay_alu instid0(VALU_DEP_3) | instskip(SKIP_3) | instid1(VALU_DEP_2)
	v_lshlrev_b64 v[40:41], 2, v[40:41]
	v_add_f32_e32 v55, v55, v53
	v_add_nc_u32_e32 v53, 8, v46
	s_addc_u32 s6, s7, s11
	v_add_f32_e32 v51, v51, v55
	s_delay_alu instid0(VALU_DEP_4) | instskip(NEXT) | instid1(VALU_DEP_3)
	v_add_co_u32 v120, vcc_lo, s1, v40
	v_ashrrev_i32_e32 v54, 31, v53
	v_cndmask_b32_e64 v55, 0, 1, s9
	s_delay_alu instid0(VALU_DEP_4) | instskip(SKIP_4) | instid1(VALU_DEP_4)
	v_add_f32_e32 v58, v51, v50
	v_add_co_ci_u32_e32 v127, vcc_lo, s6, v41, vcc_lo
	v_add_co_u32 v50, vcc_lo, v120, v44
	v_lshlrev_b64 v[40:41], 2, v[53:54]
	v_cmp_ne_u32_e64 s0, 1, v55
	v_add_co_ci_u32_e32 v51, vcc_lo, v127, v45, vcc_lo
	s_and_not1_b32 vcc_lo, exec_lo, s9
	global_store_b32 v[50:51], v58, off
	s_cbranch_vccnz .LBB27_35
; %bb.34:
	v_add_co_u32 v50, vcc_lo, v122, v40
	v_add_co_ci_u32_e32 v51, vcc_lo, v123, v41, vcc_lo
	flat_load_b32 v50, v[50:51]
	s_waitcnt vmcnt(0) lgkmcnt(0)
	v_mul_f32_e32 v52, s15, v50
.LBB27_35:
	v_dual_max_f32 v51, v37, v37 :: v_dual_max_f32 v50, v36, v36
	v_dual_max_f32 v38, v38, v38 :: v_dual_max_f32 v39, v39, v39
	v_mov_b32_e32 v58, 0
	s_delay_alu instid0(VALU_DEP_3) | instskip(NEXT) | instid1(VALU_DEP_3)
	v_dual_min_f32 v36, v51, v125 :: v_dual_min_f32 v37, v50, v124
	v_dual_min_f32 v53, v38, v121 :: v_dual_min_f32 v54, v39, v126
	s_delay_alu instid0(VALU_DEP_2) | instskip(NEXT) | instid1(VALU_DEP_3)
	v_add_f32_e32 v55, v36, v118
	v_dual_add_f32 v37, v37, v119 :: v_dual_add_nc_u32 v36, 16, v46
	v_add_co_u32 v118, vcc_lo, v120, v40
	s_delay_alu instid0(VALU_DEP_2) | instskip(NEXT) | instid1(VALU_DEP_3)
	v_dual_add_f32 v54, v54, v55 :: v_dual_add_f32 v53, v53, v37
	v_ashrrev_i32_e32 v37, 31, v36
	v_add_co_ci_u32_e32 v119, vcc_lo, v127, v41, vcc_lo
	s_and_b32 vcc_lo, exec_lo, s0
	s_delay_alu instid0(VALU_DEP_3) | instskip(NEXT) | instid1(VALU_DEP_3)
	v_dual_add_f32 v53, v53, v54 :: v_dual_mov_b32 v54, 0
	v_lshlrev_b64 v[36:37], 2, v[36:37]
	s_delay_alu instid0(VALU_DEP_2)
	v_add_f32_e32 v52, v53, v52
	global_store_b32 v[118:119], v52, off
	s_cbranch_vccnz .LBB27_37
; %bb.36:
	v_add_co_u32 v52, vcc_lo, v122, v36
	v_add_co_ci_u32_e32 v53, vcc_lo, v123, v37, vcc_lo
	flat_load_b32 v52, v[52:53]
	s_waitcnt vmcnt(0) lgkmcnt(0)
	v_mul_f32_e32 v54, s15, v52
.LBB27_37:
	v_dual_max_f32 v53, v33, v33 :: v_dual_max_f32 v52, v32, v32
	v_dual_max_f32 v34, v34, v34 :: v_dual_max_f32 v35, v35, v35
	s_delay_alu instid0(VALU_DEP_2) | instskip(NEXT) | instid1(VALU_DEP_2)
	v_dual_min_f32 v32, v53, v125 :: v_dual_min_f32 v33, v52, v124
	v_min_f32_e32 v55, v34, v121
	s_delay_alu instid0(VALU_DEP_2) | instskip(NEXT) | instid1(VALU_DEP_3)
	v_dual_min_f32 v69, v35, v126 :: v_dual_add_f32 v116, v32, v116
	v_dual_add_f32 v33, v33, v117 :: v_dual_add_nc_u32 v32, 24, v46
	s_delay_alu instid0(VALU_DEP_2) | instskip(NEXT) | instid1(VALU_DEP_2)
	v_add_f32_e32 v69, v69, v116
	v_add_f32_e32 v55, v55, v33
	s_delay_alu instid0(VALU_DEP_3) | instskip(SKIP_2) | instid1(VALU_DEP_4)
	v_ashrrev_i32_e32 v33, 31, v32
	v_add_co_u32 v116, vcc_lo, v120, v36
	v_add_co_ci_u32_e32 v117, vcc_lo, v127, v37, vcc_lo
	v_add_f32_e32 v55, v55, v69
	s_delay_alu instid0(VALU_DEP_4) | instskip(SKIP_1) | instid1(VALU_DEP_2)
	v_lshlrev_b64 v[32:33], 2, v[32:33]
	s_and_b32 vcc_lo, exec_lo, s0
	v_add_f32_e32 v54, v55, v54
	global_store_b32 v[116:117], v54, off
	s_cbranch_vccnz .LBB27_39
; %bb.38:
	v_add_co_u32 v54, vcc_lo, v122, v32
	v_add_co_ci_u32_e32 v55, vcc_lo, v123, v33, vcc_lo
	flat_load_b32 v54, v[54:55]
	s_waitcnt vmcnt(0) lgkmcnt(0)
	v_mul_f32_e32 v58, s15, v54
.LBB27_39:
	v_dual_max_f32 v55, v29, v29 :: v_dual_max_f32 v54, v28, v28
	v_dual_max_f32 v30, v30, v30 :: v_dual_max_f32 v31, v31, v31
	s_delay_alu instid0(VALU_DEP_2) | instskip(NEXT) | instid1(VALU_DEP_2)
	v_dual_min_f32 v28, v55, v125 :: v_dual_min_f32 v29, v54, v124
	v_dual_min_f32 v69, v30, v121 :: v_dual_min_f32 v116, v31, v126
	s_delay_alu instid0(VALU_DEP_2) | instskip(SKIP_1) | instid1(VALU_DEP_2)
	v_dual_add_f32 v114, v28, v114 :: v_dual_add_f32 v29, v29, v115
	v_dual_mov_b32 v115, 0 :: v_dual_add_nc_u32 v28, 32, v46
	v_dual_add_f32 v114, v116, v114 :: v_dual_add_f32 v69, v69, v29
	s_delay_alu instid0(VALU_DEP_2) | instskip(SKIP_2) | instid1(VALU_DEP_4)
	v_ashrrev_i32_e32 v29, 31, v28
	v_add_co_u32 v116, vcc_lo, v120, v32
	v_add_co_ci_u32_e32 v117, vcc_lo, v127, v33, vcc_lo
	v_dual_add_f32 v69, v69, v114 :: v_dual_mov_b32 v114, 0
	s_delay_alu instid0(VALU_DEP_4) | instskip(SKIP_1) | instid1(VALU_DEP_2)
	v_lshlrev_b64 v[28:29], 2, v[28:29]
	s_and_b32 vcc_lo, exec_lo, s0
	v_add_f32_e32 v58, v69, v58
	global_store_b32 v[116:117], v58, off
	s_cbranch_vccnz .LBB27_41
; %bb.40:
	v_add_co_u32 v116, vcc_lo, v122, v28
	v_add_co_ci_u32_e32 v117, vcc_lo, v123, v29, vcc_lo
	flat_load_b32 v58, v[116:117]
	s_waitcnt vmcnt(0) lgkmcnt(0)
	v_mul_f32_e32 v114, s15, v58
.LBB27_41:
	v_dual_max_f32 v69, v25, v25 :: v_dual_max_f32 v58, v24, v24
	v_dual_max_f32 v26, v26, v26 :: v_dual_max_f32 v27, v27, v27
	s_delay_alu instid0(VALU_DEP_2) | instskip(NEXT) | instid1(VALU_DEP_2)
	v_dual_min_f32 v24, v69, v125 :: v_dual_min_f32 v25, v58, v124
	v_dual_min_f32 v116, v26, v121 :: v_dual_min_f32 v117, v27, v126
	s_delay_alu instid0(VALU_DEP_2) | instskip(SKIP_1) | instid1(VALU_DEP_2)
	v_dual_add_f32 v112, v24, v112 :: v_dual_add_f32 v25, v25, v113
	v_add_nc_u32_e32 v24, 40, v46
	v_dual_add_f32 v112, v117, v112 :: v_dual_add_f32 v113, v116, v25
	s_delay_alu instid0(VALU_DEP_2) | instskip(NEXT) | instid1(VALU_DEP_2)
	v_ashrrev_i32_e32 v25, 31, v24
	v_add_f32_e32 v116, v113, v112
	v_add_co_u32 v112, vcc_lo, v120, v28
	s_delay_alu instid0(VALU_DEP_3) | instskip(SKIP_1) | instid1(VALU_DEP_4)
	v_lshlrev_b64 v[24:25], 2, v[24:25]
	v_add_co_ci_u32_e32 v113, vcc_lo, v127, v29, vcc_lo
	v_add_f32_e32 v114, v116, v114
	s_and_b32 vcc_lo, exec_lo, s0
	global_store_b32 v[112:113], v114, off
	s_cbranch_vccnz .LBB27_43
; %bb.42:
	v_add_co_u32 v112, vcc_lo, v122, v24
	v_add_co_ci_u32_e32 v113, vcc_lo, v123, v25, vcc_lo
	flat_load_b32 v112, v[112:113]
	s_waitcnt vmcnt(0) lgkmcnt(0)
	v_mul_f32_e32 v115, s15, v112
.LBB27_43:
	v_dual_max_f32 v113, v21, v21 :: v_dual_max_f32 v112, v20, v20
	v_dual_max_f32 v22, v22, v22 :: v_dual_max_f32 v23, v23, v23
	s_delay_alu instid0(VALU_DEP_2) | instskip(NEXT) | instid1(VALU_DEP_2)
	v_dual_min_f32 v20, v113, v125 :: v_dual_min_f32 v21, v112, v124
	v_min_f32_e32 v114, v22, v121
	s_delay_alu instid0(VALU_DEP_2) | instskip(NEXT) | instid1(VALU_DEP_4)
	v_dual_add_f32 v110, v20, v110 :: v_dual_add_f32 v21, v21, v111
	v_min_f32_e32 v116, v23, v126
	s_delay_alu instid0(VALU_DEP_2) | instskip(NEXT) | instid1(VALU_DEP_2)
	v_dual_add_f32 v111, v114, v21 :: v_dual_add_nc_u32 v20, 48, v46
	v_add_f32_e32 v110, v116, v110
	s_delay_alu instid0(VALU_DEP_2) | instskip(SKIP_1) | instid1(VALU_DEP_3)
	v_ashrrev_i32_e32 v21, 31, v20
	v_mov_b32_e32 v114, 0
	v_add_f32_e32 v116, v111, v110
	v_add_co_u32 v110, vcc_lo, v120, v24
	s_delay_alu instid0(VALU_DEP_4) | instskip(SKIP_1) | instid1(VALU_DEP_4)
	v_lshlrev_b64 v[20:21], 2, v[20:21]
	v_add_co_ci_u32_e32 v111, vcc_lo, v127, v25, vcc_lo
	v_dual_add_f32 v116, v116, v115 :: v_dual_mov_b32 v115, 0
	s_and_b32 vcc_lo, exec_lo, s0
	global_store_b32 v[110:111], v116, off
	s_cbranch_vccnz .LBB27_45
; %bb.44:
	v_add_co_u32 v110, vcc_lo, v122, v20
	v_add_co_ci_u32_e32 v111, vcc_lo, v123, v21, vcc_lo
	flat_load_b32 v110, v[110:111]
	s_waitcnt vmcnt(0) lgkmcnt(0)
	v_mul_f32_e32 v115, s15, v110
.LBB27_45:
	v_dual_max_f32 v111, v17, v17 :: v_dual_max_f32 v110, v16, v16
	v_dual_max_f32 v18, v18, v18 :: v_dual_max_f32 v19, v19, v19
	s_delay_alu instid0(VALU_DEP_2) | instskip(NEXT) | instid1(VALU_DEP_2)
	v_dual_min_f32 v16, v111, v125 :: v_dual_min_f32 v17, v110, v124
	v_dual_min_f32 v116, v18, v121 :: v_dual_min_f32 v117, v19, v126
	s_delay_alu instid0(VALU_DEP_2) | instskip(SKIP_1) | instid1(VALU_DEP_2)
	v_dual_add_f32 v108, v16, v108 :: v_dual_add_f32 v17, v17, v109
	v_add_nc_u32_e32 v16, 56, v46
	v_add_f32_e32 v46, v117, v108
	s_delay_alu instid0(VALU_DEP_3) | instskip(NEXT) | instid1(VALU_DEP_3)
	v_add_f32_e32 v108, v116, v17
	v_ashrrev_i32_e32 v17, 31, v16
	s_delay_alu instid0(VALU_DEP_2) | instskip(SKIP_1) | instid1(VALU_DEP_3)
	v_add_f32_e32 v46, v108, v46
	v_add_co_u32 v108, vcc_lo, v120, v20
	v_lshlrev_b64 v[16:17], 2, v[16:17]
	v_add_co_ci_u32_e32 v109, vcc_lo, v127, v21, vcc_lo
	s_delay_alu instid0(VALU_DEP_4)
	v_add_f32_e32 v46, v46, v115
	s_and_b32 vcc_lo, exec_lo, s0
	global_store_b32 v[108:109], v46, off
	s_cbranch_vccnz .LBB27_47
; %bb.46:
	v_add_co_u32 v108, vcc_lo, v122, v16
	v_add_co_ci_u32_e32 v109, vcc_lo, v123, v17, vcc_lo
	flat_load_b32 v46, v[108:109]
	s_waitcnt vmcnt(0) lgkmcnt(0)
	v_mul_f32_e32 v114, s15, v46
.LBB27_47:
	v_dual_max_f32 v12, v12, v12 :: v_dual_max_f32 v13, v13, v13
	v_dual_max_f32 v14, v14, v14 :: v_dual_add_nc_u32 v115, 32, v48
	s_delay_alu instid0(VALU_DEP_2) | instskip(NEXT) | instid1(VALU_DEP_3)
	v_dual_max_f32 v15, v15, v15 :: v_dual_min_f32 v46, v12, v124
	v_min_f32_e32 v116, v13, v125
	s_delay_alu instid0(VALU_DEP_3) | instskip(NEXT) | instid1(VALU_DEP_4)
	v_min_f32_e32 v117, v14, v121
	v_mad_i64_i32 v[108:109], null, v115, s8, 0
	s_delay_alu instid0(VALU_DEP_4) | instskip(NEXT) | instid1(VALU_DEP_4)
	v_min_f32_e32 v118, v15, v126
	v_add_f32_e32 v116, v116, v106
	v_add_f32_e32 v46, v46, v107
	s_delay_alu instid0(VALU_DEP_4) | instskip(NEXT) | instid1(VALU_DEP_3)
	v_lshlrev_b64 v[106:107], 2, v[108:109]
	v_add_f32_e32 v116, v118, v116
	s_delay_alu instid0(VALU_DEP_3) | instskip(SKIP_2) | instid1(VALU_DEP_3)
	v_add_f32_e32 v46, v117, v46
	v_add_co_u32 v108, vcc_lo, v120, v16
	v_add_co_ci_u32_e32 v109, vcc_lo, v127, v17, vcc_lo
	v_add_f32_e32 v116, v46, v116
	v_add_co_u32 v46, vcc_lo, s4, v106
	v_add_co_ci_u32_e32 v106, vcc_lo, s5, v107, vcc_lo
	s_delay_alu instid0(VALU_DEP_3)
	v_dual_add_f32 v107, v116, v114 :: v_dual_mov_b32 v114, 0
	v_mov_b32_e32 v116, 0
	s_and_b32 vcc_lo, exec_lo, s0
	global_store_b32 v[108:109], v107, off
	s_cbranch_vccnz .LBB27_49
; %bb.48:
	v_add_co_u32 v107, vcc_lo, v46, v44
	v_add_co_ci_u32_e32 v108, vcc_lo, v106, v45, vcc_lo
	flat_load_b32 v107, v[107:108]
	s_waitcnt vmcnt(0) lgkmcnt(0)
	v_mul_f32_e32 v116, s15, v107
.LBB27_49:
	v_dual_max_f32 v107, v8, v8 :: v_dual_max_f32 v108, v9, v9
	v_dual_max_f32 v109, v10, v10 :: v_dual_max_f32 v8, v11, v11
	v_mad_i64_i32 v[9:10], null, v115, s3, 0
	s_delay_alu instid0(VALU_DEP_3) | instskip(NEXT) | instid1(VALU_DEP_4)
	v_min_f32_e32 v117, v49, v108
	v_min_f32_e32 v11, v47, v107
	s_delay_alu instid0(VALU_DEP_4) | instskip(NEXT) | instid1(VALU_DEP_2)
	v_dual_min_f32 v115, v42, v109 :: v_dual_min_f32 v118, v43, v8
	v_dual_add_f32 v104, v117, v104 :: v_dual_add_f32 v11, v11, v105
	v_lshlrev_b64 v[9:10], 2, v[9:10]
	s_delay_alu instid0(VALU_DEP_2) | instskip(NEXT) | instid1(VALU_DEP_2)
	v_dual_add_f32 v104, v118, v104 :: v_dual_add_f32 v11, v115, v11
	v_add_co_u32 v9, vcc_lo, s1, v9
	s_delay_alu instid0(VALU_DEP_3) | instskip(NEXT) | instid1(VALU_DEP_3)
	v_add_co_ci_u32_e32 v10, vcc_lo, s6, v10, vcc_lo
	v_add_f32_e32 v11, v11, v104
	s_delay_alu instid0(VALU_DEP_3) | instskip(NEXT) | instid1(VALU_DEP_3)
	v_add_co_u32 v104, vcc_lo, v9, v44
	v_add_co_ci_u32_e32 v105, vcc_lo, v10, v45, vcc_lo
	s_delay_alu instid0(VALU_DEP_3)
	v_add_f32_e32 v11, v11, v116
	s_and_b32 vcc_lo, exec_lo, s0
	global_store_b32 v[104:105], v11, off
	s_cbranch_vccnz .LBB27_51
; %bb.50:
	v_add_co_u32 v104, vcc_lo, v46, v40
	v_add_co_ci_u32_e32 v105, vcc_lo, v106, v41, vcc_lo
	flat_load_b32 v11, v[104:105]
	s_waitcnt vmcnt(0) lgkmcnt(0)
	v_mul_f32_e32 v114, s15, v11
.LBB27_51:
	v_dual_min_f32 v11, v51, v108 :: v_dual_min_f32 v104, v50, v107
	v_min_f32_e32 v105, v38, v109
	s_delay_alu instid0(VALU_DEP_2) | instskip(SKIP_3) | instid1(VALU_DEP_3)
	v_dual_add_f32 v11, v11, v102 :: v_dual_add_f32 v102, v104, v103
	v_min_f32_e32 v115, v39, v8
	v_add_co_u32 v103, vcc_lo, v9, v40
	v_add_co_ci_u32_e32 v104, vcc_lo, v10, v41, vcc_lo
	v_dual_add_f32 v102, v105, v102 :: v_dual_add_f32 v11, v115, v11
	s_and_b32 vcc_lo, exec_lo, s0
	s_delay_alu instid0(VALU_DEP_1) | instskip(NEXT) | instid1(VALU_DEP_1)
	v_dual_add_f32 v11, v102, v11 :: v_dual_mov_b32 v102, 0
	v_add_f32_e32 v105, v11, v114
	v_mov_b32_e32 v11, 0
	global_store_b32 v[103:104], v105, off
	s_cbranch_vccnz .LBB27_53
; %bb.52:
	v_add_co_u32 v102, vcc_lo, v46, v36
	v_add_co_ci_u32_e32 v103, vcc_lo, v106, v37, vcc_lo
	flat_load_b32 v102, v[102:103]
	s_waitcnt vmcnt(0) lgkmcnt(0)
	v_mul_f32_e32 v102, s15, v102
.LBB27_53:
	v_dual_min_f32 v103, v53, v108 :: v_dual_min_f32 v104, v52, v107
	v_dual_min_f32 v105, v34, v109 :: v_dual_min_f32 v114, v35, v8
	s_delay_alu instid0(VALU_DEP_2) | instskip(NEXT) | instid1(VALU_DEP_1)
	v_dual_add_f32 v100, v103, v100 :: v_dual_add_f32 v101, v104, v101
	v_dual_add_f32 v100, v114, v100 :: v_dual_add_f32 v101, v105, v101
	s_delay_alu instid0(VALU_DEP_1) | instskip(NEXT) | instid1(VALU_DEP_1)
	v_add_f32_e32 v100, v101, v100
	v_add_f32_e32 v102, v100, v102
	v_add_co_u32 v100, vcc_lo, v9, v36
	v_add_co_ci_u32_e32 v101, vcc_lo, v10, v37, vcc_lo
	s_and_b32 vcc_lo, exec_lo, s0
	global_store_b32 v[100:101], v102, off
	s_cbranch_vccnz .LBB27_55
; %bb.54:
	v_add_co_u32 v100, vcc_lo, v46, v32
	v_add_co_ci_u32_e32 v101, vcc_lo, v106, v33, vcc_lo
	flat_load_b32 v11, v[100:101]
	s_waitcnt vmcnt(0) lgkmcnt(0)
	v_mul_f32_e32 v11, s15, v11
.LBB27_55:
	v_dual_min_f32 v100, v55, v108 :: v_dual_min_f32 v101, v54, v107
	v_dual_min_f32 v102, v30, v109 :: v_dual_min_f32 v103, v31, v8
	s_delay_alu instid0(VALU_DEP_2) | instskip(NEXT) | instid1(VALU_DEP_3)
	v_add_f32_e32 v97, v100, v97
	v_add_f32_e32 v99, v101, v99
	s_delay_alu instid0(VALU_DEP_2) | instskip(NEXT) | instid1(VALU_DEP_2)
	v_add_f32_e32 v97, v103, v97
	v_add_f32_e32 v99, v102, v99
	s_delay_alu instid0(VALU_DEP_1) | instskip(SKIP_2) | instid1(VALU_DEP_3)
	v_add_f32_e32 v97, v99, v97
	v_add_co_u32 v99, vcc_lo, v9, v32
	v_add_co_ci_u32_e32 v100, vcc_lo, v10, v33, vcc_lo
	v_add_f32_e32 v101, v97, v11
	v_mov_b32_e32 v11, 0
	v_mov_b32_e32 v97, 0
	s_and_b32 vcc_lo, exec_lo, s0
	global_store_b32 v[99:100], v101, off
	s_cbranch_vccnz .LBB27_57
; %bb.56:
	v_add_co_u32 v99, vcc_lo, v46, v28
	v_add_co_ci_u32_e32 v100, vcc_lo, v106, v29, vcc_lo
	flat_load_b32 v97, v[99:100]
	s_waitcnt vmcnt(0) lgkmcnt(0)
	v_mul_f32_e32 v97, s15, v97
.LBB27_57:
	v_dual_min_f32 v99, v69, v108 :: v_dual_min_f32 v100, v58, v107
	v_dual_min_f32 v101, v26, v109 :: v_dual_min_f32 v102, v27, v8
	s_delay_alu instid0(VALU_DEP_2) | instskip(NEXT) | instid1(VALU_DEP_3)
	v_add_f32_e32 v96, v99, v96
	v_add_f32_e32 v98, v100, v98
	s_delay_alu instid0(VALU_DEP_2) | instskip(NEXT) | instid1(VALU_DEP_2)
	v_add_f32_e32 v96, v102, v96
	v_add_f32_e32 v98, v101, v98
	s_delay_alu instid0(VALU_DEP_1) | instskip(NEXT) | instid1(VALU_DEP_1)
	v_add_f32_e32 v96, v98, v96
	v_add_f32_e32 v98, v96, v97
	v_add_co_u32 v96, vcc_lo, v9, v28
	v_add_co_ci_u32_e32 v97, vcc_lo, v10, v29, vcc_lo
	s_and_b32 vcc_lo, exec_lo, s0
	global_store_b32 v[96:97], v98, off
	s_cbranch_vccnz .LBB27_59
; %bb.58:
	v_add_co_u32 v96, vcc_lo, v46, v24
	v_add_co_ci_u32_e32 v97, vcc_lo, v106, v25, vcc_lo
	flat_load_b32 v11, v[96:97]
	s_waitcnt vmcnt(0) lgkmcnt(0)
	v_mul_f32_e32 v11, s15, v11
.LBB27_59:
	v_dual_min_f32 v96, v113, v108 :: v_dual_min_f32 v97, v112, v107
	v_dual_min_f32 v98, v22, v109 :: v_dual_min_f32 v99, v23, v8
	s_delay_alu instid0(VALU_DEP_2) | instskip(NEXT) | instid1(VALU_DEP_1)
	v_dual_add_f32 v94, v96, v94 :: v_dual_add_f32 v95, v97, v95
	v_dual_add_f32 v94, v99, v94 :: v_dual_add_f32 v95, v98, v95
	s_delay_alu instid0(VALU_DEP_1) | instskip(SKIP_2) | instid1(VALU_DEP_3)
	v_add_f32_e32 v94, v95, v94
	v_add_co_u32 v95, vcc_lo, v9, v24
	v_add_co_ci_u32_e32 v96, vcc_lo, v10, v25, vcc_lo
	v_dual_add_f32 v97, v94, v11 :: v_dual_mov_b32 v94, 0
	v_mov_b32_e32 v11, 0
	s_and_b32 vcc_lo, exec_lo, s0
	global_store_b32 v[95:96], v97, off
	s_cbranch_vccnz .LBB27_61
; %bb.60:
	v_add_co_u32 v94, vcc_lo, v46, v20
	v_add_co_ci_u32_e32 v95, vcc_lo, v106, v21, vcc_lo
	flat_load_b32 v94, v[94:95]
	s_waitcnt vmcnt(0) lgkmcnt(0)
	v_mul_f32_e32 v94, s15, v94
.LBB27_61:
	v_dual_min_f32 v95, v111, v108 :: v_dual_min_f32 v96, v110, v107
	v_dual_min_f32 v97, v18, v109 :: v_dual_min_f32 v98, v19, v8
	s_delay_alu instid0(VALU_DEP_2) | instskip(NEXT) | instid1(VALU_DEP_1)
	v_dual_add_f32 v92, v95, v92 :: v_dual_add_f32 v93, v96, v93
	v_dual_add_f32 v92, v98, v92 :: v_dual_add_f32 v93, v97, v93
	s_delay_alu instid0(VALU_DEP_1) | instskip(NEXT) | instid1(VALU_DEP_1)
	v_add_f32_e32 v92, v93, v92
	v_add_f32_e32 v94, v92, v94
	v_add_co_u32 v92, vcc_lo, v9, v20
	v_add_co_ci_u32_e32 v93, vcc_lo, v10, v21, vcc_lo
	s_and_b32 vcc_lo, exec_lo, s0
	global_store_b32 v[92:93], v94, off
	s_cbranch_vccnz .LBB27_63
; %bb.62:
	v_add_co_u32 v92, vcc_lo, v46, v16
	v_add_co_ci_u32_e32 v93, vcc_lo, v106, v17, vcc_lo
	flat_load_b32 v11, v[92:93]
	s_waitcnt vmcnt(0) lgkmcnt(0)
	v_mul_f32_e32 v11, s15, v11
.LBB27_63:
	v_dual_min_f32 v46, v12, v107 :: v_dual_min_f32 v93, v13, v108
	v_add_nc_u32_e32 v92, 64, v48
	v_min_f32_e32 v94, v14, v109
	v_min_f32_e32 v8, v15, v8
	s_delay_alu instid0(VALU_DEP_4) | instskip(NEXT) | instid1(VALU_DEP_4)
	v_dual_add_f32 v46, v46, v91 :: v_dual_add_f32 v93, v93, v90
	v_mad_i64_i32 v[90:91], null, v92, s8, 0
	s_delay_alu instid0(VALU_DEP_2) | instskip(NEXT) | instid1(VALU_DEP_3)
	v_add_f32_e32 v46, v94, v46
	v_add_f32_e32 v8, v8, v93
	v_add_co_u32 v93, vcc_lo, v9, v16
	v_add_co_ci_u32_e32 v94, vcc_lo, v10, v17, vcc_lo
	v_lshlrev_b64 v[90:91], 2, v[90:91]
	s_delay_alu instid0(VALU_DEP_4) | instskip(NEXT) | instid1(VALU_DEP_1)
	v_add_f32_e32 v8, v46, v8
	v_add_f32_e32 v10, v8, v11
	s_delay_alu instid0(VALU_DEP_3) | instskip(NEXT) | instid1(VALU_DEP_4)
	v_add_co_u32 v8, vcc_lo, s4, v90
	v_add_co_ci_u32_e32 v9, vcc_lo, s5, v91, vcc_lo
	v_dual_mov_b32 v90, 0 :: v_dual_mov_b32 v91, 0
	s_and_b32 vcc_lo, exec_lo, s0
	global_store_b32 v[93:94], v10, off
	s_cbranch_vccnz .LBB27_65
; %bb.64:
	v_add_co_u32 v10, vcc_lo, v8, v44
	v_add_co_ci_u32_e32 v11, vcc_lo, v9, v45, vcc_lo
	flat_load_b32 v10, v[10:11]
	s_waitcnt vmcnt(0) lgkmcnt(0)
	v_mul_f32_e32 v91, s15, v10
.LBB27_65:
	v_dual_max_f32 v10, v4, v4 :: v_dual_max_f32 v11, v5, v5
	v_max_f32_e32 v46, v6, v6
	v_mad_i64_i32 v[5:6], null, v92, s3, 0
	v_max_f32_e32 v4, v7, v7
	s_delay_alu instid0(VALU_DEP_4) | instskip(NEXT) | instid1(VALU_DEP_1)
	v_min_f32_e32 v93, v49, v11
	v_dual_min_f32 v7, v47, v10 :: v_dual_add_f32 v88, v93, v88
	s_delay_alu instid0(VALU_DEP_1) | instskip(NEXT) | instid1(VALU_DEP_4)
	v_dual_min_f32 v92, v42, v46 :: v_dual_add_f32 v7, v7, v89
	v_min_f32_e32 v94, v43, v4
	v_lshlrev_b64 v[5:6], 2, v[5:6]
	s_delay_alu instid0(VALU_DEP_2) | instskip(NEXT) | instid1(VALU_DEP_2)
	v_dual_add_f32 v7, v92, v7 :: v_dual_add_f32 v88, v94, v88
	v_add_co_u32 v5, vcc_lo, s1, v5
	s_delay_alu instid0(VALU_DEP_3) | instskip(NEXT) | instid1(VALU_DEP_3)
	v_add_co_ci_u32_e32 v6, vcc_lo, s6, v6, vcc_lo
	v_add_f32_e32 v7, v7, v88
	s_delay_alu instid0(VALU_DEP_3) | instskip(NEXT) | instid1(VALU_DEP_3)
	v_add_co_u32 v88, vcc_lo, v5, v44
	v_add_co_ci_u32_e32 v89, vcc_lo, v6, v45, vcc_lo
	s_delay_alu instid0(VALU_DEP_3)
	v_add_f32_e32 v7, v7, v91
	s_and_b32 vcc_lo, exec_lo, s0
	global_store_b32 v[88:89], v7, off
	s_cbranch_vccnz .LBB27_67
; %bb.66:
	v_add_co_u32 v88, vcc_lo, v8, v40
	v_add_co_ci_u32_e32 v89, vcc_lo, v9, v41, vcc_lo
	flat_load_b32 v7, v[88:89]
	s_waitcnt vmcnt(0) lgkmcnt(0)
	v_mul_f32_e32 v90, s15, v7
.LBB27_67:
	v_dual_min_f32 v7, v51, v11 :: v_dual_min_f32 v88, v50, v10
	v_min_f32_e32 v89, v38, v46
	s_delay_alu instid0(VALU_DEP_2) | instskip(SKIP_3) | instid1(VALU_DEP_3)
	v_dual_add_f32 v7, v7, v86 :: v_dual_add_f32 v86, v88, v87
	v_min_f32_e32 v91, v39, v4
	v_add_co_u32 v87, vcc_lo, v5, v40
	v_add_co_ci_u32_e32 v88, vcc_lo, v6, v41, vcc_lo
	v_dual_add_f32 v86, v89, v86 :: v_dual_add_f32 v7, v91, v7
	s_and_b32 vcc_lo, exec_lo, s0
	s_delay_alu instid0(VALU_DEP_1) | instskip(NEXT) | instid1(VALU_DEP_1)
	v_dual_add_f32 v7, v86, v7 :: v_dual_mov_b32 v86, 0
	v_add_f32_e32 v89, v7, v90
	v_mov_b32_e32 v7, 0
	global_store_b32 v[87:88], v89, off
	s_cbranch_vccnz .LBB27_69
; %bb.68:
	v_add_co_u32 v86, vcc_lo, v8, v36
	v_add_co_ci_u32_e32 v87, vcc_lo, v9, v37, vcc_lo
	flat_load_b32 v86, v[86:87]
	s_waitcnt vmcnt(0) lgkmcnt(0)
	v_mul_f32_e32 v86, s15, v86
.LBB27_69:
	v_dual_min_f32 v87, v53, v11 :: v_dual_min_f32 v88, v52, v10
	v_dual_min_f32 v89, v34, v46 :: v_dual_min_f32 v90, v35, v4
	s_delay_alu instid0(VALU_DEP_2) | instskip(NEXT) | instid1(VALU_DEP_1)
	v_dual_add_f32 v84, v87, v84 :: v_dual_add_f32 v85, v88, v85
	v_dual_add_f32 v84, v90, v84 :: v_dual_add_f32 v85, v89, v85
	s_delay_alu instid0(VALU_DEP_1) | instskip(NEXT) | instid1(VALU_DEP_1)
	v_add_f32_e32 v84, v85, v84
	v_add_f32_e32 v86, v84, v86
	v_add_co_u32 v84, vcc_lo, v5, v36
	v_add_co_ci_u32_e32 v85, vcc_lo, v6, v37, vcc_lo
	s_and_b32 vcc_lo, exec_lo, s0
	global_store_b32 v[84:85], v86, off
	s_cbranch_vccnz .LBB27_71
; %bb.70:
	v_add_co_u32 v84, vcc_lo, v8, v32
	v_add_co_ci_u32_e32 v85, vcc_lo, v9, v33, vcc_lo
	flat_load_b32 v7, v[84:85]
	s_waitcnt vmcnt(0) lgkmcnt(0)
	v_mul_f32_e32 v7, s15, v7
.LBB27_71:
	v_dual_min_f32 v84, v55, v11 :: v_dual_min_f32 v85, v54, v10
	v_dual_min_f32 v86, v30, v46 :: v_dual_min_f32 v87, v31, v4
	s_delay_alu instid0(VALU_DEP_2) | instskip(NEXT) | instid1(VALU_DEP_1)
	v_dual_add_f32 v82, v84, v82 :: v_dual_add_f32 v83, v85, v83
	v_dual_add_f32 v82, v87, v82 :: v_dual_add_f32 v83, v86, v83
	s_delay_alu instid0(VALU_DEP_1) | instskip(SKIP_2) | instid1(VALU_DEP_3)
	v_add_f32_e32 v82, v83, v82
	v_add_co_u32 v83, vcc_lo, v5, v32
	v_add_co_ci_u32_e32 v84, vcc_lo, v6, v33, vcc_lo
	v_dual_add_f32 v85, v82, v7 :: v_dual_mov_b32 v82, 0
	v_mov_b32_e32 v7, 0
	s_and_b32 vcc_lo, exec_lo, s0
	global_store_b32 v[83:84], v85, off
	s_cbranch_vccnz .LBB27_73
; %bb.72:
	v_add_co_u32 v82, vcc_lo, v8, v28
	v_add_co_ci_u32_e32 v83, vcc_lo, v9, v29, vcc_lo
	flat_load_b32 v82, v[82:83]
	s_waitcnt vmcnt(0) lgkmcnt(0)
	v_mul_f32_e32 v82, s15, v82
.LBB27_73:
	v_dual_min_f32 v83, v69, v11 :: v_dual_min_f32 v84, v58, v10
	v_dual_min_f32 v85, v26, v46 :: v_dual_min_f32 v86, v27, v4
	s_delay_alu instid0(VALU_DEP_2) | instskip(NEXT) | instid1(VALU_DEP_1)
	v_dual_add_f32 v80, v83, v80 :: v_dual_add_f32 v81, v84, v81
	v_dual_add_f32 v80, v86, v80 :: v_dual_add_f32 v81, v85, v81
	s_delay_alu instid0(VALU_DEP_1) | instskip(NEXT) | instid1(VALU_DEP_1)
	v_add_f32_e32 v80, v81, v80
	v_add_f32_e32 v82, v80, v82
	v_add_co_u32 v80, vcc_lo, v5, v28
	v_add_co_ci_u32_e32 v81, vcc_lo, v6, v29, vcc_lo
	s_and_b32 vcc_lo, exec_lo, s0
	global_store_b32 v[80:81], v82, off
	s_cbranch_vccnz .LBB27_75
; %bb.74:
	v_add_co_u32 v80, vcc_lo, v8, v24
	v_add_co_ci_u32_e32 v81, vcc_lo, v9, v25, vcc_lo
	flat_load_b32 v7, v[80:81]
	s_waitcnt vmcnt(0) lgkmcnt(0)
	v_mul_f32_e32 v7, s15, v7
.LBB27_75:
	v_dual_min_f32 v80, v113, v11 :: v_dual_min_f32 v81, v112, v10
	v_dual_min_f32 v82, v22, v46 :: v_dual_min_f32 v83, v23, v4
	s_delay_alu instid0(VALU_DEP_2) | instskip(NEXT) | instid1(VALU_DEP_3)
	v_add_f32_e32 v77, v80, v77
	v_add_f32_e32 v79, v81, v79
	s_delay_alu instid0(VALU_DEP_2) | instskip(NEXT) | instid1(VALU_DEP_2)
	v_add_f32_e32 v77, v83, v77
	v_add_f32_e32 v79, v82, v79
	s_delay_alu instid0(VALU_DEP_1) | instskip(SKIP_2) | instid1(VALU_DEP_3)
	v_add_f32_e32 v77, v79, v77
	v_add_co_u32 v79, vcc_lo, v5, v24
	v_add_co_ci_u32_e32 v80, vcc_lo, v6, v25, vcc_lo
	v_add_f32_e32 v81, v77, v7
	v_mov_b32_e32 v7, 0
	v_mov_b32_e32 v77, 0
	s_and_b32 vcc_lo, exec_lo, s0
	global_store_b32 v[79:80], v81, off
	s_cbranch_vccnz .LBB27_77
; %bb.76:
	v_add_co_u32 v79, vcc_lo, v8, v20
	v_add_co_ci_u32_e32 v80, vcc_lo, v9, v21, vcc_lo
	flat_load_b32 v77, v[79:80]
	s_waitcnt vmcnt(0) lgkmcnt(0)
	v_mul_f32_e32 v77, s15, v77
.LBB27_77:
	v_dual_min_f32 v79, v111, v11 :: v_dual_min_f32 v80, v110, v10
	v_dual_min_f32 v81, v18, v46 :: v_dual_min_f32 v82, v19, v4
	s_delay_alu instid0(VALU_DEP_2) | instskip(NEXT) | instid1(VALU_DEP_3)
	v_add_f32_e32 v76, v79, v76
	v_add_f32_e32 v78, v80, v78
	s_delay_alu instid0(VALU_DEP_2) | instskip(NEXT) | instid1(VALU_DEP_2)
	v_add_f32_e32 v76, v82, v76
	v_add_f32_e32 v78, v81, v78
	s_delay_alu instid0(VALU_DEP_1) | instskip(NEXT) | instid1(VALU_DEP_1)
	v_add_f32_e32 v76, v78, v76
	v_add_f32_e32 v78, v76, v77
	v_add_co_u32 v76, vcc_lo, v5, v20
	v_add_co_ci_u32_e32 v77, vcc_lo, v6, v21, vcc_lo
	s_and_b32 vcc_lo, exec_lo, s0
	global_store_b32 v[76:77], v78, off
	s_cbranch_vccnz .LBB27_79
; %bb.78:
	v_add_co_u32 v7, vcc_lo, v8, v16
	v_add_co_ci_u32_e32 v8, vcc_lo, v9, v17, vcc_lo
	flat_load_b32 v7, v[7:8]
	s_waitcnt vmcnt(0) lgkmcnt(0)
	v_mul_f32_e32 v7, s15, v7
.LBB27_79:
	v_dual_min_f32 v8, v12, v10 :: v_dual_add_nc_u32 v9, 0x60, v48
	v_min_f32_e32 v10, v13, v11
	v_min_f32_e32 v46, v14, v46
	;; [unrolled: 1-line block ×3, first 2 shown]
	s_delay_alu instid0(VALU_DEP_4) | instskip(NEXT) | instid1(VALU_DEP_4)
	v_add_f32_e32 v8, v8, v75
	v_add_f32_e32 v48, v10, v74
	v_mad_i64_i32 v[10:11], null, v9, s8, 0
	s_delay_alu instid0(VALU_DEP_3) | instskip(SKIP_1) | instid1(VALU_DEP_4)
	v_add_f32_e32 v8, v46, v8
	v_add_co_u32 v74, vcc_lo, v5, v16
	v_add_f32_e32 v4, v4, v48
	v_add_co_ci_u32_e32 v75, vcc_lo, v6, v17, vcc_lo
	v_lshlrev_b64 v[10:11], 2, v[10:11]
	s_delay_alu instid0(VALU_DEP_3) | instskip(SKIP_1) | instid1(VALU_DEP_2)
	v_add_f32_e32 v4, v8, v4
	v_mov_b32_e32 v8, 0
	v_add_f32_e32 v6, v4, v7
	s_delay_alu instid0(VALU_DEP_4)
	v_add_co_u32 v4, vcc_lo, s4, v10
	v_add_co_ci_u32_e32 v5, vcc_lo, s5, v11, vcc_lo
	v_mov_b32_e32 v10, 0
	s_and_b32 vcc_lo, exec_lo, s0
	global_store_b32 v[74:75], v6, off
	s_cbranch_vccnz .LBB27_81
; %bb.80:
	v_add_co_u32 v6, vcc_lo, v4, v44
	v_add_co_ci_u32_e32 v7, vcc_lo, v5, v45, vcc_lo
	flat_load_b32 v6, v[6:7]
	s_waitcnt vmcnt(0) lgkmcnt(0)
	v_mul_f32_e32 v10, s15, v6
.LBB27_81:
	v_dual_max_f32 v0, v0, v0 :: v_dual_max_f32 v1, v1, v1
	v_dual_max_f32 v2, v2, v2 :: v_dual_max_f32 v3, v3, v3
	v_mad_i64_i32 v[6:7], null, v9, s3, 0
	s_delay_alu instid0(VALU_DEP_3) | instskip(NEXT) | instid1(VALU_DEP_3)
	v_dual_min_f32 v11, v47, v0 :: v_dual_min_f32 v46, v49, v1
	v_dual_min_f32 v9, v42, v2 :: v_dual_min_f32 v42, v43, v3
	s_delay_alu instid0(VALU_DEP_2) | instskip(NEXT) | instid1(VALU_DEP_3)
	v_add_f32_e32 v43, v46, v70
	v_add_f32_e32 v11, v11, v73
	v_lshlrev_b64 v[6:7], 2, v[6:7]
	s_delay_alu instid0(VALU_DEP_3) | instskip(NEXT) | instid1(VALU_DEP_3)
	v_add_f32_e32 v42, v42, v43
	v_add_f32_e32 v9, v9, v11
	s_delay_alu instid0(VALU_DEP_3) | instskip(NEXT) | instid1(VALU_DEP_4)
	v_add_co_u32 v6, vcc_lo, s1, v6
	v_add_co_ci_u32_e32 v7, vcc_lo, s6, v7, vcc_lo
	s_delay_alu instid0(VALU_DEP_3) | instskip(NEXT) | instid1(VALU_DEP_1)
	v_add_f32_e32 v9, v9, v42
	v_add_f32_e32 v11, v9, v10
	s_delay_alu instid0(VALU_DEP_4) | instskip(NEXT) | instid1(VALU_DEP_4)
	v_add_co_u32 v9, vcc_lo, v6, v44
	v_add_co_ci_u32_e32 v10, vcc_lo, v7, v45, vcc_lo
	s_and_b32 vcc_lo, exec_lo, s0
	global_store_b32 v[9:10], v11, off
	s_cbranch_vccnz .LBB27_83
; %bb.82:
	v_add_co_u32 v8, vcc_lo, v4, v40
	v_add_co_ci_u32_e32 v9, vcc_lo, v5, v41, vcc_lo
	flat_load_b32 v8, v[8:9]
	s_waitcnt vmcnt(0) lgkmcnt(0)
	v_mul_f32_e32 v8, s15, v8
.LBB27_83:
	v_dual_min_f32 v9, v51, v1 :: v_dual_min_f32 v10, v50, v0
	v_dual_min_f32 v11, v38, v2 :: v_dual_min_f32 v38, v39, v3
	s_delay_alu instid0(VALU_DEP_2) | instskip(NEXT) | instid1(VALU_DEP_1)
	v_dual_add_f32 v9, v9, v71 :: v_dual_add_f32 v10, v10, v72
	v_dual_add_f32 v9, v38, v9 :: v_dual_add_f32 v10, v11, v10
	s_delay_alu instid0(VALU_DEP_1) | instskip(SKIP_2) | instid1(VALU_DEP_3)
	v_add_f32_e32 v9, v10, v9
	v_add_co_u32 v10, vcc_lo, v6, v40
	v_add_co_ci_u32_e32 v11, vcc_lo, v7, v41, vcc_lo
	v_dual_add_f32 v38, v9, v8 :: v_dual_mov_b32 v9, 0
	v_mov_b32_e32 v8, 0
	s_and_b32 vcc_lo, exec_lo, s0
	global_store_b32 v[10:11], v38, off
	s_cbranch_vccnz .LBB27_85
; %bb.84:
	v_add_co_u32 v9, vcc_lo, v4, v36
	v_add_co_ci_u32_e32 v10, vcc_lo, v5, v37, vcc_lo
	flat_load_b32 v9, v[9:10]
	s_waitcnt vmcnt(0) lgkmcnt(0)
	v_mul_f32_e32 v9, s15, v9
.LBB27_85:
	v_dual_min_f32 v10, v53, v1 :: v_dual_min_f32 v11, v52, v0
	v_dual_min_f32 v34, v34, v2 :: v_dual_min_f32 v35, v35, v3
	s_delay_alu instid0(VALU_DEP_2) | instskip(NEXT) | instid1(VALU_DEP_1)
	v_dual_add_f32 v10, v10, v66 :: v_dual_add_f32 v11, v11, v68
	v_dual_add_f32 v10, v35, v10 :: v_dual_add_f32 v11, v34, v11
	s_delay_alu instid0(VALU_DEP_1) | instskip(NEXT) | instid1(VALU_DEP_1)
	v_add_f32_e32 v10, v11, v10
	v_add_f32_e32 v11, v10, v9
	v_add_co_u32 v9, vcc_lo, v6, v36
	v_add_co_ci_u32_e32 v10, vcc_lo, v7, v37, vcc_lo
	s_and_b32 vcc_lo, exec_lo, s0
	global_store_b32 v[9:10], v11, off
	s_cbranch_vccnz .LBB27_87
; %bb.86:
	v_add_co_u32 v8, vcc_lo, v4, v32
	v_add_co_ci_u32_e32 v9, vcc_lo, v5, v33, vcc_lo
	flat_load_b32 v8, v[8:9]
	s_waitcnt vmcnt(0) lgkmcnt(0)
	v_mul_f32_e32 v8, s15, v8
.LBB27_87:
	v_dual_min_f32 v9, v55, v1 :: v_dual_min_f32 v10, v54, v0
	v_dual_min_f32 v11, v30, v2 :: v_dual_min_f32 v30, v31, v3
	s_delay_alu instid0(VALU_DEP_2) | instskip(NEXT) | instid1(VALU_DEP_1)
	v_dual_add_f32 v9, v9, v65 :: v_dual_add_f32 v10, v10, v67
	v_dual_add_f32 v9, v30, v9 :: v_dual_add_f32 v10, v11, v10
	s_delay_alu instid0(VALU_DEP_1) | instskip(SKIP_2) | instid1(VALU_DEP_3)
	v_add_f32_e32 v9, v10, v9
	v_add_co_u32 v10, vcc_lo, v6, v32
	v_add_co_ci_u32_e32 v11, vcc_lo, v7, v33, vcc_lo
	v_dual_add_f32 v30, v9, v8 :: v_dual_mov_b32 v9, 0
	v_mov_b32_e32 v8, 0
	s_and_b32 vcc_lo, exec_lo, s0
	global_store_b32 v[10:11], v30, off
	s_cbranch_vccnz .LBB27_89
; %bb.88:
	v_add_co_u32 v9, vcc_lo, v4, v28
	v_add_co_ci_u32_e32 v10, vcc_lo, v5, v29, vcc_lo
	flat_load_b32 v9, v[9:10]
	s_waitcnt vmcnt(0) lgkmcnt(0)
	v_mul_f32_e32 v9, s15, v9
.LBB27_89:
	v_dual_min_f32 v10, v69, v1 :: v_dual_min_f32 v11, v58, v0
	v_dual_min_f32 v26, v26, v2 :: v_dual_min_f32 v27, v27, v3
	s_delay_alu instid0(VALU_DEP_2) | instskip(NEXT) | instid1(VALU_DEP_1)
	v_dual_add_f32 v10, v10, v63 :: v_dual_add_f32 v11, v11, v64
	v_dual_add_f32 v10, v27, v10 :: v_dual_add_f32 v11, v26, v11
	s_delay_alu instid0(VALU_DEP_1) | instskip(NEXT) | instid1(VALU_DEP_1)
	v_add_f32_e32 v10, v11, v10
	v_add_f32_e32 v11, v10, v9
	v_add_co_u32 v9, vcc_lo, v6, v28
	v_add_co_ci_u32_e32 v10, vcc_lo, v7, v29, vcc_lo
	s_and_b32 vcc_lo, exec_lo, s0
	global_store_b32 v[9:10], v11, off
	s_cbranch_vccnz .LBB27_91
; %bb.90:
	v_add_co_u32 v8, vcc_lo, v4, v24
	v_add_co_ci_u32_e32 v9, vcc_lo, v5, v25, vcc_lo
	flat_load_b32 v8, v[8:9]
	s_waitcnt vmcnt(0) lgkmcnt(0)
	v_mul_f32_e32 v8, s15, v8
.LBB27_91:
	v_dual_min_f32 v9, v113, v1 :: v_dual_min_f32 v10, v112, v0
	v_dual_min_f32 v11, v22, v2 :: v_dual_min_f32 v22, v23, v3
	v_min_f32_e32 v23, v111, v1
	s_delay_alu instid0(VALU_DEP_3) | instskip(NEXT) | instid1(VALU_DEP_4)
	v_dual_add_f32 v9, v9, v59 :: v_dual_min_f32 v26, v110, v0
	v_add_f32_e32 v10, v10, v62
	s_delay_alu instid0(VALU_DEP_3) | instskip(NEXT) | instid1(VALU_DEP_2)
	v_dual_min_f32 v18, v18, v2 :: v_dual_add_f32 v23, v23, v61
	v_dual_add_f32 v9, v22, v9 :: v_dual_add_f32 v10, v11, v10
	v_min_f32_e32 v11, v19, v3
	v_add_f32_e32 v19, v26, v60
	s_delay_alu instid0(VALU_DEP_2) | instskip(NEXT) | instid1(VALU_DEP_2)
	v_dual_add_f32 v22, v10, v9 :: v_dual_add_f32 v11, v11, v23
	v_add_f32_e32 v18, v18, v19
	v_add_co_u32 v9, vcc_lo, v6, v24
	v_add_co_ci_u32_e32 v10, vcc_lo, v7, v25, vcc_lo
	s_delay_alu instid0(VALU_DEP_4) | instskip(NEXT) | instid1(VALU_DEP_4)
	v_add_f32_e32 v19, v22, v8
	v_add_f32_e32 v8, v18, v11
	s_mov_b32 vcc_lo, s2
	global_store_b32 v[9:10], v19, off
	s_cbranch_vccz .LBB27_94
; %bb.92:
	v_add_co_u32 v9, vcc_lo, v6, v20
	v_add_f32_e32 v11, 0, v8
	v_add_co_ci_u32_e32 v10, vcc_lo, v7, v21, vcc_lo
	s_mov_b32 s0, 0
	global_store_b32 v[9:10], v11, off
	s_cbranch_execz .LBB27_95
; %bb.93:
	v_mov_b32_e32 v4, s0
	s_branch .LBB27_96
.LBB27_94:
	s_mov_b32 s0, -1
.LBB27_95:
	v_add_co_u32 v9, vcc_lo, v4, v20
	v_add_co_ci_u32_e32 v10, vcc_lo, v5, v21, vcc_lo
	flat_load_b32 v11, v[9:10]
	v_add_co_u32 v9, vcc_lo, v6, v20
	v_add_co_ci_u32_e32 v10, vcc_lo, v7, v21, vcc_lo
	v_add_co_u32 v4, vcc_lo, v4, v16
	v_add_co_ci_u32_e32 v5, vcc_lo, v5, v17, vcc_lo
	s_waitcnt vmcnt(0) lgkmcnt(0)
	v_fmac_f32_e32 v8, s15, v11
	global_store_b32 v[9:10], v8, off
	flat_load_b32 v4, v[4:5]
	s_waitcnt vmcnt(0) lgkmcnt(0)
	v_mul_f32_e32 v4, s15, v4
.LBB27_96:
	v_dual_min_f32 v1, v13, v1 :: v_dual_min_f32 v0, v12, v0
	v_dual_min_f32 v2, v14, v2 :: v_dual_min_f32 v3, v15, v3
	s_delay_alu instid0(VALU_DEP_2) | instskip(NEXT) | instid1(VALU_DEP_1)
	v_dual_add_f32 v1, v1, v56 :: v_dual_add_f32 v0, v0, v57
	v_dual_add_f32 v1, v3, v1 :: v_dual_add_f32 v0, v2, v0
	s_delay_alu instid0(VALU_DEP_1) | instskip(NEXT) | instid1(VALU_DEP_1)
	v_add_f32_e32 v0, v0, v1
	v_add_f32_e32 v2, v0, v4
	v_add_co_u32 v0, vcc_lo, v6, v16
	v_add_co_ci_u32_e32 v1, vcc_lo, v7, v17, vcc_lo
	global_store_b32 v[0:1], v2, off
	s_nop 0
	s_sendmsg sendmsg(MSG_DEALLOC_VGPRS)
	s_endpgm
	.section	.rodata,"a",@progbits
	.p2align	6, 0x0
	.amdhsa_kernel _ZN12_GLOBAL__N_120geam_min_plus_kernelIf15HIP_vector_typeIfLj2EES2_Li8ELi32ELi64ELi128ELi4ELi64ELi4ELi4ELi64ELc78ELc78ELb0ELb0ELb0EPKfKS4_KPfEEviiiT16_PT17_ilSA_ilS8_SA_ilPT18_ili26rocblas_geam_ex_operation_
		.amdhsa_group_segment_fixed_size 6144
		.amdhsa_private_segment_fixed_size 0
		.amdhsa_kernarg_size 136
		.amdhsa_user_sgpr_count 14
		.amdhsa_user_sgpr_dispatch_ptr 0
		.amdhsa_user_sgpr_queue_ptr 0
		.amdhsa_user_sgpr_kernarg_segment_ptr 1
		.amdhsa_user_sgpr_dispatch_id 0
		.amdhsa_user_sgpr_private_segment_size 0
		.amdhsa_wavefront_size32 1
		.amdhsa_uses_dynamic_stack 0
		.amdhsa_enable_private_segment 0
		.amdhsa_system_sgpr_workgroup_id_x 1
		.amdhsa_system_sgpr_workgroup_id_y 0
		.amdhsa_system_sgpr_workgroup_id_z 1
		.amdhsa_system_sgpr_workgroup_info 0
		.amdhsa_system_vgpr_workitem_id 1
		.amdhsa_next_free_vgpr 228
		.amdhsa_next_free_sgpr 24
		.amdhsa_reserve_vcc 1
		.amdhsa_float_round_mode_32 0
		.amdhsa_float_round_mode_16_64 0
		.amdhsa_float_denorm_mode_32 3
		.amdhsa_float_denorm_mode_16_64 3
		.amdhsa_dx10_clamp 1
		.amdhsa_ieee_mode 1
		.amdhsa_fp16_overflow 0
		.amdhsa_workgroup_processor_mode 1
		.amdhsa_memory_ordered 1
		.amdhsa_forward_progress 0
		.amdhsa_shared_vgpr_count 0
		.amdhsa_exception_fp_ieee_invalid_op 0
		.amdhsa_exception_fp_denorm_src 0
		.amdhsa_exception_fp_ieee_div_zero 0
		.amdhsa_exception_fp_ieee_overflow 0
		.amdhsa_exception_fp_ieee_underflow 0
		.amdhsa_exception_fp_ieee_inexact 0
		.amdhsa_exception_int_div_zero 0
	.end_amdhsa_kernel
	.section	.text._ZN12_GLOBAL__N_120geam_min_plus_kernelIf15HIP_vector_typeIfLj2EES2_Li8ELi32ELi64ELi128ELi4ELi64ELi4ELi4ELi64ELc78ELc78ELb0ELb0ELb0EPKfKS4_KPfEEviiiT16_PT17_ilSA_ilS8_SA_ilPT18_ili26rocblas_geam_ex_operation_,"axG",@progbits,_ZN12_GLOBAL__N_120geam_min_plus_kernelIf15HIP_vector_typeIfLj2EES2_Li8ELi32ELi64ELi128ELi4ELi64ELi4ELi4ELi64ELc78ELc78ELb0ELb0ELb0EPKfKS4_KPfEEviiiT16_PT17_ilSA_ilS8_SA_ilPT18_ili26rocblas_geam_ex_operation_,comdat
.Lfunc_end27:
	.size	_ZN12_GLOBAL__N_120geam_min_plus_kernelIf15HIP_vector_typeIfLj2EES2_Li8ELi32ELi64ELi128ELi4ELi64ELi4ELi4ELi64ELc78ELc78ELb0ELb0ELb0EPKfKS4_KPfEEviiiT16_PT17_ilSA_ilS8_SA_ilPT18_ili26rocblas_geam_ex_operation_, .Lfunc_end27-_ZN12_GLOBAL__N_120geam_min_plus_kernelIf15HIP_vector_typeIfLj2EES2_Li8ELi32ELi64ELi128ELi4ELi64ELi4ELi4ELi64ELc78ELc78ELb0ELb0ELb0EPKfKS4_KPfEEviiiT16_PT17_ilSA_ilS8_SA_ilPT18_ili26rocblas_geam_ex_operation_
                                        ; -- End function
	.section	.AMDGPU.csdata,"",@progbits
; Kernel info:
; codeLenInByte = 10388
; NumSgprs: 26
; NumVgprs: 228
; ScratchSize: 0
; MemoryBound: 0
; FloatMode: 240
; IeeeMode: 1
; LDSByteSize: 6144 bytes/workgroup (compile time only)
; SGPRBlocks: 3
; VGPRBlocks: 28
; NumSGPRsForWavesPerEU: 26
; NumVGPRsForWavesPerEU: 228
; Occupancy: 6
; WaveLimiterHint : 1
; COMPUTE_PGM_RSRC2:SCRATCH_EN: 0
; COMPUTE_PGM_RSRC2:USER_SGPR: 14
; COMPUTE_PGM_RSRC2:TRAP_HANDLER: 0
; COMPUTE_PGM_RSRC2:TGID_X_EN: 1
; COMPUTE_PGM_RSRC2:TGID_Y_EN: 0
; COMPUTE_PGM_RSRC2:TGID_Z_EN: 1
; COMPUTE_PGM_RSRC2:TIDIG_COMP_CNT: 1
	.section	.text._ZN12_GLOBAL__N_120geam_min_plus_kernelIf15HIP_vector_typeIfLj2EES2_Li8ELi32ELi64ELi128ELi4ELi64ELi4ELi4ELi64ELc78ELc78ELb1ELb0ELb0EfKPKfKPfEEviiiT16_PT17_ilSA_ilS8_SA_ilPT18_ili26rocblas_geam_ex_operation_,"axG",@progbits,_ZN12_GLOBAL__N_120geam_min_plus_kernelIf15HIP_vector_typeIfLj2EES2_Li8ELi32ELi64ELi128ELi4ELi64ELi4ELi4ELi64ELc78ELc78ELb1ELb0ELb0EfKPKfKPfEEviiiT16_PT17_ilSA_ilS8_SA_ilPT18_ili26rocblas_geam_ex_operation_,comdat
	.globl	_ZN12_GLOBAL__N_120geam_min_plus_kernelIf15HIP_vector_typeIfLj2EES2_Li8ELi32ELi64ELi128ELi4ELi64ELi4ELi4ELi64ELc78ELc78ELb1ELb0ELb0EfKPKfKPfEEviiiT16_PT17_ilSA_ilS8_SA_ilPT18_ili26rocblas_geam_ex_operation_ ; -- Begin function _ZN12_GLOBAL__N_120geam_min_plus_kernelIf15HIP_vector_typeIfLj2EES2_Li8ELi32ELi64ELi128ELi4ELi64ELi4ELi4ELi64ELc78ELc78ELb1ELb0ELb0EfKPKfKPfEEviiiT16_PT17_ilSA_ilS8_SA_ilPT18_ili26rocblas_geam_ex_operation_
	.p2align	8
	.type	_ZN12_GLOBAL__N_120geam_min_plus_kernelIf15HIP_vector_typeIfLj2EES2_Li8ELi32ELi64ELi128ELi4ELi64ELi4ELi4ELi64ELc78ELc78ELb1ELb0ELb0EfKPKfKPfEEviiiT16_PT17_ilSA_ilS8_SA_ilPT18_ili26rocblas_geam_ex_operation_,@function
_ZN12_GLOBAL__N_120geam_min_plus_kernelIf15HIP_vector_typeIfLj2EES2_Li8ELi32ELi64ELi128ELi4ELi64ELi4ELi4ELi64ELc78ELc78ELb1ELb0ELb0EfKPKfKPfEEviiiT16_PT17_ilSA_ilS8_SA_ilPT18_ili26rocblas_geam_ex_operation_: ; @_ZN12_GLOBAL__N_120geam_min_plus_kernelIf15HIP_vector_typeIfLj2EES2_Li8ELi32ELi64ELi128ELi4ELi64ELi4ELi4ELi64ELc78ELc78ELb1ELb0ELb0EfKPKfKPfEEviiiT16_PT17_ilSA_ilS8_SA_ilPT18_ili26rocblas_geam_ex_operation_
; %bb.0:
	s_clause 0x1
	s_load_b64 s[8:9], s[0:1], 0x8
	s_load_b128 s[4:7], s[0:1], 0x20
	s_mov_b32 s16, s15
	s_mov_b32 s17, 0
	s_waitcnt lgkmcnt(0)
	v_cmp_eq_f32_e64 s2, s9, 0
	s_delay_alu instid0(VALU_DEP_1)
	s_and_b32 vcc_lo, exec_lo, s2
	s_cbranch_vccnz .LBB28_3
; %bb.1:
	s_load_b64 s[10:11], s[0:1], 0x10
	s_lshl_b64 s[12:13], s[16:17], 3
	s_waitcnt lgkmcnt(0)
	s_add_u32 s10, s10, s12
	s_addc_u32 s11, s11, s13
	s_lshl_b64 s[4:5], s[4:5], 2
	s_load_b64 s[10:11], s[10:11], 0x0
	s_waitcnt lgkmcnt(0)
	s_add_u32 s10, s10, s4
	s_addc_u32 s11, s11, s5
	s_and_not1_b32 vcc_lo, exec_lo, s2
	s_cbranch_vccnz .LBB28_4
.LBB28_2:
	s_mov_b64 s[12:13], 0
	s_and_not1_b32 vcc_lo, exec_lo, s17
	s_cbranch_vccz .LBB28_5
	s_branch .LBB28_6
.LBB28_3:
	s_mov_b64 s[10:11], 0
	s_and_not1_b32 vcc_lo, exec_lo, s2
	s_cbranch_vccz .LBB28_2
.LBB28_4:
	s_mov_b32 s17, -1
                                        ; implicit-def: $sgpr12_sgpr13
.LBB28_5:
	s_mov_b32 s17, 0
	s_load_b64 s[4:5], s[0:1], 0x38
	s_lshl_b64 s[2:3], s[16:17], 3
	s_delay_alu instid0(SALU_CYCLE_1) | instskip(SKIP_4) | instid1(SALU_CYCLE_1)
	s_add_u32 s2, s6, s2
	s_addc_u32 s3, s7, s3
	s_load_b64 s[2:3], s[2:3], 0x0
	s_waitcnt lgkmcnt(0)
	s_lshl_b64 s[4:5], s[4:5], 2
	s_add_u32 s12, s2, s4
	s_addc_u32 s13, s3, s5
.LBB28_6:
	s_clause 0x1
	s_load_b32 s15, s[0:1], 0x40
	s_load_b128 s[4:7], s[0:1], 0x58
	s_waitcnt lgkmcnt(0)
	v_cmp_eq_f32_e64 s2, s15, 0
	s_delay_alu instid0(VALU_DEP_1) | instskip(NEXT) | instid1(SALU_CYCLE_1)
	s_and_b32 s2, exec_lo, s2
	s_mov_b32 vcc_lo, s2
	s_cbranch_vccnz .LBB28_8
; %bb.7:
	s_load_b64 s[18:19], s[0:1], 0x48
	s_lshl_b64 s[20:21], s[16:17], 3
	s_waitcnt lgkmcnt(0)
	s_add_u32 s18, s18, s20
	s_addc_u32 s19, s19, s21
	s_lshl_b64 s[4:5], s[4:5], 2
	s_load_b64 s[18:19], s[18:19], 0x0
	s_waitcnt lgkmcnt(0)
	s_add_u32 s4, s18, s4
	s_addc_u32 s5, s19, s5
	s_branch .LBB28_9
.LBB28_8:
	s_mov_b64 s[4:5], 0
.LBB28_9:
	s_load_b32 s3, s[0:1], 0x0
	s_lshl_b64 s[18:19], s[16:17], 3
	v_and_b32_e32 v67, 0x3ff, v0
	s_add_u32 s6, s6, s18
	s_addc_u32 s7, s7, s19
	v_bfe_u32 v69, v0, 10, 10
	s_clause 0x1
	s_load_b32 s16, s[0:1], 0x18
	s_load_b32 s9, s[0:1], 0x30
	v_lshlrev_b32_e32 v74, 4, v67
	v_lshl_add_u32 v0, v69, 3, v67
	v_lshlrev_b32_e32 v72, 4, v69
	s_delay_alu instid0(VALU_DEP_2) | instskip(SKIP_4) | instid1(VALU_DEP_2)
	v_lshrrev_b32_e32 v16, 2, v0
	v_lshrrev_b32_e32 v6, 6, v0
	v_and_b32_e32 v15, 63, v0
	s_waitcnt lgkmcnt(0)
	s_add_i32 s3, s3, -1
	v_add_nc_u32_e32 v17, 4, v6
	s_ashr_i32 s17, s3, 31
	s_delay_alu instid0(SALU_CYCLE_1) | instskip(NEXT) | instid1(VALU_DEP_1)
	s_lshr_b32 s17, s17, 26
	v_mad_i64_i32 v[13:14], null, s16, v17, 0
	s_add_i32 s3, s3, s17
	s_delay_alu instid0(SALU_CYCLE_1) | instskip(NEXT) | instid1(SALU_CYCLE_1)
	s_ashr_i32 s3, s3, 6
	s_add_i32 s17, s3, 1
	s_not_b32 s3, s3
	v_cvt_f32_u32_e32 v1, s17
	s_delay_alu instid0(VALU_DEP_1) | instskip(SKIP_2) | instid1(VALU_DEP_1)
	v_rcp_iflag_f32_e32 v1, v1
	s_waitcnt_depctr 0xfff
	v_mul_f32_e32 v1, 0x4f7ffffe, v1
	v_cvt_u32_f32_e32 v1, v1
	s_delay_alu instid0(VALU_DEP_1) | instskip(SKIP_1) | instid1(VALU_DEP_2)
	v_readfirstlane_b32 s18, v1
	v_and_b32_e32 v1, 3, v67
	s_mul_i32 s3, s3, s18
	s_delay_alu instid0(VALU_DEP_1) | instskip(SKIP_3) | instid1(VALU_DEP_2)
	v_lshlrev_b32_e32 v80, 2, v1
	s_mul_hi_u32 s3, s18, s3
	v_mad_i64_i32 v[0:1], null, s16, v6, 0
	s_add_i32 s18, s18, s3
	v_lshl_or_b32 v85, v16, 4, v80
	s_mul_hi_u32 s3, s14, s18
	s_delay_alu instid0(SALU_CYCLE_1) | instskip(SKIP_2) | instid1(VALU_DEP_2)
	s_mul_i32 s18, s3, s17
	s_add_i32 s19, s3, 1
	s_sub_i32 s18, s14, s18
	v_lshlrev_b64 v[7:8], 2, v[0:1]
	s_sub_i32 s20, s18, s17
	s_cmp_ge_u32 s18, s17
	s_cselect_b32 s3, s19, s3
	s_cselect_b32 s18, s20, s18
	s_add_i32 s19, s3, 1
	s_cmp_ge_u32 s18, s17
	v_add_co_u32 v7, vcc_lo, s10, v7
	s_cselect_b32 s3, s19, s3
	v_add_co_ci_u32_e32 v8, vcc_lo, s11, v8, vcc_lo
	s_lshl_b32 s18, s3, 7
	s_mul_i32 s17, s3, s17
	v_add_nc_u32_e32 v4, s18, v16
	s_sub_i32 s3, s14, s17
	v_add_co_u32 v11, s14, s12, v80
	s_lshl_b32 s3, s3, 6
	s_delay_alu instid0(VALU_DEP_2) | instskip(SKIP_4) | instid1(VALU_DEP_3)
	v_mad_i64_i32 v[2:3], null, v4, s9, 0
	v_add_nc_u32_e32 v5, 64, v4
	v_or_b32_e32 v4, s3, v15
	v_add_co_ci_u32_e64 v12, null, s13, 0, s14
	s_cmp_lt_i32 s8, 9
	v_mad_i64_i32 v[9:10], null, v5, s9, 0
	s_delay_alu instid0(VALU_DEP_3) | instskip(SKIP_1) | instid1(VALU_DEP_2)
	v_ashrrev_i32_e32 v5, 31, v4
	v_lshlrev_b64 v[0:1], 2, v[2:3]
	v_lshlrev_b64 v[4:5], 2, v[4:5]
	s_delay_alu instid0(VALU_DEP_4) | instskip(NEXT) | instid1(VALU_DEP_3)
	v_lshlrev_b64 v[2:3], 2, v[9:10]
	v_add_co_u32 v9, vcc_lo, v11, v0
	s_delay_alu instid0(VALU_DEP_4) | instskip(NEXT) | instid1(VALU_DEP_4)
	v_add_co_ci_u32_e32 v10, vcc_lo, v12, v1, vcc_lo
	v_add_co_u32 v7, vcc_lo, v7, v4
	v_add_co_ci_u32_e32 v8, vcc_lo, v8, v5, vcc_lo
	v_add_co_u32 v11, vcc_lo, v11, v2
	v_add_co_ci_u32_e32 v12, vcc_lo, v12, v3, vcc_lo
	flat_load_b32 v17, v[9:10]
	flat_load_b32 v18, v[7:8]
	;; [unrolled: 1-line block ×3, first 2 shown]
	v_lshlrev_b64 v[7:8], 2, v[13:14]
	s_load_b64 s[6:7], s[6:7], 0x0
	s_delay_alu instid0(VALU_DEP_1) | instskip(NEXT) | instid1(VALU_DEP_2)
	v_add_co_u32 v7, vcc_lo, s10, v7
	v_add_co_ci_u32_e32 v8, vcc_lo, s11, v8, vcc_lo
	s_delay_alu instid0(VALU_DEP_2) | instskip(NEXT) | instid1(VALU_DEP_2)
	v_add_co_u32 v7, vcc_lo, v7, v4
	v_add_co_ci_u32_e32 v8, vcc_lo, v8, v5, vcc_lo
	flat_load_b32 v58, v[7:8]
	s_clause 0x1
	flat_load_b32 v8, v[11:12] offset:16
	flat_load_b32 v9, v[9:10] offset:16
	v_lshlrev_b32_e32 v7, 4, v15
	s_delay_alu instid0(VALU_DEP_1)
	v_lshl_add_u32 v7, v6, 2, v7
	s_waitcnt vmcnt(4) lgkmcnt(0)
	ds_store_b32 v7, v18 offset:4096
	s_waitcnt vmcnt(3)
	ds_store_2addr_stride64_b32 v85, v17, v19 offset1:4
	s_waitcnt vmcnt(0) lgkmcnt(0)
	s_barrier
	buffer_gl0_inv
	ds_load_b128 v[10:13], v72
	ds_load_b128 v[14:17], v74 offset:4096
	ds_load_b128 v[18:21], v74 offset:4224
	;; [unrolled: 1-line block ×11, first 2 shown]
	s_waitcnt lgkmcnt(11)
	v_max_f32_e32 v10, v10, v10
	s_waitcnt lgkmcnt(10)
	v_dual_max_f32 v14, v14, v14 :: v_dual_max_f32 v11, v11, v11
	s_waitcnt lgkmcnt(7)
	v_dual_max_f32 v15, v15, v15 :: v_dual_max_f32 v26, v26, v26
	v_dual_max_f32 v18, v18, v18 :: v_dual_max_f32 v19, v19, v19
	s_waitcnt lgkmcnt(6)
	v_max_f32_e32 v30, v30, v30
	v_dual_max_f32 v22, v22, v22 :: v_dual_max_f32 v23, v23, v23
	s_waitcnt lgkmcnt(5)
	v_dual_max_f32 v34, v34, v34 :: v_dual_max_f32 v27, v27, v27
	s_waitcnt lgkmcnt(4)
	;; [unrolled: 2-line block ×6, first 2 shown]
	v_dual_max_f32 v54, v54, v54 :: v_dual_max_f32 v47, v47, v47
	v_dual_max_f32 v16, v16, v16 :: v_dual_max_f32 v51, v51, v51
	;; [unrolled: 1-line block ×3, first 2 shown]
	v_max_f32_e32 v24, v24, v24
	ds_store_b32 v7, v58 offset:5120
	v_dual_max_f32 v12, v12, v12 :: v_dual_max_f32 v13, v13, v13
	v_dual_max_f32 v17, v17, v17 :: v_dual_max_f32 v28, v28, v28
	;; [unrolled: 1-line block ×9, first 2 shown]
	v_dual_max_f32 v49, v49, v49 :: v_dual_min_f32 v58, v14, v10
	v_dual_max_f32 v53, v53, v53 :: v_dual_min_f32 v60, v18, v10
	;; [unrolled: 1-line block ×3, first 2 shown]
	v_dual_min_f32 v59, v15, v11 :: v_dual_min_f32 v64, v26, v10
	v_dual_min_f32 v61, v19, v11 :: v_dual_min_f32 v66, v30, v10
	;; [unrolled: 1-line block ×3, first 2 shown]
	v_min_f32_e32 v65, v27, v11
	v_dual_min_f32 v68, v31, v11 :: v_dual_min_f32 v73, v38, v10
	v_dual_min_f32 v71, v35, v11 :: v_dual_min_f32 v76, v14, v46
	;; [unrolled: 1-line block ×4, first 2 shown]
	v_min_f32_e32 v82, v34, v46
	v_min_f32_e32 v77, v18, v46
	v_dual_min_f32 v79, v26, v46 :: v_dual_min_f32 v92, v19, v47
	v_dual_min_f32 v81, v30, v46 :: v_dual_min_f32 v94, v27, v47
	;; [unrolled: 1-line block ×7, first 2 shown]
	v_min_f32_e32 v88, v26, v50
	v_dual_min_f32 v89, v30, v50 :: v_dual_min_f32 v100, v23, v51
	v_dual_min_f32 v90, v34, v50 :: v_dual_min_f32 v99, v19, v51
	v_dual_min_f32 v91, v38, v50 :: v_dual_min_f32 v102, v31, v51
	v_dual_min_f32 v50, v42, v50 :: v_dual_min_f32 v101, v27, v51
	v_dual_min_f32 v14, v14, v54 :: v_dual_min_f32 v103, v35, v51
	v_min_f32_e32 v18, v18, v54
	v_min_f32_e32 v22, v22, v54
	v_dual_min_f32 v26, v26, v54 :: v_dual_min_f32 v19, v19, v55
	v_dual_min_f32 v30, v30, v54 :: v_dual_min_f32 v23, v23, v55
	;; [unrolled: 1-line block ×5, first 2 shown]
	v_min_f32_e32 v54, v15, v47
	v_min_f32_e32 v47, v43, v47
	;; [unrolled: 1-line block ×5, first 2 shown]
	v_dual_min_f32 v39, v39, v55 :: v_dual_min_f32 v106, v24, v12
	v_dual_min_f32 v43, v43, v55 :: v_dual_min_f32 v108, v32, v12
	v_min_f32_e32 v55, v16, v12
	v_min_f32_e32 v105, v20, v12
	v_dual_min_f32 v107, v28, v12 :: v_dual_min_f32 v112, v21, v13
	v_dual_min_f32 v109, v36, v12 :: v_dual_min_f32 v114, v29, v13
	;; [unrolled: 1-line block ×7, first 2 shown]
	v_min_f32_e32 v126, v28, v48
	v_dual_min_f32 v127, v32, v48 :: v_dual_min_f32 v146, v29, v49
	v_dual_min_f32 v130, v36, v48 :: v_dual_min_f32 v143, v17, v49
	;; [unrolled: 1-line block ×13, first 2 shown]
	v_min_f32_e32 v20, v20, v56
	v_min_f32_e32 v24, v24, v56
	v_dual_min_f32 v28, v28, v56 :: v_dual_min_f32 v21, v21, v57
	v_dual_min_f32 v32, v32, v56 :: v_dual_min_f32 v25, v25, v57
	;; [unrolled: 1-line block ×5, first 2 shown]
	v_min_f32_e32 v56, v17, v13
	v_min_f32_e32 v13, v45, v13
	;; [unrolled: 1-line block ×5, first 2 shown]
	v_dual_min_f32 v41, v41, v57 :: v_dual_add_f32 v58, 0, v58
	v_dual_min_f32 v45, v45, v57 :: v_dual_add_f32 v60, 0, v60
	v_add_f32_e32 v57, 0, v59
	v_dual_add_f32 v59, 0, v61 :: v_dual_add_f32 v62, 0, v62
	v_dual_add_f32 v61, 0, v63 :: v_dual_add_f32 v64, 0, v64
	;; [unrolled: 1-line block ×7, first 2 shown]
	v_add_f32_e32 v75, 0, v76
	v_dual_add_f32 v76, 0, v92 :: v_dual_add_f32 v77, 0, v77
	v_add_f32_e32 v92, 0, v93
	v_dual_add_f32 v78, 0, v78 :: v_dual_add_f32 v79, 0, v79
	v_dual_add_f32 v93, 0, v94 :: v_dual_add_f32 v94, 0, v95
	;; [unrolled: 1-line block ×25, first 2 shown]
	v_add_f32_e32 v123, v107, v64
	v_dual_add_f32 v120, v115, v65 :: v_dual_add_f32 v121, v108, v66
	v_dual_add_f32 v118, v116, v68 :: v_dual_add_f32 v119, v109, v70
	;; [unrolled: 1-line block ×4, first 2 shown]
	v_add_f32_e32 v108, v145, v92
	v_add_f32_e32 v112, v143, v54
	v_dual_add_f32 v113, v111, v75 :: v_dual_add_f32 v110, v144, v76
	v_add_f32_e32 v111, v124, v77
	v_dual_add_f32 v109, v125, v78 :: v_dual_add_f32 v106, v146, v93
	v_dual_add_f32 v107, v126, v79 :: v_dual_add_f32 v104, v147, v94
	v_dual_add_f32 v105, v127, v81 :: v_dual_add_f32 v102, v148, v95
	v_dual_add_f32 v103, v130, v82 :: v_dual_add_f32 v100, v149, v96
	v_dual_add_f32 v101, v131, v83 :: v_dual_add_f32 v96, v150, v97
	v_dual_add_f32 v98, v49, v47 :: v_dual_add_f32 v99, v48, v46
	v_dual_add_f32 v97, v132, v84 :: v_dual_add_f32 v94, v151, v157
	v_add_f32_e32 v95, v133, v86
	v_dual_add_f32 v92, v152, v158 :: v_dual_add_f32 v93, v134, v87
	v_dual_add_f32 v90, v153, v159 :: v_dual_add_f32 v91, v135, v88
	;; [unrolled: 1-line block ×3, first 2 shown]
	v_add_f32_e32 v84, v142, v164
	v_dual_add_f32 v86, v155, v161 :: v_dual_add_f32 v87, v137, v162
	v_add_f32_e32 v83, v156, v163
	v_dual_add_f32 v81, v53, v51 :: v_dual_add_f32 v82, v52, v50
	v_dual_add_f32 v78, v17, v15 :: v_dual_add_f32 v79, v16, v14
	;; [unrolled: 1-line block ×9, first 2 shown]
	ds_store_2addr_stride64_b32 v85, v9, v8 offset0:8 offset1:12
	s_waitcnt lgkmcnt(0)
	s_barrier
	buffer_gl0_inv
	s_cbranch_scc1 .LBB28_12
; %bb.10:
	v_or_b32_e32 v124, 0x1000, v7
	v_add_nc_u32_e32 v126, 0x1400, v7
	v_add_nc_u32_e32 v7, 8, v6
	;; [unrolled: 1-line block ×3, first 2 shown]
	v_add_co_u32 v130, vcc_lo, s10, v4
	v_add_co_ci_u32_e32 v131, vcc_lo, s11, v5, vcc_lo
	s_delay_alu instid0(VALU_DEP_4) | instskip(NEXT) | instid1(VALU_DEP_4)
	v_mad_i64_i32 v[4:5], null, v7, s16, 0
	v_mad_i64_i32 v[6:7], null, v8, s16, 0
	v_add_co_u32 v134, vcc_lo, s12, v2
	v_add_co_ci_u32_e32 v135, vcc_lo, s13, v3, vcc_lo
	v_add_co_u32 v136, vcc_lo, s12, v0
	v_lshlrev_b64 v[48:49], 2, v[4:5]
	v_lshlrev_b64 v[50:51], 2, v[6:7]
	v_add_nc_u32_e32 v125, 0x1000, v74
	v_add_nc_u32_e32 v127, 0x800, v85
	v_lshl_add_u32 v132, v67, 4, 0x1400
	v_lshl_add_u32 v133, v69, 4, 0x800
	v_add_co_ci_u32_e32 v137, vcc_lo, s13, v1, vcc_lo
	s_ashr_i32 s17, s16, 31
	s_add_i32 s10, s8, -8
	s_lshl_b64 s[8:9], s[16:17], 5
	s_mov_b32 s11, 0
.LBB28_11:                              ; =>This Inner Loop Header: Depth=1
	v_add_co_u32 v52, vcc_lo, v130, v48
	v_add_co_ci_u32_e32 v53, vcc_lo, v131, v49, vcc_lo
	v_add_co_u32 v54, vcc_lo, v136, v80
	v_add_co_ci_u32_e32 v55, vcc_lo, 0, v137, vcc_lo
	;; [unrolled: 2-line block ×3, first 2 shown]
	ds_load_b128 v[40:43], v132
	ds_load_b128 v[36:39], v132 offset:128
	ds_load_b128 v[32:35], v132 offset:256
	;; [unrolled: 1-line block ×7, first 2 shown]
	ds_load_b128 v[44:47], v133
	ds_load_b128 v[16:19], v133 offset:512
	ds_load_b128 v[4:7], v133 offset:1024
	;; [unrolled: 1-line block ×3, first 2 shown]
	flat_load_b32 v52, v[52:53]
	flat_load_b32 v53, v[54:55] offset:32
	flat_load_b32 v142, v[56:57] offset:32
	v_add_co_u32 v58, vcc_lo, v130, v50
	v_add_co_ci_u32_e32 v59, vcc_lo, v131, v51, vcc_lo
	v_add_co_u32 v134, vcc_lo, v134, 32
	v_add_co_ci_u32_e32 v135, vcc_lo, 0, v135, vcc_lo
	s_waitcnt lgkmcnt(14)
	v_dual_max_f32 v40, v40, v40 :: v_dual_max_f32 v41, v41, v41
	s_waitcnt lgkmcnt(13)
	v_dual_max_f32 v36, v36, v36 :: v_dual_max_f32 v37, v37, v37
	;; [unrolled: 2-line block ×5, first 2 shown]
	v_dual_max_f32 v20, v20, v20 :: v_dual_max_f32 v21, v21, v21
	v_dual_max_f32 v8, v8, v8 :: v_dual_max_f32 v9, v9, v9
	;; [unrolled: 1-line block ×4, first 2 shown]
	s_waitcnt lgkmcnt(5)
	v_dual_max_f32 v16, v16, v16 :: v_dual_max_f32 v17, v17, v17
	s_waitcnt lgkmcnt(4)
	v_dual_max_f32 v4, v4, v4 :: v_dual_max_f32 v5, v5, v5
	;; [unrolled: 2-line block ×3, first 2 shown]
	v_dual_max_f32 v46, v46, v46 :: v_dual_max_f32 v47, v47, v47
	v_dual_max_f32 v42, v42, v42 :: v_dual_max_f32 v43, v43, v43
	;; [unrolled: 1-line block ×12, first 2 shown]
	v_dual_min_f32 v143, v40, v44 :: v_dual_min_f32 v144, v41, v45
	v_dual_min_f32 v145, v36, v44 :: v_dual_min_f32 v146, v37, v45
	;; [unrolled: 1-line block ×12, first 2 shown]
	v_min_f32_e32 v165, v20, v16
	v_dual_min_f32 v166, v8, v16 :: v_dual_min_f32 v175, v9, v17
	v_dual_min_f32 v167, v24, v16 :: v_dual_min_f32 v176, v25, v17
	v_min_f32_e32 v16, v12, v16
	v_dual_min_f32 v168, v40, v4 :: v_dual_min_f32 v177, v41, v5
	v_dual_min_f32 v169, v36, v4 :: v_dual_min_f32 v178, v37, v5
	;; [unrolled: 1-line block ×12, first 2 shown]
	v_min_f32_e32 v20, v20, v0
	v_dual_min_f32 v8, v8, v0 :: v_dual_min_f32 v9, v9, v1
	v_dual_min_f32 v24, v24, v0 :: v_dual_min_f32 v25, v25, v1
	v_min_f32_e32 v0, v12, v0
	v_min_f32_e32 v12, v21, v17
	;; [unrolled: 1-line block ×6, first 2 shown]
	v_dual_min_f32 v184, v38, v46 :: v_dual_min_f32 v205, v35, v47
	v_dual_min_f32 v185, v34, v46 :: v_dual_min_f32 v204, v39, v47
	;; [unrolled: 1-line block ×6, first 2 shown]
	v_min_f32_e32 v46, v14, v46
	v_dual_min_f32 v190, v42, v18 :: v_dual_min_f32 v211, v39, v19
	v_dual_min_f32 v191, v38, v18 :: v_dual_min_f32 v210, v43, v19
	;; [unrolled: 1-line block ×6, first 2 shown]
	v_min_f32_e32 v196, v26, v18
	v_dual_min_f32 v18, v14, v18 :: v_dual_min_f32 v217, v43, v7
	v_dual_min_f32 v197, v42, v6 :: v_dual_min_f32 v216, v27, v19
	;; [unrolled: 1-line block ×9, first 2 shown]
	v_min_f32_e32 v42, v42, v2
	v_dual_min_f32 v38, v38, v2 :: v_dual_min_f32 v39, v39, v3
	v_dual_min_f32 v34, v34, v2 :: v_dual_min_f32 v35, v35, v3
	;; [unrolled: 1-line block ×6, first 2 shown]
	v_min_f32_e32 v2, v14, v2
	v_min_f32_e32 v14, v43, v47
	;; [unrolled: 1-line block ×6, first 2 shown]
	v_dual_add_f32 v15, v143, v141 :: v_dual_add_f32 v140, v144, v140
	v_dual_add_f32 v139, v145, v139 :: v_dual_add_f32 v138, v146, v138
	;; [unrolled: 1-line block ×13, first 2 shown]
	v_add_f32_e32 v81, v210, v112
	v_dual_add_f32 v82, v190, v113 :: v_dual_add_f32 v107, v193, v107
	v_dual_add_f32 v112, v7, v5 :: v_dual_add_f32 v113, v6, v4
	;; [unrolled: 1-line block ×24, first 2 shown]
	v_add_f32_e32 v108, v192, v109
	v_dual_add_f32 v106, v213, v106 :: v_dual_add_f32 v109, v214, v12
	v_dual_add_f32 v110, v19, v17 :: v_dual_add_f32 v111, v18, v16
	;; [unrolled: 1-line block ×25, first 2 shown]
	v_add_co_u32 v136, vcc_lo, v136, 32
	v_add_co_ci_u32_e32 v137, vcc_lo, 0, v137, vcc_lo
	v_add_co_u32 v130, vcc_lo, v130, s8
	v_add_co_ci_u32_e32 v131, vcc_lo, s9, v131, vcc_lo
	s_waitcnt vmcnt(2) lgkmcnt(2)
	ds_store_b32 v124, v52
	s_waitcnt vmcnt(0) lgkmcnt(1)
	ds_store_2addr_stride64_b32 v85, v53, v142 offset1:4
	s_waitcnt lgkmcnt(0)
	s_barrier
	buffer_gl0_inv
	ds_load_b128 v[0:3], v72
	ds_load_b128 v[4:7], v125
	ds_load_b128 v[8:11], v125 offset:128
	flat_load_b32 v52, v[58:59]
	flat_load_b32 v53, v[54:55] offset:48
	flat_load_b32 v54, v[56:57] offset:48
	ds_load_b128 v[12:15], v125 offset:256
	ds_load_b128 v[16:19], v125 offset:384
	;; [unrolled: 1-line block ×9, first 2 shown]
	v_add_f32_e32 v83, v223, v83
	v_add_f32_e32 v84, v203, v84
	s_add_i32 s11, s11, 8
	s_waitcnt vmcnt(2) lgkmcnt(11)
	ds_store_b32 v126, v52
	s_waitcnt vmcnt(0) lgkmcnt(10)
	ds_store_2addr_stride64_b32 v127, v53, v54 offset1:4
	v_dual_max_f32 v1, v1, v1 :: v_dual_max_f32 v0, v0, v0
	v_dual_max_f32 v4, v4, v4 :: v_dual_max_f32 v5, v5, v5
	;; [unrolled: 1-line block ×3, first 2 shown]
	s_waitcnt lgkmcnt(10)
	v_dual_max_f32 v12, v12, v12 :: v_dual_max_f32 v13, v13, v13
	s_waitcnt lgkmcnt(9)
	v_dual_max_f32 v16, v16, v16 :: v_dual_max_f32 v17, v17, v17
	;; [unrolled: 2-line block ×9, first 2 shown]
	v_dual_max_f32 v2, v2, v2 :: v_dual_max_f32 v3, v3, v3
	v_dual_max_f32 v6, v6, v6 :: v_dual_max_f32 v7, v7, v7
	;; [unrolled: 1-line block ×12, first 2 shown]
	v_dual_min_f32 v55, v4, v0 :: v_dual_min_f32 v56, v5, v1
	v_dual_min_f32 v57, v8, v0 :: v_dual_min_f32 v58, v9, v1
	;; [unrolled: 1-line block ×10, first 2 shown]
	v_min_f32_e32 v155, v12, v36
	v_dual_min_f32 v156, v16, v36 :: v_dual_min_f32 v167, v17, v37
	v_dual_min_f32 v157, v20, v36 :: v_dual_min_f32 v168, v21, v37
	;; [unrolled: 1-line block ×4, first 2 shown]
	v_min_f32_e32 v36, v32, v36
	v_dual_min_f32 v160, v4, v40 :: v_dual_min_f32 v171, v5, v41
	v_dual_min_f32 v161, v8, v40 :: v_dual_min_f32 v172, v9, v41
	;; [unrolled: 1-line block ×10, first 2 shown]
	v_min_f32_e32 v12, v12, v44
	v_dual_min_f32 v16, v16, v44 :: v_dual_min_f32 v17, v17, v45
	v_dual_min_f32 v20, v20, v44 :: v_dual_min_f32 v21, v21, v45
	;; [unrolled: 1-line block ×4, first 2 shown]
	v_min_f32_e32 v32, v32, v44
	v_min_f32_e32 v44, v13, v37
	;; [unrolled: 1-line block ×6, first 2 shown]
	v_dual_min_f32 v178, v10, v2 :: v_dual_min_f32 v199, v15, v3
	v_dual_min_f32 v179, v14, v2 :: v_dual_min_f32 v198, v11, v3
	;; [unrolled: 1-line block ×6, first 2 shown]
	v_min_f32_e32 v2, v34, v2
	v_dual_min_f32 v184, v6, v38 :: v_dual_min_f32 v205, v11, v39
	v_dual_min_f32 v185, v10, v38 :: v_dual_min_f32 v204, v7, v39
	;; [unrolled: 1-line block ×6, first 2 shown]
	v_min_f32_e32 v190, v30, v38
	v_dual_min_f32 v38, v34, v38 :: v_dual_min_f32 v211, v7, v43
	v_dual_min_f32 v191, v6, v42 :: v_dual_min_f32 v210, v31, v39
	;; [unrolled: 1-line block ×9, first 2 shown]
	v_min_f32_e32 v6, v6, v46
	v_dual_min_f32 v10, v10, v46 :: v_dual_min_f32 v11, v11, v47
	v_dual_min_f32 v14, v14, v46 :: v_dual_min_f32 v15, v15, v47
	;; [unrolled: 1-line block ×6, first 2 shown]
	v_min_f32_e32 v34, v34, v46
	v_min_f32_e32 v46, v7, v3
	;; [unrolled: 1-line block ×6, first 2 shown]
	v_add_f32_e32 v47, v55, v61
	v_dual_add_f32 v55, v56, v60 :: v_dual_add_f32 v56, v57, v63
	v_dual_add_f32 v57, v58, v62 :: v_dual_add_f32 v60, v143, v68
	;; [unrolled: 1-line block ×5, first 2 shown]
	v_add_f32_e32 v66, v149, v77
	v_dual_add_f32 v65, v148, v73 :: v_dual_add_f32 v68, v150, v76
	v_dual_add_f32 v0, v0, v79 :: v_dual_add_f32 v1, v1, v78
	;; [unrolled: 1-line block ×58, first 2 shown]
	s_cmp_ge_i32 s11, s10
	s_waitcnt lgkmcnt(0)
	s_barrier
	buffer_gl0_inv
	s_cbranch_scc0 .LBB28_11
.LBB28_12:
	s_load_b32 s8, s[0:1], 0x50
	v_add_nc_u32_e32 v48, s18, v69
	ds_load_b128 v[0:3], v74 offset:5120
	ds_load_b128 v[40:43], v72 offset:2048
	v_add_nc_u32_e32 v46, s3, v67
	v_cmp_neq_f32_e64 s9, s15, 0
	v_mov_b32_e32 v52, 0
	v_mov_b32_e32 v50, 0
	s_delay_alu instid0(VALU_DEP_4) | instskip(NEXT) | instid1(VALU_DEP_4)
	v_ashrrev_i32_e32 v47, 31, v46
	s_and_b32 vcc_lo, exec_lo, s9
	s_delay_alu instid0(VALU_DEP_1) | instskip(SKIP_2) | instid1(VALU_DEP_1)
	v_lshlrev_b64 v[44:45], 2, v[46:47]
	s_waitcnt lgkmcnt(0)
	v_mad_i64_i32 v[4:5], null, v48, s8, 0
	v_lshlrev_b64 v[4:5], 2, v[4:5]
	s_delay_alu instid0(VALU_DEP_1) | instskip(NEXT) | instid1(VALU_DEP_1)
	v_add_co_u32 v80, s3, s4, v4
	v_add_co_ci_u32_e64 v85, s3, s5, v5, s3
	s_cbranch_vccz .LBB28_14
; %bb.13:
	s_delay_alu instid0(VALU_DEP_2) | instskip(NEXT) | instid1(VALU_DEP_2)
	v_add_co_u32 v4, vcc_lo, v80, v44
	v_add_co_ci_u32_e32 v5, vcc_lo, v85, v45, vcc_lo
	flat_load_b32 v4, v[4:5]
	s_waitcnt vmcnt(0) lgkmcnt(0)
	v_mul_f32_e32 v50, s15, v4
.LBB28_14:
	ds_load_b128 v[36:39], v74 offset:5248
	ds_load_b128 v[32:35], v74 offset:5376
	;; [unrolled: 1-line block ×4, first 2 shown]
	s_clause 0x1
	s_load_b32 s3, s[0:1], 0x68
	s_load_b64 s[0:1], s[0:1], 0x70
	v_dual_max_f32 v124, v40, v40 :: v_dual_max_f32 v125, v41, v41
	v_max_f32_e32 v47, v0, v0
	ds_load_b128 v[20:23], v74 offset:5760
	ds_load_b128 v[16:19], v74 offset:5888
	;; [unrolled: 1-line block ×3, first 2 shown]
	v_dual_max_f32 v74, v43, v43 :: v_dual_max_f32 v49, v1, v1
	v_min_f32_e32 v0, v47, v124
	v_dual_max_f32 v43, v3, v3 :: v_dual_max_f32 v126, v42, v42
	s_delay_alu instid0(VALU_DEP_3) | instskip(NEXT) | instid1(VALU_DEP_2)
	v_dual_max_f32 v42, v2, v2 :: v_dual_min_f32 v1, v49, v125
	v_dual_add_f32 v51, v0, v141 :: v_dual_min_f32 v54, v43, v74
	ds_load_b128 v[8:11], v72 offset:2560
	ds_load_b128 v[4:7], v72 offset:3072
	v_min_f32_e32 v55, v42, v126
	v_add_f32_e32 v53, v1, v140
	ds_load_b128 v[0:3], v72 offset:3584
	s_waitcnt lgkmcnt(0)
	v_mad_i64_i32 v[40:41], null, v48, s3, 0
	v_dual_add_f32 v51, v55, v51 :: v_dual_add_f32 v56, v54, v53
	v_add_nc_u32_e32 v53, 8, v46
	s_lshl_b64 s[10:11], s[0:1], 2
	v_cndmask_b32_e64 v55, 0, 1, s9
	s_add_u32 s1, s6, s10
	s_delay_alu instid0(VALU_DEP_4) | instskip(SKIP_4) | instid1(VALU_DEP_4)
	v_lshlrev_b64 v[40:41], 2, v[40:41]
	s_addc_u32 s6, s7, s11
	v_add_f32_e32 v51, v51, v56
	v_ashrrev_i32_e32 v54, 31, v53
	v_cmp_ne_u32_e64 s0, 1, v55
	v_add_co_u32 v72, vcc_lo, s1, v40
	v_add_co_ci_u32_e32 v127, vcc_lo, s6, v41, vcc_lo
	v_add_f32_e32 v56, v51, v50
	s_delay_alu instid0(VALU_DEP_3) | instskip(SKIP_1) | instid1(VALU_DEP_4)
	v_add_co_u32 v50, vcc_lo, v72, v44
	v_lshlrev_b64 v[40:41], 2, v[53:54]
	v_add_co_ci_u32_e32 v51, vcc_lo, v127, v45, vcc_lo
	s_and_not1_b32 vcc_lo, exec_lo, s9
	global_store_b32 v[50:51], v56, off
	s_cbranch_vccnz .LBB28_16
; %bb.15:
	v_add_co_u32 v50, vcc_lo, v80, v40
	v_add_co_ci_u32_e32 v51, vcc_lo, v85, v41, vcc_lo
	flat_load_b32 v50, v[50:51]
	s_waitcnt vmcnt(0) lgkmcnt(0)
	v_mul_f32_e32 v52, s15, v50
.LBB28_16:
	v_dual_max_f32 v51, v37, v37 :: v_dual_max_f32 v50, v36, v36
	v_dual_max_f32 v38, v38, v38 :: v_dual_max_f32 v39, v39, v39
	v_add_co_u32 v57, vcc_lo, v72, v40
	s_delay_alu instid0(VALU_DEP_3) | instskip(NEXT) | instid1(VALU_DEP_3)
	v_dual_min_f32 v36, v51, v125 :: v_dual_min_f32 v37, v50, v124
	v_dual_min_f32 v53, v38, v126 :: v_dual_mov_b32 v56, 0
	s_delay_alu instid0(VALU_DEP_4) | instskip(NEXT) | instid1(VALU_DEP_3)
	v_min_f32_e32 v54, v39, v74
	v_add_f32_e32 v55, v36, v138
	s_delay_alu instid0(VALU_DEP_4) | instskip(SKIP_1) | instid1(VALU_DEP_2)
	v_dual_add_f32 v37, v37, v139 :: v_dual_add_nc_u32 v36, 16, v46
	v_add_co_ci_u32_e32 v58, vcc_lo, v127, v41, vcc_lo
	v_dual_add_f32 v54, v54, v55 :: v_dual_add_f32 v53, v53, v37
	s_delay_alu instid0(VALU_DEP_3) | instskip(SKIP_1) | instid1(VALU_DEP_2)
	v_ashrrev_i32_e32 v37, 31, v36
	s_and_b32 vcc_lo, exec_lo, s0
	v_dual_add_f32 v53, v53, v54 :: v_dual_mov_b32 v54, 0
	s_delay_alu instid0(VALU_DEP_2) | instskip(NEXT) | instid1(VALU_DEP_2)
	v_lshlrev_b64 v[36:37], 2, v[36:37]
	v_add_f32_e32 v52, v53, v52
	global_store_b32 v[57:58], v52, off
	s_cbranch_vccnz .LBB28_18
; %bb.17:
	v_add_co_u32 v52, vcc_lo, v80, v36
	v_add_co_ci_u32_e32 v53, vcc_lo, v85, v37, vcc_lo
	flat_load_b32 v52, v[52:53]
	s_waitcnt vmcnt(0) lgkmcnt(0)
	v_mul_f32_e32 v54, s15, v52
.LBB28_18:
	v_dual_max_f32 v53, v33, v33 :: v_dual_max_f32 v52, v32, v32
	v_dual_max_f32 v34, v34, v34 :: v_dual_max_f32 v35, v35, v35
	s_delay_alu instid0(VALU_DEP_2) | instskip(NEXT) | instid1(VALU_DEP_2)
	v_dual_min_f32 v32, v53, v125 :: v_dual_min_f32 v33, v52, v124
	v_min_f32_e32 v55, v34, v126
	s_delay_alu instid0(VALU_DEP_2) | instskip(NEXT) | instid1(VALU_DEP_3)
	v_dual_min_f32 v57, v35, v74 :: v_dual_add_f32 v58, v32, v128
	v_dual_add_f32 v33, v33, v129 :: v_dual_add_nc_u32 v32, 24, v46
	s_delay_alu instid0(VALU_DEP_2) | instskip(NEXT) | instid1(VALU_DEP_2)
	v_add_f32_e32 v57, v57, v58
	v_add_f32_e32 v55, v55, v33
	s_delay_alu instid0(VALU_DEP_3) | instskip(NEXT) | instid1(VALU_DEP_2)
	v_ashrrev_i32_e32 v33, 31, v32
	v_add_f32_e32 v55, v55, v57
	v_add_co_u32 v57, vcc_lo, v72, v36
	s_delay_alu instid0(VALU_DEP_3) | instskip(SKIP_1) | instid1(VALU_DEP_4)
	v_lshlrev_b64 v[32:33], 2, v[32:33]
	v_add_co_ci_u32_e32 v58, vcc_lo, v127, v37, vcc_lo
	v_add_f32_e32 v54, v55, v54
	s_and_b32 vcc_lo, exec_lo, s0
	global_store_b32 v[57:58], v54, off
	s_cbranch_vccnz .LBB28_20
; %bb.19:
	v_add_co_u32 v54, vcc_lo, v80, v32
	v_add_co_ci_u32_e32 v55, vcc_lo, v85, v33, vcc_lo
	flat_load_b32 v54, v[54:55]
	s_waitcnt vmcnt(0) lgkmcnt(0)
	v_mul_f32_e32 v56, s15, v54
.LBB28_20:
	v_dual_max_f32 v55, v29, v29 :: v_dual_max_f32 v54, v28, v28
	v_dual_max_f32 v30, v30, v30 :: v_dual_max_f32 v31, v31, v31
	s_delay_alu instid0(VALU_DEP_2) | instskip(NEXT) | instid1(VALU_DEP_3)
	v_dual_mov_b32 v67, 0 :: v_dual_min_f32 v28, v55, v125
	v_min_f32_e32 v29, v54, v124
	s_delay_alu instid0(VALU_DEP_3) | instskip(NEXT) | instid1(VALU_DEP_4)
	v_min_f32_e32 v57, v30, v126
	v_min_f32_e32 v58, v31, v74
	s_delay_alu instid0(VALU_DEP_4) | instskip(NEXT) | instid1(VALU_DEP_4)
	v_add_f32_e32 v59, v28, v122
	v_dual_add_f32 v29, v29, v123 :: v_dual_add_nc_u32 v28, 32, v46
	v_add_co_u32 v122, vcc_lo, v72, v32
	s_delay_alu instid0(VALU_DEP_2) | instskip(NEXT) | instid1(VALU_DEP_3)
	v_dual_add_f32 v58, v58, v59 :: v_dual_add_f32 v57, v57, v29
	v_ashrrev_i32_e32 v29, 31, v28
	v_add_co_ci_u32_e32 v123, vcc_lo, v127, v33, vcc_lo
	s_and_b32 vcc_lo, exec_lo, s0
	s_delay_alu instid0(VALU_DEP_3) | instskip(NEXT) | instid1(VALU_DEP_3)
	v_add_f32_e32 v57, v57, v58
	v_lshlrev_b64 v[28:29], 2, v[28:29]
	v_mov_b32_e32 v58, 0
	s_delay_alu instid0(VALU_DEP_3)
	v_add_f32_e32 v56, v57, v56
	global_store_b32 v[122:123], v56, off
	s_cbranch_vccnz .LBB28_22
; %bb.21:
	v_add_co_u32 v56, vcc_lo, v80, v28
	v_add_co_ci_u32_e32 v57, vcc_lo, v85, v29, vcc_lo
	flat_load_b32 v56, v[56:57]
	s_waitcnt vmcnt(0) lgkmcnt(0)
	v_mul_f32_e32 v58, s15, v56
.LBB28_22:
	v_dual_max_f32 v57, v25, v25 :: v_dual_max_f32 v56, v24, v24
	v_dual_max_f32 v26, v26, v26 :: v_dual_max_f32 v27, v27, v27
	s_delay_alu instid0(VALU_DEP_2) | instskip(NEXT) | instid1(VALU_DEP_2)
	v_dual_min_f32 v24, v57, v125 :: v_dual_min_f32 v25, v56, v124
	v_min_f32_e32 v59, v26, v126
	s_delay_alu instid0(VALU_DEP_2) | instskip(NEXT) | instid1(VALU_DEP_3)
	v_dual_min_f32 v69, v27, v74 :: v_dual_add_f32 v120, v24, v120
	v_dual_add_f32 v25, v25, v121 :: v_dual_add_nc_u32 v24, 40, v46
	s_delay_alu instid0(VALU_DEP_2) | instskip(NEXT) | instid1(VALU_DEP_2)
	v_add_f32_e32 v69, v69, v120
	v_add_f32_e32 v59, v59, v25
	s_delay_alu instid0(VALU_DEP_3) | instskip(SKIP_2) | instid1(VALU_DEP_4)
	v_ashrrev_i32_e32 v25, 31, v24
	v_add_co_u32 v120, vcc_lo, v72, v28
	v_add_co_ci_u32_e32 v121, vcc_lo, v127, v29, vcc_lo
	v_add_f32_e32 v59, v59, v69
	s_delay_alu instid0(VALU_DEP_4) | instskip(SKIP_1) | instid1(VALU_DEP_2)
	v_lshlrev_b64 v[24:25], 2, v[24:25]
	s_and_b32 vcc_lo, exec_lo, s0
	v_add_f32_e32 v58, v59, v58
	global_store_b32 v[120:121], v58, off
	s_cbranch_vccnz .LBB28_24
; %bb.23:
	v_add_co_u32 v58, vcc_lo, v80, v24
	v_add_co_ci_u32_e32 v59, vcc_lo, v85, v25, vcc_lo
	flat_load_b32 v58, v[58:59]
	s_waitcnt vmcnt(0) lgkmcnt(0)
	v_mul_f32_e32 v67, s15, v58
.LBB28_24:
	v_dual_max_f32 v59, v21, v21 :: v_dual_max_f32 v58, v20, v20
	v_dual_max_f32 v22, v22, v22 :: v_dual_max_f32 v23, v23, v23
	s_delay_alu instid0(VALU_DEP_2) | instskip(NEXT) | instid1(VALU_DEP_2)
	v_dual_min_f32 v20, v59, v125 :: v_dual_min_f32 v21, v58, v124
	v_min_f32_e32 v69, v22, v126
	s_delay_alu instid0(VALU_DEP_2) | instskip(NEXT) | instid1(VALU_DEP_3)
	v_dual_min_f32 v120, v23, v74 :: v_dual_add_f32 v21, v21, v119
	v_dual_add_f32 v118, v20, v118 :: v_dual_mov_b32 v119, 0
	s_delay_alu instid0(VALU_DEP_1) | instskip(SKIP_2) | instid1(VALU_DEP_3)
	v_dual_add_f32 v69, v69, v21 :: v_dual_add_f32 v118, v120, v118
	v_add_co_u32 v120, vcc_lo, v72, v24
	v_add_co_ci_u32_e32 v121, vcc_lo, v127, v25, vcc_lo
	v_add_f32_e32 v69, v69, v118
	v_add_nc_u32_e32 v20, 48, v46
	v_mov_b32_e32 v118, 0
	s_and_b32 vcc_lo, exec_lo, s0
	s_delay_alu instid0(VALU_DEP_3) | instskip(NEXT) | instid1(VALU_DEP_3)
	v_add_f32_e32 v67, v69, v67
	v_ashrrev_i32_e32 v21, 31, v20
	global_store_b32 v[120:121], v67, off
	v_lshlrev_b64 v[20:21], 2, v[20:21]
	s_cbranch_vccnz .LBB28_26
; %bb.25:
	s_delay_alu instid0(VALU_DEP_1) | instskip(NEXT) | instid1(VALU_DEP_2)
	v_add_co_u32 v119, vcc_lo, v80, v20
	v_add_co_ci_u32_e32 v120, vcc_lo, v85, v21, vcc_lo
	flat_load_b32 v67, v[119:120]
	s_waitcnt vmcnt(0) lgkmcnt(0)
	v_mul_f32_e32 v119, s15, v67
.LBB28_26:
	v_dual_max_f32 v69, v17, v17 :: v_dual_max_f32 v18, v18, v18
	v_max_f32_e32 v67, v16, v16
	s_delay_alu instid0(VALU_DEP_2) | instskip(NEXT) | instid1(VALU_DEP_2)
	v_dual_max_f32 v19, v19, v19 :: v_dual_min_f32 v16, v69, v125
	v_dual_min_f32 v120, v18, v126 :: v_dual_min_f32 v17, v67, v124
	s_delay_alu instid0(VALU_DEP_2) | instskip(SKIP_1) | instid1(VALU_DEP_2)
	v_dual_min_f32 v121, v19, v74 :: v_dual_add_f32 v116, v16, v116
	v_add_nc_u32_e32 v16, 56, v46
	v_add_f32_e32 v46, v121, v116
	s_delay_alu instid0(VALU_DEP_4) | instskip(NEXT) | instid1(VALU_DEP_1)
	v_add_f32_e32 v17, v17, v117
	v_add_f32_e32 v116, v120, v17
	s_delay_alu instid0(VALU_DEP_4) | instskip(NEXT) | instid1(VALU_DEP_2)
	v_ashrrev_i32_e32 v17, 31, v16
	v_add_f32_e32 v46, v116, v46
	v_add_co_u32 v116, vcc_lo, v72, v20
	s_delay_alu instid0(VALU_DEP_3) | instskip(SKIP_1) | instid1(VALU_DEP_4)
	v_lshlrev_b64 v[16:17], 2, v[16:17]
	v_add_co_ci_u32_e32 v117, vcc_lo, v127, v21, vcc_lo
	v_add_f32_e32 v46, v46, v119
	s_and_b32 vcc_lo, exec_lo, s0
	global_store_b32 v[116:117], v46, off
	s_cbranch_vccnz .LBB28_28
; %bb.27:
	v_add_co_u32 v116, vcc_lo, v80, v16
	v_add_co_ci_u32_e32 v117, vcc_lo, v85, v17, vcc_lo
	flat_load_b32 v46, v[116:117]
	s_waitcnt vmcnt(0) lgkmcnt(0)
	v_mul_f32_e32 v118, s15, v46
.LBB28_28:
	v_dual_max_f32 v12, v12, v12 :: v_dual_max_f32 v13, v13, v13
	v_dual_max_f32 v14, v14, v14 :: v_dual_max_f32 v15, v15, v15
	v_add_nc_u32_e32 v116, 32, v48
	s_delay_alu instid0(VALU_DEP_3) | instskip(NEXT) | instid1(VALU_DEP_3)
	v_min_f32_e32 v46, v12, v124
	v_dual_min_f32 v80, v13, v125 :: v_dual_min_f32 v85, v14, v126
	s_delay_alu instid0(VALU_DEP_4) | instskip(NEXT) | instid1(VALU_DEP_4)
	v_min_f32_e32 v74, v15, v74
	v_mad_i64_i32 v[119:120], null, v116, s8, 0
	s_delay_alu instid0(VALU_DEP_3) | instskip(SKIP_1) | instid1(VALU_DEP_2)
	v_add_f32_e32 v80, v80, v114
	v_add_f32_e32 v46, v46, v115
	;; [unrolled: 1-line block ×3, first 2 shown]
	s_delay_alu instid0(VALU_DEP_2) | instskip(SKIP_3) | instid1(VALU_DEP_4)
	v_add_f32_e32 v46, v85, v46
	v_lshlrev_b64 v[114:115], 2, v[119:120]
	v_add_co_u32 v119, vcc_lo, v72, v16
	v_add_co_ci_u32_e32 v120, vcc_lo, v127, v17, vcc_lo
	v_add_f32_e32 v74, v46, v74
	s_delay_alu instid0(VALU_DEP_4) | instskip(SKIP_1) | instid1(VALU_DEP_3)
	v_add_co_u32 v46, vcc_lo, s4, v114
	v_add_co_ci_u32_e32 v72, vcc_lo, s5, v115, vcc_lo
	v_dual_mov_b32 v115, 0 :: v_dual_add_f32 v74, v74, v118
	v_mov_b32_e32 v114, 0
	s_and_b32 vcc_lo, exec_lo, s0
	global_store_b32 v[119:120], v74, off
	s_cbranch_vccnz .LBB28_30
; %bb.29:
	v_add_co_u32 v117, vcc_lo, v46, v44
	v_add_co_ci_u32_e32 v118, vcc_lo, v72, v45, vcc_lo
	flat_load_b32 v74, v[117:118]
	s_waitcnt vmcnt(0) lgkmcnt(0)
	v_mul_f32_e32 v115, s15, v74
.LBB28_30:
	v_dual_max_f32 v74, v8, v8 :: v_dual_max_f32 v85, v10, v10
	v_max_f32_e32 v80, v9, v9
	v_max_f32_e32 v8, v11, v11
	v_mad_i64_i32 v[9:10], null, v116, s3, 0
	s_delay_alu instid0(VALU_DEP_4) | instskip(NEXT) | instid1(VALU_DEP_4)
	v_min_f32_e32 v11, v47, v74
	v_min_f32_e32 v117, v49, v80
	s_delay_alu instid0(VALU_DEP_2) | instskip(SKIP_1) | instid1(VALU_DEP_3)
	v_add_f32_e32 v11, v11, v113
	v_min_f32_e32 v118, v43, v8
	v_add_f32_e32 v112, v117, v112
	v_lshlrev_b64 v[9:10], 2, v[9:10]
	s_delay_alu instid0(VALU_DEP_2) | instskip(SKIP_1) | instid1(VALU_DEP_3)
	v_add_f32_e32 v112, v118, v112
	v_min_f32_e32 v116, v42, v85
	v_add_co_u32 v9, vcc_lo, s1, v9
	s_delay_alu instid0(VALU_DEP_4) | instskip(NEXT) | instid1(VALU_DEP_3)
	v_add_co_ci_u32_e32 v10, vcc_lo, s6, v10, vcc_lo
	v_add_f32_e32 v11, v116, v11
	s_delay_alu instid0(VALU_DEP_1) | instskip(NEXT) | instid1(VALU_DEP_4)
	v_add_f32_e32 v11, v11, v112
	v_add_co_u32 v112, vcc_lo, v9, v44
	s_delay_alu instid0(VALU_DEP_4) | instskip(NEXT) | instid1(VALU_DEP_3)
	v_add_co_ci_u32_e32 v113, vcc_lo, v10, v45, vcc_lo
	v_add_f32_e32 v11, v11, v115
	s_and_b32 vcc_lo, exec_lo, s0
	global_store_b32 v[112:113], v11, off
	s_cbranch_vccnz .LBB28_32
; %bb.31:
	v_add_co_u32 v112, vcc_lo, v46, v40
	v_add_co_ci_u32_e32 v113, vcc_lo, v72, v41, vcc_lo
	flat_load_b32 v11, v[112:113]
	s_waitcnt vmcnt(0) lgkmcnt(0)
	v_mul_f32_e32 v114, s15, v11
.LBB28_32:
	v_dual_min_f32 v11, v51, v80 :: v_dual_min_f32 v112, v50, v74
	v_min_f32_e32 v113, v38, v85
	s_delay_alu instid0(VALU_DEP_2) | instskip(SKIP_3) | instid1(VALU_DEP_3)
	v_dual_add_f32 v11, v11, v110 :: v_dual_add_f32 v110, v112, v111
	v_min_f32_e32 v115, v39, v8
	v_add_co_u32 v111, vcc_lo, v9, v40
	v_add_co_ci_u32_e32 v112, vcc_lo, v10, v41, vcc_lo
	v_dual_add_f32 v110, v113, v110 :: v_dual_add_f32 v11, v115, v11
	s_and_b32 vcc_lo, exec_lo, s0
	s_delay_alu instid0(VALU_DEP_1) | instskip(NEXT) | instid1(VALU_DEP_1)
	v_dual_add_f32 v11, v110, v11 :: v_dual_mov_b32 v110, 0
	v_add_f32_e32 v113, v11, v114
	v_mov_b32_e32 v11, 0
	global_store_b32 v[111:112], v113, off
	s_cbranch_vccnz .LBB28_34
; %bb.33:
	v_add_co_u32 v110, vcc_lo, v46, v36
	v_add_co_ci_u32_e32 v111, vcc_lo, v72, v37, vcc_lo
	flat_load_b32 v110, v[110:111]
	s_waitcnt vmcnt(0) lgkmcnt(0)
	v_mul_f32_e32 v110, s15, v110
.LBB28_34:
	v_dual_min_f32 v111, v53, v80 :: v_dual_min_f32 v112, v52, v74
	v_dual_min_f32 v113, v34, v85 :: v_dual_min_f32 v114, v35, v8
	s_delay_alu instid0(VALU_DEP_2) | instskip(NEXT) | instid1(VALU_DEP_1)
	v_dual_add_f32 v108, v111, v108 :: v_dual_add_f32 v109, v112, v109
	v_dual_add_f32 v108, v114, v108 :: v_dual_add_f32 v109, v113, v109
	s_delay_alu instid0(VALU_DEP_1) | instskip(NEXT) | instid1(VALU_DEP_1)
	v_add_f32_e32 v108, v109, v108
	v_add_f32_e32 v110, v108, v110
	v_add_co_u32 v108, vcc_lo, v9, v36
	v_add_co_ci_u32_e32 v109, vcc_lo, v10, v37, vcc_lo
	s_and_b32 vcc_lo, exec_lo, s0
	global_store_b32 v[108:109], v110, off
	s_cbranch_vccnz .LBB28_36
; %bb.35:
	v_add_co_u32 v108, vcc_lo, v46, v32
	v_add_co_ci_u32_e32 v109, vcc_lo, v72, v33, vcc_lo
	flat_load_b32 v11, v[108:109]
	s_waitcnt vmcnt(0) lgkmcnt(0)
	v_mul_f32_e32 v11, s15, v11
.LBB28_36:
	v_dual_min_f32 v108, v55, v80 :: v_dual_min_f32 v109, v54, v74
	v_dual_min_f32 v110, v30, v85 :: v_dual_min_f32 v111, v31, v8
	s_delay_alu instid0(VALU_DEP_2) | instskip(NEXT) | instid1(VALU_DEP_1)
	v_dual_add_f32 v106, v108, v106 :: v_dual_add_f32 v107, v109, v107
	v_dual_add_f32 v106, v111, v106 :: v_dual_add_f32 v107, v110, v107
	s_delay_alu instid0(VALU_DEP_1) | instskip(SKIP_2) | instid1(VALU_DEP_3)
	v_add_f32_e32 v106, v107, v106
	v_add_co_u32 v107, vcc_lo, v9, v32
	v_add_co_ci_u32_e32 v108, vcc_lo, v10, v33, vcc_lo
	v_dual_add_f32 v109, v106, v11 :: v_dual_mov_b32 v106, 0
	v_mov_b32_e32 v11, 0
	s_and_b32 vcc_lo, exec_lo, s0
	global_store_b32 v[107:108], v109, off
	s_cbranch_vccnz .LBB28_38
; %bb.37:
	v_add_co_u32 v106, vcc_lo, v46, v28
	v_add_co_ci_u32_e32 v107, vcc_lo, v72, v29, vcc_lo
	flat_load_b32 v106, v[106:107]
	s_waitcnt vmcnt(0) lgkmcnt(0)
	v_mul_f32_e32 v106, s15, v106
.LBB28_38:
	v_dual_min_f32 v107, v57, v80 :: v_dual_min_f32 v108, v56, v74
	v_dual_min_f32 v109, v26, v85 :: v_dual_min_f32 v110, v27, v8
	s_delay_alu instid0(VALU_DEP_2) | instskip(NEXT) | instid1(VALU_DEP_1)
	v_dual_add_f32 v104, v107, v104 :: v_dual_add_f32 v105, v108, v105
	v_dual_add_f32 v104, v110, v104 :: v_dual_add_f32 v105, v109, v105
	s_delay_alu instid0(VALU_DEP_1) | instskip(NEXT) | instid1(VALU_DEP_1)
	v_add_f32_e32 v104, v105, v104
	v_add_f32_e32 v106, v104, v106
	v_add_co_u32 v104, vcc_lo, v9, v28
	v_add_co_ci_u32_e32 v105, vcc_lo, v10, v29, vcc_lo
	s_and_b32 vcc_lo, exec_lo, s0
	global_store_b32 v[104:105], v106, off
	s_cbranch_vccnz .LBB28_40
; %bb.39:
	v_add_co_u32 v104, vcc_lo, v46, v24
	v_add_co_ci_u32_e32 v105, vcc_lo, v72, v25, vcc_lo
	flat_load_b32 v11, v[104:105]
	s_waitcnt vmcnt(0) lgkmcnt(0)
	v_mul_f32_e32 v11, s15, v11
.LBB28_40:
	v_dual_min_f32 v104, v59, v80 :: v_dual_min_f32 v105, v58, v74
	v_dual_min_f32 v106, v22, v85 :: v_dual_min_f32 v107, v23, v8
	s_delay_alu instid0(VALU_DEP_2) | instskip(NEXT) | instid1(VALU_DEP_1)
	v_dual_add_f32 v102, v104, v102 :: v_dual_add_f32 v103, v105, v103
	v_dual_add_f32 v102, v107, v102 :: v_dual_add_f32 v103, v106, v103
	s_delay_alu instid0(VALU_DEP_1) | instskip(SKIP_2) | instid1(VALU_DEP_3)
	v_add_f32_e32 v102, v103, v102
	v_add_co_u32 v103, vcc_lo, v9, v24
	v_add_co_ci_u32_e32 v104, vcc_lo, v10, v25, vcc_lo
	v_dual_add_f32 v105, v102, v11 :: v_dual_mov_b32 v102, 0
	v_mov_b32_e32 v11, 0
	s_and_b32 vcc_lo, exec_lo, s0
	global_store_b32 v[103:104], v105, off
	s_cbranch_vccnz .LBB28_42
; %bb.41:
	v_add_co_u32 v102, vcc_lo, v46, v20
	v_add_co_ci_u32_e32 v103, vcc_lo, v72, v21, vcc_lo
	flat_load_b32 v102, v[102:103]
	s_waitcnt vmcnt(0) lgkmcnt(0)
	v_mul_f32_e32 v102, s15, v102
.LBB28_42:
	v_dual_min_f32 v103, v69, v80 :: v_dual_min_f32 v104, v67, v74
	v_dual_min_f32 v105, v18, v85 :: v_dual_min_f32 v106, v19, v8
	s_delay_alu instid0(VALU_DEP_2) | instskip(NEXT) | instid1(VALU_DEP_1)
	v_dual_add_f32 v100, v103, v100 :: v_dual_add_f32 v101, v104, v101
	v_dual_add_f32 v100, v106, v100 :: v_dual_add_f32 v101, v105, v101
	s_delay_alu instid0(VALU_DEP_1) | instskip(NEXT) | instid1(VALU_DEP_1)
	v_add_f32_e32 v100, v101, v100
	v_add_f32_e32 v102, v100, v102
	v_add_co_u32 v100, vcc_lo, v9, v20
	v_add_co_ci_u32_e32 v101, vcc_lo, v10, v21, vcc_lo
	s_and_b32 vcc_lo, exec_lo, s0
	global_store_b32 v[100:101], v102, off
	s_cbranch_vccnz .LBB28_44
; %bb.43:
	v_add_co_u32 v100, vcc_lo, v46, v16
	v_add_co_ci_u32_e32 v101, vcc_lo, v72, v17, vcc_lo
	flat_load_b32 v11, v[100:101]
	s_waitcnt vmcnt(0) lgkmcnt(0)
	v_mul_f32_e32 v11, s15, v11
.LBB28_44:
	v_min_f32_e32 v46, v12, v74
	v_min_f32_e32 v72, v13, v80
	v_add_nc_u32_e32 v74, 64, v48
	v_min_f32_e32 v80, v14, v85
	v_min_f32_e32 v8, v15, v8
	v_add_f32_e32 v46, v46, v99
	v_add_f32_e32 v72, v72, v98
	v_mad_i64_i32 v[98:99], null, v74, s8, 0
	v_add_co_u32 v100, vcc_lo, v9, v16
	s_delay_alu instid0(VALU_DEP_3) | instskip(SKIP_4) | instid1(VALU_DEP_4)
	v_add_f32_e32 v8, v8, v72
	v_add_f32_e32 v46, v80, v46
	v_add_co_ci_u32_e32 v101, vcc_lo, v10, v17, vcc_lo
	v_lshlrev_b64 v[98:99], 2, v[98:99]
	v_mov_b32_e32 v72, 0
	v_add_f32_e32 v8, v46, v8
	v_mov_b32_e32 v80, 0
	s_delay_alu instid0(VALU_DEP_2)
	v_add_f32_e32 v10, v8, v11
	v_add_co_u32 v8, vcc_lo, s4, v98
	v_add_co_ci_u32_e32 v9, vcc_lo, s5, v99, vcc_lo
	s_and_b32 vcc_lo, exec_lo, s0
	global_store_b32 v[100:101], v10, off
	s_cbranch_vccnz .LBB28_46
; %bb.45:
	v_add_co_u32 v10, vcc_lo, v8, v44
	v_add_co_ci_u32_e32 v11, vcc_lo, v9, v45, vcc_lo
	flat_load_b32 v10, v[10:11]
	s_waitcnt vmcnt(0) lgkmcnt(0)
	v_mul_f32_e32 v80, s15, v10
.LBB28_46:
	v_dual_max_f32 v10, v4, v4 :: v_dual_max_f32 v11, v5, v5
	v_max_f32_e32 v46, v6, v6
	v_mad_i64_i32 v[5:6], null, v74, s3, 0
	s_delay_alu instid0(VALU_DEP_3) | instskip(SKIP_2) | instid1(VALU_DEP_3)
	v_min_f32_e32 v85, v49, v11
	v_max_f32_e32 v4, v7, v7
	v_min_f32_e32 v7, v47, v10
	v_dual_min_f32 v74, v42, v46 :: v_dual_add_f32 v85, v85, v96
	v_lshlrev_b64 v[5:6], 2, v[5:6]
	s_delay_alu instid0(VALU_DEP_3) | instskip(NEXT) | instid1(VALU_DEP_1)
	v_add_f32_e32 v7, v7, v97
	v_dual_min_f32 v98, v43, v4 :: v_dual_add_f32 v7, v74, v7
	s_delay_alu instid0(VALU_DEP_1) | instskip(NEXT) | instid1(VALU_DEP_4)
	v_add_f32_e32 v85, v98, v85
	v_add_co_u32 v5, vcc_lo, s1, v5
	v_add_co_ci_u32_e32 v6, vcc_lo, s6, v6, vcc_lo
	s_delay_alu instid0(VALU_DEP_3) | instskip(NEXT) | instid1(VALU_DEP_3)
	v_add_f32_e32 v7, v7, v85
	v_add_co_u32 v96, vcc_lo, v5, v44
	s_delay_alu instid0(VALU_DEP_3) | instskip(NEXT) | instid1(VALU_DEP_3)
	v_add_co_ci_u32_e32 v97, vcc_lo, v6, v45, vcc_lo
	v_add_f32_e32 v7, v7, v80
	s_and_b32 vcc_lo, exec_lo, s0
	global_store_b32 v[96:97], v7, off
	s_cbranch_vccnz .LBB28_48
; %bb.47:
	v_add_co_u32 v96, vcc_lo, v8, v40
	v_add_co_ci_u32_e32 v97, vcc_lo, v9, v41, vcc_lo
	flat_load_b32 v7, v[96:97]
	s_waitcnt vmcnt(0) lgkmcnt(0)
	v_mul_f32_e32 v72, s15, v7
.LBB28_48:
	v_dual_min_f32 v7, v51, v11 :: v_dual_min_f32 v74, v50, v10
	v_dual_min_f32 v80, v38, v46 :: v_dual_min_f32 v85, v39, v4
	s_delay_alu instid0(VALU_DEP_2) | instskip(SKIP_2) | instid1(VALU_DEP_3)
	v_dual_add_f32 v7, v7, v94 :: v_dual_add_f32 v74, v74, v95
	v_add_co_u32 v94, vcc_lo, v5, v40
	v_add_co_ci_u32_e32 v95, vcc_lo, v6, v41, vcc_lo
	v_dual_add_f32 v7, v85, v7 :: v_dual_add_f32 v74, v80, v74
	s_and_b32 vcc_lo, exec_lo, s0
	s_delay_alu instid0(VALU_DEP_1) | instskip(NEXT) | instid1(VALU_DEP_1)
	v_add_f32_e32 v7, v74, v7
	v_dual_add_f32 v74, v7, v72 :: v_dual_mov_b32 v7, 0
	v_mov_b32_e32 v72, 0
	global_store_b32 v[94:95], v74, off
	s_cbranch_vccnz .LBB28_50
; %bb.49:
	v_add_co_u32 v94, vcc_lo, v8, v36
	v_add_co_ci_u32_e32 v95, vcc_lo, v9, v37, vcc_lo
	flat_load_b32 v72, v[94:95]
	s_waitcnt vmcnt(0) lgkmcnt(0)
	v_mul_f32_e32 v72, s15, v72
.LBB28_50:
	v_dual_min_f32 v74, v53, v11 :: v_dual_min_f32 v85, v34, v46
	v_min_f32_e32 v80, v52, v10
	v_min_f32_e32 v94, v35, v4
	s_delay_alu instid0(VALU_DEP_3) | instskip(SKIP_1) | instid1(VALU_DEP_4)
	v_add_f32_e32 v74, v74, v92
	v_add_co_u32 v92, vcc_lo, v5, v36
	v_add_f32_e32 v80, v80, v93
	v_add_co_ci_u32_e32 v93, vcc_lo, v6, v37, vcc_lo
	s_delay_alu instid0(VALU_DEP_4) | instskip(SKIP_1) | instid1(VALU_DEP_3)
	v_add_f32_e32 v74, v94, v74
	s_and_b32 vcc_lo, exec_lo, s0
	v_add_f32_e32 v80, v85, v80
	s_delay_alu instid0(VALU_DEP_1) | instskip(NEXT) | instid1(VALU_DEP_1)
	v_add_f32_e32 v74, v80, v74
	v_add_f32_e32 v72, v74, v72
	global_store_b32 v[92:93], v72, off
	s_cbranch_vccnz .LBB28_52
; %bb.51:
	v_add_co_u32 v92, vcc_lo, v8, v32
	v_add_co_ci_u32_e32 v93, vcc_lo, v9, v33, vcc_lo
	flat_load_b32 v7, v[92:93]
	s_waitcnt vmcnt(0) lgkmcnt(0)
	v_mul_f32_e32 v7, s15, v7
.LBB28_52:
	v_min_f32_e32 v72, v55, v11
	v_dual_min_f32 v74, v54, v10 :: v_dual_min_f32 v85, v31, v4
	v_min_f32_e32 v80, v30, v46
	s_delay_alu instid0(VALU_DEP_3) | instskip(NEXT) | instid1(VALU_DEP_3)
	v_add_f32_e32 v72, v72, v90
	v_add_f32_e32 v74, v74, v91
	v_add_co_u32 v90, vcc_lo, v5, v32
	v_add_co_ci_u32_e32 v91, vcc_lo, v6, v33, vcc_lo
	s_delay_alu instid0(VALU_DEP_4) | instskip(NEXT) | instid1(VALU_DEP_4)
	v_add_f32_e32 v72, v85, v72
	v_add_f32_e32 v74, v80, v74
	s_and_b32 vcc_lo, exec_lo, s0
	s_delay_alu instid0(VALU_DEP_1) | instskip(NEXT) | instid1(VALU_DEP_1)
	v_add_f32_e32 v72, v74, v72
	v_dual_add_f32 v74, v72, v7 :: v_dual_mov_b32 v7, 0
	v_mov_b32_e32 v72, 0
	global_store_b32 v[90:91], v74, off
	s_cbranch_vccnz .LBB28_54
; %bb.53:
	v_add_co_u32 v90, vcc_lo, v8, v28
	v_add_co_ci_u32_e32 v91, vcc_lo, v9, v29, vcc_lo
	flat_load_b32 v72, v[90:91]
	s_waitcnt vmcnt(0) lgkmcnt(0)
	v_mul_f32_e32 v72, s15, v72
.LBB28_54:
	v_dual_min_f32 v74, v57, v11 :: v_dual_min_f32 v85, v26, v46
	v_min_f32_e32 v80, v56, v10
	v_min_f32_e32 v90, v27, v4
	s_delay_alu instid0(VALU_DEP_3) | instskip(SKIP_1) | instid1(VALU_DEP_4)
	v_add_f32_e32 v74, v74, v88
	v_add_co_u32 v88, vcc_lo, v5, v28
	v_add_f32_e32 v80, v80, v89
	v_add_co_ci_u32_e32 v89, vcc_lo, v6, v29, vcc_lo
	s_delay_alu instid0(VALU_DEP_4) | instskip(SKIP_1) | instid1(VALU_DEP_3)
	v_add_f32_e32 v74, v90, v74
	s_and_b32 vcc_lo, exec_lo, s0
	v_add_f32_e32 v80, v85, v80
	s_delay_alu instid0(VALU_DEP_1) | instskip(NEXT) | instid1(VALU_DEP_1)
	v_add_f32_e32 v74, v80, v74
	v_add_f32_e32 v72, v74, v72
	global_store_b32 v[88:89], v72, off
	s_cbranch_vccnz .LBB28_56
; %bb.55:
	v_add_co_u32 v88, vcc_lo, v8, v24
	v_add_co_ci_u32_e32 v89, vcc_lo, v9, v25, vcc_lo
	flat_load_b32 v7, v[88:89]
	s_waitcnt vmcnt(0) lgkmcnt(0)
	v_mul_f32_e32 v7, s15, v7
.LBB28_56:
	v_min_f32_e32 v72, v59, v11
	v_dual_min_f32 v74, v58, v10 :: v_dual_min_f32 v85, v23, v4
	v_min_f32_e32 v80, v22, v46
	s_delay_alu instid0(VALU_DEP_3) | instskip(NEXT) | instid1(VALU_DEP_3)
	v_add_f32_e32 v72, v72, v86
	v_add_f32_e32 v74, v74, v87
	s_delay_alu instid0(VALU_DEP_2) | instskip(NEXT) | instid1(VALU_DEP_2)
	v_add_f32_e32 v72, v85, v72
	v_add_f32_e32 v74, v80, v74
	v_add_co_u32 v85, vcc_lo, v5, v24
	v_add_co_ci_u32_e32 v86, vcc_lo, v6, v25, vcc_lo
	s_delay_alu instid0(VALU_DEP_3) | instskip(SKIP_1) | instid1(VALU_DEP_1)
	v_add_f32_e32 v72, v74, v72
	s_and_b32 vcc_lo, exec_lo, s0
	v_dual_add_f32 v74, v72, v7 :: v_dual_mov_b32 v7, 0
	v_mov_b32_e32 v72, 0
	global_store_b32 v[85:86], v74, off
	s_cbranch_vccnz .LBB28_58
; %bb.57:
	v_add_co_u32 v85, vcc_lo, v8, v20
	v_add_co_ci_u32_e32 v86, vcc_lo, v9, v21, vcc_lo
	flat_load_b32 v72, v[85:86]
	s_waitcnt vmcnt(0) lgkmcnt(0)
	v_mul_f32_e32 v72, s15, v72
.LBB28_58:
	v_dual_min_f32 v74, v69, v11 :: v_dual_min_f32 v85, v18, v46
	v_min_f32_e32 v80, v67, v10
	v_min_f32_e32 v86, v19, v4
	s_delay_alu instid0(VALU_DEP_3) | instskip(SKIP_1) | instid1(VALU_DEP_4)
	v_add_f32_e32 v74, v74, v83
	v_add_co_u32 v83, vcc_lo, v5, v20
	v_add_f32_e32 v80, v80, v84
	v_add_co_ci_u32_e32 v84, vcc_lo, v6, v21, vcc_lo
	s_delay_alu instid0(VALU_DEP_4) | instskip(SKIP_1) | instid1(VALU_DEP_3)
	v_add_f32_e32 v74, v86, v74
	s_and_b32 vcc_lo, exec_lo, s0
	v_add_f32_e32 v80, v85, v80
	s_delay_alu instid0(VALU_DEP_1) | instskip(NEXT) | instid1(VALU_DEP_1)
	v_add_f32_e32 v74, v80, v74
	v_add_f32_e32 v72, v74, v72
	global_store_b32 v[83:84], v72, off
	s_cbranch_vccnz .LBB28_60
; %bb.59:
	v_add_co_u32 v7, vcc_lo, v8, v16
	v_add_co_ci_u32_e32 v8, vcc_lo, v9, v17, vcc_lo
	flat_load_b32 v7, v[7:8]
	s_waitcnt vmcnt(0) lgkmcnt(0)
	v_mul_f32_e32 v7, s15, v7
.LBB28_60:
	v_dual_min_f32 v8, v12, v10 :: v_dual_add_nc_u32 v9, 0x60, v48
	v_min_f32_e32 v10, v13, v11
	v_min_f32_e32 v46, v14, v46
	;; [unrolled: 1-line block ×3, first 2 shown]
	s_delay_alu instid0(VALU_DEP_4) | instskip(SKIP_3) | instid1(VALU_DEP_4)
	v_add_f32_e32 v8, v8, v82
	v_add_co_u32 v80, vcc_lo, v5, v16
	v_add_f32_e32 v48, v10, v81
	v_mad_i64_i32 v[10:11], null, v9, s8, 0
	v_add_f32_e32 v8, v46, v8
	v_add_co_ci_u32_e32 v81, vcc_lo, v6, v17, vcc_lo
	s_delay_alu instid0(VALU_DEP_4) | instskip(NEXT) | instid1(VALU_DEP_4)
	v_add_f32_e32 v4, v4, v48
	v_lshlrev_b64 v[10:11], 2, v[10:11]
	s_delay_alu instid0(VALU_DEP_2) | instskip(SKIP_1) | instid1(VALU_DEP_2)
	v_add_f32_e32 v4, v8, v4
	v_mov_b32_e32 v8, 0
	v_add_f32_e32 v6, v4, v7
	s_delay_alu instid0(VALU_DEP_4)
	v_add_co_u32 v4, vcc_lo, s4, v10
	v_add_co_ci_u32_e32 v5, vcc_lo, s5, v11, vcc_lo
	v_mov_b32_e32 v10, 0
	s_and_b32 vcc_lo, exec_lo, s0
	global_store_b32 v[80:81], v6, off
	s_cbranch_vccnz .LBB28_62
; %bb.61:
	v_add_co_u32 v6, vcc_lo, v4, v44
	v_add_co_ci_u32_e32 v7, vcc_lo, v5, v45, vcc_lo
	flat_load_b32 v6, v[6:7]
	s_waitcnt vmcnt(0) lgkmcnt(0)
	v_mul_f32_e32 v10, s15, v6
.LBB28_62:
	v_dual_max_f32 v0, v0, v0 :: v_dual_max_f32 v1, v1, v1
	v_dual_max_f32 v2, v2, v2 :: v_dual_max_f32 v3, v3, v3
	v_mad_i64_i32 v[6:7], null, v9, s3, 0
	s_delay_alu instid0(VALU_DEP_3) | instskip(NEXT) | instid1(VALU_DEP_3)
	v_dual_min_f32 v11, v47, v0 :: v_dual_min_f32 v46, v49, v1
	v_dual_min_f32 v9, v42, v2 :: v_dual_min_f32 v42, v43, v3
	s_delay_alu instid0(VALU_DEP_2) | instskip(NEXT) | instid1(VALU_DEP_3)
	v_add_f32_e32 v11, v11, v79
	v_add_f32_e32 v43, v46, v78
	v_lshlrev_b64 v[6:7], 2, v[6:7]
	s_delay_alu instid0(VALU_DEP_3) | instskip(NEXT) | instid1(VALU_DEP_3)
	v_add_f32_e32 v9, v9, v11
	v_add_f32_e32 v42, v42, v43
	s_delay_alu instid0(VALU_DEP_3) | instskip(NEXT) | instid1(VALU_DEP_4)
	v_add_co_u32 v6, vcc_lo, s1, v6
	v_add_co_ci_u32_e32 v7, vcc_lo, s6, v7, vcc_lo
	s_delay_alu instid0(VALU_DEP_3) | instskip(NEXT) | instid1(VALU_DEP_1)
	v_add_f32_e32 v9, v9, v42
	v_add_f32_e32 v11, v9, v10
	s_delay_alu instid0(VALU_DEP_4) | instskip(NEXT) | instid1(VALU_DEP_4)
	v_add_co_u32 v9, vcc_lo, v6, v44
	v_add_co_ci_u32_e32 v10, vcc_lo, v7, v45, vcc_lo
	s_and_b32 vcc_lo, exec_lo, s0
	global_store_b32 v[9:10], v11, off
	s_cbranch_vccnz .LBB28_64
; %bb.63:
	v_add_co_u32 v8, vcc_lo, v4, v40
	v_add_co_ci_u32_e32 v9, vcc_lo, v5, v41, vcc_lo
	flat_load_b32 v8, v[8:9]
	s_waitcnt vmcnt(0) lgkmcnt(0)
	v_mul_f32_e32 v8, s15, v8
.LBB28_64:
	v_dual_min_f32 v9, v51, v1 :: v_dual_min_f32 v10, v50, v0
	v_dual_min_f32 v11, v38, v2 :: v_dual_min_f32 v38, v39, v3
	s_delay_alu instid0(VALU_DEP_2) | instskip(NEXT) | instid1(VALU_DEP_1)
	v_dual_add_f32 v9, v9, v76 :: v_dual_add_f32 v10, v10, v77
	v_dual_add_f32 v9, v38, v9 :: v_dual_add_f32 v10, v11, v10
	s_delay_alu instid0(VALU_DEP_1) | instskip(SKIP_2) | instid1(VALU_DEP_3)
	v_add_f32_e32 v9, v10, v9
	v_add_co_u32 v10, vcc_lo, v6, v40
	v_add_co_ci_u32_e32 v11, vcc_lo, v7, v41, vcc_lo
	v_dual_add_f32 v38, v9, v8 :: v_dual_mov_b32 v9, 0
	v_mov_b32_e32 v8, 0
	s_and_b32 vcc_lo, exec_lo, s0
	global_store_b32 v[10:11], v38, off
	s_cbranch_vccnz .LBB28_66
; %bb.65:
	v_add_co_u32 v9, vcc_lo, v4, v36
	v_add_co_ci_u32_e32 v10, vcc_lo, v5, v37, vcc_lo
	flat_load_b32 v9, v[9:10]
	s_waitcnt vmcnt(0) lgkmcnt(0)
	v_mul_f32_e32 v9, s15, v9
.LBB28_66:
	v_dual_min_f32 v10, v53, v1 :: v_dual_min_f32 v11, v52, v0
	v_dual_min_f32 v34, v34, v2 :: v_dual_min_f32 v35, v35, v3
	s_delay_alu instid0(VALU_DEP_2) | instskip(NEXT) | instid1(VALU_DEP_1)
	v_dual_add_f32 v10, v10, v73 :: v_dual_add_f32 v11, v11, v75
	v_dual_add_f32 v10, v35, v10 :: v_dual_add_f32 v11, v34, v11
	s_delay_alu instid0(VALU_DEP_1) | instskip(NEXT) | instid1(VALU_DEP_1)
	v_add_f32_e32 v10, v11, v10
	v_add_f32_e32 v11, v10, v9
	v_add_co_u32 v9, vcc_lo, v6, v36
	v_add_co_ci_u32_e32 v10, vcc_lo, v7, v37, vcc_lo
	s_and_b32 vcc_lo, exec_lo, s0
	global_store_b32 v[9:10], v11, off
	s_cbranch_vccnz .LBB28_68
; %bb.67:
	v_add_co_u32 v8, vcc_lo, v4, v32
	v_add_co_ci_u32_e32 v9, vcc_lo, v5, v33, vcc_lo
	flat_load_b32 v8, v[8:9]
	s_waitcnt vmcnt(0) lgkmcnt(0)
	v_mul_f32_e32 v8, s15, v8
.LBB28_68:
	v_dual_min_f32 v9, v55, v1 :: v_dual_min_f32 v10, v54, v0
	v_dual_min_f32 v11, v30, v2 :: v_dual_min_f32 v30, v31, v3
	s_delay_alu instid0(VALU_DEP_2) | instskip(NEXT) | instid1(VALU_DEP_1)
	v_dual_add_f32 v9, v9, v70 :: v_dual_add_f32 v10, v10, v71
	v_dual_add_f32 v9, v30, v9 :: v_dual_add_f32 v10, v11, v10
	s_delay_alu instid0(VALU_DEP_1) | instskip(SKIP_2) | instid1(VALU_DEP_3)
	v_add_f32_e32 v9, v10, v9
	v_add_co_u32 v10, vcc_lo, v6, v32
	v_add_co_ci_u32_e32 v11, vcc_lo, v7, v33, vcc_lo
	v_dual_add_f32 v30, v9, v8 :: v_dual_mov_b32 v9, 0
	v_mov_b32_e32 v8, 0
	s_and_b32 vcc_lo, exec_lo, s0
	global_store_b32 v[10:11], v30, off
	s_cbranch_vccnz .LBB28_70
; %bb.69:
	v_add_co_u32 v9, vcc_lo, v4, v28
	v_add_co_ci_u32_e32 v10, vcc_lo, v5, v29, vcc_lo
	flat_load_b32 v9, v[9:10]
	s_waitcnt vmcnt(0) lgkmcnt(0)
	v_mul_f32_e32 v9, s15, v9
.LBB28_70:
	v_dual_min_f32 v10, v57, v1 :: v_dual_min_f32 v11, v56, v0
	v_dual_min_f32 v26, v26, v2 :: v_dual_min_f32 v27, v27, v3
	s_delay_alu instid0(VALU_DEP_2) | instskip(NEXT) | instid1(VALU_DEP_1)
	v_dual_add_f32 v10, v10, v66 :: v_dual_add_f32 v11, v11, v68
	v_dual_add_f32 v10, v27, v10 :: v_dual_add_f32 v11, v26, v11
	s_delay_alu instid0(VALU_DEP_1) | instskip(NEXT) | instid1(VALU_DEP_1)
	v_add_f32_e32 v10, v11, v10
	v_add_f32_e32 v11, v10, v9
	v_add_co_u32 v9, vcc_lo, v6, v28
	v_add_co_ci_u32_e32 v10, vcc_lo, v7, v29, vcc_lo
	s_and_b32 vcc_lo, exec_lo, s0
	global_store_b32 v[9:10], v11, off
	s_cbranch_vccnz .LBB28_72
; %bb.71:
	v_add_co_u32 v8, vcc_lo, v4, v24
	v_add_co_ci_u32_e32 v9, vcc_lo, v5, v25, vcc_lo
	flat_load_b32 v8, v[8:9]
	s_waitcnt vmcnt(0) lgkmcnt(0)
	v_mul_f32_e32 v8, s15, v8
.LBB28_72:
	v_dual_min_f32 v9, v59, v1 :: v_dual_min_f32 v10, v58, v0
	v_dual_min_f32 v11, v22, v2 :: v_dual_min_f32 v22, v23, v3
	;; [unrolled: 1-line block ×3, first 2 shown]
	s_delay_alu instid0(VALU_DEP_3) | instskip(NEXT) | instid1(VALU_DEP_2)
	v_dual_add_f32 v9, v9, v64 :: v_dual_add_f32 v10, v10, v65
	v_dual_min_f32 v18, v18, v2 :: v_dual_add_f32 v23, v23, v63
	s_delay_alu instid0(VALU_DEP_2) | instskip(SKIP_2) | instid1(VALU_DEP_2)
	v_dual_add_f32 v9, v22, v9 :: v_dual_add_f32 v10, v11, v10
	v_min_f32_e32 v11, v19, v3
	v_add_f32_e32 v19, v26, v62
	v_dual_add_f32 v22, v10, v9 :: v_dual_add_f32 v11, v11, v23
	s_delay_alu instid0(VALU_DEP_2) | instskip(SKIP_2) | instid1(VALU_DEP_4)
	v_add_f32_e32 v18, v18, v19
	v_add_co_u32 v9, vcc_lo, v6, v24
	v_add_co_ci_u32_e32 v10, vcc_lo, v7, v25, vcc_lo
	v_add_f32_e32 v19, v22, v8
	s_delay_alu instid0(VALU_DEP_4)
	v_add_f32_e32 v8, v18, v11
	s_mov_b32 vcc_lo, s2
	global_store_b32 v[9:10], v19, off
	s_cbranch_vccz .LBB28_75
; %bb.73:
	v_add_co_u32 v9, vcc_lo, v6, v20
	v_add_f32_e32 v11, 0, v8
	v_add_co_ci_u32_e32 v10, vcc_lo, v7, v21, vcc_lo
	s_mov_b32 s0, 0
	global_store_b32 v[9:10], v11, off
	s_cbranch_execz .LBB28_76
; %bb.74:
	v_mov_b32_e32 v4, s0
	s_branch .LBB28_77
.LBB28_75:
	s_mov_b32 s0, -1
.LBB28_76:
	v_add_co_u32 v9, vcc_lo, v4, v20
	v_add_co_ci_u32_e32 v10, vcc_lo, v5, v21, vcc_lo
	flat_load_b32 v11, v[9:10]
	v_add_co_u32 v9, vcc_lo, v6, v20
	v_add_co_ci_u32_e32 v10, vcc_lo, v7, v21, vcc_lo
	v_add_co_u32 v4, vcc_lo, v4, v16
	v_add_co_ci_u32_e32 v5, vcc_lo, v5, v17, vcc_lo
	s_waitcnt vmcnt(0) lgkmcnt(0)
	v_fmac_f32_e32 v8, s15, v11
	global_store_b32 v[9:10], v8, off
	flat_load_b32 v4, v[4:5]
	s_waitcnt vmcnt(0) lgkmcnt(0)
	v_mul_f32_e32 v4, s15, v4
.LBB28_77:
	v_dual_min_f32 v1, v13, v1 :: v_dual_min_f32 v0, v12, v0
	v_dual_min_f32 v2, v14, v2 :: v_dual_min_f32 v3, v15, v3
	s_delay_alu instid0(VALU_DEP_2) | instskip(NEXT) | instid1(VALU_DEP_1)
	v_dual_add_f32 v1, v1, v60 :: v_dual_add_f32 v0, v0, v61
	v_dual_add_f32 v1, v3, v1 :: v_dual_add_f32 v0, v2, v0
	s_delay_alu instid0(VALU_DEP_1) | instskip(NEXT) | instid1(VALU_DEP_1)
	v_add_f32_e32 v0, v0, v1
	v_add_f32_e32 v2, v0, v4
	v_add_co_u32 v0, vcc_lo, v6, v16
	v_add_co_ci_u32_e32 v1, vcc_lo, v7, v17, vcc_lo
	global_store_b32 v[0:1], v2, off
	s_nop 0
	s_sendmsg sendmsg(MSG_DEALLOC_VGPRS)
	s_endpgm
	.section	.rodata,"a",@progbits
	.p2align	6, 0x0
	.amdhsa_kernel _ZN12_GLOBAL__N_120geam_min_plus_kernelIf15HIP_vector_typeIfLj2EES2_Li8ELi32ELi64ELi128ELi4ELi64ELi4ELi4ELi64ELc78ELc78ELb1ELb0ELb0EfKPKfKPfEEviiiT16_PT17_ilSA_ilS8_SA_ilPT18_ili26rocblas_geam_ex_operation_
		.amdhsa_group_segment_fixed_size 6144
		.amdhsa_private_segment_fixed_size 0
		.amdhsa_kernarg_size 128
		.amdhsa_user_sgpr_count 14
		.amdhsa_user_sgpr_dispatch_ptr 0
		.amdhsa_user_sgpr_queue_ptr 0
		.amdhsa_user_sgpr_kernarg_segment_ptr 1
		.amdhsa_user_sgpr_dispatch_id 0
		.amdhsa_user_sgpr_private_segment_size 0
		.amdhsa_wavefront_size32 1
		.amdhsa_uses_dynamic_stack 0
		.amdhsa_enable_private_segment 0
		.amdhsa_system_sgpr_workgroup_id_x 1
		.amdhsa_system_sgpr_workgroup_id_y 0
		.amdhsa_system_sgpr_workgroup_id_z 1
		.amdhsa_system_sgpr_workgroup_info 0
		.amdhsa_system_vgpr_workitem_id 1
		.amdhsa_next_free_vgpr 224
		.amdhsa_next_free_sgpr 22
		.amdhsa_reserve_vcc 1
		.amdhsa_float_round_mode_32 0
		.amdhsa_float_round_mode_16_64 0
		.amdhsa_float_denorm_mode_32 3
		.amdhsa_float_denorm_mode_16_64 3
		.amdhsa_dx10_clamp 1
		.amdhsa_ieee_mode 1
		.amdhsa_fp16_overflow 0
		.amdhsa_workgroup_processor_mode 1
		.amdhsa_memory_ordered 1
		.amdhsa_forward_progress 0
		.amdhsa_shared_vgpr_count 0
		.amdhsa_exception_fp_ieee_invalid_op 0
		.amdhsa_exception_fp_denorm_src 0
		.amdhsa_exception_fp_ieee_div_zero 0
		.amdhsa_exception_fp_ieee_overflow 0
		.amdhsa_exception_fp_ieee_underflow 0
		.amdhsa_exception_fp_ieee_inexact 0
		.amdhsa_exception_int_div_zero 0
	.end_amdhsa_kernel
	.section	.text._ZN12_GLOBAL__N_120geam_min_plus_kernelIf15HIP_vector_typeIfLj2EES2_Li8ELi32ELi64ELi128ELi4ELi64ELi4ELi4ELi64ELc78ELc78ELb1ELb0ELb0EfKPKfKPfEEviiiT16_PT17_ilSA_ilS8_SA_ilPT18_ili26rocblas_geam_ex_operation_,"axG",@progbits,_ZN12_GLOBAL__N_120geam_min_plus_kernelIf15HIP_vector_typeIfLj2EES2_Li8ELi32ELi64ELi128ELi4ELi64ELi4ELi4ELi64ELc78ELc78ELb1ELb0ELb0EfKPKfKPfEEviiiT16_PT17_ilSA_ilS8_SA_ilPT18_ili26rocblas_geam_ex_operation_,comdat
.Lfunc_end28:
	.size	_ZN12_GLOBAL__N_120geam_min_plus_kernelIf15HIP_vector_typeIfLj2EES2_Li8ELi32ELi64ELi128ELi4ELi64ELi4ELi4ELi64ELc78ELc78ELb1ELb0ELb0EfKPKfKPfEEviiiT16_PT17_ilSA_ilS8_SA_ilPT18_ili26rocblas_geam_ex_operation_, .Lfunc_end28-_ZN12_GLOBAL__N_120geam_min_plus_kernelIf15HIP_vector_typeIfLj2EES2_Li8ELi32ELi64ELi128ELi4ELi64ELi4ELi4ELi64ELc78ELc78ELb1ELb0ELb0EfKPKfKPfEEviiiT16_PT17_ilSA_ilS8_SA_ilPT18_ili26rocblas_geam_ex_operation_
                                        ; -- End function
	.section	.AMDGPU.csdata,"",@progbits
; Kernel info:
; codeLenInByte = 9744
; NumSgprs: 24
; NumVgprs: 224
; ScratchSize: 0
; MemoryBound: 0
; FloatMode: 240
; IeeeMode: 1
; LDSByteSize: 6144 bytes/workgroup (compile time only)
; SGPRBlocks: 2
; VGPRBlocks: 27
; NumSGPRsForWavesPerEU: 24
; NumVGPRsForWavesPerEU: 224
; Occupancy: 6
; WaveLimiterHint : 1
; COMPUTE_PGM_RSRC2:SCRATCH_EN: 0
; COMPUTE_PGM_RSRC2:USER_SGPR: 14
; COMPUTE_PGM_RSRC2:TRAP_HANDLER: 0
; COMPUTE_PGM_RSRC2:TGID_X_EN: 1
; COMPUTE_PGM_RSRC2:TGID_Y_EN: 0
; COMPUTE_PGM_RSRC2:TGID_Z_EN: 1
; COMPUTE_PGM_RSRC2:TIDIG_COMP_CNT: 1
	.section	.text._ZN12_GLOBAL__N_120geam_min_plus_kernelIf15HIP_vector_typeIfLj2EES2_Li8ELi32ELi64ELi128ELi4ELi64ELi4ELi4ELi64ELc78ELc78ELb0ELb0ELb0EfKPKfKPfEEviiiT16_PT17_ilSA_ilS8_SA_ilPT18_ili26rocblas_geam_ex_operation_,"axG",@progbits,_ZN12_GLOBAL__N_120geam_min_plus_kernelIf15HIP_vector_typeIfLj2EES2_Li8ELi32ELi64ELi128ELi4ELi64ELi4ELi4ELi64ELc78ELc78ELb0ELb0ELb0EfKPKfKPfEEviiiT16_PT17_ilSA_ilS8_SA_ilPT18_ili26rocblas_geam_ex_operation_,comdat
	.globl	_ZN12_GLOBAL__N_120geam_min_plus_kernelIf15HIP_vector_typeIfLj2EES2_Li8ELi32ELi64ELi128ELi4ELi64ELi4ELi4ELi64ELc78ELc78ELb0ELb0ELb0EfKPKfKPfEEviiiT16_PT17_ilSA_ilS8_SA_ilPT18_ili26rocblas_geam_ex_operation_ ; -- Begin function _ZN12_GLOBAL__N_120geam_min_plus_kernelIf15HIP_vector_typeIfLj2EES2_Li8ELi32ELi64ELi128ELi4ELi64ELi4ELi4ELi64ELc78ELc78ELb0ELb0ELb0EfKPKfKPfEEviiiT16_PT17_ilSA_ilS8_SA_ilPT18_ili26rocblas_geam_ex_operation_
	.p2align	8
	.type	_ZN12_GLOBAL__N_120geam_min_plus_kernelIf15HIP_vector_typeIfLj2EES2_Li8ELi32ELi64ELi128ELi4ELi64ELi4ELi4ELi64ELc78ELc78ELb0ELb0ELb0EfKPKfKPfEEviiiT16_PT17_ilSA_ilS8_SA_ilPT18_ili26rocblas_geam_ex_operation_,@function
_ZN12_GLOBAL__N_120geam_min_plus_kernelIf15HIP_vector_typeIfLj2EES2_Li8ELi32ELi64ELi128ELi4ELi64ELi4ELi4ELi64ELc78ELc78ELb0ELb0ELb0EfKPKfKPfEEviiiT16_PT17_ilSA_ilS8_SA_ilPT18_ili26rocblas_geam_ex_operation_: ; @_ZN12_GLOBAL__N_120geam_min_plus_kernelIf15HIP_vector_typeIfLj2EES2_Li8ELi32ELi64ELi128ELi4ELi64ELi4ELi4ELi64ELc78ELc78ELb0ELb0ELb0EfKPKfKPfEEviiiT16_PT17_ilSA_ilS8_SA_ilPT18_ili26rocblas_geam_ex_operation_
; %bb.0:
	s_clause 0x1
	s_load_b64 s[8:9], s[0:1], 0x8
	s_load_b128 s[4:7], s[0:1], 0x20
	s_mov_b32 s18, s15
	s_mov_b32 s19, 0
	s_waitcnt lgkmcnt(0)
	v_cmp_eq_f32_e64 s2, s9, 0
	s_delay_alu instid0(VALU_DEP_1)
	s_and_b32 vcc_lo, exec_lo, s2
	s_cbranch_vccnz .LBB29_3
; %bb.1:
	s_load_b64 s[10:11], s[0:1], 0x10
	s_lshl_b64 s[12:13], s[18:19], 3
	s_waitcnt lgkmcnt(0)
	s_add_u32 s10, s10, s12
	s_addc_u32 s11, s11, s13
	s_lshl_b64 s[4:5], s[4:5], 2
	s_load_b64 s[10:11], s[10:11], 0x0
	s_waitcnt lgkmcnt(0)
	s_add_u32 s10, s10, s4
	s_addc_u32 s11, s11, s5
	s_and_not1_b32 vcc_lo, exec_lo, s2
	s_cbranch_vccnz .LBB29_4
.LBB29_2:
	s_mov_b64 s[12:13], 0
	s_and_not1_b32 vcc_lo, exec_lo, s19
	s_cbranch_vccz .LBB29_5
	s_branch .LBB29_6
.LBB29_3:
	s_mov_b64 s[10:11], 0
	s_and_not1_b32 vcc_lo, exec_lo, s2
	s_cbranch_vccz .LBB29_2
.LBB29_4:
	s_mov_b32 s19, -1
                                        ; implicit-def: $sgpr12_sgpr13
.LBB29_5:
	s_mov_b32 s19, 0
	s_load_b64 s[4:5], s[0:1], 0x38
	s_lshl_b64 s[2:3], s[18:19], 3
	s_delay_alu instid0(SALU_CYCLE_1) | instskip(SKIP_4) | instid1(SALU_CYCLE_1)
	s_add_u32 s2, s6, s2
	s_addc_u32 s3, s7, s3
	s_load_b64 s[2:3], s[2:3], 0x0
	s_waitcnt lgkmcnt(0)
	s_lshl_b64 s[4:5], s[4:5], 2
	s_add_u32 s12, s2, s4
	s_addc_u32 s13, s3, s5
.LBB29_6:
	s_clause 0x1
	s_load_b32 s15, s[0:1], 0x40
	s_load_b128 s[4:7], s[0:1], 0x58
	v_cmp_neq_f32_e64 s21, s9, 0
	s_waitcnt lgkmcnt(0)
	v_cmp_eq_f32_e64 s2, s15, 0
	s_delay_alu instid0(VALU_DEP_1) | instskip(NEXT) | instid1(SALU_CYCLE_1)
	s_and_b32 s2, exec_lo, s2
	s_mov_b32 vcc_lo, s2
	s_cbranch_vccnz .LBB29_8
; %bb.7:
	s_load_b64 s[16:17], s[0:1], 0x48
	s_lshl_b64 s[22:23], s[18:19], 3
	s_waitcnt lgkmcnt(0)
	s_add_u32 s16, s16, s22
	s_addc_u32 s17, s17, s23
	s_lshl_b64 s[4:5], s[4:5], 2
	s_load_b64 s[16:17], s[16:17], 0x0
	s_waitcnt lgkmcnt(0)
	s_add_u32 s4, s16, s4
	s_addc_u32 s5, s17, s5
	s_branch .LBB29_9
.LBB29_8:
	s_mov_b64 s[4:5], 0
.LBB29_9:
	s_clause 0x1
	s_load_b32 s16, s[0:1], 0x18
	s_load_b32 s3, s[0:1], 0x0
	s_lshl_b64 s[18:19], s[18:19], 3
	v_and_b32_e32 v52, 0x3ff, v0
	v_bfe_u32 v53, v0, 10, 10
	s_delay_alu instid0(VALU_DEP_1) | instskip(NEXT) | instid1(VALU_DEP_1)
	v_lshl_add_u32 v4, v53, 3, v52
	v_and_b32_e32 v3, 63, v4
	v_lshrrev_b32_e32 v2, 6, v4
	s_waitcnt lgkmcnt(0)
	s_ashr_i32 s17, s16, 31
	s_add_u32 s6, s6, s18
	s_addc_u32 s7, s7, s19
	s_add_i32 s3, s3, -1
	s_delay_alu instid0(SALU_CYCLE_1) | instskip(NEXT) | instid1(SALU_CYCLE_1)
	s_ashr_i32 s18, s3, 31
	s_lshr_b32 s18, s18, 26
	s_delay_alu instid0(SALU_CYCLE_1) | instskip(NEXT) | instid1(SALU_CYCLE_1)
	s_add_i32 s3, s3, s18
	s_ashr_i32 s3, s3, 6
	s_delay_alu instid0(SALU_CYCLE_1) | instskip(SKIP_2) | instid1(VALU_DEP_1)
	s_add_i32 s18, s3, 1
	s_not_b32 s3, s3
	v_cvt_f32_u32_e32 v1, s18
	v_rcp_iflag_f32_e32 v1, v1
	s_waitcnt_depctr 0xfff
	v_mul_f32_e32 v1, 0x4f7ffffe, v1
	s_delay_alu instid0(VALU_DEP_1) | instskip(NEXT) | instid1(VALU_DEP_1)
	v_cvt_u32_f32_e32 v1, v1
	v_readfirstlane_b32 s19, v1
	v_cndmask_b32_e64 v1, 0, 1, s21
	s_delay_alu instid0(VALU_DEP_2) | instskip(NEXT) | instid1(SALU_CYCLE_1)
	s_mul_i32 s3, s3, s19
	s_mul_hi_u32 s3, s19, s3
	s_delay_alu instid0(SALU_CYCLE_1) | instskip(NEXT) | instid1(SALU_CYCLE_1)
	s_add_i32 s19, s19, s3
	s_mul_hi_u32 s3, s14, s19
	s_delay_alu instid0(SALU_CYCLE_1) | instskip(SKIP_2) | instid1(SALU_CYCLE_1)
	s_mul_i32 s19, s3, s18
	s_add_i32 s20, s3, 1
	s_sub_i32 s19, s14, s19
	s_sub_i32 s22, s19, s18
	s_cmp_ge_u32 s19, s18
	s_cselect_b32 s3, s20, s3
	s_cselect_b32 s19, s22, s19
	s_add_i32 s20, s3, 1
	s_cmp_ge_u32 s19, s18
	s_cselect_b32 s19, s20, s3
	s_and_not1_b32 vcc_lo, exec_lo, s21
	s_mul_i32 s20, s19, s18
	s_delay_alu instid0(SALU_CYCLE_1) | instskip(NEXT) | instid1(SALU_CYCLE_1)
	s_sub_i32 s3, s14, s20
	s_lshl_b32 s18, s3, 6
	v_cmp_ne_u32_e64 s3, 1, v1
	v_or_b32_e32 v0, s18, v3
	s_delay_alu instid0(VALU_DEP_1)
	v_ashrrev_i32_e32 v1, 31, v0
	s_cbranch_vccnz .LBB29_11
; %bb.10:
	v_mad_i64_i32 v[5:6], null, s16, v2, 0
	s_delay_alu instid0(VALU_DEP_2) | instskip(NEXT) | instid1(VALU_DEP_2)
	v_lshlrev_b64 v[7:8], 2, v[0:1]
	v_lshlrev_b64 v[5:6], 2, v[5:6]
	s_delay_alu instid0(VALU_DEP_1) | instskip(NEXT) | instid1(VALU_DEP_2)
	v_add_co_u32 v5, vcc_lo, s10, v5
	v_add_co_ci_u32_e32 v6, vcc_lo, s11, v6, vcc_lo
	s_delay_alu instid0(VALU_DEP_2) | instskip(NEXT) | instid1(VALU_DEP_2)
	v_add_co_u32 v5, vcc_lo, v5, v7
	v_add_co_ci_u32_e32 v6, vcc_lo, v6, v8, vcc_lo
	flat_load_b32 v5, v[5:6]
	s_waitcnt vmcnt(0) lgkmcnt(0)
	v_mul_f32_e32 v8, s9, v5
	s_branch .LBB29_12
.LBB29_11:
	v_mov_b32_e32 v8, 0
.LBB29_12:
	s_load_b32 s21, s[0:1], 0x30
	v_lshrrev_b32_e32 v9, 2, v4
	s_lshl_b32 s19, s19, 7
	v_and_b32_e32 v5, 3, v52
	s_and_b32 vcc_lo, exec_lo, s3
	s_delay_alu instid0(VALU_DEP_2) | instskip(NEXT) | instid1(VALU_DEP_2)
	v_add_nc_u32_e32 v4, s19, v9
	v_lshlrev_b32_e32 v58, 2, v5
	s_delay_alu instid0(VALU_DEP_2)
	v_add_nc_u32_e32 v5, 64, v4
	s_cbranch_vccnz .LBB29_16
; %bb.13:
	s_waitcnt lgkmcnt(0)
	v_mad_i64_i32 v[6:7], null, v4, s21, 0
	s_delay_alu instid0(VALU_DEP_2) | instskip(SKIP_1) | instid1(VALU_DEP_1)
	v_mad_i64_i32 v[10:11], null, v5, s21, 0
	v_add_co_u32 v12, s22, s12, v58
	v_add_co_ci_u32_e64 v13, null, s13, 0, s22
	s_delay_alu instid0(VALU_DEP_4) | instskip(NEXT) | instid1(VALU_DEP_4)
	v_lshlrev_b64 v[6:7], 2, v[6:7]
	v_lshlrev_b64 v[10:11], 2, v[10:11]
	s_delay_alu instid0(VALU_DEP_2) | instskip(NEXT) | instid1(VALU_DEP_3)
	v_add_co_u32 v6, vcc_lo, v12, v6
	v_add_co_ci_u32_e32 v7, vcc_lo, v13, v7, vcc_lo
	s_delay_alu instid0(VALU_DEP_3) | instskip(NEXT) | instid1(VALU_DEP_4)
	v_add_co_u32 v10, vcc_lo, v12, v10
	v_add_co_ci_u32_e32 v11, vcc_lo, v13, v11, vcc_lo
	s_clause 0x1
	flat_load_b32 v6, v[6:7]
	flat_load_b32 v7, v[10:11]
	s_waitcnt vmcnt(0) lgkmcnt(0)
	v_dual_mul_f32 v10, s9, v6 :: v_dual_mul_f32 v11, s9, v7
	s_and_b32 vcc_lo, exec_lo, s3
	s_cbranch_vccnz .LBB29_17
.LBB29_14:
	v_add_nc_u32_e32 v12, 4, v2
	v_lshlrev_b64 v[0:1], 2, v[0:1]
	s_delay_alu instid0(VALU_DEP_2) | instskip(NEXT) | instid1(VALU_DEP_1)
	v_mad_i64_i32 v[6:7], null, s16, v12, 0
	v_lshlrev_b64 v[6:7], 2, v[6:7]
	s_delay_alu instid0(VALU_DEP_1) | instskip(NEXT) | instid1(VALU_DEP_2)
	v_add_co_u32 v6, vcc_lo, s10, v6
	v_add_co_ci_u32_e32 v7, vcc_lo, s11, v7, vcc_lo
	s_delay_alu instid0(VALU_DEP_2) | instskip(NEXT) | instid1(VALU_DEP_2)
	v_add_co_u32 v0, vcc_lo, v6, v0
	v_add_co_ci_u32_e32 v1, vcc_lo, v7, v1, vcc_lo
	flat_load_b32 v0, v[0:1]
	s_waitcnt vmcnt(0) lgkmcnt(0)
	v_mul_f32_e32 v0, s9, v0
	s_and_b32 vcc_lo, exec_lo, s3
	s_cbranch_vccnz .LBB29_18
.LBB29_15:
	s_waitcnt lgkmcnt(0)
	v_mad_i64_i32 v[6:7], null, v4, s21, 0
	v_mad_i64_i32 v[12:13], null, v5, s21, 0
	v_add_co_u32 v1, s22, s12, v58
	s_delay_alu instid0(VALU_DEP_1) | instskip(NEXT) | instid1(VALU_DEP_4)
	v_add_co_ci_u32_e64 v14, null, s13, 0, s22
	v_lshlrev_b64 v[6:7], 2, v[6:7]
	s_delay_alu instid0(VALU_DEP_4) | instskip(NEXT) | instid1(VALU_DEP_2)
	v_lshlrev_b64 v[12:13], 2, v[12:13]
	v_add_co_u32 v6, vcc_lo, v1, v6
	s_delay_alu instid0(VALU_DEP_3) | instskip(NEXT) | instid1(VALU_DEP_3)
	v_add_co_ci_u32_e32 v7, vcc_lo, v14, v7, vcc_lo
	v_add_co_u32 v12, vcc_lo, v1, v12
	s_delay_alu instid0(VALU_DEP_4)
	v_add_co_ci_u32_e32 v13, vcc_lo, v14, v13, vcc_lo
	s_clause 0x1
	flat_load_b32 v1, v[6:7] offset:16
	flat_load_b32 v7, v[12:13] offset:16
	s_waitcnt vmcnt(0) lgkmcnt(0)
	v_dual_mul_f32 v6, s9, v1 :: v_dual_mul_f32 v7, s9, v7
	s_branch .LBB29_19
.LBB29_16:
	v_dual_mov_b32 v10, 0 :: v_dual_mov_b32 v11, 0
	s_and_b32 vcc_lo, exec_lo, s3
	s_cbranch_vccz .LBB29_14
.LBB29_17:
	v_mov_b32_e32 v0, 0
	s_and_b32 vcc_lo, exec_lo, s3
	s_cbranch_vccz .LBB29_15
.LBB29_18:
	v_dual_mov_b32 v6, 0 :: v_dual_mov_b32 v7, 0
.LBB29_19:
	v_lshlrev_b32_e32 v1, 4, v3
	v_lshl_or_b32 v69, v9, 4, v58
	v_lshlrev_b32_e32 v54, 4, v53
	v_lshlrev_b32_e32 v55, 4, v52
	s_load_b64 s[6:7], s[6:7], 0x0
	v_lshl_add_u32 v1, v2, 2, v1
	s_cmp_lt_i32 s8, 9
	ds_store_2addr_stride64_b32 v69, v10, v11 offset1:4
	ds_store_b32 v1, v8 offset:4096
	s_waitcnt lgkmcnt(0)
	s_barrier
	buffer_gl0_inv
	ds_load_b128 v[8:11], v54
	ds_load_b128 v[12:15], v55 offset:4096
	ds_load_b128 v[16:19], v55 offset:4224
	;; [unrolled: 1-line block ×11, first 2 shown]
	ds_store_b32 v1, v0 offset:5120
	ds_store_2addr_stride64_b32 v69, v6, v7 offset0:8 offset1:12
	s_waitcnt lgkmcnt(0)
	s_barrier
	buffer_gl0_inv
	v_max_f32_e32 v8, v8, v8
	v_dual_max_f32 v12, v12, v12 :: v_dual_max_f32 v9, v9, v9
	v_dual_max_f32 v13, v13, v13 :: v_dual_max_f32 v16, v16, v16
	;; [unrolled: 1-line block ×3, first 2 shown]
	v_max_f32_e32 v29, v29, v29
	v_dual_max_f32 v17, v17, v17 :: v_dual_max_f32 v20, v20, v20
	v_dual_max_f32 v21, v21, v21 :: v_dual_min_f32 v56, v12, v8
	v_dual_min_f32 v57, v13, v9 :: v_dual_max_f32 v24, v24, v24
	s_delay_alu instid0(VALU_DEP_4)
	v_dual_min_f32 v70, v28, v8 :: v_dual_min_f32 v71, v29, v9
	v_dual_max_f32 v32, v32, v32 :: v_dual_max_f32 v33, v33, v33
	v_dual_max_f32 v36, v36, v36 :: v_dual_max_f32 v37, v37, v37
	v_max_f32_e32 v40, v40, v40
	v_dual_max_f32 v10, v10, v10 :: v_dual_max_f32 v41, v41, v41
	v_dual_max_f32 v44, v44, v44 :: v_dual_max_f32 v15, v15, v15
	;; [unrolled: 1-line block ×3, first 2 shown]
	v_dual_min_f32 v63, v16, v8 :: v_dual_min_f32 v64, v17, v9
	v_dual_min_f32 v65, v20, v8 :: v_dual_min_f32 v66, v21, v9
	;; [unrolled: 1-line block ×5, first 2 shown]
	v_dual_min_f32 v8, v40, v8 :: v_dual_max_f32 v11, v11, v11
	v_dual_min_f32 v9, v41, v9 :: v_dual_min_f32 v76, v12, v44
	v_dual_max_f32 v18, v18, v18 :: v_dual_max_f32 v19, v19, v19
	v_dual_min_f32 v77, v13, v45 :: v_dual_min_f32 v78, v16, v44
	v_dual_min_f32 v79, v17, v45 :: v_dual_min_f32 v80, v20, v44
	;; [unrolled: 1-line block ×4, first 2 shown]
	v_dual_min_f32 v85, v32, v44 :: v_dual_max_f32 v38, v38, v38
	v_dual_max_f32 v48, v48, v48 :: v_dual_max_f32 v39, v39, v39
	v_dual_min_f32 v86, v36, v44 :: v_dual_max_f32 v43, v43, v43
	v_dual_min_f32 v44, v40, v44 :: v_dual_max_f32 v49, v49, v49
	v_dual_max_f32 v50, v50, v50 :: v_dual_max_f32 v59, v59, v59
	v_dual_max_f32 v60, v60, v60 :: v_dual_max_f32 v61, v61, v61
	;; [unrolled: 1-line block ×4, first 2 shown]
	v_dual_min_f32 v87, v12, v48 :: v_dual_max_f32 v42, v42, v42
	v_dual_min_f32 v122, v16, v48 :: v_dual_max_f32 v47, v47, v47
	v_dual_max_f32 v46, v46, v46 :: v_dual_min_f32 v123, v20, v48
	v_dual_min_f32 v124, v24, v48 :: v_dual_max_f32 v51, v51, v51
	v_dual_max_f32 v62, v62, v62 :: v_dual_min_f32 v125, v28, v48
	v_min_f32_e32 v126, v32, v48
	v_dual_min_f32 v127, v36, v48 :: v_dual_min_f32 v88, v33, v45
	v_dual_min_f32 v48, v40, v48 :: v_dual_min_f32 v89, v37, v45
	v_min_f32_e32 v12, v12, v59
	v_dual_min_f32 v16, v16, v59 :: v_dual_min_f32 v91, v17, v49
	v_dual_min_f32 v20, v20, v59 :: v_dual_min_f32 v129, v25, v49
	;; [unrolled: 1-line block ×3, first 2 shown]
	v_min_f32_e32 v28, v28, v59
	v_min_f32_e32 v32, v32, v59
	v_dual_min_f32 v36, v36, v59 :: v_dual_min_f32 v17, v17, v60
	v_dual_min_f32 v40, v40, v59 :: v_dual_min_f32 v59, v29, v45
	v_min_f32_e32 v45, v41, v45
	v_dual_min_f32 v90, v13, v49 :: v_dual_min_f32 v93, v19, v11
	v_dual_min_f32 v128, v21, v49 :: v_dual_add_f32 v63, 0, v63
	v_dual_min_f32 v130, v29, v49 :: v_dual_min_f32 v95, v23, v11
	v_min_f32_e32 v13, v13, v60
	v_min_f32_e32 v21, v21, v60
	;; [unrolled: 1-line block ×3, first 2 shown]
	v_dual_min_f32 v29, v29, v60 :: v_dual_min_f32 v92, v14, v10
	v_dual_min_f32 v33, v33, v60 :: v_dual_min_f32 v94, v18, v10
	v_dual_add_f32 v57, 0, v57 :: v_dual_add_f32 v56, 0, v56
	v_min_f32_e32 v132, v37, v49
	v_min_f32_e32 v49, v41, v49
	v_dual_min_f32 v37, v37, v60 :: v_dual_add_f32 v66, 0, v66
	v_dual_min_f32 v41, v41, v60 :: v_dual_min_f32 v60, v15, v11
	v_dual_add_f32 v64, 0, v64 :: v_dual_add_f32 v119, v94, v63
	v_dual_max_f32 v26, v26, v26 :: v_dual_max_f32 v27, v27, v27
	v_dual_max_f32 v34, v34, v34 :: v_dual_max_f32 v35, v35, v35
	s_delay_alu instid0(VALU_DEP_4)
	v_add_f32_e32 v120, v60, v57
	v_add_f32_e32 v121, v92, v56
	v_dual_add_f32 v118, v93, v64 :: v_dual_min_f32 v57, v22, v10
	v_dual_add_f32 v56, 0, v65 :: v_dual_min_f32 v63, v27, v11
	;; [unrolled: 1-line block ×3, first 2 shown]
	v_add_f32_e32 v68, 0, v70
	v_min_f32_e32 v70, v30, v10
	s_delay_alu instid0(VALU_DEP_4) | instskip(SKIP_1) | instid1(VALU_DEP_3)
	v_dual_add_f32 v116, v95, v66 :: v_dual_add_f32 v117, v57, v56
	v_min_f32_e32 v57, v35, v11
	v_dual_add_f32 v64, 0, v67 :: v_dual_add_f32 v113, v70, v68
	v_add_f32_e32 v66, 0, v71
	v_dual_min_f32 v67, v31, v11 :: v_dual_add_f32 v56, 0, v73
	v_dual_add_f32 v114, v63, v60 :: v_dual_min_f32 v63, v34, v10
	s_delay_alu instid0(VALU_DEP_2) | instskip(SKIP_4) | instid1(VALU_DEP_4)
	v_dual_add_f32 v115, v65, v64 :: v_dual_add_f32 v112, v67, v66
	v_dual_add_f32 v9, 0, v9 :: v_dual_add_f32 v60, 0, v72
	v_dual_min_f32 v67, v38, v10 :: v_dual_add_f32 v64, 0, v75
	v_dual_min_f32 v65, v39, v11 :: v_dual_add_f32 v66, 0, v74
	;; [unrolled: 1-line block ×3, first 2 shown]
	v_add_f32_e32 v111, v63, v60
	s_delay_alu instid0(VALU_DEP_3) | instskip(SKIP_1) | instid1(VALU_DEP_4)
	v_add_f32_e32 v108, v65, v64
	v_add_f32_e32 v8, 0, v8
	v_dual_add_f32 v106, v11, v9 :: v_dual_min_f32 v57, v14, v46
	v_dual_min_f32 v9, v42, v10 :: v_dual_add_f32 v10, 0, v77
	v_min_f32_e32 v63, v19, v47
	v_dual_min_f32 v11, v15, v47 :: v_dual_add_f32 v56, 0, v76
	v_dual_min_f32 v65, v18, v46 :: v_dual_add_f32 v60, 0, v79
	s_delay_alu instid0(VALU_DEP_4) | instskip(NEXT) | instid1(VALU_DEP_3)
	v_dual_add_f32 v107, v9, v8 :: v_dual_add_f32 v64, 0, v78
	v_dual_add_f32 v105, v57, v56 :: v_dual_add_f32 v104, v11, v10
	s_delay_alu instid0(VALU_DEP_3) | instskip(NEXT) | instid1(VALU_DEP_3)
	v_dual_add_f32 v102, v63, v60 :: v_dual_min_f32 v11, v22, v46
	v_dual_add_f32 v103, v65, v64 :: v_dual_add_f32 v8, 0, v81
	v_dual_min_f32 v9, v23, v47 :: v_dual_add_f32 v10, 0, v80
	v_min_f32_e32 v57, v27, v47
	v_dual_add_f32 v56, 0, v83 :: v_dual_min_f32 v63, v26, v46
	v_dual_add_f32 v60, 0, v82 :: v_dual_add_f32 v59, 0, v59
	s_delay_alu instid0(VALU_DEP_2) | instskip(SKIP_1) | instid1(VALU_DEP_2)
	v_dual_min_f32 v64, v31, v47 :: v_dual_add_f32 v97, v57, v56
	v_dual_add_f32 v100, v9, v8 :: v_dual_add_f32 v101, v11, v10
	v_dual_add_f32 v99, v63, v60 :: v_dual_add_f32 v96, v64, v59
	v_dual_add_f32 v8, 0, v84 :: v_dual_min_f32 v9, v30, v46
	v_dual_add_f32 v10, 0, v88 :: v_dual_min_f32 v11, v35, v47
	;; [unrolled: 1-line block ×4, first 2 shown]
	s_delay_alu instid0(VALU_DEP_4) | instskip(NEXT) | instid1(VALU_DEP_3)
	v_dual_add_f32 v63, 0, v86 :: v_dual_add_f32 v98, v9, v8
	v_dual_min_f32 v64, v38, v46 :: v_dual_add_f32 v95, v57, v56
	v_add_f32_e32 v94, v11, v10
	s_delay_alu instid0(VALU_DEP_4) | instskip(SKIP_4) | instid1(VALU_DEP_3)
	v_dual_add_f32 v92, v60, v59 :: v_dual_min_f32 v11, v42, v46
	v_dual_add_f32 v8, 0, v45 :: v_dual_min_f32 v9, v43, v47
	;; [unrolled: 1-line block ×5, first 2 shown]
	v_dual_add_f32 v56, 0, v91 :: v_dual_add_f32 v91, v11, v10
	v_add_f32_e32 v90, v9, v8
	s_delay_alu instid0(VALU_DEP_4) | instskip(NEXT) | instid1(VALU_DEP_3)
	v_dual_add_f32 v88, v45, v44 :: v_dual_min_f32 v9, v18, v50
	v_dual_add_f32 v89, v47, v46 :: v_dual_add_f32 v86, v57, v56
	v_dual_min_f32 v11, v23, v51 :: v_dual_add_f32 v8, 0, v122
	v_dual_min_f32 v47, v27, v51 :: v_dual_add_f32 v10, 0, v128
	;; [unrolled: 1-line block ×4, first 2 shown]
	s_delay_alu instid0(VALU_DEP_4) | instskip(SKIP_1) | instid1(VALU_DEP_4)
	v_add_f32_e32 v87, v9, v8
	v_dual_add_f32 v56, 0, v124 :: v_dual_min_f32 v9, v31, v51
	v_dual_add_f32 v84, v11, v10 :: v_dual_add_f32 v85, v45, v44
	s_delay_alu instid0(VALU_DEP_2) | instskip(SKIP_4) | instid1(VALU_DEP_3)
	v_dual_add_f32 v82, v47, v46 :: v_dual_add_f32 v83, v57, v56
	v_dual_add_f32 v8, 0, v130 :: v_dual_min_f32 v45, v35, v51
	v_dual_add_f32 v10, 0, v125 :: v_dual_min_f32 v11, v30, v50
	v_dual_add_f32 v44, 0, v131 :: v_dual_min_f32 v47, v34, v50
	v_dual_add_f32 v46, 0, v126 :: v_dual_min_f32 v57, v39, v51
	v_dual_add_f32 v56, 0, v132 :: v_dual_add_f32 v81, v11, v10
	s_delay_alu instid0(VALU_DEP_2) | instskip(NEXT) | instid1(VALU_DEP_4)
	v_dual_add_f32 v80, v9, v8 :: v_dual_add_f32 v79, v47, v46
	v_dual_add_f32 v77, v45, v44 :: v_dual_add_f32 v8, 0, v127
	s_delay_alu instid0(VALU_DEP_3)
	v_dual_add_f32 v76, v57, v56 :: v_dual_min_f32 v9, v38, v50
	v_dual_add_f32 v10, 0, v49 :: v_dual_min_f32 v11, v43, v51
	v_dual_add_f32 v13, 0, v13 :: v_dual_add_f32 v12, 0, v12
	v_dual_min_f32 v15, v15, v62 :: v_dual_min_f32 v14, v14, v61
	v_dual_add_f32 v44, 0, v48 :: v_dual_min_f32 v45, v42, v50
	v_dual_add_f32 v78, v9, v8 :: v_dual_add_f32 v9, 0, v17
	v_add_f32_e32 v74, v11, v10
	s_delay_alu instid0(VALU_DEP_4)
	v_dual_add_f32 v70, v15, v13 :: v_dual_add_f32 v73, v14, v12
	v_dual_add_f32 v8, 0, v16 :: v_dual_add_f32 v11, 0, v21
	;; [unrolled: 1-line block ×3, first 2 shown]
	v_dual_add_f32 v24, 0, v40 :: v_dual_min_f32 v23, v23, v62
	v_dual_add_f32 v109, v67, v66 :: v_dual_add_f32 v10, 0, v20
	v_dual_add_f32 v13, 0, v25 :: v_dual_add_f32 v14, 0, v28
	;; [unrolled: 1-line block ×3, first 2 shown]
	v_min_f32_e32 v19, v19, v62
	v_dual_add_f32 v66, v23, v11 :: v_dual_min_f32 v11, v30, v61
	v_dual_add_f32 v93, v64, v63 :: v_dual_min_f32 v22, v22, v61
	v_dual_add_f32 v16, 0, v32 :: v_dual_add_f32 v21, 0, v37
	s_delay_alu instid0(VALU_DEP_3) | instskip(SKIP_1) | instid1(VALU_DEP_4)
	v_add_f32_e32 v64, v11, v14
	v_min_f32_e32 v11, v43, v62
	v_dual_add_f32 v71, v19, v9 :: v_dual_add_f32 v68, v22, v10
	v_min_f32_e32 v9, v26, v61
	v_min_f32_e32 v18, v18, v61
	v_dual_min_f32 v10, v31, v62 :: v_dual_add_f32 v75, v45, v44
	s_delay_alu instid0(VALU_DEP_3) | instskip(NEXT) | instid1(VALU_DEP_3)
	v_add_f32_e32 v67, v9, v12
	v_dual_add_f32 v25, 0, v41 :: v_dual_add_f32 v72, v18, v8
	s_delay_alu instid0(VALU_DEP_3) | instskip(SKIP_3) | instid1(VALU_DEP_4)
	v_dual_min_f32 v8, v27, v62 :: v_dual_add_f32 v63, v10, v15
	v_min_f32_e32 v9, v34, v61
	v_min_f32_e32 v12, v42, v61
	;; [unrolled: 1-line block ×3, first 2 shown]
	v_dual_add_f32 v65, v8, v13 :: v_dual_min_f32 v8, v35, v62
	s_delay_alu instid0(VALU_DEP_3) | instskip(NEXT) | instid1(VALU_DEP_2)
	v_dual_add_f32 v56, v11, v25 :: v_dual_add_f32 v57, v12, v24
	v_dual_add_f32 v60, v10, v20 :: v_dual_add_f32 v59, v8, v17
	v_min_f32_e32 v8, v39, v62
	s_delay_alu instid0(VALU_DEP_1)
	v_dual_add_f32 v62, v9, v16 :: v_dual_add_f32 v61, v8, v21
	s_cbranch_scc1 .LBB29_33
; %bb.20:
	v_mad_i64_i32 v[6:7], null, s21, v5, 0
	v_lshl_or_b32 v5, s14, 6, v3
	s_lshl_b32 s14, s20, 6
	v_or_b32_e32 v122, 0x1000, v1
	v_add_nc_u32_e32 v124, 0x1400, v1
	v_mad_i64_i32 v[0:1], null, s21, v4, 0
	v_lshlrev_b64 v[3:4], 2, v[6:7]
	v_add_nc_u32_e32 v6, 8, v2
	v_subrev_nc_u32_e32 v5, s14, v5
	v_add_nc_u32_e32 v2, 12, v2
	v_add_nc_u32_e32 v123, 0x1000, v55
	;; [unrolled: 1-line block ×3, first 2 shown]
	v_mad_i64_i32 v[7:8], null, v6, s16, 0
	v_ashrrev_i32_e32 v6, 31, v5
	v_lshlrev_b64 v[0:1], 2, v[0:1]
	v_mad_i64_i32 v[9:10], null, v2, s16, 0
	v_add_co_u32 v128, vcc_lo, s12, v3
	s_delay_alu instid0(VALU_DEP_4) | instskip(SKIP_3) | instid1(VALU_DEP_4)
	v_lshlrev_b64 v[2:3], 2, v[5:6]
	v_add_co_ci_u32_e32 v129, vcc_lo, s13, v4, vcc_lo
	v_add_co_u32 v130, vcc_lo, s12, v0
	v_add_co_ci_u32_e32 v131, vcc_lo, s13, v1, vcc_lo
	v_add_co_u32 v132, vcc_lo, s10, v2
	v_lshlrev_b64 v[48:49], 2, v[7:8]
	v_lshlrev_b64 v[50:51], 2, v[9:10]
	v_lshl_add_u32 v126, v52, 4, 0x1400
	v_lshl_add_u32 v127, v53, 4, 0x800
	v_add_co_ci_u32_e32 v133, vcc_lo, s11, v3, vcc_lo
	s_add_i32 s8, s8, -8
	s_lshl_b64 s[10:11], s[16:17], 5
	s_mov_b32 s12, 0
	s_branch .LBB29_23
.LBB29_21:                              ;   in Loop: Header=BB29_23 Depth=1
	v_add_co_u32 v0, vcc_lo, v130, v58
	v_add_co_ci_u32_e32 v1, vcc_lo, 0, v131, vcc_lo
	v_add_co_u32 v217, vcc_lo, v128, v58
	v_add_co_ci_u32_e32 v218, vcc_lo, 0, v129, vcc_lo
	flat_load_b32 v0, v[0:1] offset:48
	flat_load_b32 v1, v[217:218] offset:48
	s_waitcnt vmcnt(0) lgkmcnt(0)
	v_dual_mul_f32 v0, s9, v0 :: v_dual_mul_f32 v1, s9, v1
.LBB29_22:                              ;   in Loop: Header=BB29_23 Depth=1
	v_dual_add_f32 v40, v40, v120 :: v_dual_add_f32 v29, v29, v117
	v_dual_add_f32 v28, v28, v118 :: v_dual_add_f32 v33, v33, v115
	;; [unrolled: 1-line block ×19, first 2 shown]
	ds_load_b128 v[20:23], v54
	ds_load_b128 v[28:31], v123
	v_dual_add_f32 v68, v10, v68 :: v_dual_add_f32 v67, v11, v67
	ds_load_b128 v[8:11], v123 offset:128
	v_dual_add_f32 v93, v143, v93 :: v_dual_add_f32 v4, v4, v92
	v_dual_add_f32 v66, v166, v66 :: v_dual_add_f32 v65, v168, v65
	;; [unrolled: 1-line block ×14, first 2 shown]
	s_waitcnt lgkmcnt(2)
	v_dual_add_f32 v136, v19, v46 :: v_dual_max_f32 v21, v21, v21
	ds_load_b128 v[2:5], v123 offset:256
	ds_load_b128 v[12:15], v123 offset:384
	;; [unrolled: 1-line block ×5, first 2 shown]
	v_dual_add_f32 v7, v7, v43 :: v_dual_max_f32 v20, v20, v20
	s_waitcnt lgkmcnt(6)
	v_dual_max_f32 v28, v28, v28 :: v_dual_max_f32 v29, v29, v29
	s_waitcnt lgkmcnt(5)
	v_dual_max_f32 v8, v8, v8 :: v_dual_max_f32 v9, v9, v9
	v_dual_add_f32 v57, v38, v36 :: v_dual_add_f32 v104, v39, v37
	v_dual_add_f32 v92, v42, v41 :: v_dual_add_f32 v117, v180, v44
	ds_load_b128 v[36:39], v123 offset:768
	ds_load_b128 v[40:43], v123 offset:896
	v_dual_add_f32 v99, v137, v99 :: v_dual_add_f32 v98, v139, v98
	v_dual_add_f32 v97, v138, v97 :: v_dual_add_f32 v96, v140, v96
	v_dual_min_f32 v137, v28, v20 :: v_dual_min_f32 v138, v29, v21
	s_waitcnt lgkmcnt(6)
	v_dual_min_f32 v139, v8, v20 :: v_dual_max_f32 v2, v2, v2
	s_waitcnt lgkmcnt(5)
	v_dual_max_f32 v3, v3, v3 :: v_dual_max_f32 v12, v12, v12
	v_dual_add_f32 v57, v137, v57 :: v_dual_add_f32 v56, v138, v56
	s_delay_alu instid0(VALU_DEP_3) | instskip(SKIP_2) | instid1(VALU_DEP_2)
	v_dual_min_f32 v137, v9, v21 :: v_dual_add_f32 v92, v139, v92
	v_dual_min_f32 v138, v2, v20 :: v_dual_max_f32 v13, v13, v13
	s_waitcnt lgkmcnt(4)
	v_dual_max_f32 v16, v16, v16 :: v_dual_add_f32 v91, v137, v91
	v_min_f32_e32 v139, v12, v20
	s_delay_alu instid0(VALU_DEP_3)
	v_dual_add_f32 v103, v138, v103 :: v_dual_min_f32 v138, v13, v21
	v_min_f32_e32 v137, v3, v21
	s_waitcnt lgkmcnt(1)
	v_dual_max_f32 v17, v17, v17 :: v_dual_max_f32 v36, v36, v36
	v_dual_add_f32 v105, v139, v105 :: v_dual_max_f32 v24, v24, v24
	v_add_f32_e32 v104, v138, v104
	v_dual_add_f32 v102, v137, v102 :: v_dual_min_f32 v137, v16, v20
	s_delay_alu instid0(VALU_DEP_4) | instskip(SKIP_2) | instid1(VALU_DEP_3)
	v_min_f32_e32 v138, v17, v21
	s_waitcnt lgkmcnt(0)
	v_dual_max_f32 v25, v25, v25 :: v_dual_max_f32 v40, v40, v40
	v_dual_max_f32 v32, v32, v32 :: v_dual_add_f32 v107, v137, v107
	s_delay_alu instid0(VALU_DEP_3) | instskip(SKIP_4) | instid1(VALU_DEP_4)
	v_add_f32_e32 v106, v138, v106
	v_min_f32_e32 v138, v36, v20
	v_min_f32_e32 v137, v24, v20
	;; [unrolled: 1-line block ×3, first 2 shown]
	v_max_f32_e32 v37, v37, v37
	v_dual_max_f32 v33, v33, v33 :: v_dual_add_f32 v138, v138, v111
	s_delay_alu instid0(VALU_DEP_3) | instskip(NEXT) | instid1(VALU_DEP_3)
	v_dual_add_f32 v109, v137, v109 :: v_dual_add_f32 v108, v139, v108
	v_dual_min_f32 v137, v37, v21 :: v_dual_min_f32 v20, v40, v20
	v_dual_add_f32 v100, v190, v100 :: v_dual_add_f32 v101, v181, v101
	v_max_f32_e32 v41, v41, v41
	s_delay_alu instid0(VALU_DEP_3)
	v_dual_add_f32 v137, v137, v110 :: v_dual_add_f32 v20, v20, v113
	v_dual_min_f32 v110, v28, v32 :: v_dual_min_f32 v111, v29, v33
	ds_load_b128 v[44:47], v54 offset:1024
	ds_load_b128 v[59:62], v54 offset:1536
	v_dual_add_f32 v95, v141, v95 :: v_dual_add_f32 v94, v142, v94
	v_dual_add_f32 v97, v191, v97 :: v_dual_add_f32 v96, v192, v96
	v_dual_add_f32 v140, v111, v114 :: v_dual_min_f32 v113, v8, v32
	v_dual_add_f32 v139, v110, v115 :: v_dual_min_f32 v110, v9, v33
	v_min_f32_e32 v21, v41, v21
	v_min_f32_e32 v111, v2, v32
	v_dual_add_f32 v99, v182, v99 :: v_dual_add_f32 v98, v183, v98
	s_delay_alu instid0(VALU_DEP_4) | instskip(SKIP_4) | instid1(VALU_DEP_4)
	v_add_f32_e32 v142, v110, v116
	v_min_f32_e32 v110, v13, v33
	v_dual_add_f32 v94, v193, v94 :: v_dual_add_f32 v95, v184, v95
	v_dual_add_f32 v21, v21, v112 :: v_dual_min_f32 v112, v3, v33
	v_add_f32_e32 v141, v113, v117
	v_add_f32_e32 v97, v110, v97
	v_min_f32_e32 v110, v17, v33
	v_add_f32_e32 v101, v111, v101
	v_min_f32_e32 v111, v16, v32
	v_min_f32_e32 v113, v12, v32
	v_dual_add_f32 v89, v145, v89 :: v_dual_add_f32 v88, v146, v88
	v_dual_add_f32 v87, v147, v87 :: v_dual_add_f32 v86, v148, v86
	v_add_f32_e32 v100, v112, v100
	v_min_f32_e32 v112, v24, v32
	v_dual_add_f32 v98, v111, v98 :: v_dual_add_f32 v99, v113, v99
	s_waitcnt lgkmcnt(1)
	v_max_f32_e32 v44, v44, v44
	v_min_f32_e32 v111, v36, v32
	v_add_f32_e32 v96, v110, v96
	v_min_f32_e32 v110, v37, v33
	v_max_f32_e32 v45, v45, v45
	v_dual_add_f32 v85, v149, v85 :: v_dual_add_f32 v84, v150, v84
	v_dual_add_f32 v83, v151, v83 :: v_dual_add_f32 v82, v152, v82
	;; [unrolled: 1-line block ×4, first 2 shown]
	v_dual_min_f32 v113, v25, v33 :: v_dual_min_f32 v32, v40, v32
	v_add_f32_e32 v93, v111, v93
	v_min_f32_e32 v33, v41, v33
	v_min_f32_e32 v111, v29, v45
	v_add_f32_e32 v95, v112, v95
	v_dual_min_f32 v112, v8, v44 :: v_dual_add_f32 v143, v110, v118
	v_dual_min_f32 v110, v28, v44 :: v_dual_add_f32 v81, v153, v81
	v_add_f32_e32 v80, v154, v80
	v_dual_add_f32 v84, v206, v84 :: v_dual_add_f32 v85, v197, v85
	v_dual_add_f32 v82, v207, v82 :: v_dual_add_f32 v83, v198, v83
	s_delay_alu instid0(VALU_DEP_4)
	v_add_f32_e32 v89, v110, v89
	v_dual_add_f32 v87, v112, v87 :: v_dual_min_f32 v110, v2, v44
	v_min_f32_e32 v112, v12, v44
	v_add_f32_e32 v88, v111, v88
	v_min_f32_e32 v111, v3, v45
	v_add_f32_e32 v33, v33, v90
	v_dual_min_f32 v90, v9, v45 :: v_dual_add_f32 v79, v155, v79
	v_add_f32_e32 v78, v157, v78
	v_dual_add_f32 v80, v208, v80 :: v_dual_add_f32 v81, v199, v81
	s_delay_alu instid0(VALU_DEP_3)
	v_add_f32_e32 v86, v90, v86
	v_dual_min_f32 v90, v13, v45 :: v_dual_add_f32 v83, v112, v83
	v_dual_add_f32 v85, v110, v85 :: v_dual_min_f32 v110, v16, v44
	v_dual_add_f32 v77, v156, v77 :: v_dual_add_f32 v76, v158, v76
	v_dual_add_f32 v75, v159, v75 :: v_dual_add_f32 v74, v160, v74
	;; [unrolled: 1-line block ×3, first 2 shown]
	v_add_f32_e32 v82, v90, v82
	s_delay_alu instid0(VALU_DEP_3)
	v_dual_add_f32 v75, v210, v75 :: v_dual_add_f32 v84, v111, v84
	v_dual_min_f32 v90, v17, v45 :: v_dual_min_f32 v111, v24, v44
	v_dual_add_f32 v81, v110, v81 :: v_dual_min_f32 v110, v36, v44
	v_dual_min_f32 v44, v40, v44 :: v_dual_add_f32 v77, v209, v77
	v_add_f32_e32 v74, v214, v74
	v_add_f32_e32 v76, v213, v76
	v_dual_min_f32 v112, v25, v45 :: v_dual_add_f32 v79, v111, v79
	v_add_f32_e32 v80, v90, v80
	s_waitcnt lgkmcnt(0)
	v_dual_min_f32 v90, v37, v45 :: v_dual_max_f32 v59, v59, v59
	v_dual_add_f32 v78, v110, v78 :: v_dual_min_f32 v45, v41, v45
	v_max_f32_e32 v60, v60, v60
	v_dual_max_f32 v22, v22, v22 :: v_dual_max_f32 v11, v11, v11
	v_max_f32_e32 v23, v23, v23
	s_delay_alu instid0(VALU_DEP_4) | instskip(NEXT) | instid1(VALU_DEP_4)
	v_dual_add_f32 v45, v45, v74 :: v_dual_min_f32 v2, v2, v59
	v_dual_min_f32 v13, v13, v60 :: v_dual_min_f32 v12, v12, v59
	v_dual_min_f32 v16, v16, v59 :: v_dual_min_f32 v17, v17, v60
	;; [unrolled: 1-line block ×3, first 2 shown]
	s_delay_alu instid0(VALU_DEP_3) | instskip(SKIP_1) | instid1(VALU_DEP_4)
	v_dual_add_f32 v13, v13, v65 :: v_dual_add_f32 v12, v12, v67
	v_dual_min_f32 v25, v25, v60 :: v_dual_min_f32 v36, v36, v59
	v_add_f32_e32 v16, v16, v64
	s_delay_alu instid0(VALU_DEP_4) | instskip(NEXT) | instid1(VALU_DEP_3)
	v_dual_add_f32 v24, v24, v121 :: v_dual_max_f32 v31, v31, v31
	v_dual_add_f32 v25, v25, v120 :: v_dual_add_f32 v6, v36, v6
	v_max_f32_e32 v30, v30, v30
	v_add_f32_e32 v36, v37, v135
	v_dual_min_f32 v37, v40, v59 :: v_dual_min_f32 v40, v41, v60
	v_dual_min_f32 v28, v28, v59 :: v_dual_min_f32 v9, v9, v60
	;; [unrolled: 1-line block ×3, first 2 shown]
	s_delay_alu instid0(VALU_DEP_3)
	v_add_f32_e32 v7, v37, v7
	v_min_f32_e32 v37, v31, v23
	v_min_f32_e32 v41, v30, v22
	v_max_f32_e32 v10, v10, v10
	v_dual_add_f32 v40, v40, v136 :: v_dual_min_f32 v59, v11, v23
	v_max_f32_e32 v5, v5, v5
	s_delay_alu instid0(VALU_DEP_4) | instskip(NEXT) | instid1(VALU_DEP_4)
	v_add_f32_e32 v121, v41, v57
	v_dual_add_f32 v120, v37, v56 :: v_dual_min_f32 v37, v10, v22
	v_dual_max_f32 v4, v4, v4 :: v_dual_max_f32 v15, v15, v15
	v_add_f32_e32 v32, v32, v119
	v_add_f32_e32 v118, v59, v91
	v_dual_min_f32 v41, v5, v23 :: v_dual_max_f32 v14, v14, v14
	s_delay_alu instid0(VALU_DEP_4) | instskip(SKIP_1) | instid1(VALU_DEP_3)
	v_dual_add_f32 v119, v37, v92 :: v_dual_min_f32 v56, v15, v23
	v_min_f32_e32 v37, v4, v22
	v_dual_add_f32 v116, v41, v102 :: v_dual_max_f32 v19, v19, v19
	s_delay_alu instid0(VALU_DEP_3) | instskip(NEXT) | instid1(VALU_DEP_3)
	v_dual_min_f32 v41, v14, v22 :: v_dual_add_f32 v114, v56, v104
	v_dual_add_f32 v117, v37, v103 :: v_dual_max_f32 v18, v18, v18
	s_delay_alu instid0(VALU_DEP_3) | instskip(NEXT) | instid1(VALU_DEP_3)
	v_dual_min_f32 v37, v19, v23 :: v_dual_max_f32 v26, v26, v26
	v_add_f32_e32 v115, v41, v105
	v_add_f32_e32 v94, v113, v94
	s_delay_alu instid0(VALU_DEP_4) | instskip(SKIP_3) | instid1(VALU_DEP_4)
	v_min_f32_e32 v41, v18, v22
	v_add_f32_e32 v77, v112, v77
	v_dual_max_f32 v27, v27, v27 :: v_dual_add_f32 v112, v37, v106
	v_dual_max_f32 v37, v39, v39 :: v_dual_max_f32 v38, v38, v38
	v_dual_add_f32 v113, v41, v107 :: v_dual_max_f32 v34, v34, v34
	v_max_f32_e32 v43, v43, v43
	s_delay_alu instid0(VALU_DEP_3) | instskip(SKIP_2) | instid1(VALU_DEP_4)
	v_min_f32_e32 v41, v37, v23
	v_min_f32_e32 v39, v27, v23
	v_dual_max_f32 v35, v35, v35 :: v_dual_min_f32 v56, v26, v22
	v_min_f32_e32 v23, v43, v23
	v_dual_add_f32 v73, v161, v73 :: v_dual_add_f32 v70, v162, v70
	s_delay_alu instid0(VALU_DEP_4) | instskip(SKIP_1) | instid1(VALU_DEP_4)
	v_add_f32_e32 v110, v39, v108
	v_add_f32_e32 v108, v41, v137
	;; [unrolled: 1-line block ×3, first 2 shown]
	v_min_f32_e32 v21, v11, v35
	v_max_f32_e32 v41, v42, v42
	v_dual_add_f32 v111, v56, v109 :: v_dual_min_f32 v42, v30, v34
	v_dual_add_f32 v72, v163, v72 :: v_dual_add_f32 v71, v164, v71
	s_delay_alu instid0(VALU_DEP_4) | instskip(SKIP_4) | instid1(VALU_DEP_4)
	v_add_f32_e32 v102, v21, v142
	v_min_f32_e32 v21, v5, v35
	v_min_f32_e32 v39, v38, v22
	;; [unrolled: 1-line block ×3, first 2 shown]
	v_dual_add_f32 v70, v215, v70 :: v_dual_add_f32 v71, v216, v71
	v_dual_add_f32 v100, v21, v100 :: v_dual_min_f32 v21, v19, v35
	s_delay_alu instid0(VALU_DEP_4) | instskip(SKIP_2) | instid1(VALU_DEP_4)
	v_add_f32_e32 v109, v39, v138
	v_min_f32_e32 v39, v31, v35
	v_dual_add_f32 v44, v44, v75 :: v_dual_min_f32 v29, v29, v60
	v_add_f32_e32 v96, v21, v96
	s_delay_alu instid0(VALU_DEP_3) | instskip(SKIP_1) | instid1(VALU_DEP_4)
	v_dual_min_f32 v21, v37, v35 :: v_dual_add_f32 v104, v39, v140
	v_min_f32_e32 v22, v41, v22
	v_dual_add_f32 v76, v90, v76 :: v_dual_add_f32 v29, v29, v70
	s_delay_alu instid0(VALU_DEP_3) | instskip(SKIP_1) | instid1(VALU_DEP_4)
	v_add_f32_e32 v92, v21, v143
	v_max_f32_e32 v21, v47, v47
	v_add_f32_e32 v107, v22, v20
	v_min_f32_e32 v20, v10, v34
	v_dual_min_f32 v22, v4, v34 :: v_dual_add_f32 v73, v211, v73
	v_dual_add_f32 v72, v212, v72 :: v_dual_add_f32 v3, v3, v66
	s_delay_alu instid0(VALU_DEP_3) | instskip(NEXT) | instid1(VALU_DEP_3)
	v_dual_add_f32 v103, v20, v141 :: v_dual_min_f32 v20, v14, v34
	v_dual_add_f32 v101, v22, v101 :: v_dual_min_f32 v22, v27, v35
	s_delay_alu instid0(VALU_DEP_3) | instskip(SKIP_1) | instid1(VALU_DEP_4)
	v_add_f32_e32 v8, v8, v72
	v_dual_add_f32 v2, v2, v68 :: v_dual_add_f32 v17, v17, v63
	v_dual_add_f32 v99, v20, v99 :: v_dual_min_f32 v20, v18, v34
	v_add_f32_e32 v105, v42, v139
	v_add_f32_e32 v94, v22, v94
	v_max_f32_e32 v22, v46, v46
	v_dual_add_f32 v28, v28, v73 :: v_dual_add_f32 v9, v9, v71
	v_add_f32_e32 v98, v20, v98
	v_dual_min_f32 v20, v38, v34 :: v_dual_add_f32 v97, v23, v97
	v_min_f32_e32 v23, v26, v34
	v_min_f32_e32 v34, v41, v34
	v_add_co_u32 v128, vcc_lo, v128, 32
	s_delay_alu instid0(VALU_DEP_4) | instskip(SKIP_1) | instid1(VALU_DEP_4)
	v_add_f32_e32 v93, v20, v93
	v_add_co_ci_u32_e32 v129, vcc_lo, 0, v129, vcc_lo
	v_dual_add_f32 v91, v34, v32 :: v_dual_min_f32 v32, v5, v21
	v_add_f32_e32 v95, v23, v95
	v_min_f32_e32 v23, v43, v35
	v_add_co_u32 v130, vcc_lo, v130, 32
	s_delay_alu instid0(VALU_DEP_4) | instskip(SKIP_3) | instid1(VALU_DEP_3)
	v_add_f32_e32 v84, v32, v84
	v_dual_min_f32 v20, v31, v21 :: v_dual_min_f32 v35, v30, v22
	v_min_f32_e32 v32, v18, v22
	v_add_co_ci_u32_e32 v131, vcc_lo, 0, v131, vcc_lo
	v_add_f32_e32 v88, v20, v88
	v_min_f32_e32 v20, v10, v22
	v_add_co_u32 v132, vcc_lo, v132, s10
	v_add_co_ci_u32_e32 v133, vcc_lo, s11, v133, vcc_lo
	s_delay_alu instid0(VALU_DEP_3)
	v_dual_add_f32 v87, v20, v87 :: v_dual_min_f32 v20, v14, v22
	v_add_f32_e32 v90, v23, v33
	v_min_f32_e32 v23, v11, v21
	v_min_f32_e32 v33, v15, v21
	s_add_i32 s12, s12, 8
	v_dual_add_f32 v83, v20, v83 :: v_dual_min_f32 v20, v27, v21
	s_delay_alu instid0(VALU_DEP_3) | instskip(SKIP_4) | instid1(VALU_DEP_3)
	v_add_f32_e32 v86, v23, v86
	v_min_f32_e32 v23, v4, v22
	v_add_f32_e32 v89, v35, v89
	s_cmp_ge_i32 s12, s8
	v_dual_add_f32 v77, v20, v77 :: v_dual_min_f32 v20, v38, v22
	v_add_f32_e32 v85, v23, v85
	v_min_f32_e32 v23, v19, v21
	ds_store_b32 v124, v134
	ds_store_2addr_stride64_b32 v125, v0, v1 offset1:4
	s_waitcnt lgkmcnt(0)
	v_add_f32_e32 v78, v20, v78
	s_barrier
	v_dual_add_f32 v80, v23, v80 :: v_dual_min_f32 v23, v37, v21
	buffer_gl0_inv
	v_dual_add_f32 v76, v23, v76 :: v_dual_max_f32 v23, v61, v61
	v_dual_add_f32 v81, v32, v81 :: v_dual_max_f32 v32, v62, v62
	v_dual_add_f32 v82, v33, v82 :: v_dual_min_f32 v21, v43, v21
	s_delay_alu instid0(VALU_DEP_2) | instskip(NEXT) | instid1(VALU_DEP_2)
	v_dual_min_f32 v4, v4, v23 :: v_dual_min_f32 v5, v5, v32
	v_dual_min_f32 v31, v31, v32 :: v_dual_add_f32 v74, v21, v45
	s_delay_alu instid0(VALU_DEP_2) | instskip(SKIP_1) | instid1(VALU_DEP_4)
	v_add_f32_e32 v68, v4, v2
	v_min_f32_e32 v4, v19, v32
	v_dual_add_f32 v66, v5, v3 :: v_dual_min_f32 v33, v26, v22
	s_delay_alu instid0(VALU_DEP_4) | instskip(SKIP_2) | instid1(VALU_DEP_4)
	v_add_f32_e32 v70, v31, v29
	v_dual_min_f32 v20, v30, v23 :: v_dual_min_f32 v11, v11, v32
	v_min_f32_e32 v2, v14, v23
	v_add_f32_e32 v79, v33, v79
	v_min_f32_e32 v5, v18, v23
	s_delay_alu instid0(VALU_DEP_4) | instskip(SKIP_2) | instid1(VALU_DEP_4)
	v_add_f32_e32 v73, v20, v28
	v_dual_add_f32 v71, v11, v9 :: v_dual_min_f32 v22, v41, v22
	v_min_f32_e32 v10, v10, v23
	v_add_f32_e32 v64, v5, v16
	v_min_f32_e32 v5, v43, v32
	v_dual_add_f32 v63, v4, v17 :: v_dual_min_f32 v4, v38, v23
	v_min_f32_e32 v3, v15, v32
	v_add_f32_e32 v67, v2, v12
	v_min_f32_e32 v2, v26, v23
	s_delay_alu instid0(VALU_DEP_4) | instskip(NEXT) | instid1(VALU_DEP_4)
	v_dual_add_f32 v75, v22, v44 :: v_dual_add_f32 v60, v4, v6
	v_add_f32_e32 v65, v3, v13
	v_min_f32_e32 v3, v27, v32
	s_delay_alu instid0(VALU_DEP_4) | instskip(SKIP_2) | instid1(VALU_DEP_4)
	v_add_f32_e32 v62, v2, v24
	v_add_f32_e32 v72, v10, v8
	v_min_f32_e32 v8, v41, v23
	v_dual_add_f32 v56, v5, v40 :: v_dual_add_f32 v59, v3, v25
	v_min_f32_e32 v3, v37, v32
	s_delay_alu instid0(VALU_DEP_3) | instskip(NEXT) | instid1(VALU_DEP_2)
	v_add_f32_e32 v57, v8, v7
	v_add_f32_e32 v61, v3, v36
	s_cbranch_scc1 .LBB29_33
.LBB29_23:                              ; =>This Inner Loop Header: Depth=1
	v_mov_b32_e32 v134, 0
	s_and_b32 vcc_lo, exec_lo, s3
	s_cbranch_vccnz .LBB29_25
; %bb.24:                               ;   in Loop: Header=BB29_23 Depth=1
	v_add_co_u32 v0, vcc_lo, v132, v48
	v_add_co_ci_u32_e32 v1, vcc_lo, v133, v49, vcc_lo
	flat_load_b32 v0, v[0:1]
	s_waitcnt vmcnt(0) lgkmcnt(0)
	v_mul_f32_e32 v134, s9, v0
.LBB29_25:                              ;   in Loop: Header=BB29_23 Depth=1
	s_and_b32 vcc_lo, exec_lo, s3
	s_cbranch_vccnz .LBB29_27
; %bb.26:                               ;   in Loop: Header=BB29_23 Depth=1
	v_add_co_u32 v0, vcc_lo, v130, v58
	v_add_co_ci_u32_e32 v1, vcc_lo, 0, v131, vcc_lo
	v_add_co_u32 v2, vcc_lo, v128, v58
	v_add_co_ci_u32_e32 v3, vcc_lo, 0, v129, vcc_lo
	flat_load_b32 v0, v[0:1] offset:32
	flat_load_b32 v1, v[2:3] offset:32
	s_waitcnt vmcnt(0) lgkmcnt(0)
	v_dual_mul_f32 v135, s9, v0 :: v_dual_mul_f32 v136, s9, v1
	s_branch .LBB29_28
.LBB29_27:                              ;   in Loop: Header=BB29_23 Depth=1
	v_dual_mov_b32 v135, 0 :: v_dual_mov_b32 v136, 0
.LBB29_28:                              ;   in Loop: Header=BB29_23 Depth=1
	ds_load_b128 v[40:43], v126
	ds_load_b128 v[36:39], v126 offset:128
	ds_load_b128 v[32:35], v126 offset:256
	;; [unrolled: 1-line block ×7, first 2 shown]
	ds_load_b128 v[44:47], v127
	ds_load_b128 v[8:11], v127 offset:512
	ds_load_b128 v[4:7], v127 offset:1024
	;; [unrolled: 1-line block ×3, first 2 shown]
	s_and_b32 vcc_lo, exec_lo, s3
	ds_store_b32 v122, v134
	ds_store_2addr_stride64_b32 v69, v135, v136 offset1:4
	s_waitcnt lgkmcnt(0)
	s_barrier
	buffer_gl0_inv
	s_cbranch_vccnz .LBB29_30
; %bb.29:                               ;   in Loop: Header=BB29_23 Depth=1
	v_add_co_u32 v134, vcc_lo, v132, v50
	v_add_co_ci_u32_e32 v135, vcc_lo, v133, v51, vcc_lo
	flat_load_b32 v134, v[134:135]
	s_waitcnt vmcnt(0) lgkmcnt(0)
	v_mul_f32_e32 v134, s9, v134
	s_branch .LBB29_31
.LBB29_30:                              ;   in Loop: Header=BB29_23 Depth=1
	v_mov_b32_e32 v134, 0
.LBB29_31:                              ;   in Loop: Header=BB29_23 Depth=1
	v_dual_max_f32 v44, v44, v44 :: v_dual_max_f32 v45, v45, v45
	v_dual_max_f32 v161, v40, v40 :: v_dual_max_f32 v162, v41, v41
	v_max_f32_e32 v163, v36, v36
	v_dual_max_f32 v169, v24, v24 :: v_dual_max_f32 v170, v25, v25
	v_max_f32_e32 v173, v16, v16
	v_dual_max_f32 v159, v4, v4 :: v_dual_max_f32 v160, v5, v5
	s_delay_alu instid0(VALU_DEP_4)
	v_dual_min_f32 v40, v162, v45 :: v_dual_min_f32 v41, v163, v44
	v_dual_max_f32 v164, v37, v37 :: v_dual_max_f32 v165, v32, v32
	v_dual_max_f32 v166, v33, v33 :: v_dual_max_f32 v167, v28, v28
	;; [unrolled: 1-line block ×3, first 2 shown]
	v_max_f32_e32 v172, v21, v21
	v_min_f32_e32 v20, v170, v45
	v_dual_max_f32 v174, v17, v17 :: v_dual_max_f32 v175, v12, v12
	v_max_f32_e32 v176, v13, v13
	v_dual_max_f32 v144, v8, v8 :: v_dual_max_f32 v145, v9, v9
	v_dual_min_f32 v157, v173, v159 :: v_dual_max_f32 v0, v0, v0
	v_dual_min_f32 v36, v161, v44 :: v_dual_min_f32 v37, v168, v45
	v_dual_min_f32 v28, v164, v45 :: v_dual_min_f32 v29, v165, v44
	;; [unrolled: 1-line block ×7, first 2 shown]
	v_min_f32_e32 v13, v161, v144
	v_dual_min_f32 v44, v163, v144 :: v_dual_min_f32 v45, v164, v145
	v_dual_min_f32 v135, v165, v144 :: v_dual_min_f32 v136, v166, v145
	;; [unrolled: 1-line block ×13, first 2 shown]
	v_dual_max_f32 v1, v1, v1 :: v_dual_min_f32 v158, v174, v160
	v_min_f32_e32 v161, v161, v0
	v_min_f32_e32 v163, v163, v0
	s_delay_alu instid0(VALU_DEP_3)
	v_dual_min_f32 v165, v165, v0 :: v_dual_min_f32 v166, v166, v1
	v_dual_min_f32 v167, v167, v0 :: v_dual_min_f32 v168, v168, v1
	;; [unrolled: 1-line block ×5, first 2 shown]
	v_dual_max_f32 v178, v46, v46 :: v_dual_max_f32 v179, v47, v47
	v_dual_max_f32 v211, v42, v42 :: v_dual_max_f32 v212, v43, v43
	v_dual_max_f32 v216, v38, v38 :: v_dual_min_f32 v43, v175, v0
	v_dual_max_f32 v0, v39, v39 :: v_dual_max_f32 v217, v30, v30
	v_dual_min_f32 v159, v175, v159 :: v_dual_min_f32 v160, v176, v160
	v_min_f32_e32 v162, v162, v1
	v_min_f32_e32 v164, v164, v1
	v_dual_min_f32 v46, v176, v1 :: v_dual_max_f32 v1, v34, v34
	v_dual_min_f32 v42, v216, v178 :: v_dual_max_f32 v175, v35, v35
	v_dual_max_f32 v218, v31, v31 :: v_dual_min_f32 v31, v217, v178
	v_dual_min_f32 v34, v0, v179 :: v_dual_max_f32 v219, v26, v26
	v_dual_max_f32 v220, v27, v27 :: v_dual_max_f32 v221, v22, v22
	v_dual_max_f32 v222, v23, v23 :: v_dual_max_f32 v223, v18, v18
	;; [unrolled: 1-line block ×6, first 2 shown]
	v_max_f32_e32 v227, v3, v3
	v_dual_min_f32 v38, v211, v178 :: v_dual_min_f32 v47, v212, v179
	v_dual_min_f32 v30, v1, v178 :: v_dual_min_f32 v35, v175, v179
	v_dual_min_f32 v39, v218, v179 :: v_dual_min_f32 v18, v219, v178
	v_dual_min_f32 v176, v220, v179 :: v_dual_min_f32 v23, v223, v178
	v_dual_min_f32 v22, v221, v178 :: v_dual_min_f32 v177, v222, v179
	v_dual_min_f32 v186, v19, v179 :: v_dual_min_f32 v181, v1, v10
	v_dual_min_f32 v178, v224, v178 :: v_dual_min_f32 v187, v225, v179
	v_min_f32_e32 v180, v216, v10
	v_dual_min_f32 v179, v211, v10 :: v_dual_min_f32 v188, v212, v11
	v_dual_min_f32 v189, v0, v11 :: v_dual_min_f32 v182, v217, v10
	v_dual_min_f32 v190, v175, v11 :: v_dual_min_f32 v197, v1, v6
	v_dual_min_f32 v191, v218, v11 :: v_dual_min_f32 v184, v221, v10
	v_dual_min_f32 v183, v219, v10 :: v_dual_min_f32 v192, v220, v11
	v_dual_min_f32 v193, v222, v11 :: v_dual_min_f32 v194, v224, v10
	v_dual_min_f32 v185, v223, v10 :: v_dual_min_f32 v204, v212, v7
	v_min_f32_e32 v202, v19, v11
	v_dual_min_f32 v203, v225, v11 :: v_dual_min_f32 v196, v216, v6
	v_dual_min_f32 v195, v211, v6 :: v_dual_min_f32 v208, v220, v7
	v_dual_min_f32 v205, v0, v7 :: v_dual_min_f32 v198, v217, v6
	v_dual_min_f32 v206, v175, v7 :: v_dual_min_f32 v3, v221, v226
	v_dual_min_f32 v207, v218, v7 :: v_dual_min_f32 v200, v221, v6
	v_dual_min_f32 v199, v219, v6 :: v_dual_min_f32 v214, v225, v7
	v_dual_min_f32 v209, v222, v7 :: v_dual_min_f32 v210, v224, v6
	v_min_f32_e32 v201, v223, v6
	v_min_f32_e32 v213, v19, v7
	v_dual_min_f32 v211, v211, v226 :: v_dual_min_f32 v14, v222, v227
	v_dual_min_f32 v215, v212, v227 :: v_dual_min_f32 v10, v1, v226
	v_min_f32_e32 v212, v216, v226
	v_min_f32_e32 v216, v0, v227
	v_dual_min_f32 v26, v175, v227 :: v_dual_min_f32 v7, v224, v226
	v_min_f32_e32 v11, v217, v226
	v_dual_min_f32 v27, v218, v227 :: v_dual_min_f32 v2, v219, v226
	v_dual_min_f32 v175, v220, v227 :: v_dual_min_f32 v6, v223, v226
	v_min_f32_e32 v15, v19, v227
	v_min_f32_e32 v19, v225, v227
	s_and_b32 vcc_lo, exec_lo, s3
	s_cbranch_vccz .LBB29_21
; %bb.32:                               ;   in Loop: Header=BB29_23 Depth=1
	v_dual_mov_b32 v0, 0 :: v_dual_mov_b32 v1, 0
	s_branch .LBB29_22
.LBB29_33:
	s_load_b32 s8, s[0:1], 0x50
	v_add_nc_u32_e32 v48, s19, v53
	ds_load_b128 v[0:3], v55 offset:5120
	ds_load_b128 v[40:43], v54 offset:2048
	v_add_nc_u32_e32 v46, s18, v52
	v_cmp_neq_f32_e64 s9, s15, 0
	v_mov_b32_e32 v52, 0
	v_mov_b32_e32 v50, 0
	s_delay_alu instid0(VALU_DEP_4) | instskip(NEXT) | instid1(VALU_DEP_4)
	v_ashrrev_i32_e32 v47, 31, v46
	s_and_b32 vcc_lo, exec_lo, s9
	s_delay_alu instid0(VALU_DEP_1) | instskip(SKIP_2) | instid1(VALU_DEP_1)
	v_lshlrev_b64 v[44:45], 2, v[46:47]
	s_waitcnt lgkmcnt(0)
	v_mad_i64_i32 v[4:5], null, v48, s8, 0
	v_lshlrev_b64 v[4:5], 2, v[4:5]
	s_delay_alu instid0(VALU_DEP_1) | instskip(NEXT) | instid1(VALU_DEP_1)
	v_add_co_u32 v122, s3, s4, v4
	v_add_co_ci_u32_e64 v123, s3, s5, v5, s3
	s_cbranch_vccz .LBB29_35
; %bb.34:
	s_delay_alu instid0(VALU_DEP_2) | instskip(NEXT) | instid1(VALU_DEP_2)
	v_add_co_u32 v4, vcc_lo, v122, v44
	v_add_co_ci_u32_e32 v5, vcc_lo, v123, v45, vcc_lo
	flat_load_b32 v4, v[4:5]
	s_waitcnt vmcnt(0) lgkmcnt(0)
	v_mul_f32_e32 v50, s15, v4
.LBB29_35:
	ds_load_b128 v[36:39], v55 offset:5248
	ds_load_b128 v[32:35], v55 offset:5376
	;; [unrolled: 1-line block ×4, first 2 shown]
	s_clause 0x1
	s_load_b32 s3, s[0:1], 0x68
	s_load_b64 s[0:1], s[0:1], 0x70
	v_dual_max_f32 v124, v40, v40 :: v_dual_max_f32 v125, v41, v41
	v_dual_max_f32 v47, v0, v0 :: v_dual_max_f32 v126, v43, v43
	v_max_f32_e32 v49, v1, v1
	ds_load_b128 v[20:23], v55 offset:5760
	ds_load_b128 v[16:19], v55 offset:5888
	;; [unrolled: 1-line block ×3, first 2 shown]
	v_min_f32_e32 v0, v47, v124
	ds_load_b128 v[8:11], v54 offset:2560
	ds_load_b128 v[4:7], v54 offset:3072
	v_min_f32_e32 v1, v49, v125
	v_add_f32_e32 v51, v0, v121
	v_max_f32_e32 v121, v42, v42
	v_dual_max_f32 v42, v2, v2 :: v_dual_max_f32 v43, v3, v3
	s_delay_alu instid0(VALU_DEP_4)
	v_add_f32_e32 v53, v1, v120
	ds_load_b128 v[0:3], v54 offset:3584
	s_waitcnt lgkmcnt(0)
	v_mad_i64_i32 v[40:41], null, v48, s3, 0
	v_dual_min_f32 v58, v42, v121 :: v_dual_min_f32 v55, v43, v126
	s_lshl_b64 s[10:11], s[0:1], 2
	s_delay_alu instid0(SALU_CYCLE_1) | instskip(NEXT) | instid1(VALU_DEP_1)
	s_add_u32 s1, s6, s10
	v_add_f32_e32 v51, v58, v51
	s_delay_alu instid0(VALU_DEP_3) | instskip(SKIP_3) | instid1(VALU_DEP_2)
	v_lshlrev_b64 v[40:41], 2, v[40:41]
	v_add_f32_e32 v55, v55, v53
	v_add_nc_u32_e32 v53, 8, v46
	s_addc_u32 s6, s7, s11
	v_add_f32_e32 v51, v51, v55
	s_delay_alu instid0(VALU_DEP_4) | instskip(NEXT) | instid1(VALU_DEP_3)
	v_add_co_u32 v120, vcc_lo, s1, v40
	v_ashrrev_i32_e32 v54, 31, v53
	v_cndmask_b32_e64 v55, 0, 1, s9
	s_delay_alu instid0(VALU_DEP_4) | instskip(SKIP_4) | instid1(VALU_DEP_4)
	v_add_f32_e32 v58, v51, v50
	v_add_co_ci_u32_e32 v127, vcc_lo, s6, v41, vcc_lo
	v_add_co_u32 v50, vcc_lo, v120, v44
	v_lshlrev_b64 v[40:41], 2, v[53:54]
	v_cmp_ne_u32_e64 s0, 1, v55
	v_add_co_ci_u32_e32 v51, vcc_lo, v127, v45, vcc_lo
	s_and_not1_b32 vcc_lo, exec_lo, s9
	global_store_b32 v[50:51], v58, off
	s_cbranch_vccnz .LBB29_37
; %bb.36:
	v_add_co_u32 v50, vcc_lo, v122, v40
	v_add_co_ci_u32_e32 v51, vcc_lo, v123, v41, vcc_lo
	flat_load_b32 v50, v[50:51]
	s_waitcnt vmcnt(0) lgkmcnt(0)
	v_mul_f32_e32 v52, s15, v50
.LBB29_37:
	v_dual_max_f32 v51, v37, v37 :: v_dual_max_f32 v50, v36, v36
	v_dual_max_f32 v38, v38, v38 :: v_dual_max_f32 v39, v39, v39
	v_mov_b32_e32 v58, 0
	s_delay_alu instid0(VALU_DEP_3) | instskip(NEXT) | instid1(VALU_DEP_3)
	v_dual_min_f32 v36, v51, v125 :: v_dual_min_f32 v37, v50, v124
	v_dual_min_f32 v53, v38, v121 :: v_dual_min_f32 v54, v39, v126
	s_delay_alu instid0(VALU_DEP_2) | instskip(NEXT) | instid1(VALU_DEP_3)
	v_add_f32_e32 v55, v36, v118
	v_dual_add_f32 v37, v37, v119 :: v_dual_add_nc_u32 v36, 16, v46
	v_add_co_u32 v118, vcc_lo, v120, v40
	s_delay_alu instid0(VALU_DEP_2) | instskip(NEXT) | instid1(VALU_DEP_3)
	v_dual_add_f32 v54, v54, v55 :: v_dual_add_f32 v53, v53, v37
	v_ashrrev_i32_e32 v37, 31, v36
	v_add_co_ci_u32_e32 v119, vcc_lo, v127, v41, vcc_lo
	s_and_b32 vcc_lo, exec_lo, s0
	s_delay_alu instid0(VALU_DEP_3) | instskip(NEXT) | instid1(VALU_DEP_3)
	v_dual_add_f32 v53, v53, v54 :: v_dual_mov_b32 v54, 0
	v_lshlrev_b64 v[36:37], 2, v[36:37]
	s_delay_alu instid0(VALU_DEP_2)
	v_add_f32_e32 v52, v53, v52
	global_store_b32 v[118:119], v52, off
	s_cbranch_vccnz .LBB29_39
; %bb.38:
	v_add_co_u32 v52, vcc_lo, v122, v36
	v_add_co_ci_u32_e32 v53, vcc_lo, v123, v37, vcc_lo
	flat_load_b32 v52, v[52:53]
	s_waitcnt vmcnt(0) lgkmcnt(0)
	v_mul_f32_e32 v54, s15, v52
.LBB29_39:
	v_dual_max_f32 v53, v33, v33 :: v_dual_max_f32 v52, v32, v32
	v_dual_max_f32 v34, v34, v34 :: v_dual_max_f32 v35, v35, v35
	s_delay_alu instid0(VALU_DEP_2) | instskip(NEXT) | instid1(VALU_DEP_2)
	v_dual_min_f32 v32, v53, v125 :: v_dual_min_f32 v33, v52, v124
	v_min_f32_e32 v55, v34, v121
	s_delay_alu instid0(VALU_DEP_2) | instskip(NEXT) | instid1(VALU_DEP_3)
	v_dual_min_f32 v69, v35, v126 :: v_dual_add_f32 v116, v32, v116
	v_dual_add_f32 v33, v33, v117 :: v_dual_add_nc_u32 v32, 24, v46
	s_delay_alu instid0(VALU_DEP_2) | instskip(NEXT) | instid1(VALU_DEP_2)
	v_add_f32_e32 v69, v69, v116
	v_add_f32_e32 v55, v55, v33
	s_delay_alu instid0(VALU_DEP_3) | instskip(SKIP_2) | instid1(VALU_DEP_4)
	v_ashrrev_i32_e32 v33, 31, v32
	v_add_co_u32 v116, vcc_lo, v120, v36
	v_add_co_ci_u32_e32 v117, vcc_lo, v127, v37, vcc_lo
	v_add_f32_e32 v55, v55, v69
	s_delay_alu instid0(VALU_DEP_4) | instskip(SKIP_1) | instid1(VALU_DEP_2)
	v_lshlrev_b64 v[32:33], 2, v[32:33]
	s_and_b32 vcc_lo, exec_lo, s0
	v_add_f32_e32 v54, v55, v54
	global_store_b32 v[116:117], v54, off
	s_cbranch_vccnz .LBB29_41
; %bb.40:
	v_add_co_u32 v54, vcc_lo, v122, v32
	v_add_co_ci_u32_e32 v55, vcc_lo, v123, v33, vcc_lo
	flat_load_b32 v54, v[54:55]
	s_waitcnt vmcnt(0) lgkmcnt(0)
	v_mul_f32_e32 v58, s15, v54
.LBB29_41:
	v_dual_max_f32 v55, v29, v29 :: v_dual_max_f32 v54, v28, v28
	v_dual_max_f32 v30, v30, v30 :: v_dual_max_f32 v31, v31, v31
	s_delay_alu instid0(VALU_DEP_2) | instskip(NEXT) | instid1(VALU_DEP_2)
	v_dual_min_f32 v28, v55, v125 :: v_dual_min_f32 v29, v54, v124
	v_dual_min_f32 v69, v30, v121 :: v_dual_min_f32 v116, v31, v126
	s_delay_alu instid0(VALU_DEP_2) | instskip(SKIP_1) | instid1(VALU_DEP_2)
	v_dual_add_f32 v114, v28, v114 :: v_dual_add_f32 v29, v29, v115
	v_dual_mov_b32 v115, 0 :: v_dual_add_nc_u32 v28, 32, v46
	v_dual_add_f32 v114, v116, v114 :: v_dual_add_f32 v69, v69, v29
	s_delay_alu instid0(VALU_DEP_2) | instskip(SKIP_2) | instid1(VALU_DEP_4)
	v_ashrrev_i32_e32 v29, 31, v28
	v_add_co_u32 v116, vcc_lo, v120, v32
	v_add_co_ci_u32_e32 v117, vcc_lo, v127, v33, vcc_lo
	v_dual_add_f32 v69, v69, v114 :: v_dual_mov_b32 v114, 0
	s_delay_alu instid0(VALU_DEP_4) | instskip(SKIP_1) | instid1(VALU_DEP_2)
	v_lshlrev_b64 v[28:29], 2, v[28:29]
	s_and_b32 vcc_lo, exec_lo, s0
	v_add_f32_e32 v58, v69, v58
	global_store_b32 v[116:117], v58, off
	s_cbranch_vccnz .LBB29_43
; %bb.42:
	v_add_co_u32 v116, vcc_lo, v122, v28
	v_add_co_ci_u32_e32 v117, vcc_lo, v123, v29, vcc_lo
	flat_load_b32 v58, v[116:117]
	s_waitcnt vmcnt(0) lgkmcnt(0)
	v_mul_f32_e32 v114, s15, v58
.LBB29_43:
	v_dual_max_f32 v69, v25, v25 :: v_dual_max_f32 v58, v24, v24
	v_dual_max_f32 v26, v26, v26 :: v_dual_max_f32 v27, v27, v27
	s_delay_alu instid0(VALU_DEP_2) | instskip(NEXT) | instid1(VALU_DEP_2)
	v_dual_min_f32 v24, v69, v125 :: v_dual_min_f32 v25, v58, v124
	v_dual_min_f32 v116, v26, v121 :: v_dual_min_f32 v117, v27, v126
	s_delay_alu instid0(VALU_DEP_2) | instskip(SKIP_1) | instid1(VALU_DEP_2)
	v_dual_add_f32 v112, v24, v112 :: v_dual_add_f32 v25, v25, v113
	v_add_nc_u32_e32 v24, 40, v46
	v_dual_add_f32 v112, v117, v112 :: v_dual_add_f32 v113, v116, v25
	s_delay_alu instid0(VALU_DEP_2) | instskip(NEXT) | instid1(VALU_DEP_2)
	v_ashrrev_i32_e32 v25, 31, v24
	v_add_f32_e32 v116, v113, v112
	v_add_co_u32 v112, vcc_lo, v120, v28
	s_delay_alu instid0(VALU_DEP_3) | instskip(SKIP_1) | instid1(VALU_DEP_4)
	v_lshlrev_b64 v[24:25], 2, v[24:25]
	v_add_co_ci_u32_e32 v113, vcc_lo, v127, v29, vcc_lo
	v_add_f32_e32 v114, v116, v114
	s_and_b32 vcc_lo, exec_lo, s0
	global_store_b32 v[112:113], v114, off
	s_cbranch_vccnz .LBB29_45
; %bb.44:
	v_add_co_u32 v112, vcc_lo, v122, v24
	v_add_co_ci_u32_e32 v113, vcc_lo, v123, v25, vcc_lo
	flat_load_b32 v112, v[112:113]
	s_waitcnt vmcnt(0) lgkmcnt(0)
	v_mul_f32_e32 v115, s15, v112
.LBB29_45:
	v_dual_max_f32 v113, v21, v21 :: v_dual_max_f32 v112, v20, v20
	v_dual_max_f32 v22, v22, v22 :: v_dual_max_f32 v23, v23, v23
	s_delay_alu instid0(VALU_DEP_2) | instskip(NEXT) | instid1(VALU_DEP_2)
	v_dual_min_f32 v20, v113, v125 :: v_dual_min_f32 v21, v112, v124
	v_min_f32_e32 v114, v22, v121
	s_delay_alu instid0(VALU_DEP_2) | instskip(NEXT) | instid1(VALU_DEP_4)
	v_dual_add_f32 v110, v20, v110 :: v_dual_add_f32 v21, v21, v111
	v_min_f32_e32 v116, v23, v126
	s_delay_alu instid0(VALU_DEP_2) | instskip(NEXT) | instid1(VALU_DEP_2)
	v_dual_add_f32 v111, v114, v21 :: v_dual_add_nc_u32 v20, 48, v46
	v_add_f32_e32 v110, v116, v110
	s_delay_alu instid0(VALU_DEP_2) | instskip(SKIP_1) | instid1(VALU_DEP_3)
	v_ashrrev_i32_e32 v21, 31, v20
	v_mov_b32_e32 v114, 0
	v_add_f32_e32 v116, v111, v110
	v_add_co_u32 v110, vcc_lo, v120, v24
	s_delay_alu instid0(VALU_DEP_4) | instskip(SKIP_1) | instid1(VALU_DEP_4)
	v_lshlrev_b64 v[20:21], 2, v[20:21]
	v_add_co_ci_u32_e32 v111, vcc_lo, v127, v25, vcc_lo
	v_dual_add_f32 v116, v116, v115 :: v_dual_mov_b32 v115, 0
	s_and_b32 vcc_lo, exec_lo, s0
	global_store_b32 v[110:111], v116, off
	s_cbranch_vccnz .LBB29_47
; %bb.46:
	v_add_co_u32 v110, vcc_lo, v122, v20
	v_add_co_ci_u32_e32 v111, vcc_lo, v123, v21, vcc_lo
	flat_load_b32 v110, v[110:111]
	s_waitcnt vmcnt(0) lgkmcnt(0)
	v_mul_f32_e32 v115, s15, v110
.LBB29_47:
	v_dual_max_f32 v111, v17, v17 :: v_dual_max_f32 v110, v16, v16
	v_dual_max_f32 v18, v18, v18 :: v_dual_max_f32 v19, v19, v19
	s_delay_alu instid0(VALU_DEP_2) | instskip(NEXT) | instid1(VALU_DEP_2)
	v_dual_min_f32 v16, v111, v125 :: v_dual_min_f32 v17, v110, v124
	v_dual_min_f32 v116, v18, v121 :: v_dual_min_f32 v117, v19, v126
	s_delay_alu instid0(VALU_DEP_2) | instskip(SKIP_1) | instid1(VALU_DEP_2)
	v_dual_add_f32 v108, v16, v108 :: v_dual_add_f32 v17, v17, v109
	v_add_nc_u32_e32 v16, 56, v46
	v_add_f32_e32 v46, v117, v108
	s_delay_alu instid0(VALU_DEP_3) | instskip(NEXT) | instid1(VALU_DEP_3)
	v_add_f32_e32 v108, v116, v17
	v_ashrrev_i32_e32 v17, 31, v16
	s_delay_alu instid0(VALU_DEP_2) | instskip(SKIP_1) | instid1(VALU_DEP_3)
	v_add_f32_e32 v46, v108, v46
	v_add_co_u32 v108, vcc_lo, v120, v20
	v_lshlrev_b64 v[16:17], 2, v[16:17]
	v_add_co_ci_u32_e32 v109, vcc_lo, v127, v21, vcc_lo
	s_delay_alu instid0(VALU_DEP_4)
	v_add_f32_e32 v46, v46, v115
	s_and_b32 vcc_lo, exec_lo, s0
	global_store_b32 v[108:109], v46, off
	s_cbranch_vccnz .LBB29_49
; %bb.48:
	v_add_co_u32 v108, vcc_lo, v122, v16
	v_add_co_ci_u32_e32 v109, vcc_lo, v123, v17, vcc_lo
	flat_load_b32 v46, v[108:109]
	s_waitcnt vmcnt(0) lgkmcnt(0)
	v_mul_f32_e32 v114, s15, v46
.LBB29_49:
	v_dual_max_f32 v12, v12, v12 :: v_dual_max_f32 v13, v13, v13
	v_dual_max_f32 v14, v14, v14 :: v_dual_add_nc_u32 v115, 32, v48
	s_delay_alu instid0(VALU_DEP_2) | instskip(NEXT) | instid1(VALU_DEP_3)
	v_dual_max_f32 v15, v15, v15 :: v_dual_min_f32 v46, v12, v124
	v_min_f32_e32 v116, v13, v125
	s_delay_alu instid0(VALU_DEP_3) | instskip(NEXT) | instid1(VALU_DEP_4)
	v_min_f32_e32 v117, v14, v121
	v_mad_i64_i32 v[108:109], null, v115, s8, 0
	s_delay_alu instid0(VALU_DEP_4) | instskip(NEXT) | instid1(VALU_DEP_4)
	v_min_f32_e32 v118, v15, v126
	v_add_f32_e32 v116, v116, v106
	v_add_f32_e32 v46, v46, v107
	s_delay_alu instid0(VALU_DEP_4) | instskip(NEXT) | instid1(VALU_DEP_3)
	v_lshlrev_b64 v[106:107], 2, v[108:109]
	v_add_f32_e32 v116, v118, v116
	s_delay_alu instid0(VALU_DEP_3) | instskip(SKIP_2) | instid1(VALU_DEP_3)
	v_add_f32_e32 v46, v117, v46
	v_add_co_u32 v108, vcc_lo, v120, v16
	v_add_co_ci_u32_e32 v109, vcc_lo, v127, v17, vcc_lo
	v_add_f32_e32 v116, v46, v116
	v_add_co_u32 v46, vcc_lo, s4, v106
	v_add_co_ci_u32_e32 v106, vcc_lo, s5, v107, vcc_lo
	s_delay_alu instid0(VALU_DEP_3)
	v_dual_add_f32 v107, v116, v114 :: v_dual_mov_b32 v114, 0
	v_mov_b32_e32 v116, 0
	s_and_b32 vcc_lo, exec_lo, s0
	global_store_b32 v[108:109], v107, off
	s_cbranch_vccnz .LBB29_51
; %bb.50:
	v_add_co_u32 v107, vcc_lo, v46, v44
	v_add_co_ci_u32_e32 v108, vcc_lo, v106, v45, vcc_lo
	flat_load_b32 v107, v[107:108]
	s_waitcnt vmcnt(0) lgkmcnt(0)
	v_mul_f32_e32 v116, s15, v107
.LBB29_51:
	v_dual_max_f32 v107, v8, v8 :: v_dual_max_f32 v108, v9, v9
	v_dual_max_f32 v109, v10, v10 :: v_dual_max_f32 v8, v11, v11
	v_mad_i64_i32 v[9:10], null, v115, s3, 0
	s_delay_alu instid0(VALU_DEP_3) | instskip(NEXT) | instid1(VALU_DEP_4)
	v_min_f32_e32 v117, v49, v108
	v_min_f32_e32 v11, v47, v107
	s_delay_alu instid0(VALU_DEP_4) | instskip(NEXT) | instid1(VALU_DEP_2)
	v_dual_min_f32 v115, v42, v109 :: v_dual_min_f32 v118, v43, v8
	v_dual_add_f32 v104, v117, v104 :: v_dual_add_f32 v11, v11, v105
	v_lshlrev_b64 v[9:10], 2, v[9:10]
	s_delay_alu instid0(VALU_DEP_2) | instskip(NEXT) | instid1(VALU_DEP_2)
	v_dual_add_f32 v104, v118, v104 :: v_dual_add_f32 v11, v115, v11
	v_add_co_u32 v9, vcc_lo, s1, v9
	s_delay_alu instid0(VALU_DEP_3) | instskip(NEXT) | instid1(VALU_DEP_3)
	v_add_co_ci_u32_e32 v10, vcc_lo, s6, v10, vcc_lo
	v_add_f32_e32 v11, v11, v104
	s_delay_alu instid0(VALU_DEP_3) | instskip(NEXT) | instid1(VALU_DEP_3)
	v_add_co_u32 v104, vcc_lo, v9, v44
	v_add_co_ci_u32_e32 v105, vcc_lo, v10, v45, vcc_lo
	s_delay_alu instid0(VALU_DEP_3)
	v_add_f32_e32 v11, v11, v116
	s_and_b32 vcc_lo, exec_lo, s0
	global_store_b32 v[104:105], v11, off
	s_cbranch_vccnz .LBB29_53
; %bb.52:
	v_add_co_u32 v104, vcc_lo, v46, v40
	v_add_co_ci_u32_e32 v105, vcc_lo, v106, v41, vcc_lo
	flat_load_b32 v11, v[104:105]
	s_waitcnt vmcnt(0) lgkmcnt(0)
	v_mul_f32_e32 v114, s15, v11
.LBB29_53:
	v_dual_min_f32 v11, v51, v108 :: v_dual_min_f32 v104, v50, v107
	v_min_f32_e32 v105, v38, v109
	s_delay_alu instid0(VALU_DEP_2) | instskip(SKIP_3) | instid1(VALU_DEP_3)
	v_dual_add_f32 v11, v11, v102 :: v_dual_add_f32 v102, v104, v103
	v_min_f32_e32 v115, v39, v8
	v_add_co_u32 v103, vcc_lo, v9, v40
	v_add_co_ci_u32_e32 v104, vcc_lo, v10, v41, vcc_lo
	v_dual_add_f32 v102, v105, v102 :: v_dual_add_f32 v11, v115, v11
	s_and_b32 vcc_lo, exec_lo, s0
	s_delay_alu instid0(VALU_DEP_1) | instskip(NEXT) | instid1(VALU_DEP_1)
	v_dual_add_f32 v11, v102, v11 :: v_dual_mov_b32 v102, 0
	v_add_f32_e32 v105, v11, v114
	v_mov_b32_e32 v11, 0
	global_store_b32 v[103:104], v105, off
	s_cbranch_vccnz .LBB29_55
; %bb.54:
	v_add_co_u32 v102, vcc_lo, v46, v36
	v_add_co_ci_u32_e32 v103, vcc_lo, v106, v37, vcc_lo
	flat_load_b32 v102, v[102:103]
	s_waitcnt vmcnt(0) lgkmcnt(0)
	v_mul_f32_e32 v102, s15, v102
.LBB29_55:
	v_dual_min_f32 v103, v53, v108 :: v_dual_min_f32 v104, v52, v107
	v_dual_min_f32 v105, v34, v109 :: v_dual_min_f32 v114, v35, v8
	s_delay_alu instid0(VALU_DEP_2) | instskip(NEXT) | instid1(VALU_DEP_1)
	v_dual_add_f32 v100, v103, v100 :: v_dual_add_f32 v101, v104, v101
	v_dual_add_f32 v100, v114, v100 :: v_dual_add_f32 v101, v105, v101
	s_delay_alu instid0(VALU_DEP_1) | instskip(NEXT) | instid1(VALU_DEP_1)
	v_add_f32_e32 v100, v101, v100
	v_add_f32_e32 v102, v100, v102
	v_add_co_u32 v100, vcc_lo, v9, v36
	v_add_co_ci_u32_e32 v101, vcc_lo, v10, v37, vcc_lo
	s_and_b32 vcc_lo, exec_lo, s0
	global_store_b32 v[100:101], v102, off
	s_cbranch_vccnz .LBB29_57
; %bb.56:
	v_add_co_u32 v100, vcc_lo, v46, v32
	v_add_co_ci_u32_e32 v101, vcc_lo, v106, v33, vcc_lo
	flat_load_b32 v11, v[100:101]
	s_waitcnt vmcnt(0) lgkmcnt(0)
	v_mul_f32_e32 v11, s15, v11
.LBB29_57:
	v_dual_min_f32 v100, v55, v108 :: v_dual_min_f32 v101, v54, v107
	v_dual_min_f32 v102, v30, v109 :: v_dual_min_f32 v103, v31, v8
	s_delay_alu instid0(VALU_DEP_2) | instskip(NEXT) | instid1(VALU_DEP_3)
	v_add_f32_e32 v97, v100, v97
	v_add_f32_e32 v99, v101, v99
	s_delay_alu instid0(VALU_DEP_2) | instskip(NEXT) | instid1(VALU_DEP_2)
	v_add_f32_e32 v97, v103, v97
	v_add_f32_e32 v99, v102, v99
	s_delay_alu instid0(VALU_DEP_1) | instskip(SKIP_2) | instid1(VALU_DEP_3)
	v_add_f32_e32 v97, v99, v97
	v_add_co_u32 v99, vcc_lo, v9, v32
	v_add_co_ci_u32_e32 v100, vcc_lo, v10, v33, vcc_lo
	v_add_f32_e32 v101, v97, v11
	v_mov_b32_e32 v11, 0
	v_mov_b32_e32 v97, 0
	s_and_b32 vcc_lo, exec_lo, s0
	global_store_b32 v[99:100], v101, off
	s_cbranch_vccnz .LBB29_59
; %bb.58:
	v_add_co_u32 v99, vcc_lo, v46, v28
	v_add_co_ci_u32_e32 v100, vcc_lo, v106, v29, vcc_lo
	flat_load_b32 v97, v[99:100]
	s_waitcnt vmcnt(0) lgkmcnt(0)
	v_mul_f32_e32 v97, s15, v97
.LBB29_59:
	v_dual_min_f32 v99, v69, v108 :: v_dual_min_f32 v100, v58, v107
	v_dual_min_f32 v101, v26, v109 :: v_dual_min_f32 v102, v27, v8
	s_delay_alu instid0(VALU_DEP_2) | instskip(NEXT) | instid1(VALU_DEP_3)
	v_add_f32_e32 v96, v99, v96
	v_add_f32_e32 v98, v100, v98
	s_delay_alu instid0(VALU_DEP_2) | instskip(NEXT) | instid1(VALU_DEP_2)
	v_add_f32_e32 v96, v102, v96
	v_add_f32_e32 v98, v101, v98
	s_delay_alu instid0(VALU_DEP_1) | instskip(NEXT) | instid1(VALU_DEP_1)
	v_add_f32_e32 v96, v98, v96
	v_add_f32_e32 v98, v96, v97
	v_add_co_u32 v96, vcc_lo, v9, v28
	v_add_co_ci_u32_e32 v97, vcc_lo, v10, v29, vcc_lo
	s_and_b32 vcc_lo, exec_lo, s0
	global_store_b32 v[96:97], v98, off
	s_cbranch_vccnz .LBB29_61
; %bb.60:
	v_add_co_u32 v96, vcc_lo, v46, v24
	v_add_co_ci_u32_e32 v97, vcc_lo, v106, v25, vcc_lo
	flat_load_b32 v11, v[96:97]
	s_waitcnt vmcnt(0) lgkmcnt(0)
	v_mul_f32_e32 v11, s15, v11
.LBB29_61:
	v_dual_min_f32 v96, v113, v108 :: v_dual_min_f32 v97, v112, v107
	v_dual_min_f32 v98, v22, v109 :: v_dual_min_f32 v99, v23, v8
	s_delay_alu instid0(VALU_DEP_2) | instskip(NEXT) | instid1(VALU_DEP_1)
	v_dual_add_f32 v94, v96, v94 :: v_dual_add_f32 v95, v97, v95
	v_dual_add_f32 v94, v99, v94 :: v_dual_add_f32 v95, v98, v95
	s_delay_alu instid0(VALU_DEP_1) | instskip(SKIP_2) | instid1(VALU_DEP_3)
	v_add_f32_e32 v94, v95, v94
	v_add_co_u32 v95, vcc_lo, v9, v24
	v_add_co_ci_u32_e32 v96, vcc_lo, v10, v25, vcc_lo
	v_dual_add_f32 v97, v94, v11 :: v_dual_mov_b32 v94, 0
	v_mov_b32_e32 v11, 0
	s_and_b32 vcc_lo, exec_lo, s0
	global_store_b32 v[95:96], v97, off
	s_cbranch_vccnz .LBB29_63
; %bb.62:
	v_add_co_u32 v94, vcc_lo, v46, v20
	v_add_co_ci_u32_e32 v95, vcc_lo, v106, v21, vcc_lo
	flat_load_b32 v94, v[94:95]
	s_waitcnt vmcnt(0) lgkmcnt(0)
	v_mul_f32_e32 v94, s15, v94
.LBB29_63:
	v_dual_min_f32 v95, v111, v108 :: v_dual_min_f32 v96, v110, v107
	v_dual_min_f32 v97, v18, v109 :: v_dual_min_f32 v98, v19, v8
	s_delay_alu instid0(VALU_DEP_2) | instskip(NEXT) | instid1(VALU_DEP_1)
	v_dual_add_f32 v92, v95, v92 :: v_dual_add_f32 v93, v96, v93
	v_dual_add_f32 v92, v98, v92 :: v_dual_add_f32 v93, v97, v93
	s_delay_alu instid0(VALU_DEP_1) | instskip(NEXT) | instid1(VALU_DEP_1)
	v_add_f32_e32 v92, v93, v92
	v_add_f32_e32 v94, v92, v94
	v_add_co_u32 v92, vcc_lo, v9, v20
	v_add_co_ci_u32_e32 v93, vcc_lo, v10, v21, vcc_lo
	s_and_b32 vcc_lo, exec_lo, s0
	global_store_b32 v[92:93], v94, off
	s_cbranch_vccnz .LBB29_65
; %bb.64:
	v_add_co_u32 v92, vcc_lo, v46, v16
	v_add_co_ci_u32_e32 v93, vcc_lo, v106, v17, vcc_lo
	flat_load_b32 v11, v[92:93]
	s_waitcnt vmcnt(0) lgkmcnt(0)
	v_mul_f32_e32 v11, s15, v11
.LBB29_65:
	v_dual_min_f32 v46, v12, v107 :: v_dual_min_f32 v93, v13, v108
	v_add_nc_u32_e32 v92, 64, v48
	v_min_f32_e32 v94, v14, v109
	v_min_f32_e32 v8, v15, v8
	s_delay_alu instid0(VALU_DEP_4) | instskip(NEXT) | instid1(VALU_DEP_4)
	v_dual_add_f32 v46, v46, v91 :: v_dual_add_f32 v93, v93, v90
	v_mad_i64_i32 v[90:91], null, v92, s8, 0
	s_delay_alu instid0(VALU_DEP_2) | instskip(NEXT) | instid1(VALU_DEP_3)
	v_add_f32_e32 v46, v94, v46
	v_add_f32_e32 v8, v8, v93
	v_add_co_u32 v93, vcc_lo, v9, v16
	v_add_co_ci_u32_e32 v94, vcc_lo, v10, v17, vcc_lo
	v_lshlrev_b64 v[90:91], 2, v[90:91]
	s_delay_alu instid0(VALU_DEP_4) | instskip(NEXT) | instid1(VALU_DEP_1)
	v_add_f32_e32 v8, v46, v8
	v_add_f32_e32 v10, v8, v11
	s_delay_alu instid0(VALU_DEP_3) | instskip(NEXT) | instid1(VALU_DEP_4)
	v_add_co_u32 v8, vcc_lo, s4, v90
	v_add_co_ci_u32_e32 v9, vcc_lo, s5, v91, vcc_lo
	v_dual_mov_b32 v90, 0 :: v_dual_mov_b32 v91, 0
	s_and_b32 vcc_lo, exec_lo, s0
	global_store_b32 v[93:94], v10, off
	s_cbranch_vccnz .LBB29_67
; %bb.66:
	v_add_co_u32 v10, vcc_lo, v8, v44
	v_add_co_ci_u32_e32 v11, vcc_lo, v9, v45, vcc_lo
	flat_load_b32 v10, v[10:11]
	s_waitcnt vmcnt(0) lgkmcnt(0)
	v_mul_f32_e32 v91, s15, v10
.LBB29_67:
	v_dual_max_f32 v10, v4, v4 :: v_dual_max_f32 v11, v5, v5
	v_max_f32_e32 v46, v6, v6
	v_mad_i64_i32 v[5:6], null, v92, s3, 0
	v_max_f32_e32 v4, v7, v7
	s_delay_alu instid0(VALU_DEP_4) | instskip(NEXT) | instid1(VALU_DEP_1)
	v_min_f32_e32 v93, v49, v11
	v_dual_min_f32 v7, v47, v10 :: v_dual_add_f32 v88, v93, v88
	s_delay_alu instid0(VALU_DEP_1) | instskip(NEXT) | instid1(VALU_DEP_4)
	v_dual_min_f32 v92, v42, v46 :: v_dual_add_f32 v7, v7, v89
	v_min_f32_e32 v94, v43, v4
	v_lshlrev_b64 v[5:6], 2, v[5:6]
	s_delay_alu instid0(VALU_DEP_2) | instskip(NEXT) | instid1(VALU_DEP_2)
	v_dual_add_f32 v7, v92, v7 :: v_dual_add_f32 v88, v94, v88
	v_add_co_u32 v5, vcc_lo, s1, v5
	s_delay_alu instid0(VALU_DEP_3) | instskip(NEXT) | instid1(VALU_DEP_3)
	v_add_co_ci_u32_e32 v6, vcc_lo, s6, v6, vcc_lo
	v_add_f32_e32 v7, v7, v88
	s_delay_alu instid0(VALU_DEP_3) | instskip(NEXT) | instid1(VALU_DEP_3)
	v_add_co_u32 v88, vcc_lo, v5, v44
	v_add_co_ci_u32_e32 v89, vcc_lo, v6, v45, vcc_lo
	s_delay_alu instid0(VALU_DEP_3)
	v_add_f32_e32 v7, v7, v91
	s_and_b32 vcc_lo, exec_lo, s0
	global_store_b32 v[88:89], v7, off
	s_cbranch_vccnz .LBB29_69
; %bb.68:
	v_add_co_u32 v88, vcc_lo, v8, v40
	v_add_co_ci_u32_e32 v89, vcc_lo, v9, v41, vcc_lo
	flat_load_b32 v7, v[88:89]
	s_waitcnt vmcnt(0) lgkmcnt(0)
	v_mul_f32_e32 v90, s15, v7
.LBB29_69:
	v_dual_min_f32 v7, v51, v11 :: v_dual_min_f32 v88, v50, v10
	v_min_f32_e32 v89, v38, v46
	s_delay_alu instid0(VALU_DEP_2) | instskip(SKIP_3) | instid1(VALU_DEP_3)
	v_dual_add_f32 v7, v7, v86 :: v_dual_add_f32 v86, v88, v87
	v_min_f32_e32 v91, v39, v4
	v_add_co_u32 v87, vcc_lo, v5, v40
	v_add_co_ci_u32_e32 v88, vcc_lo, v6, v41, vcc_lo
	v_dual_add_f32 v86, v89, v86 :: v_dual_add_f32 v7, v91, v7
	s_and_b32 vcc_lo, exec_lo, s0
	s_delay_alu instid0(VALU_DEP_1) | instskip(NEXT) | instid1(VALU_DEP_1)
	v_dual_add_f32 v7, v86, v7 :: v_dual_mov_b32 v86, 0
	v_add_f32_e32 v89, v7, v90
	v_mov_b32_e32 v7, 0
	global_store_b32 v[87:88], v89, off
	s_cbranch_vccnz .LBB29_71
; %bb.70:
	v_add_co_u32 v86, vcc_lo, v8, v36
	v_add_co_ci_u32_e32 v87, vcc_lo, v9, v37, vcc_lo
	flat_load_b32 v86, v[86:87]
	s_waitcnt vmcnt(0) lgkmcnt(0)
	v_mul_f32_e32 v86, s15, v86
.LBB29_71:
	v_dual_min_f32 v87, v53, v11 :: v_dual_min_f32 v88, v52, v10
	v_dual_min_f32 v89, v34, v46 :: v_dual_min_f32 v90, v35, v4
	s_delay_alu instid0(VALU_DEP_2) | instskip(NEXT) | instid1(VALU_DEP_1)
	v_dual_add_f32 v84, v87, v84 :: v_dual_add_f32 v85, v88, v85
	v_dual_add_f32 v84, v90, v84 :: v_dual_add_f32 v85, v89, v85
	s_delay_alu instid0(VALU_DEP_1) | instskip(NEXT) | instid1(VALU_DEP_1)
	v_add_f32_e32 v84, v85, v84
	v_add_f32_e32 v86, v84, v86
	v_add_co_u32 v84, vcc_lo, v5, v36
	v_add_co_ci_u32_e32 v85, vcc_lo, v6, v37, vcc_lo
	s_and_b32 vcc_lo, exec_lo, s0
	global_store_b32 v[84:85], v86, off
	s_cbranch_vccnz .LBB29_73
; %bb.72:
	v_add_co_u32 v84, vcc_lo, v8, v32
	v_add_co_ci_u32_e32 v85, vcc_lo, v9, v33, vcc_lo
	flat_load_b32 v7, v[84:85]
	s_waitcnt vmcnt(0) lgkmcnt(0)
	v_mul_f32_e32 v7, s15, v7
.LBB29_73:
	v_dual_min_f32 v84, v55, v11 :: v_dual_min_f32 v85, v54, v10
	v_dual_min_f32 v86, v30, v46 :: v_dual_min_f32 v87, v31, v4
	s_delay_alu instid0(VALU_DEP_2) | instskip(NEXT) | instid1(VALU_DEP_1)
	v_dual_add_f32 v82, v84, v82 :: v_dual_add_f32 v83, v85, v83
	v_dual_add_f32 v82, v87, v82 :: v_dual_add_f32 v83, v86, v83
	s_delay_alu instid0(VALU_DEP_1) | instskip(SKIP_2) | instid1(VALU_DEP_3)
	v_add_f32_e32 v82, v83, v82
	v_add_co_u32 v83, vcc_lo, v5, v32
	v_add_co_ci_u32_e32 v84, vcc_lo, v6, v33, vcc_lo
	v_dual_add_f32 v85, v82, v7 :: v_dual_mov_b32 v82, 0
	v_mov_b32_e32 v7, 0
	s_and_b32 vcc_lo, exec_lo, s0
	global_store_b32 v[83:84], v85, off
	s_cbranch_vccnz .LBB29_75
; %bb.74:
	v_add_co_u32 v82, vcc_lo, v8, v28
	v_add_co_ci_u32_e32 v83, vcc_lo, v9, v29, vcc_lo
	flat_load_b32 v82, v[82:83]
	s_waitcnt vmcnt(0) lgkmcnt(0)
	v_mul_f32_e32 v82, s15, v82
.LBB29_75:
	v_dual_min_f32 v83, v69, v11 :: v_dual_min_f32 v84, v58, v10
	v_dual_min_f32 v85, v26, v46 :: v_dual_min_f32 v86, v27, v4
	s_delay_alu instid0(VALU_DEP_2) | instskip(NEXT) | instid1(VALU_DEP_1)
	v_dual_add_f32 v80, v83, v80 :: v_dual_add_f32 v81, v84, v81
	v_dual_add_f32 v80, v86, v80 :: v_dual_add_f32 v81, v85, v81
	s_delay_alu instid0(VALU_DEP_1) | instskip(NEXT) | instid1(VALU_DEP_1)
	v_add_f32_e32 v80, v81, v80
	v_add_f32_e32 v82, v80, v82
	v_add_co_u32 v80, vcc_lo, v5, v28
	v_add_co_ci_u32_e32 v81, vcc_lo, v6, v29, vcc_lo
	s_and_b32 vcc_lo, exec_lo, s0
	global_store_b32 v[80:81], v82, off
	s_cbranch_vccnz .LBB29_77
; %bb.76:
	v_add_co_u32 v80, vcc_lo, v8, v24
	v_add_co_ci_u32_e32 v81, vcc_lo, v9, v25, vcc_lo
	flat_load_b32 v7, v[80:81]
	s_waitcnt vmcnt(0) lgkmcnt(0)
	v_mul_f32_e32 v7, s15, v7
.LBB29_77:
	v_dual_min_f32 v80, v113, v11 :: v_dual_min_f32 v81, v112, v10
	v_dual_min_f32 v82, v22, v46 :: v_dual_min_f32 v83, v23, v4
	s_delay_alu instid0(VALU_DEP_2) | instskip(NEXT) | instid1(VALU_DEP_3)
	v_add_f32_e32 v77, v80, v77
	v_add_f32_e32 v79, v81, v79
	s_delay_alu instid0(VALU_DEP_2) | instskip(NEXT) | instid1(VALU_DEP_2)
	v_add_f32_e32 v77, v83, v77
	v_add_f32_e32 v79, v82, v79
	s_delay_alu instid0(VALU_DEP_1) | instskip(SKIP_2) | instid1(VALU_DEP_3)
	v_add_f32_e32 v77, v79, v77
	v_add_co_u32 v79, vcc_lo, v5, v24
	v_add_co_ci_u32_e32 v80, vcc_lo, v6, v25, vcc_lo
	v_add_f32_e32 v81, v77, v7
	v_mov_b32_e32 v7, 0
	v_mov_b32_e32 v77, 0
	s_and_b32 vcc_lo, exec_lo, s0
	global_store_b32 v[79:80], v81, off
	s_cbranch_vccnz .LBB29_79
; %bb.78:
	v_add_co_u32 v79, vcc_lo, v8, v20
	v_add_co_ci_u32_e32 v80, vcc_lo, v9, v21, vcc_lo
	flat_load_b32 v77, v[79:80]
	s_waitcnt vmcnt(0) lgkmcnt(0)
	v_mul_f32_e32 v77, s15, v77
.LBB29_79:
	v_dual_min_f32 v79, v111, v11 :: v_dual_min_f32 v80, v110, v10
	v_dual_min_f32 v81, v18, v46 :: v_dual_min_f32 v82, v19, v4
	s_delay_alu instid0(VALU_DEP_2) | instskip(NEXT) | instid1(VALU_DEP_3)
	v_add_f32_e32 v76, v79, v76
	v_add_f32_e32 v78, v80, v78
	s_delay_alu instid0(VALU_DEP_2) | instskip(NEXT) | instid1(VALU_DEP_2)
	v_add_f32_e32 v76, v82, v76
	v_add_f32_e32 v78, v81, v78
	s_delay_alu instid0(VALU_DEP_1) | instskip(NEXT) | instid1(VALU_DEP_1)
	v_add_f32_e32 v76, v78, v76
	v_add_f32_e32 v78, v76, v77
	v_add_co_u32 v76, vcc_lo, v5, v20
	v_add_co_ci_u32_e32 v77, vcc_lo, v6, v21, vcc_lo
	s_and_b32 vcc_lo, exec_lo, s0
	global_store_b32 v[76:77], v78, off
	s_cbranch_vccnz .LBB29_81
; %bb.80:
	v_add_co_u32 v7, vcc_lo, v8, v16
	v_add_co_ci_u32_e32 v8, vcc_lo, v9, v17, vcc_lo
	flat_load_b32 v7, v[7:8]
	s_waitcnt vmcnt(0) lgkmcnt(0)
	v_mul_f32_e32 v7, s15, v7
.LBB29_81:
	v_dual_min_f32 v8, v12, v10 :: v_dual_add_nc_u32 v9, 0x60, v48
	v_min_f32_e32 v10, v13, v11
	v_min_f32_e32 v46, v14, v46
	;; [unrolled: 1-line block ×3, first 2 shown]
	s_delay_alu instid0(VALU_DEP_4) | instskip(NEXT) | instid1(VALU_DEP_4)
	v_add_f32_e32 v8, v8, v75
	v_add_f32_e32 v48, v10, v74
	v_mad_i64_i32 v[10:11], null, v9, s8, 0
	s_delay_alu instid0(VALU_DEP_3) | instskip(SKIP_1) | instid1(VALU_DEP_4)
	v_add_f32_e32 v8, v46, v8
	v_add_co_u32 v74, vcc_lo, v5, v16
	v_add_f32_e32 v4, v4, v48
	v_add_co_ci_u32_e32 v75, vcc_lo, v6, v17, vcc_lo
	v_lshlrev_b64 v[10:11], 2, v[10:11]
	s_delay_alu instid0(VALU_DEP_3) | instskip(SKIP_1) | instid1(VALU_DEP_2)
	v_add_f32_e32 v4, v8, v4
	v_mov_b32_e32 v8, 0
	v_add_f32_e32 v6, v4, v7
	s_delay_alu instid0(VALU_DEP_4)
	v_add_co_u32 v4, vcc_lo, s4, v10
	v_add_co_ci_u32_e32 v5, vcc_lo, s5, v11, vcc_lo
	v_mov_b32_e32 v10, 0
	s_and_b32 vcc_lo, exec_lo, s0
	global_store_b32 v[74:75], v6, off
	s_cbranch_vccnz .LBB29_83
; %bb.82:
	v_add_co_u32 v6, vcc_lo, v4, v44
	v_add_co_ci_u32_e32 v7, vcc_lo, v5, v45, vcc_lo
	flat_load_b32 v6, v[6:7]
	s_waitcnt vmcnt(0) lgkmcnt(0)
	v_mul_f32_e32 v10, s15, v6
.LBB29_83:
	v_dual_max_f32 v0, v0, v0 :: v_dual_max_f32 v1, v1, v1
	v_dual_max_f32 v2, v2, v2 :: v_dual_max_f32 v3, v3, v3
	v_mad_i64_i32 v[6:7], null, v9, s3, 0
	s_delay_alu instid0(VALU_DEP_3) | instskip(NEXT) | instid1(VALU_DEP_3)
	v_dual_min_f32 v11, v47, v0 :: v_dual_min_f32 v46, v49, v1
	v_dual_min_f32 v9, v42, v2 :: v_dual_min_f32 v42, v43, v3
	s_delay_alu instid0(VALU_DEP_2) | instskip(NEXT) | instid1(VALU_DEP_3)
	v_add_f32_e32 v43, v46, v70
	v_add_f32_e32 v11, v11, v73
	v_lshlrev_b64 v[6:7], 2, v[6:7]
	s_delay_alu instid0(VALU_DEP_3) | instskip(NEXT) | instid1(VALU_DEP_3)
	v_add_f32_e32 v42, v42, v43
	v_add_f32_e32 v9, v9, v11
	s_delay_alu instid0(VALU_DEP_3) | instskip(NEXT) | instid1(VALU_DEP_4)
	v_add_co_u32 v6, vcc_lo, s1, v6
	v_add_co_ci_u32_e32 v7, vcc_lo, s6, v7, vcc_lo
	s_delay_alu instid0(VALU_DEP_3) | instskip(NEXT) | instid1(VALU_DEP_1)
	v_add_f32_e32 v9, v9, v42
	v_add_f32_e32 v11, v9, v10
	s_delay_alu instid0(VALU_DEP_4) | instskip(NEXT) | instid1(VALU_DEP_4)
	v_add_co_u32 v9, vcc_lo, v6, v44
	v_add_co_ci_u32_e32 v10, vcc_lo, v7, v45, vcc_lo
	s_and_b32 vcc_lo, exec_lo, s0
	global_store_b32 v[9:10], v11, off
	s_cbranch_vccnz .LBB29_85
; %bb.84:
	v_add_co_u32 v8, vcc_lo, v4, v40
	v_add_co_ci_u32_e32 v9, vcc_lo, v5, v41, vcc_lo
	flat_load_b32 v8, v[8:9]
	s_waitcnt vmcnt(0) lgkmcnt(0)
	v_mul_f32_e32 v8, s15, v8
.LBB29_85:
	v_dual_min_f32 v9, v51, v1 :: v_dual_min_f32 v10, v50, v0
	v_dual_min_f32 v11, v38, v2 :: v_dual_min_f32 v38, v39, v3
	s_delay_alu instid0(VALU_DEP_2) | instskip(NEXT) | instid1(VALU_DEP_1)
	v_dual_add_f32 v9, v9, v71 :: v_dual_add_f32 v10, v10, v72
	v_dual_add_f32 v9, v38, v9 :: v_dual_add_f32 v10, v11, v10
	s_delay_alu instid0(VALU_DEP_1) | instskip(SKIP_2) | instid1(VALU_DEP_3)
	v_add_f32_e32 v9, v10, v9
	v_add_co_u32 v10, vcc_lo, v6, v40
	v_add_co_ci_u32_e32 v11, vcc_lo, v7, v41, vcc_lo
	v_dual_add_f32 v38, v9, v8 :: v_dual_mov_b32 v9, 0
	v_mov_b32_e32 v8, 0
	s_and_b32 vcc_lo, exec_lo, s0
	global_store_b32 v[10:11], v38, off
	s_cbranch_vccnz .LBB29_87
; %bb.86:
	v_add_co_u32 v9, vcc_lo, v4, v36
	v_add_co_ci_u32_e32 v10, vcc_lo, v5, v37, vcc_lo
	flat_load_b32 v9, v[9:10]
	s_waitcnt vmcnt(0) lgkmcnt(0)
	v_mul_f32_e32 v9, s15, v9
.LBB29_87:
	v_dual_min_f32 v10, v53, v1 :: v_dual_min_f32 v11, v52, v0
	v_dual_min_f32 v34, v34, v2 :: v_dual_min_f32 v35, v35, v3
	s_delay_alu instid0(VALU_DEP_2) | instskip(NEXT) | instid1(VALU_DEP_1)
	v_dual_add_f32 v10, v10, v66 :: v_dual_add_f32 v11, v11, v68
	v_dual_add_f32 v10, v35, v10 :: v_dual_add_f32 v11, v34, v11
	s_delay_alu instid0(VALU_DEP_1) | instskip(NEXT) | instid1(VALU_DEP_1)
	v_add_f32_e32 v10, v11, v10
	v_add_f32_e32 v11, v10, v9
	v_add_co_u32 v9, vcc_lo, v6, v36
	v_add_co_ci_u32_e32 v10, vcc_lo, v7, v37, vcc_lo
	s_and_b32 vcc_lo, exec_lo, s0
	global_store_b32 v[9:10], v11, off
	s_cbranch_vccnz .LBB29_89
; %bb.88:
	v_add_co_u32 v8, vcc_lo, v4, v32
	v_add_co_ci_u32_e32 v9, vcc_lo, v5, v33, vcc_lo
	flat_load_b32 v8, v[8:9]
	s_waitcnt vmcnt(0) lgkmcnt(0)
	v_mul_f32_e32 v8, s15, v8
.LBB29_89:
	v_dual_min_f32 v9, v55, v1 :: v_dual_min_f32 v10, v54, v0
	v_dual_min_f32 v11, v30, v2 :: v_dual_min_f32 v30, v31, v3
	s_delay_alu instid0(VALU_DEP_2) | instskip(NEXT) | instid1(VALU_DEP_1)
	v_dual_add_f32 v9, v9, v65 :: v_dual_add_f32 v10, v10, v67
	v_dual_add_f32 v9, v30, v9 :: v_dual_add_f32 v10, v11, v10
	s_delay_alu instid0(VALU_DEP_1) | instskip(SKIP_2) | instid1(VALU_DEP_3)
	v_add_f32_e32 v9, v10, v9
	v_add_co_u32 v10, vcc_lo, v6, v32
	v_add_co_ci_u32_e32 v11, vcc_lo, v7, v33, vcc_lo
	v_dual_add_f32 v30, v9, v8 :: v_dual_mov_b32 v9, 0
	v_mov_b32_e32 v8, 0
	s_and_b32 vcc_lo, exec_lo, s0
	global_store_b32 v[10:11], v30, off
	s_cbranch_vccnz .LBB29_91
; %bb.90:
	v_add_co_u32 v9, vcc_lo, v4, v28
	v_add_co_ci_u32_e32 v10, vcc_lo, v5, v29, vcc_lo
	flat_load_b32 v9, v[9:10]
	s_waitcnt vmcnt(0) lgkmcnt(0)
	v_mul_f32_e32 v9, s15, v9
.LBB29_91:
	v_dual_min_f32 v10, v69, v1 :: v_dual_min_f32 v11, v58, v0
	v_dual_min_f32 v26, v26, v2 :: v_dual_min_f32 v27, v27, v3
	s_delay_alu instid0(VALU_DEP_2) | instskip(NEXT) | instid1(VALU_DEP_1)
	v_dual_add_f32 v10, v10, v63 :: v_dual_add_f32 v11, v11, v64
	v_dual_add_f32 v10, v27, v10 :: v_dual_add_f32 v11, v26, v11
	s_delay_alu instid0(VALU_DEP_1) | instskip(NEXT) | instid1(VALU_DEP_1)
	v_add_f32_e32 v10, v11, v10
	v_add_f32_e32 v11, v10, v9
	v_add_co_u32 v9, vcc_lo, v6, v28
	v_add_co_ci_u32_e32 v10, vcc_lo, v7, v29, vcc_lo
	s_and_b32 vcc_lo, exec_lo, s0
	global_store_b32 v[9:10], v11, off
	s_cbranch_vccnz .LBB29_93
; %bb.92:
	v_add_co_u32 v8, vcc_lo, v4, v24
	v_add_co_ci_u32_e32 v9, vcc_lo, v5, v25, vcc_lo
	flat_load_b32 v8, v[8:9]
	s_waitcnt vmcnt(0) lgkmcnt(0)
	v_mul_f32_e32 v8, s15, v8
.LBB29_93:
	v_dual_min_f32 v9, v113, v1 :: v_dual_min_f32 v10, v112, v0
	v_dual_min_f32 v11, v22, v2 :: v_dual_min_f32 v22, v23, v3
	v_min_f32_e32 v23, v111, v1
	s_delay_alu instid0(VALU_DEP_3) | instskip(NEXT) | instid1(VALU_DEP_4)
	v_dual_add_f32 v9, v9, v59 :: v_dual_min_f32 v26, v110, v0
	v_add_f32_e32 v10, v10, v62
	s_delay_alu instid0(VALU_DEP_3) | instskip(NEXT) | instid1(VALU_DEP_2)
	v_dual_min_f32 v18, v18, v2 :: v_dual_add_f32 v23, v23, v61
	v_dual_add_f32 v9, v22, v9 :: v_dual_add_f32 v10, v11, v10
	v_min_f32_e32 v11, v19, v3
	v_add_f32_e32 v19, v26, v60
	s_delay_alu instid0(VALU_DEP_2) | instskip(NEXT) | instid1(VALU_DEP_2)
	v_dual_add_f32 v22, v10, v9 :: v_dual_add_f32 v11, v11, v23
	v_add_f32_e32 v18, v18, v19
	v_add_co_u32 v9, vcc_lo, v6, v24
	v_add_co_ci_u32_e32 v10, vcc_lo, v7, v25, vcc_lo
	s_delay_alu instid0(VALU_DEP_4) | instskip(NEXT) | instid1(VALU_DEP_4)
	v_add_f32_e32 v19, v22, v8
	v_add_f32_e32 v8, v18, v11
	s_mov_b32 vcc_lo, s2
	global_store_b32 v[9:10], v19, off
	s_cbranch_vccz .LBB29_96
; %bb.94:
	v_add_co_u32 v9, vcc_lo, v6, v20
	v_add_f32_e32 v11, 0, v8
	v_add_co_ci_u32_e32 v10, vcc_lo, v7, v21, vcc_lo
	s_mov_b32 s0, 0
	global_store_b32 v[9:10], v11, off
	s_cbranch_execz .LBB29_97
; %bb.95:
	v_mov_b32_e32 v4, s0
	s_branch .LBB29_98
.LBB29_96:
	s_mov_b32 s0, -1
.LBB29_97:
	v_add_co_u32 v9, vcc_lo, v4, v20
	v_add_co_ci_u32_e32 v10, vcc_lo, v5, v21, vcc_lo
	flat_load_b32 v11, v[9:10]
	v_add_co_u32 v9, vcc_lo, v6, v20
	v_add_co_ci_u32_e32 v10, vcc_lo, v7, v21, vcc_lo
	v_add_co_u32 v4, vcc_lo, v4, v16
	v_add_co_ci_u32_e32 v5, vcc_lo, v5, v17, vcc_lo
	s_waitcnt vmcnt(0) lgkmcnt(0)
	v_fmac_f32_e32 v8, s15, v11
	global_store_b32 v[9:10], v8, off
	flat_load_b32 v4, v[4:5]
	s_waitcnt vmcnt(0) lgkmcnt(0)
	v_mul_f32_e32 v4, s15, v4
.LBB29_98:
	v_dual_min_f32 v1, v13, v1 :: v_dual_min_f32 v0, v12, v0
	v_dual_min_f32 v2, v14, v2 :: v_dual_min_f32 v3, v15, v3
	s_delay_alu instid0(VALU_DEP_2) | instskip(NEXT) | instid1(VALU_DEP_1)
	v_dual_add_f32 v1, v1, v56 :: v_dual_add_f32 v0, v0, v57
	v_dual_add_f32 v1, v3, v1 :: v_dual_add_f32 v0, v2, v0
	s_delay_alu instid0(VALU_DEP_1) | instskip(NEXT) | instid1(VALU_DEP_1)
	v_add_f32_e32 v0, v0, v1
	v_add_f32_e32 v2, v0, v4
	v_add_co_u32 v0, vcc_lo, v6, v16
	v_add_co_ci_u32_e32 v1, vcc_lo, v7, v17, vcc_lo
	global_store_b32 v[0:1], v2, off
	s_nop 0
	s_sendmsg sendmsg(MSG_DEALLOC_VGPRS)
	s_endpgm
	.section	.rodata,"a",@progbits
	.p2align	6, 0x0
	.amdhsa_kernel _ZN12_GLOBAL__N_120geam_min_plus_kernelIf15HIP_vector_typeIfLj2EES2_Li8ELi32ELi64ELi128ELi4ELi64ELi4ELi4ELi64ELc78ELc78ELb0ELb0ELb0EfKPKfKPfEEviiiT16_PT17_ilSA_ilS8_SA_ilPT18_ili26rocblas_geam_ex_operation_
		.amdhsa_group_segment_fixed_size 6144
		.amdhsa_private_segment_fixed_size 0
		.amdhsa_kernarg_size 128
		.amdhsa_user_sgpr_count 14
		.amdhsa_user_sgpr_dispatch_ptr 0
		.amdhsa_user_sgpr_queue_ptr 0
		.amdhsa_user_sgpr_kernarg_segment_ptr 1
		.amdhsa_user_sgpr_dispatch_id 0
		.amdhsa_user_sgpr_private_segment_size 0
		.amdhsa_wavefront_size32 1
		.amdhsa_uses_dynamic_stack 0
		.amdhsa_enable_private_segment 0
		.amdhsa_system_sgpr_workgroup_id_x 1
		.amdhsa_system_sgpr_workgroup_id_y 0
		.amdhsa_system_sgpr_workgroup_id_z 1
		.amdhsa_system_sgpr_workgroup_info 0
		.amdhsa_system_vgpr_workitem_id 1
		.amdhsa_next_free_vgpr 228
		.amdhsa_next_free_sgpr 24
		.amdhsa_reserve_vcc 1
		.amdhsa_float_round_mode_32 0
		.amdhsa_float_round_mode_16_64 0
		.amdhsa_float_denorm_mode_32 3
		.amdhsa_float_denorm_mode_16_64 3
		.amdhsa_dx10_clamp 1
		.amdhsa_ieee_mode 1
		.amdhsa_fp16_overflow 0
		.amdhsa_workgroup_processor_mode 1
		.amdhsa_memory_ordered 1
		.amdhsa_forward_progress 0
		.amdhsa_shared_vgpr_count 0
		.amdhsa_exception_fp_ieee_invalid_op 0
		.amdhsa_exception_fp_denorm_src 0
		.amdhsa_exception_fp_ieee_div_zero 0
		.amdhsa_exception_fp_ieee_overflow 0
		.amdhsa_exception_fp_ieee_underflow 0
		.amdhsa_exception_fp_ieee_inexact 0
		.amdhsa_exception_int_div_zero 0
	.end_amdhsa_kernel
	.section	.text._ZN12_GLOBAL__N_120geam_min_plus_kernelIf15HIP_vector_typeIfLj2EES2_Li8ELi32ELi64ELi128ELi4ELi64ELi4ELi4ELi64ELc78ELc78ELb0ELb0ELb0EfKPKfKPfEEviiiT16_PT17_ilSA_ilS8_SA_ilPT18_ili26rocblas_geam_ex_operation_,"axG",@progbits,_ZN12_GLOBAL__N_120geam_min_plus_kernelIf15HIP_vector_typeIfLj2EES2_Li8ELi32ELi64ELi128ELi4ELi64ELi4ELi4ELi64ELc78ELc78ELb0ELb0ELb0EfKPKfKPfEEviiiT16_PT17_ilSA_ilS8_SA_ilPT18_ili26rocblas_geam_ex_operation_,comdat
.Lfunc_end29:
	.size	_ZN12_GLOBAL__N_120geam_min_plus_kernelIf15HIP_vector_typeIfLj2EES2_Li8ELi32ELi64ELi128ELi4ELi64ELi4ELi4ELi64ELc78ELc78ELb0ELb0ELb0EfKPKfKPfEEviiiT16_PT17_ilSA_ilS8_SA_ilPT18_ili26rocblas_geam_ex_operation_, .Lfunc_end29-_ZN12_GLOBAL__N_120geam_min_plus_kernelIf15HIP_vector_typeIfLj2EES2_Li8ELi32ELi64ELi128ELi4ELi64ELi4ELi4ELi64ELc78ELc78ELb0ELb0ELb0EfKPKfKPfEEviiiT16_PT17_ilSA_ilS8_SA_ilPT18_ili26rocblas_geam_ex_operation_
                                        ; -- End function
	.section	.AMDGPU.csdata,"",@progbits
; Kernel info:
; codeLenInByte = 10384
; NumSgprs: 26
; NumVgprs: 228
; ScratchSize: 0
; MemoryBound: 0
; FloatMode: 240
; IeeeMode: 1
; LDSByteSize: 6144 bytes/workgroup (compile time only)
; SGPRBlocks: 3
; VGPRBlocks: 28
; NumSGPRsForWavesPerEU: 26
; NumVGPRsForWavesPerEU: 228
; Occupancy: 6
; WaveLimiterHint : 1
; COMPUTE_PGM_RSRC2:SCRATCH_EN: 0
; COMPUTE_PGM_RSRC2:USER_SGPR: 14
; COMPUTE_PGM_RSRC2:TRAP_HANDLER: 0
; COMPUTE_PGM_RSRC2:TGID_X_EN: 1
; COMPUTE_PGM_RSRC2:TGID_Y_EN: 0
; COMPUTE_PGM_RSRC2:TGID_Z_EN: 1
; COMPUTE_PGM_RSRC2:TIDIG_COMP_CNT: 1
	.section	.text._ZN12_GLOBAL__N_120geam_min_plus_kernelIf15HIP_vector_typeIfLj2EES2_Li8ELi32ELi64ELi128ELi4ELi64ELi4ELi4ELi64ELc78ELc78ELb0ELb1ELb0EPKfKS4_KPfEEviiiT16_PT17_ilSA_ilS8_SA_ilPT18_ili26rocblas_geam_ex_operation_,"axG",@progbits,_ZN12_GLOBAL__N_120geam_min_plus_kernelIf15HIP_vector_typeIfLj2EES2_Li8ELi32ELi64ELi128ELi4ELi64ELi4ELi4ELi64ELc78ELc78ELb0ELb1ELb0EPKfKS4_KPfEEviiiT16_PT17_ilSA_ilS8_SA_ilPT18_ili26rocblas_geam_ex_operation_,comdat
	.globl	_ZN12_GLOBAL__N_120geam_min_plus_kernelIf15HIP_vector_typeIfLj2EES2_Li8ELi32ELi64ELi128ELi4ELi64ELi4ELi4ELi64ELc78ELc78ELb0ELb1ELb0EPKfKS4_KPfEEviiiT16_PT17_ilSA_ilS8_SA_ilPT18_ili26rocblas_geam_ex_operation_ ; -- Begin function _ZN12_GLOBAL__N_120geam_min_plus_kernelIf15HIP_vector_typeIfLj2EES2_Li8ELi32ELi64ELi128ELi4ELi64ELi4ELi4ELi64ELc78ELc78ELb0ELb1ELb0EPKfKS4_KPfEEviiiT16_PT17_ilSA_ilS8_SA_ilPT18_ili26rocblas_geam_ex_operation_
	.p2align	8
	.type	_ZN12_GLOBAL__N_120geam_min_plus_kernelIf15HIP_vector_typeIfLj2EES2_Li8ELi32ELi64ELi128ELi4ELi64ELi4ELi4ELi64ELc78ELc78ELb0ELb1ELb0EPKfKS4_KPfEEviiiT16_PT17_ilSA_ilS8_SA_ilPT18_ili26rocblas_geam_ex_operation_,@function
_ZN12_GLOBAL__N_120geam_min_plus_kernelIf15HIP_vector_typeIfLj2EES2_Li8ELi32ELi64ELi128ELi4ELi64ELi4ELi4ELi64ELc78ELc78ELb0ELb1ELb0EPKfKS4_KPfEEviiiT16_PT17_ilSA_ilS8_SA_ilPT18_ili26rocblas_geam_ex_operation_: ; @_ZN12_GLOBAL__N_120geam_min_plus_kernelIf15HIP_vector_typeIfLj2EES2_Li8ELi32ELi64ELi128ELi4ELi64ELi4ELi4ELi64ELc78ELc78ELb0ELb1ELb0EPKfKS4_KPfEEviiiT16_PT17_ilSA_ilS8_SA_ilPT18_ili26rocblas_geam_ex_operation_
; %bb.0:
	s_clause 0x1
	s_load_b128 s[16:19], s[0:1], 0x10
	s_load_b128 s[4:7], s[0:1], 0x28
	s_mov_b32 s2, s15
	s_mov_b32 s3, 0
	s_mov_b64 s[20:21], 0
	s_lshl_b64 s[12:13], s[2:3], 2
	s_waitcnt lgkmcnt(0)
	s_add_u32 s8, s16, s12
	s_addc_u32 s9, s17, s13
	s_load_b32 s23, s[8:9], 0x0
	s_clause 0x1
	s_load_b128 s[8:11], s[0:1], 0x40
	s_load_b64 s[16:17], s[0:1], 0x50
	s_waitcnt lgkmcnt(0)
	v_cmp_eq_f32_e64 s15, s23, 0
	v_cmp_neq_f32_e64 s24, s23, 0
	s_add_u32 s10, s10, s12
	s_addc_u32 s11, s11, s13
	s_mov_b64 s[12:13], 0
	s_and_b32 vcc_lo, exec_lo, s15
	s_cbranch_vccnz .LBB30_2
; %bb.1:
	s_lshl_b64 s[20:21], s[2:3], 3
	s_delay_alu instid0(SALU_CYCLE_1)
	s_add_u32 s18, s18, s20
	s_addc_u32 s19, s19, s21
	s_lshl_b64 s[4:5], s[4:5], 2
	s_load_b64 s[18:19], s[18:19], 0x0
	s_waitcnt lgkmcnt(0)
	s_add_u32 s20, s18, s4
	s_addc_u32 s21, s19, s5
.LBB30_2:
	s_load_b32 s15, s[10:11], 0x0
	s_and_not1_b32 vcc_lo, exec_lo, s24
	s_cbranch_vccnz .LBB30_4
; %bb.3:
	s_lshl_b64 s[4:5], s[2:3], 3
	s_delay_alu instid0(SALU_CYCLE_1)
	s_add_u32 s4, s6, s4
	s_addc_u32 s5, s7, s5
	s_lshl_b64 s[6:7], s[8:9], 2
	s_load_b64 s[4:5], s[4:5], 0x0
	s_waitcnt lgkmcnt(0)
	s_add_u32 s12, s4, s6
	s_addc_u32 s13, s5, s7
.LBB30_4:
	s_load_b128 s[4:7], s[0:1], 0x60
	s_waitcnt lgkmcnt(0)
	v_cmp_eq_f32_e64 s8, s15, 0
	v_cmp_neq_f32_e64 s22, s15, 0
	s_delay_alu instid0(VALU_DEP_2)
	s_and_b32 vcc_lo, exec_lo, s8
	s_cbranch_vccnz .LBB30_6
; %bb.5:
	s_lshl_b64 s[8:9], s[2:3], 3
	s_delay_alu instid0(SALU_CYCLE_1)
	s_add_u32 s8, s16, s8
	s_addc_u32 s9, s17, s9
	s_lshl_b64 s[4:5], s[4:5], 2
	s_load_b64 s[8:9], s[8:9], 0x0
	s_waitcnt lgkmcnt(0)
	s_add_u32 s10, s8, s4
	s_addc_u32 s11, s9, s5
	s_branch .LBB30_7
.LBB30_6:
	s_mov_b64 s[10:11], 0
.LBB30_7:
	s_clause 0x1
	s_load_b32 s8, s[0:1], 0x20
	s_load_b128 s[16:19], s[0:1], 0x0
	s_lshl_b64 s[2:3], s[2:3], 3
	v_dual_mov_b32 v9, 0 :: v_dual_and_b32 v56, 0x3ff, v0
	v_bfe_u32 v57, v0, 10, 10
	v_mov_b32_e32 v8, 0
	s_delay_alu instid0(VALU_DEP_2) | instskip(NEXT) | instid1(VALU_DEP_1)
	v_lshl_add_u32 v2, v57, 3, v56
	v_and_b32_e32 v7, 63, v2
	v_lshrrev_b32_e32 v58, 6, v2
	s_waitcnt lgkmcnt(0)
	s_ashr_i32 s9, s8, 31
	s_add_u32 s4, s6, s2
	s_addc_u32 s5, s7, s3
	s_add_i32 s2, s16, -1
	s_load_b64 s[4:5], s[4:5], 0x0
	s_ashr_i32 s3, s2, 31
	s_delay_alu instid0(SALU_CYCLE_1) | instskip(NEXT) | instid1(SALU_CYCLE_1)
	s_lshr_b32 s3, s3, 26
	s_add_i32 s2, s2, s3
	s_delay_alu instid0(SALU_CYCLE_1) | instskip(NEXT) | instid1(SALU_CYCLE_1)
	s_ashr_i32 s2, s2, 6
	s_add_i32 s6, s2, 1
	s_not_b32 s2, s2
	v_cvt_f32_u32_e32 v1, s6
	s_delay_alu instid0(VALU_DEP_1) | instskip(SKIP_2) | instid1(VALU_DEP_1)
	v_rcp_iflag_f32_e32 v1, v1
	s_waitcnt_depctr 0xfff
	v_mul_f32_e32 v1, 0x4f7ffffe, v1
	v_cvt_u32_f32_e32 v1, v1
	s_delay_alu instid0(VALU_DEP_1) | instskip(NEXT) | instid1(VALU_DEP_1)
	v_readfirstlane_b32 s3, v1
	s_mul_i32 s2, s2, s3
	s_delay_alu instid0(SALU_CYCLE_1) | instskip(NEXT) | instid1(SALU_CYCLE_1)
	s_mul_hi_u32 s2, s3, s2
	s_add_i32 s3, s3, s2
	s_delay_alu instid0(SALU_CYCLE_1) | instskip(NEXT) | instid1(SALU_CYCLE_1)
	s_mul_hi_u32 s2, s14, s3
	s_mul_i32 s3, s2, s6
	s_add_i32 s7, s2, 1
	s_sub_i32 s3, s14, s3
	s_delay_alu instid0(SALU_CYCLE_1)
	s_sub_i32 s19, s3, s6
	s_cmp_ge_u32 s3, s6
	s_cselect_b32 s2, s7, s2
	s_cselect_b32 s3, s19, s3
	s_add_i32 s7, s2, 1
	s_cmp_ge_u32 s3, s6
	s_cselect_b32 s3, s7, s2
	s_delay_alu instid0(SALU_CYCLE_1) | instskip(NEXT) | instid1(SALU_CYCLE_1)
	s_mul_i32 s2, s3, s6
	s_sub_i32 s2, s14, s2
	s_delay_alu instid0(SALU_CYCLE_1) | instskip(SKIP_2) | instid1(VALU_DEP_1)
	s_lshl_b32 s14, s2, 6
	v_cmp_gt_i32_e64 s2, s18, v58
	v_or_b32_e32 v0, s14, v7
	v_cmp_gt_i32_e32 vcc_lo, s16, v0
	v_ashrrev_i32_e32 v1, 31, v0
	s_delay_alu instid0(VALU_DEP_4) | instskip(NEXT) | instid1(SALU_CYCLE_1)
	s_and_b32 s2, s2, vcc_lo
	s_and_b32 s2, s24, s2
	s_delay_alu instid0(SALU_CYCLE_1)
	s_and_saveexec_b32 s6, s2
	s_cbranch_execz .LBB30_9
; %bb.8:
	v_mad_i64_i32 v[3:4], null, s8, v58, 0
	v_lshlrev_b64 v[5:6], 2, v[0:1]
	s_delay_alu instid0(VALU_DEP_2) | instskip(NEXT) | instid1(VALU_DEP_1)
	v_lshlrev_b64 v[3:4], 2, v[3:4]
	v_add_co_u32 v3, s2, s20, v3
	s_delay_alu instid0(VALU_DEP_1) | instskip(NEXT) | instid1(VALU_DEP_2)
	v_add_co_ci_u32_e64 v4, s2, s21, v4, s2
	v_add_co_u32 v3, s2, v3, v5
	s_delay_alu instid0(VALU_DEP_1)
	v_add_co_ci_u32_e64 v4, s2, v4, v6, s2
	flat_load_b32 v3, v[3:4]
	s_waitcnt vmcnt(0) lgkmcnt(0)
	v_mul_f32_e32 v9, s23, v3
.LBB30_9:
	s_or_b32 exec_lo, exec_lo, s6
	v_and_b32_e32 v59, 3, v56
	s_add_i32 s25, s18, -1
	v_lshrrev_b32_e32 v10, 2, v2
	s_load_b32 s6, s[0:1], 0x38
	s_lshl_b32 s19, s3, 7
	v_min_i32_e32 v3, s25, v59
	s_xor_b32 s7, s24, -1
	v_add_nc_u32_e32 v2, s19, v10
	v_cmp_le_i32_e64 s2, s18, v59
	s_delay_alu instid0(VALU_DEP_3) | instskip(NEXT) | instid1(VALU_DEP_3)
	v_ashrrev_i32_e32 v4, 31, v3
	v_cmp_le_i32_e64 s3, s17, v2
	s_delay_alu instid0(VALU_DEP_2) | instskip(NEXT) | instid1(VALU_DEP_2)
	v_lshlrev_b64 v[3:4], 2, v[3:4]
	s_or_b32 s26, s3, s7
	s_delay_alu instid0(VALU_DEP_1) | instskip(NEXT) | instid1(VALU_DEP_1)
	v_add_co_u32 v5, s3, s12, v3
	v_add_co_ci_u32_e64 v6, s3, s13, v4, s3
	s_or_b32 s3, s2, s26
	s_delay_alu instid0(SALU_CYCLE_1) | instskip(NEXT) | instid1(SALU_CYCLE_1)
	s_xor_b32 s3, s3, -1
	s_and_saveexec_b32 s27, s3
	s_cbranch_execz .LBB30_11
; %bb.10:
	s_waitcnt lgkmcnt(0)
	v_mad_i64_i32 v[3:4], null, v2, s6, 0
	s_delay_alu instid0(VALU_DEP_1) | instskip(NEXT) | instid1(VALU_DEP_1)
	v_lshlrev_b64 v[3:4], 2, v[3:4]
	v_add_co_u32 v3, s3, v5, v3
	s_delay_alu instid0(VALU_DEP_1)
	v_add_co_ci_u32_e64 v4, s3, v6, v4, s3
	flat_load_b32 v3, v[3:4]
	s_waitcnt vmcnt(0) lgkmcnt(0)
	v_mul_f32_e32 v8, s23, v3
.LBB30_11:
	s_or_b32 exec_lo, exec_lo, s27
	v_dual_mov_b32 v4, 0 :: v_dual_add_nc_u32 v3, 64, v2
	v_mov_b32_e32 v11, 0
	s_delay_alu instid0(VALU_DEP_2) | instskip(NEXT) | instid1(VALU_DEP_1)
	v_cmp_le_i32_e64 s3, s17, v3
	s_or_b32 s27, s3, s7
	s_delay_alu instid0(SALU_CYCLE_1) | instskip(NEXT) | instid1(SALU_CYCLE_1)
	s_or_b32 s2, s2, s27
	s_xor_b32 s2, s2, -1
	s_delay_alu instid0(SALU_CYCLE_1)
	s_and_saveexec_b32 s3, s2
	s_cbranch_execz .LBB30_13
; %bb.12:
	s_waitcnt lgkmcnt(0)
	v_mad_i64_i32 v[11:12], null, v3, s6, 0
	s_delay_alu instid0(VALU_DEP_1) | instskip(NEXT) | instid1(VALU_DEP_1)
	v_lshlrev_b64 v[11:12], 2, v[11:12]
	v_add_co_u32 v5, s2, v5, v11
	s_delay_alu instid0(VALU_DEP_1)
	v_add_co_ci_u32_e64 v6, s2, v6, v12, s2
	flat_load_b32 v5, v[5:6]
	s_waitcnt vmcnt(0) lgkmcnt(0)
	v_mul_f32_e32 v11, s23, v5
.LBB30_13:
	s_or_b32 exec_lo, exec_lo, s3
	v_add_nc_u32_e32 v5, 4, v58
	s_delay_alu instid0(VALU_DEP_1) | instskip(NEXT) | instid1(VALU_DEP_1)
	v_cmp_gt_i32_e64 s2, s18, v5
	s_and_b32 s2, vcc_lo, s2
	s_delay_alu instid0(SALU_CYCLE_1) | instskip(NEXT) | instid1(SALU_CYCLE_1)
	s_and_b32 s2, s24, s2
	s_and_saveexec_b32 s3, s2
	s_cbranch_execz .LBB30_15
; %bb.14:
	v_mad_u64_u32 v[12:13], null, s8, v5, 0
	s_delay_alu instid0(VALU_DEP_1) | instskip(NEXT) | instid1(VALU_DEP_1)
	v_mov_b32_e32 v4, v13
	v_mad_u64_u32 v[13:14], null, s9, v5, v[4:5]
	s_delay_alu instid0(VALU_DEP_1) | instskip(SKIP_1) | instid1(VALU_DEP_2)
	v_lshlrev_b64 v[4:5], 2, v[12:13]
	v_lshlrev_b64 v[12:13], 2, v[0:1]
	v_add_co_u32 v4, s2, s20, v4
	s_delay_alu instid0(VALU_DEP_1) | instskip(NEXT) | instid1(VALU_DEP_2)
	v_add_co_ci_u32_e64 v5, s2, s21, v5, s2
	v_add_co_u32 v4, s2, v4, v12
	s_delay_alu instid0(VALU_DEP_1)
	v_add_co_ci_u32_e64 v5, s2, v5, v13, s2
	flat_load_b32 v4, v[4:5]
	s_waitcnt vmcnt(0) lgkmcnt(0)
	v_mul_f32_e32 v4, s23, v4
.LBB30_15:
	s_or_b32 exec_lo, exec_lo, s3
	v_or_b32_e32 v14, 4, v59
	s_delay_alu instid0(VALU_DEP_1) | instskip(SKIP_1) | instid1(VALU_DEP_2)
	v_min_i32_e32 v5, s25, v14
	v_cmp_le_i32_e64 s2, s18, v14
	v_ashrrev_i32_e32 v6, 31, v5
	s_delay_alu instid0(VALU_DEP_1) | instskip(SKIP_1) | instid1(VALU_DEP_2)
	v_lshlrev_b64 v[12:13], 2, v[5:6]
	v_dual_mov_b32 v5, 0 :: v_dual_mov_b32 v6, 0
	v_add_co_u32 v12, s3, s12, v12
	s_delay_alu instid0(VALU_DEP_1) | instskip(SKIP_1) | instid1(SALU_CYCLE_1)
	v_add_co_ci_u32_e64 v13, s3, s13, v13, s3
	s_or_b32 s3, s2, s26
	s_xor_b32 s3, s3, -1
	s_delay_alu instid0(SALU_CYCLE_1)
	s_and_saveexec_b32 s7, s3
	s_cbranch_execz .LBB30_17
; %bb.16:
	s_waitcnt lgkmcnt(0)
	v_mad_i64_i32 v[14:15], null, v2, s6, 0
	s_delay_alu instid0(VALU_DEP_1) | instskip(NEXT) | instid1(VALU_DEP_1)
	v_lshlrev_b64 v[14:15], 2, v[14:15]
	v_add_co_u32 v14, s3, v12, v14
	s_delay_alu instid0(VALU_DEP_1)
	v_add_co_ci_u32_e64 v15, s3, v13, v15, s3
	flat_load_b32 v6, v[14:15]
	s_waitcnt vmcnt(0) lgkmcnt(0)
	v_mul_f32_e32 v6, s23, v6
.LBB30_17:
	s_or_b32 exec_lo, exec_lo, s7
	s_or_b32 s2, s2, s27
	s_delay_alu instid0(SALU_CYCLE_1) | instskip(NEXT) | instid1(SALU_CYCLE_1)
	s_xor_b32 s2, s2, -1
	s_and_saveexec_b32 s3, s2
	s_cbranch_execz .LBB30_19
; %bb.18:
	s_waitcnt lgkmcnt(0)
	v_mad_i64_i32 v[14:15], null, v3, s6, 0
	s_delay_alu instid0(VALU_DEP_1) | instskip(NEXT) | instid1(VALU_DEP_1)
	v_lshlrev_b64 v[14:15], 2, v[14:15]
	v_add_co_u32 v12, s2, v12, v14
	s_delay_alu instid0(VALU_DEP_1)
	v_add_co_ci_u32_e64 v13, s2, v13, v15, s2
	flat_load_b32 v5, v[12:13]
	s_waitcnt vmcnt(0) lgkmcnt(0)
	v_mul_f32_e32 v5, s23, v5
.LBB30_19:
	s_or_b32 exec_lo, exec_lo, s3
	v_lshlrev_b32_e32 v7, 4, v7
	v_lshlrev_b32_e32 v12, 2, v59
	;; [unrolled: 1-line block ×4, first 2 shown]
	s_mov_b32 s28, 0
	v_lshl_add_u32 v7, v58, 2, v7
	v_lshl_or_b32 v62, v10, 4, v12
	s_cmp_lt_i32 s18, 9
	ds_store_b32 v7, v9 offset:4096
	ds_store_2addr_stride64_b32 v62, v8, v11 offset1:4
	s_waitcnt lgkmcnt(0)
	s_barrier
	buffer_gl0_inv
	ds_load_b128 v[8:11], v60
	ds_load_b128 v[12:15], v61 offset:4096
	ds_load_b128 v[16:19], v61 offset:4224
	;; [unrolled: 1-line block ×11, first 2 shown]
	ds_store_b32 v7, v4 offset:5120
	ds_store_2addr_stride64_b32 v62, v6, v5 offset0:8 offset1:12
	s_waitcnt lgkmcnt(0)
	s_barrier
	buffer_gl0_inv
	v_max_f32_e32 v8, v8, v8
	v_dual_max_f32 v12, v12, v12 :: v_dual_max_f32 v13, v13, v13
	v_dual_max_f32 v9, v9, v9 :: v_dual_max_f32 v16, v16, v16
	;; [unrolled: 1-line block ×9, first 2 shown]
	v_dual_min_f32 v63, v12, v8 :: v_dual_min_f32 v64, v13, v9
	v_dual_min_f32 v65, v16, v8 :: v_dual_min_f32 v66, v17, v9
	;; [unrolled: 1-line block ×7, first 2 shown]
	v_dual_min_f32 v8, v40, v8 :: v_dual_max_f32 v11, v11, v11
	v_dual_max_f32 v10, v10, v10 :: v_dual_max_f32 v45, v45, v45
	v_dual_min_f32 v9, v41, v9 :: v_dual_max_f32 v14, v14, v14
	v_max_f32_e32 v15, v15, v15
	s_delay_alu instid0(VALU_DEP_3)
	v_dual_min_f32 v77, v12, v44 :: v_dual_min_f32 v78, v13, v45
	v_dual_max_f32 v18, v18, v18 :: v_dual_max_f32 v19, v19, v19
	v_dual_min_f32 v79, v16, v44 :: v_dual_min_f32 v80, v17, v45
	v_dual_min_f32 v81, v20, v44 :: v_dual_min_f32 v82, v21, v45
	;; [unrolled: 1-line block ×4, first 2 shown]
	v_dual_min_f32 v87, v32, v44 :: v_dual_max_f32 v38, v38, v38
	v_dual_max_f32 v48, v48, v48 :: v_dual_max_f32 v39, v39, v39
	v_dual_min_f32 v88, v36, v44 :: v_dual_max_f32 v43, v43, v43
	v_dual_min_f32 v44, v40, v44 :: v_dual_max_f32 v49, v49, v49
	v_dual_max_f32 v51, v51, v51 :: v_dual_max_f32 v52, v52, v52
	v_dual_max_f32 v53, v53, v53 :: v_dual_max_f32 v54, v54, v54
	;; [unrolled: 1-line block ×5, first 2 shown]
	v_dual_min_f32 v89, v12, v48 :: v_dual_max_f32 v42, v42, v42
	v_dual_min_f32 v90, v16, v48 :: v_dual_max_f32 v47, v47, v47
	v_dual_max_f32 v46, v46, v46 :: v_dual_min_f32 v91, v20, v48
	v_dual_min_f32 v101, v24, v48 :: v_dual_max_f32 v50, v50, v50
	v_dual_max_f32 v55, v55, v55 :: v_dual_min_f32 v130, v36, v48
	v_min_f32_e32 v117, v28, v48
	v_dual_min_f32 v129, v32, v48 :: v_dual_min_f32 v92, v37, v45
	v_min_f32_e32 v48, v40, v48
	v_dual_min_f32 v12, v12, v52 :: v_dual_min_f32 v93, v13, v49
	v_dual_min_f32 v16, v16, v52 :: v_dual_min_f32 v95, v21, v49
	;; [unrolled: 1-line block ×4, first 2 shown]
	v_min_f32_e32 v28, v28, v52
	v_dual_min_f32 v32, v32, v52 :: v_dual_min_f32 v13, v13, v53
	v_min_f32_e32 v36, v36, v52
	v_dual_min_f32 v40, v40, v52 :: v_dual_min_f32 v21, v21, v53
	v_min_f32_e32 v52, v33, v45
	v_dual_min_f32 v94, v17, v49 :: v_dual_add_f32 v63, 0, v63
	v_dual_min_f32 v132, v29, v49 :: v_dual_min_f32 v97, v14, v10
	v_dual_min_f32 v134, v37, v49 :: v_dual_min_f32 v99, v18, v10
	v_dual_min_f32 v25, v25, v53 :: v_dual_add_f32 v64, 0, v64
	v_dual_min_f32 v29, v29, v53 :: v_dual_min_f32 v96, v15, v11
	v_dual_min_f32 v33, v33, v53 :: v_dual_add_f32 v66, 0, v66
	v_dual_min_f32 v37, v37, v53 :: v_dual_min_f32 v98, v19, v11
	s_delay_alu instid0(VALU_DEP_3)
	v_dual_add_f32 v65, 0, v65 :: v_dual_add_f32 v128, v64, v96
	v_dual_max_f32 v34, v34, v34 :: v_dual_max_f32 v35, v35, v35
	v_min_f32_e32 v45, v41, v45
	v_min_f32_e32 v49, v41, v49
	;; [unrolled: 1-line block ×3, first 2 shown]
	v_dual_min_f32 v41, v41, v53 :: v_dual_add_f32 v64, 0, v67
	v_dual_add_f32 v127, v63, v97 :: v_dual_add_f32 v126, v65, v99
	v_add_f32_e32 v125, v66, v98
	v_dual_add_f32 v53, 0, v68 :: v_dual_add_f32 v66, 0, v70
	v_dual_min_f32 v63, v23, v11 :: v_dual_add_f32 v70, 0, v72
	v_dual_min_f32 v65, v22, v10 :: v_dual_min_f32 v72, v31, v11
	v_dual_min_f32 v67, v27, v11 :: v_dual_add_f32 v68, 0, v69
	s_delay_alu instid0(VALU_DEP_2) | instskip(NEXT) | instid1(VALU_DEP_2)
	v_dual_min_f32 v69, v26, v10 :: v_dual_add_f32 v124, v64, v65
	v_dual_add_f32 v64, 0, v74 :: v_dual_add_f32 v121, v66, v67
	v_dual_add_f32 v66, 0, v73 :: v_dual_add_f32 v123, v53, v63
	s_delay_alu instid0(VALU_DEP_3) | instskip(SKIP_4) | instid1(VALU_DEP_3)
	v_dual_add_f32 v122, v68, v69 :: v_dual_add_f32 v53, 0, v71
	v_dual_add_f32 v68, 0, v76 :: v_dual_min_f32 v69, v39, v11
	v_dual_add_f32 v8, 0, v8 :: v_dual_min_f32 v65, v35, v11
	v_dual_add_f32 v119, v70, v72 :: v_dual_add_f32 v70, 0, v75
	v_min_f32_e32 v63, v30, v10
	v_dual_min_f32 v71, v38, v10 :: v_dual_add_f32 v118, v64, v65
	v_min_f32_e32 v67, v34, v10
	v_dual_add_f32 v9, 0, v9 :: v_dual_min_f32 v10, v42, v10
	v_min_f32_e32 v11, v43, v11
	v_add_f32_e32 v120, v53, v63
	s_delay_alu instid0(VALU_DEP_4) | instskip(NEXT) | instid1(VALU_DEP_4)
	v_dual_add_f32 v63, v66, v67 :: v_dual_add_f32 v64, v68, v69
	v_add_f32_e32 v116, v8, v10
	v_dual_add_f32 v53, 0, v78 :: v_dual_min_f32 v66, v15, v47
	v_add_f32_e32 v65, v70, v71
	v_dual_add_f32 v67, 0, v77 :: v_dual_add_f32 v8, 0, v79
	v_dual_min_f32 v68, v14, v46 :: v_dual_add_f32 v69, 0, v80
	v_add_f32_e32 v10, 0, v82
	v_min_f32_e32 v70, v19, v47
	v_add_f32_e32 v115, v9, v11
	v_min_f32_e32 v9, v18, v46
	v_dual_min_f32 v11, v23, v47 :: v_dual_add_f32 v114, v53, v66
	v_add_f32_e32 v113, v67, v68
	v_dual_add_f32 v111, v69, v70 :: v_dual_min_f32 v68, v27, v47
	s_delay_alu instid0(VALU_DEP_3)
	v_dual_add_f32 v53, 0, v81 :: v_dual_add_f32 v110, v10, v11
	v_dual_min_f32 v66, v22, v46 :: v_dual_add_f32 v69, 0, v83
	v_min_f32_e32 v70, v26, v46
	v_add_f32_e32 v10, 0, v85
	v_add_f32_e32 v112, v8, v9
	v_dual_add_f32 v8, 0, v86 :: v_dual_add_f32 v67, 0, v84
	s_delay_alu instid0(VALU_DEP_4) | instskip(SKIP_2) | instid1(VALU_DEP_4)
	v_add_f32_e32 v108, v69, v70
	v_dual_add_f32 v109, v53, v66 :: v_dual_add_f32 v52, 0, v52
	v_min_f32_e32 v9, v31, v47
	v_dual_add_f32 v107, v67, v68 :: v_dual_add_f32 v66, 0, v87
	v_dual_add_f32 v68, 0, v92 :: v_dual_min_f32 v69, v39, v47
	v_min_f32_e32 v53, v35, v47
	v_dual_min_f32 v67, v34, v46 :: v_dual_add_f32 v44, 0, v44
	s_delay_alu instid0(VALU_DEP_3) | instskip(NEXT) | instid1(VALU_DEP_3)
	v_dual_add_f32 v100, v68, v69 :: v_dual_min_f32 v11, v30, v46
	v_add_f32_e32 v104, v52, v53
	v_dual_add_f32 v105, v8, v9 :: v_dual_add_f32 v8, 0, v88
	v_min_f32_e32 v9, v38, v46
	s_delay_alu instid0(VALU_DEP_4) | instskip(SKIP_4) | instid1(VALU_DEP_2)
	v_add_f32_e32 v106, v10, v11
	v_dual_add_f32 v103, v66, v67 :: v_dual_add_f32 v10, 0, v45
	v_dual_min_f32 v11, v43, v47 :: v_dual_add_f32 v52, 0, v89
	v_dual_min_f32 v45, v42, v46 :: v_dual_add_f32 v46, 0, v93
	v_dual_add_f32 v102, v8, v9 :: v_dual_min_f32 v47, v15, v51
	v_dual_min_f32 v53, v14, v50 :: v_dual_add_f32 v98, v44, v45
	v_add_f32_e32 v44, 0, v95
	v_add_f32_e32 v99, v10, v11
	s_delay_alu instid0(VALU_DEP_4) | instskip(SKIP_2) | instid1(VALU_DEP_2)
	v_dual_add_f32 v97, v46, v47 :: v_dual_add_f32 v8, 0, v94
	v_dual_min_f32 v9, v19, v51 :: v_dual_add_f32 v10, 0, v90
	v_dual_min_f32 v11, v18, v50 :: v_dual_add_f32 v46, 0, v91
	;; [unrolled: 1-line block ×4, first 2 shown]
	v_add_f32_e32 v52, 0, v131
	s_delay_alu instid0(VALU_DEP_3) | instskip(SKIP_1) | instid1(VALU_DEP_4)
	v_dual_min_f32 v53, v27, v51 :: v_dual_add_f32 v92, v44, v45
	v_add_f32_e32 v95, v10, v11
	v_dual_add_f32 v93, v46, v47 :: v_dual_add_f32 v8, 0, v101
	v_dual_min_f32 v9, v26, v50 :: v_dual_add_f32 v10, 0, v132
	v_dual_min_f32 v11, v31, v51 :: v_dual_add_f32 v44, 0, v117
	;; [unrolled: 1-line block ×4, first 2 shown]
	v_dual_add_f32 v52, 0, v129 :: v_dual_min_f32 v53, v34, v50
	s_delay_alu instid0(VALU_DEP_3) | instskip(SKIP_1) | instid1(VALU_DEP_3)
	v_add_f32_e32 v88, v44, v45
	v_dual_add_f32 v91, v8, v9 :: v_dual_add_f32 v8, 0, v134
	v_dual_add_f32 v89, v10, v11 :: v_dual_add_f32 v86, v52, v53
	;; [unrolled: 1-line block ×3, first 2 shown]
	v_dual_min_f32 v9, v39, v51 :: v_dual_add_f32 v44, 0, v49
	v_dual_min_f32 v11, v38, v50 :: v_dual_add_f32 v46, 0, v48
	s_delay_alu instid0(VALU_DEP_2) | instskip(SKIP_2) | instid1(VALU_DEP_4)
	v_dual_min_f32 v45, v43, v51 :: v_dual_add_f32 v84, v8, v9
	v_add_f32_e32 v13, 0, v13
	v_dual_min_f32 v15, v15, v55 :: v_dual_add_f32 v8, 0, v12
	v_dual_add_f32 v85, v10, v11 :: v_dual_add_f32 v10, 0, v17
	v_dual_add_f32 v11, 0, v20 :: v_dual_min_f32 v14, v14, v54
	s_delay_alu instid0(VALU_DEP_3)
	v_dual_min_f32 v47, v42, v50 :: v_dual_add_f32 v80, v13, v15
	v_dual_add_f32 v9, 0, v16 :: v_dual_add_f32 v12, 0, v21
	v_dual_add_f32 v13, 0, v24 :: v_dual_min_f32 v18, v18, v54
	v_dual_add_f32 v15, 0, v25 :: v_dual_add_f32 v20, 0, v32
	v_add_f32_e32 v25, 0, v37
	v_min_f32_e32 v19, v19, v55
	v_add_f32_e32 v81, v8, v14
	v_dual_min_f32 v8, v22, v54 :: v_dual_add_f32 v83, v44, v45
	v_dual_add_f32 v16, 0, v28 :: v_dual_add_f32 v17, 0, v29
	v_dual_add_f32 v24, 0, v36 :: v_dual_add_f32 v29, 0, v41
	v_dual_add_f32 v78, v9, v18 :: v_dual_min_f32 v23, v23, v55
	v_min_f32_e32 v9, v27, v55
	v_dual_add_f32 v77, v11, v8 :: v_dual_min_f32 v8, v26, v54
	v_add_f32_e32 v79, v10, v19
	v_dual_min_f32 v10, v31, v55 :: v_dual_add_f32 v21, 0, v33
	v_dual_add_f32 v28, 0, v40 :: v_dual_min_f32 v11, v30, v54
	s_delay_alu instid0(VALU_DEP_2) | instskip(SKIP_4) | instid1(VALU_DEP_4)
	v_dual_add_f32 v82, v46, v47 :: v_dual_add_f32 v73, v17, v10
	v_min_f32_e32 v10, v38, v54
	v_add_f32_e32 v74, v15, v9
	v_min_f32_e32 v9, v35, v55
	v_dual_add_f32 v75, v13, v8 :: v_dual_min_f32 v8, v34, v54
	v_add_f32_e32 v68, v24, v10
	v_add_f32_e32 v76, v12, v23
	;; [unrolled: 1-line block ×3, first 2 shown]
	v_dual_min_f32 v11, v43, v55 :: v_dual_min_f32 v12, v42, v54
	v_dual_add_f32 v70, v21, v9 :: v_dual_min_f32 v9, v39, v55
	v_add_f32_e32 v71, v20, v8
	s_delay_alu instid0(VALU_DEP_3) | instskip(NEXT) | instid1(VALU_DEP_3)
	v_dual_add_f32 v67, v29, v11 :: v_dual_add_f32 v66, v28, v12
	v_add_f32_e32 v69, v25, v9
	s_cbranch_scc1 .LBB30_34
; %bb.20:
	v_add_nc_u32_e32 v8, 12, v58
	v_add_nc_u32_e32 v10, 8, v58
	v_or_b32_e32 v101, 0x1000, v7
	v_add_nc_u32_e32 v129, 0x1400, v7
	v_mad_i64_i32 v[4:5], null, v2, s6, 0
	v_mad_i64_i32 v[6:7], null, v8, s8, 0
	;; [unrolled: 1-line block ×4, first 2 shown]
	v_lshlrev_b64 v[0:1], 2, v[0:1]
	v_lshlrev_b64 v[52:53], 2, v[4:5]
	v_lshlrev_b64 v[48:49], 2, v[6:7]
	v_add_nc_u32_e32 v117, 0x1000, v61
	v_lshlrev_b64 v[50:51], 2, v[8:9]
	v_add_nc_u32_e32 v130, 0x800, v62
	v_add_co_u32 v131, s2, s20, v0
	v_lshlrev_b64 v[54:55], 2, v[10:11]
	v_add_co_ci_u32_e64 v132, s2, s21, v1, s2
	v_lshl_add_u32 v133, v56, 4, 0x1400
	v_lshl_add_u32 v134, v57, 4, 0x800
	s_add_i32 s20, s18, -8
	s_lshl_b64 s[6:7], s[8:9], 5
	s_branch .LBB30_22
.LBB30_21:                              ;   in Loop: Header=BB30_22 Depth=1
	s_or_b32 exec_lo, exec_lo, s3
	v_dual_add_f32 v40, v128, v40 :: v_dual_add_f32 v33, v122, v33
	v_dual_add_f32 v28, v125, v28 :: v_dual_add_f32 v29, v124, v29
	;; [unrolled: 1-line block ×16, first 2 shown]
	v_add_f32_e32 v110, v20, v179
	v_dual_add_f32 v114, v8, v189 :: v_dual_add_f32 v115, v25, v23
	ds_load_b128 v[20:23], v60
	ds_load_b128 v[28:31], v117
	v_dual_add_f32 v5, v98, v5 :: v_dual_add_f32 v96, v96, v150
	v_dual_add_f32 v86, v86, v160 :: v_dual_add_f32 v87, v87, v161
	;; [unrolled: 1-line block ×15, first 2 shown]
	s_delay_alu instid0(VALU_DEP_3)
	v_dual_add_f32 v111, v16, v18 :: v_dual_add_f32 v102, v102, v188
	v_dual_add_f32 v116, v12, v190 :: v_dual_add_f32 v119, v17, v191
	;; [unrolled: 1-line block ×11, first 2 shown]
	ds_load_b128 v[8:11], v117 offset:128
	v_dual_add_f32 v72, v72, v2 :: v_dual_add_f32 v69, v69, v15
	s_waitcnt lgkmcnt(2)
	v_dual_add_f32 v70, v70, v14 :: v_dual_max_f32 v21, v21, v21
	v_dual_add_f32 v68, v68, v6 :: v_dual_add_f32 v127, v46, v19
	s_waitcnt lgkmcnt(1)
	v_dual_add_f32 v128, v43, v7 :: v_dual_max_f32 v29, v29, v29
	ds_load_b128 v[0:3], v117 offset:256
	ds_load_b128 v[4:7], v117 offset:384
	;; [unrolled: 1-line block ×5, first 2 shown]
	v_dual_add_f32 v65, v108, v142 :: v_dual_add_f32 v106, v106, v144
	v_dual_add_f32 v67, v36, v38 :: v_dual_add_f32 v108, v37, v39
	;; [unrolled: 1-line block ×3, first 2 shown]
	ds_load_b128 v[32:35], v117 offset:768
	ds_load_b128 v[36:39], v117 offset:896
	v_dual_max_f32 v20, v20, v20 :: v_dual_min_f32 v139, v29, v21
	s_waitcnt lgkmcnt(7)
	v_dual_max_f32 v28, v28, v28 :: v_dual_max_f32 v9, v9, v9
	v_dual_add_f32 v121, v45, v192 :: v_dual_add_f32 v122, v44, v183
	s_delay_alu instid0(VALU_DEP_2)
	v_dual_add_f32 v107, v107, v194 :: v_dual_min_f32 v138, v28, v20
	s_waitcnt lgkmcnt(6)
	v_dual_max_f32 v1, v1, v1 :: v_dual_max_f32 v0, v0, v0
	s_waitcnt lgkmcnt(5)
	v_dual_max_f32 v5, v5, v5 :: v_dual_add_f32 v66, v66, v139
	v_max_f32_e32 v4, v4, v4
	s_waitcnt lgkmcnt(4)
	v_dual_max_f32 v12, v12, v12 :: v_dual_max_f32 v13, v13, v13
	v_min_f32_e32 v139, v0, v20
	v_dual_max_f32 v8, v8, v8 :: v_dual_add_f32 v67, v67, v138
	s_waitcnt lgkmcnt(1)
	v_max_f32_e32 v32, v32, v32
	v_min_f32_e32 v138, v9, v21
	v_dual_add_f32 v100, v100, v139 :: v_dual_min_f32 v139, v5, v21
	v_max_f32_e32 v17, v17, v17
	v_max_f32_e32 v33, v33, v33
	;; [unrolled: 1-line block ×3, first 2 shown]
	ds_load_b128 v[40:43], v60 offset:1024
	ds_load_b128 v[44:47], v60 offset:1536
	v_dual_add_f32 v108, v108, v139 :: v_dual_min_f32 v139, v13, v21
	v_dual_add_f32 v105, v105, v145 :: v_dual_add_f32 v104, v104, v147
	s_waitcnt lgkmcnt(2)
	v_dual_max_f32 v36, v36, v36 :: v_dual_max_f32 v37, v37, v37
	s_delay_alu instid0(VALU_DEP_3) | instskip(SKIP_3) | instid1(VALU_DEP_3)
	v_dual_add_f32 v110, v110, v139 :: v_dual_min_f32 v139, v32, v20
	v_dual_min_f32 v140, v8, v20 :: v_dual_add_f32 v83, v83, v138
	v_min_f32_e32 v138, v1, v21
	v_dual_add_f32 v64, v64, v193 :: v_dual_add_f32 v105, v105, v195
	v_dual_add_f32 v115, v115, v139 :: v_dual_add_f32 v84, v84, v140
	s_delay_alu instid0(VALU_DEP_3) | instskip(SKIP_3) | instid1(VALU_DEP_4)
	v_dual_add_f32 v99, v99, v138 :: v_dual_min_f32 v140, v4, v20
	v_min_f32_e32 v138, v12, v20
	v_dual_max_f32 v16, v16, v16 :: v_dual_min_f32 v139, v29, v25
	v_max_f32_e32 v24, v24, v24
	v_add_f32_e32 v109, v109, v140
	s_delay_alu instid0(VALU_DEP_3) | instskip(NEXT) | instid1(VALU_DEP_4)
	v_dual_add_f32 v111, v111, v138 :: v_dual_min_f32 v138, v16, v20
	v_dual_min_f32 v140, v17, v21 :: v_dual_add_f32 v139, v119, v139
	v_min_f32_e32 v119, v1, v25
	v_dual_add_f32 v91, v91, v156 :: v_dual_add_f32 v90, v90, v157
	s_delay_alu instid0(VALU_DEP_3) | instskip(NEXT) | instid1(VALU_DEP_3)
	v_dual_add_f32 v113, v113, v138 :: v_dual_add_f32 v112, v112, v140
	v_dual_min_f32 v138, v33, v21 :: v_dual_add_f32 v143, v64, v119
	v_min_f32_e32 v21, v37, v21
	v_dual_add_f32 v65, v65, v185 :: v_dual_add_f32 v106, v106, v186
	s_delay_alu instid0(VALU_DEP_3)
	v_add_f32_e32 v114, v114, v138
	s_waitcnt lgkmcnt(1)
	v_dual_min_f32 v138, v28, v24 :: v_dual_max_f32 v41, v41, v41
	v_add_f32_e32 v21, v116, v21
	v_min_f32_e32 v116, v9, v25
	v_dual_add_f32 v94, v94, v208 :: v_dual_add_f32 v91, v91, v201
	s_delay_alu instid0(VALU_DEP_4) | instskip(SKIP_1) | instid1(VALU_DEP_4)
	v_add_f32_e32 v138, v120, v138
	v_min_f32_e32 v120, v4, v24
	v_add_f32_e32 v141, v121, v116
	v_min_f32_e32 v116, v5, v25
	v_min_f32_e32 v64, v13, v25
	v_max_f32_e32 v40, v40, v40
	v_add_f32_e32 v144, v65, v120
	v_min_f32_e32 v65, v16, v24
	v_min_f32_e32 v20, v36, v20
	v_add_f32_e32 v107, v107, v116
	v_add_f32_e32 v105, v105, v64
	v_min_f32_e32 v64, v33, v25
	v_min_f32_e32 v116, v17, v25
	v_dual_add_f32 v103, v103, v65 :: v_dual_add_f32 v20, v118, v20
	v_dual_min_f32 v25, v37, v25 :: v_dual_min_f32 v118, v8, v24
	v_dual_add_f32 v93, v93, v154 :: v_dual_add_f32 v92, v92, v155
	s_delay_alu instid0(VALU_DEP_2) | instskip(NEXT) | instid1(VALU_DEP_3)
	v_dual_add_f32 v96, v96, v198 :: v_dual_add_f32 v25, v98, v25
	v_add_f32_e32 v140, v122, v118
	v_min_f32_e32 v118, v0, v24
	v_dual_add_f32 v104, v104, v196 :: v_dual_add_f32 v97, v97, v207
	v_dual_add_f32 v93, v93, v200 :: v_dual_add_f32 v88, v88, v158
	s_delay_alu instid0(VALU_DEP_3) | instskip(SKIP_4) | instid1(VALU_DEP_3)
	v_dual_add_f32 v89, v89, v159 :: v_dual_add_f32 v142, v63, v118
	v_dual_min_f32 v63, v12, v24 :: v_dual_add_f32 v90, v90, v210
	v_add_f32_e32 v87, v87, v212
	v_add_f32_e32 v145, v123, v64
	s_waitcnt lgkmcnt(0)
	v_dual_max_f32 v45, v45, v45 :: v_dual_add_f32 v106, v106, v63
	v_min_f32_e32 v63, v32, v24
	v_dual_max_f32 v23, v23, v23 :: v_dual_add_f32 v92, v92, v209
	v_dual_add_f32 v89, v89, v211 :: v_dual_min_f32 v24, v36, v24
	s_delay_alu instid0(VALU_DEP_3) | instskip(SKIP_3) | instid1(VALU_DEP_4)
	v_dual_add_f32 v102, v102, v63 :: v_dual_min_f32 v63, v28, v40
	v_max_f32_e32 v44, v44, v44
	v_dual_add_f32 v88, v88, v202 :: v_dual_add_f32 v85, v85, v204
	v_add_f32_e32 v104, v104, v116
	v_dual_add_f32 v96, v96, v63 :: v_dual_min_f32 v63, v9, v41
	v_dual_add_f32 v82, v82, v217 :: v_dual_add_f32 v81, v81, v214
	v_max_f32_e32 v11, v11, v11
	s_delay_alu instid0(VALU_DEP_3) | instskip(SKIP_3) | instid1(VALU_DEP_3)
	v_dual_min_f32 v9, v9, v45 :: v_dual_add_f32 v94, v94, v63
	v_dual_min_f32 v63, v5, v41 :: v_dual_min_f32 v98, v4, v40
	v_dual_min_f32 v65, v8, v40 :: v_dual_max_f32 v22, v22, v22
	v_max_f32_e32 v3, v3, v3
	v_dual_add_f32 v90, v90, v63 :: v_dual_add_f32 v91, v91, v98
	v_min_f32_e32 v98, v17, v41
	v_min_f32_e32 v64, v29, v41
	v_dual_min_f32 v63, v13, v41 :: v_dual_add_f32 v24, v124, v24
	v_add_f32_e32 v95, v95, v65
	s_delay_alu instid0(VALU_DEP_4) | instskip(NEXT) | instid1(VALU_DEP_4)
	v_add_f32_e32 v87, v87, v98
	v_add_f32_e32 v97, v97, v64
	s_delay_alu instid0(VALU_DEP_4)
	v_dual_add_f32 v89, v89, v63 :: v_dual_min_f32 v64, v0, v40
	v_min_f32_e32 v63, v33, v41
	v_min_f32_e32 v65, v1, v41
	v_dual_min_f32 v1, v1, v45 :: v_dual_min_f32 v8, v8, v44
	v_min_f32_e32 v13, v13, v45
	v_add_f32_e32 v93, v93, v64
	v_dual_min_f32 v64, v12, v40 :: v_dual_min_f32 v41, v37, v41
	v_dual_min_f32 v0, v0, v44 :: v_dual_min_f32 v33, v33, v45
	s_delay_alu instid0(VALU_DEP_4) | instskip(SKIP_1) | instid1(VALU_DEP_4)
	v_dual_min_f32 v4, v4, v44 :: v_dual_add_f32 v13, v73, v13
	v_min_f32_e32 v12, v12, v44
	v_dual_add_f32 v88, v88, v64 :: v_dual_add_f32 v41, v82, v41
	v_min_f32_e32 v64, v32, v40
	s_delay_alu instid0(VALU_DEP_4) | instskip(SKIP_2) | instid1(VALU_DEP_4)
	v_dual_add_f32 v4, v75, v4 :: v_dual_min_f32 v37, v37, v45
	v_dual_min_f32 v32, v32, v44 :: v_dual_add_f32 v33, v69, v33
	v_add_f32_e32 v12, v72, v12
	v_dual_add_f32 v92, v92, v65 :: v_dual_add_f32 v85, v85, v64
	v_min_f32_e32 v65, v16, v40
	v_dual_min_f32 v40, v36, v40 :: v_dual_add_f32 v9, v79, v9
	v_min_f32_e32 v29, v29, v45
	v_dual_add_f32 v146, v125, v63 :: v_dual_add_f32 v37, v127, v37
	v_dual_add_f32 v32, v68, v32 :: v_dual_min_f32 v63, v11, v23
	v_max_f32_e32 v30, v30, v30
	v_dual_add_f32 v40, v126, v40 :: v_dual_min_f32 v5, v5, v45
	v_dual_add_f32 v8, v78, v8 :: v_dual_min_f32 v17, v17, v45
	s_delay_alu instid0(VALU_DEP_4) | instskip(NEXT) | instid1(VALU_DEP_4)
	v_dual_add_f32 v125, v83, v63 :: v_dual_min_f32 v16, v16, v44
	v_min_f32_e32 v45, v30, v22
	v_dual_add_f32 v86, v86, v65 :: v_dual_max_f32 v31, v31, v31
	v_min_f32_e32 v36, v36, v44
	s_delay_alu instid0(VALU_DEP_3) | instskip(SKIP_3) | instid1(VALU_DEP_3)
	v_dual_max_f32 v10, v10, v10 :: v_dual_add_f32 v127, v67, v45
	v_dual_min_f32 v45, v3, v23 :: v_dual_max_f32 v6, v6, v6
	v_dual_min_f32 v28, v28, v44 :: v_dual_add_f32 v5, v74, v5
	v_add_f32_e32 v16, v71, v16
	v_dual_max_f32 v2, v2, v2 :: v_dual_add_f32 v123, v99, v45
	s_delay_alu instid0(VALU_DEP_4) | instskip(SKIP_3) | instid1(VALU_DEP_3)
	v_min_f32_e32 v45, v6, v22
	v_max_f32_e32 v14, v14, v14
	v_min_f32_e32 v44, v31, v23
	v_dual_add_f32 v36, v128, v36 :: v_dual_max_f32 v7, v7, v7
	v_dual_add_f32 v122, v109, v45 :: v_dual_min_f32 v45, v14, v22
	s_delay_alu instid0(VALU_DEP_3) | instskip(SKIP_3) | instid1(VALU_DEP_3)
	v_add_f32_e32 v128, v66, v44
	v_dual_min_f32 v44, v10, v22 :: v_dual_max_f32 v15, v15, v15
	v_max_f32_e32 v35, v35, v35
	v_min_f32_e32 v63, v7, v23
	v_dual_max_f32 v19, v19, v19 :: v_dual_add_f32 v126, v84, v44
	v_min_f32_e32 v44, v2, v22
	v_max_f32_e32 v18, v18, v18
	v_add_f32_e32 v120, v111, v45
	v_dual_min_f32 v45, v35, v23 :: v_dual_max_f32 v26, v26, v26
	s_delay_alu instid0(VALU_DEP_4)
	v_add_f32_e32 v124, v100, v44
	v_min_f32_e32 v44, v15, v23
	v_add_f32_e32 v121, v108, v63
	v_min_f32_e32 v63, v18, v22
	v_dual_max_f32 v34, v34, v34 :: v_dual_max_f32 v39, v39, v39
	v_add_f32_e32 v64, v114, v45
	v_min_f32_e32 v45, v30, v26
	v_dual_add_f32 v119, v110, v44 :: v_dual_min_f32 v44, v19, v23
	v_add_f32_e32 v63, v113, v63
	v_max_f32_e32 v27, v27, v27
	s_delay_alu instid0(VALU_DEP_4)
	v_add_f32_e32 v113, v138, v45
	v_max_f32_e32 v38, v38, v38
	v_add_f32_e32 v118, v112, v44
	v_dual_min_f32 v44, v34, v22 :: v_dual_min_f32 v23, v39, v23
	v_dual_add_f32 v29, v80, v29 :: v_dual_add_f32 v28, v81, v28
	v_add_f32_e32 v1, v76, v1
	s_delay_alu instid0(VALU_DEP_3) | instskip(NEXT) | instid1(VALU_DEP_4)
	v_add_f32_e32 v65, v115, v44
	v_add_f32_e32 v115, v21, v23
	v_dual_min_f32 v21, v11, v27 :: v_dual_min_f32 v22, v38, v22
	v_dual_min_f32 v23, v7, v27 :: v_dual_add_f32 v0, v77, v0
	v_add_f32_e32 v17, v70, v17
	s_delay_alu instid0(VALU_DEP_3) | instskip(NEXT) | instid1(VALU_DEP_4)
	v_add_f32_e32 v111, v141, v21
	v_dual_min_f32 v21, v3, v27 :: v_dual_add_f32 v116, v20, v22
	s_delay_alu instid0(VALU_DEP_4) | instskip(SKIP_1) | instid1(VALU_DEP_3)
	v_dual_min_f32 v20, v10, v26 :: v_dual_add_f32 v107, v107, v23
	v_min_f32_e32 v22, v2, v26
	v_add_f32_e32 v110, v143, v21
	v_min_f32_e32 v21, v15, v27
	v_min_f32_e32 v44, v31, v27
	v_add_f32_e32 v112, v140, v20
	v_min_f32_e32 v20, v6, v26
	v_add_f32_e32 v109, v142, v22
	s_delay_alu instid0(VALU_DEP_4) | instskip(SKIP_1) | instid1(VALU_DEP_4)
	v_dual_min_f32 v23, v18, v26 :: v_dual_add_f32 v114, v139, v44
	v_add_f32_e32 v105, v105, v21
	v_dual_min_f32 v21, v35, v27 :: v_dual_add_f32 v108, v144, v20
	s_delay_alu instid0(VALU_DEP_3) | instskip(NEXT) | instid1(VALU_DEP_2)
	v_dual_add_f32 v103, v103, v23 :: v_dual_min_f32 v20, v14, v26
	v_dual_min_f32 v23, v39, v27 :: v_dual_add_f32 v100, v145, v21
	v_max_f32_e32 v21, v43, v43
	v_add_co_u32 v131, s2, v131, s6
	s_delay_alu instid0(VALU_DEP_4) | instskip(NEXT) | instid1(VALU_DEP_4)
	v_add_f32_e32 v106, v106, v20
	v_dual_min_f32 v20, v34, v26 :: v_dual_add_f32 v99, v25, v23
	s_delay_alu instid0(VALU_DEP_4) | instskip(SKIP_2) | instid1(VALU_DEP_4)
	v_min_f32_e32 v23, v11, v21
	v_min_f32_e32 v25, v7, v21
	v_add_co_ci_u32_e64 v132, s2, s7, v132, s2
	v_add_f32_e32 v102, v102, v20
	v_min_f32_e32 v20, v31, v21
	v_min_f32_e32 v22, v19, v27
	v_add_f32_e32 v94, v94, v23
	v_add_f32_e32 v90, v90, v25
	s_add_i32 s28, s28, 8
	s_delay_alu instid0(VALU_DEP_3)
	v_dual_add_f32 v97, v97, v20 :: v_dual_add_f32 v104, v104, v22
	v_max_f32_e32 v22, v42, v42
	s_cmp_ge_i32 s28, s20
	ds_store_b32 v129, v135
	ds_store_2addr_stride64_b32 v130, v137, v136 offset1:4
	s_waitcnt lgkmcnt(0)
	s_barrier
	v_min_f32_e32 v20, v10, v22
	v_min_f32_e32 v26, v38, v26
	;; [unrolled: 1-line block ×5, first 2 shown]
	s_delay_alu instid0(VALU_DEP_4) | instskip(NEXT) | instid1(VALU_DEP_4)
	v_dual_add_f32 v95, v95, v20 :: v_dual_add_f32 v98, v24, v26
	v_add_f32_e32 v93, v93, v23
	v_min_f32_e32 v23, v15, v21
	v_min_f32_e32 v24, v3, v21
	buffer_gl0_inv
	v_add_f32_e32 v89, v89, v23
	v_min_f32_e32 v23, v35, v21
	s_delay_alu instid0(VALU_DEP_1) | instskip(SKIP_2) | instid1(VALU_DEP_1)
	v_add_f32_e32 v84, v146, v23
	v_dual_max_f32 v23, v46, v46 :: v_dual_add_f32 v92, v92, v24
	v_min_f32_e32 v24, v14, v22
	v_add_f32_e32 v88, v88, v24
	v_max_f32_e32 v24, v47, v47
	v_min_f32_e32 v20, v6, v22
	v_add_f32_e32 v86, v86, v25
	s_delay_alu instid0(VALU_DEP_3) | instskip(NEXT) | instid1(VALU_DEP_3)
	v_dual_min_f32 v2, v2, v23 :: v_dual_min_f32 v25, v31, v24
	v_dual_add_f32 v96, v96, v27 :: v_dual_add_f32 v91, v91, v20
	v_min_f32_e32 v11, v11, v24
	v_min_f32_e32 v20, v19, v21
	;; [unrolled: 1-line block ×3, first 2 shown]
	v_dual_add_f32 v77, v0, v2 :: v_dual_min_f32 v0, v6, v23
	s_delay_alu instid0(VALU_DEP_4) | instskip(NEXT) | instid1(VALU_DEP_4)
	v_add_f32_e32 v79, v9, v11
	v_dual_add_f32 v87, v87, v20 :: v_dual_min_f32 v20, v34, v22
	s_delay_alu instid0(VALU_DEP_3) | instskip(SKIP_2) | instid1(VALU_DEP_4)
	v_dual_add_f32 v80, v29, v25 :: v_dual_add_f32 v75, v4, v0
	v_min_f32_e32 v0, v18, v23
	v_add_f32_e32 v76, v1, v3
	v_dual_add_f32 v85, v85, v20 :: v_dual_min_f32 v20, v30, v23
	v_min_f32_e32 v3, v14, v23
	v_dual_min_f32 v21, v39, v21 :: v_dual_min_f32 v4, v38, v23
	v_add_f32_e32 v71, v16, v0
	s_delay_alu instid0(VALU_DEP_4) | instskip(SKIP_4) | instid1(VALU_DEP_4)
	v_dual_add_f32 v81, v28, v20 :: v_dual_min_f32 v22, v38, v22
	v_min_f32_e32 v1, v7, v24
	v_min_f32_e32 v2, v15, v24
	;; [unrolled: 1-line block ×3, first 2 shown]
	v_dual_add_f32 v72, v12, v3 :: v_dual_min_f32 v3, v39, v24
	v_add_f32_e32 v74, v5, v1
	s_delay_alu instid0(VALU_DEP_4) | instskip(SKIP_3) | instid1(VALU_DEP_3)
	v_add_f32_e32 v73, v13, v2
	v_dual_min_f32 v1, v19, v24 :: v_dual_add_f32 v82, v40, v22
	v_add_f32_e32 v78, v8, v10
	v_dual_min_f32 v2, v34, v23 :: v_dual_add_f32 v83, v41, v21
	v_dual_add_f32 v70, v17, v1 :: v_dual_min_f32 v1, v35, v24
	s_delay_alu instid0(VALU_DEP_2) | instskip(NEXT) | instid1(VALU_DEP_2)
	v_dual_add_f32 v67, v37, v3 :: v_dual_add_f32 v68, v32, v2
	v_dual_add_f32 v66, v36, v4 :: v_dual_add_f32 v69, v33, v1
	s_cbranch_scc1 .LBB30_34
.LBB30_22:                              ; =>This Inner Loop Header: Depth=1
	v_dual_mov_b32 v138, 0 :: v_dual_add_nc_u32 v137, s28, v58
	s_delay_alu instid0(VALU_DEP_1) | instskip(NEXT) | instid1(VALU_DEP_1)
	v_dual_mov_b32 v139, 0 :: v_dual_add_nc_u32 v0, 8, v137
	v_cmp_gt_i32_e64 s2, s18, v0
	s_delay_alu instid0(VALU_DEP_1) | instskip(NEXT) | instid1(SALU_CYCLE_1)
	s_and_b32 s2, vcc_lo, s2
	s_and_b32 s2, s24, s2
	s_delay_alu instid0(SALU_CYCLE_1)
	s_and_saveexec_b32 s3, s2
	s_cbranch_execz .LBB30_24
; %bb.23:                               ;   in Loop: Header=BB30_22 Depth=1
	v_add_co_u32 v0, s2, v131, v50
	s_delay_alu instid0(VALU_DEP_1)
	v_add_co_ci_u32_e64 v1, s2, v132, v51, s2
	flat_load_b32 v0, v[0:1]
	s_waitcnt vmcnt(0) lgkmcnt(0)
	v_mul_f32_e32 v139, s23, v0
.LBB30_24:                              ;   in Loop: Header=BB30_22 Depth=1
	s_or_b32 exec_lo, exec_lo, s3
	v_add_nc_u32_e32 v136, s28, v59
	s_delay_alu instid0(VALU_DEP_1) | instskip(NEXT) | instid1(VALU_DEP_1)
	v_add_nc_u32_e32 v2, 8, v136
	v_min_i32_e32 v0, s25, v2
	v_cmp_le_i32_e64 s2, s18, v2
	s_delay_alu instid0(VALU_DEP_2) | instskip(NEXT) | instid1(VALU_DEP_1)
	v_ashrrev_i32_e32 v1, 31, v0
	v_lshlrev_b64 v[0:1], 2, v[0:1]
	s_delay_alu instid0(VALU_DEP_1) | instskip(NEXT) | instid1(VALU_DEP_1)
	v_add_co_u32 v0, s3, s12, v0
	v_add_co_ci_u32_e64 v1, s3, s13, v1, s3
	s_or_b32 s3, s26, s2
	s_delay_alu instid0(SALU_CYCLE_1) | instskip(NEXT) | instid1(SALU_CYCLE_1)
	s_xor_b32 s3, s3, -1
	s_and_saveexec_b32 s8, s3
	s_cbranch_execz .LBB30_26
; %bb.25:                               ;   in Loop: Header=BB30_22 Depth=1
	v_add_co_u32 v2, s3, v0, v52
	s_delay_alu instid0(VALU_DEP_1)
	v_add_co_ci_u32_e64 v3, s3, v1, v53, s3
	flat_load_b32 v2, v[2:3]
	s_waitcnt vmcnt(0) lgkmcnt(0)
	v_mul_f32_e32 v138, s23, v2
.LBB30_26:                              ;   in Loop: Header=BB30_22 Depth=1
	s_or_b32 exec_lo, exec_lo, s8
	v_dual_mov_b32 v135, 0 :: v_dual_mov_b32 v140, 0
	s_or_b32 s2, s27, s2
	s_delay_alu instid0(SALU_CYCLE_1) | instskip(NEXT) | instid1(SALU_CYCLE_1)
	s_xor_b32 s2, s2, -1
	s_and_saveexec_b32 s3, s2
	s_cbranch_execz .LBB30_28
; %bb.27:                               ;   in Loop: Header=BB30_22 Depth=1
	v_add_co_u32 v0, s2, v0, v54
	s_delay_alu instid0(VALU_DEP_1)
	v_add_co_ci_u32_e64 v1, s2, v1, v55, s2
	flat_load_b32 v0, v[0:1]
	s_waitcnt vmcnt(0) lgkmcnt(0)
	v_mul_f32_e32 v140, s23, v0
.LBB30_28:                              ;   in Loop: Header=BB30_22 Depth=1
	s_or_b32 exec_lo, exec_lo, s3
	ds_load_b128 v[40:43], v133
	ds_load_b128 v[36:39], v133 offset:128
	ds_load_b128 v[32:35], v133 offset:256
	;; [unrolled: 1-line block ×7, first 2 shown]
	ds_load_b128 v[44:47], v134
	ds_load_b128 v[8:11], v134 offset:512
	ds_load_b128 v[4:7], v134 offset:1024
	;; [unrolled: 1-line block ×3, first 2 shown]
	v_add_nc_u32_e32 v137, 12, v137
	ds_store_b32 v101, v139
	ds_store_2addr_stride64_b32 v62, v138, v140 offset1:4
	s_waitcnt lgkmcnt(0)
	s_barrier
	buffer_gl0_inv
	v_cmp_gt_i32_e64 s2, s18, v137
	s_delay_alu instid0(VALU_DEP_1) | instskip(NEXT) | instid1(SALU_CYCLE_1)
	s_and_b32 s2, vcc_lo, s2
	s_and_b32 s2, s24, s2
	s_delay_alu instid0(SALU_CYCLE_1)
	s_and_saveexec_b32 s3, s2
	s_cbranch_execz .LBB30_30
; %bb.29:                               ;   in Loop: Header=BB30_22 Depth=1
	v_add_co_u32 v137, s2, v131, v48
	s_delay_alu instid0(VALU_DEP_1)
	v_add_co_ci_u32_e64 v138, s2, v132, v49, s2
	flat_load_b32 v135, v[137:138]
	s_waitcnt vmcnt(0) lgkmcnt(0)
	v_mul_f32_e32 v135, s23, v135
.LBB30_30:                              ;   in Loop: Header=BB30_22 Depth=1
	s_or_b32 exec_lo, exec_lo, s3
	v_add_nc_u32_e32 v140, 12, v136
	s_delay_alu instid0(VALU_DEP_1) | instskip(NEXT) | instid1(VALU_DEP_1)
	v_min_i32_e32 v136, s25, v140
	v_ashrrev_i32_e32 v137, 31, v136
	s_delay_alu instid0(VALU_DEP_1) | instskip(SKIP_3) | instid1(VALU_DEP_4)
	v_lshlrev_b64 v[138:139], 2, v[136:137]
	v_mov_b32_e32 v137, 0
	v_cmp_le_i32_e64 s2, s18, v140
	v_mov_b32_e32 v136, 0
	v_add_co_u32 v138, s3, s12, v138
	s_delay_alu instid0(VALU_DEP_1) | instskip(NEXT) | instid1(VALU_DEP_4)
	v_add_co_ci_u32_e64 v139, s3, s13, v139, s3
	s_or_b32 s3, s26, s2
	s_delay_alu instid0(SALU_CYCLE_1) | instskip(NEXT) | instid1(SALU_CYCLE_1)
	s_xor_b32 s3, s3, -1
	s_and_saveexec_b32 s8, s3
	s_cbranch_execz .LBB30_32
; %bb.31:                               ;   in Loop: Header=BB30_22 Depth=1
	v_add_co_u32 v140, s3, v138, v52
	s_delay_alu instid0(VALU_DEP_1)
	v_add_co_ci_u32_e64 v141, s3, v139, v53, s3
	flat_load_b32 v137, v[140:141]
	s_waitcnt vmcnt(0) lgkmcnt(0)
	v_mul_f32_e32 v137, s23, v137
.LBB30_32:                              ;   in Loop: Header=BB30_22 Depth=1
	s_or_b32 exec_lo, exec_lo, s8
	v_dual_max_f32 v174, v20, v20 :: v_dual_max_f32 v175, v21, v21
	v_dual_max_f32 v149, v8, v8 :: v_dual_max_f32 v150, v9, v9
	v_dual_max_f32 v44, v44, v44 :: v_dual_max_f32 v45, v45, v45
	v_dual_max_f32 v164, v40, v40 :: v_dual_max_f32 v165, v41, v41
	v_dual_max_f32 v172, v24, v24 :: v_dual_max_f32 v173, v25, v25
	v_dual_max_f32 v176, v16, v16 :: v_dual_max_f32 v177, v17, v17
	s_delay_alu instid0(VALU_DEP_3)
	v_dual_max_f32 v178, v12, v12 :: v_dual_min_f32 v17, v165, v150
	v_dual_min_f32 v146, v174, v149 :: v_dual_max_f32 v163, v4, v4
	v_dual_max_f32 v180, v5, v5 :: v_dual_max_f32 v181, v0, v0
	v_dual_max_f32 v183, v46, v46 :: v_dual_max_f32 v184, v47, v47
	;; [unrolled: 1-line block ×3, first 2 shown]
	v_dual_min_f32 v16, v172, v44 :: v_dual_max_f32 v179, v13, v13
	v_dual_min_f32 v8, v177, v45 :: v_dual_min_f32 v9, v178, v44
	v_min_f32_e32 v5, v178, v149
	v_dual_max_f32 v182, v1, v1 :: v_dual_min_f32 v1, v178, v163
	v_dual_max_f32 v214, v42, v42 :: v_dual_max_f32 v215, v43, v43
	v_max_f32_e32 v219, v38, v38
	s_delay_alu instid0(VALU_DEP_3)
	v_dual_min_f32 v43, v178, v181 :: v_dual_min_f32 v46, v179, v182
	v_max_f32_e32 v178, v39, v39
	v_dual_max_f32 v222, v30, v30 :: v_dual_max_f32 v223, v31, v31
	v_dual_max_f32 v224, v26, v26 :: v_dual_max_f32 v227, v23, v23
	v_dual_min_f32 v23, v228, v183 :: v_dual_max_f32 v10, v10, v10
	v_dual_max_f32 v166, v36, v36 :: v_dual_max_f32 v167, v37, v37
	v_dual_min_f32 v36, v164, v44 :: v_dual_max_f32 v169, v33, v33
	v_dual_max_f32 v168, v32, v32 :: v_dual_max_f32 v171, v29, v29
	v_max_f32_e32 v170, v28, v28
	v_dual_max_f32 v220, v34, v34 :: v_dual_max_f32 v221, v35, v35
	v_dual_min_f32 v34, v178, v184 :: v_dual_max_f32 v225, v27, v27
	v_max_f32_e32 v226, v22, v22
	v_dual_min_f32 v18, v224, v183 :: v_dual_max_f32 v229, v14, v14
	v_dual_max_f32 v230, v15, v15 :: v_dual_min_f32 v185, v222, v10
	v_dual_max_f32 v11, v11, v11 :: v_dual_max_f32 v6, v6, v6
	v_max_f32_e32 v7, v7, v7
	v_dual_max_f32 v231, v2, v2 :: v_dual_max_f32 v232, v3, v3
	v_dual_min_f32 v40, v165, v45 :: v_dual_min_f32 v41, v166, v44
	v_dual_min_f32 v28, v167, v45 :: v_dual_min_f32 v29, v168, v44
	v_min_f32_e32 v37, v171, v45
	v_dual_min_f32 v32, v169, v45 :: v_dual_min_f32 v33, v170, v44
	v_dual_min_f32 v20, v173, v45 :: v_dual_min_f32 v21, v174, v44
	;; [unrolled: 1-line block ×16, first 2 shown]
	v_min_f32_e32 v162, v176, v163
	v_dual_min_f32 v0, v177, v180 :: v_dual_min_f32 v167, v167, v182
	v_dual_min_f32 v163, v179, v180 :: v_dual_min_f32 v164, v164, v181
	;; [unrolled: 1-line block ×13, first 2 shown]
	v_min_f32_e32 v189, v19, v184
	v_dual_min_f32 v181, v229, v183 :: v_dual_min_f32 v182, v214, v10
	v_dual_min_f32 v190, v230, v184 :: v_dual_min_f32 v191, v215, v11
	v_min_f32_e32 v184, v220, v10
	v_dual_min_f32 v183, v219, v10 :: v_dual_min_f32 v192, v178, v11
	v_dual_min_f32 v193, v221, v11 :: v_dual_min_f32 v186, v224, v10
	;; [unrolled: 1-line block ×13, first 2 shown]
	v_min_f32_e32 v216, v19, v7
	v_dual_min_f32 v217, v230, v7 :: v_dual_min_f32 v218, v215, v232
	v_dual_min_f32 v214, v214, v231 :: v_dual_min_f32 v27, v223, v232
	;; [unrolled: 1-line block ×4, first 2 shown]
	v_min_f32_e32 v15, v19, v232
	v_dual_min_f32 v11, v222, v231 :: v_dual_min_f32 v178, v225, v232
	v_dual_min_f32 v2, v224, v231 :: v_dual_min_f32 v19, v230, v232
	;; [unrolled: 1-line block ×3, first 2 shown]
	v_min_f32_e32 v6, v228, v231
	v_min_f32_e32 v7, v229, v231
	s_or_b32 s2, s27, s2
	s_delay_alu instid0(SALU_CYCLE_1) | instskip(NEXT) | instid1(SALU_CYCLE_1)
	s_xor_b32 s2, s2, -1
	s_and_saveexec_b32 s3, s2
	s_cbranch_execz .LBB30_21
; %bb.33:                               ;   in Loop: Header=BB30_22 Depth=1
	v_add_co_u32 v138, s2, v138, v54
	s_delay_alu instid0(VALU_DEP_1)
	v_add_co_ci_u32_e64 v139, s2, v139, v55, s2
	flat_load_b32 v136, v[138:139]
	s_waitcnt vmcnt(0) lgkmcnt(0)
	v_mul_f32_e32 v136, s23, v136
	s_branch .LBB30_21
.LBB30_34:
	s_clause 0x2
	s_load_b32 s12, s[0:1], 0x58
	s_load_b32 s9, s[0:1], 0x70
	s_load_b64 s[0:1], s[0:1], 0x78
	v_add_nc_u32_e32 v117, s19, v57
	ds_load_b128 v[32:35], v61 offset:5120
	ds_load_b128 v[28:31], v61 offset:5248
	;; [unrolled: 1-line block ×12, first 2 shown]
	v_add_nc_u32_e32 v48, s14, v56
	v_cmp_gt_i32_e64 s8, s17, v117
	v_cndmask_b32_e64 v101, 0, 1, s22
	s_waitcnt lgkmcnt(0)
	v_mad_i64_i32 v[49:50], null, v117, s12, 0
	v_mad_i64_i32 v[51:52], null, v117, s9, 0
	s_lshl_b64 s[0:1], s[0:1], 2
	s_delay_alu instid0(SALU_CYCLE_1) | instskip(SKIP_1) | instid1(VALU_DEP_2)
	s_add_u32 s13, s4, s0
	s_addc_u32 s14, s5, s1
	v_lshlrev_b64 v[49:50], 2, v[49:50]
	v_cmp_gt_i32_e64 s0, s16, v48
	s_delay_alu instid0(VALU_DEP_3) | instskip(NEXT) | instid1(VALU_DEP_2)
	v_lshlrev_b64 v[51:52], 2, v[51:52]
	s_and_b32 s2, s0, s8
	s_delay_alu instid0(VALU_DEP_3) | instskip(NEXT) | instid1(VALU_DEP_4)
	v_add_co_u32 v131, vcc_lo, s10, v49
	v_add_co_ci_u32_e32 v132, vcc_lo, s11, v50, vcc_lo
	s_delay_alu instid0(VALU_DEP_3) | instskip(NEXT) | instid1(VALU_DEP_4)
	v_add_co_u32 v129, vcc_lo, s13, v51
	v_add_co_ci_u32_e32 v130, vcc_lo, s14, v52, vcc_lo
	v_ashrrev_i32_e32 v49, 31, v48
	s_and_saveexec_b32 s1, s2
	s_cbranch_execz .LBB30_39
; %bb.35:
	s_delay_alu instid0(VALU_DEP_1)
	v_lshlrev_b64 v[50:51], 2, v[48:49]
	s_and_not1_b32 vcc_lo, exec_lo, s22
	s_cbranch_vccnz .LBB30_37
; %bb.36:
	s_delay_alu instid0(VALU_DEP_1) | instskip(NEXT) | instid1(VALU_DEP_2)
	v_add_co_u32 v52, vcc_lo, v131, v50
	v_add_co_ci_u32_e32 v53, vcc_lo, v132, v51, vcc_lo
	flat_load_b32 v52, v[52:53]
	s_waitcnt vmcnt(0) lgkmcnt(0)
	v_mul_f32_e32 v52, s15, v52
	s_branch .LBB30_38
.LBB30_37:
	v_mov_b32_e32 v52, 0
.LBB30_38:
	v_dual_max_f32 v53, v45, v45 :: v_dual_max_f32 v56, v32, v32
	v_dual_max_f32 v54, v33, v33 :: v_dual_max_f32 v55, v44, v44
	;; [unrolled: 1-line block ×3, first 2 shown]
	v_max_f32_e32 v59, v35, v35
	s_delay_alu instid0(VALU_DEP_3) | instskip(NEXT) | instid1(VALU_DEP_4)
	v_min_f32_e32 v53, v54, v53
	v_dual_max_f32 v54, v34, v34 :: v_dual_min_f32 v55, v56, v55
	v_add_co_u32 v50, vcc_lo, v129, v50
	v_add_co_ci_u32_e32 v51, vcc_lo, v130, v51, vcc_lo
	s_delay_alu instid0(VALU_DEP_3) | instskip(SKIP_2) | instid1(VALU_DEP_1)
	v_min_f32_e32 v54, v54, v57
	v_min_f32_e32 v56, v59, v58
	v_add_f32_e32 v55, v127, v55
	v_dual_add_f32 v53, v128, v53 :: v_dual_add_f32 v54, v55, v54
	s_delay_alu instid0(VALU_DEP_1) | instskip(NEXT) | instid1(VALU_DEP_1)
	v_add_f32_e32 v53, v53, v56
	v_add_f32_e32 v53, v54, v53
	s_delay_alu instid0(VALU_DEP_1)
	v_add_f32_e32 v52, v53, v52
	global_store_b32 v[50:51], v52, off
.LBB30_39:
	s_or_b32 exec_lo, exec_lo, s1
	v_add_nc_u32_e32 v50, 8, v48
	s_delay_alu instid0(VALU_DEP_1) | instskip(SKIP_1) | instid1(VALU_DEP_2)
	v_cmp_gt_i32_e64 s1, s16, v50
	v_ashrrev_i32_e32 v51, 31, v50
	s_and_b32 s3, s1, s8
	s_delay_alu instid0(SALU_CYCLE_1)
	s_and_saveexec_b32 s2, s3
	s_cbranch_execz .LBB30_44
; %bb.40:
	v_cmp_ne_u32_e32 vcc_lo, 1, v101
	v_lshlrev_b64 v[52:53], 2, v[50:51]
	s_cbranch_vccnz .LBB30_42
; %bb.41:
	s_delay_alu instid0(VALU_DEP_1) | instskip(NEXT) | instid1(VALU_DEP_2)
	v_add_co_u32 v54, vcc_lo, v131, v52
	v_add_co_ci_u32_e32 v55, vcc_lo, v132, v53, vcc_lo
	flat_load_b32 v54, v[54:55]
	s_waitcnt vmcnt(0) lgkmcnt(0)
	v_mul_f32_e32 v54, s15, v54
	s_branch .LBB30_43
.LBB30_42:
	v_mov_b32_e32 v54, 0
.LBB30_43:
	v_dual_max_f32 v55, v45, v45 :: v_dual_max_f32 v58, v28, v28
	v_dual_max_f32 v56, v29, v29 :: v_dual_max_f32 v57, v44, v44
	;; [unrolled: 1-line block ×3, first 2 shown]
	v_add_co_u32 v52, vcc_lo, v129, v52
	s_delay_alu instid0(VALU_DEP_3) | instskip(NEXT) | instid1(VALU_DEP_4)
	v_dual_min_f32 v55, v56, v55 :: v_dual_max_f32 v56, v30, v30
	v_min_f32_e32 v57, v58, v57
	v_add_co_ci_u32_e32 v53, vcc_lo, v130, v53, vcc_lo
	s_delay_alu instid0(VALU_DEP_3) | instskip(NEXT) | instid1(VALU_DEP_3)
	v_add_f32_e32 v55, v125, v55
	v_dual_min_f32 v56, v56, v59 :: v_dual_add_f32 v57, v126, v57
	s_delay_alu instid0(VALU_DEP_1) | instskip(NEXT) | instid1(VALU_DEP_1)
	v_dual_max_f32 v61, v31, v31 :: v_dual_add_f32 v56, v57, v56
	v_min_f32_e32 v58, v61, v60
	s_delay_alu instid0(VALU_DEP_1) | instskip(NEXT) | instid1(VALU_DEP_1)
	v_add_f32_e32 v55, v55, v58
	v_add_f32_e32 v55, v56, v55
	s_delay_alu instid0(VALU_DEP_1)
	v_add_f32_e32 v54, v55, v54
	global_store_b32 v[52:53], v54, off
.LBB30_44:
	s_or_b32 exec_lo, exec_lo, s2
	v_add_nc_u32_e32 v52, 16, v48
	s_delay_alu instid0(VALU_DEP_1) | instskip(SKIP_1) | instid1(VALU_DEP_2)
	v_cmp_gt_i32_e64 s2, s16, v52
	v_ashrrev_i32_e32 v53, 31, v52
	s_and_b32 s4, s2, s8
	s_delay_alu instid0(SALU_CYCLE_1)
	s_and_saveexec_b32 s3, s4
	s_cbranch_execz .LBB30_49
; %bb.45:
	v_cmp_ne_u32_e32 vcc_lo, 1, v101
	v_lshlrev_b64 v[54:55], 2, v[52:53]
	s_cbranch_vccnz .LBB30_47
; %bb.46:
	s_delay_alu instid0(VALU_DEP_1) | instskip(NEXT) | instid1(VALU_DEP_2)
	v_add_co_u32 v56, vcc_lo, v131, v54
	v_add_co_ci_u32_e32 v57, vcc_lo, v132, v55, vcc_lo
	flat_load_b32 v56, v[56:57]
	s_waitcnt vmcnt(0) lgkmcnt(0)
	v_mul_f32_e32 v56, s15, v56
	s_branch .LBB30_48
.LBB30_47:
	v_mov_b32_e32 v56, 0
.LBB30_48:
	v_dual_max_f32 v57, v45, v45 :: v_dual_max_f32 v60, v24, v24
	v_dual_max_f32 v58, v25, v25 :: v_dual_max_f32 v59, v44, v44
	;; [unrolled: 1-line block ×3, first 2 shown]
	v_max_f32_e32 v125, v27, v27
	s_delay_alu instid0(VALU_DEP_3) | instskip(NEXT) | instid1(VALU_DEP_4)
	v_min_f32_e32 v57, v58, v57
	v_dual_max_f32 v58, v26, v26 :: v_dual_min_f32 v59, v60, v59
	v_add_co_u32 v54, vcc_lo, v129, v54
	v_add_co_ci_u32_e32 v55, vcc_lo, v130, v55, vcc_lo
	s_delay_alu instid0(VALU_DEP_3) | instskip(SKIP_2) | instid1(VALU_DEP_1)
	v_min_f32_e32 v58, v58, v61
	v_dual_min_f32 v60, v125, v62 :: v_dual_add_f32 v57, v123, v57
	v_add_f32_e32 v59, v124, v59
	v_dual_add_f32 v57, v57, v60 :: v_dual_add_f32 v58, v59, v58
	s_delay_alu instid0(VALU_DEP_1) | instskip(NEXT) | instid1(VALU_DEP_1)
	v_add_f32_e32 v57, v58, v57
	v_add_f32_e32 v56, v57, v56
	global_store_b32 v[54:55], v56, off
.LBB30_49:
	s_or_b32 exec_lo, exec_lo, s3
	v_add_nc_u32_e32 v54, 24, v48
	s_delay_alu instid0(VALU_DEP_1) | instskip(SKIP_1) | instid1(VALU_DEP_2)
	v_cmp_gt_i32_e64 s3, s16, v54
	v_ashrrev_i32_e32 v55, 31, v54
	s_and_b32 s5, s3, s8
	s_delay_alu instid0(SALU_CYCLE_1)
	s_and_saveexec_b32 s4, s5
	s_cbranch_execz .LBB30_54
; %bb.50:
	v_cmp_ne_u32_e32 vcc_lo, 1, v101
	v_lshlrev_b64 v[56:57], 2, v[54:55]
	s_cbranch_vccnz .LBB30_52
; %bb.51:
	s_delay_alu instid0(VALU_DEP_1) | instskip(NEXT) | instid1(VALU_DEP_2)
	v_add_co_u32 v58, vcc_lo, v131, v56
	v_add_co_ci_u32_e32 v59, vcc_lo, v132, v57, vcc_lo
	flat_load_b32 v58, v[58:59]
	s_waitcnt vmcnt(0) lgkmcnt(0)
	v_mul_f32_e32 v58, s15, v58
	s_branch .LBB30_53
.LBB30_52:
	v_mov_b32_e32 v58, 0
.LBB30_53:
	v_dual_max_f32 v59, v45, v45 :: v_dual_max_f32 v62, v20, v20
	v_dual_max_f32 v60, v21, v21 :: v_dual_max_f32 v61, v44, v44
	;; [unrolled: 1-line block ×3, first 2 shown]
	v_add_co_u32 v56, vcc_lo, v129, v56
	s_delay_alu instid0(VALU_DEP_3) | instskip(NEXT) | instid1(VALU_DEP_4)
	v_dual_min_f32 v59, v60, v59 :: v_dual_max_f32 v60, v22, v22
	v_min_f32_e32 v61, v62, v61
	v_add_co_ci_u32_e32 v57, vcc_lo, v130, v57, vcc_lo
	s_delay_alu instid0(VALU_DEP_3) | instskip(NEXT) | instid1(VALU_DEP_3)
	v_add_f32_e32 v59, v121, v59
	v_dual_min_f32 v60, v60, v123 :: v_dual_add_f32 v61, v122, v61
	s_delay_alu instid0(VALU_DEP_1) | instskip(NEXT) | instid1(VALU_DEP_1)
	v_dual_max_f32 v125, v23, v23 :: v_dual_add_f32 v60, v61, v60
	v_min_f32_e32 v62, v125, v124
	s_delay_alu instid0(VALU_DEP_1) | instskip(NEXT) | instid1(VALU_DEP_1)
	v_add_f32_e32 v59, v59, v62
	v_add_f32_e32 v59, v60, v59
	s_delay_alu instid0(VALU_DEP_1)
	v_add_f32_e32 v58, v59, v58
	global_store_b32 v[56:57], v58, off
.LBB30_54:
	s_or_b32 exec_lo, exec_lo, s4
	v_add_nc_u32_e32 v56, 32, v48
	s_delay_alu instid0(VALU_DEP_1) | instskip(SKIP_1) | instid1(VALU_DEP_2)
	v_cmp_gt_i32_e64 s4, s16, v56
	v_ashrrev_i32_e32 v57, 31, v56
	s_and_b32 s6, s4, s8
	s_delay_alu instid0(SALU_CYCLE_1)
	s_and_saveexec_b32 s5, s6
	s_cbranch_execz .LBB30_59
; %bb.55:
	v_cmp_ne_u32_e32 vcc_lo, 1, v101
	v_lshlrev_b64 v[58:59], 2, v[56:57]
	s_cbranch_vccnz .LBB30_57
; %bb.56:
	s_delay_alu instid0(VALU_DEP_1) | instskip(NEXT) | instid1(VALU_DEP_2)
	v_add_co_u32 v60, vcc_lo, v131, v58
	v_add_co_ci_u32_e32 v61, vcc_lo, v132, v59, vcc_lo
	flat_load_b32 v60, v[60:61]
	s_waitcnt vmcnt(0) lgkmcnt(0)
	v_mul_f32_e32 v60, s15, v60
	s_branch .LBB30_58
.LBB30_57:
	v_mov_b32_e32 v60, 0
.LBB30_58:
	v_dual_max_f32 v61, v45, v45 :: v_dual_max_f32 v122, v16, v16
	v_dual_max_f32 v62, v17, v17 :: v_dual_max_f32 v121, v44, v44
	;; [unrolled: 1-line block ×3, first 2 shown]
	v_add_co_u32 v58, vcc_lo, v129, v58
	s_delay_alu instid0(VALU_DEP_3) | instskip(SKIP_1) | instid1(VALU_DEP_2)
	v_min_f32_e32 v121, v122, v121
	v_add_co_ci_u32_e32 v59, vcc_lo, v130, v59, vcc_lo
	v_dual_max_f32 v125, v19, v19 :: v_dual_add_f32 v120, v120, v121
	v_min_f32_e32 v61, v62, v61
	v_max_f32_e32 v62, v18, v18
	s_delay_alu instid0(VALU_DEP_1) | instskip(NEXT) | instid1(VALU_DEP_1)
	v_min_f32_e32 v62, v62, v123
	v_dual_add_f32 v62, v120, v62 :: v_dual_add_f32 v61, v119, v61
	v_min_f32_e32 v119, v125, v124
	s_delay_alu instid0(VALU_DEP_1) | instskip(NEXT) | instid1(VALU_DEP_1)
	v_add_f32_e32 v61, v61, v119
	v_add_f32_e32 v61, v62, v61
	s_delay_alu instid0(VALU_DEP_1)
	v_add_f32_e32 v60, v61, v60
	global_store_b32 v[58:59], v60, off
.LBB30_59:
	s_or_b32 exec_lo, exec_lo, s5
	v_add_nc_u32_e32 v58, 40, v48
	s_delay_alu instid0(VALU_DEP_1) | instskip(SKIP_1) | instid1(VALU_DEP_2)
	v_cmp_gt_i32_e64 s5, s16, v58
	v_ashrrev_i32_e32 v59, 31, v58
	s_and_b32 s7, s5, s8
	s_delay_alu instid0(SALU_CYCLE_1)
	s_and_saveexec_b32 s6, s7
	s_cbranch_execz .LBB30_64
; %bb.60:
	v_cmp_ne_u32_e32 vcc_lo, 1, v101
	v_lshlrev_b64 v[60:61], 2, v[58:59]
	s_cbranch_vccnz .LBB30_62
; %bb.61:
	s_delay_alu instid0(VALU_DEP_1) | instskip(NEXT) | instid1(VALU_DEP_2)
	v_add_co_u32 v119, vcc_lo, v131, v60
	v_add_co_ci_u32_e32 v120, vcc_lo, v132, v61, vcc_lo
	flat_load_b32 v62, v[119:120]
	s_waitcnt vmcnt(0) lgkmcnt(0)
	v_mul_f32_e32 v62, s15, v62
	s_branch .LBB30_63
.LBB30_62:
	v_mov_b32_e32 v62, 0
.LBB30_63:
	v_dual_max_f32 v119, v45, v45 :: v_dual_max_f32 v122, v12, v12
	v_dual_max_f32 v120, v13, v13 :: v_dual_max_f32 v121, v44, v44
	;; [unrolled: 1-line block ×3, first 2 shown]
	v_add_co_u32 v60, vcc_lo, v129, v60
	s_delay_alu instid0(VALU_DEP_3) | instskip(SKIP_1) | instid1(VALU_DEP_2)
	v_dual_min_f32 v119, v120, v119 :: v_dual_max_f32 v120, v14, v14
	v_add_co_ci_u32_e32 v61, vcc_lo, v130, v61, vcc_lo
	v_add_f32_e32 v118, v118, v119
	v_max_f32_e32 v125, v15, v15
	v_min_f32_e32 v121, v122, v121
	s_delay_alu instid0(VALU_DEP_2) | instskip(NEXT) | instid1(VALU_DEP_1)
	v_dual_min_f32 v119, v120, v123 :: v_dual_min_f32 v120, v125, v124
	v_dual_add_f32 v63, v63, v121 :: v_dual_add_f32 v118, v118, v120
	s_delay_alu instid0(VALU_DEP_1) | instskip(NEXT) | instid1(VALU_DEP_1)
	v_add_f32_e32 v63, v63, v119
	v_add_f32_e32 v63, v63, v118
	s_delay_alu instid0(VALU_DEP_1)
	v_add_f32_e32 v62, v63, v62
	global_store_b32 v[60:61], v62, off
.LBB30_64:
	s_or_b32 exec_lo, exec_lo, s6
	v_add_nc_u32_e32 v60, 48, v48
	s_delay_alu instid0(VALU_DEP_1) | instskip(SKIP_1) | instid1(VALU_DEP_2)
	v_cmp_gt_i32_e64 s6, s16, v60
	v_ashrrev_i32_e32 v61, 31, v60
	s_and_b32 s18, s6, s8
	s_delay_alu instid0(SALU_CYCLE_1)
	s_and_saveexec_b32 s7, s18
	s_cbranch_execz .LBB30_69
; %bb.65:
	v_cmp_ne_u32_e32 vcc_lo, 1, v101
	v_lshlrev_b64 v[62:63], 2, v[60:61]
	s_cbranch_vccnz .LBB30_67
; %bb.66:
	s_delay_alu instid0(VALU_DEP_1) | instskip(NEXT) | instid1(VALU_DEP_2)
	v_add_co_u32 v118, vcc_lo, v131, v62
	v_add_co_ci_u32_e32 v119, vcc_lo, v132, v63, vcc_lo
	flat_load_b32 v118, v[118:119]
	s_waitcnt vmcnt(0) lgkmcnt(0)
	v_mul_f32_e32 v118, s15, v118
	s_branch .LBB30_68
.LBB30_67:
	v_mov_b32_e32 v118, 0
.LBB30_68:
	v_dual_max_f32 v119, v45, v45 :: v_dual_max_f32 v122, v8, v8
	v_dual_max_f32 v120, v9, v9 :: v_dual_max_f32 v121, v44, v44
	;; [unrolled: 1-line block ×3, first 2 shown]
	v_add_co_u32 v62, vcc_lo, v129, v62
	s_delay_alu instid0(VALU_DEP_3) | instskip(NEXT) | instid1(VALU_DEP_4)
	v_dual_min_f32 v119, v120, v119 :: v_dual_max_f32 v120, v10, v10
	v_min_f32_e32 v121, v122, v121
	v_add_co_ci_u32_e32 v63, vcc_lo, v130, v63, vcc_lo
	s_delay_alu instid0(VALU_DEP_3) | instskip(SKIP_3) | instid1(VALU_DEP_3)
	v_add_f32_e32 v64, v64, v119
	v_max_f32_e32 v125, v11, v11
	v_min_f32_e32 v119, v120, v123
	v_add_f32_e32 v65, v65, v121
	v_min_f32_e32 v120, v125, v124
	s_delay_alu instid0(VALU_DEP_1) | instskip(NEXT) | instid1(VALU_DEP_1)
	v_dual_add_f32 v65, v65, v119 :: v_dual_add_f32 v64, v64, v120
	v_add_f32_e32 v64, v65, v64
	s_delay_alu instid0(VALU_DEP_1)
	v_add_f32_e32 v64, v64, v118
	global_store_b32 v[62:63], v64, off
.LBB30_69:
	s_or_b32 exec_lo, exec_lo, s7
	v_add_nc_u32_e32 v62, 56, v48
	s_delay_alu instid0(VALU_DEP_1) | instskip(SKIP_1) | instid1(VALU_DEP_2)
	v_cmp_gt_i32_e64 s7, s16, v62
	v_ashrrev_i32_e32 v63, 31, v62
	s_and_b32 s16, s7, s8
	s_delay_alu instid0(SALU_CYCLE_1)
	s_and_saveexec_b32 s8, s16
	s_cbranch_execz .LBB30_74
; %bb.70:
	v_cmp_ne_u32_e32 vcc_lo, 1, v101
	v_lshlrev_b64 v[64:65], 2, v[62:63]
	s_cbranch_vccnz .LBB30_72
; %bb.71:
	s_delay_alu instid0(VALU_DEP_1) | instskip(NEXT) | instid1(VALU_DEP_2)
	v_add_co_u32 v118, vcc_lo, v131, v64
	v_add_co_ci_u32_e32 v119, vcc_lo, v132, v65, vcc_lo
	flat_load_b32 v118, v[118:119]
	s_waitcnt vmcnt(0) lgkmcnt(0)
	v_mul_f32_e32 v118, s15, v118
	s_branch .LBB30_73
.LBB30_72:
	v_mov_b32_e32 v118, 0
.LBB30_73:
	v_dual_max_f32 v45, v45, v45 :: v_dual_max_f32 v44, v44, v44
	v_dual_max_f32 v119, v1, v1 :: v_dual_max_f32 v120, v0, v0
	s_delay_alu instid0(VALU_DEP_1) | instskip(NEXT) | instid1(VALU_DEP_2)
	v_dual_max_f32 v46, v46, v46 :: v_dual_min_f32 v45, v119, v45
	v_dual_max_f32 v119, v2, v2 :: v_dual_min_f32 v44, v120, v44
	v_max_f32_e32 v47, v47, v47
	s_delay_alu instid0(VALU_DEP_2) | instskip(NEXT) | instid1(VALU_DEP_3)
	v_dual_add_f32 v45, v115, v45 :: v_dual_add_f32 v44, v116, v44
	v_min_f32_e32 v46, v119, v46
	s_delay_alu instid0(VALU_DEP_1) | instskip(NEXT) | instid1(VALU_DEP_1)
	v_dual_max_f32 v121, v3, v3 :: v_dual_add_f32 v44, v44, v46
	v_min_f32_e32 v47, v121, v47
	s_delay_alu instid0(VALU_DEP_1) | instskip(NEXT) | instid1(VALU_DEP_1)
	v_add_f32_e32 v45, v45, v47
	v_add_f32_e32 v44, v44, v45
	s_delay_alu instid0(VALU_DEP_1)
	v_add_f32_e32 v46, v44, v118
	v_add_co_u32 v44, vcc_lo, v129, v64
	v_add_co_ci_u32_e32 v45, vcc_lo, v130, v65, vcc_lo
	global_store_b32 v[44:45], v46, off
.LBB30_74:
	s_or_b32 exec_lo, exec_lo, s8
	v_add_nc_u32_e32 v64, 32, v117
	s_delay_alu instid0(VALU_DEP_1) | instskip(SKIP_2) | instid1(VALU_DEP_3)
	v_mad_i64_i32 v[44:45], null, v64, s12, 0
	v_mad_i64_i32 v[46:47], null, v64, s9, 0
	v_cmp_gt_i32_e64 s8, s17, v64
	v_lshlrev_b64 v[44:45], 2, v[44:45]
	s_delay_alu instid0(VALU_DEP_2) | instskip(NEXT) | instid1(VALU_DEP_3)
	s_and_b32 s18, s0, s8
	v_lshlrev_b64 v[46:47], 2, v[46:47]
	s_delay_alu instid0(VALU_DEP_2) | instskip(NEXT) | instid1(VALU_DEP_3)
	v_add_co_u32 v64, vcc_lo, s10, v44
	v_add_co_ci_u32_e32 v65, vcc_lo, s11, v45, vcc_lo
	s_delay_alu instid0(VALU_DEP_3) | instskip(NEXT) | instid1(VALU_DEP_4)
	v_add_co_u32 v46, vcc_lo, s13, v46
	v_add_co_ci_u32_e32 v47, vcc_lo, s14, v47, vcc_lo
	s_and_saveexec_b32 s16, s18
	s_cbranch_execnz .LBB30_82
; %bb.75:
	s_or_b32 exec_lo, exec_lo, s16
	s_and_b32 s18, s1, s8
	s_delay_alu instid0(SALU_CYCLE_1)
	s_and_saveexec_b32 s16, s18
	s_cbranch_execnz .LBB30_86
.LBB30_76:
	s_or_b32 exec_lo, exec_lo, s16
	s_and_b32 s18, s2, s8
	s_delay_alu instid0(SALU_CYCLE_1)
	s_and_saveexec_b32 s16, s18
	s_cbranch_execnz .LBB30_90
.LBB30_77:
	s_or_b32 exec_lo, exec_lo, s16
	s_and_b32 s18, s3, s8
	s_delay_alu instid0(SALU_CYCLE_1)
	s_and_saveexec_b32 s16, s18
	s_cbranch_execnz .LBB30_94
.LBB30_78:
	s_or_b32 exec_lo, exec_lo, s16
	s_and_b32 s18, s4, s8
	s_delay_alu instid0(SALU_CYCLE_1)
	s_and_saveexec_b32 s16, s18
	s_cbranch_execnz .LBB30_98
.LBB30_79:
	s_or_b32 exec_lo, exec_lo, s16
	s_and_b32 s18, s5, s8
	s_delay_alu instid0(SALU_CYCLE_1)
	s_and_saveexec_b32 s16, s18
	s_cbranch_execnz .LBB30_102
.LBB30_80:
	s_or_b32 exec_lo, exec_lo, s16
	s_and_b32 s18, s6, s8
	s_delay_alu instid0(SALU_CYCLE_1)
	s_and_saveexec_b32 s16, s18
	s_cbranch_execnz .LBB30_106
.LBB30_81:
	s_or_b32 exec_lo, exec_lo, s16
	s_and_b32 s16, s7, s8
	s_delay_alu instid0(SALU_CYCLE_1)
	s_and_saveexec_b32 s8, s16
	s_cbranch_execnz .LBB30_110
	s_branch .LBB30_114
.LBB30_82:
	v_cmp_ne_u32_e32 vcc_lo, 1, v101
	v_lshlrev_b64 v[44:45], 2, v[48:49]
	s_cbranch_vccnz .LBB30_84
; %bb.83:
	s_delay_alu instid0(VALU_DEP_1) | instskip(NEXT) | instid1(VALU_DEP_2)
	v_add_co_u32 v115, vcc_lo, v64, v44
	v_add_co_ci_u32_e32 v116, vcc_lo, v65, v45, vcc_lo
	flat_load_b32 v115, v[115:116]
	s_waitcnt vmcnt(0) lgkmcnt(0)
	v_mul_f32_e32 v115, s15, v115
	s_branch .LBB30_85
.LBB30_84:
	v_mov_b32_e32 v115, 0
.LBB30_85:
	v_dual_max_f32 v116, v41, v41 :: v_dual_max_f32 v119, v40, v40
	v_dual_max_f32 v118, v33, v33 :: v_dual_max_f32 v121, v42, v42
	;; [unrolled: 1-line block ×3, first 2 shown]
	v_add_co_u32 v44, vcc_lo, v46, v44
	s_delay_alu instid0(VALU_DEP_2) | instskip(SKIP_2) | instid1(VALU_DEP_3)
	v_dual_min_f32 v116, v118, v116 :: v_dual_min_f32 v119, v120, v119
	v_max_f32_e32 v118, v34, v34
	v_add_co_ci_u32_e32 v45, vcc_lo, v47, v45, vcc_lo
	v_dual_add_f32 v114, v114, v116 :: v_dual_add_f32 v113, v113, v119
	s_delay_alu instid0(VALU_DEP_3) | instskip(NEXT) | instid1(VALU_DEP_1)
	v_min_f32_e32 v116, v118, v121
	v_dual_max_f32 v122, v43, v43 :: v_dual_add_f32 v113, v113, v116
	s_delay_alu instid0(VALU_DEP_1) | instskip(NEXT) | instid1(VALU_DEP_1)
	v_min_f32_e32 v118, v123, v122
	v_add_f32_e32 v114, v114, v118
	s_delay_alu instid0(VALU_DEP_1) | instskip(NEXT) | instid1(VALU_DEP_1)
	v_add_f32_e32 v113, v113, v114
	v_add_f32_e32 v113, v113, v115
	global_store_b32 v[44:45], v113, off
	s_or_b32 exec_lo, exec_lo, s16
	s_and_b32 s18, s1, s8
	s_delay_alu instid0(SALU_CYCLE_1)
	s_and_saveexec_b32 s16, s18
	s_cbranch_execz .LBB30_76
.LBB30_86:
	v_cmp_ne_u32_e32 vcc_lo, 1, v101
	v_lshlrev_b64 v[44:45], 2, v[50:51]
	s_cbranch_vccnz .LBB30_88
; %bb.87:
	s_delay_alu instid0(VALU_DEP_1) | instskip(NEXT) | instid1(VALU_DEP_2)
	v_add_co_u32 v113, vcc_lo, v64, v44
	v_add_co_ci_u32_e32 v114, vcc_lo, v65, v45, vcc_lo
	flat_load_b32 v113, v[113:114]
	s_waitcnt vmcnt(0) lgkmcnt(0)
	v_mul_f32_e32 v113, s15, v113
	s_branch .LBB30_89
.LBB30_88:
	v_mov_b32_e32 v113, 0
.LBB30_89:
	v_dual_max_f32 v114, v41, v41 :: v_dual_max_f32 v119, v42, v42
	v_dual_max_f32 v115, v29, v29 :: v_dual_max_f32 v116, v40, v40
	v_max_f32_e32 v118, v28, v28
	v_max_f32_e32 v120, v43, v43
	;; [unrolled: 1-line block ×3, first 2 shown]
	s_delay_alu instid0(VALU_DEP_4) | instskip(SKIP_3) | instid1(VALU_DEP_4)
	v_min_f32_e32 v114, v115, v114
	v_max_f32_e32 v115, v30, v30
	v_min_f32_e32 v116, v118, v116
	v_add_co_u32 v44, vcc_lo, v46, v44
	v_add_f32_e32 v111, v111, v114
	s_delay_alu instid0(VALU_DEP_4) | instskip(NEXT) | instid1(VALU_DEP_4)
	v_min_f32_e32 v114, v115, v119
	v_add_f32_e32 v112, v112, v116
	v_min_f32_e32 v115, v121, v120
	v_add_co_ci_u32_e32 v45, vcc_lo, v47, v45, vcc_lo
	s_delay_alu instid0(VALU_DEP_2) | instskip(NEXT) | instid1(VALU_DEP_1)
	v_dual_add_f32 v112, v112, v114 :: v_dual_add_f32 v111, v111, v115
	v_add_f32_e32 v111, v112, v111
	s_delay_alu instid0(VALU_DEP_1) | instskip(SKIP_3) | instid1(SALU_CYCLE_1)
	v_add_f32_e32 v111, v111, v113
	global_store_b32 v[44:45], v111, off
	s_or_b32 exec_lo, exec_lo, s16
	s_and_b32 s18, s2, s8
	s_and_saveexec_b32 s16, s18
	s_cbranch_execz .LBB30_77
.LBB30_90:
	v_cmp_ne_u32_e32 vcc_lo, 1, v101
	v_lshlrev_b64 v[44:45], 2, v[52:53]
	s_cbranch_vccnz .LBB30_92
; %bb.91:
	s_delay_alu instid0(VALU_DEP_1) | instskip(NEXT) | instid1(VALU_DEP_2)
	v_add_co_u32 v111, vcc_lo, v64, v44
	v_add_co_ci_u32_e32 v112, vcc_lo, v65, v45, vcc_lo
	flat_load_b32 v111, v[111:112]
	s_waitcnt vmcnt(0) lgkmcnt(0)
	v_mul_f32_e32 v111, s15, v111
	s_branch .LBB30_93
.LBB30_92:
	v_mov_b32_e32 v111, 0
.LBB30_93:
	v_dual_max_f32 v112, v41, v41 :: v_dual_max_f32 v115, v24, v24
	v_dual_max_f32 v113, v25, v25 :: v_dual_max_f32 v114, v40, v40
	;; [unrolled: 1-line block ×3, first 2 shown]
	v_add_co_u32 v44, vcc_lo, v46, v44
	s_delay_alu instid0(VALU_DEP_3) | instskip(SKIP_1) | instid1(VALU_DEP_2)
	v_dual_min_f32 v112, v113, v112 :: v_dual_max_f32 v113, v26, v26
	v_add_co_ci_u32_e32 v45, vcc_lo, v47, v45, vcc_lo
	v_add_f32_e32 v110, v110, v112
	s_delay_alu instid0(VALU_DEP_3) | instskip(SKIP_1) | instid1(VALU_DEP_1)
	v_min_f32_e32 v112, v113, v116
	v_min_f32_e32 v114, v115, v114
	v_dual_max_f32 v118, v43, v43 :: v_dual_add_f32 v109, v109, v114
	s_delay_alu instid0(VALU_DEP_1) | instskip(NEXT) | instid1(VALU_DEP_1)
	v_min_f32_e32 v113, v119, v118
	v_dual_add_f32 v109, v109, v112 :: v_dual_add_f32 v110, v110, v113
	s_delay_alu instid0(VALU_DEP_1) | instskip(NEXT) | instid1(VALU_DEP_1)
	v_add_f32_e32 v109, v109, v110
	v_add_f32_e32 v109, v109, v111
	global_store_b32 v[44:45], v109, off
	s_or_b32 exec_lo, exec_lo, s16
	s_and_b32 s18, s3, s8
	s_delay_alu instid0(SALU_CYCLE_1)
	s_and_saveexec_b32 s16, s18
	s_cbranch_execz .LBB30_78
.LBB30_94:
	v_cmp_ne_u32_e32 vcc_lo, 1, v101
	v_lshlrev_b64 v[44:45], 2, v[54:55]
	s_cbranch_vccnz .LBB30_96
; %bb.95:
	s_delay_alu instid0(VALU_DEP_1) | instskip(NEXT) | instid1(VALU_DEP_2)
	v_add_co_u32 v109, vcc_lo, v64, v44
	v_add_co_ci_u32_e32 v110, vcc_lo, v65, v45, vcc_lo
	flat_load_b32 v109, v[109:110]
	s_waitcnt vmcnt(0) lgkmcnt(0)
	v_mul_f32_e32 v109, s15, v109
	s_branch .LBB30_97
.LBB30_96:
	v_mov_b32_e32 v109, 0
.LBB30_97:
	v_dual_max_f32 v110, v41, v41 :: v_dual_max_f32 v113, v20, v20
	v_dual_max_f32 v111, v21, v21 :: v_dual_max_f32 v112, v40, v40
	;; [unrolled: 1-line block ×3, first 2 shown]
	v_max_f32_e32 v116, v23, v23
	s_delay_alu instid0(VALU_DEP_3) | instskip(NEXT) | instid1(VALU_DEP_4)
	v_min_f32_e32 v110, v111, v110
	v_dual_max_f32 v111, v22, v22 :: v_dual_min_f32 v112, v113, v112
	v_add_co_u32 v44, vcc_lo, v46, v44
	s_delay_alu instid0(VALU_DEP_3) | instskip(NEXT) | instid1(VALU_DEP_3)
	v_add_f32_e32 v107, v107, v110
	v_dual_min_f32 v110, v111, v114 :: v_dual_min_f32 v111, v116, v115
	s_delay_alu instid0(VALU_DEP_4) | instskip(SKIP_1) | instid1(VALU_DEP_2)
	v_add_f32_e32 v108, v108, v112
	v_add_co_ci_u32_e32 v45, vcc_lo, v47, v45, vcc_lo
	v_dual_add_f32 v107, v107, v111 :: v_dual_add_f32 v108, v108, v110
	s_delay_alu instid0(VALU_DEP_1) | instskip(NEXT) | instid1(VALU_DEP_1)
	v_add_f32_e32 v107, v108, v107
	v_add_f32_e32 v107, v107, v109
	global_store_b32 v[44:45], v107, off
	s_or_b32 exec_lo, exec_lo, s16
	s_and_b32 s18, s4, s8
	s_delay_alu instid0(SALU_CYCLE_1)
	s_and_saveexec_b32 s16, s18
	s_cbranch_execz .LBB30_79
.LBB30_98:
	v_cmp_ne_u32_e32 vcc_lo, 1, v101
	v_lshlrev_b64 v[44:45], 2, v[56:57]
	s_cbranch_vccnz .LBB30_100
; %bb.99:
	s_delay_alu instid0(VALU_DEP_1) | instskip(NEXT) | instid1(VALU_DEP_2)
	v_add_co_u32 v107, vcc_lo, v64, v44
	v_add_co_ci_u32_e32 v108, vcc_lo, v65, v45, vcc_lo
	flat_load_b32 v107, v[107:108]
	s_waitcnt vmcnt(0) lgkmcnt(0)
	v_mul_f32_e32 v107, s15, v107
	s_branch .LBB30_101
.LBB30_100:
	v_mov_b32_e32 v107, 0
.LBB30_101:
	v_dual_max_f32 v108, v41, v41 :: v_dual_max_f32 v111, v16, v16
	v_dual_max_f32 v109, v17, v17 :: v_dual_max_f32 v110, v40, v40
	;; [unrolled: 1-line block ×3, first 2 shown]
	v_add_co_u32 v44, vcc_lo, v46, v44
	s_delay_alu instid0(VALU_DEP_3) | instskip(SKIP_2) | instid1(VALU_DEP_3)
	v_dual_min_f32 v108, v109, v108 :: v_dual_max_f32 v109, v18, v18
	v_max_f32_e32 v114, v19, v19
	v_add_co_ci_u32_e32 v45, vcc_lo, v47, v45, vcc_lo
	v_dual_add_f32 v105, v105, v108 :: v_dual_min_f32 v110, v111, v110
	s_delay_alu instid0(VALU_DEP_3) | instskip(NEXT) | instid1(VALU_DEP_1)
	v_dual_min_f32 v108, v109, v112 :: v_dual_min_f32 v109, v114, v113
	v_dual_add_f32 v106, v106, v110 :: v_dual_add_f32 v105, v105, v109
	s_delay_alu instid0(VALU_DEP_1) | instskip(NEXT) | instid1(VALU_DEP_1)
	v_add_f32_e32 v106, v106, v108
	v_add_f32_e32 v105, v106, v105
	s_delay_alu instid0(VALU_DEP_1) | instskip(SKIP_3) | instid1(SALU_CYCLE_1)
	v_add_f32_e32 v105, v105, v107
	global_store_b32 v[44:45], v105, off
	s_or_b32 exec_lo, exec_lo, s16
	s_and_b32 s18, s5, s8
	s_and_saveexec_b32 s16, s18
	s_cbranch_execz .LBB30_80
.LBB30_102:
	v_cmp_ne_u32_e32 vcc_lo, 1, v101
	v_lshlrev_b64 v[44:45], 2, v[58:59]
	s_cbranch_vccnz .LBB30_104
; %bb.103:
	s_delay_alu instid0(VALU_DEP_1) | instskip(NEXT) | instid1(VALU_DEP_2)
	v_add_co_u32 v105, vcc_lo, v64, v44
	v_add_co_ci_u32_e32 v106, vcc_lo, v65, v45, vcc_lo
	flat_load_b32 v105, v[105:106]
	s_waitcnt vmcnt(0) lgkmcnt(0)
	v_mul_f32_e32 v105, s15, v105
	s_branch .LBB30_105
.LBB30_104:
	v_mov_b32_e32 v105, 0
.LBB30_105:
	v_dual_max_f32 v106, v41, v41 :: v_dual_max_f32 v109, v12, v12
	v_dual_max_f32 v107, v13, v13 :: v_dual_max_f32 v108, v40, v40
	;; [unrolled: 1-line block ×3, first 2 shown]
	v_max_f32_e32 v112, v15, v15
	s_delay_alu instid0(VALU_DEP_3) | instskip(NEXT) | instid1(VALU_DEP_4)
	v_min_f32_e32 v106, v107, v106
	v_dual_max_f32 v107, v14, v14 :: v_dual_min_f32 v108, v109, v108
	v_add_co_u32 v44, vcc_lo, v46, v44
	s_delay_alu instid0(VALU_DEP_3) | instskip(NEXT) | instid1(VALU_DEP_3)
	v_add_f32_e32 v104, v104, v106
	v_min_f32_e32 v106, v107, v110
	s_delay_alu instid0(VALU_DEP_4) | instskip(SKIP_2) | instid1(VALU_DEP_2)
	v_add_f32_e32 v103, v103, v108
	v_min_f32_e32 v107, v112, v111
	v_add_co_ci_u32_e32 v45, vcc_lo, v47, v45, vcc_lo
	v_dual_add_f32 v103, v103, v106 :: v_dual_add_f32 v104, v104, v107
	s_delay_alu instid0(VALU_DEP_1) | instskip(NEXT) | instid1(VALU_DEP_1)
	v_add_f32_e32 v103, v103, v104
	v_add_f32_e32 v103, v103, v105
	global_store_b32 v[44:45], v103, off
	s_or_b32 exec_lo, exec_lo, s16
	s_and_b32 s18, s6, s8
	s_delay_alu instid0(SALU_CYCLE_1)
	s_and_saveexec_b32 s16, s18
	s_cbranch_execz .LBB30_81
.LBB30_106:
	v_cmp_ne_u32_e32 vcc_lo, 1, v101
	v_lshlrev_b64 v[44:45], 2, v[60:61]
	s_cbranch_vccnz .LBB30_108
; %bb.107:
	s_delay_alu instid0(VALU_DEP_1) | instskip(NEXT) | instid1(VALU_DEP_2)
	v_add_co_u32 v103, vcc_lo, v64, v44
	v_add_co_ci_u32_e32 v104, vcc_lo, v65, v45, vcc_lo
	flat_load_b32 v103, v[103:104]
	s_waitcnt vmcnt(0) lgkmcnt(0)
	v_mul_f32_e32 v103, s15, v103
	s_branch .LBB30_109
.LBB30_108:
	v_mov_b32_e32 v103, 0
.LBB30_109:
	v_dual_max_f32 v104, v41, v41 :: v_dual_max_f32 v107, v8, v8
	v_dual_max_f32 v105, v9, v9 :: v_dual_max_f32 v106, v40, v40
	;; [unrolled: 1-line block ×3, first 2 shown]
	v_max_f32_e32 v110, v11, v11
	s_delay_alu instid0(VALU_DEP_3) | instskip(NEXT) | instid1(VALU_DEP_4)
	v_dual_min_f32 v104, v105, v104 :: v_dual_max_f32 v105, v10, v10
	v_min_f32_e32 v106, v107, v106
	v_add_co_u32 v44, vcc_lo, v46, v44
	s_delay_alu instid0(VALU_DEP_3) | instskip(NEXT) | instid1(VALU_DEP_4)
	v_add_f32_e32 v100, v100, v104
	v_dual_min_f32 v104, v105, v108 :: v_dual_min_f32 v105, v110, v109
	s_delay_alu instid0(VALU_DEP_4) | instskip(SKIP_1) | instid1(VALU_DEP_3)
	v_add_f32_e32 v102, v102, v106
	v_add_co_ci_u32_e32 v45, vcc_lo, v47, v45, vcc_lo
	v_add_f32_e32 v100, v100, v105
	s_delay_alu instid0(VALU_DEP_3) | instskip(NEXT) | instid1(VALU_DEP_1)
	v_add_f32_e32 v102, v102, v104
	v_add_f32_e32 v100, v102, v100
	s_delay_alu instid0(VALU_DEP_1) | instskip(SKIP_3) | instid1(SALU_CYCLE_1)
	v_add_f32_e32 v100, v100, v103
	global_store_b32 v[44:45], v100, off
	s_or_b32 exec_lo, exec_lo, s16
	s_and_b32 s16, s7, s8
	s_and_saveexec_b32 s8, s16
	s_cbranch_execz .LBB30_114
.LBB30_110:
	v_cmp_ne_u32_e32 vcc_lo, 1, v101
	v_lshlrev_b64 v[44:45], 2, v[62:63]
	s_cbranch_vccnz .LBB30_112
; %bb.111:
	s_delay_alu instid0(VALU_DEP_1) | instskip(NEXT) | instid1(VALU_DEP_2)
	v_add_co_u32 v64, vcc_lo, v64, v44
	v_add_co_ci_u32_e32 v65, vcc_lo, v65, v45, vcc_lo
	flat_load_b32 v64, v[64:65]
	s_waitcnt vmcnt(0) lgkmcnt(0)
	v_mul_f32_e32 v64, s15, v64
	s_branch .LBB30_113
.LBB30_112:
	v_mov_b32_e32 v64, 0
.LBB30_113:
	v_dual_max_f32 v41, v41, v41 :: v_dual_max_f32 v40, v40, v40
	v_dual_max_f32 v65, v1, v1 :: v_dual_max_f32 v100, v0, v0
	;; [unrolled: 1-line block ×3, first 2 shown]
	s_delay_alu instid0(VALU_DEP_2) | instskip(NEXT) | instid1(VALU_DEP_3)
	v_dual_max_f32 v102, v3, v3 :: v_dual_min_f32 v41, v65, v41
	v_dual_min_f32 v40, v100, v40 :: v_dual_max_f32 v65, v2, v2
	s_delay_alu instid0(VALU_DEP_1) | instskip(NEXT) | instid1(VALU_DEP_2)
	v_dual_add_f32 v41, v99, v41 :: v_dual_min_f32 v42, v65, v42
	v_add_f32_e32 v40, v98, v40
	s_delay_alu instid0(VALU_DEP_1) | instskip(NEXT) | instid1(VALU_DEP_1)
	v_dual_min_f32 v43, v102, v43 :: v_dual_add_f32 v40, v40, v42
	v_add_f32_e32 v41, v41, v43
	s_delay_alu instid0(VALU_DEP_1) | instskip(NEXT) | instid1(VALU_DEP_1)
	v_add_f32_e32 v40, v40, v41
	v_add_f32_e32 v42, v40, v64
	v_add_co_u32 v40, vcc_lo, v46, v44
	v_add_co_ci_u32_e32 v41, vcc_lo, v47, v45, vcc_lo
	global_store_b32 v[40:41], v42, off
.LBB30_114:
	s_or_b32 exec_lo, exec_lo, s8
	v_add_nc_u32_e32 v44, 64, v117
	s_delay_alu instid0(VALU_DEP_1) | instskip(SKIP_2) | instid1(VALU_DEP_3)
	v_mad_i64_i32 v[40:41], null, v44, s12, 0
	v_mad_i64_i32 v[42:43], null, v44, s9, 0
	v_cmp_gt_i32_e64 s8, s17, v44
	v_lshlrev_b64 v[40:41], 2, v[40:41]
	s_delay_alu instid0(VALU_DEP_2) | instskip(NEXT) | instid1(VALU_DEP_3)
	s_and_b32 s18, s0, s8
	v_lshlrev_b64 v[42:43], 2, v[42:43]
	s_delay_alu instid0(VALU_DEP_2) | instskip(NEXT) | instid1(VALU_DEP_3)
	v_add_co_u32 v44, vcc_lo, s10, v40
	v_add_co_ci_u32_e32 v45, vcc_lo, s11, v41, vcc_lo
	s_delay_alu instid0(VALU_DEP_3) | instskip(NEXT) | instid1(VALU_DEP_4)
	v_add_co_u32 v42, vcc_lo, s13, v42
	v_add_co_ci_u32_e32 v43, vcc_lo, s14, v43, vcc_lo
	s_and_saveexec_b32 s16, s18
	s_cbranch_execnz .LBB30_122
; %bb.115:
	s_or_b32 exec_lo, exec_lo, s16
	s_and_b32 s18, s1, s8
	s_delay_alu instid0(SALU_CYCLE_1)
	s_and_saveexec_b32 s16, s18
	s_cbranch_execnz .LBB30_126
.LBB30_116:
	s_or_b32 exec_lo, exec_lo, s16
	s_and_b32 s18, s2, s8
	s_delay_alu instid0(SALU_CYCLE_1)
	s_and_saveexec_b32 s16, s18
	s_cbranch_execnz .LBB30_130
.LBB30_117:
	s_or_b32 exec_lo, exec_lo, s16
	s_and_b32 s18, s3, s8
	s_delay_alu instid0(SALU_CYCLE_1)
	s_and_saveexec_b32 s16, s18
	s_cbranch_execnz .LBB30_134
.LBB30_118:
	s_or_b32 exec_lo, exec_lo, s16
	s_and_b32 s18, s4, s8
	s_delay_alu instid0(SALU_CYCLE_1)
	s_and_saveexec_b32 s16, s18
	s_cbranch_execnz .LBB30_138
.LBB30_119:
	s_or_b32 exec_lo, exec_lo, s16
	s_and_b32 s18, s5, s8
	s_delay_alu instid0(SALU_CYCLE_1)
	s_and_saveexec_b32 s16, s18
	s_cbranch_execnz .LBB30_142
.LBB30_120:
	s_or_b32 exec_lo, exec_lo, s16
	s_and_b32 s18, s6, s8
	s_delay_alu instid0(SALU_CYCLE_1)
	s_and_saveexec_b32 s16, s18
	s_cbranch_execnz .LBB30_146
.LBB30_121:
	s_or_b32 exec_lo, exec_lo, s16
	s_and_b32 s16, s7, s8
	s_delay_alu instid0(SALU_CYCLE_1)
	s_and_saveexec_b32 s8, s16
	s_cbranch_execnz .LBB30_150
	s_branch .LBB30_154
.LBB30_122:
	v_cmp_ne_u32_e32 vcc_lo, 1, v101
	v_lshlrev_b64 v[40:41], 2, v[48:49]
	s_cbranch_vccnz .LBB30_124
; %bb.123:
	s_delay_alu instid0(VALU_DEP_1) | instskip(NEXT) | instid1(VALU_DEP_2)
	v_add_co_u32 v46, vcc_lo, v44, v40
	v_add_co_ci_u32_e32 v47, vcc_lo, v45, v41, vcc_lo
	flat_load_b32 v46, v[46:47]
	s_waitcnt vmcnt(0) lgkmcnt(0)
	v_mul_f32_e32 v46, s15, v46
	s_branch .LBB30_125
.LBB30_124:
	v_mov_b32_e32 v46, 0
.LBB30_125:
	v_dual_max_f32 v47, v37, v37 :: v_dual_max_f32 v98, v32, v32
	v_dual_max_f32 v64, v33, v33 :: v_dual_max_f32 v65, v36, v36
	;; [unrolled: 1-line block ×3, first 2 shown]
	v_max_f32_e32 v102, v35, v35
	s_delay_alu instid0(VALU_DEP_3) | instskip(NEXT) | instid1(VALU_DEP_4)
	v_dual_min_f32 v47, v64, v47 :: v_dual_max_f32 v64, v34, v34
	v_min_f32_e32 v65, v98, v65
	v_add_co_u32 v40, vcc_lo, v42, v40
	s_delay_alu instid0(VALU_DEP_3) | instskip(NEXT) | instid1(VALU_DEP_4)
	v_add_f32_e32 v47, v97, v47
	v_dual_min_f32 v64, v64, v99 :: v_dual_min_f32 v97, v102, v100
	s_delay_alu instid0(VALU_DEP_4) | instskip(SKIP_1) | instid1(VALU_DEP_2)
	v_add_f32_e32 v65, v96, v65
	v_add_co_ci_u32_e32 v41, vcc_lo, v43, v41, vcc_lo
	v_dual_add_f32 v47, v47, v97 :: v_dual_add_f32 v64, v65, v64
	s_delay_alu instid0(VALU_DEP_1) | instskip(NEXT) | instid1(VALU_DEP_1)
	v_add_f32_e32 v47, v64, v47
	v_add_f32_e32 v46, v47, v46
	global_store_b32 v[40:41], v46, off
	s_or_b32 exec_lo, exec_lo, s16
	s_and_b32 s18, s1, s8
	s_delay_alu instid0(SALU_CYCLE_1)
	s_and_saveexec_b32 s16, s18
	s_cbranch_execz .LBB30_116
.LBB30_126:
	v_cmp_ne_u32_e32 vcc_lo, 1, v101
	v_lshlrev_b64 v[40:41], 2, v[50:51]
	s_cbranch_vccnz .LBB30_128
; %bb.127:
	s_delay_alu instid0(VALU_DEP_1) | instskip(NEXT) | instid1(VALU_DEP_2)
	v_add_co_u32 v46, vcc_lo, v44, v40
	v_add_co_ci_u32_e32 v47, vcc_lo, v45, v41, vcc_lo
	flat_load_b32 v46, v[46:47]
	s_waitcnt vmcnt(0) lgkmcnt(0)
	v_mul_f32_e32 v46, s15, v46
	s_branch .LBB30_129
.LBB30_128:
	v_mov_b32_e32 v46, 0
.LBB30_129:
	v_dual_max_f32 v47, v37, v37 :: v_dual_max_f32 v96, v28, v28
	v_dual_max_f32 v64, v29, v29 :: v_dual_max_f32 v65, v36, v36
	;; [unrolled: 1-line block ×3, first 2 shown]
	v_add_co_u32 v40, vcc_lo, v42, v40
	s_delay_alu instid0(VALU_DEP_3) | instskip(SKIP_2) | instid1(VALU_DEP_3)
	v_dual_min_f32 v47, v64, v47 :: v_dual_max_f32 v64, v30, v30
	v_max_f32_e32 v99, v31, v31
	v_add_co_ci_u32_e32 v41, vcc_lo, v43, v41, vcc_lo
	v_min_f32_e32 v64, v64, v97
	v_min_f32_e32 v65, v96, v65
	s_delay_alu instid0(VALU_DEP_4) | instskip(NEXT) | instid1(VALU_DEP_2)
	v_dual_add_f32 v47, v94, v47 :: v_dual_min_f32 v94, v99, v98
	v_add_f32_e32 v65, v95, v65
	s_delay_alu instid0(VALU_DEP_1) | instskip(NEXT) | instid1(VALU_DEP_1)
	v_dual_add_f32 v64, v65, v64 :: v_dual_add_f32 v47, v47, v94
	v_add_f32_e32 v47, v64, v47
	s_delay_alu instid0(VALU_DEP_1) | instskip(SKIP_3) | instid1(SALU_CYCLE_1)
	v_add_f32_e32 v46, v47, v46
	global_store_b32 v[40:41], v46, off
	s_or_b32 exec_lo, exec_lo, s16
	s_and_b32 s18, s2, s8
	s_and_saveexec_b32 s16, s18
	s_cbranch_execz .LBB30_117
.LBB30_130:
	v_cmp_ne_u32_e32 vcc_lo, 1, v101
	v_lshlrev_b64 v[40:41], 2, v[52:53]
	s_cbranch_vccnz .LBB30_132
; %bb.131:
	s_delay_alu instid0(VALU_DEP_1) | instskip(NEXT) | instid1(VALU_DEP_2)
	v_add_co_u32 v46, vcc_lo, v44, v40
	v_add_co_ci_u32_e32 v47, vcc_lo, v45, v41, vcc_lo
	flat_load_b32 v46, v[46:47]
	s_waitcnt vmcnt(0) lgkmcnt(0)
	v_mul_f32_e32 v46, s15, v46
	s_branch .LBB30_133
.LBB30_132:
	v_mov_b32_e32 v46, 0
.LBB30_133:
	v_dual_max_f32 v47, v37, v37 :: v_dual_max_f32 v94, v24, v24
	v_dual_max_f32 v64, v25, v25 :: v_dual_max_f32 v65, v36, v36
	;; [unrolled: 1-line block ×3, first 2 shown]
	v_add_co_u32 v40, vcc_lo, v42, v40
	s_delay_alu instid0(VALU_DEP_3) | instskip(NEXT) | instid1(VALU_DEP_4)
	v_dual_min_f32 v47, v64, v47 :: v_dual_max_f32 v64, v26, v26
	v_min_f32_e32 v65, v94, v65
	v_add_co_ci_u32_e32 v41, vcc_lo, v43, v41, vcc_lo
	s_delay_alu instid0(VALU_DEP_2) | instskip(NEXT) | instid1(VALU_DEP_1)
	v_dual_min_f32 v64, v64, v95 :: v_dual_add_f32 v65, v93, v65
	v_dual_max_f32 v97, v27, v27 :: v_dual_add_f32 v64, v65, v64
	s_delay_alu instid0(VALU_DEP_1) | instskip(NEXT) | instid1(VALU_DEP_1)
	v_dual_add_f32 v47, v92, v47 :: v_dual_min_f32 v92, v97, v96
	v_add_f32_e32 v47, v47, v92
	s_delay_alu instid0(VALU_DEP_1) | instskip(NEXT) | instid1(VALU_DEP_1)
	v_add_f32_e32 v47, v64, v47
	v_add_f32_e32 v46, v47, v46
	global_store_b32 v[40:41], v46, off
	s_or_b32 exec_lo, exec_lo, s16
	s_and_b32 s18, s3, s8
	s_delay_alu instid0(SALU_CYCLE_1)
	s_and_saveexec_b32 s16, s18
	s_cbranch_execz .LBB30_118
.LBB30_134:
	v_cmp_ne_u32_e32 vcc_lo, 1, v101
	v_lshlrev_b64 v[40:41], 2, v[54:55]
	s_cbranch_vccnz .LBB30_136
; %bb.135:
	s_delay_alu instid0(VALU_DEP_1) | instskip(NEXT) | instid1(VALU_DEP_2)
	v_add_co_u32 v46, vcc_lo, v44, v40
	v_add_co_ci_u32_e32 v47, vcc_lo, v45, v41, vcc_lo
	flat_load_b32 v46, v[46:47]
	s_waitcnt vmcnt(0) lgkmcnt(0)
	v_mul_f32_e32 v46, s15, v46
	s_branch .LBB30_137
.LBB30_136:
	v_mov_b32_e32 v46, 0
.LBB30_137:
	v_dual_max_f32 v47, v37, v37 :: v_dual_max_f32 v92, v20, v20
	v_dual_max_f32 v64, v21, v21 :: v_dual_max_f32 v65, v36, v36
	;; [unrolled: 1-line block ×3, first 2 shown]
	v_add_co_u32 v40, vcc_lo, v42, v40
	s_delay_alu instid0(VALU_DEP_3) | instskip(SKIP_2) | instid1(VALU_DEP_3)
	v_dual_min_f32 v47, v64, v47 :: v_dual_max_f32 v64, v22, v22
	v_max_f32_e32 v95, v23, v23
	v_add_co_ci_u32_e32 v41, vcc_lo, v43, v41, vcc_lo
	v_min_f32_e32 v64, v64, v93
	v_min_f32_e32 v65, v92, v65
	s_delay_alu instid0(VALU_DEP_4) | instskip(NEXT) | instid1(VALU_DEP_2)
	v_dual_add_f32 v47, v90, v47 :: v_dual_min_f32 v90, v95, v94
	v_add_f32_e32 v65, v91, v65
	s_delay_alu instid0(VALU_DEP_1) | instskip(NEXT) | instid1(VALU_DEP_1)
	v_dual_add_f32 v64, v65, v64 :: v_dual_add_f32 v47, v47, v90
	v_add_f32_e32 v47, v64, v47
	s_delay_alu instid0(VALU_DEP_1) | instskip(SKIP_3) | instid1(SALU_CYCLE_1)
	v_add_f32_e32 v46, v47, v46
	global_store_b32 v[40:41], v46, off
	s_or_b32 exec_lo, exec_lo, s16
	s_and_b32 s18, s4, s8
	s_and_saveexec_b32 s16, s18
	s_cbranch_execz .LBB30_119
.LBB30_138:
	v_cmp_ne_u32_e32 vcc_lo, 1, v101
	v_lshlrev_b64 v[40:41], 2, v[56:57]
	s_cbranch_vccnz .LBB30_140
; %bb.139:
	s_delay_alu instid0(VALU_DEP_1) | instskip(NEXT) | instid1(VALU_DEP_2)
	v_add_co_u32 v46, vcc_lo, v44, v40
	v_add_co_ci_u32_e32 v47, vcc_lo, v45, v41, vcc_lo
	flat_load_b32 v46, v[46:47]
	s_waitcnt vmcnt(0) lgkmcnt(0)
	v_mul_f32_e32 v46, s15, v46
	s_branch .LBB30_141
.LBB30_140:
	v_mov_b32_e32 v46, 0
.LBB30_141:
	v_dual_max_f32 v47, v37, v37 :: v_dual_max_f32 v90, v16, v16
	v_dual_max_f32 v64, v17, v17 :: v_dual_max_f32 v65, v36, v36
	;; [unrolled: 1-line block ×3, first 2 shown]
	v_add_co_u32 v40, vcc_lo, v42, v40
	s_delay_alu instid0(VALU_DEP_3) | instskip(NEXT) | instid1(VALU_DEP_4)
	v_dual_min_f32 v47, v64, v47 :: v_dual_max_f32 v64, v18, v18
	v_min_f32_e32 v65, v90, v65
	v_add_co_ci_u32_e32 v41, vcc_lo, v43, v41, vcc_lo
	s_delay_alu instid0(VALU_DEP_3) | instskip(NEXT) | instid1(VALU_DEP_4)
	v_add_f32_e32 v47, v89, v47
	v_min_f32_e32 v64, v64, v91
	s_delay_alu instid0(VALU_DEP_4) | instskip(NEXT) | instid1(VALU_DEP_1)
	v_add_f32_e32 v65, v88, v65
	v_dual_max_f32 v93, v19, v19 :: v_dual_add_f32 v64, v65, v64
	s_delay_alu instid0(VALU_DEP_1) | instskip(NEXT) | instid1(VALU_DEP_1)
	v_min_f32_e32 v89, v93, v92
	v_add_f32_e32 v47, v47, v89
	s_delay_alu instid0(VALU_DEP_1) | instskip(NEXT) | instid1(VALU_DEP_1)
	v_add_f32_e32 v47, v64, v47
	v_add_f32_e32 v46, v47, v46
	global_store_b32 v[40:41], v46, off
	s_or_b32 exec_lo, exec_lo, s16
	s_and_b32 s18, s5, s8
	s_delay_alu instid0(SALU_CYCLE_1)
	s_and_saveexec_b32 s16, s18
	s_cbranch_execz .LBB30_120
.LBB30_142:
	v_cmp_ne_u32_e32 vcc_lo, 1, v101
	v_lshlrev_b64 v[40:41], 2, v[58:59]
	s_cbranch_vccnz .LBB30_144
; %bb.143:
	s_delay_alu instid0(VALU_DEP_1) | instskip(NEXT) | instid1(VALU_DEP_2)
	v_add_co_u32 v46, vcc_lo, v44, v40
	v_add_co_ci_u32_e32 v47, vcc_lo, v45, v41, vcc_lo
	flat_load_b32 v46, v[46:47]
	s_waitcnt vmcnt(0) lgkmcnt(0)
	v_mul_f32_e32 v46, s15, v46
	s_branch .LBB30_145
.LBB30_144:
	v_mov_b32_e32 v46, 0
.LBB30_145:
	v_dual_max_f32 v47, v37, v37 :: v_dual_max_f32 v88, v12, v12
	v_dual_max_f32 v64, v13, v13 :: v_dual_max_f32 v65, v36, v36
	;; [unrolled: 1-line block ×3, first 2 shown]
	v_add_co_u32 v40, vcc_lo, v42, v40
	s_delay_alu instid0(VALU_DEP_3) | instskip(SKIP_3) | instid1(VALU_DEP_4)
	v_dual_min_f32 v47, v64, v47 :: v_dual_max_f32 v64, v14, v14
	v_max_f32_e32 v91, v15, v15
	v_min_f32_e32 v65, v88, v65
	v_add_co_ci_u32_e32 v41, vcc_lo, v43, v41, vcc_lo
	v_min_f32_e32 v64, v64, v89
	s_delay_alu instid0(VALU_DEP_3) | instskip(SKIP_1) | instid1(VALU_DEP_2)
	v_add_f32_e32 v65, v86, v65
	v_add_f32_e32 v47, v87, v47
	v_dual_min_f32 v87, v91, v90 :: v_dual_add_f32 v64, v65, v64
	s_delay_alu instid0(VALU_DEP_1) | instskip(NEXT) | instid1(VALU_DEP_1)
	v_add_f32_e32 v47, v47, v87
	v_add_f32_e32 v47, v64, v47
	s_delay_alu instid0(VALU_DEP_1) | instskip(SKIP_3) | instid1(SALU_CYCLE_1)
	v_add_f32_e32 v46, v47, v46
	global_store_b32 v[40:41], v46, off
	s_or_b32 exec_lo, exec_lo, s16
	s_and_b32 s18, s6, s8
	s_and_saveexec_b32 s16, s18
	s_cbranch_execz .LBB30_121
.LBB30_146:
	v_cmp_ne_u32_e32 vcc_lo, 1, v101
	v_lshlrev_b64 v[40:41], 2, v[60:61]
	s_cbranch_vccnz .LBB30_148
; %bb.147:
	s_delay_alu instid0(VALU_DEP_1) | instskip(NEXT) | instid1(VALU_DEP_2)
	v_add_co_u32 v46, vcc_lo, v44, v40
	v_add_co_ci_u32_e32 v47, vcc_lo, v45, v41, vcc_lo
	flat_load_b32 v46, v[46:47]
	s_waitcnt vmcnt(0) lgkmcnt(0)
	v_mul_f32_e32 v46, s15, v46
	s_branch .LBB30_149
.LBB30_148:
	v_mov_b32_e32 v46, 0
.LBB30_149:
	v_dual_max_f32 v47, v37, v37 :: v_dual_max_f32 v86, v8, v8
	v_dual_max_f32 v64, v9, v9 :: v_dual_max_f32 v65, v36, v36
	;; [unrolled: 1-line block ×3, first 2 shown]
	v_add_co_u32 v40, vcc_lo, v42, v40
	s_delay_alu instid0(VALU_DEP_3) | instskip(NEXT) | instid1(VALU_DEP_4)
	v_dual_min_f32 v47, v64, v47 :: v_dual_max_f32 v64, v10, v10
	v_min_f32_e32 v65, v86, v65
	v_add_co_ci_u32_e32 v41, vcc_lo, v43, v41, vcc_lo
	s_delay_alu instid0(VALU_DEP_2) | instskip(NEXT) | instid1(VALU_DEP_1)
	v_dual_min_f32 v64, v64, v87 :: v_dual_add_f32 v65, v85, v65
	v_dual_max_f32 v89, v11, v11 :: v_dual_add_f32 v64, v65, v64
	s_delay_alu instid0(VALU_DEP_1) | instskip(NEXT) | instid1(VALU_DEP_1)
	v_dual_add_f32 v47, v84, v47 :: v_dual_min_f32 v84, v89, v88
	v_add_f32_e32 v47, v47, v84
	s_delay_alu instid0(VALU_DEP_1) | instskip(NEXT) | instid1(VALU_DEP_1)
	v_add_f32_e32 v47, v64, v47
	v_add_f32_e32 v46, v47, v46
	global_store_b32 v[40:41], v46, off
	s_or_b32 exec_lo, exec_lo, s16
	s_and_b32 s16, s7, s8
	s_delay_alu instid0(SALU_CYCLE_1)
	s_and_saveexec_b32 s8, s16
	s_cbranch_execz .LBB30_154
.LBB30_150:
	v_cmp_ne_u32_e32 vcc_lo, 1, v101
	v_lshlrev_b64 v[40:41], 2, v[62:63]
	s_cbranch_vccnz .LBB30_152
; %bb.151:
	s_delay_alu instid0(VALU_DEP_1) | instskip(NEXT) | instid1(VALU_DEP_2)
	v_add_co_u32 v44, vcc_lo, v44, v40
	v_add_co_ci_u32_e32 v45, vcc_lo, v45, v41, vcc_lo
	flat_load_b32 v44, v[44:45]
	s_waitcnt vmcnt(0) lgkmcnt(0)
	v_mul_f32_e32 v44, s15, v44
	s_branch .LBB30_153
.LBB30_152:
	v_mov_b32_e32 v44, 0
.LBB30_153:
	v_dual_max_f32 v37, v37, v37 :: v_dual_max_f32 v36, v36, v36
	v_dual_max_f32 v45, v1, v1 :: v_dual_max_f32 v46, v0, v0
	v_dual_max_f32 v38, v38, v38 :: v_dual_max_f32 v39, v39, v39
	s_delay_alu instid0(VALU_DEP_2) | instskip(SKIP_1) | instid1(VALU_DEP_2)
	v_dual_min_f32 v37, v45, v37 :: v_dual_min_f32 v36, v46, v36
	v_max_f32_e32 v47, v3, v3
	v_dual_add_f32 v37, v83, v37 :: v_dual_add_f32 v36, v82, v36
	s_delay_alu instid0(VALU_DEP_2) | instskip(NEXT) | instid1(VALU_DEP_1)
	v_min_f32_e32 v39, v47, v39
	v_add_f32_e32 v37, v37, v39
	v_max_f32_e32 v45, v2, v2
	s_delay_alu instid0(VALU_DEP_1) | instskip(NEXT) | instid1(VALU_DEP_1)
	v_min_f32_e32 v38, v45, v38
	v_add_f32_e32 v36, v36, v38
	s_delay_alu instid0(VALU_DEP_1) | instskip(NEXT) | instid1(VALU_DEP_1)
	v_add_f32_e32 v36, v36, v37
	v_add_f32_e32 v38, v36, v44
	v_add_co_u32 v36, vcc_lo, v42, v40
	v_add_co_ci_u32_e32 v37, vcc_lo, v43, v41, vcc_lo
	global_store_b32 v[36:37], v38, off
.LBB30_154:
	s_or_b32 exec_lo, exec_lo, s8
	v_add_nc_u32_e32 v40, 0x60, v117
	s_delay_alu instid0(VALU_DEP_1) | instskip(SKIP_2) | instid1(VALU_DEP_3)
	v_mad_i64_i32 v[36:37], null, v40, s12, 0
	v_mad_i64_i32 v[38:39], null, v40, s9, 0
	v_cmp_gt_i32_e64 s8, s17, v40
	v_lshlrev_b64 v[36:37], 2, v[36:37]
	s_delay_alu instid0(VALU_DEP_2) | instskip(NEXT) | instid1(VALU_DEP_3)
	s_and_b32 s9, s0, s8
	v_lshlrev_b64 v[38:39], 2, v[38:39]
	s_delay_alu instid0(VALU_DEP_2) | instskip(NEXT) | instid1(VALU_DEP_3)
	v_add_co_u32 v40, vcc_lo, s10, v36
	v_add_co_ci_u32_e32 v41, vcc_lo, s11, v37, vcc_lo
	s_delay_alu instid0(VALU_DEP_3) | instskip(NEXT) | instid1(VALU_DEP_4)
	v_add_co_u32 v38, vcc_lo, s13, v38
	v_add_co_ci_u32_e32 v39, vcc_lo, s14, v39, vcc_lo
	s_and_saveexec_b32 s0, s9
	s_cbranch_execnz .LBB30_163
; %bb.155:
	s_or_b32 exec_lo, exec_lo, s0
	s_and_b32 s1, s1, s8
	s_delay_alu instid0(SALU_CYCLE_1)
	s_and_saveexec_b32 s0, s1
	s_cbranch_execnz .LBB30_167
.LBB30_156:
	s_or_b32 exec_lo, exec_lo, s0
	s_and_b32 s1, s2, s8
	s_delay_alu instid0(SALU_CYCLE_1)
	s_and_saveexec_b32 s0, s1
	s_cbranch_execnz .LBB30_171
.LBB30_157:
	s_or_b32 exec_lo, exec_lo, s0
	s_and_b32 s1, s3, s8
	s_delay_alu instid0(SALU_CYCLE_1)
	s_and_saveexec_b32 s0, s1
	s_cbranch_execnz .LBB30_175
.LBB30_158:
	s_or_b32 exec_lo, exec_lo, s0
	s_and_b32 s1, s4, s8
	s_delay_alu instid0(SALU_CYCLE_1)
	s_and_saveexec_b32 s0, s1
	s_cbranch_execnz .LBB30_179
.LBB30_159:
	s_or_b32 exec_lo, exec_lo, s0
	s_and_b32 s1, s5, s8
	s_delay_alu instid0(SALU_CYCLE_1)
	s_and_saveexec_b32 s0, s1
	s_cbranch_execnz .LBB30_183
.LBB30_160:
	s_or_b32 exec_lo, exec_lo, s0
	s_and_b32 s1, s6, s8
	s_delay_alu instid0(SALU_CYCLE_1)
	s_and_saveexec_b32 s0, s1
	s_cbranch_execnz .LBB30_187
.LBB30_161:
	s_or_b32 exec_lo, exec_lo, s0
	s_and_b32 s0, s7, s8
	s_delay_alu instid0(SALU_CYCLE_1)
	s_and_saveexec_b32 s1, s0
	s_cbranch_execnz .LBB30_191
.LBB30_162:
	s_nop 0
	s_sendmsg sendmsg(MSG_DEALLOC_VGPRS)
	s_endpgm
.LBB30_163:
	v_cmp_ne_u32_e32 vcc_lo, 1, v101
	v_lshlrev_b64 v[36:37], 2, v[48:49]
	s_cbranch_vccnz .LBB30_165
; %bb.164:
	s_delay_alu instid0(VALU_DEP_1) | instskip(NEXT) | instid1(VALU_DEP_2)
	v_add_co_u32 v42, vcc_lo, v40, v36
	v_add_co_ci_u32_e32 v43, vcc_lo, v41, v37, vcc_lo
	flat_load_b32 v42, v[42:43]
	s_waitcnt vmcnt(0) lgkmcnt(0)
	v_mul_f32_e32 v42, s15, v42
	s_branch .LBB30_166
.LBB30_165:
	v_mov_b32_e32 v42, 0
.LBB30_166:
	v_dual_max_f32 v43, v5, v5 :: v_dual_max_f32 v44, v4, v4
	v_dual_max_f32 v33, v33, v33 :: v_dual_max_f32 v32, v32, v32
	v_max_f32_e32 v45, v6, v6
	s_delay_alu instid0(VALU_DEP_2) | instskip(NEXT) | instid1(VALU_DEP_3)
	v_dual_max_f32 v34, v34, v34 :: v_dual_min_f32 v33, v33, v43
	v_dual_min_f32 v32, v32, v44 :: v_dual_max_f32 v43, v7, v7
	s_delay_alu instid0(VALU_DEP_2) | instskip(NEXT) | instid1(VALU_DEP_2)
	v_dual_min_f32 v34, v34, v45 :: v_dual_max_f32 v35, v35, v35
	v_dual_add_f32 v33, v80, v33 :: v_dual_add_f32 v32, v81, v32
	s_delay_alu instid0(VALU_DEP_1) | instskip(NEXT) | instid1(VALU_DEP_1)
	v_dual_min_f32 v35, v35, v43 :: v_dual_add_f32 v32, v32, v34
	v_add_f32_e32 v33, v33, v35
	s_delay_alu instid0(VALU_DEP_1) | instskip(NEXT) | instid1(VALU_DEP_1)
	v_add_f32_e32 v32, v32, v33
	v_add_f32_e32 v34, v32, v42
	v_add_co_u32 v32, vcc_lo, v38, v36
	v_add_co_ci_u32_e32 v33, vcc_lo, v39, v37, vcc_lo
	global_store_b32 v[32:33], v34, off
	s_or_b32 exec_lo, exec_lo, s0
	s_and_b32 s1, s1, s8
	s_delay_alu instid0(SALU_CYCLE_1)
	s_and_saveexec_b32 s0, s1
	s_cbranch_execz .LBB30_156
.LBB30_167:
	v_cmp_ne_u32_e32 vcc_lo, 1, v101
	v_lshlrev_b64 v[32:33], 2, v[50:51]
	s_cbranch_vccnz .LBB30_169
; %bb.168:
	s_delay_alu instid0(VALU_DEP_1) | instskip(NEXT) | instid1(VALU_DEP_2)
	v_add_co_u32 v34, vcc_lo, v40, v32
	v_add_co_ci_u32_e32 v35, vcc_lo, v41, v33, vcc_lo
	flat_load_b32 v34, v[34:35]
	s_waitcnt vmcnt(0) lgkmcnt(0)
	v_mul_f32_e32 v34, s15, v34
	s_branch .LBB30_170
.LBB30_169:
	v_mov_b32_e32 v34, 0
.LBB30_170:
	v_dual_max_f32 v35, v5, v5 :: v_dual_max_f32 v36, v4, v4
	v_dual_max_f32 v29, v29, v29 :: v_dual_max_f32 v28, v28, v28
	v_max_f32_e32 v37, v6, v6
	s_delay_alu instid0(VALU_DEP_2) | instskip(NEXT) | instid1(VALU_DEP_3)
	v_dual_max_f32 v30, v30, v30 :: v_dual_min_f32 v29, v29, v35
	v_dual_min_f32 v28, v28, v36 :: v_dual_max_f32 v35, v7, v7
	s_delay_alu instid0(VALU_DEP_2) | instskip(NEXT) | instid1(VALU_DEP_2)
	v_dual_min_f32 v30, v30, v37 :: v_dual_max_f32 v31, v31, v31
	v_dual_add_f32 v28, v78, v28 :: v_dual_add_f32 v29, v79, v29
	s_delay_alu instid0(VALU_DEP_1) | instskip(NEXT) | instid1(VALU_DEP_1)
	v_dual_add_f32 v28, v28, v30 :: v_dual_min_f32 v31, v31, v35
	v_add_f32_e32 v29, v29, v31
	s_delay_alu instid0(VALU_DEP_1) | instskip(NEXT) | instid1(VALU_DEP_1)
	v_add_f32_e32 v28, v28, v29
	v_add_f32_e32 v30, v28, v34
	v_add_co_u32 v28, vcc_lo, v38, v32
	v_add_co_ci_u32_e32 v29, vcc_lo, v39, v33, vcc_lo
	global_store_b32 v[28:29], v30, off
	s_or_b32 exec_lo, exec_lo, s0
	s_and_b32 s1, s2, s8
	s_delay_alu instid0(SALU_CYCLE_1)
	s_and_saveexec_b32 s0, s1
	s_cbranch_execz .LBB30_157
.LBB30_171:
	v_cmp_ne_u32_e32 vcc_lo, 1, v101
	v_lshlrev_b64 v[28:29], 2, v[52:53]
	s_cbranch_vccnz .LBB30_173
; %bb.172:
	s_delay_alu instid0(VALU_DEP_1) | instskip(NEXT) | instid1(VALU_DEP_2)
	v_add_co_u32 v30, vcc_lo, v40, v28
	v_add_co_ci_u32_e32 v31, vcc_lo, v41, v29, vcc_lo
	flat_load_b32 v30, v[30:31]
	s_waitcnt vmcnt(0) lgkmcnt(0)
	v_mul_f32_e32 v30, s15, v30
	s_branch .LBB30_174
.LBB30_173:
	v_mov_b32_e32 v30, 0
.LBB30_174:
	v_dual_max_f32 v31, v5, v5 :: v_dual_max_f32 v32, v4, v4
	v_dual_max_f32 v25, v25, v25 :: v_dual_max_f32 v24, v24, v24
	v_max_f32_e32 v33, v6, v6
	s_delay_alu instid0(VALU_DEP_2) | instskip(NEXT) | instid1(VALU_DEP_3)
	v_dual_max_f32 v26, v26, v26 :: v_dual_min_f32 v25, v25, v31
	v_dual_min_f32 v24, v24, v32 :: v_dual_max_f32 v31, v7, v7
	s_delay_alu instid0(VALU_DEP_2) | instskip(NEXT) | instid1(VALU_DEP_2)
	v_dual_min_f32 v26, v26, v33 :: v_dual_max_f32 v27, v27, v27
	v_dual_add_f32 v25, v76, v25 :: v_dual_add_f32 v24, v77, v24
	s_delay_alu instid0(VALU_DEP_1) | instskip(NEXT) | instid1(VALU_DEP_1)
	v_dual_min_f32 v27, v27, v31 :: v_dual_add_f32 v24, v24, v26
	v_add_f32_e32 v25, v25, v27
	s_delay_alu instid0(VALU_DEP_1) | instskip(NEXT) | instid1(VALU_DEP_1)
	v_add_f32_e32 v24, v24, v25
	v_add_f32_e32 v26, v24, v30
	v_add_co_u32 v24, vcc_lo, v38, v28
	v_add_co_ci_u32_e32 v25, vcc_lo, v39, v29, vcc_lo
	global_store_b32 v[24:25], v26, off
	s_or_b32 exec_lo, exec_lo, s0
	s_and_b32 s1, s3, s8
	s_delay_alu instid0(SALU_CYCLE_1)
	s_and_saveexec_b32 s0, s1
	s_cbranch_execz .LBB30_158
.LBB30_175:
	v_cmp_ne_u32_e32 vcc_lo, 1, v101
	v_lshlrev_b64 v[24:25], 2, v[54:55]
	s_cbranch_vccnz .LBB30_177
; %bb.176:
	s_delay_alu instid0(VALU_DEP_1) | instskip(NEXT) | instid1(VALU_DEP_2)
	v_add_co_u32 v26, vcc_lo, v40, v24
	v_add_co_ci_u32_e32 v27, vcc_lo, v41, v25, vcc_lo
	flat_load_b32 v26, v[26:27]
	s_waitcnt vmcnt(0) lgkmcnt(0)
	v_mul_f32_e32 v26, s15, v26
	s_branch .LBB30_178
.LBB30_177:
	v_mov_b32_e32 v26, 0
.LBB30_178:
	v_dual_max_f32 v27, v5, v5 :: v_dual_max_f32 v28, v4, v4
	v_dual_max_f32 v21, v21, v21 :: v_dual_max_f32 v20, v20, v20
	v_max_f32_e32 v29, v6, v6
	s_delay_alu instid0(VALU_DEP_2) | instskip(NEXT) | instid1(VALU_DEP_3)
	v_dual_max_f32 v22, v22, v22 :: v_dual_min_f32 v21, v21, v27
	v_dual_min_f32 v20, v20, v28 :: v_dual_max_f32 v27, v7, v7
	s_delay_alu instid0(VALU_DEP_2) | instskip(NEXT) | instid1(VALU_DEP_2)
	v_min_f32_e32 v22, v22, v29
	v_dual_add_f32 v21, v74, v21 :: v_dual_add_f32 v20, v75, v20
	s_delay_alu instid0(VALU_DEP_1) | instskip(NEXT) | instid1(VALU_DEP_1)
	v_dual_max_f32 v23, v23, v23 :: v_dual_add_f32 v20, v20, v22
	v_min_f32_e32 v23, v23, v27
	s_delay_alu instid0(VALU_DEP_1) | instskip(NEXT) | instid1(VALU_DEP_1)
	v_add_f32_e32 v21, v21, v23
	v_add_f32_e32 v20, v20, v21
	s_delay_alu instid0(VALU_DEP_1)
	v_add_f32_e32 v22, v20, v26
	v_add_co_u32 v20, vcc_lo, v38, v24
	v_add_co_ci_u32_e32 v21, vcc_lo, v39, v25, vcc_lo
	global_store_b32 v[20:21], v22, off
	s_or_b32 exec_lo, exec_lo, s0
	s_and_b32 s1, s4, s8
	s_delay_alu instid0(SALU_CYCLE_1)
	s_and_saveexec_b32 s0, s1
	s_cbranch_execz .LBB30_159
.LBB30_179:
	v_cmp_ne_u32_e32 vcc_lo, 1, v101
	v_lshlrev_b64 v[20:21], 2, v[56:57]
	s_cbranch_vccnz .LBB30_181
; %bb.180:
	s_delay_alu instid0(VALU_DEP_1) | instskip(NEXT) | instid1(VALU_DEP_2)
	v_add_co_u32 v22, vcc_lo, v40, v20
	v_add_co_ci_u32_e32 v23, vcc_lo, v41, v21, vcc_lo
	flat_load_b32 v22, v[22:23]
	s_waitcnt vmcnt(0) lgkmcnt(0)
	v_mul_f32_e32 v22, s15, v22
	s_branch .LBB30_182
.LBB30_181:
	v_mov_b32_e32 v22, 0
.LBB30_182:
	v_dual_max_f32 v23, v5, v5 :: v_dual_max_f32 v24, v4, v4
	v_dual_max_f32 v17, v17, v17 :: v_dual_max_f32 v16, v16, v16
	v_max_f32_e32 v25, v6, v6
	s_delay_alu instid0(VALU_DEP_2) | instskip(NEXT) | instid1(VALU_DEP_3)
	v_dual_max_f32 v18, v18, v18 :: v_dual_min_f32 v17, v17, v23
	v_dual_min_f32 v16, v16, v24 :: v_dual_max_f32 v23, v7, v7
	s_delay_alu instid0(VALU_DEP_2) | instskip(NEXT) | instid1(VALU_DEP_2)
	v_dual_min_f32 v18, v18, v25 :: v_dual_max_f32 v19, v19, v19
	v_dual_add_f32 v16, v72, v16 :: v_dual_add_f32 v17, v73, v17
	s_delay_alu instid0(VALU_DEP_1) | instskip(NEXT) | instid1(VALU_DEP_1)
	v_dual_add_f32 v16, v16, v18 :: v_dual_min_f32 v19, v19, v23
	v_add_f32_e32 v17, v17, v19
	s_delay_alu instid0(VALU_DEP_1) | instskip(NEXT) | instid1(VALU_DEP_1)
	v_add_f32_e32 v16, v16, v17
	v_add_f32_e32 v18, v16, v22
	v_add_co_u32 v16, vcc_lo, v38, v20
	v_add_co_ci_u32_e32 v17, vcc_lo, v39, v21, vcc_lo
	global_store_b32 v[16:17], v18, off
	s_or_b32 exec_lo, exec_lo, s0
	s_and_b32 s1, s5, s8
	s_delay_alu instid0(SALU_CYCLE_1)
	s_and_saveexec_b32 s0, s1
	s_cbranch_execz .LBB30_160
.LBB30_183:
	v_cmp_ne_u32_e32 vcc_lo, 1, v101
	v_lshlrev_b64 v[16:17], 2, v[58:59]
	s_cbranch_vccnz .LBB30_185
; %bb.184:
	s_delay_alu instid0(VALU_DEP_1) | instskip(NEXT) | instid1(VALU_DEP_2)
	v_add_co_u32 v18, vcc_lo, v40, v16
	v_add_co_ci_u32_e32 v19, vcc_lo, v41, v17, vcc_lo
	flat_load_b32 v18, v[18:19]
	s_waitcnt vmcnt(0) lgkmcnt(0)
	v_mul_f32_e32 v18, s15, v18
	s_branch .LBB30_186
.LBB30_185:
	v_mov_b32_e32 v18, 0
.LBB30_186:
	v_dual_max_f32 v19, v5, v5 :: v_dual_max_f32 v20, v4, v4
	v_dual_max_f32 v13, v13, v13 :: v_dual_max_f32 v12, v12, v12
	v_max_f32_e32 v21, v6, v6
	s_delay_alu instid0(VALU_DEP_2) | instskip(NEXT) | instid1(VALU_DEP_3)
	v_dual_max_f32 v14, v14, v14 :: v_dual_min_f32 v13, v13, v19
	v_dual_min_f32 v12, v12, v20 :: v_dual_max_f32 v19, v7, v7
	s_delay_alu instid0(VALU_DEP_2) | instskip(NEXT) | instid1(VALU_DEP_2)
	v_min_f32_e32 v14, v14, v21
	v_dual_add_f32 v13, v70, v13 :: v_dual_add_f32 v12, v71, v12
	s_delay_alu instid0(VALU_DEP_1) | instskip(NEXT) | instid1(VALU_DEP_1)
	v_dual_max_f32 v15, v15, v15 :: v_dual_add_f32 v12, v12, v14
	v_min_f32_e32 v15, v15, v19
	s_delay_alu instid0(VALU_DEP_1) | instskip(NEXT) | instid1(VALU_DEP_1)
	v_add_f32_e32 v13, v13, v15
	v_add_f32_e32 v12, v12, v13
	s_delay_alu instid0(VALU_DEP_1)
	v_add_f32_e32 v14, v12, v18
	v_add_co_u32 v12, vcc_lo, v38, v16
	v_add_co_ci_u32_e32 v13, vcc_lo, v39, v17, vcc_lo
	global_store_b32 v[12:13], v14, off
	s_or_b32 exec_lo, exec_lo, s0
	s_and_b32 s1, s6, s8
	s_delay_alu instid0(SALU_CYCLE_1)
	s_and_saveexec_b32 s0, s1
	s_cbranch_execz .LBB30_161
.LBB30_187:
	v_cmp_ne_u32_e32 vcc_lo, 1, v101
	v_lshlrev_b64 v[12:13], 2, v[60:61]
	s_cbranch_vccnz .LBB30_189
; %bb.188:
	s_delay_alu instid0(VALU_DEP_1) | instskip(NEXT) | instid1(VALU_DEP_2)
	v_add_co_u32 v14, vcc_lo, v40, v12
	v_add_co_ci_u32_e32 v15, vcc_lo, v41, v13, vcc_lo
	flat_load_b32 v14, v[14:15]
	s_waitcnt vmcnt(0) lgkmcnt(0)
	v_mul_f32_e32 v14, s15, v14
	s_branch .LBB30_190
.LBB30_189:
	v_mov_b32_e32 v14, 0
.LBB30_190:
	v_dual_max_f32 v15, v5, v5 :: v_dual_max_f32 v16, v4, v4
	v_dual_max_f32 v9, v9, v9 :: v_dual_max_f32 v8, v8, v8
	v_max_f32_e32 v17, v6, v6
	s_delay_alu instid0(VALU_DEP_2) | instskip(NEXT) | instid1(VALU_DEP_3)
	v_dual_max_f32 v10, v10, v10 :: v_dual_min_f32 v9, v9, v15
	v_dual_min_f32 v8, v8, v16 :: v_dual_max_f32 v15, v7, v7
	s_delay_alu instid0(VALU_DEP_2) | instskip(NEXT) | instid1(VALU_DEP_2)
	v_dual_min_f32 v10, v10, v17 :: v_dual_max_f32 v11, v11, v11
	v_dual_add_f32 v8, v68, v8 :: v_dual_add_f32 v9, v69, v9
	s_delay_alu instid0(VALU_DEP_1) | instskip(NEXT) | instid1(VALU_DEP_1)
	v_dual_add_f32 v8, v8, v10 :: v_dual_min_f32 v11, v11, v15
	v_add_f32_e32 v9, v9, v11
	s_delay_alu instid0(VALU_DEP_1) | instskip(NEXT) | instid1(VALU_DEP_1)
	v_add_f32_e32 v8, v8, v9
	v_add_f32_e32 v10, v8, v14
	v_add_co_u32 v8, vcc_lo, v38, v12
	v_add_co_ci_u32_e32 v9, vcc_lo, v39, v13, vcc_lo
	global_store_b32 v[8:9], v10, off
	s_or_b32 exec_lo, exec_lo, s0
	s_and_b32 s0, s7, s8
	s_delay_alu instid0(SALU_CYCLE_1)
	s_and_saveexec_b32 s1, s0
	s_cbranch_execz .LBB30_162
.LBB30_191:
	v_cmp_ne_u32_e32 vcc_lo, 1, v101
	v_lshlrev_b64 v[8:9], 2, v[62:63]
	s_cbranch_vccnz .LBB30_193
; %bb.192:
	s_delay_alu instid0(VALU_DEP_1) | instskip(NEXT) | instid1(VALU_DEP_2)
	v_add_co_u32 v10, vcc_lo, v40, v8
	v_add_co_ci_u32_e32 v11, vcc_lo, v41, v9, vcc_lo
	flat_load_b32 v10, v[10:11]
	s_waitcnt vmcnt(0) lgkmcnt(0)
	v_mul_f32_e32 v10, s15, v10
	s_branch .LBB30_194
.LBB30_193:
	v_mov_b32_e32 v10, 0
.LBB30_194:
	v_dual_max_f32 v5, v5, v5 :: v_dual_max_f32 v4, v4, v4
	v_dual_max_f32 v1, v1, v1 :: v_dual_max_f32 v0, v0, v0
	v_max_f32_e32 v6, v6, v6
	v_dual_max_f32 v2, v2, v2 :: v_dual_max_f32 v3, v3, v3
	s_delay_alu instid0(VALU_DEP_3) | instskip(NEXT) | instid1(VALU_DEP_2)
	v_dual_min_f32 v1, v1, v5 :: v_dual_min_f32 v0, v0, v4
	v_dual_max_f32 v5, v7, v7 :: v_dual_min_f32 v2, v2, v6
	s_delay_alu instid0(VALU_DEP_2) | instskip(NEXT) | instid1(VALU_DEP_1)
	v_dual_add_f32 v1, v67, v1 :: v_dual_add_f32 v0, v66, v0
	v_dual_min_f32 v3, v3, v5 :: v_dual_add_f32 v0, v0, v2
	s_delay_alu instid0(VALU_DEP_1) | instskip(NEXT) | instid1(VALU_DEP_1)
	v_add_f32_e32 v1, v1, v3
	v_add_f32_e32 v0, v0, v1
	s_delay_alu instid0(VALU_DEP_1)
	v_add_f32_e32 v2, v0, v10
	v_add_co_u32 v0, vcc_lo, v38, v8
	v_add_co_ci_u32_e32 v1, vcc_lo, v39, v9, vcc_lo
	global_store_b32 v[0:1], v2, off
	s_nop 0
	s_sendmsg sendmsg(MSG_DEALLOC_VGPRS)
	s_endpgm
	.section	.rodata,"a",@progbits
	.p2align	6, 0x0
	.amdhsa_kernel _ZN12_GLOBAL__N_120geam_min_plus_kernelIf15HIP_vector_typeIfLj2EES2_Li8ELi32ELi64ELi128ELi4ELi64ELi4ELi4ELi64ELc78ELc78ELb0ELb1ELb0EPKfKS4_KPfEEviiiT16_PT17_ilSA_ilS8_SA_ilPT18_ili26rocblas_geam_ex_operation_
		.amdhsa_group_segment_fixed_size 6144
		.amdhsa_private_segment_fixed_size 0
		.amdhsa_kernarg_size 136
		.amdhsa_user_sgpr_count 14
		.amdhsa_user_sgpr_dispatch_ptr 0
		.amdhsa_user_sgpr_queue_ptr 0
		.amdhsa_user_sgpr_kernarg_segment_ptr 1
		.amdhsa_user_sgpr_dispatch_id 0
		.amdhsa_user_sgpr_private_segment_size 0
		.amdhsa_wavefront_size32 1
		.amdhsa_uses_dynamic_stack 0
		.amdhsa_enable_private_segment 0
		.amdhsa_system_sgpr_workgroup_id_x 1
		.amdhsa_system_sgpr_workgroup_id_y 0
		.amdhsa_system_sgpr_workgroup_id_z 1
		.amdhsa_system_sgpr_workgroup_info 0
		.amdhsa_system_vgpr_workitem_id 1
		.amdhsa_next_free_vgpr 233
		.amdhsa_next_free_sgpr 29
		.amdhsa_reserve_vcc 1
		.amdhsa_float_round_mode_32 0
		.amdhsa_float_round_mode_16_64 0
		.amdhsa_float_denorm_mode_32 3
		.amdhsa_float_denorm_mode_16_64 3
		.amdhsa_dx10_clamp 1
		.amdhsa_ieee_mode 1
		.amdhsa_fp16_overflow 0
		.amdhsa_workgroup_processor_mode 1
		.amdhsa_memory_ordered 1
		.amdhsa_forward_progress 0
		.amdhsa_shared_vgpr_count 0
		.amdhsa_exception_fp_ieee_invalid_op 0
		.amdhsa_exception_fp_denorm_src 0
		.amdhsa_exception_fp_ieee_div_zero 0
		.amdhsa_exception_fp_ieee_overflow 0
		.amdhsa_exception_fp_ieee_underflow 0
		.amdhsa_exception_fp_ieee_inexact 0
		.amdhsa_exception_int_div_zero 0
	.end_amdhsa_kernel
	.section	.text._ZN12_GLOBAL__N_120geam_min_plus_kernelIf15HIP_vector_typeIfLj2EES2_Li8ELi32ELi64ELi128ELi4ELi64ELi4ELi4ELi64ELc78ELc78ELb0ELb1ELb0EPKfKS4_KPfEEviiiT16_PT17_ilSA_ilS8_SA_ilPT18_ili26rocblas_geam_ex_operation_,"axG",@progbits,_ZN12_GLOBAL__N_120geam_min_plus_kernelIf15HIP_vector_typeIfLj2EES2_Li8ELi32ELi64ELi128ELi4ELi64ELi4ELi4ELi64ELc78ELc78ELb0ELb1ELb0EPKfKS4_KPfEEviiiT16_PT17_ilSA_ilS8_SA_ilPT18_ili26rocblas_geam_ex_operation_,comdat
.Lfunc_end30:
	.size	_ZN12_GLOBAL__N_120geam_min_plus_kernelIf15HIP_vector_typeIfLj2EES2_Li8ELi32ELi64ELi128ELi4ELi64ELi4ELi4ELi64ELc78ELc78ELb0ELb1ELb0EPKfKS4_KPfEEviiiT16_PT17_ilSA_ilS8_SA_ilPT18_ili26rocblas_geam_ex_operation_, .Lfunc_end30-_ZN12_GLOBAL__N_120geam_min_plus_kernelIf15HIP_vector_typeIfLj2EES2_Li8ELi32ELi64ELi128ELi4ELi64ELi4ELi4ELi64ELc78ELc78ELb0ELb1ELb0EPKfKS4_KPfEEviiiT16_PT17_ilSA_ilS8_SA_ilPT18_ili26rocblas_geam_ex_operation_
                                        ; -- End function
	.section	.AMDGPU.csdata,"",@progbits
; Kernel info:
; codeLenInByte = 13428
; NumSgprs: 31
; NumVgprs: 233
; ScratchSize: 0
; MemoryBound: 0
; FloatMode: 240
; IeeeMode: 1
; LDSByteSize: 6144 bytes/workgroup (compile time only)
; SGPRBlocks: 3
; VGPRBlocks: 29
; NumSGPRsForWavesPerEU: 31
; NumVGPRsForWavesPerEU: 233
; Occupancy: 6
; WaveLimiterHint : 1
; COMPUTE_PGM_RSRC2:SCRATCH_EN: 0
; COMPUTE_PGM_RSRC2:USER_SGPR: 14
; COMPUTE_PGM_RSRC2:TRAP_HANDLER: 0
; COMPUTE_PGM_RSRC2:TGID_X_EN: 1
; COMPUTE_PGM_RSRC2:TGID_Y_EN: 0
; COMPUTE_PGM_RSRC2:TGID_Z_EN: 1
; COMPUTE_PGM_RSRC2:TIDIG_COMP_CNT: 1
	.section	.text._ZN12_GLOBAL__N_120geam_min_plus_kernelIf15HIP_vector_typeIfLj2EES2_Li8ELi32ELi64ELi128ELi4ELi64ELi4ELi4ELi64ELc78ELc78ELb1ELb1ELb0EfKPKfKPfEEviiiT16_PT17_ilSA_ilS8_SA_ilPT18_ili26rocblas_geam_ex_operation_,"axG",@progbits,_ZN12_GLOBAL__N_120geam_min_plus_kernelIf15HIP_vector_typeIfLj2EES2_Li8ELi32ELi64ELi128ELi4ELi64ELi4ELi4ELi64ELc78ELc78ELb1ELb1ELb0EfKPKfKPfEEviiiT16_PT17_ilSA_ilS8_SA_ilPT18_ili26rocblas_geam_ex_operation_,comdat
	.globl	_ZN12_GLOBAL__N_120geam_min_plus_kernelIf15HIP_vector_typeIfLj2EES2_Li8ELi32ELi64ELi128ELi4ELi64ELi4ELi4ELi64ELc78ELc78ELb1ELb1ELb0EfKPKfKPfEEviiiT16_PT17_ilSA_ilS8_SA_ilPT18_ili26rocblas_geam_ex_operation_ ; -- Begin function _ZN12_GLOBAL__N_120geam_min_plus_kernelIf15HIP_vector_typeIfLj2EES2_Li8ELi32ELi64ELi128ELi4ELi64ELi4ELi4ELi64ELc78ELc78ELb1ELb1ELb0EfKPKfKPfEEviiiT16_PT17_ilSA_ilS8_SA_ilPT18_ili26rocblas_geam_ex_operation_
	.p2align	8
	.type	_ZN12_GLOBAL__N_120geam_min_plus_kernelIf15HIP_vector_typeIfLj2EES2_Li8ELi32ELi64ELi128ELi4ELi64ELi4ELi4ELi64ELc78ELc78ELb1ELb1ELb0EfKPKfKPfEEviiiT16_PT17_ilSA_ilS8_SA_ilPT18_ili26rocblas_geam_ex_operation_,@function
_ZN12_GLOBAL__N_120geam_min_plus_kernelIf15HIP_vector_typeIfLj2EES2_Li8ELi32ELi64ELi128ELi4ELi64ELi4ELi4ELi64ELc78ELc78ELb1ELb1ELb0EfKPKfKPfEEviiiT16_PT17_ilSA_ilS8_SA_ilPT18_ili26rocblas_geam_ex_operation_: ; @_ZN12_GLOBAL__N_120geam_min_plus_kernelIf15HIP_vector_typeIfLj2EES2_Li8ELi32ELi64ELi128ELi4ELi64ELi4ELi4ELi64ELc78ELc78ELb1ELb1ELb0EfKPKfKPfEEviiiT16_PT17_ilSA_ilS8_SA_ilPT18_ili26rocblas_geam_ex_operation_
; %bb.0:
	s_clause 0x1
	s_load_b128 s[16:19], s[0:1], 0x0
	s_load_b128 s[4:7], s[0:1], 0x20
	s_mov_b32 s2, s15
	s_mov_b32 s3, 0
	s_waitcnt lgkmcnt(0)
	v_cmp_eq_f32_e64 s8, s19, 0
	s_delay_alu instid0(VALU_DEP_1)
	s_and_b32 vcc_lo, exec_lo, s8
	s_cbranch_vccnz .LBB31_3
; %bb.1:
	s_load_b64 s[10:11], s[0:1], 0x10
	s_lshl_b64 s[12:13], s[2:3], 3
	s_waitcnt lgkmcnt(0)
	s_add_u32 s10, s10, s12
	s_addc_u32 s11, s11, s13
	s_lshl_b64 s[4:5], s[4:5], 2
	s_load_b64 s[10:11], s[10:11], 0x0
	s_waitcnt lgkmcnt(0)
	s_add_u32 s12, s10, s4
	s_addc_u32 s13, s11, s5
	s_and_not1_b32 vcc_lo, exec_lo, s8
	s_cbranch_vccnz .LBB31_4
.LBB31_2:
	s_mov_b64 s[8:9], 0
	s_and_not1_b32 vcc_lo, exec_lo, s3
	s_cbranch_vccz .LBB31_5
	s_branch .LBB31_6
.LBB31_3:
	s_mov_b64 s[12:13], 0
	s_and_not1_b32 vcc_lo, exec_lo, s8
	s_cbranch_vccz .LBB31_2
.LBB31_4:
	s_mov_b32 s3, -1
                                        ; implicit-def: $sgpr8_sgpr9
.LBB31_5:
	s_mov_b32 s3, 0
	s_load_b64 s[8:9], s[0:1], 0x38
	s_lshl_b64 s[4:5], s[2:3], 3
	s_delay_alu instid0(SALU_CYCLE_1) | instskip(SKIP_4) | instid1(SALU_CYCLE_1)
	s_add_u32 s4, s6, s4
	s_addc_u32 s5, s7, s5
	s_load_b64 s[4:5], s[4:5], 0x0
	s_waitcnt lgkmcnt(0)
	s_lshl_b64 s[6:7], s[8:9], 2
	s_add_u32 s8, s4, s6
	s_addc_u32 s9, s5, s7
.LBB31_6:
	s_clause 0x1
	s_load_b32 s15, s[0:1], 0x40
	s_load_b128 s[4:7], s[0:1], 0x58
	s_waitcnt lgkmcnt(0)
	v_cmp_eq_f32_e64 s10, s15, 0
	v_cmp_neq_f32_e64 s19, s15, 0
	s_delay_alu instid0(VALU_DEP_2)
	s_and_b32 vcc_lo, exec_lo, s10
	s_cbranch_vccnz .LBB31_8
; %bb.7:
	s_load_b64 s[10:11], s[0:1], 0x48
	s_lshl_b64 s[20:21], s[2:3], 3
	s_waitcnt lgkmcnt(0)
	s_add_u32 s10, s10, s20
	s_addc_u32 s11, s11, s21
	s_lshl_b64 s[4:5], s[4:5], 2
	s_load_b64 s[10:11], s[10:11], 0x0
	s_waitcnt lgkmcnt(0)
	s_add_u32 s10, s10, s4
	s_addc_u32 s11, s11, s5
	s_branch .LBB31_9
.LBB31_8:
	s_mov_b64 s[10:11], 0
.LBB31_9:
	s_load_b32 s20, s[0:1], 0x18
	s_lshl_b64 s[2:3], s[2:3], 3
	v_dual_mov_b32 v9, 0 :: v_dual_and_b32 v52, 0x3ff, v0
	v_bfe_u32 v53, v0, 10, 10
	v_mov_b32_e32 v8, 0
	s_delay_alu instid0(VALU_DEP_2) | instskip(NEXT) | instid1(VALU_DEP_1)
	v_lshl_add_u32 v2, v53, 3, v52
	v_and_b32_e32 v7, 63, v2
	v_lshrrev_b32_e32 v54, 6, v2
	s_waitcnt lgkmcnt(0)
	s_ashr_i32 s21, s20, 31
	s_add_u32 s2, s6, s2
	s_addc_u32 s3, s7, s3
	s_add_i32 s4, s16, -1
	v_cmp_gt_i32_e32 vcc_lo, s18, v54
	s_ashr_i32 s5, s4, 31
	s_delay_alu instid0(SALU_CYCLE_1) | instskip(NEXT) | instid1(SALU_CYCLE_1)
	s_lshr_b32 s5, s5, 26
	s_add_i32 s4, s4, s5
	s_delay_alu instid0(SALU_CYCLE_1) | instskip(NEXT) | instid1(SALU_CYCLE_1)
	s_ashr_i32 s4, s4, 6
	s_add_i32 s5, s4, 1
	s_not_b32 s4, s4
	v_cvt_f32_u32_e32 v1, s5
	s_delay_alu instid0(VALU_DEP_1) | instskip(SKIP_2) | instid1(VALU_DEP_1)
	v_rcp_iflag_f32_e32 v1, v1
	s_waitcnt_depctr 0xfff
	v_mul_f32_e32 v1, 0x4f7ffffe, v1
	v_cvt_u32_f32_e32 v1, v1
	s_delay_alu instid0(VALU_DEP_1) | instskip(NEXT) | instid1(VALU_DEP_1)
	v_readfirstlane_b32 s6, v1
	s_mul_i32 s4, s4, s6
	s_delay_alu instid0(SALU_CYCLE_1) | instskip(NEXT) | instid1(SALU_CYCLE_1)
	s_mul_hi_u32 s4, s6, s4
	s_add_i32 s6, s6, s4
	s_delay_alu instid0(SALU_CYCLE_1) | instskip(NEXT) | instid1(SALU_CYCLE_1)
	s_mul_hi_u32 s4, s14, s6
	s_mul_i32 s6, s4, s5
	s_add_i32 s7, s4, 1
	s_sub_i32 s6, s14, s6
	s_delay_alu instid0(SALU_CYCLE_1)
	s_sub_i32 s22, s6, s5
	s_cmp_ge_u32 s6, s5
	s_cselect_b32 s4, s7, s4
	s_cselect_b32 s6, s22, s6
	s_add_i32 s7, s4, 1
	s_cmp_ge_u32 s6, s5
	s_cselect_b32 s4, s7, s4
	s_load_b64 s[6:7], s[2:3], 0x0
	s_mul_i32 s2, s4, s5
	s_delay_alu instid0(SALU_CYCLE_1) | instskip(NEXT) | instid1(SALU_CYCLE_1)
	s_sub_i32 s2, s14, s2
	s_lshl_b32 s5, s2, 6
	s_delay_alu instid0(SALU_CYCLE_1) | instskip(NEXT) | instid1(VALU_DEP_1)
	v_or_b32_e32 v0, s5, v7
	v_cmp_gt_i32_e64 s2, s16, v0
	v_cmp_le_i32_e64 s3, s16, v0
	v_ashrrev_i32_e32 v1, 31, v0
	s_delay_alu instid0(VALU_DEP_3) | instskip(NEXT) | instid1(SALU_CYCLE_1)
	s_and_b32 s14, vcc_lo, s2
	s_and_saveexec_b32 s2, s14
	s_cbranch_execz .LBB31_11
; %bb.10:
	v_mad_i64_i32 v[3:4], null, s20, v54, 0
	v_lshlrev_b64 v[5:6], 2, v[0:1]
	s_delay_alu instid0(VALU_DEP_2) | instskip(NEXT) | instid1(VALU_DEP_1)
	v_lshlrev_b64 v[3:4], 2, v[3:4]
	v_add_co_u32 v3, vcc_lo, s12, v3
	s_delay_alu instid0(VALU_DEP_2) | instskip(NEXT) | instid1(VALU_DEP_2)
	v_add_co_ci_u32_e32 v4, vcc_lo, s13, v4, vcc_lo
	v_add_co_u32 v3, vcc_lo, v3, v5
	s_delay_alu instid0(VALU_DEP_2)
	v_add_co_ci_u32_e32 v4, vcc_lo, v4, v6, vcc_lo
	flat_load_b32 v9, v[3:4]
.LBB31_11:
	s_or_b32 exec_lo, exec_lo, s2
	s_load_b32 s24, s[0:1], 0x30
	v_lshrrev_b32_e32 v10, 2, v2
	v_and_b32_e32 v55, 3, v52
	s_lshl_b32 s14, s4, 7
	s_delay_alu instid0(VALU_DEP_2) | instid1(SALU_CYCLE_1)
	v_add_nc_u32_e32 v2, s14, v10
	s_delay_alu instid0(VALU_DEP_2) | instskip(SKIP_1) | instid1(VALU_DEP_3)
	v_lshlrev_b32_e32 v56, 2, v55
	v_cmp_le_i32_e64 s4, s18, v55
	v_cmp_le_i32_e32 vcc_lo, s17, v2
	s_delay_alu instid0(VALU_DEP_3) | instskip(NEXT) | instid1(VALU_DEP_1)
	v_add_co_u32 v11, s2, s8, v56
	v_add_co_ci_u32_e64 v12, null, s9, 0, s2
	s_delay_alu instid0(VALU_DEP_4) | instskip(NEXT) | instid1(SALU_CYCLE_1)
	s_or_b32 s2, s4, vcc_lo
	s_xor_b32 s2, s2, -1
	s_delay_alu instid0(SALU_CYCLE_1)
	s_and_saveexec_b32 s22, s2
	s_cbranch_execz .LBB31_13
; %bb.12:
	s_waitcnt lgkmcnt(0)
	v_mad_i64_i32 v[3:4], null, v2, s24, 0
	s_delay_alu instid0(VALU_DEP_1) | instskip(NEXT) | instid1(VALU_DEP_1)
	v_lshlrev_b64 v[3:4], 2, v[3:4]
	v_add_co_u32 v3, s2, v11, v3
	s_delay_alu instid0(VALU_DEP_1)
	v_add_co_ci_u32_e64 v4, s2, v12, v4, s2
	flat_load_b32 v8, v[3:4]
.LBB31_13:
	s_or_b32 exec_lo, exec_lo, s22
	v_dual_mov_b32 v4, 0 :: v_dual_add_nc_u32 v3, 64, v2
	v_mov_b32_e32 v13, 0
	s_delay_alu instid0(VALU_DEP_2) | instskip(NEXT) | instid1(VALU_DEP_1)
	v_cmp_le_i32_e64 s2, s17, v3
	s_or_b32 s4, s4, s2
	s_delay_alu instid0(SALU_CYCLE_1) | instskip(NEXT) | instid1(SALU_CYCLE_1)
	s_xor_b32 s4, s4, -1
	s_and_saveexec_b32 s22, s4
	s_cbranch_execz .LBB31_15
; %bb.14:
	s_waitcnt lgkmcnt(0)
	v_mad_i64_i32 v[5:6], null, v3, s24, 0
	s_delay_alu instid0(VALU_DEP_1) | instskip(NEXT) | instid1(VALU_DEP_1)
	v_lshlrev_b64 v[5:6], 2, v[5:6]
	v_add_co_u32 v5, s4, v11, v5
	s_delay_alu instid0(VALU_DEP_1)
	v_add_co_ci_u32_e64 v6, s4, v12, v6, s4
	flat_load_b32 v13, v[5:6]
.LBB31_15:
	s_or_b32 exec_lo, exec_lo, s22
	v_add_nc_u32_e32 v5, 4, v54
	s_xor_b32 s22, s3, -1
	s_delay_alu instid0(VALU_DEP_1) | instskip(NEXT) | instid1(VALU_DEP_1)
	v_cmp_gt_i32_e64 s4, s18, v5
	s_and_b32 s3, s22, s4
	s_delay_alu instid0(SALU_CYCLE_1)
	s_and_saveexec_b32 s4, s3
	s_cbranch_execz .LBB31_17
; %bb.16:
	v_mad_u64_u32 v[14:15], null, s20, v5, 0
	s_delay_alu instid0(VALU_DEP_1) | instskip(NEXT) | instid1(VALU_DEP_1)
	v_mov_b32_e32 v4, v15
	v_mad_u64_u32 v[15:16], null, s21, v5, v[4:5]
	s_delay_alu instid0(VALU_DEP_1) | instskip(SKIP_1) | instid1(VALU_DEP_2)
	v_lshlrev_b64 v[4:5], 2, v[14:15]
	v_lshlrev_b64 v[14:15], 2, v[0:1]
	v_add_co_u32 v4, s3, s12, v4
	s_delay_alu instid0(VALU_DEP_1) | instskip(NEXT) | instid1(VALU_DEP_2)
	v_add_co_ci_u32_e64 v5, s3, s13, v5, s3
	v_add_co_u32 v4, s3, v4, v14
	s_delay_alu instid0(VALU_DEP_1)
	v_add_co_ci_u32_e64 v5, s3, v5, v15, s3
	flat_load_b32 v4, v[4:5]
.LBB31_17:
	s_or_b32 exec_lo, exec_lo, s4
	v_or_b32_e32 v5, 4, v55
	v_mov_b32_e32 v6, 0
	s_delay_alu instid0(VALU_DEP_2) | instskip(SKIP_1) | instid1(VALU_DEP_2)
	v_cmp_le_i32_e64 s3, s18, v5
	v_mov_b32_e32 v5, 0
	s_or_b32 s4, s3, vcc_lo
	s_delay_alu instid0(SALU_CYCLE_1) | instskip(NEXT) | instid1(SALU_CYCLE_1)
	s_xor_b32 s4, s4, -1
	s_and_saveexec_b32 s23, s4
	s_cbranch_execz .LBB31_19
; %bb.18:
	s_waitcnt lgkmcnt(0)
	v_mad_i64_i32 v[14:15], null, v2, s24, 0
	s_delay_alu instid0(VALU_DEP_1) | instskip(NEXT) | instid1(VALU_DEP_1)
	v_lshlrev_b64 v[14:15], 2, v[14:15]
	v_add_co_u32 v14, s4, v11, v14
	s_delay_alu instid0(VALU_DEP_1)
	v_add_co_ci_u32_e64 v15, s4, v12, v15, s4
	flat_load_b32 v6, v[14:15] offset:16
.LBB31_19:
	s_or_b32 exec_lo, exec_lo, s23
	s_or_b32 s3, s3, s2
	s_delay_alu instid0(SALU_CYCLE_1) | instskip(NEXT) | instid1(SALU_CYCLE_1)
	s_xor_b32 s3, s3, -1
	s_and_saveexec_b32 s4, s3
	s_cbranch_execz .LBB31_21
; %bb.20:
	s_waitcnt lgkmcnt(0)
	v_mad_i64_i32 v[14:15], null, v3, s24, 0
	s_delay_alu instid0(VALU_DEP_1) | instskip(NEXT) | instid1(VALU_DEP_1)
	v_lshlrev_b64 v[14:15], 2, v[14:15]
	v_add_co_u32 v11, s3, v11, v14
	s_delay_alu instid0(VALU_DEP_1)
	v_add_co_ci_u32_e64 v12, s3, v12, v15, s3
	flat_load_b32 v5, v[11:12] offset:16
.LBB31_21:
	s_or_b32 exec_lo, exec_lo, s4
	v_lshlrev_b32_e32 v7, 4, v7
	v_lshl_or_b32 v59, v10, 4, v56
	v_lshlrev_b32_e32 v57, 4, v53
	v_lshlrev_b32_e32 v58, 4, v52
	s_mov_b32 s23, 0
	v_lshl_add_u32 v7, v54, 2, v7
	s_cmp_lt_i32 s18, 9
	s_waitcnt vmcnt(0) lgkmcnt(0)
	ds_store_2addr_stride64_b32 v59, v8, v13 offset1:4
	ds_store_b32 v7, v9 offset:4096
	s_waitcnt lgkmcnt(0)
	s_barrier
	buffer_gl0_inv
	ds_load_b128 v[8:11], v57
	ds_load_b128 v[12:15], v58 offset:4096
	ds_load_b128 v[16:19], v58 offset:4224
	;; [unrolled: 1-line block ×11, first 2 shown]
	ds_store_b32 v7, v4 offset:5120
	ds_store_2addr_stride64_b32 v59, v6, v5 offset0:8 offset1:12
	s_waitcnt lgkmcnt(0)
	s_barrier
	buffer_gl0_inv
	v_dual_max_f32 v9, v9, v9 :: v_dual_max_f32 v8, v8, v8
	v_dual_max_f32 v17, v17, v17 :: v_dual_max_f32 v20, v20, v20
	v_max_f32_e32 v12, v12, v12
	v_dual_max_f32 v28, v28, v28 :: v_dual_max_f32 v29, v29, v29
	v_dual_max_f32 v13, v13, v13 :: v_dual_max_f32 v16, v16, v16
	;; [unrolled: 1-line block ×3, first 2 shown]
	v_dual_min_f32 v68, v20, v8 :: v_dual_max_f32 v25, v25, v25
	s_delay_alu instid0(VALU_DEP_4)
	v_dual_min_f32 v73, v29, v9 :: v_dual_max_f32 v32, v32, v32
	v_dual_max_f32 v33, v33, v33 :: v_dual_max_f32 v36, v36, v36
	v_dual_max_f32 v37, v37, v37 :: v_dual_max_f32 v40, v40, v40
	v_dual_min_f32 v64, v12, v8 :: v_dual_min_f32 v65, v13, v9
	v_dual_min_f32 v66, v16, v8 :: v_dual_min_f32 v67, v17, v9
	;; [unrolled: 1-line block ×6, first 2 shown]
	v_dual_min_f32 v8, v40, v8 :: v_dual_max_f32 v41, v41, v41
	v_dual_max_f32 v44, v44, v44 :: v_dual_max_f32 v45, v45, v45
	v_dual_max_f32 v48, v48, v48 :: v_dual_max_f32 v39, v39, v39
	;; [unrolled: 1-line block ×3, first 2 shown]
	s_delay_alu instid0(VALU_DEP_4) | instskip(NEXT) | instid1(VALU_DEP_4)
	v_dual_min_f32 v9, v41, v9 :: v_dual_max_f32 v14, v14, v14
	v_dual_max_f32 v15, v15, v15 :: v_dual_min_f32 v78, v12, v44
	v_dual_min_f32 v79, v13, v45 :: v_dual_max_f32 v18, v18, v18
	v_dual_max_f32 v19, v19, v19 :: v_dual_min_f32 v80, v16, v44
	v_dual_min_f32 v90, v12, v48 :: v_dual_max_f32 v49, v49, v49
	v_dual_max_f32 v60, v60, v60 :: v_dual_max_f32 v61, v61, v61
	v_dual_min_f32 v81, v17, v45 :: v_dual_max_f32 v22, v22, v22
	v_dual_max_f32 v23, v23, v23 :: v_dual_min_f32 v82, v20, v44
	v_dual_min_f32 v83, v21, v45 :: v_dual_max_f32 v26, v26, v26
	v_dual_max_f32 v27, v27, v27 :: v_dual_min_f32 v84, v24, v44
	;; [unrolled: 2-line block ×4, first 2 shown]
	v_dual_max_f32 v38, v38, v38 :: v_dual_min_f32 v89, v36, v44
	v_dual_min_f32 v44, v40, v44 :: v_dual_max_f32 v43, v43, v43
	v_dual_max_f32 v42, v42, v42 :: v_dual_min_f32 v91, v16, v48
	v_dual_min_f32 v92, v20, v48 :: v_dual_max_f32 v51, v51, v51
	v_dual_min_f32 v101, v24, v48 :: v_dual_max_f32 v50, v50, v50
	v_dual_max_f32 v117, v62, v62 :: v_dual_max_f32 v126, v63, v63
	v_dual_min_f32 v127, v28, v48 :: v_dual_min_f32 v94, v37, v45
	v_dual_min_f32 v128, v32, v48 :: v_dual_min_f32 v93, v33, v45
	;; [unrolled: 1-line block ×8, first 2 shown]
	v_min_f32_e32 v28, v28, v60
	v_dual_min_f32 v32, v32, v60 :: v_dual_min_f32 v13, v13, v61
	v_dual_min_f32 v36, v36, v60 :: v_dual_min_f32 v17, v17, v61
	;; [unrolled: 1-line block ×3, first 2 shown]
	v_dual_min_f32 v132, v25, v49 :: v_dual_add_f32 v63, 0, v64
	v_min_f32_e32 v134, v33, v49
	v_dual_min_f32 v25, v25, v61 :: v_dual_min_f32 v62, v15, v11
	v_dual_min_f32 v29, v29, v61 :: v_dual_min_f32 v64, v14, v10
	v_dual_min_f32 v33, v33, v61 :: v_dual_add_f32 v66, 0, v66
	v_dual_min_f32 v37, v37, v61 :: v_dual_min_f32 v96, v18, v10
	v_dual_add_f32 v60, 0, v65 :: v_dual_add_f32 v65, 0, v67
	v_min_f32_e32 v67, v19, v11
	v_min_f32_e32 v49, v41, v49
	v_dual_min_f32 v41, v41, v61 :: v_dual_add_f32 v124, v63, v64
	s_delay_alu instid0(VALU_DEP_3)
	v_dual_add_f32 v125, v60, v62 :: v_dual_add_f32 v122, v65, v67
	v_dual_add_f32 v123, v66, v96 :: v_dual_add_f32 v60, 0, v69
	v_dual_min_f32 v61, v23, v11 :: v_dual_add_f32 v62, 0, v68
	v_dual_min_f32 v63, v22, v10 :: v_dual_add_f32 v64, 0, v71
	;; [unrolled: 1-line block ×4, first 2 shown]
	s_delay_alu instid0(VALU_DEP_4) | instskip(SKIP_1) | instid1(VALU_DEP_4)
	v_dual_min_f32 v69, v31, v11 :: v_dual_add_f32 v120, v60, v61
	v_dual_max_f32 v46, v46, v46 :: v_dual_max_f32 v47, v47, v47
	v_dual_add_f32 v121, v62, v63 :: v_dual_add_f32 v118, v64, v65
	s_delay_alu instid0(VALU_DEP_3)
	v_dual_add_f32 v119, v66, v67 :: v_dual_add_f32 v60, v68, v69
	v_dual_add_f32 v61, 0, v72 :: v_dual_min_f32 v62, v30, v10
	v_dual_add_f32 v63, 0, v75 :: v_dual_min_f32 v66, v34, v10
	v_dual_min_f32 v64, v35, v11 :: v_dual_add_f32 v65, 0, v74
	v_dual_add_f32 v67, 0, v77 :: v_dual_min_f32 v68, v39, v11
	v_dual_add_f32 v69, 0, v76 :: v_dual_min_f32 v70, v38, v10
	v_add_f32_e32 v61, v61, v62
	s_delay_alu instid0(VALU_DEP_4) | instskip(NEXT) | instid1(VALU_DEP_3)
	v_dual_add_f32 v63, v63, v64 :: v_dual_add_f32 v62, v65, v66
	v_dual_add_f32 v64, v67, v68 :: v_dual_add_f32 v65, v69, v70
	;; [unrolled: 1-line block ×3, first 2 shown]
	v_dual_min_f32 v10, v42, v10 :: v_dual_min_f32 v11, v43, v11
	v_add_f32_e32 v68, 0, v78
	v_dual_add_f32 v66, 0, v79 :: v_dual_min_f32 v69, v14, v46
	v_dual_min_f32 v67, v15, v47 :: v_dual_add_f32 v70, 0, v81
	s_delay_alu instid0(VALU_DEP_4) | instskip(SKIP_1) | instid1(VALU_DEP_3)
	v_dual_min_f32 v71, v19, v47 :: v_dual_add_f32 v116, v8, v10
	v_dual_add_f32 v115, v9, v11 :: v_dual_add_f32 v8, 0, v80
	v_dual_add_f32 v114, v66, v67 :: v_dual_add_f32 v113, v68, v69
	s_delay_alu instid0(VALU_DEP_3) | instskip(SKIP_3) | instid1(VALU_DEP_3)
	v_dual_add_f32 v111, v70, v71 :: v_dual_add_f32 v66, 0, v82
	v_dual_min_f32 v9, v18, v46 :: v_dual_add_f32 v10, 0, v83
	v_dual_min_f32 v11, v23, v47 :: v_dual_add_f32 v68, 0, v85
	v_dual_min_f32 v67, v22, v46 :: v_dual_add_f32 v70, 0, v84
	v_dual_min_f32 v69, v27, v47 :: v_dual_add_f32 v112, v8, v9
	v_dual_min_f32 v71, v26, v46 :: v_dual_add_f32 v8, 0, v87
	s_delay_alu instid0(VALU_DEP_2) | instskip(NEXT) | instid1(VALU_DEP_4)
	v_dual_add_f32 v110, v10, v11 :: v_dual_add_f32 v107, v68, v69
	v_dual_add_f32 v109, v66, v67 :: v_dual_add_f32 v10, 0, v86
	v_dual_min_f32 v9, v31, v47 :: v_dual_add_f32 v66, 0, v93
	v_dual_min_f32 v11, v30, v46 :: v_dual_add_f32 v68, 0, v88
	s_delay_alu instid0(VALU_DEP_2)
	v_dual_add_f32 v108, v70, v71 :: v_dual_add_f32 v105, v8, v9
	v_dual_min_f32 v67, v35, v47 :: v_dual_add_f32 v70, 0, v94
	v_dual_min_f32 v69, v34, v46 :: v_dual_add_f32 v8, 0, v89
	v_min_f32_e32 v71, v39, v47
	v_add_f32_e32 v106, v10, v11
	v_dual_min_f32 v9, v38, v46 :: v_dual_add_f32 v44, 0, v44
	v_dual_add_f32 v10, 0, v45 :: v_dual_min_f32 v11, v43, v47
	v_dual_min_f32 v45, v42, v46 :: v_dual_add_f32 v46, 0, v95
	s_delay_alu instid0(VALU_DEP_3) | instskip(SKIP_1) | instid1(VALU_DEP_2)
	v_dual_min_f32 v47, v15, v51 :: v_dual_add_f32 v102, v8, v9
	v_dual_add_f32 v8, 0, v130 :: v_dual_min_f32 v9, v19, v51
	v_dual_add_f32 v98, v44, v45 :: v_dual_add_f32 v97, v46, v47
	v_dual_add_f32 v44, 0, v131 :: v_dual_min_f32 v47, v22, v50
	v_dual_min_f32 v45, v23, v51 :: v_dual_add_f32 v46, 0, v92
	s_delay_alu instid0(VALU_DEP_4)
	v_add_f32_e32 v94, v8, v9
	v_dual_add_f32 v8, 0, v101 :: v_dual_min_f32 v9, v26, v50
	v_add_f32_e32 v104, v66, v67
	v_add_f32_e32 v66, 0, v90
	v_min_f32_e32 v67, v14, v50
	v_add_f32_e32 v99, v10, v11
	v_dual_add_f32 v10, 0, v91 :: v_dual_min_f32 v11, v18, v50
	v_dual_add_f32 v93, v46, v47 :: v_dual_add_f32 v46, 0, v134
	s_delay_alu instid0(VALU_DEP_4) | instskip(NEXT) | instid1(VALU_DEP_3)
	v_dual_add_f32 v96, v66, v67 :: v_dual_min_f32 v15, v15, v126
	v_dual_add_f32 v66, 0, v132 :: v_dual_add_f32 v95, v10, v11
	v_dual_add_f32 v10, 0, v133 :: v_dual_min_f32 v67, v27, v51
	v_dual_add_f32 v92, v44, v45 :: v_dual_min_f32 v11, v31, v51
	v_dual_add_f32 v44, 0, v127 :: v_dual_min_f32 v45, v30, v50
	v_min_f32_e32 v47, v35, v51
	v_dual_add_f32 v91, v8, v9 :: v_dual_add_f32 v8, 0, v135
	s_delay_alu instid0(VALU_DEP_3) | instskip(NEXT) | instid1(VALU_DEP_3)
	v_dual_min_f32 v9, v39, v51 :: v_dual_add_f32 v88, v44, v45
	v_dual_add_f32 v87, v46, v47 :: v_dual_add_f32 v44, 0, v49
	v_min_f32_e32 v45, v43, v51
	v_add_f32_e32 v90, v66, v67
	v_dual_add_f32 v66, 0, v128 :: v_dual_min_f32 v67, v34, v50
	v_dual_add_f32 v89, v10, v11 :: v_dual_add_f32 v10, 0, v129
	v_dual_add_f32 v46, 0, v48 :: v_dual_min_f32 v11, v38, v50
	v_add_f32_e32 v84, v8, v9
	v_dual_min_f32 v14, v14, v117 :: v_dual_min_f32 v19, v19, v126
	v_dual_add_f32 v100, v70, v71 :: v_dual_add_f32 v13, 0, v13
	s_delay_alu instid0(VALU_DEP_4) | instskip(SKIP_1) | instid1(VALU_DEP_3)
	v_dual_add_f32 v85, v10, v11 :: v_dual_add_f32 v10, 0, v17
	v_dual_add_f32 v86, v66, v67 :: v_dual_add_f32 v9, 0, v16
	v_dual_min_f32 v47, v42, v50 :: v_dual_add_f32 v80, v13, v15
	v_add_f32_e32 v8, 0, v12
	v_dual_add_f32 v12, 0, v21 :: v_dual_add_f32 v13, 0, v24
	v_add_f32_e32 v17, 0, v29
	v_dual_min_f32 v18, v18, v117 :: v_dual_min_f32 v23, v23, v126
	v_dual_add_f32 v79, v10, v19 :: v_dual_min_f32 v10, v31, v126
	v_dual_add_f32 v82, v46, v47 :: v_dual_add_f32 v11, 0, v20
	v_dual_add_f32 v15, 0, v25 :: v_dual_add_f32 v16, 0, v28
	;; [unrolled: 1-line block ×4, first 2 shown]
	v_add_f32_e32 v78, v9, v18
	v_dual_add_f32 v81, v8, v14 :: v_dual_min_f32 v8, v22, v117
	v_dual_add_f32 v76, v12, v23 :: v_dual_min_f32 v9, v27, v126
	;; [unrolled: 1-line block ×3, first 2 shown]
	v_add_f32_e32 v103, v68, v69
	s_delay_alu instid0(VALU_DEP_4) | instskip(NEXT) | instid1(VALU_DEP_3)
	v_dual_add_f32 v77, v11, v8 :: v_dual_min_f32 v8, v26, v117
	v_dual_min_f32 v11, v30, v117 :: v_dual_add_f32 v68, v24, v10
	v_add_f32_e32 v74, v15, v9
	v_min_f32_e32 v9, v35, v126
	v_dual_add_f32 v25, 0, v37 :: v_dual_add_f32 v28, 0, v40
	s_delay_alu instid0(VALU_DEP_4) | instskip(SKIP_1) | instid1(VALU_DEP_4)
	v_dual_add_f32 v75, v13, v8 :: v_dual_add_f32 v72, v16, v11
	v_min_f32_e32 v8, v34, v117
	v_dual_add_f32 v70, v21, v9 :: v_dual_min_f32 v9, v39, v126
	v_dual_min_f32 v11, v43, v126 :: v_dual_min_f32 v12, v42, v117
	s_delay_alu instid0(VALU_DEP_3) | instskip(SKIP_1) | instid1(VALU_DEP_4)
	v_add_f32_e32 v71, v20, v8
	v_add_f32_e32 v83, v44, v45
	;; [unrolled: 1-line block ×3, first 2 shown]
	s_delay_alu instid0(VALU_DEP_4)
	v_dual_add_f32 v67, v29, v11 :: v_dual_add_f32 v66, v28, v12
	s_cbranch_scc1 .LBB31_36
; %bb.22:
	v_lshlrev_b64 v[0:1], 2, v[0:1]
	v_mad_i64_i32 v[4:5], null, s24, v2, 0
	v_add_nc_u32_e32 v6, 12, v54
	v_add_nc_u32_e32 v8, 8, v54
	v_or_b32_e32 v101, 0x1000, v7
	v_add_co_u32 v128, s3, s12, v0
	s_delay_alu instid0(VALU_DEP_1)
	v_add_co_ci_u32_e64 v129, s3, s13, v1, s3
	v_mad_i64_i32 v[0:1], null, s24, v3, 0
	v_lshlrev_b64 v[2:3], 2, v[4:5]
	v_add_nc_u32_e32 v126, 0x1400, v7
	v_mad_i64_i32 v[4:5], null, v6, s20, 0
	v_mad_i64_i32 v[6:7], null, v8, s20, 0
	v_lshlrev_b64 v[0:1], 2, v[0:1]
	v_add_co_u32 v132, s3, s8, v2
	s_delay_alu instid0(VALU_DEP_1) | instskip(SKIP_1) | instid1(VALU_DEP_4)
	v_add_co_ci_u32_e64 v133, s3, s9, v3, s3
	v_lshlrev_b64 v[48:49], 2, v[4:5]
	v_add_co_u32 v134, s3, s8, v0
	v_lshlrev_b64 v[50:51], 2, v[6:7]
	v_add_nc_u32_e32 v117, 0x1000, v58
	v_add_nc_u32_e32 v127, 0x800, v59
	v_lshl_add_u32 v130, v52, 4, 0x1400
	v_lshl_add_u32 v131, v53, 4, 0x800
	v_add_co_ci_u32_e64 v135, s3, s9, v1, s3
	s_add_i32 s12, s18, -8
	s_lshl_b64 s[8:9], s[20:21], 5
	s_branch .LBB31_24
.LBB31_23:                              ;   in Loop: Header=BB31_24 Depth=1
	s_or_b32 exec_lo, exec_lo, s4
	v_dual_add_f32 v40, v125, v40 :: v_dual_add_f32 v33, v119, v33
	v_dual_add_f32 v28, v122, v28 :: v_dual_add_f32 v29, v121, v29
	;; [unrolled: 1-line block ×21, first 2 shown]
	ds_load_b128 v[20:23], v57
	ds_load_b128 v[28:31], v117
	v_dual_add_f32 v112, v8, v188 :: v_dual_add_f32 v119, v45, v191
	v_dual_add_f32 v114, v12, v189 :: v_dual_add_f32 v115, v9, v180
	;; [unrolled: 1-line block ×4, first 2 shown]
	ds_load_b128 v[8:11], v117 offset:128
	v_dual_add_f32 v92, v92, v153 :: v_dual_add_f32 v87, v87, v159
	v_dual_add_f32 v72, v72, v171 :: v_dual_add_f32 v73, v73, v172
	;; [unrolled: 1-line block ×9, first 2 shown]
	s_delay_alu instid0(VALU_DEP_3)
	v_dual_add_f32 v121, v4, v204 :: v_dual_add_f32 v102, v102, v187
	v_dual_add_f32 v92, v92, v208 :: v_dual_add_f32 v123, v1, v215
	;; [unrolled: 1-line block ×3, first 2 shown]
	s_waitcnt lgkmcnt(2)
	v_dual_add_f32 v74, v74, v27 :: v_dual_max_f32 v21, v21, v21
	v_dual_add_f32 v72, v72, v2 :: v_dual_add_f32 v71, v71, v3
	v_dual_add_f32 v70, v70, v14 :: v_dual_add_f32 v69, v69, v15
	s_waitcnt lgkmcnt(1)
	v_dual_add_f32 v124, v46, v19 :: v_dual_max_f32 v29, v29, v29
	ds_load_b128 v[1:4], v117 offset:256
	ds_load_b128 v[12:15], v117 offset:384
	;; [unrolled: 1-line block ×5, first 2 shown]
	v_dual_add_f32 v67, v36, v38 :: v_dual_add_f32 v106, v37, v39
	s_waitcnt lgkmcnt(5)
	v_dual_max_f32 v20, v20, v20 :: v_dual_max_f32 v9, v9, v9
	v_max_f32_e32 v28, v28, v28
	v_dual_max_f32 v139, v8, v8 :: v_dual_min_f32 v140, v29, v21
	v_dual_add_f32 v98, v99, v147 :: v_dual_add_f32 v93, v93, v152
	s_delay_alu instid0(VALU_DEP_3) | instskip(NEXT) | instid1(VALU_DEP_3)
	v_min_f32_e32 v138, v28, v20
	v_dual_min_f32 v141, v139, v20 :: v_dual_add_f32 v66, v40, v47
	v_add_f32_e32 v99, v41, v42
	v_dual_add_f32 v68, v68, v6 :: v_dual_add_f32 v125, v43, v7
	s_waitcnt lgkmcnt(4)
	v_max_f32_e32 v1, v1, v1
	v_dual_add_f32 v67, v67, v138 :: v_dual_min_f32 v138, v9, v21
	s_waitcnt lgkmcnt(3)
	v_dual_max_f32 v2, v2, v2 :: v_dual_max_f32 v13, v13, v13
	v_max_f32_e32 v12, v12, v12
	ds_load_b128 v[36:39], v117 offset:768
	ds_load_b128 v[40:43], v117 offset:896
	v_add_f32_e32 v84, v84, v138
	v_min_f32_e32 v138, v2, v21
	v_dual_add_f32 v66, v66, v140 :: v_dual_add_f32 v99, v99, v141
	v_min_f32_e32 v141, v12, v20
	s_waitcnt lgkmcnt(4)
	v_dual_max_f32 v16, v16, v16 :: v_dual_max_f32 v17, v17, v17
	s_waitcnt lgkmcnt(3)
	v_dual_add_f32 v100, v100, v138 :: v_dual_max_f32 v25, v25, v25
	s_delay_alu instid0(VALU_DEP_2) | instskip(SKIP_2) | instid1(VALU_DEP_3)
	v_dual_add_f32 v107, v107, v141 :: v_dual_min_f32 v138, v16, v20
	s_waitcnt lgkmcnt(2)
	v_dual_max_f32 v33, v33, v33 :: v_dual_max_f32 v32, v32, v32
	v_dual_min_f32 v141, v25, v21 :: v_dual_max_f32 v24, v24, v24
	s_delay_alu instid0(VALU_DEP_3)
	v_add_f32_e32 v109, v109, v138
	v_dual_add_f32 v103, v103, v144 :: v_dual_add_f32 v104, v104, v145
	s_waitcnt lgkmcnt(0)
	v_dual_max_f32 v36, v36, v36 :: v_dual_max_f32 v41, v41, v41
	v_min_f32_e32 v138, v24, v20
	v_min_f32_e32 v140, v1, v20
	v_dual_max_f32 v37, v37, v37 :: v_dual_add_f32 v96, v96, v148
	v_add_f32_e32 v95, v95, v150
	s_delay_alu instid0(VALU_DEP_4) | instskip(NEXT) | instid1(VALU_DEP_4)
	v_add_f32_e32 v111, v111, v138
	v_add_f32_e32 v105, v105, v140
	v_min_f32_e32 v140, v13, v21
	v_min_f32_e32 v138, v37, v21
	v_dual_add_f32 v62, v62, v184 :: v_dual_add_f32 v103, v103, v186
	v_dual_add_f32 v104, v104, v195 :: v_dual_add_f32 v95, v95, v198
	s_delay_alu instid0(VALU_DEP_4) | instskip(SKIP_4) | instid1(VALU_DEP_4)
	v_add_f32_e32 v106, v106, v140
	v_min_f32_e32 v140, v17, v21
	v_min_f32_e32 v21, v41, v21
	v_dual_add_f32 v122, v5, v196 :: v_dual_add_f32 v87, v87, v211
	v_dual_add_f32 v120, v44, v182 :: v_dual_add_f32 v61, v61, v192
	v_add_f32_e32 v108, v108, v140
	s_delay_alu instid0(VALU_DEP_4)
	v_dual_min_f32 v140, v36, v20 :: v_dual_add_f32 v21, v114, v21
	v_add_f32_e32 v110, v110, v141
	ds_load_b128 v[5:8], v57 offset:1024
	ds_load_b128 v[44:47], v57 offset:1536
	v_dual_add_f32 v94, v94, v151 :: v_dual_add_f32 v91, v91, v154
	v_add_f32_e32 v113, v113, v140
	v_min_f32_e32 v140, v29, v33
	v_dual_add_f32 v60, v60, v183 :: v_dual_add_f32 v65, v65, v194
	s_delay_alu instid0(VALU_DEP_4) | instskip(NEXT) | instid1(VALU_DEP_3)
	v_dual_add_f32 v96, v96, v197 :: v_dual_add_f32 v91, v91, v200
	v_add_f32_e32 v114, v116, v140
	v_min_f32_e32 v116, v9, v33
	v_dual_add_f32 v64, v64, v185 :: v_dual_add_f32 v97, v97, v206
	v_dual_add_f32 v98, v98, v205 :: v_dual_add_f32 v93, v93, v199
	s_delay_alu instid0(VALU_DEP_3) | instskip(SKIP_3) | instid1(VALU_DEP_3)
	v_dual_add_f32 v141, v119, v116 :: v_dual_min_f32 v116, v13, v33
	v_dual_add_f32 v88, v88, v156 :: v_dual_add_f32 v83, v83, v162
	s_waitcnt lgkmcnt(1)
	v_dual_max_f32 v5, v5, v5 :: v_dual_max_f32 v6, v6, v6
	v_dual_add_f32 v145, v63, v116 :: v_dual_add_f32 v112, v112, v138
	v_dual_min_f32 v138, v28, v32 :: v_dual_min_f32 v63, v25, v33
	v_dual_add_f32 v90, v90, v155 :: v_dual_add_f32 v89, v89, v157
	v_dual_add_f32 v86, v86, v158 :: v_dual_add_f32 v85, v85, v160
	s_delay_alu instid0(VALU_DEP_3) | instskip(SKIP_4) | instid1(VALU_DEP_3)
	v_add_f32_e32 v138, v118, v138
	v_min_f32_e32 v118, v2, v33
	v_max_f32_e32 v40, v40, v40
	v_dual_add_f32 v82, v82, v161 :: v_dual_add_f32 v81, v81, v163
	v_dual_add_f32 v88, v88, v201 :: v_dual_add_f32 v83, v83, v216
	v_dual_add_f32 v143, v61, v118 :: v_dual_min_f32 v20, v40, v20
	v_min_f32_e32 v61, v17, v33
	v_dual_add_f32 v90, v90, v209 :: v_dual_add_f32 v85, v85, v203
	v_dual_add_f32 v86, v86, v202 :: v_dual_add_f32 v81, v81, v213
	s_delay_alu instid0(VALU_DEP_4)
	v_add_f32_e32 v20, v115, v20
	v_min_f32_e32 v115, v139, v32
	v_add_f32_e32 v147, v65, v61
	v_min_f32_e32 v61, v37, v33
	v_min_f32_e32 v33, v41, v33
	s_waitcnt lgkmcnt(0)
	v_dual_max_f32 v45, v45, v45 :: v_dual_add_f32 v140, v120, v115
	v_min_f32_e32 v115, v1, v32
	s_delay_alu instid0(VALU_DEP_3) | instskip(SKIP_1) | instid1(VALU_DEP_3)
	v_dual_min_f32 v120, v12, v32 :: v_dual_add_f32 v33, v98, v33
	v_add_f32_e32 v148, v121, v61
	v_dual_min_f32 v61, v29, v6 :: v_dual_add_f32 v142, v60, v115
	s_delay_alu instid0(VALU_DEP_3) | instskip(SKIP_2) | instid1(VALU_DEP_4)
	v_add_f32_e32 v144, v62, v120
	v_max_f32_e32 v44, v44, v44
	v_dual_add_f32 v94, v94, v207 :: v_dual_add_f32 v89, v89, v210
	v_add_f32_e32 v97, v97, v61
	v_dual_min_f32 v61, v1, v5 :: v_dual_min_f32 v60, v16, v32
	s_delay_alu instid0(VALU_DEP_4) | instskip(SKIP_1) | instid1(VALU_DEP_3)
	v_min_f32_e32 v1, v1, v44
	v_dual_add_f32 v82, v82, v212 :: v_dual_add_f32 v79, v79, v218
	v_add_f32_e32 v93, v93, v61
	v_min_f32_e32 v61, v16, v5
	v_min_f32_e32 v62, v24, v32
	v_max_f32_e32 v22, v22, v22
	v_dual_max_f32 v30, v30, v30 :: v_dual_min_f32 v29, v29, v45
	s_delay_alu instid0(VALU_DEP_4) | instskip(SKIP_4) | instid1(VALU_DEP_2)
	v_dual_add_f32 v88, v88, v61 :: v_dual_max_f32 v31, v31, v31
	v_min_f32_e32 v61, v36, v5
	v_add_f32_e32 v146, v64, v60
	v_dual_min_f32 v60, v36, v32 :: v_dual_max_f32 v23, v23, v23
	v_dual_max_f32 v11, v11, v11 :: v_dual_max_f32 v4, v4, v4
	v_dual_max_f32 v35, v35, v35 :: v_dual_add_f32 v102, v102, v60
	v_min_f32_e32 v60, v28, v5
	v_dual_max_f32 v14, v14, v14 :: v_dual_max_f32 v15, v15, v15
	v_dual_max_f32 v19, v19, v19 :: v_dual_max_f32 v18, v18, v18
	s_delay_alu instid0(VALU_DEP_3) | instskip(SKIP_3) | instid1(VALU_DEP_2)
	v_add_f32_e32 v96, v96, v60
	v_min_f32_e32 v60, v9, v6
	v_dual_min_f32 v9, v9, v45 :: v_dual_max_f32 v10, v10, v10
	v_dual_max_f32 v43, v43, v43 :: v_dual_max_f32 v8, v8, v8
	v_dual_add_f32 v94, v94, v60 :: v_dual_add_f32 v9, v79, v9
	v_min_f32_e32 v60, v13, v6
	v_dual_min_f32 v13, v13, v45 :: v_dual_min_f32 v28, v28, v44
	v_min_f32_e32 v16, v16, v44
	v_dual_min_f32 v36, v36, v44 :: v_dual_max_f32 v27, v27, v27
	s_delay_alu instid0(VALU_DEP_3)
	v_add_f32_e32 v13, v74, v13
	v_add_f32_e32 v90, v90, v60
	v_min_f32_e32 v60, v17, v6
	v_add_f32_e32 v104, v104, v63
	v_min_f32_e32 v63, v12, v5
	v_dual_min_f32 v12, v12, v44 :: v_dual_min_f32 v17, v17, v45
	v_add_f32_e32 v16, v72, v16
	s_delay_alu instid0(VALU_DEP_3)
	v_dual_max_f32 v34, v34, v34 :: v_dual_add_f32 v91, v91, v63
	v_min_f32_e32 v63, v25, v6
	v_add_f32_e32 v103, v103, v62
	v_min_f32_e32 v62, v139, v5
	v_min_f32_e32 v25, v25, v45
	v_dual_add_f32 v28, v81, v28 :: v_dual_max_f32 v3, v3, v3
	v_dual_add_f32 v36, v68, v36 :: v_dual_max_f32 v39, v39, v39
	s_delay_alu instid0(VALU_DEP_4) | instskip(SKIP_4) | instid1(VALU_DEP_4)
	v_add_f32_e32 v95, v95, v62
	v_dual_min_f32 v62, v2, v6 :: v_dual_add_f32 v29, v80, v29
	v_add_f32_e32 v25, v70, v25
	v_add_f32_e32 v89, v89, v60
	v_min_f32_e32 v60, v37, v6
	v_dual_add_f32 v92, v92, v62 :: v_dual_add_f32 v1, v77, v1
	v_min_f32_e32 v62, v24, v5
	v_min_f32_e32 v5, v40, v5
	;; [unrolled: 1-line block ×3, first 2 shown]
	v_dual_add_f32 v149, v123, v60 :: v_dual_min_f32 v6, v41, v6
	v_dual_min_f32 v60, v139, v44 :: v_dual_min_f32 v37, v37, v45
	s_delay_alu instid0(VALU_DEP_4) | instskip(NEXT) | instid1(VALU_DEP_4)
	v_add_f32_e32 v5, v82, v5
	v_add_f32_e32 v32, v122, v32
	v_min_f32_e32 v2, v2, v45
	v_min_f32_e32 v41, v41, v45
	v_dual_min_f32 v45, v30, v22 :: v_dual_add_f32 v12, v75, v12
	v_dual_add_f32 v86, v86, v62 :: v_dual_add_f32 v85, v85, v61
	s_delay_alu instid0(VALU_DEP_3) | instskip(NEXT) | instid1(VALU_DEP_3)
	v_add_f32_e32 v41, v124, v41
	v_dual_add_f32 v124, v67, v45 :: v_dual_min_f32 v45, v4, v23
	v_dual_add_f32 v78, v78, v60 :: v_dual_add_f32 v37, v69, v37
	v_min_f32_e32 v60, v11, v23
	v_max_f32_e32 v26, v26, v26
	s_delay_alu instid0(VALU_DEP_4) | instskip(SKIP_1) | instid1(VALU_DEP_4)
	v_dual_add_f32 v120, v100, v45 :: v_dual_min_f32 v45, v14, v22
	v_min_f32_e32 v24, v24, v44
	v_add_f32_e32 v122, v84, v60
	v_min_f32_e32 v60, v15, v23
	v_max_f32_e32 v7, v7, v7
	v_add_f32_e32 v119, v107, v45
	v_dual_add_f32 v24, v71, v24 :: v_dual_min_f32 v45, v18, v22
	v_min_f32_e32 v40, v40, v44
	v_min_f32_e32 v44, v31, v23
	v_add_f32_e32 v2, v76, v2
	s_delay_alu instid0(VALU_DEP_4) | instskip(NEXT) | instid1(VALU_DEP_4)
	v_dual_add_f32 v118, v106, v60 :: v_dual_add_f32 v61, v109, v45
	v_dual_add_f32 v40, v125, v40 :: v_dual_min_f32 v45, v39, v23
	s_delay_alu instid0(VALU_DEP_4) | instskip(SKIP_2) | instid1(VALU_DEP_4)
	v_add_f32_e32 v125, v66, v44
	v_dual_min_f32 v44, v10, v22 :: v_dual_add_f32 v87, v87, v63
	v_max_f32_e32 v38, v38, v38
	v_add_f32_e32 v64, v112, v45
	s_delay_alu instid0(VALU_DEP_3) | instskip(SKIP_4) | instid1(VALU_DEP_4)
	v_dual_max_f32 v42, v42, v42 :: v_dual_add_f32 v123, v99, v44
	v_min_f32_e32 v44, v3, v22
	v_min_f32_e32 v62, v26, v22
	v_dual_add_f32 v6, v83, v6 :: v_dual_add_f32 v17, v73, v17
	v_add_co_u32 v132, s3, v132, 32
	v_dual_add_f32 v121, v105, v44 :: v_dual_min_f32 v44, v19, v23
	s_delay_alu instid0(VALU_DEP_4) | instskip(SKIP_2) | instid1(VALU_DEP_4)
	v_add_f32_e32 v62, v111, v62
	v_add_co_ci_u32_e64 v133, s3, 0, v133, s3
	v_add_co_u32 v134, s3, v134, 32
	v_add_f32_e32 v60, v108, v44
	v_min_f32_e32 v44, v27, v23
	v_min_f32_e32 v23, v43, v23
	v_add_co_ci_u32_e64 v135, s3, 0, v135, s3
	v_add_co_u32 v128, s3, v128, s8
	s_delay_alu instid0(VALU_DEP_3) | instskip(SKIP_4) | instid1(VALU_DEP_4)
	v_add_f32_e32 v115, v21, v23
	v_min_f32_e32 v21, v11, v35
	v_add_f32_e32 v63, v110, v44
	v_min_f32_e32 v23, v15, v35
	v_add_co_ci_u32_e64 v129, s3, s9, v129, s3
	v_add_f32_e32 v111, v141, v21
	v_min_f32_e32 v21, v4, v35
	s_delay_alu instid0(VALU_DEP_4)
	v_add_f32_e32 v107, v145, v23
	s_add_i32 s23, s23, 8
	s_waitcnt vmcnt(0)
	ds_store_b32 v126, v137
	ds_store_2addr_stride64_b32 v127, v136, v0 offset1:4
	s_cmp_ge_i32 s23, s12
	v_add_f32_e32 v110, v143, v21
	v_min_f32_e32 v21, v19, v35
	s_waitcnt lgkmcnt(0)
	s_barrier
	buffer_gl0_inv
	v_add_f32_e32 v105, v147, v21
	v_min_f32_e32 v21, v39, v35
	s_delay_alu instid0(VALU_DEP_1) | instskip(NEXT) | instid1(VALU_DEP_1)
	v_dual_add_f32 v100, v148, v21 :: v_dual_min_f32 v21, v43, v35
	v_add_f32_e32 v99, v33, v21
	v_min_f32_e32 v21, v11, v8
	v_min_f32_e32 v23, v26, v34
	v_min_f32_e32 v44, v38, v22
	v_min_f32_e32 v22, v42, v22
	v_min_f32_e32 v45, v30, v34
	s_delay_alu instid0(VALU_DEP_4) | instskip(NEXT) | instid1(VALU_DEP_3)
	v_dual_add_f32 v94, v94, v21 :: v_dual_add_f32 v103, v103, v23
	v_dual_min_f32 v23, v30, v7 :: v_dual_add_f32 v116, v20, v22
	v_dual_min_f32 v21, v3, v7 :: v_dual_min_f32 v20, v10, v34
	v_min_f32_e32 v22, v3, v34
	s_delay_alu instid0(VALU_DEP_3) | instskip(SKIP_1) | instid1(VALU_DEP_4)
	v_dual_add_f32 v96, v96, v23 :: v_dual_min_f32 v23, v15, v8
	v_dual_add_f32 v65, v113, v44 :: v_dual_min_f32 v44, v31, v35
	v_dual_add_f32 v93, v93, v21 :: v_dual_add_f32 v112, v140, v20
	s_delay_alu instid0(VALU_DEP_3) | instskip(SKIP_4) | instid1(VALU_DEP_3)
	v_add_f32_e32 v90, v90, v23
	v_min_f32_e32 v23, v26, v7
	v_dual_add_f32 v109, v142, v22 :: v_dual_min_f32 v22, v27, v35
	v_dual_min_f32 v20, v14, v34 :: v_dual_min_f32 v21, v19, v8
	v_add_f32_e32 v114, v114, v44
	v_dual_add_f32 v113, v138, v45 :: v_dual_add_f32 v104, v104, v22
	s_delay_alu instid0(VALU_DEP_3) | instskip(NEXT) | instid1(VALU_DEP_1)
	v_dual_min_f32 v22, v42, v34 :: v_dual_add_f32 v89, v89, v21
	v_dual_min_f32 v21, v39, v8 :: v_dual_add_f32 v98, v32, v22
	v_min_f32_e32 v22, v4, v8
	s_delay_alu instid0(VALU_DEP_2) | instskip(NEXT) | instid1(VALU_DEP_2)
	v_dual_add_f32 v84, v149, v21 :: v_dual_max_f32 v21, v46, v46
	v_add_f32_e32 v92, v92, v22
	s_delay_alu instid0(VALU_DEP_2) | instskip(NEXT) | instid1(VALU_DEP_1)
	v_dual_min_f32 v22, v18, v7 :: v_dual_min_f32 v3, v3, v21
	v_add_f32_e32 v88, v88, v22
	v_max_f32_e32 v22, v47, v47
	v_add_f32_e32 v108, v144, v20
	s_delay_alu instid0(VALU_DEP_4) | instskip(SKIP_1) | instid1(VALU_DEP_4)
	v_dual_min_f32 v20, v18, v34 :: v_dual_add_f32 v77, v1, v3
	v_min_f32_e32 v1, v14, v21
	v_min_f32_e32 v3, v19, v22
	;; [unrolled: 1-line block ×3, first 2 shown]
	s_delay_alu instid0(VALU_DEP_4) | instskip(NEXT) | instid1(VALU_DEP_4)
	v_add_f32_e32 v106, v146, v20
	v_dual_min_f32 v20, v38, v34 :: v_dual_add_f32 v75, v12, v1
	s_delay_alu instid0(VALU_DEP_3) | instskip(SKIP_1) | instid1(VALU_DEP_3)
	v_dual_add_f32 v73, v17, v3 :: v_dual_add_f32 v76, v2, v4
	v_min_f32_e32 v2, v15, v22
	v_add_f32_e32 v102, v102, v20
	v_dual_min_f32 v20, v31, v8 :: v_dual_min_f32 v3, v38, v21
	v_min_f32_e32 v4, v18, v21
	s_delay_alu instid0(VALU_DEP_4) | instskip(NEXT) | instid1(VALU_DEP_3)
	v_add_f32_e32 v74, v13, v2
	v_dual_min_f32 v2, v27, v22 :: v_dual_add_f32 v97, v97, v20
	v_min_f32_e32 v20, v10, v7
	s_delay_alu instid0(VALU_DEP_4) | instskip(NEXT) | instid1(VALU_DEP_3)
	v_dual_add_f32 v72, v16, v4 :: v_dual_min_f32 v1, v26, v21
	v_add_f32_e32 v70, v25, v2
	v_min_f32_e32 v2, v39, v22
	s_delay_alu instid0(VALU_DEP_4) | instskip(SKIP_3) | instid1(VALU_DEP_4)
	v_dual_add_f32 v95, v95, v20 :: v_dual_min_f32 v20, v14, v7
	v_min_f32_e32 v4, v43, v22
	v_dual_add_f32 v86, v86, v23 :: v_dual_min_f32 v23, v31, v22
	v_add_f32_e32 v71, v24, v1
	v_add_f32_e32 v91, v91, v20
	s_delay_alu instid0(VALU_DEP_4) | instskip(SKIP_3) | instid1(VALU_DEP_3)
	v_add_f32_e32 v67, v41, v4
	v_min_f32_e32 v20, v27, v8
	v_add_f32_e32 v80, v29, v23
	v_dual_add_f32 v69, v37, v2 :: v_dual_add_f32 v68, v36, v3
	v_dual_add_f32 v87, v87, v20 :: v_dual_min_f32 v20, v38, v7
	v_min_f32_e32 v7, v42, v7
	s_delay_alu instid0(VALU_DEP_2) | instskip(NEXT) | instid1(VALU_DEP_2)
	v_add_f32_e32 v85, v85, v20
	v_dual_add_f32 v82, v5, v7 :: v_dual_min_f32 v5, v30, v21
	v_dual_min_f32 v8, v43, v8 :: v_dual_min_f32 v7, v10, v21
	s_delay_alu instid0(VALU_DEP_2) | instskip(NEXT) | instid1(VALU_DEP_2)
	v_add_f32_e32 v81, v28, v5
	v_dual_add_f32 v83, v6, v8 :: v_dual_min_f32 v6, v11, v22
	v_min_f32_e32 v5, v42, v21
	s_delay_alu instid0(VALU_DEP_2) | instskip(NEXT) | instid1(VALU_DEP_2)
	v_dual_add_f32 v78, v78, v7 :: v_dual_add_f32 v79, v9, v6
	v_add_f32_e32 v66, v40, v5
	s_cbranch_scc1 .LBB31_36
.LBB31_24:                              ; =>This Inner Loop Header: Depth=1
	v_dual_mov_b32 v137, 0 :: v_dual_add_nc_u32 v136, s23, v54
	s_delay_alu instid0(VALU_DEP_1) | instskip(NEXT) | instid1(VALU_DEP_1)
	v_add_nc_u32_e32 v0, 8, v136
	v_cmp_gt_i32_e64 s3, s18, v0
	s_delay_alu instid0(VALU_DEP_1) | instskip(NEXT) | instid1(SALU_CYCLE_1)
	s_and_b32 s3, s22, s3
	s_and_saveexec_b32 s4, s3
	s_cbranch_execz .LBB31_26
; %bb.25:                               ;   in Loop: Header=BB31_24 Depth=1
	v_add_co_u32 v0, s3, v128, v50
	s_delay_alu instid0(VALU_DEP_1)
	v_add_co_ci_u32_e64 v1, s3, v129, v51, s3
	flat_load_b32 v137, v[0:1]
.LBB31_26:                              ;   in Loop: Header=BB31_24 Depth=1
	s_or_b32 exec_lo, exec_lo, s4
	v_dual_mov_b32 v139, 0 :: v_dual_add_nc_u32 v138, s23, v55
	v_mov_b32_e32 v140, 0
	s_delay_alu instid0(VALU_DEP_2) | instskip(NEXT) | instid1(VALU_DEP_1)
	v_add_nc_u32_e32 v0, 8, v138
	v_cmp_le_i32_e64 s3, s18, v0
	s_delay_alu instid0(VALU_DEP_1) | instskip(NEXT) | instid1(SALU_CYCLE_1)
	s_or_b32 s4, vcc_lo, s3
	s_xor_b32 s4, s4, -1
	s_delay_alu instid0(SALU_CYCLE_1)
	s_and_saveexec_b32 s13, s4
	s_cbranch_execz .LBB31_28
; %bb.27:                               ;   in Loop: Header=BB31_24 Depth=1
	v_add_co_u32 v0, s4, v132, v56
	s_delay_alu instid0(VALU_DEP_1)
	v_add_co_ci_u32_e64 v1, s4, 0, v133, s4
	flat_load_b32 v140, v[0:1] offset:32
.LBB31_28:                              ;   in Loop: Header=BB31_24 Depth=1
	s_or_b32 exec_lo, exec_lo, s13
	s_or_b32 s3, s2, s3
	s_delay_alu instid0(SALU_CYCLE_1) | instskip(NEXT) | instid1(SALU_CYCLE_1)
	s_xor_b32 s3, s3, -1
	s_and_saveexec_b32 s4, s3
	s_cbranch_execz .LBB31_30
; %bb.29:                               ;   in Loop: Header=BB31_24 Depth=1
	v_add_co_u32 v0, s3, v134, v56
	s_delay_alu instid0(VALU_DEP_1)
	v_add_co_ci_u32_e64 v1, s3, 0, v135, s3
	flat_load_b32 v139, v[0:1] offset:32
.LBB31_30:                              ;   in Loop: Header=BB31_24 Depth=1
	s_or_b32 exec_lo, exec_lo, s4
	ds_load_b128 v[40:43], v130
	ds_load_b128 v[36:39], v130 offset:128
	ds_load_b128 v[32:35], v130 offset:256
	ds_load_b128 v[28:31], v130 offset:384
	ds_load_b128 v[24:27], v130 offset:512
	ds_load_b128 v[20:23], v130 offset:640
	ds_load_b128 v[16:19], v130 offset:768
	ds_load_b128 v[12:15], v130 offset:896
	ds_load_b128 v[44:47], v131
	ds_load_b128 v[8:11], v131 offset:512
	ds_load_b128 v[4:7], v131 offset:1024
	;; [unrolled: 1-line block ×3, first 2 shown]
	v_add_nc_u32_e32 v136, 12, v136
	s_waitcnt vmcnt(0) lgkmcnt(12)
	ds_store_b32 v101, v137
	ds_store_2addr_stride64_b32 v59, v140, v139 offset1:4
	v_mov_b32_e32 v137, 0
	s_waitcnt lgkmcnt(0)
	s_barrier
	v_cmp_gt_i32_e64 s3, s18, v136
	v_mov_b32_e32 v136, 0
	buffer_gl0_inv
	s_and_b32 s3, s22, s3
	s_delay_alu instid0(SALU_CYCLE_1)
	s_and_saveexec_b32 s4, s3
	s_cbranch_execz .LBB31_32
; %bb.31:                               ;   in Loop: Header=BB31_24 Depth=1
	v_add_co_u32 v139, s3, v128, v48
	s_delay_alu instid0(VALU_DEP_1)
	v_add_co_ci_u32_e64 v140, s3, v129, v49, s3
	flat_load_b32 v137, v[139:140]
.LBB31_32:                              ;   in Loop: Header=BB31_24 Depth=1
	s_or_b32 exec_lo, exec_lo, s4
	v_add_nc_u32_e32 v138, 12, v138
	s_delay_alu instid0(VALU_DEP_1) | instskip(NEXT) | instid1(VALU_DEP_1)
	v_cmp_le_i32_e64 s3, s18, v138
	s_or_b32 s4, vcc_lo, s3
	s_delay_alu instid0(SALU_CYCLE_1) | instskip(NEXT) | instid1(SALU_CYCLE_1)
	s_xor_b32 s4, s4, -1
	s_and_saveexec_b32 s13, s4
	s_cbranch_execz .LBB31_34
; %bb.33:                               ;   in Loop: Header=BB31_24 Depth=1
	v_add_co_u32 v138, s4, v132, v56
	s_delay_alu instid0(VALU_DEP_1)
	v_add_co_ci_u32_e64 v139, s4, 0, v133, s4
	flat_load_b32 v136, v[138:139] offset:48
.LBB31_34:                              ;   in Loop: Header=BB31_24 Depth=1
	s_or_b32 exec_lo, exec_lo, s13
	v_dual_max_f32 v44, v44, v44 :: v_dual_max_f32 v45, v45, v45
	v_dual_max_f32 v173, v20, v20 :: v_dual_max_f32 v174, v21, v21
	v_max_f32_e32 v175, v16, v16
	v_dual_max_f32 v163, v40, v40 :: v_dual_max_f32 v164, v41, v41
	v_dual_max_f32 v165, v36, v36 :: v_dual_max_f32 v166, v37, v37
	;; [unrolled: 1-line block ×5, first 2 shown]
	v_dual_min_f32 v24, v174, v45 :: v_dual_min_f32 v25, v175, v44
	v_dual_max_f32 v176, v17, v17 :: v_dual_max_f32 v177, v12, v12
	v_dual_max_f32 v178, v13, v13 :: v_dual_max_f32 v147, v8, v8
	;; [unrolled: 1-line block ×3, first 2 shown]
	v_max_f32_e32 v162, v5, v5
	v_dual_max_f32 v0, v0, v0 :: v_dual_max_f32 v179, v1, v1
	v_dual_max_f32 v180, v46, v46 :: v_dual_max_f32 v181, v47, v47
	;; [unrolled: 1-line block ×3, first 2 shown]
	v_dual_min_f32 v36, v163, v44 :: v_dual_min_f32 v37, v170, v45
	v_dual_min_f32 v40, v164, v45 :: v_dual_min_f32 v41, v165, v44
	v_dual_min_f32 v28, v166, v45 :: v_dual_min_f32 v29, v167, v44
	v_dual_min_f32 v32, v168, v45 :: v_dual_min_f32 v33, v169, v44
	v_dual_min_f32 v16, v171, v44 :: v_dual_min_f32 v5, v177, v147
	v_dual_min_f32 v20, v172, v45 :: v_dual_min_f32 v21, v173, v44
	v_dual_min_f32 v8, v176, v45 :: v_dual_min_f32 v9, v177, v44
	v_dual_min_f32 v12, v178, v45 :: v_dual_min_f32 v13, v163, v147
	v_dual_min_f32 v17, v164, v148 :: v_dual_min_f32 v44, v165, v147
	v_dual_min_f32 v45, v166, v148 :: v_dual_min_f32 v138, v167, v147
	v_dual_min_f32 v139, v168, v148 :: v_dual_min_f32 v140, v169, v147
	v_dual_min_f32 v141, v170, v148 :: v_dual_min_f32 v142, v171, v147
	v_dual_min_f32 v143, v172, v148 :: v_dual_min_f32 v144, v173, v147
	v_dual_min_f32 v145, v174, v148 :: v_dual_min_f32 v146, v175, v147
	v_dual_min_f32 v4, v176, v148 :: v_dual_min_f32 v151, v166, v162
	v_dual_min_f32 v147, v178, v148 :: v_dual_min_f32 v148, v163, v161
	v_dual_min_f32 v149, v164, v162 :: v_dual_min_f32 v150, v165, v161
	v_dual_min_f32 v152, v167, v161 :: v_dual_min_f32 v153, v168, v162
	v_dual_min_f32 v154, v169, v161 :: v_dual_min_f32 v155, v170, v162
	v_dual_min_f32 v156, v171, v161 :: v_dual_min_f32 v157, v172, v162
	v_dual_min_f32 v158, v173, v161 :: v_dual_min_f32 v159, v174, v162
	v_dual_min_f32 v160, v175, v161 :: v_dual_min_f32 v1, v176, v162
	v_dual_min_f32 v161, v177, v161 :: v_dual_min_f32 v162, v178, v162
	v_dual_min_f32 v163, v163, v0 :: v_dual_min_f32 v164, v164, v179
	v_dual_min_f32 v165, v165, v0 :: v_dual_min_f32 v166, v166, v179
	v_dual_min_f32 v167, v167, v0 :: v_dual_min_f32 v168, v168, v179
	v_dual_min_f32 v169, v169, v0 :: v_dual_min_f32 v170, v170, v179
	v_dual_min_f32 v171, v171, v0 :: v_dual_min_f32 v172, v172, v179
	v_dual_min_f32 v173, v173, v0 :: v_dual_min_f32 v174, v174, v179
	v_dual_min_f32 v175, v175, v0 :: v_dual_min_f32 v176, v176, v179
	v_dual_max_f32 v213, v42, v42 :: v_dual_max_f32 v214, v43, v43
	v_dual_max_f32 v218, v38, v38 :: v_dual_min_f32 v43, v177, v0
	v_dual_max_f32 v0, v39, v39 :: v_dual_max_f32 v177, v34, v34
	v_dual_min_f32 v31, v220, v180 :: v_dual_max_f32 v222, v26, v26
	v_dual_min_f32 v39, v221, v181 :: v_dual_max_f32 v224, v22, v22
	s_delay_alu instid0(VALU_DEP_4) | instskip(NEXT) | instid1(VALU_DEP_4)
	v_dual_min_f32 v42, v218, v180 :: v_dual_max_f32 v219, v35, v35
	v_dual_min_f32 v34, v0, v181 :: v_dual_max_f32 v223, v27, v27
	;; [unrolled: 1-line block ×3, first 2 shown]
	v_max_f32_e32 v226, v18, v18
	v_dual_min_f32 v18, v222, v180 :: v_dual_max_f32 v19, v19, v19
	v_dual_min_f32 v22, v224, v180 :: v_dual_max_f32 v227, v14, v14
	v_dual_max_f32 v10, v10, v10 :: v_dual_max_f32 v11, v11, v11
	v_max_f32_e32 v228, v15, v15
	v_dual_min_f32 v46, v178, v179 :: v_dual_min_f32 v35, v219, v181
	v_dual_min_f32 v38, v213, v180 :: v_dual_min_f32 v47, v214, v181
	v_min_f32_e32 v179, v225, v181
	v_dual_min_f32 v178, v223, v181 :: v_dual_min_f32 v23, v226, v180
	v_dual_min_f32 v188, v19, v181 :: v_dual_min_f32 v191, v0, v11
	;; [unrolled: 1-line block ×3, first 2 shown]
	v_min_f32_e32 v181, v213, v10
	v_dual_min_f32 v186, v224, v10 :: v_dual_max_f32 v7, v7, v7
	v_dual_max_f32 v6, v6, v6 :: v_dual_min_f32 v205, v228, v11
	v_dual_max_f32 v229, v2, v2 :: v_dual_max_f32 v230, v3, v3
	v_dual_min_f32 v190, v214, v11 :: v_dual_min_f32 v183, v177, v10
	v_dual_min_f32 v182, v218, v10 :: v_dual_min_f32 v193, v221, v11
	;; [unrolled: 1-line block ×22, first 2 shown]
	v_mov_b32_e32 v0, 0
	s_or_b32 s3, s2, s3
	s_delay_alu instid0(SALU_CYCLE_1) | instskip(NEXT) | instid1(SALU_CYCLE_1)
	s_xor_b32 s3, s3, -1
	s_and_saveexec_b32 s4, s3
	s_cbranch_execz .LBB31_23
; %bb.35:                               ;   in Loop: Header=BB31_24 Depth=1
	v_add_co_u32 v219, s3, v134, v56
	s_delay_alu instid0(VALU_DEP_1)
	v_add_co_ci_u32_e64 v220, s3, 0, v135, s3
	flat_load_b32 v0, v[219:220] offset:48
	s_branch .LBB31_23
.LBB31_36:
	s_clause 0x2
	s_load_b32 s12, s[0:1], 0x50
	s_load_b32 s9, s[0:1], 0x68
	s_load_b64 s[0:1], s[0:1], 0x70
	v_add_nc_u32_e32 v117, s14, v53
	ds_load_b128 v[32:35], v58 offset:5120
	ds_load_b128 v[28:31], v58 offset:5248
	;; [unrolled: 1-line block ×12, first 2 shown]
	v_add_nc_u32_e32 v48, s5, v52
	v_cmp_gt_i32_e64 s8, s17, v117
	v_cndmask_b32_e64 v101, 0, 1, s19
	s_waitcnt lgkmcnt(0)
	v_mad_i64_i32 v[49:50], null, v117, s12, 0
	v_mad_i64_i32 v[53:54], null, v117, s9, 0
	s_lshl_b64 s[0:1], s[0:1], 2
	s_delay_alu instid0(SALU_CYCLE_1) | instskip(SKIP_1) | instid1(VALU_DEP_2)
	s_add_u32 s13, s6, s0
	s_addc_u32 s14, s7, s1
	v_lshlrev_b64 v[49:50], 2, v[49:50]
	v_cmp_gt_i32_e64 s0, s16, v48
	s_delay_alu instid0(VALU_DEP_3) | instskip(NEXT) | instid1(VALU_DEP_2)
	v_lshlrev_b64 v[51:52], 2, v[53:54]
	s_and_b32 s2, s0, s8
	s_delay_alu instid0(VALU_DEP_3) | instskip(NEXT) | instid1(VALU_DEP_4)
	v_add_co_u32 v128, vcc_lo, s10, v49
	v_add_co_ci_u32_e32 v129, vcc_lo, s11, v50, vcc_lo
	s_delay_alu instid0(VALU_DEP_3) | instskip(NEXT) | instid1(VALU_DEP_4)
	v_add_co_u32 v126, vcc_lo, s13, v51
	v_add_co_ci_u32_e32 v127, vcc_lo, s14, v52, vcc_lo
	v_ashrrev_i32_e32 v49, 31, v48
	s_and_saveexec_b32 s1, s2
	s_cbranch_execz .LBB31_41
; %bb.37:
	s_delay_alu instid0(VALU_DEP_1)
	v_lshlrev_b64 v[50:51], 2, v[48:49]
	s_and_not1_b32 vcc_lo, exec_lo, s19
	s_cbranch_vccnz .LBB31_39
; %bb.38:
	s_delay_alu instid0(VALU_DEP_1) | instskip(NEXT) | instid1(VALU_DEP_2)
	v_add_co_u32 v52, vcc_lo, v128, v50
	v_add_co_ci_u32_e32 v53, vcc_lo, v129, v51, vcc_lo
	flat_load_b32 v52, v[52:53]
	s_waitcnt vmcnt(0) lgkmcnt(0)
	v_mul_f32_e32 v52, s15, v52
	s_branch .LBB31_40
.LBB31_39:
	v_mov_b32_e32 v52, 0
.LBB31_40:
	v_dual_max_f32 v53, v45, v45 :: v_dual_max_f32 v56, v32, v32
	v_dual_max_f32 v54, v33, v33 :: v_dual_max_f32 v55, v44, v44
	;; [unrolled: 1-line block ×3, first 2 shown]
	v_max_f32_e32 v59, v35, v35
	s_delay_alu instid0(VALU_DEP_3) | instskip(NEXT) | instid1(VALU_DEP_4)
	v_min_f32_e32 v53, v54, v53
	v_dual_max_f32 v54, v34, v34 :: v_dual_min_f32 v55, v56, v55
	v_add_co_u32 v50, vcc_lo, v126, v50
	v_add_co_ci_u32_e32 v51, vcc_lo, v127, v51, vcc_lo
	s_delay_alu instid0(VALU_DEP_3) | instskip(NEXT) | instid1(VALU_DEP_4)
	v_min_f32_e32 v54, v54, v57
	v_dual_min_f32 v56, v59, v58 :: v_dual_add_f32 v55, v124, v55
	s_delay_alu instid0(VALU_DEP_1) | instskip(NEXT) | instid1(VALU_DEP_1)
	v_dual_add_f32 v53, v125, v53 :: v_dual_add_f32 v54, v55, v54
	v_add_f32_e32 v53, v53, v56
	s_delay_alu instid0(VALU_DEP_1) | instskip(NEXT) | instid1(VALU_DEP_1)
	v_add_f32_e32 v53, v54, v53
	v_add_f32_e32 v52, v53, v52
	global_store_b32 v[50:51], v52, off
.LBB31_41:
	s_or_b32 exec_lo, exec_lo, s1
	v_add_nc_u32_e32 v50, 8, v48
	s_delay_alu instid0(VALU_DEP_1) | instskip(SKIP_1) | instid1(VALU_DEP_2)
	v_cmp_gt_i32_e64 s1, s16, v50
	v_ashrrev_i32_e32 v51, 31, v50
	s_and_b32 s3, s1, s8
	s_delay_alu instid0(SALU_CYCLE_1)
	s_and_saveexec_b32 s2, s3
	s_cbranch_execz .LBB31_46
; %bb.42:
	v_cmp_ne_u32_e32 vcc_lo, 1, v101
	v_lshlrev_b64 v[52:53], 2, v[50:51]
	s_cbranch_vccnz .LBB31_44
; %bb.43:
	s_delay_alu instid0(VALU_DEP_1) | instskip(NEXT) | instid1(VALU_DEP_2)
	v_add_co_u32 v54, vcc_lo, v128, v52
	v_add_co_ci_u32_e32 v55, vcc_lo, v129, v53, vcc_lo
	flat_load_b32 v54, v[54:55]
	s_waitcnt vmcnt(0) lgkmcnt(0)
	v_mul_f32_e32 v54, s15, v54
	s_branch .LBB31_45
.LBB31_44:
	v_mov_b32_e32 v54, 0
.LBB31_45:
	v_dual_max_f32 v55, v45, v45 :: v_dual_max_f32 v58, v28, v28
	v_dual_max_f32 v56, v29, v29 :: v_dual_max_f32 v57, v44, v44
	;; [unrolled: 1-line block ×3, first 2 shown]
	v_add_co_u32 v52, vcc_lo, v126, v52
	s_delay_alu instid0(VALU_DEP_3) | instskip(NEXT) | instid1(VALU_DEP_4)
	v_dual_min_f32 v55, v56, v55 :: v_dual_max_f32 v56, v30, v30
	v_min_f32_e32 v57, v58, v57
	v_add_co_ci_u32_e32 v53, vcc_lo, v127, v53, vcc_lo
	s_delay_alu instid0(VALU_DEP_2) | instskip(NEXT) | instid1(VALU_DEP_1)
	v_dual_min_f32 v56, v56, v59 :: v_dual_add_f32 v57, v123, v57
	v_dual_max_f32 v125, v31, v31 :: v_dual_add_f32 v56, v57, v56
	s_delay_alu instid0(VALU_DEP_1) | instskip(NEXT) | instid1(VALU_DEP_1)
	v_dual_add_f32 v55, v122, v55 :: v_dual_min_f32 v58, v125, v124
	v_add_f32_e32 v55, v55, v58
	s_delay_alu instid0(VALU_DEP_1) | instskip(NEXT) | instid1(VALU_DEP_1)
	v_add_f32_e32 v55, v56, v55
	v_add_f32_e32 v54, v55, v54
	global_store_b32 v[52:53], v54, off
.LBB31_46:
	s_or_b32 exec_lo, exec_lo, s2
	v_add_nc_u32_e32 v52, 16, v48
	s_delay_alu instid0(VALU_DEP_1) | instskip(SKIP_1) | instid1(VALU_DEP_2)
	v_cmp_gt_i32_e64 s2, s16, v52
	v_ashrrev_i32_e32 v53, 31, v52
	s_and_b32 s4, s2, s8
	s_delay_alu instid0(SALU_CYCLE_1)
	s_and_saveexec_b32 s3, s4
	s_cbranch_execz .LBB31_51
; %bb.47:
	v_cmp_ne_u32_e32 vcc_lo, 1, v101
	v_lshlrev_b64 v[54:55], 2, v[52:53]
	s_cbranch_vccnz .LBB31_49
; %bb.48:
	s_delay_alu instid0(VALU_DEP_1) | instskip(NEXT) | instid1(VALU_DEP_2)
	v_add_co_u32 v56, vcc_lo, v128, v54
	v_add_co_ci_u32_e32 v57, vcc_lo, v129, v55, vcc_lo
	flat_load_b32 v56, v[56:57]
	s_waitcnt vmcnt(0) lgkmcnt(0)
	v_mul_f32_e32 v56, s15, v56
	s_branch .LBB31_50
.LBB31_49:
	v_mov_b32_e32 v56, 0
.LBB31_50:
	v_dual_max_f32 v57, v45, v45 :: v_dual_max_f32 v122, v24, v24
	v_dual_max_f32 v58, v25, v25 :: v_dual_max_f32 v59, v44, v44
	;; [unrolled: 1-line block ×3, first 2 shown]
	v_max_f32_e32 v125, v27, v27
	s_delay_alu instid0(VALU_DEP_3) | instskip(SKIP_3) | instid1(VALU_DEP_4)
	v_min_f32_e32 v57, v58, v57
	v_max_f32_e32 v58, v26, v26
	v_min_f32_e32 v59, v122, v59
	v_add_co_u32 v54, vcc_lo, v126, v54
	v_dual_add_f32 v57, v120, v57 :: v_dual_min_f32 v120, v125, v124
	s_delay_alu instid0(VALU_DEP_4) | instskip(NEXT) | instid1(VALU_DEP_4)
	v_min_f32_e32 v58, v58, v123
	v_add_f32_e32 v59, v121, v59
	v_add_co_ci_u32_e32 v55, vcc_lo, v127, v55, vcc_lo
	s_delay_alu instid0(VALU_DEP_2) | instskip(NEXT) | instid1(VALU_DEP_1)
	v_dual_add_f32 v57, v57, v120 :: v_dual_add_f32 v58, v59, v58
	v_add_f32_e32 v57, v58, v57
	s_delay_alu instid0(VALU_DEP_1)
	v_add_f32_e32 v56, v57, v56
	global_store_b32 v[54:55], v56, off
.LBB31_51:
	s_or_b32 exec_lo, exec_lo, s3
	v_add_nc_u32_e32 v54, 24, v48
	s_delay_alu instid0(VALU_DEP_1) | instskip(SKIP_1) | instid1(VALU_DEP_2)
	v_cmp_gt_i32_e64 s3, s16, v54
	v_ashrrev_i32_e32 v55, 31, v54
	s_and_b32 s5, s3, s8
	s_delay_alu instid0(SALU_CYCLE_1)
	s_and_saveexec_b32 s4, s5
	s_cbranch_execz .LBB31_56
; %bb.52:
	v_cmp_ne_u32_e32 vcc_lo, 1, v101
	v_lshlrev_b64 v[56:57], 2, v[54:55]
	s_cbranch_vccnz .LBB31_54
; %bb.53:
	s_delay_alu instid0(VALU_DEP_1) | instskip(NEXT) | instid1(VALU_DEP_2)
	v_add_co_u32 v58, vcc_lo, v128, v56
	v_add_co_ci_u32_e32 v59, vcc_lo, v129, v57, vcc_lo
	flat_load_b32 v58, v[58:59]
	s_waitcnt vmcnt(0) lgkmcnt(0)
	v_mul_f32_e32 v58, s15, v58
	s_branch .LBB31_55
.LBB31_54:
	v_mov_b32_e32 v58, 0
.LBB31_55:
	v_dual_max_f32 v59, v45, v45 :: v_dual_max_f32 v122, v20, v20
	v_dual_max_f32 v120, v21, v21 :: v_dual_max_f32 v121, v44, v44
	;; [unrolled: 1-line block ×3, first 2 shown]
	v_max_f32_e32 v125, v23, v23
	s_delay_alu instid0(VALU_DEP_3) | instskip(NEXT) | instid1(VALU_DEP_4)
	v_dual_min_f32 v59, v120, v59 :: v_dual_max_f32 v120, v22, v22
	v_min_f32_e32 v121, v122, v121
	v_add_co_u32 v56, vcc_lo, v126, v56
	s_delay_alu instid0(VALU_DEP_3) | instskip(NEXT) | instid1(VALU_DEP_4)
	v_add_f32_e32 v59, v118, v59
	v_min_f32_e32 v118, v120, v123
	s_delay_alu instid0(VALU_DEP_4) | instskip(SKIP_1) | instid1(VALU_DEP_2)
	v_dual_min_f32 v120, v125, v124 :: v_dual_add_f32 v119, v119, v121
	v_add_co_ci_u32_e32 v57, vcc_lo, v127, v57, vcc_lo
	v_add_f32_e32 v59, v59, v120
	s_delay_alu instid0(VALU_DEP_3) | instskip(NEXT) | instid1(VALU_DEP_1)
	v_add_f32_e32 v118, v119, v118
	v_add_f32_e32 v59, v118, v59
	s_delay_alu instid0(VALU_DEP_1)
	v_add_f32_e32 v58, v59, v58
	global_store_b32 v[56:57], v58, off
.LBB31_56:
	s_or_b32 exec_lo, exec_lo, s4
	v_add_nc_u32_e32 v56, 32, v48
	s_delay_alu instid0(VALU_DEP_1) | instskip(SKIP_1) | instid1(VALU_DEP_2)
	v_cmp_gt_i32_e64 s4, s16, v56
	v_ashrrev_i32_e32 v57, 31, v56
	s_and_b32 s6, s4, s8
	s_delay_alu instid0(SALU_CYCLE_1)
	s_and_saveexec_b32 s5, s6
	s_cbranch_execz .LBB31_61
; %bb.57:
	v_cmp_ne_u32_e32 vcc_lo, 1, v101
	v_lshlrev_b64 v[58:59], 2, v[56:57]
	s_cbranch_vccnz .LBB31_59
; %bb.58:
	s_delay_alu instid0(VALU_DEP_1) | instskip(NEXT) | instid1(VALU_DEP_2)
	v_add_co_u32 v118, vcc_lo, v128, v58
	v_add_co_ci_u32_e32 v119, vcc_lo, v129, v59, vcc_lo
	flat_load_b32 v118, v[118:119]
	s_waitcnt vmcnt(0) lgkmcnt(0)
	v_mul_f32_e32 v118, s15, v118
	s_branch .LBB31_60
.LBB31_59:
	v_mov_b32_e32 v118, 0
.LBB31_60:
	v_dual_max_f32 v119, v45, v45 :: v_dual_max_f32 v122, v16, v16
	v_dual_max_f32 v120, v17, v17 :: v_dual_max_f32 v121, v44, v44
	;; [unrolled: 1-line block ×3, first 2 shown]
	v_add_co_u32 v58, vcc_lo, v126, v58
	s_delay_alu instid0(VALU_DEP_3) | instskip(NEXT) | instid1(VALU_DEP_4)
	v_dual_min_f32 v119, v120, v119 :: v_dual_max_f32 v120, v18, v18
	v_min_f32_e32 v121, v122, v121
	v_add_co_ci_u32_e32 v59, vcc_lo, v127, v59, vcc_lo
	s_delay_alu instid0(VALU_DEP_3) | instskip(SKIP_3) | instid1(VALU_DEP_3)
	v_add_f32_e32 v60, v60, v119
	v_max_f32_e32 v125, v19, v19
	v_min_f32_e32 v119, v120, v123
	v_add_f32_e32 v61, v61, v121
	v_min_f32_e32 v120, v125, v124
	s_delay_alu instid0(VALU_DEP_1) | instskip(NEXT) | instid1(VALU_DEP_1)
	v_dual_add_f32 v61, v61, v119 :: v_dual_add_f32 v60, v60, v120
	v_add_f32_e32 v60, v61, v60
	s_delay_alu instid0(VALU_DEP_1)
	v_add_f32_e32 v60, v60, v118
	global_store_b32 v[58:59], v60, off
.LBB31_61:
	s_or_b32 exec_lo, exec_lo, s5
	v_add_nc_u32_e32 v58, 40, v48
	s_delay_alu instid0(VALU_DEP_1) | instskip(SKIP_1) | instid1(VALU_DEP_2)
	v_cmp_gt_i32_e64 s5, s16, v58
	v_ashrrev_i32_e32 v59, 31, v58
	s_and_b32 s7, s5, s8
	s_delay_alu instid0(SALU_CYCLE_1)
	s_and_saveexec_b32 s6, s7
	s_cbranch_execz .LBB31_66
; %bb.62:
	v_cmp_ne_u32_e32 vcc_lo, 1, v101
	v_lshlrev_b64 v[60:61], 2, v[58:59]
	s_cbranch_vccnz .LBB31_64
; %bb.63:
	s_delay_alu instid0(VALU_DEP_1) | instskip(NEXT) | instid1(VALU_DEP_2)
	v_add_co_u32 v118, vcc_lo, v128, v60
	v_add_co_ci_u32_e32 v119, vcc_lo, v129, v61, vcc_lo
	flat_load_b32 v118, v[118:119]
	s_waitcnt vmcnt(0) lgkmcnt(0)
	v_mul_f32_e32 v118, s15, v118
	s_branch .LBB31_65
.LBB31_64:
	v_mov_b32_e32 v118, 0
.LBB31_65:
	v_dual_max_f32 v119, v45, v45 :: v_dual_max_f32 v122, v12, v12
	v_dual_max_f32 v120, v13, v13 :: v_dual_max_f32 v121, v44, v44
	;; [unrolled: 1-line block ×3, first 2 shown]
	v_add_co_u32 v60, vcc_lo, v126, v60
	s_delay_alu instid0(VALU_DEP_3) | instskip(NEXT) | instid1(VALU_DEP_4)
	v_dual_min_f32 v119, v120, v119 :: v_dual_max_f32 v120, v14, v14
	v_min_f32_e32 v121, v122, v121
	v_max_f32_e32 v125, v15, v15
	v_add_co_ci_u32_e32 v61, vcc_lo, v127, v61, vcc_lo
	s_delay_alu instid0(VALU_DEP_4) | instskip(NEXT) | instid1(VALU_DEP_4)
	v_add_f32_e32 v63, v63, v119
	v_dual_min_f32 v119, v120, v123 :: v_dual_add_f32 v62, v62, v121
	s_delay_alu instid0(VALU_DEP_4) | instskip(NEXT) | instid1(VALU_DEP_1)
	v_min_f32_e32 v120, v125, v124
	v_dual_add_f32 v62, v62, v119 :: v_dual_add_f32 v63, v63, v120
	s_delay_alu instid0(VALU_DEP_1) | instskip(NEXT) | instid1(VALU_DEP_1)
	v_add_f32_e32 v62, v62, v63
	v_add_f32_e32 v62, v62, v118
	global_store_b32 v[60:61], v62, off
.LBB31_66:
	s_or_b32 exec_lo, exec_lo, s6
	v_add_nc_u32_e32 v60, 48, v48
	s_delay_alu instid0(VALU_DEP_1) | instskip(SKIP_1) | instid1(VALU_DEP_2)
	v_cmp_gt_i32_e64 s6, s16, v60
	v_ashrrev_i32_e32 v61, 31, v60
	s_and_b32 s18, s6, s8
	s_delay_alu instid0(SALU_CYCLE_1)
	s_and_saveexec_b32 s7, s18
	s_cbranch_execz .LBB31_71
; %bb.67:
	v_cmp_ne_u32_e32 vcc_lo, 1, v101
	v_lshlrev_b64 v[62:63], 2, v[60:61]
	s_cbranch_vccnz .LBB31_69
; %bb.68:
	s_delay_alu instid0(VALU_DEP_1) | instskip(NEXT) | instid1(VALU_DEP_2)
	v_add_co_u32 v118, vcc_lo, v128, v62
	v_add_co_ci_u32_e32 v119, vcc_lo, v129, v63, vcc_lo
	flat_load_b32 v118, v[118:119]
	s_waitcnt vmcnt(0) lgkmcnt(0)
	v_mul_f32_e32 v118, s15, v118
	s_branch .LBB31_70
.LBB31_69:
	v_mov_b32_e32 v118, 0
.LBB31_70:
	v_dual_max_f32 v119, v45, v45 :: v_dual_max_f32 v122, v8, v8
	v_dual_max_f32 v120, v9, v9 :: v_dual_max_f32 v121, v44, v44
	;; [unrolled: 1-line block ×3, first 2 shown]
	v_add_co_u32 v62, vcc_lo, v126, v62
	s_delay_alu instid0(VALU_DEP_3) | instskip(NEXT) | instid1(VALU_DEP_4)
	v_dual_min_f32 v119, v120, v119 :: v_dual_max_f32 v120, v10, v10
	v_min_f32_e32 v121, v122, v121
	v_add_co_ci_u32_e32 v63, vcc_lo, v127, v63, vcc_lo
	s_delay_alu instid0(VALU_DEP_3) | instskip(SKIP_3) | instid1(VALU_DEP_3)
	v_add_f32_e32 v64, v64, v119
	v_max_f32_e32 v125, v11, v11
	v_min_f32_e32 v119, v120, v123
	v_add_f32_e32 v65, v65, v121
	v_min_f32_e32 v120, v125, v124
	s_delay_alu instid0(VALU_DEP_1) | instskip(NEXT) | instid1(VALU_DEP_1)
	v_dual_add_f32 v65, v65, v119 :: v_dual_add_f32 v64, v64, v120
	v_add_f32_e32 v64, v65, v64
	s_delay_alu instid0(VALU_DEP_1)
	v_add_f32_e32 v64, v64, v118
	global_store_b32 v[62:63], v64, off
.LBB31_71:
	s_or_b32 exec_lo, exec_lo, s7
	v_add_nc_u32_e32 v62, 56, v48
	s_delay_alu instid0(VALU_DEP_1) | instskip(SKIP_1) | instid1(VALU_DEP_2)
	v_cmp_gt_i32_e64 s7, s16, v62
	v_ashrrev_i32_e32 v63, 31, v62
	s_and_b32 s16, s7, s8
	s_delay_alu instid0(SALU_CYCLE_1)
	s_and_saveexec_b32 s8, s16
	s_cbranch_execz .LBB31_76
; %bb.72:
	v_cmp_ne_u32_e32 vcc_lo, 1, v101
	v_lshlrev_b64 v[64:65], 2, v[62:63]
	s_cbranch_vccnz .LBB31_74
; %bb.73:
	s_delay_alu instid0(VALU_DEP_1) | instskip(NEXT) | instid1(VALU_DEP_2)
	v_add_co_u32 v118, vcc_lo, v128, v64
	v_add_co_ci_u32_e32 v119, vcc_lo, v129, v65, vcc_lo
	flat_load_b32 v118, v[118:119]
	s_waitcnt vmcnt(0) lgkmcnt(0)
	v_mul_f32_e32 v118, s15, v118
	s_branch .LBB31_75
.LBB31_74:
	v_mov_b32_e32 v118, 0
.LBB31_75:
	v_dual_max_f32 v45, v45, v45 :: v_dual_max_f32 v44, v44, v44
	v_dual_max_f32 v119, v1, v1 :: v_dual_max_f32 v120, v0, v0
	s_delay_alu instid0(VALU_DEP_1) | instskip(NEXT) | instid1(VALU_DEP_2)
	v_dual_max_f32 v46, v46, v46 :: v_dual_min_f32 v45, v119, v45
	v_dual_max_f32 v119, v2, v2 :: v_dual_min_f32 v44, v120, v44
	v_max_f32_e32 v47, v47, v47
	s_delay_alu instid0(VALU_DEP_2) | instskip(NEXT) | instid1(VALU_DEP_3)
	v_dual_add_f32 v45, v115, v45 :: v_dual_add_f32 v44, v116, v44
	v_min_f32_e32 v46, v119, v46
	s_delay_alu instid0(VALU_DEP_1) | instskip(NEXT) | instid1(VALU_DEP_1)
	v_dual_max_f32 v121, v3, v3 :: v_dual_add_f32 v44, v44, v46
	v_min_f32_e32 v47, v121, v47
	s_delay_alu instid0(VALU_DEP_1) | instskip(NEXT) | instid1(VALU_DEP_1)
	v_add_f32_e32 v45, v45, v47
	v_add_f32_e32 v44, v44, v45
	s_delay_alu instid0(VALU_DEP_1)
	v_add_f32_e32 v46, v44, v118
	v_add_co_u32 v44, vcc_lo, v126, v64
	v_add_co_ci_u32_e32 v45, vcc_lo, v127, v65, vcc_lo
	global_store_b32 v[44:45], v46, off
.LBB31_76:
	s_or_b32 exec_lo, exec_lo, s8
	v_add_nc_u32_e32 v64, 32, v117
	s_delay_alu instid0(VALU_DEP_1) | instskip(SKIP_2) | instid1(VALU_DEP_3)
	v_mad_i64_i32 v[44:45], null, v64, s12, 0
	v_mad_i64_i32 v[46:47], null, v64, s9, 0
	v_cmp_gt_i32_e64 s8, s17, v64
	v_lshlrev_b64 v[44:45], 2, v[44:45]
	s_delay_alu instid0(VALU_DEP_2) | instskip(NEXT) | instid1(VALU_DEP_3)
	s_and_b32 s18, s0, s8
	v_lshlrev_b64 v[46:47], 2, v[46:47]
	s_delay_alu instid0(VALU_DEP_2) | instskip(NEXT) | instid1(VALU_DEP_3)
	v_add_co_u32 v64, vcc_lo, s10, v44
	v_add_co_ci_u32_e32 v65, vcc_lo, s11, v45, vcc_lo
	s_delay_alu instid0(VALU_DEP_3) | instskip(NEXT) | instid1(VALU_DEP_4)
	v_add_co_u32 v46, vcc_lo, s13, v46
	v_add_co_ci_u32_e32 v47, vcc_lo, s14, v47, vcc_lo
	s_and_saveexec_b32 s16, s18
	s_cbranch_execnz .LBB31_84
; %bb.77:
	s_or_b32 exec_lo, exec_lo, s16
	s_and_b32 s18, s1, s8
	s_delay_alu instid0(SALU_CYCLE_1)
	s_and_saveexec_b32 s16, s18
	s_cbranch_execnz .LBB31_88
.LBB31_78:
	s_or_b32 exec_lo, exec_lo, s16
	s_and_b32 s18, s2, s8
	s_delay_alu instid0(SALU_CYCLE_1)
	s_and_saveexec_b32 s16, s18
	s_cbranch_execnz .LBB31_92
.LBB31_79:
	s_or_b32 exec_lo, exec_lo, s16
	s_and_b32 s18, s3, s8
	s_delay_alu instid0(SALU_CYCLE_1)
	s_and_saveexec_b32 s16, s18
	s_cbranch_execnz .LBB31_96
.LBB31_80:
	s_or_b32 exec_lo, exec_lo, s16
	s_and_b32 s18, s4, s8
	s_delay_alu instid0(SALU_CYCLE_1)
	s_and_saveexec_b32 s16, s18
	s_cbranch_execnz .LBB31_100
.LBB31_81:
	s_or_b32 exec_lo, exec_lo, s16
	s_and_b32 s18, s5, s8
	s_delay_alu instid0(SALU_CYCLE_1)
	s_and_saveexec_b32 s16, s18
	s_cbranch_execnz .LBB31_104
.LBB31_82:
	s_or_b32 exec_lo, exec_lo, s16
	s_and_b32 s18, s6, s8
	s_delay_alu instid0(SALU_CYCLE_1)
	s_and_saveexec_b32 s16, s18
	s_cbranch_execnz .LBB31_108
.LBB31_83:
	s_or_b32 exec_lo, exec_lo, s16
	s_and_b32 s16, s7, s8
	s_delay_alu instid0(SALU_CYCLE_1)
	s_and_saveexec_b32 s8, s16
	s_cbranch_execnz .LBB31_112
	s_branch .LBB31_116
.LBB31_84:
	v_cmp_ne_u32_e32 vcc_lo, 1, v101
	v_lshlrev_b64 v[44:45], 2, v[48:49]
	s_cbranch_vccnz .LBB31_86
; %bb.85:
	s_delay_alu instid0(VALU_DEP_1) | instskip(NEXT) | instid1(VALU_DEP_2)
	v_add_co_u32 v115, vcc_lo, v64, v44
	v_add_co_ci_u32_e32 v116, vcc_lo, v65, v45, vcc_lo
	flat_load_b32 v115, v[115:116]
	s_waitcnt vmcnt(0) lgkmcnt(0)
	v_mul_f32_e32 v115, s15, v115
	s_branch .LBB31_87
.LBB31_86:
	v_mov_b32_e32 v115, 0
.LBB31_87:
	v_dual_max_f32 v116, v41, v41 :: v_dual_max_f32 v119, v40, v40
	v_dual_max_f32 v118, v33, v33 :: v_dual_max_f32 v121, v42, v42
	;; [unrolled: 1-line block ×3, first 2 shown]
	v_add_co_u32 v44, vcc_lo, v46, v44
	s_delay_alu instid0(VALU_DEP_2) | instskip(SKIP_2) | instid1(VALU_DEP_3)
	v_dual_min_f32 v116, v118, v116 :: v_dual_min_f32 v119, v120, v119
	v_max_f32_e32 v118, v34, v34
	v_add_co_ci_u32_e32 v45, vcc_lo, v47, v45, vcc_lo
	v_dual_add_f32 v114, v114, v116 :: v_dual_add_f32 v113, v113, v119
	s_delay_alu instid0(VALU_DEP_3) | instskip(NEXT) | instid1(VALU_DEP_1)
	v_min_f32_e32 v116, v118, v121
	v_dual_max_f32 v122, v43, v43 :: v_dual_add_f32 v113, v113, v116
	s_delay_alu instid0(VALU_DEP_1) | instskip(NEXT) | instid1(VALU_DEP_1)
	v_min_f32_e32 v118, v123, v122
	v_add_f32_e32 v114, v114, v118
	s_delay_alu instid0(VALU_DEP_1) | instskip(NEXT) | instid1(VALU_DEP_1)
	v_add_f32_e32 v113, v113, v114
	v_add_f32_e32 v113, v113, v115
	global_store_b32 v[44:45], v113, off
	s_or_b32 exec_lo, exec_lo, s16
	s_and_b32 s18, s1, s8
	s_delay_alu instid0(SALU_CYCLE_1)
	s_and_saveexec_b32 s16, s18
	s_cbranch_execz .LBB31_78
.LBB31_88:
	v_cmp_ne_u32_e32 vcc_lo, 1, v101
	v_lshlrev_b64 v[44:45], 2, v[50:51]
	s_cbranch_vccnz .LBB31_90
; %bb.89:
	s_delay_alu instid0(VALU_DEP_1) | instskip(NEXT) | instid1(VALU_DEP_2)
	v_add_co_u32 v113, vcc_lo, v64, v44
	v_add_co_ci_u32_e32 v114, vcc_lo, v65, v45, vcc_lo
	flat_load_b32 v113, v[113:114]
	s_waitcnt vmcnt(0) lgkmcnt(0)
	v_mul_f32_e32 v113, s15, v113
	s_branch .LBB31_91
.LBB31_90:
	v_mov_b32_e32 v113, 0
.LBB31_91:
	v_dual_max_f32 v114, v41, v41 :: v_dual_max_f32 v119, v42, v42
	v_dual_max_f32 v115, v29, v29 :: v_dual_max_f32 v116, v40, v40
	v_max_f32_e32 v118, v28, v28
	v_max_f32_e32 v120, v43, v43
	;; [unrolled: 1-line block ×3, first 2 shown]
	s_delay_alu instid0(VALU_DEP_4) | instskip(SKIP_3) | instid1(VALU_DEP_4)
	v_min_f32_e32 v114, v115, v114
	v_max_f32_e32 v115, v30, v30
	v_min_f32_e32 v116, v118, v116
	v_add_co_u32 v44, vcc_lo, v46, v44
	v_add_f32_e32 v111, v111, v114
	s_delay_alu instid0(VALU_DEP_4) | instskip(NEXT) | instid1(VALU_DEP_4)
	v_min_f32_e32 v114, v115, v119
	v_add_f32_e32 v112, v112, v116
	v_min_f32_e32 v115, v121, v120
	v_add_co_ci_u32_e32 v45, vcc_lo, v47, v45, vcc_lo
	s_delay_alu instid0(VALU_DEP_2) | instskip(NEXT) | instid1(VALU_DEP_1)
	v_dual_add_f32 v112, v112, v114 :: v_dual_add_f32 v111, v111, v115
	v_add_f32_e32 v111, v112, v111
	s_delay_alu instid0(VALU_DEP_1) | instskip(SKIP_3) | instid1(SALU_CYCLE_1)
	v_add_f32_e32 v111, v111, v113
	global_store_b32 v[44:45], v111, off
	s_or_b32 exec_lo, exec_lo, s16
	s_and_b32 s18, s2, s8
	s_and_saveexec_b32 s16, s18
	s_cbranch_execz .LBB31_79
.LBB31_92:
	v_cmp_ne_u32_e32 vcc_lo, 1, v101
	v_lshlrev_b64 v[44:45], 2, v[52:53]
	s_cbranch_vccnz .LBB31_94
; %bb.93:
	s_delay_alu instid0(VALU_DEP_1) | instskip(NEXT) | instid1(VALU_DEP_2)
	v_add_co_u32 v111, vcc_lo, v64, v44
	v_add_co_ci_u32_e32 v112, vcc_lo, v65, v45, vcc_lo
	flat_load_b32 v111, v[111:112]
	s_waitcnt vmcnt(0) lgkmcnt(0)
	v_mul_f32_e32 v111, s15, v111
	s_branch .LBB31_95
.LBB31_94:
	v_mov_b32_e32 v111, 0
.LBB31_95:
	v_dual_max_f32 v112, v41, v41 :: v_dual_max_f32 v115, v24, v24
	v_dual_max_f32 v113, v25, v25 :: v_dual_max_f32 v114, v40, v40
	;; [unrolled: 1-line block ×3, first 2 shown]
	v_add_co_u32 v44, vcc_lo, v46, v44
	s_delay_alu instid0(VALU_DEP_3) | instskip(SKIP_1) | instid1(VALU_DEP_2)
	v_dual_min_f32 v112, v113, v112 :: v_dual_max_f32 v113, v26, v26
	v_add_co_ci_u32_e32 v45, vcc_lo, v47, v45, vcc_lo
	v_add_f32_e32 v110, v110, v112
	s_delay_alu instid0(VALU_DEP_3) | instskip(SKIP_1) | instid1(VALU_DEP_1)
	v_min_f32_e32 v112, v113, v116
	v_min_f32_e32 v114, v115, v114
	v_dual_max_f32 v118, v43, v43 :: v_dual_add_f32 v109, v109, v114
	s_delay_alu instid0(VALU_DEP_1) | instskip(NEXT) | instid1(VALU_DEP_1)
	v_min_f32_e32 v113, v119, v118
	v_dual_add_f32 v109, v109, v112 :: v_dual_add_f32 v110, v110, v113
	s_delay_alu instid0(VALU_DEP_1) | instskip(NEXT) | instid1(VALU_DEP_1)
	v_add_f32_e32 v109, v109, v110
	v_add_f32_e32 v109, v109, v111
	global_store_b32 v[44:45], v109, off
	s_or_b32 exec_lo, exec_lo, s16
	s_and_b32 s18, s3, s8
	s_delay_alu instid0(SALU_CYCLE_1)
	s_and_saveexec_b32 s16, s18
	s_cbranch_execz .LBB31_80
.LBB31_96:
	v_cmp_ne_u32_e32 vcc_lo, 1, v101
	v_lshlrev_b64 v[44:45], 2, v[54:55]
	s_cbranch_vccnz .LBB31_98
; %bb.97:
	s_delay_alu instid0(VALU_DEP_1) | instskip(NEXT) | instid1(VALU_DEP_2)
	v_add_co_u32 v109, vcc_lo, v64, v44
	v_add_co_ci_u32_e32 v110, vcc_lo, v65, v45, vcc_lo
	flat_load_b32 v109, v[109:110]
	s_waitcnt vmcnt(0) lgkmcnt(0)
	v_mul_f32_e32 v109, s15, v109
	s_branch .LBB31_99
.LBB31_98:
	v_mov_b32_e32 v109, 0
.LBB31_99:
	v_dual_max_f32 v110, v41, v41 :: v_dual_max_f32 v113, v20, v20
	v_dual_max_f32 v111, v21, v21 :: v_dual_max_f32 v112, v40, v40
	;; [unrolled: 1-line block ×3, first 2 shown]
	v_max_f32_e32 v116, v23, v23
	s_delay_alu instid0(VALU_DEP_3) | instskip(NEXT) | instid1(VALU_DEP_4)
	v_min_f32_e32 v110, v111, v110
	v_dual_max_f32 v111, v22, v22 :: v_dual_min_f32 v112, v113, v112
	v_add_co_u32 v44, vcc_lo, v46, v44
	s_delay_alu instid0(VALU_DEP_3) | instskip(NEXT) | instid1(VALU_DEP_3)
	v_add_f32_e32 v107, v107, v110
	v_dual_min_f32 v110, v111, v114 :: v_dual_min_f32 v111, v116, v115
	s_delay_alu instid0(VALU_DEP_4) | instskip(SKIP_1) | instid1(VALU_DEP_2)
	v_add_f32_e32 v108, v108, v112
	v_add_co_ci_u32_e32 v45, vcc_lo, v47, v45, vcc_lo
	v_dual_add_f32 v107, v107, v111 :: v_dual_add_f32 v108, v108, v110
	s_delay_alu instid0(VALU_DEP_1) | instskip(NEXT) | instid1(VALU_DEP_1)
	v_add_f32_e32 v107, v108, v107
	v_add_f32_e32 v107, v107, v109
	global_store_b32 v[44:45], v107, off
	s_or_b32 exec_lo, exec_lo, s16
	s_and_b32 s18, s4, s8
	s_delay_alu instid0(SALU_CYCLE_1)
	s_and_saveexec_b32 s16, s18
	s_cbranch_execz .LBB31_81
.LBB31_100:
	v_cmp_ne_u32_e32 vcc_lo, 1, v101
	v_lshlrev_b64 v[44:45], 2, v[56:57]
	s_cbranch_vccnz .LBB31_102
; %bb.101:
	s_delay_alu instid0(VALU_DEP_1) | instskip(NEXT) | instid1(VALU_DEP_2)
	v_add_co_u32 v107, vcc_lo, v64, v44
	v_add_co_ci_u32_e32 v108, vcc_lo, v65, v45, vcc_lo
	flat_load_b32 v107, v[107:108]
	s_waitcnt vmcnt(0) lgkmcnt(0)
	v_mul_f32_e32 v107, s15, v107
	s_branch .LBB31_103
.LBB31_102:
	v_mov_b32_e32 v107, 0
.LBB31_103:
	v_dual_max_f32 v108, v41, v41 :: v_dual_max_f32 v111, v16, v16
	v_dual_max_f32 v109, v17, v17 :: v_dual_max_f32 v110, v40, v40
	;; [unrolled: 1-line block ×3, first 2 shown]
	v_add_co_u32 v44, vcc_lo, v46, v44
	s_delay_alu instid0(VALU_DEP_3) | instskip(SKIP_2) | instid1(VALU_DEP_3)
	v_dual_min_f32 v108, v109, v108 :: v_dual_max_f32 v109, v18, v18
	v_max_f32_e32 v114, v19, v19
	v_add_co_ci_u32_e32 v45, vcc_lo, v47, v45, vcc_lo
	v_dual_add_f32 v105, v105, v108 :: v_dual_min_f32 v110, v111, v110
	s_delay_alu instid0(VALU_DEP_3) | instskip(NEXT) | instid1(VALU_DEP_1)
	v_dual_min_f32 v108, v109, v112 :: v_dual_min_f32 v109, v114, v113
	v_dual_add_f32 v106, v106, v110 :: v_dual_add_f32 v105, v105, v109
	s_delay_alu instid0(VALU_DEP_1) | instskip(NEXT) | instid1(VALU_DEP_1)
	v_add_f32_e32 v106, v106, v108
	v_add_f32_e32 v105, v106, v105
	s_delay_alu instid0(VALU_DEP_1) | instskip(SKIP_3) | instid1(SALU_CYCLE_1)
	v_add_f32_e32 v105, v105, v107
	global_store_b32 v[44:45], v105, off
	s_or_b32 exec_lo, exec_lo, s16
	s_and_b32 s18, s5, s8
	s_and_saveexec_b32 s16, s18
	s_cbranch_execz .LBB31_82
.LBB31_104:
	v_cmp_ne_u32_e32 vcc_lo, 1, v101
	v_lshlrev_b64 v[44:45], 2, v[58:59]
	s_cbranch_vccnz .LBB31_106
; %bb.105:
	s_delay_alu instid0(VALU_DEP_1) | instskip(NEXT) | instid1(VALU_DEP_2)
	v_add_co_u32 v105, vcc_lo, v64, v44
	v_add_co_ci_u32_e32 v106, vcc_lo, v65, v45, vcc_lo
	flat_load_b32 v105, v[105:106]
	s_waitcnt vmcnt(0) lgkmcnt(0)
	v_mul_f32_e32 v105, s15, v105
	s_branch .LBB31_107
.LBB31_106:
	v_mov_b32_e32 v105, 0
.LBB31_107:
	v_dual_max_f32 v106, v41, v41 :: v_dual_max_f32 v109, v12, v12
	v_dual_max_f32 v107, v13, v13 :: v_dual_max_f32 v108, v40, v40
	v_dual_max_f32 v110, v42, v42 :: v_dual_max_f32 v111, v43, v43
	v_max_f32_e32 v112, v15, v15
	s_delay_alu instid0(VALU_DEP_3) | instskip(NEXT) | instid1(VALU_DEP_4)
	v_min_f32_e32 v106, v107, v106
	v_dual_max_f32 v107, v14, v14 :: v_dual_min_f32 v108, v109, v108
	v_add_co_u32 v44, vcc_lo, v46, v44
	s_delay_alu instid0(VALU_DEP_3) | instskip(NEXT) | instid1(VALU_DEP_3)
	v_add_f32_e32 v104, v104, v106
	v_min_f32_e32 v106, v107, v110
	s_delay_alu instid0(VALU_DEP_4) | instskip(SKIP_2) | instid1(VALU_DEP_2)
	v_add_f32_e32 v103, v103, v108
	v_min_f32_e32 v107, v112, v111
	v_add_co_ci_u32_e32 v45, vcc_lo, v47, v45, vcc_lo
	v_dual_add_f32 v103, v103, v106 :: v_dual_add_f32 v104, v104, v107
	s_delay_alu instid0(VALU_DEP_1) | instskip(NEXT) | instid1(VALU_DEP_1)
	v_add_f32_e32 v103, v103, v104
	v_add_f32_e32 v103, v103, v105
	global_store_b32 v[44:45], v103, off
	s_or_b32 exec_lo, exec_lo, s16
	s_and_b32 s18, s6, s8
	s_delay_alu instid0(SALU_CYCLE_1)
	s_and_saveexec_b32 s16, s18
	s_cbranch_execz .LBB31_83
.LBB31_108:
	v_cmp_ne_u32_e32 vcc_lo, 1, v101
	v_lshlrev_b64 v[44:45], 2, v[60:61]
	s_cbranch_vccnz .LBB31_110
; %bb.109:
	s_delay_alu instid0(VALU_DEP_1) | instskip(NEXT) | instid1(VALU_DEP_2)
	v_add_co_u32 v103, vcc_lo, v64, v44
	v_add_co_ci_u32_e32 v104, vcc_lo, v65, v45, vcc_lo
	flat_load_b32 v103, v[103:104]
	s_waitcnt vmcnt(0) lgkmcnt(0)
	v_mul_f32_e32 v103, s15, v103
	s_branch .LBB31_111
.LBB31_110:
	v_mov_b32_e32 v103, 0
.LBB31_111:
	v_dual_max_f32 v104, v41, v41 :: v_dual_max_f32 v107, v8, v8
	v_dual_max_f32 v105, v9, v9 :: v_dual_max_f32 v106, v40, v40
	;; [unrolled: 1-line block ×3, first 2 shown]
	v_max_f32_e32 v110, v11, v11
	s_delay_alu instid0(VALU_DEP_3) | instskip(NEXT) | instid1(VALU_DEP_4)
	v_dual_min_f32 v104, v105, v104 :: v_dual_max_f32 v105, v10, v10
	v_min_f32_e32 v106, v107, v106
	v_add_co_u32 v44, vcc_lo, v46, v44
	s_delay_alu instid0(VALU_DEP_3) | instskip(NEXT) | instid1(VALU_DEP_4)
	v_add_f32_e32 v100, v100, v104
	v_dual_min_f32 v104, v105, v108 :: v_dual_min_f32 v105, v110, v109
	s_delay_alu instid0(VALU_DEP_4) | instskip(SKIP_1) | instid1(VALU_DEP_3)
	v_add_f32_e32 v102, v102, v106
	v_add_co_ci_u32_e32 v45, vcc_lo, v47, v45, vcc_lo
	v_add_f32_e32 v100, v100, v105
	s_delay_alu instid0(VALU_DEP_3) | instskip(NEXT) | instid1(VALU_DEP_1)
	v_add_f32_e32 v102, v102, v104
	v_add_f32_e32 v100, v102, v100
	s_delay_alu instid0(VALU_DEP_1) | instskip(SKIP_3) | instid1(SALU_CYCLE_1)
	v_add_f32_e32 v100, v100, v103
	global_store_b32 v[44:45], v100, off
	s_or_b32 exec_lo, exec_lo, s16
	s_and_b32 s16, s7, s8
	s_and_saveexec_b32 s8, s16
	s_cbranch_execz .LBB31_116
.LBB31_112:
	v_cmp_ne_u32_e32 vcc_lo, 1, v101
	v_lshlrev_b64 v[44:45], 2, v[62:63]
	s_cbranch_vccnz .LBB31_114
; %bb.113:
	s_delay_alu instid0(VALU_DEP_1) | instskip(NEXT) | instid1(VALU_DEP_2)
	v_add_co_u32 v64, vcc_lo, v64, v44
	v_add_co_ci_u32_e32 v65, vcc_lo, v65, v45, vcc_lo
	flat_load_b32 v64, v[64:65]
	s_waitcnt vmcnt(0) lgkmcnt(0)
	v_mul_f32_e32 v64, s15, v64
	s_branch .LBB31_115
.LBB31_114:
	v_mov_b32_e32 v64, 0
.LBB31_115:
	v_dual_max_f32 v41, v41, v41 :: v_dual_max_f32 v40, v40, v40
	v_dual_max_f32 v65, v1, v1 :: v_dual_max_f32 v100, v0, v0
	;; [unrolled: 1-line block ×3, first 2 shown]
	s_delay_alu instid0(VALU_DEP_2) | instskip(NEXT) | instid1(VALU_DEP_3)
	v_dual_max_f32 v102, v3, v3 :: v_dual_min_f32 v41, v65, v41
	v_dual_min_f32 v40, v100, v40 :: v_dual_max_f32 v65, v2, v2
	s_delay_alu instid0(VALU_DEP_1) | instskip(NEXT) | instid1(VALU_DEP_2)
	v_dual_add_f32 v41, v99, v41 :: v_dual_min_f32 v42, v65, v42
	v_add_f32_e32 v40, v98, v40
	s_delay_alu instid0(VALU_DEP_1) | instskip(NEXT) | instid1(VALU_DEP_1)
	v_dual_min_f32 v43, v102, v43 :: v_dual_add_f32 v40, v40, v42
	v_add_f32_e32 v41, v41, v43
	s_delay_alu instid0(VALU_DEP_1) | instskip(NEXT) | instid1(VALU_DEP_1)
	v_add_f32_e32 v40, v40, v41
	v_add_f32_e32 v42, v40, v64
	v_add_co_u32 v40, vcc_lo, v46, v44
	v_add_co_ci_u32_e32 v41, vcc_lo, v47, v45, vcc_lo
	global_store_b32 v[40:41], v42, off
.LBB31_116:
	s_or_b32 exec_lo, exec_lo, s8
	v_add_nc_u32_e32 v44, 64, v117
	s_delay_alu instid0(VALU_DEP_1) | instskip(SKIP_2) | instid1(VALU_DEP_3)
	v_mad_i64_i32 v[40:41], null, v44, s12, 0
	v_mad_i64_i32 v[42:43], null, v44, s9, 0
	v_cmp_gt_i32_e64 s8, s17, v44
	v_lshlrev_b64 v[40:41], 2, v[40:41]
	s_delay_alu instid0(VALU_DEP_2) | instskip(NEXT) | instid1(VALU_DEP_3)
	s_and_b32 s18, s0, s8
	v_lshlrev_b64 v[42:43], 2, v[42:43]
	s_delay_alu instid0(VALU_DEP_2) | instskip(NEXT) | instid1(VALU_DEP_3)
	v_add_co_u32 v44, vcc_lo, s10, v40
	v_add_co_ci_u32_e32 v45, vcc_lo, s11, v41, vcc_lo
	s_delay_alu instid0(VALU_DEP_3) | instskip(NEXT) | instid1(VALU_DEP_4)
	v_add_co_u32 v42, vcc_lo, s13, v42
	v_add_co_ci_u32_e32 v43, vcc_lo, s14, v43, vcc_lo
	s_and_saveexec_b32 s16, s18
	s_cbranch_execnz .LBB31_124
; %bb.117:
	s_or_b32 exec_lo, exec_lo, s16
	s_and_b32 s18, s1, s8
	s_delay_alu instid0(SALU_CYCLE_1)
	s_and_saveexec_b32 s16, s18
	s_cbranch_execnz .LBB31_128
.LBB31_118:
	s_or_b32 exec_lo, exec_lo, s16
	s_and_b32 s18, s2, s8
	s_delay_alu instid0(SALU_CYCLE_1)
	s_and_saveexec_b32 s16, s18
	s_cbranch_execnz .LBB31_132
.LBB31_119:
	s_or_b32 exec_lo, exec_lo, s16
	s_and_b32 s18, s3, s8
	s_delay_alu instid0(SALU_CYCLE_1)
	s_and_saveexec_b32 s16, s18
	s_cbranch_execnz .LBB31_136
.LBB31_120:
	s_or_b32 exec_lo, exec_lo, s16
	s_and_b32 s18, s4, s8
	s_delay_alu instid0(SALU_CYCLE_1)
	s_and_saveexec_b32 s16, s18
	s_cbranch_execnz .LBB31_140
.LBB31_121:
	s_or_b32 exec_lo, exec_lo, s16
	s_and_b32 s18, s5, s8
	s_delay_alu instid0(SALU_CYCLE_1)
	s_and_saveexec_b32 s16, s18
	s_cbranch_execnz .LBB31_144
.LBB31_122:
	s_or_b32 exec_lo, exec_lo, s16
	s_and_b32 s18, s6, s8
	s_delay_alu instid0(SALU_CYCLE_1)
	s_and_saveexec_b32 s16, s18
	s_cbranch_execnz .LBB31_148
.LBB31_123:
	s_or_b32 exec_lo, exec_lo, s16
	s_and_b32 s16, s7, s8
	s_delay_alu instid0(SALU_CYCLE_1)
	s_and_saveexec_b32 s8, s16
	s_cbranch_execnz .LBB31_152
	s_branch .LBB31_156
.LBB31_124:
	v_cmp_ne_u32_e32 vcc_lo, 1, v101
	v_lshlrev_b64 v[40:41], 2, v[48:49]
	s_cbranch_vccnz .LBB31_126
; %bb.125:
	s_delay_alu instid0(VALU_DEP_1) | instskip(NEXT) | instid1(VALU_DEP_2)
	v_add_co_u32 v46, vcc_lo, v44, v40
	v_add_co_ci_u32_e32 v47, vcc_lo, v45, v41, vcc_lo
	flat_load_b32 v46, v[46:47]
	s_waitcnt vmcnt(0) lgkmcnt(0)
	v_mul_f32_e32 v46, s15, v46
	s_branch .LBB31_127
.LBB31_126:
	v_mov_b32_e32 v46, 0
.LBB31_127:
	v_dual_max_f32 v47, v37, v37 :: v_dual_max_f32 v98, v32, v32
	v_dual_max_f32 v64, v33, v33 :: v_dual_max_f32 v65, v36, v36
	;; [unrolled: 1-line block ×3, first 2 shown]
	v_max_f32_e32 v102, v35, v35
	s_delay_alu instid0(VALU_DEP_3) | instskip(NEXT) | instid1(VALU_DEP_4)
	v_dual_min_f32 v47, v64, v47 :: v_dual_max_f32 v64, v34, v34
	v_min_f32_e32 v65, v98, v65
	v_add_co_u32 v40, vcc_lo, v42, v40
	s_delay_alu instid0(VALU_DEP_3) | instskip(NEXT) | instid1(VALU_DEP_4)
	v_add_f32_e32 v47, v97, v47
	v_dual_min_f32 v64, v64, v99 :: v_dual_min_f32 v97, v102, v100
	s_delay_alu instid0(VALU_DEP_4) | instskip(SKIP_1) | instid1(VALU_DEP_2)
	v_add_f32_e32 v65, v96, v65
	v_add_co_ci_u32_e32 v41, vcc_lo, v43, v41, vcc_lo
	v_dual_add_f32 v47, v47, v97 :: v_dual_add_f32 v64, v65, v64
	s_delay_alu instid0(VALU_DEP_1) | instskip(NEXT) | instid1(VALU_DEP_1)
	v_add_f32_e32 v47, v64, v47
	v_add_f32_e32 v46, v47, v46
	global_store_b32 v[40:41], v46, off
	s_or_b32 exec_lo, exec_lo, s16
	s_and_b32 s18, s1, s8
	s_delay_alu instid0(SALU_CYCLE_1)
	s_and_saveexec_b32 s16, s18
	s_cbranch_execz .LBB31_118
.LBB31_128:
	v_cmp_ne_u32_e32 vcc_lo, 1, v101
	v_lshlrev_b64 v[40:41], 2, v[50:51]
	s_cbranch_vccnz .LBB31_130
; %bb.129:
	s_delay_alu instid0(VALU_DEP_1) | instskip(NEXT) | instid1(VALU_DEP_2)
	v_add_co_u32 v46, vcc_lo, v44, v40
	v_add_co_ci_u32_e32 v47, vcc_lo, v45, v41, vcc_lo
	flat_load_b32 v46, v[46:47]
	s_waitcnt vmcnt(0) lgkmcnt(0)
	v_mul_f32_e32 v46, s15, v46
	s_branch .LBB31_131
.LBB31_130:
	v_mov_b32_e32 v46, 0
.LBB31_131:
	v_dual_max_f32 v47, v37, v37 :: v_dual_max_f32 v96, v28, v28
	v_dual_max_f32 v64, v29, v29 :: v_dual_max_f32 v65, v36, v36
	;; [unrolled: 1-line block ×3, first 2 shown]
	v_add_co_u32 v40, vcc_lo, v42, v40
	s_delay_alu instid0(VALU_DEP_3) | instskip(SKIP_2) | instid1(VALU_DEP_3)
	v_dual_min_f32 v47, v64, v47 :: v_dual_max_f32 v64, v30, v30
	v_max_f32_e32 v99, v31, v31
	v_add_co_ci_u32_e32 v41, vcc_lo, v43, v41, vcc_lo
	v_min_f32_e32 v64, v64, v97
	v_min_f32_e32 v65, v96, v65
	s_delay_alu instid0(VALU_DEP_4) | instskip(NEXT) | instid1(VALU_DEP_2)
	v_dual_add_f32 v47, v94, v47 :: v_dual_min_f32 v94, v99, v98
	v_add_f32_e32 v65, v95, v65
	s_delay_alu instid0(VALU_DEP_1) | instskip(NEXT) | instid1(VALU_DEP_1)
	v_dual_add_f32 v64, v65, v64 :: v_dual_add_f32 v47, v47, v94
	v_add_f32_e32 v47, v64, v47
	s_delay_alu instid0(VALU_DEP_1) | instskip(SKIP_3) | instid1(SALU_CYCLE_1)
	v_add_f32_e32 v46, v47, v46
	global_store_b32 v[40:41], v46, off
	s_or_b32 exec_lo, exec_lo, s16
	s_and_b32 s18, s2, s8
	s_and_saveexec_b32 s16, s18
	s_cbranch_execz .LBB31_119
.LBB31_132:
	v_cmp_ne_u32_e32 vcc_lo, 1, v101
	v_lshlrev_b64 v[40:41], 2, v[52:53]
	s_cbranch_vccnz .LBB31_134
; %bb.133:
	s_delay_alu instid0(VALU_DEP_1) | instskip(NEXT) | instid1(VALU_DEP_2)
	v_add_co_u32 v46, vcc_lo, v44, v40
	v_add_co_ci_u32_e32 v47, vcc_lo, v45, v41, vcc_lo
	flat_load_b32 v46, v[46:47]
	s_waitcnt vmcnt(0) lgkmcnt(0)
	v_mul_f32_e32 v46, s15, v46
	s_branch .LBB31_135
.LBB31_134:
	v_mov_b32_e32 v46, 0
.LBB31_135:
	v_dual_max_f32 v47, v37, v37 :: v_dual_max_f32 v94, v24, v24
	v_dual_max_f32 v64, v25, v25 :: v_dual_max_f32 v65, v36, v36
	;; [unrolled: 1-line block ×3, first 2 shown]
	v_add_co_u32 v40, vcc_lo, v42, v40
	s_delay_alu instid0(VALU_DEP_3) | instskip(NEXT) | instid1(VALU_DEP_4)
	v_dual_min_f32 v47, v64, v47 :: v_dual_max_f32 v64, v26, v26
	v_min_f32_e32 v65, v94, v65
	v_add_co_ci_u32_e32 v41, vcc_lo, v43, v41, vcc_lo
	s_delay_alu instid0(VALU_DEP_2) | instskip(NEXT) | instid1(VALU_DEP_1)
	v_dual_min_f32 v64, v64, v95 :: v_dual_add_f32 v65, v93, v65
	v_dual_max_f32 v97, v27, v27 :: v_dual_add_f32 v64, v65, v64
	s_delay_alu instid0(VALU_DEP_1) | instskip(NEXT) | instid1(VALU_DEP_1)
	v_dual_add_f32 v47, v92, v47 :: v_dual_min_f32 v92, v97, v96
	v_add_f32_e32 v47, v47, v92
	s_delay_alu instid0(VALU_DEP_1) | instskip(NEXT) | instid1(VALU_DEP_1)
	v_add_f32_e32 v47, v64, v47
	v_add_f32_e32 v46, v47, v46
	global_store_b32 v[40:41], v46, off
	s_or_b32 exec_lo, exec_lo, s16
	s_and_b32 s18, s3, s8
	s_delay_alu instid0(SALU_CYCLE_1)
	s_and_saveexec_b32 s16, s18
	s_cbranch_execz .LBB31_120
.LBB31_136:
	v_cmp_ne_u32_e32 vcc_lo, 1, v101
	v_lshlrev_b64 v[40:41], 2, v[54:55]
	s_cbranch_vccnz .LBB31_138
; %bb.137:
	s_delay_alu instid0(VALU_DEP_1) | instskip(NEXT) | instid1(VALU_DEP_2)
	v_add_co_u32 v46, vcc_lo, v44, v40
	v_add_co_ci_u32_e32 v47, vcc_lo, v45, v41, vcc_lo
	flat_load_b32 v46, v[46:47]
	s_waitcnt vmcnt(0) lgkmcnt(0)
	v_mul_f32_e32 v46, s15, v46
	s_branch .LBB31_139
.LBB31_138:
	v_mov_b32_e32 v46, 0
.LBB31_139:
	v_dual_max_f32 v47, v37, v37 :: v_dual_max_f32 v92, v20, v20
	v_dual_max_f32 v64, v21, v21 :: v_dual_max_f32 v65, v36, v36
	;; [unrolled: 1-line block ×3, first 2 shown]
	v_add_co_u32 v40, vcc_lo, v42, v40
	s_delay_alu instid0(VALU_DEP_3) | instskip(SKIP_2) | instid1(VALU_DEP_3)
	v_dual_min_f32 v47, v64, v47 :: v_dual_max_f32 v64, v22, v22
	v_max_f32_e32 v95, v23, v23
	v_add_co_ci_u32_e32 v41, vcc_lo, v43, v41, vcc_lo
	v_min_f32_e32 v64, v64, v93
	v_min_f32_e32 v65, v92, v65
	s_delay_alu instid0(VALU_DEP_4) | instskip(NEXT) | instid1(VALU_DEP_2)
	v_dual_add_f32 v47, v90, v47 :: v_dual_min_f32 v90, v95, v94
	v_add_f32_e32 v65, v91, v65
	s_delay_alu instid0(VALU_DEP_1) | instskip(NEXT) | instid1(VALU_DEP_1)
	v_dual_add_f32 v64, v65, v64 :: v_dual_add_f32 v47, v47, v90
	v_add_f32_e32 v47, v64, v47
	s_delay_alu instid0(VALU_DEP_1) | instskip(SKIP_3) | instid1(SALU_CYCLE_1)
	v_add_f32_e32 v46, v47, v46
	global_store_b32 v[40:41], v46, off
	s_or_b32 exec_lo, exec_lo, s16
	s_and_b32 s18, s4, s8
	s_and_saveexec_b32 s16, s18
	s_cbranch_execz .LBB31_121
.LBB31_140:
	v_cmp_ne_u32_e32 vcc_lo, 1, v101
	v_lshlrev_b64 v[40:41], 2, v[56:57]
	s_cbranch_vccnz .LBB31_142
; %bb.141:
	s_delay_alu instid0(VALU_DEP_1) | instskip(NEXT) | instid1(VALU_DEP_2)
	v_add_co_u32 v46, vcc_lo, v44, v40
	v_add_co_ci_u32_e32 v47, vcc_lo, v45, v41, vcc_lo
	flat_load_b32 v46, v[46:47]
	s_waitcnt vmcnt(0) lgkmcnt(0)
	v_mul_f32_e32 v46, s15, v46
	s_branch .LBB31_143
.LBB31_142:
	v_mov_b32_e32 v46, 0
.LBB31_143:
	v_dual_max_f32 v47, v37, v37 :: v_dual_max_f32 v90, v16, v16
	v_dual_max_f32 v64, v17, v17 :: v_dual_max_f32 v65, v36, v36
	;; [unrolled: 1-line block ×3, first 2 shown]
	v_add_co_u32 v40, vcc_lo, v42, v40
	s_delay_alu instid0(VALU_DEP_3) | instskip(NEXT) | instid1(VALU_DEP_4)
	v_dual_min_f32 v47, v64, v47 :: v_dual_max_f32 v64, v18, v18
	v_min_f32_e32 v65, v90, v65
	v_add_co_ci_u32_e32 v41, vcc_lo, v43, v41, vcc_lo
	s_delay_alu instid0(VALU_DEP_3) | instskip(NEXT) | instid1(VALU_DEP_4)
	v_add_f32_e32 v47, v89, v47
	v_min_f32_e32 v64, v64, v91
	s_delay_alu instid0(VALU_DEP_4) | instskip(NEXT) | instid1(VALU_DEP_1)
	v_add_f32_e32 v65, v88, v65
	v_dual_max_f32 v93, v19, v19 :: v_dual_add_f32 v64, v65, v64
	s_delay_alu instid0(VALU_DEP_1) | instskip(NEXT) | instid1(VALU_DEP_1)
	v_min_f32_e32 v89, v93, v92
	v_add_f32_e32 v47, v47, v89
	s_delay_alu instid0(VALU_DEP_1) | instskip(NEXT) | instid1(VALU_DEP_1)
	v_add_f32_e32 v47, v64, v47
	v_add_f32_e32 v46, v47, v46
	global_store_b32 v[40:41], v46, off
	s_or_b32 exec_lo, exec_lo, s16
	s_and_b32 s18, s5, s8
	s_delay_alu instid0(SALU_CYCLE_1)
	s_and_saveexec_b32 s16, s18
	s_cbranch_execz .LBB31_122
.LBB31_144:
	v_cmp_ne_u32_e32 vcc_lo, 1, v101
	v_lshlrev_b64 v[40:41], 2, v[58:59]
	s_cbranch_vccnz .LBB31_146
; %bb.145:
	s_delay_alu instid0(VALU_DEP_1) | instskip(NEXT) | instid1(VALU_DEP_2)
	v_add_co_u32 v46, vcc_lo, v44, v40
	v_add_co_ci_u32_e32 v47, vcc_lo, v45, v41, vcc_lo
	flat_load_b32 v46, v[46:47]
	s_waitcnt vmcnt(0) lgkmcnt(0)
	v_mul_f32_e32 v46, s15, v46
	s_branch .LBB31_147
.LBB31_146:
	v_mov_b32_e32 v46, 0
.LBB31_147:
	v_dual_max_f32 v47, v37, v37 :: v_dual_max_f32 v88, v12, v12
	v_dual_max_f32 v64, v13, v13 :: v_dual_max_f32 v65, v36, v36
	;; [unrolled: 1-line block ×3, first 2 shown]
	v_add_co_u32 v40, vcc_lo, v42, v40
	s_delay_alu instid0(VALU_DEP_3) | instskip(SKIP_3) | instid1(VALU_DEP_4)
	v_dual_min_f32 v47, v64, v47 :: v_dual_max_f32 v64, v14, v14
	v_max_f32_e32 v91, v15, v15
	v_min_f32_e32 v65, v88, v65
	v_add_co_ci_u32_e32 v41, vcc_lo, v43, v41, vcc_lo
	v_min_f32_e32 v64, v64, v89
	s_delay_alu instid0(VALU_DEP_3) | instskip(SKIP_1) | instid1(VALU_DEP_2)
	v_add_f32_e32 v65, v86, v65
	v_add_f32_e32 v47, v87, v47
	v_dual_min_f32 v87, v91, v90 :: v_dual_add_f32 v64, v65, v64
	s_delay_alu instid0(VALU_DEP_1) | instskip(NEXT) | instid1(VALU_DEP_1)
	v_add_f32_e32 v47, v47, v87
	v_add_f32_e32 v47, v64, v47
	s_delay_alu instid0(VALU_DEP_1) | instskip(SKIP_3) | instid1(SALU_CYCLE_1)
	v_add_f32_e32 v46, v47, v46
	global_store_b32 v[40:41], v46, off
	s_or_b32 exec_lo, exec_lo, s16
	s_and_b32 s18, s6, s8
	s_and_saveexec_b32 s16, s18
	s_cbranch_execz .LBB31_123
.LBB31_148:
	v_cmp_ne_u32_e32 vcc_lo, 1, v101
	v_lshlrev_b64 v[40:41], 2, v[60:61]
	s_cbranch_vccnz .LBB31_150
; %bb.149:
	s_delay_alu instid0(VALU_DEP_1) | instskip(NEXT) | instid1(VALU_DEP_2)
	v_add_co_u32 v46, vcc_lo, v44, v40
	v_add_co_ci_u32_e32 v47, vcc_lo, v45, v41, vcc_lo
	flat_load_b32 v46, v[46:47]
	s_waitcnt vmcnt(0) lgkmcnt(0)
	v_mul_f32_e32 v46, s15, v46
	s_branch .LBB31_151
.LBB31_150:
	v_mov_b32_e32 v46, 0
.LBB31_151:
	v_dual_max_f32 v47, v37, v37 :: v_dual_max_f32 v86, v8, v8
	v_dual_max_f32 v64, v9, v9 :: v_dual_max_f32 v65, v36, v36
	;; [unrolled: 1-line block ×3, first 2 shown]
	v_add_co_u32 v40, vcc_lo, v42, v40
	s_delay_alu instid0(VALU_DEP_3) | instskip(NEXT) | instid1(VALU_DEP_4)
	v_dual_min_f32 v47, v64, v47 :: v_dual_max_f32 v64, v10, v10
	v_min_f32_e32 v65, v86, v65
	v_add_co_ci_u32_e32 v41, vcc_lo, v43, v41, vcc_lo
	s_delay_alu instid0(VALU_DEP_2) | instskip(NEXT) | instid1(VALU_DEP_1)
	v_dual_min_f32 v64, v64, v87 :: v_dual_add_f32 v65, v85, v65
	v_dual_max_f32 v89, v11, v11 :: v_dual_add_f32 v64, v65, v64
	s_delay_alu instid0(VALU_DEP_1) | instskip(NEXT) | instid1(VALU_DEP_1)
	v_dual_add_f32 v47, v84, v47 :: v_dual_min_f32 v84, v89, v88
	v_add_f32_e32 v47, v47, v84
	s_delay_alu instid0(VALU_DEP_1) | instskip(NEXT) | instid1(VALU_DEP_1)
	v_add_f32_e32 v47, v64, v47
	v_add_f32_e32 v46, v47, v46
	global_store_b32 v[40:41], v46, off
	s_or_b32 exec_lo, exec_lo, s16
	s_and_b32 s16, s7, s8
	s_delay_alu instid0(SALU_CYCLE_1)
	s_and_saveexec_b32 s8, s16
	s_cbranch_execz .LBB31_156
.LBB31_152:
	v_cmp_ne_u32_e32 vcc_lo, 1, v101
	v_lshlrev_b64 v[40:41], 2, v[62:63]
	s_cbranch_vccnz .LBB31_154
; %bb.153:
	s_delay_alu instid0(VALU_DEP_1) | instskip(NEXT) | instid1(VALU_DEP_2)
	v_add_co_u32 v44, vcc_lo, v44, v40
	v_add_co_ci_u32_e32 v45, vcc_lo, v45, v41, vcc_lo
	flat_load_b32 v44, v[44:45]
	s_waitcnt vmcnt(0) lgkmcnt(0)
	v_mul_f32_e32 v44, s15, v44
	s_branch .LBB31_155
.LBB31_154:
	v_mov_b32_e32 v44, 0
.LBB31_155:
	v_dual_max_f32 v37, v37, v37 :: v_dual_max_f32 v36, v36, v36
	v_dual_max_f32 v45, v1, v1 :: v_dual_max_f32 v46, v0, v0
	;; [unrolled: 1-line block ×3, first 2 shown]
	s_delay_alu instid0(VALU_DEP_2) | instskip(SKIP_1) | instid1(VALU_DEP_2)
	v_dual_min_f32 v37, v45, v37 :: v_dual_min_f32 v36, v46, v36
	v_max_f32_e32 v47, v3, v3
	v_dual_add_f32 v37, v83, v37 :: v_dual_add_f32 v36, v82, v36
	s_delay_alu instid0(VALU_DEP_2) | instskip(NEXT) | instid1(VALU_DEP_1)
	v_min_f32_e32 v39, v47, v39
	v_add_f32_e32 v37, v37, v39
	v_max_f32_e32 v45, v2, v2
	s_delay_alu instid0(VALU_DEP_1) | instskip(NEXT) | instid1(VALU_DEP_1)
	v_min_f32_e32 v38, v45, v38
	v_add_f32_e32 v36, v36, v38
	s_delay_alu instid0(VALU_DEP_1) | instskip(NEXT) | instid1(VALU_DEP_1)
	v_add_f32_e32 v36, v36, v37
	v_add_f32_e32 v38, v36, v44
	v_add_co_u32 v36, vcc_lo, v42, v40
	v_add_co_ci_u32_e32 v37, vcc_lo, v43, v41, vcc_lo
	global_store_b32 v[36:37], v38, off
.LBB31_156:
	s_or_b32 exec_lo, exec_lo, s8
	v_add_nc_u32_e32 v40, 0x60, v117
	s_delay_alu instid0(VALU_DEP_1) | instskip(SKIP_2) | instid1(VALU_DEP_3)
	v_mad_i64_i32 v[36:37], null, v40, s12, 0
	v_mad_i64_i32 v[38:39], null, v40, s9, 0
	v_cmp_gt_i32_e64 s8, s17, v40
	v_lshlrev_b64 v[36:37], 2, v[36:37]
	s_delay_alu instid0(VALU_DEP_2) | instskip(NEXT) | instid1(VALU_DEP_3)
	s_and_b32 s9, s0, s8
	v_lshlrev_b64 v[38:39], 2, v[38:39]
	s_delay_alu instid0(VALU_DEP_2) | instskip(NEXT) | instid1(VALU_DEP_3)
	v_add_co_u32 v40, vcc_lo, s10, v36
	v_add_co_ci_u32_e32 v41, vcc_lo, s11, v37, vcc_lo
	s_delay_alu instid0(VALU_DEP_3) | instskip(NEXT) | instid1(VALU_DEP_4)
	v_add_co_u32 v38, vcc_lo, s13, v38
	v_add_co_ci_u32_e32 v39, vcc_lo, s14, v39, vcc_lo
	s_and_saveexec_b32 s0, s9
	s_cbranch_execnz .LBB31_165
; %bb.157:
	s_or_b32 exec_lo, exec_lo, s0
	s_and_b32 s1, s1, s8
	s_delay_alu instid0(SALU_CYCLE_1)
	s_and_saveexec_b32 s0, s1
	s_cbranch_execnz .LBB31_169
.LBB31_158:
	s_or_b32 exec_lo, exec_lo, s0
	s_and_b32 s1, s2, s8
	s_delay_alu instid0(SALU_CYCLE_1)
	s_and_saveexec_b32 s0, s1
	s_cbranch_execnz .LBB31_173
.LBB31_159:
	s_or_b32 exec_lo, exec_lo, s0
	s_and_b32 s1, s3, s8
	s_delay_alu instid0(SALU_CYCLE_1)
	s_and_saveexec_b32 s0, s1
	s_cbranch_execnz .LBB31_177
.LBB31_160:
	s_or_b32 exec_lo, exec_lo, s0
	s_and_b32 s1, s4, s8
	s_delay_alu instid0(SALU_CYCLE_1)
	s_and_saveexec_b32 s0, s1
	s_cbranch_execnz .LBB31_181
.LBB31_161:
	s_or_b32 exec_lo, exec_lo, s0
	s_and_b32 s1, s5, s8
	s_delay_alu instid0(SALU_CYCLE_1)
	s_and_saveexec_b32 s0, s1
	s_cbranch_execnz .LBB31_185
.LBB31_162:
	s_or_b32 exec_lo, exec_lo, s0
	s_and_b32 s1, s6, s8
	s_delay_alu instid0(SALU_CYCLE_1)
	s_and_saveexec_b32 s0, s1
	s_cbranch_execnz .LBB31_189
.LBB31_163:
	s_or_b32 exec_lo, exec_lo, s0
	s_and_b32 s0, s7, s8
	s_delay_alu instid0(SALU_CYCLE_1)
	s_and_saveexec_b32 s1, s0
	s_cbranch_execnz .LBB31_193
.LBB31_164:
	s_nop 0
	s_sendmsg sendmsg(MSG_DEALLOC_VGPRS)
	s_endpgm
.LBB31_165:
	v_cmp_ne_u32_e32 vcc_lo, 1, v101
	v_lshlrev_b64 v[36:37], 2, v[48:49]
	s_cbranch_vccnz .LBB31_167
; %bb.166:
	s_delay_alu instid0(VALU_DEP_1) | instskip(NEXT) | instid1(VALU_DEP_2)
	v_add_co_u32 v42, vcc_lo, v40, v36
	v_add_co_ci_u32_e32 v43, vcc_lo, v41, v37, vcc_lo
	flat_load_b32 v42, v[42:43]
	s_waitcnt vmcnt(0) lgkmcnt(0)
	v_mul_f32_e32 v42, s15, v42
	s_branch .LBB31_168
.LBB31_167:
	v_mov_b32_e32 v42, 0
.LBB31_168:
	v_dual_max_f32 v43, v5, v5 :: v_dual_max_f32 v44, v4, v4
	v_dual_max_f32 v33, v33, v33 :: v_dual_max_f32 v32, v32, v32
	v_max_f32_e32 v45, v6, v6
	s_delay_alu instid0(VALU_DEP_2) | instskip(NEXT) | instid1(VALU_DEP_3)
	v_dual_max_f32 v34, v34, v34 :: v_dual_min_f32 v33, v33, v43
	v_dual_min_f32 v32, v32, v44 :: v_dual_max_f32 v43, v7, v7
	s_delay_alu instid0(VALU_DEP_2) | instskip(NEXT) | instid1(VALU_DEP_2)
	v_dual_min_f32 v34, v34, v45 :: v_dual_max_f32 v35, v35, v35
	v_dual_add_f32 v33, v80, v33 :: v_dual_add_f32 v32, v81, v32
	s_delay_alu instid0(VALU_DEP_1) | instskip(NEXT) | instid1(VALU_DEP_1)
	v_dual_min_f32 v35, v35, v43 :: v_dual_add_f32 v32, v32, v34
	v_add_f32_e32 v33, v33, v35
	s_delay_alu instid0(VALU_DEP_1) | instskip(NEXT) | instid1(VALU_DEP_1)
	v_add_f32_e32 v32, v32, v33
	v_add_f32_e32 v34, v32, v42
	v_add_co_u32 v32, vcc_lo, v38, v36
	v_add_co_ci_u32_e32 v33, vcc_lo, v39, v37, vcc_lo
	global_store_b32 v[32:33], v34, off
	s_or_b32 exec_lo, exec_lo, s0
	s_and_b32 s1, s1, s8
	s_delay_alu instid0(SALU_CYCLE_1)
	s_and_saveexec_b32 s0, s1
	s_cbranch_execz .LBB31_158
.LBB31_169:
	v_cmp_ne_u32_e32 vcc_lo, 1, v101
	v_lshlrev_b64 v[32:33], 2, v[50:51]
	s_cbranch_vccnz .LBB31_171
; %bb.170:
	s_delay_alu instid0(VALU_DEP_1) | instskip(NEXT) | instid1(VALU_DEP_2)
	v_add_co_u32 v34, vcc_lo, v40, v32
	v_add_co_ci_u32_e32 v35, vcc_lo, v41, v33, vcc_lo
	flat_load_b32 v34, v[34:35]
	s_waitcnt vmcnt(0) lgkmcnt(0)
	v_mul_f32_e32 v34, s15, v34
	s_branch .LBB31_172
.LBB31_171:
	v_mov_b32_e32 v34, 0
.LBB31_172:
	v_dual_max_f32 v35, v5, v5 :: v_dual_max_f32 v36, v4, v4
	v_dual_max_f32 v29, v29, v29 :: v_dual_max_f32 v28, v28, v28
	v_max_f32_e32 v37, v6, v6
	s_delay_alu instid0(VALU_DEP_2) | instskip(NEXT) | instid1(VALU_DEP_3)
	v_dual_max_f32 v30, v30, v30 :: v_dual_min_f32 v29, v29, v35
	v_dual_min_f32 v28, v28, v36 :: v_dual_max_f32 v35, v7, v7
	s_delay_alu instid0(VALU_DEP_2) | instskip(NEXT) | instid1(VALU_DEP_2)
	v_dual_min_f32 v30, v30, v37 :: v_dual_max_f32 v31, v31, v31
	v_dual_add_f32 v28, v78, v28 :: v_dual_add_f32 v29, v79, v29
	s_delay_alu instid0(VALU_DEP_1) | instskip(NEXT) | instid1(VALU_DEP_1)
	v_dual_add_f32 v28, v28, v30 :: v_dual_min_f32 v31, v31, v35
	v_add_f32_e32 v29, v29, v31
	s_delay_alu instid0(VALU_DEP_1) | instskip(NEXT) | instid1(VALU_DEP_1)
	v_add_f32_e32 v28, v28, v29
	v_add_f32_e32 v30, v28, v34
	v_add_co_u32 v28, vcc_lo, v38, v32
	v_add_co_ci_u32_e32 v29, vcc_lo, v39, v33, vcc_lo
	global_store_b32 v[28:29], v30, off
	s_or_b32 exec_lo, exec_lo, s0
	s_and_b32 s1, s2, s8
	s_delay_alu instid0(SALU_CYCLE_1)
	s_and_saveexec_b32 s0, s1
	s_cbranch_execz .LBB31_159
.LBB31_173:
	v_cmp_ne_u32_e32 vcc_lo, 1, v101
	v_lshlrev_b64 v[28:29], 2, v[52:53]
	s_cbranch_vccnz .LBB31_175
; %bb.174:
	s_delay_alu instid0(VALU_DEP_1) | instskip(NEXT) | instid1(VALU_DEP_2)
	v_add_co_u32 v30, vcc_lo, v40, v28
	v_add_co_ci_u32_e32 v31, vcc_lo, v41, v29, vcc_lo
	flat_load_b32 v30, v[30:31]
	s_waitcnt vmcnt(0) lgkmcnt(0)
	v_mul_f32_e32 v30, s15, v30
	s_branch .LBB31_176
.LBB31_175:
	v_mov_b32_e32 v30, 0
.LBB31_176:
	v_dual_max_f32 v31, v5, v5 :: v_dual_max_f32 v32, v4, v4
	v_dual_max_f32 v25, v25, v25 :: v_dual_max_f32 v24, v24, v24
	v_max_f32_e32 v33, v6, v6
	s_delay_alu instid0(VALU_DEP_2) | instskip(NEXT) | instid1(VALU_DEP_3)
	v_dual_max_f32 v26, v26, v26 :: v_dual_min_f32 v25, v25, v31
	v_dual_min_f32 v24, v24, v32 :: v_dual_max_f32 v31, v7, v7
	s_delay_alu instid0(VALU_DEP_2) | instskip(NEXT) | instid1(VALU_DEP_2)
	v_dual_min_f32 v26, v26, v33 :: v_dual_max_f32 v27, v27, v27
	v_dual_add_f32 v25, v76, v25 :: v_dual_add_f32 v24, v77, v24
	s_delay_alu instid0(VALU_DEP_1) | instskip(NEXT) | instid1(VALU_DEP_1)
	v_dual_min_f32 v27, v27, v31 :: v_dual_add_f32 v24, v24, v26
	v_add_f32_e32 v25, v25, v27
	s_delay_alu instid0(VALU_DEP_1) | instskip(NEXT) | instid1(VALU_DEP_1)
	v_add_f32_e32 v24, v24, v25
	v_add_f32_e32 v26, v24, v30
	v_add_co_u32 v24, vcc_lo, v38, v28
	v_add_co_ci_u32_e32 v25, vcc_lo, v39, v29, vcc_lo
	global_store_b32 v[24:25], v26, off
	s_or_b32 exec_lo, exec_lo, s0
	s_and_b32 s1, s3, s8
	s_delay_alu instid0(SALU_CYCLE_1)
	s_and_saveexec_b32 s0, s1
	s_cbranch_execz .LBB31_160
.LBB31_177:
	v_cmp_ne_u32_e32 vcc_lo, 1, v101
	v_lshlrev_b64 v[24:25], 2, v[54:55]
	s_cbranch_vccnz .LBB31_179
; %bb.178:
	s_delay_alu instid0(VALU_DEP_1) | instskip(NEXT) | instid1(VALU_DEP_2)
	v_add_co_u32 v26, vcc_lo, v40, v24
	v_add_co_ci_u32_e32 v27, vcc_lo, v41, v25, vcc_lo
	flat_load_b32 v26, v[26:27]
	s_waitcnt vmcnt(0) lgkmcnt(0)
	v_mul_f32_e32 v26, s15, v26
	s_branch .LBB31_180
.LBB31_179:
	v_mov_b32_e32 v26, 0
.LBB31_180:
	v_dual_max_f32 v27, v5, v5 :: v_dual_max_f32 v28, v4, v4
	v_dual_max_f32 v21, v21, v21 :: v_dual_max_f32 v20, v20, v20
	v_max_f32_e32 v29, v6, v6
	s_delay_alu instid0(VALU_DEP_2) | instskip(NEXT) | instid1(VALU_DEP_3)
	v_dual_max_f32 v22, v22, v22 :: v_dual_min_f32 v21, v21, v27
	v_dual_min_f32 v20, v20, v28 :: v_dual_max_f32 v27, v7, v7
	s_delay_alu instid0(VALU_DEP_2) | instskip(NEXT) | instid1(VALU_DEP_2)
	v_min_f32_e32 v22, v22, v29
	v_dual_add_f32 v21, v74, v21 :: v_dual_add_f32 v20, v75, v20
	s_delay_alu instid0(VALU_DEP_1) | instskip(NEXT) | instid1(VALU_DEP_1)
	v_dual_max_f32 v23, v23, v23 :: v_dual_add_f32 v20, v20, v22
	v_min_f32_e32 v23, v23, v27
	s_delay_alu instid0(VALU_DEP_1) | instskip(NEXT) | instid1(VALU_DEP_1)
	v_add_f32_e32 v21, v21, v23
	v_add_f32_e32 v20, v20, v21
	s_delay_alu instid0(VALU_DEP_1)
	v_add_f32_e32 v22, v20, v26
	v_add_co_u32 v20, vcc_lo, v38, v24
	v_add_co_ci_u32_e32 v21, vcc_lo, v39, v25, vcc_lo
	global_store_b32 v[20:21], v22, off
	s_or_b32 exec_lo, exec_lo, s0
	s_and_b32 s1, s4, s8
	s_delay_alu instid0(SALU_CYCLE_1)
	s_and_saveexec_b32 s0, s1
	s_cbranch_execz .LBB31_161
.LBB31_181:
	v_cmp_ne_u32_e32 vcc_lo, 1, v101
	v_lshlrev_b64 v[20:21], 2, v[56:57]
	s_cbranch_vccnz .LBB31_183
; %bb.182:
	s_delay_alu instid0(VALU_DEP_1) | instskip(NEXT) | instid1(VALU_DEP_2)
	v_add_co_u32 v22, vcc_lo, v40, v20
	v_add_co_ci_u32_e32 v23, vcc_lo, v41, v21, vcc_lo
	flat_load_b32 v22, v[22:23]
	s_waitcnt vmcnt(0) lgkmcnt(0)
	v_mul_f32_e32 v22, s15, v22
	s_branch .LBB31_184
.LBB31_183:
	v_mov_b32_e32 v22, 0
.LBB31_184:
	v_dual_max_f32 v23, v5, v5 :: v_dual_max_f32 v24, v4, v4
	v_dual_max_f32 v17, v17, v17 :: v_dual_max_f32 v16, v16, v16
	v_max_f32_e32 v25, v6, v6
	s_delay_alu instid0(VALU_DEP_2) | instskip(NEXT) | instid1(VALU_DEP_3)
	v_dual_max_f32 v18, v18, v18 :: v_dual_min_f32 v17, v17, v23
	v_dual_min_f32 v16, v16, v24 :: v_dual_max_f32 v23, v7, v7
	s_delay_alu instid0(VALU_DEP_2) | instskip(NEXT) | instid1(VALU_DEP_2)
	v_dual_min_f32 v18, v18, v25 :: v_dual_max_f32 v19, v19, v19
	v_dual_add_f32 v16, v72, v16 :: v_dual_add_f32 v17, v73, v17
	s_delay_alu instid0(VALU_DEP_1) | instskip(NEXT) | instid1(VALU_DEP_1)
	v_dual_add_f32 v16, v16, v18 :: v_dual_min_f32 v19, v19, v23
	v_add_f32_e32 v17, v17, v19
	s_delay_alu instid0(VALU_DEP_1) | instskip(NEXT) | instid1(VALU_DEP_1)
	v_add_f32_e32 v16, v16, v17
	v_add_f32_e32 v18, v16, v22
	v_add_co_u32 v16, vcc_lo, v38, v20
	v_add_co_ci_u32_e32 v17, vcc_lo, v39, v21, vcc_lo
	global_store_b32 v[16:17], v18, off
	s_or_b32 exec_lo, exec_lo, s0
	s_and_b32 s1, s5, s8
	s_delay_alu instid0(SALU_CYCLE_1)
	s_and_saveexec_b32 s0, s1
	s_cbranch_execz .LBB31_162
.LBB31_185:
	v_cmp_ne_u32_e32 vcc_lo, 1, v101
	v_lshlrev_b64 v[16:17], 2, v[58:59]
	s_cbranch_vccnz .LBB31_187
; %bb.186:
	s_delay_alu instid0(VALU_DEP_1) | instskip(NEXT) | instid1(VALU_DEP_2)
	v_add_co_u32 v18, vcc_lo, v40, v16
	v_add_co_ci_u32_e32 v19, vcc_lo, v41, v17, vcc_lo
	flat_load_b32 v18, v[18:19]
	s_waitcnt vmcnt(0) lgkmcnt(0)
	v_mul_f32_e32 v18, s15, v18
	s_branch .LBB31_188
.LBB31_187:
	v_mov_b32_e32 v18, 0
.LBB31_188:
	v_dual_max_f32 v19, v5, v5 :: v_dual_max_f32 v20, v4, v4
	v_dual_max_f32 v13, v13, v13 :: v_dual_max_f32 v12, v12, v12
	v_max_f32_e32 v21, v6, v6
	s_delay_alu instid0(VALU_DEP_2) | instskip(NEXT) | instid1(VALU_DEP_3)
	v_dual_max_f32 v14, v14, v14 :: v_dual_min_f32 v13, v13, v19
	v_dual_min_f32 v12, v12, v20 :: v_dual_max_f32 v19, v7, v7
	s_delay_alu instid0(VALU_DEP_2) | instskip(NEXT) | instid1(VALU_DEP_2)
	v_min_f32_e32 v14, v14, v21
	v_dual_add_f32 v13, v70, v13 :: v_dual_add_f32 v12, v71, v12
	s_delay_alu instid0(VALU_DEP_1) | instskip(NEXT) | instid1(VALU_DEP_1)
	v_dual_max_f32 v15, v15, v15 :: v_dual_add_f32 v12, v12, v14
	v_min_f32_e32 v15, v15, v19
	s_delay_alu instid0(VALU_DEP_1) | instskip(NEXT) | instid1(VALU_DEP_1)
	v_add_f32_e32 v13, v13, v15
	v_add_f32_e32 v12, v12, v13
	s_delay_alu instid0(VALU_DEP_1)
	v_add_f32_e32 v14, v12, v18
	v_add_co_u32 v12, vcc_lo, v38, v16
	v_add_co_ci_u32_e32 v13, vcc_lo, v39, v17, vcc_lo
	global_store_b32 v[12:13], v14, off
	s_or_b32 exec_lo, exec_lo, s0
	s_and_b32 s1, s6, s8
	s_delay_alu instid0(SALU_CYCLE_1)
	s_and_saveexec_b32 s0, s1
	s_cbranch_execz .LBB31_163
.LBB31_189:
	v_cmp_ne_u32_e32 vcc_lo, 1, v101
	v_lshlrev_b64 v[12:13], 2, v[60:61]
	s_cbranch_vccnz .LBB31_191
; %bb.190:
	s_delay_alu instid0(VALU_DEP_1) | instskip(NEXT) | instid1(VALU_DEP_2)
	v_add_co_u32 v14, vcc_lo, v40, v12
	v_add_co_ci_u32_e32 v15, vcc_lo, v41, v13, vcc_lo
	flat_load_b32 v14, v[14:15]
	s_waitcnt vmcnt(0) lgkmcnt(0)
	v_mul_f32_e32 v14, s15, v14
	s_branch .LBB31_192
.LBB31_191:
	v_mov_b32_e32 v14, 0
.LBB31_192:
	v_dual_max_f32 v15, v5, v5 :: v_dual_max_f32 v16, v4, v4
	v_dual_max_f32 v9, v9, v9 :: v_dual_max_f32 v8, v8, v8
	v_max_f32_e32 v17, v6, v6
	s_delay_alu instid0(VALU_DEP_2) | instskip(NEXT) | instid1(VALU_DEP_3)
	v_dual_max_f32 v10, v10, v10 :: v_dual_min_f32 v9, v9, v15
	v_dual_min_f32 v8, v8, v16 :: v_dual_max_f32 v15, v7, v7
	s_delay_alu instid0(VALU_DEP_2) | instskip(NEXT) | instid1(VALU_DEP_2)
	v_dual_min_f32 v10, v10, v17 :: v_dual_max_f32 v11, v11, v11
	v_dual_add_f32 v8, v68, v8 :: v_dual_add_f32 v9, v69, v9
	s_delay_alu instid0(VALU_DEP_1) | instskip(NEXT) | instid1(VALU_DEP_1)
	v_dual_add_f32 v8, v8, v10 :: v_dual_min_f32 v11, v11, v15
	v_add_f32_e32 v9, v9, v11
	s_delay_alu instid0(VALU_DEP_1) | instskip(NEXT) | instid1(VALU_DEP_1)
	v_add_f32_e32 v8, v8, v9
	v_add_f32_e32 v10, v8, v14
	v_add_co_u32 v8, vcc_lo, v38, v12
	v_add_co_ci_u32_e32 v9, vcc_lo, v39, v13, vcc_lo
	global_store_b32 v[8:9], v10, off
	s_or_b32 exec_lo, exec_lo, s0
	s_and_b32 s0, s7, s8
	s_delay_alu instid0(SALU_CYCLE_1)
	s_and_saveexec_b32 s1, s0
	s_cbranch_execz .LBB31_164
.LBB31_193:
	v_cmp_ne_u32_e32 vcc_lo, 1, v101
	v_lshlrev_b64 v[8:9], 2, v[62:63]
	s_cbranch_vccnz .LBB31_195
; %bb.194:
	s_delay_alu instid0(VALU_DEP_1) | instskip(NEXT) | instid1(VALU_DEP_2)
	v_add_co_u32 v10, vcc_lo, v40, v8
	v_add_co_ci_u32_e32 v11, vcc_lo, v41, v9, vcc_lo
	flat_load_b32 v10, v[10:11]
	s_waitcnt vmcnt(0) lgkmcnt(0)
	v_mul_f32_e32 v10, s15, v10
	s_branch .LBB31_196
.LBB31_195:
	v_mov_b32_e32 v10, 0
.LBB31_196:
	v_dual_max_f32 v5, v5, v5 :: v_dual_max_f32 v4, v4, v4
	v_dual_max_f32 v1, v1, v1 :: v_dual_max_f32 v0, v0, v0
	v_max_f32_e32 v6, v6, v6
	v_dual_max_f32 v2, v2, v2 :: v_dual_max_f32 v3, v3, v3
	s_delay_alu instid0(VALU_DEP_3) | instskip(NEXT) | instid1(VALU_DEP_2)
	v_dual_min_f32 v1, v1, v5 :: v_dual_min_f32 v0, v0, v4
	v_dual_max_f32 v5, v7, v7 :: v_dual_min_f32 v2, v2, v6
	s_delay_alu instid0(VALU_DEP_2) | instskip(NEXT) | instid1(VALU_DEP_1)
	v_dual_add_f32 v1, v67, v1 :: v_dual_add_f32 v0, v66, v0
	v_dual_min_f32 v3, v3, v5 :: v_dual_add_f32 v0, v0, v2
	s_delay_alu instid0(VALU_DEP_1) | instskip(NEXT) | instid1(VALU_DEP_1)
	v_add_f32_e32 v1, v1, v3
	v_add_f32_e32 v0, v0, v1
	s_delay_alu instid0(VALU_DEP_1)
	v_add_f32_e32 v2, v0, v10
	v_add_co_u32 v0, vcc_lo, v38, v8
	v_add_co_ci_u32_e32 v1, vcc_lo, v39, v9, vcc_lo
	global_store_b32 v[0:1], v2, off
	s_nop 0
	s_sendmsg sendmsg(MSG_DEALLOC_VGPRS)
	s_endpgm
	.section	.rodata,"a",@progbits
	.p2align	6, 0x0
	.amdhsa_kernel _ZN12_GLOBAL__N_120geam_min_plus_kernelIf15HIP_vector_typeIfLj2EES2_Li8ELi32ELi64ELi128ELi4ELi64ELi4ELi4ELi64ELc78ELc78ELb1ELb1ELb0EfKPKfKPfEEviiiT16_PT17_ilSA_ilS8_SA_ilPT18_ili26rocblas_geam_ex_operation_
		.amdhsa_group_segment_fixed_size 6144
		.amdhsa_private_segment_fixed_size 0
		.amdhsa_kernarg_size 128
		.amdhsa_user_sgpr_count 14
		.amdhsa_user_sgpr_dispatch_ptr 0
		.amdhsa_user_sgpr_queue_ptr 0
		.amdhsa_user_sgpr_kernarg_segment_ptr 1
		.amdhsa_user_sgpr_dispatch_id 0
		.amdhsa_user_sgpr_private_segment_size 0
		.amdhsa_wavefront_size32 1
		.amdhsa_uses_dynamic_stack 0
		.amdhsa_enable_private_segment 0
		.amdhsa_system_sgpr_workgroup_id_x 1
		.amdhsa_system_sgpr_workgroup_id_y 0
		.amdhsa_system_sgpr_workgroup_id_z 1
		.amdhsa_system_sgpr_workgroup_info 0
		.amdhsa_system_vgpr_workitem_id 1
		.amdhsa_next_free_vgpr 231
		.amdhsa_next_free_sgpr 25
		.amdhsa_reserve_vcc 1
		.amdhsa_float_round_mode_32 0
		.amdhsa_float_round_mode_16_64 0
		.amdhsa_float_denorm_mode_32 3
		.amdhsa_float_denorm_mode_16_64 3
		.amdhsa_dx10_clamp 1
		.amdhsa_ieee_mode 1
		.amdhsa_fp16_overflow 0
		.amdhsa_workgroup_processor_mode 1
		.amdhsa_memory_ordered 1
		.amdhsa_forward_progress 0
		.amdhsa_shared_vgpr_count 0
		.amdhsa_exception_fp_ieee_invalid_op 0
		.amdhsa_exception_fp_denorm_src 0
		.amdhsa_exception_fp_ieee_div_zero 0
		.amdhsa_exception_fp_ieee_overflow 0
		.amdhsa_exception_fp_ieee_underflow 0
		.amdhsa_exception_fp_ieee_inexact 0
		.amdhsa_exception_int_div_zero 0
	.end_amdhsa_kernel
	.section	.text._ZN12_GLOBAL__N_120geam_min_plus_kernelIf15HIP_vector_typeIfLj2EES2_Li8ELi32ELi64ELi128ELi4ELi64ELi4ELi4ELi64ELc78ELc78ELb1ELb1ELb0EfKPKfKPfEEviiiT16_PT17_ilSA_ilS8_SA_ilPT18_ili26rocblas_geam_ex_operation_,"axG",@progbits,_ZN12_GLOBAL__N_120geam_min_plus_kernelIf15HIP_vector_typeIfLj2EES2_Li8ELi32ELi64ELi128ELi4ELi64ELi4ELi4ELi64ELc78ELc78ELb1ELb1ELb0EfKPKfKPfEEviiiT16_PT17_ilSA_ilS8_SA_ilPT18_ili26rocblas_geam_ex_operation_,comdat
.Lfunc_end31:
	.size	_ZN12_GLOBAL__N_120geam_min_plus_kernelIf15HIP_vector_typeIfLj2EES2_Li8ELi32ELi64ELi128ELi4ELi64ELi4ELi4ELi64ELc78ELc78ELb1ELb1ELb0EfKPKfKPfEEviiiT16_PT17_ilSA_ilS8_SA_ilPT18_ili26rocblas_geam_ex_operation_, .Lfunc_end31-_ZN12_GLOBAL__N_120geam_min_plus_kernelIf15HIP_vector_typeIfLj2EES2_Li8ELi32ELi64ELi128ELi4ELi64ELi4ELi4ELi64ELc78ELc78ELb1ELb1ELb0EfKPKfKPfEEviiiT16_PT17_ilSA_ilS8_SA_ilPT18_ili26rocblas_geam_ex_operation_
                                        ; -- End function
	.section	.AMDGPU.csdata,"",@progbits
; Kernel info:
; codeLenInByte = 13268
; NumSgprs: 27
; NumVgprs: 231
; ScratchSize: 0
; MemoryBound: 0
; FloatMode: 240
; IeeeMode: 1
; LDSByteSize: 6144 bytes/workgroup (compile time only)
; SGPRBlocks: 3
; VGPRBlocks: 28
; NumSGPRsForWavesPerEU: 27
; NumVGPRsForWavesPerEU: 231
; Occupancy: 6
; WaveLimiterHint : 1
; COMPUTE_PGM_RSRC2:SCRATCH_EN: 0
; COMPUTE_PGM_RSRC2:USER_SGPR: 14
; COMPUTE_PGM_RSRC2:TRAP_HANDLER: 0
; COMPUTE_PGM_RSRC2:TGID_X_EN: 1
; COMPUTE_PGM_RSRC2:TGID_Y_EN: 0
; COMPUTE_PGM_RSRC2:TGID_Z_EN: 1
; COMPUTE_PGM_RSRC2:TIDIG_COMP_CNT: 1
	.section	.text._ZN12_GLOBAL__N_120geam_min_plus_kernelIf15HIP_vector_typeIfLj2EES2_Li8ELi32ELi64ELi128ELi4ELi64ELi4ELi4ELi64ELc78ELc78ELb0ELb1ELb0EfKPKfKPfEEviiiT16_PT17_ilSA_ilS8_SA_ilPT18_ili26rocblas_geam_ex_operation_,"axG",@progbits,_ZN12_GLOBAL__N_120geam_min_plus_kernelIf15HIP_vector_typeIfLj2EES2_Li8ELi32ELi64ELi128ELi4ELi64ELi4ELi4ELi64ELc78ELc78ELb0ELb1ELb0EfKPKfKPfEEviiiT16_PT17_ilSA_ilS8_SA_ilPT18_ili26rocblas_geam_ex_operation_,comdat
	.globl	_ZN12_GLOBAL__N_120geam_min_plus_kernelIf15HIP_vector_typeIfLj2EES2_Li8ELi32ELi64ELi128ELi4ELi64ELi4ELi4ELi64ELc78ELc78ELb0ELb1ELb0EfKPKfKPfEEviiiT16_PT17_ilSA_ilS8_SA_ilPT18_ili26rocblas_geam_ex_operation_ ; -- Begin function _ZN12_GLOBAL__N_120geam_min_plus_kernelIf15HIP_vector_typeIfLj2EES2_Li8ELi32ELi64ELi128ELi4ELi64ELi4ELi4ELi64ELc78ELc78ELb0ELb1ELb0EfKPKfKPfEEviiiT16_PT17_ilSA_ilS8_SA_ilPT18_ili26rocblas_geam_ex_operation_
	.p2align	8
	.type	_ZN12_GLOBAL__N_120geam_min_plus_kernelIf15HIP_vector_typeIfLj2EES2_Li8ELi32ELi64ELi128ELi4ELi64ELi4ELi4ELi64ELc78ELc78ELb0ELb1ELb0EfKPKfKPfEEviiiT16_PT17_ilSA_ilS8_SA_ilPT18_ili26rocblas_geam_ex_operation_,@function
_ZN12_GLOBAL__N_120geam_min_plus_kernelIf15HIP_vector_typeIfLj2EES2_Li8ELi32ELi64ELi128ELi4ELi64ELi4ELi4ELi64ELc78ELc78ELb0ELb1ELb0EfKPKfKPfEEviiiT16_PT17_ilSA_ilS8_SA_ilPT18_ili26rocblas_geam_ex_operation_: ; @_ZN12_GLOBAL__N_120geam_min_plus_kernelIf15HIP_vector_typeIfLj2EES2_Li8ELi32ELi64ELi128ELi4ELi64ELi4ELi4ELi64ELc78ELc78ELb0ELb1ELb0EfKPKfKPfEEviiiT16_PT17_ilSA_ilS8_SA_ilPT18_ili26rocblas_geam_ex_operation_
; %bb.0:
	s_clause 0x1
	s_load_b128 s[16:19], s[0:1], 0x0
	s_load_b128 s[4:7], s[0:1], 0x20
	s_mov_b32 s2, s15
	s_mov_b32 s3, 0
	s_waitcnt lgkmcnt(0)
	v_cmp_eq_f32_e64 s8, s19, 0
	v_cmp_neq_f32_e64 s23, s19, 0
	s_delay_alu instid0(VALU_DEP_2)
	s_and_b32 vcc_lo, exec_lo, s8
	s_cbranch_vccnz .LBB32_3
; %bb.1:
	s_load_b64 s[10:11], s[0:1], 0x10
	s_lshl_b64 s[12:13], s[2:3], 3
	s_waitcnt lgkmcnt(0)
	s_add_u32 s10, s10, s12
	s_addc_u32 s11, s11, s13
	s_lshl_b64 s[4:5], s[4:5], 2
	s_load_b64 s[10:11], s[10:11], 0x0
	s_waitcnt lgkmcnt(0)
	s_add_u32 s12, s10, s4
	s_addc_u32 s13, s11, s5
	s_and_not1_b32 vcc_lo, exec_lo, s8
	s_cbranch_vccnz .LBB32_4
.LBB32_2:
	s_mov_b64 s[8:9], 0
	s_and_not1_b32 vcc_lo, exec_lo, s3
	s_cbranch_vccz .LBB32_5
	s_branch .LBB32_6
.LBB32_3:
	s_mov_b64 s[12:13], 0
	s_and_not1_b32 vcc_lo, exec_lo, s8
	s_cbranch_vccz .LBB32_2
.LBB32_4:
	s_mov_b32 s3, -1
                                        ; implicit-def: $sgpr8_sgpr9
.LBB32_5:
	s_mov_b32 s3, 0
	s_load_b64 s[8:9], s[0:1], 0x38
	s_lshl_b64 s[4:5], s[2:3], 3
	s_delay_alu instid0(SALU_CYCLE_1) | instskip(SKIP_4) | instid1(SALU_CYCLE_1)
	s_add_u32 s4, s6, s4
	s_addc_u32 s5, s7, s5
	s_load_b64 s[4:5], s[4:5], 0x0
	s_waitcnt lgkmcnt(0)
	s_lshl_b64 s[6:7], s[8:9], 2
	s_add_u32 s8, s4, s6
	s_addc_u32 s9, s5, s7
.LBB32_6:
	s_clause 0x1
	s_load_b32 s15, s[0:1], 0x40
	s_load_b128 s[4:7], s[0:1], 0x58
	s_waitcnt lgkmcnt(0)
	v_cmp_eq_f32_e64 s10, s15, 0
	v_cmp_neq_f32_e64 s22, s15, 0
	s_delay_alu instid0(VALU_DEP_2)
	s_and_b32 vcc_lo, exec_lo, s10
	s_cbranch_vccnz .LBB32_8
; %bb.7:
	s_load_b64 s[10:11], s[0:1], 0x48
	s_lshl_b64 s[20:21], s[2:3], 3
	s_waitcnt lgkmcnt(0)
	s_add_u32 s10, s10, s20
	s_addc_u32 s11, s11, s21
	s_lshl_b64 s[4:5], s[4:5], 2
	s_load_b64 s[10:11], s[10:11], 0x0
	s_waitcnt lgkmcnt(0)
	s_add_u32 s10, s10, s4
	s_addc_u32 s11, s11, s5
	s_branch .LBB32_9
.LBB32_8:
	s_mov_b64 s[10:11], 0
.LBB32_9:
	s_load_b32 s20, s[0:1], 0x18
	s_lshl_b64 s[2:3], s[2:3], 3
	v_dual_mov_b32 v9, 0 :: v_dual_and_b32 v56, 0x3ff, v0
	v_bfe_u32 v57, v0, 10, 10
	v_mov_b32_e32 v8, 0
	s_delay_alu instid0(VALU_DEP_2) | instskip(NEXT) | instid1(VALU_DEP_1)
	v_lshl_add_u32 v2, v57, 3, v56
	v_and_b32_e32 v7, 63, v2
	v_lshrrev_b32_e32 v58, 6, v2
	s_waitcnt lgkmcnt(0)
	s_ashr_i32 s21, s20, 31
	s_add_u32 s4, s6, s2
	s_addc_u32 s5, s7, s3
	s_add_i32 s2, s16, -1
	s_load_b64 s[4:5], s[4:5], 0x0
	s_ashr_i32 s3, s2, 31
	s_delay_alu instid0(SALU_CYCLE_1) | instskip(NEXT) | instid1(SALU_CYCLE_1)
	s_lshr_b32 s3, s3, 26
	s_add_i32 s2, s2, s3
	s_delay_alu instid0(SALU_CYCLE_1) | instskip(NEXT) | instid1(SALU_CYCLE_1)
	s_ashr_i32 s2, s2, 6
	s_add_i32 s6, s2, 1
	s_not_b32 s2, s2
	v_cvt_f32_u32_e32 v1, s6
	s_delay_alu instid0(VALU_DEP_1) | instskip(SKIP_2) | instid1(VALU_DEP_1)
	v_rcp_iflag_f32_e32 v1, v1
	s_waitcnt_depctr 0xfff
	v_mul_f32_e32 v1, 0x4f7ffffe, v1
	v_cvt_u32_f32_e32 v1, v1
	s_delay_alu instid0(VALU_DEP_1) | instskip(NEXT) | instid1(VALU_DEP_1)
	v_readfirstlane_b32 s3, v1
	s_mul_i32 s2, s2, s3
	s_delay_alu instid0(SALU_CYCLE_1) | instskip(NEXT) | instid1(SALU_CYCLE_1)
	s_mul_hi_u32 s2, s3, s2
	s_add_i32 s3, s3, s2
	s_delay_alu instid0(SALU_CYCLE_1) | instskip(NEXT) | instid1(SALU_CYCLE_1)
	s_mul_hi_u32 s2, s14, s3
	s_mul_i32 s3, s2, s6
	s_add_i32 s7, s2, 1
	s_sub_i32 s3, s14, s3
	s_delay_alu instid0(SALU_CYCLE_1)
	s_sub_i32 s24, s3, s6
	s_cmp_ge_u32 s3, s6
	s_cselect_b32 s2, s7, s2
	s_cselect_b32 s3, s24, s3
	s_add_i32 s7, s2, 1
	s_cmp_ge_u32 s3, s6
	s_cselect_b32 s3, s7, s2
	s_delay_alu instid0(SALU_CYCLE_1) | instskip(NEXT) | instid1(SALU_CYCLE_1)
	s_mul_i32 s2, s3, s6
	s_sub_i32 s2, s14, s2
	s_delay_alu instid0(SALU_CYCLE_1) | instskip(SKIP_2) | instid1(VALU_DEP_1)
	s_lshl_b32 s14, s2, 6
	v_cmp_gt_i32_e64 s2, s18, v58
	v_or_b32_e32 v0, s14, v7
	v_cmp_gt_i32_e32 vcc_lo, s16, v0
	v_ashrrev_i32_e32 v1, 31, v0
	s_delay_alu instid0(VALU_DEP_4) | instskip(NEXT) | instid1(SALU_CYCLE_1)
	s_and_b32 s2, s2, vcc_lo
	s_and_b32 s2, s23, s2
	s_delay_alu instid0(SALU_CYCLE_1)
	s_and_saveexec_b32 s6, s2
	s_cbranch_execz .LBB32_11
; %bb.10:
	v_mad_i64_i32 v[3:4], null, s20, v58, 0
	v_lshlrev_b64 v[5:6], 2, v[0:1]
	s_delay_alu instid0(VALU_DEP_2) | instskip(NEXT) | instid1(VALU_DEP_1)
	v_lshlrev_b64 v[3:4], 2, v[3:4]
	v_add_co_u32 v3, s2, s12, v3
	s_delay_alu instid0(VALU_DEP_1) | instskip(NEXT) | instid1(VALU_DEP_2)
	v_add_co_ci_u32_e64 v4, s2, s13, v4, s2
	v_add_co_u32 v3, s2, v3, v5
	s_delay_alu instid0(VALU_DEP_1)
	v_add_co_ci_u32_e64 v4, s2, v4, v6, s2
	flat_load_b32 v3, v[3:4]
	s_waitcnt vmcnt(0) lgkmcnt(0)
	v_mul_f32_e32 v9, s19, v3
.LBB32_11:
	s_or_b32 exec_lo, exec_lo, s6
	v_and_b32_e32 v59, 3, v56
	s_add_i32 s25, s18, -1
	v_lshrrev_b32_e32 v10, 2, v2
	s_load_b32 s6, s[0:1], 0x30
	s_lshl_b32 s24, s3, 7
	v_min_i32_e32 v3, s25, v59
	s_xor_b32 s7, s23, -1
	v_add_nc_u32_e32 v2, s24, v10
	v_cmp_le_i32_e64 s2, s18, v59
	s_delay_alu instid0(VALU_DEP_3) | instskip(NEXT) | instid1(VALU_DEP_3)
	v_ashrrev_i32_e32 v4, 31, v3
	v_cmp_le_i32_e64 s3, s17, v2
	s_delay_alu instid0(VALU_DEP_2) | instskip(NEXT) | instid1(VALU_DEP_2)
	v_lshlrev_b64 v[3:4], 2, v[3:4]
	s_or_b32 s26, s3, s7
	s_delay_alu instid0(VALU_DEP_1) | instskip(NEXT) | instid1(VALU_DEP_1)
	v_add_co_u32 v5, s3, s8, v3
	v_add_co_ci_u32_e64 v6, s3, s9, v4, s3
	s_or_b32 s3, s2, s26
	s_delay_alu instid0(SALU_CYCLE_1) | instskip(NEXT) | instid1(SALU_CYCLE_1)
	s_xor_b32 s3, s3, -1
	s_and_saveexec_b32 s27, s3
	s_cbranch_execz .LBB32_13
; %bb.12:
	s_waitcnt lgkmcnt(0)
	v_mad_i64_i32 v[3:4], null, v2, s6, 0
	s_delay_alu instid0(VALU_DEP_1) | instskip(NEXT) | instid1(VALU_DEP_1)
	v_lshlrev_b64 v[3:4], 2, v[3:4]
	v_add_co_u32 v3, s3, v5, v3
	s_delay_alu instid0(VALU_DEP_1)
	v_add_co_ci_u32_e64 v4, s3, v6, v4, s3
	flat_load_b32 v3, v[3:4]
	s_waitcnt vmcnt(0) lgkmcnt(0)
	v_mul_f32_e32 v8, s19, v3
.LBB32_13:
	s_or_b32 exec_lo, exec_lo, s27
	v_dual_mov_b32 v4, 0 :: v_dual_add_nc_u32 v3, 64, v2
	v_mov_b32_e32 v11, 0
	s_delay_alu instid0(VALU_DEP_2) | instskip(NEXT) | instid1(VALU_DEP_1)
	v_cmp_le_i32_e64 s3, s17, v3
	s_or_b32 s27, s3, s7
	s_delay_alu instid0(SALU_CYCLE_1) | instskip(NEXT) | instid1(SALU_CYCLE_1)
	s_or_b32 s2, s2, s27
	s_xor_b32 s2, s2, -1
	s_delay_alu instid0(SALU_CYCLE_1)
	s_and_saveexec_b32 s3, s2
	s_cbranch_execz .LBB32_15
; %bb.14:
	s_waitcnt lgkmcnt(0)
	v_mad_i64_i32 v[11:12], null, v3, s6, 0
	s_delay_alu instid0(VALU_DEP_1) | instskip(NEXT) | instid1(VALU_DEP_1)
	v_lshlrev_b64 v[11:12], 2, v[11:12]
	v_add_co_u32 v5, s2, v5, v11
	s_delay_alu instid0(VALU_DEP_1)
	v_add_co_ci_u32_e64 v6, s2, v6, v12, s2
	flat_load_b32 v5, v[5:6]
	s_waitcnt vmcnt(0) lgkmcnt(0)
	v_mul_f32_e32 v11, s19, v5
.LBB32_15:
	s_or_b32 exec_lo, exec_lo, s3
	v_add_nc_u32_e32 v5, 4, v58
	s_delay_alu instid0(VALU_DEP_1) | instskip(NEXT) | instid1(VALU_DEP_1)
	v_cmp_gt_i32_e64 s2, s18, v5
	s_and_b32 s2, vcc_lo, s2
	s_delay_alu instid0(SALU_CYCLE_1) | instskip(NEXT) | instid1(SALU_CYCLE_1)
	s_and_b32 s2, s23, s2
	s_and_saveexec_b32 s3, s2
	s_cbranch_execz .LBB32_17
; %bb.16:
	v_mad_u64_u32 v[12:13], null, s20, v5, 0
	s_delay_alu instid0(VALU_DEP_1) | instskip(NEXT) | instid1(VALU_DEP_1)
	v_mov_b32_e32 v4, v13
	v_mad_u64_u32 v[13:14], null, s21, v5, v[4:5]
	s_delay_alu instid0(VALU_DEP_1) | instskip(SKIP_1) | instid1(VALU_DEP_2)
	v_lshlrev_b64 v[4:5], 2, v[12:13]
	v_lshlrev_b64 v[12:13], 2, v[0:1]
	v_add_co_u32 v4, s2, s12, v4
	s_delay_alu instid0(VALU_DEP_1) | instskip(NEXT) | instid1(VALU_DEP_2)
	v_add_co_ci_u32_e64 v5, s2, s13, v5, s2
	v_add_co_u32 v4, s2, v4, v12
	s_delay_alu instid0(VALU_DEP_1)
	v_add_co_ci_u32_e64 v5, s2, v5, v13, s2
	flat_load_b32 v4, v[4:5]
	s_waitcnt vmcnt(0) lgkmcnt(0)
	v_mul_f32_e32 v4, s19, v4
.LBB32_17:
	s_or_b32 exec_lo, exec_lo, s3
	v_or_b32_e32 v14, 4, v59
	s_delay_alu instid0(VALU_DEP_1) | instskip(SKIP_1) | instid1(VALU_DEP_2)
	v_min_i32_e32 v5, s25, v14
	v_cmp_le_i32_e64 s2, s18, v14
	v_ashrrev_i32_e32 v6, 31, v5
	s_delay_alu instid0(VALU_DEP_1) | instskip(SKIP_1) | instid1(VALU_DEP_2)
	v_lshlrev_b64 v[12:13], 2, v[5:6]
	v_dual_mov_b32 v5, 0 :: v_dual_mov_b32 v6, 0
	v_add_co_u32 v12, s3, s8, v12
	s_delay_alu instid0(VALU_DEP_1) | instskip(SKIP_1) | instid1(SALU_CYCLE_1)
	v_add_co_ci_u32_e64 v13, s3, s9, v13, s3
	s_or_b32 s3, s2, s26
	s_xor_b32 s3, s3, -1
	s_delay_alu instid0(SALU_CYCLE_1)
	s_and_saveexec_b32 s7, s3
	s_cbranch_execz .LBB32_19
; %bb.18:
	s_waitcnt lgkmcnt(0)
	v_mad_i64_i32 v[14:15], null, v2, s6, 0
	s_delay_alu instid0(VALU_DEP_1) | instskip(NEXT) | instid1(VALU_DEP_1)
	v_lshlrev_b64 v[14:15], 2, v[14:15]
	v_add_co_u32 v14, s3, v12, v14
	s_delay_alu instid0(VALU_DEP_1)
	v_add_co_ci_u32_e64 v15, s3, v13, v15, s3
	flat_load_b32 v6, v[14:15]
	s_waitcnt vmcnt(0) lgkmcnt(0)
	v_mul_f32_e32 v6, s19, v6
.LBB32_19:
	s_or_b32 exec_lo, exec_lo, s7
	s_or_b32 s2, s2, s27
	s_delay_alu instid0(SALU_CYCLE_1) | instskip(NEXT) | instid1(SALU_CYCLE_1)
	s_xor_b32 s2, s2, -1
	s_and_saveexec_b32 s3, s2
	s_cbranch_execz .LBB32_21
; %bb.20:
	s_waitcnt lgkmcnt(0)
	v_mad_i64_i32 v[14:15], null, v3, s6, 0
	s_delay_alu instid0(VALU_DEP_1) | instskip(NEXT) | instid1(VALU_DEP_1)
	v_lshlrev_b64 v[14:15], 2, v[14:15]
	v_add_co_u32 v12, s2, v12, v14
	s_delay_alu instid0(VALU_DEP_1)
	v_add_co_ci_u32_e64 v13, s2, v13, v15, s2
	flat_load_b32 v5, v[12:13]
	s_waitcnt vmcnt(0) lgkmcnt(0)
	v_mul_f32_e32 v5, s19, v5
.LBB32_21:
	s_or_b32 exec_lo, exec_lo, s3
	v_lshlrev_b32_e32 v7, 4, v7
	v_lshlrev_b32_e32 v12, 2, v59
	;; [unrolled: 1-line block ×4, first 2 shown]
	s_mov_b32 s28, 0
	v_lshl_add_u32 v7, v58, 2, v7
	v_lshl_or_b32 v62, v10, 4, v12
	s_cmp_lt_i32 s18, 9
	ds_store_b32 v7, v9 offset:4096
	ds_store_2addr_stride64_b32 v62, v8, v11 offset1:4
	s_waitcnt lgkmcnt(0)
	s_barrier
	buffer_gl0_inv
	ds_load_b128 v[8:11], v60
	ds_load_b128 v[12:15], v61 offset:4096
	ds_load_b128 v[16:19], v61 offset:4224
	;; [unrolled: 1-line block ×11, first 2 shown]
	ds_store_b32 v7, v4 offset:5120
	ds_store_2addr_stride64_b32 v62, v6, v5 offset0:8 offset1:12
	s_waitcnt lgkmcnt(0)
	s_barrier
	buffer_gl0_inv
	v_max_f32_e32 v8, v8, v8
	v_dual_max_f32 v12, v12, v12 :: v_dual_max_f32 v13, v13, v13
	v_dual_max_f32 v9, v9, v9 :: v_dual_max_f32 v16, v16, v16
	v_dual_max_f32 v17, v17, v17 :: v_dual_max_f32 v20, v20, v20
	v_dual_max_f32 v21, v21, v21 :: v_dual_max_f32 v24, v24, v24
	v_dual_max_f32 v25, v25, v25 :: v_dual_max_f32 v28, v28, v28
	v_dual_max_f32 v29, v29, v29 :: v_dual_max_f32 v32, v32, v32
	v_dual_max_f32 v33, v33, v33 :: v_dual_max_f32 v36, v36, v36
	v_dual_max_f32 v37, v37, v37 :: v_dual_max_f32 v40, v40, v40
	v_dual_max_f32 v41, v41, v41 :: v_dual_max_f32 v44, v44, v44
	v_dual_min_f32 v63, v12, v8 :: v_dual_min_f32 v64, v13, v9
	v_dual_min_f32 v65, v16, v8 :: v_dual_min_f32 v66, v17, v9
	;; [unrolled: 1-line block ×7, first 2 shown]
	v_dual_min_f32 v8, v40, v8 :: v_dual_max_f32 v11, v11, v11
	v_dual_max_f32 v10, v10, v10 :: v_dual_max_f32 v45, v45, v45
	v_dual_min_f32 v9, v41, v9 :: v_dual_max_f32 v14, v14, v14
	v_max_f32_e32 v15, v15, v15
	s_delay_alu instid0(VALU_DEP_3)
	v_dual_min_f32 v77, v12, v44 :: v_dual_min_f32 v78, v13, v45
	v_dual_max_f32 v18, v18, v18 :: v_dual_max_f32 v19, v19, v19
	v_dual_min_f32 v79, v16, v44 :: v_dual_min_f32 v80, v17, v45
	v_dual_min_f32 v81, v20, v44 :: v_dual_min_f32 v82, v21, v45
	;; [unrolled: 1-line block ×4, first 2 shown]
	v_dual_min_f32 v87, v32, v44 :: v_dual_max_f32 v38, v38, v38
	v_dual_max_f32 v48, v48, v48 :: v_dual_max_f32 v39, v39, v39
	v_dual_min_f32 v88, v36, v44 :: v_dual_max_f32 v43, v43, v43
	v_dual_min_f32 v44, v40, v44 :: v_dual_max_f32 v49, v49, v49
	v_dual_max_f32 v51, v51, v51 :: v_dual_max_f32 v52, v52, v52
	v_dual_max_f32 v53, v53, v53 :: v_dual_max_f32 v54, v54, v54
	;; [unrolled: 1-line block ×5, first 2 shown]
	v_dual_min_f32 v89, v12, v48 :: v_dual_max_f32 v42, v42, v42
	v_dual_min_f32 v90, v16, v48 :: v_dual_max_f32 v47, v47, v47
	v_dual_max_f32 v46, v46, v46 :: v_dual_min_f32 v91, v20, v48
	v_dual_min_f32 v101, v24, v48 :: v_dual_max_f32 v50, v50, v50
	v_dual_max_f32 v55, v55, v55 :: v_dual_min_f32 v130, v36, v48
	v_min_f32_e32 v117, v28, v48
	v_dual_min_f32 v129, v32, v48 :: v_dual_min_f32 v92, v37, v45
	v_min_f32_e32 v48, v40, v48
	v_dual_min_f32 v12, v12, v52 :: v_dual_min_f32 v93, v13, v49
	v_dual_min_f32 v16, v16, v52 :: v_dual_min_f32 v95, v21, v49
	v_dual_min_f32 v20, v20, v52 :: v_dual_min_f32 v131, v25, v49
	v_dual_min_f32 v24, v24, v52 :: v_dual_min_f32 v133, v33, v49
	v_min_f32_e32 v28, v28, v52
	v_dual_min_f32 v32, v32, v52 :: v_dual_min_f32 v13, v13, v53
	v_min_f32_e32 v36, v36, v52
	v_dual_min_f32 v40, v40, v52 :: v_dual_min_f32 v21, v21, v53
	v_min_f32_e32 v52, v33, v45
	v_dual_min_f32 v94, v17, v49 :: v_dual_add_f32 v63, 0, v63
	v_dual_min_f32 v132, v29, v49 :: v_dual_min_f32 v97, v14, v10
	v_dual_min_f32 v134, v37, v49 :: v_dual_min_f32 v99, v18, v10
	v_dual_min_f32 v25, v25, v53 :: v_dual_add_f32 v64, 0, v64
	v_dual_min_f32 v29, v29, v53 :: v_dual_min_f32 v96, v15, v11
	v_dual_min_f32 v33, v33, v53 :: v_dual_add_f32 v66, 0, v66
	v_dual_min_f32 v37, v37, v53 :: v_dual_min_f32 v98, v19, v11
	s_delay_alu instid0(VALU_DEP_3)
	v_dual_add_f32 v65, 0, v65 :: v_dual_add_f32 v128, v64, v96
	v_dual_max_f32 v34, v34, v34 :: v_dual_max_f32 v35, v35, v35
	v_min_f32_e32 v45, v41, v45
	v_min_f32_e32 v49, v41, v49
	;; [unrolled: 1-line block ×3, first 2 shown]
	v_dual_min_f32 v41, v41, v53 :: v_dual_add_f32 v64, 0, v67
	v_dual_add_f32 v127, v63, v97 :: v_dual_add_f32 v126, v65, v99
	v_add_f32_e32 v125, v66, v98
	v_dual_add_f32 v53, 0, v68 :: v_dual_add_f32 v66, 0, v70
	v_dual_min_f32 v63, v23, v11 :: v_dual_add_f32 v70, 0, v72
	v_dual_min_f32 v65, v22, v10 :: v_dual_min_f32 v72, v31, v11
	v_dual_min_f32 v67, v27, v11 :: v_dual_add_f32 v68, 0, v69
	s_delay_alu instid0(VALU_DEP_2) | instskip(NEXT) | instid1(VALU_DEP_2)
	v_dual_min_f32 v69, v26, v10 :: v_dual_add_f32 v124, v64, v65
	v_dual_add_f32 v64, 0, v74 :: v_dual_add_f32 v121, v66, v67
	v_dual_add_f32 v66, 0, v73 :: v_dual_add_f32 v123, v53, v63
	s_delay_alu instid0(VALU_DEP_3) | instskip(SKIP_4) | instid1(VALU_DEP_3)
	v_dual_add_f32 v122, v68, v69 :: v_dual_add_f32 v53, 0, v71
	v_dual_add_f32 v68, 0, v76 :: v_dual_min_f32 v69, v39, v11
	v_dual_add_f32 v8, 0, v8 :: v_dual_min_f32 v65, v35, v11
	v_dual_add_f32 v119, v70, v72 :: v_dual_add_f32 v70, 0, v75
	v_min_f32_e32 v63, v30, v10
	v_dual_min_f32 v71, v38, v10 :: v_dual_add_f32 v118, v64, v65
	v_min_f32_e32 v67, v34, v10
	v_dual_add_f32 v9, 0, v9 :: v_dual_min_f32 v10, v42, v10
	v_min_f32_e32 v11, v43, v11
	v_add_f32_e32 v120, v53, v63
	s_delay_alu instid0(VALU_DEP_4) | instskip(NEXT) | instid1(VALU_DEP_4)
	v_dual_add_f32 v63, v66, v67 :: v_dual_add_f32 v64, v68, v69
	v_add_f32_e32 v116, v8, v10
	v_dual_add_f32 v53, 0, v78 :: v_dual_min_f32 v66, v15, v47
	v_add_f32_e32 v65, v70, v71
	v_dual_add_f32 v67, 0, v77 :: v_dual_add_f32 v8, 0, v79
	v_dual_min_f32 v68, v14, v46 :: v_dual_add_f32 v69, 0, v80
	v_add_f32_e32 v10, 0, v82
	v_min_f32_e32 v70, v19, v47
	v_add_f32_e32 v115, v9, v11
	v_min_f32_e32 v9, v18, v46
	v_dual_min_f32 v11, v23, v47 :: v_dual_add_f32 v114, v53, v66
	v_add_f32_e32 v113, v67, v68
	v_dual_add_f32 v111, v69, v70 :: v_dual_min_f32 v68, v27, v47
	s_delay_alu instid0(VALU_DEP_3)
	v_dual_add_f32 v53, 0, v81 :: v_dual_add_f32 v110, v10, v11
	v_dual_min_f32 v66, v22, v46 :: v_dual_add_f32 v69, 0, v83
	v_min_f32_e32 v70, v26, v46
	v_add_f32_e32 v10, 0, v85
	v_add_f32_e32 v112, v8, v9
	v_dual_add_f32 v8, 0, v86 :: v_dual_add_f32 v67, 0, v84
	s_delay_alu instid0(VALU_DEP_4) | instskip(SKIP_2) | instid1(VALU_DEP_4)
	v_add_f32_e32 v108, v69, v70
	v_dual_add_f32 v109, v53, v66 :: v_dual_add_f32 v52, 0, v52
	v_min_f32_e32 v9, v31, v47
	v_dual_add_f32 v107, v67, v68 :: v_dual_add_f32 v66, 0, v87
	v_dual_add_f32 v68, 0, v92 :: v_dual_min_f32 v69, v39, v47
	v_min_f32_e32 v53, v35, v47
	v_dual_min_f32 v67, v34, v46 :: v_dual_add_f32 v44, 0, v44
	s_delay_alu instid0(VALU_DEP_3) | instskip(NEXT) | instid1(VALU_DEP_3)
	v_dual_add_f32 v100, v68, v69 :: v_dual_min_f32 v11, v30, v46
	v_add_f32_e32 v104, v52, v53
	v_dual_add_f32 v105, v8, v9 :: v_dual_add_f32 v8, 0, v88
	v_min_f32_e32 v9, v38, v46
	s_delay_alu instid0(VALU_DEP_4) | instskip(SKIP_4) | instid1(VALU_DEP_2)
	v_add_f32_e32 v106, v10, v11
	v_dual_add_f32 v103, v66, v67 :: v_dual_add_f32 v10, 0, v45
	v_dual_min_f32 v11, v43, v47 :: v_dual_add_f32 v52, 0, v89
	v_dual_min_f32 v45, v42, v46 :: v_dual_add_f32 v46, 0, v93
	v_dual_add_f32 v102, v8, v9 :: v_dual_min_f32 v47, v15, v51
	v_dual_min_f32 v53, v14, v50 :: v_dual_add_f32 v98, v44, v45
	v_add_f32_e32 v44, 0, v95
	v_add_f32_e32 v99, v10, v11
	s_delay_alu instid0(VALU_DEP_4) | instskip(SKIP_2) | instid1(VALU_DEP_2)
	v_dual_add_f32 v97, v46, v47 :: v_dual_add_f32 v8, 0, v94
	v_dual_min_f32 v9, v19, v51 :: v_dual_add_f32 v10, 0, v90
	v_dual_min_f32 v11, v18, v50 :: v_dual_add_f32 v46, 0, v91
	v_dual_min_f32 v45, v23, v51 :: v_dual_add_f32 v94, v8, v9
	v_dual_min_f32 v47, v22, v50 :: v_dual_add_f32 v96, v52, v53
	v_add_f32_e32 v52, 0, v131
	s_delay_alu instid0(VALU_DEP_3) | instskip(SKIP_1) | instid1(VALU_DEP_4)
	v_dual_min_f32 v53, v27, v51 :: v_dual_add_f32 v92, v44, v45
	v_add_f32_e32 v95, v10, v11
	v_dual_add_f32 v93, v46, v47 :: v_dual_add_f32 v8, 0, v101
	v_dual_min_f32 v9, v26, v50 :: v_dual_add_f32 v10, 0, v132
	v_dual_min_f32 v11, v31, v51 :: v_dual_add_f32 v44, 0, v117
	;; [unrolled: 1-line block ×4, first 2 shown]
	v_dual_add_f32 v52, 0, v129 :: v_dual_min_f32 v53, v34, v50
	s_delay_alu instid0(VALU_DEP_3) | instskip(SKIP_1) | instid1(VALU_DEP_3)
	v_add_f32_e32 v88, v44, v45
	v_dual_add_f32 v91, v8, v9 :: v_dual_add_f32 v8, 0, v134
	v_dual_add_f32 v89, v10, v11 :: v_dual_add_f32 v86, v52, v53
	;; [unrolled: 1-line block ×3, first 2 shown]
	v_dual_min_f32 v9, v39, v51 :: v_dual_add_f32 v44, 0, v49
	v_dual_min_f32 v11, v38, v50 :: v_dual_add_f32 v46, 0, v48
	s_delay_alu instid0(VALU_DEP_2) | instskip(SKIP_2) | instid1(VALU_DEP_4)
	v_dual_min_f32 v45, v43, v51 :: v_dual_add_f32 v84, v8, v9
	v_add_f32_e32 v13, 0, v13
	v_dual_min_f32 v15, v15, v55 :: v_dual_add_f32 v8, 0, v12
	v_dual_add_f32 v85, v10, v11 :: v_dual_add_f32 v10, 0, v17
	v_dual_add_f32 v11, 0, v20 :: v_dual_min_f32 v14, v14, v54
	s_delay_alu instid0(VALU_DEP_3)
	v_dual_min_f32 v47, v42, v50 :: v_dual_add_f32 v80, v13, v15
	v_dual_add_f32 v9, 0, v16 :: v_dual_add_f32 v12, 0, v21
	v_dual_add_f32 v13, 0, v24 :: v_dual_min_f32 v18, v18, v54
	v_dual_add_f32 v15, 0, v25 :: v_dual_add_f32 v20, 0, v32
	v_add_f32_e32 v25, 0, v37
	v_min_f32_e32 v19, v19, v55
	v_add_f32_e32 v81, v8, v14
	v_dual_min_f32 v8, v22, v54 :: v_dual_add_f32 v83, v44, v45
	v_dual_add_f32 v16, 0, v28 :: v_dual_add_f32 v17, 0, v29
	v_dual_add_f32 v24, 0, v36 :: v_dual_add_f32 v29, 0, v41
	v_dual_add_f32 v78, v9, v18 :: v_dual_min_f32 v23, v23, v55
	v_min_f32_e32 v9, v27, v55
	v_dual_add_f32 v77, v11, v8 :: v_dual_min_f32 v8, v26, v54
	v_add_f32_e32 v79, v10, v19
	v_dual_min_f32 v10, v31, v55 :: v_dual_add_f32 v21, 0, v33
	v_dual_add_f32 v28, 0, v40 :: v_dual_min_f32 v11, v30, v54
	s_delay_alu instid0(VALU_DEP_2) | instskip(SKIP_4) | instid1(VALU_DEP_4)
	v_dual_add_f32 v82, v46, v47 :: v_dual_add_f32 v73, v17, v10
	v_min_f32_e32 v10, v38, v54
	v_add_f32_e32 v74, v15, v9
	v_min_f32_e32 v9, v35, v55
	v_dual_add_f32 v75, v13, v8 :: v_dual_min_f32 v8, v34, v54
	v_add_f32_e32 v68, v24, v10
	v_add_f32_e32 v76, v12, v23
	;; [unrolled: 1-line block ×3, first 2 shown]
	v_dual_min_f32 v11, v43, v55 :: v_dual_min_f32 v12, v42, v54
	v_dual_add_f32 v70, v21, v9 :: v_dual_min_f32 v9, v39, v55
	v_add_f32_e32 v71, v20, v8
	s_delay_alu instid0(VALU_DEP_3) | instskip(NEXT) | instid1(VALU_DEP_3)
	v_dual_add_f32 v67, v29, v11 :: v_dual_add_f32 v66, v28, v12
	v_add_f32_e32 v69, v25, v9
	s_cbranch_scc1 .LBB32_36
; %bb.22:
	v_add_nc_u32_e32 v8, 12, v58
	v_add_nc_u32_e32 v10, 8, v58
	v_or_b32_e32 v101, 0x1000, v7
	v_add_nc_u32_e32 v129, 0x1400, v7
	v_mad_i64_i32 v[4:5], null, v2, s6, 0
	v_mad_i64_i32 v[6:7], null, v8, s20, 0
	;; [unrolled: 1-line block ×4, first 2 shown]
	v_lshlrev_b64 v[0:1], 2, v[0:1]
	v_lshlrev_b64 v[52:53], 2, v[4:5]
	;; [unrolled: 1-line block ×3, first 2 shown]
	v_add_nc_u32_e32 v117, 0x1000, v61
	v_lshlrev_b64 v[50:51], 2, v[8:9]
	v_add_nc_u32_e32 v130, 0x800, v62
	v_add_co_u32 v131, s2, s12, v0
	v_lshlrev_b64 v[54:55], 2, v[10:11]
	v_add_co_ci_u32_e64 v132, s2, s13, v1, s2
	v_lshl_add_u32 v133, v56, 4, 0x1400
	v_lshl_add_u32 v134, v57, 4, 0x800
	s_add_i32 s12, s18, -8
	s_lshl_b64 s[6:7], s[20:21], 5
	s_branch .LBB32_24
.LBB32_23:                              ;   in Loop: Header=BB32_24 Depth=1
	s_or_b32 exec_lo, exec_lo, s3
	v_dual_add_f32 v40, v128, v40 :: v_dual_add_f32 v33, v122, v33
	v_dual_add_f32 v28, v125, v28 :: v_dual_add_f32 v29, v124, v29
	;; [unrolled: 1-line block ×16, first 2 shown]
	v_add_f32_e32 v110, v20, v179
	v_dual_add_f32 v114, v8, v189 :: v_dual_add_f32 v115, v25, v23
	ds_load_b128 v[20:23], v60
	ds_load_b128 v[28:31], v117
	v_dual_add_f32 v5, v98, v5 :: v_dual_add_f32 v96, v96, v150
	v_dual_add_f32 v86, v86, v160 :: v_dual_add_f32 v87, v87, v161
	;; [unrolled: 1-line block ×15, first 2 shown]
	s_delay_alu instid0(VALU_DEP_3)
	v_dual_add_f32 v111, v16, v18 :: v_dual_add_f32 v102, v102, v188
	v_dual_add_f32 v116, v12, v190 :: v_dual_add_f32 v119, v17, v191
	;; [unrolled: 1-line block ×11, first 2 shown]
	ds_load_b128 v[8:11], v117 offset:128
	v_dual_add_f32 v72, v72, v2 :: v_dual_add_f32 v69, v69, v15
	s_waitcnt lgkmcnt(2)
	v_dual_add_f32 v70, v70, v14 :: v_dual_max_f32 v21, v21, v21
	v_dual_add_f32 v68, v68, v6 :: v_dual_add_f32 v127, v46, v19
	s_waitcnt lgkmcnt(1)
	v_dual_add_f32 v128, v43, v7 :: v_dual_max_f32 v29, v29, v29
	ds_load_b128 v[0:3], v117 offset:256
	ds_load_b128 v[4:7], v117 offset:384
	;; [unrolled: 1-line block ×5, first 2 shown]
	v_dual_add_f32 v65, v108, v142 :: v_dual_add_f32 v106, v106, v144
	v_dual_add_f32 v67, v36, v38 :: v_dual_add_f32 v108, v37, v39
	;; [unrolled: 1-line block ×3, first 2 shown]
	ds_load_b128 v[32:35], v117 offset:768
	ds_load_b128 v[36:39], v117 offset:896
	v_dual_max_f32 v20, v20, v20 :: v_dual_min_f32 v139, v29, v21
	s_waitcnt lgkmcnt(7)
	v_dual_max_f32 v28, v28, v28 :: v_dual_max_f32 v9, v9, v9
	v_dual_add_f32 v121, v45, v192 :: v_dual_add_f32 v122, v44, v183
	s_delay_alu instid0(VALU_DEP_2)
	v_dual_add_f32 v107, v107, v194 :: v_dual_min_f32 v138, v28, v20
	s_waitcnt lgkmcnt(6)
	v_dual_max_f32 v1, v1, v1 :: v_dual_max_f32 v0, v0, v0
	s_waitcnt lgkmcnt(5)
	v_dual_max_f32 v5, v5, v5 :: v_dual_add_f32 v66, v66, v139
	v_max_f32_e32 v4, v4, v4
	s_waitcnt lgkmcnt(4)
	v_dual_max_f32 v12, v12, v12 :: v_dual_max_f32 v13, v13, v13
	v_min_f32_e32 v139, v0, v20
	v_dual_max_f32 v8, v8, v8 :: v_dual_add_f32 v67, v67, v138
	s_waitcnt lgkmcnt(1)
	v_max_f32_e32 v32, v32, v32
	v_min_f32_e32 v138, v9, v21
	v_dual_add_f32 v100, v100, v139 :: v_dual_min_f32 v139, v5, v21
	v_max_f32_e32 v17, v17, v17
	v_max_f32_e32 v33, v33, v33
	;; [unrolled: 1-line block ×3, first 2 shown]
	ds_load_b128 v[40:43], v60 offset:1024
	ds_load_b128 v[44:47], v60 offset:1536
	v_dual_add_f32 v108, v108, v139 :: v_dual_min_f32 v139, v13, v21
	v_dual_add_f32 v105, v105, v145 :: v_dual_add_f32 v104, v104, v147
	s_waitcnt lgkmcnt(2)
	v_dual_max_f32 v36, v36, v36 :: v_dual_max_f32 v37, v37, v37
	s_delay_alu instid0(VALU_DEP_3) | instskip(SKIP_3) | instid1(VALU_DEP_3)
	v_dual_add_f32 v110, v110, v139 :: v_dual_min_f32 v139, v32, v20
	v_dual_min_f32 v140, v8, v20 :: v_dual_add_f32 v83, v83, v138
	v_min_f32_e32 v138, v1, v21
	v_dual_add_f32 v64, v64, v193 :: v_dual_add_f32 v105, v105, v195
	v_dual_add_f32 v115, v115, v139 :: v_dual_add_f32 v84, v84, v140
	s_delay_alu instid0(VALU_DEP_3) | instskip(SKIP_3) | instid1(VALU_DEP_4)
	v_dual_add_f32 v99, v99, v138 :: v_dual_min_f32 v140, v4, v20
	v_min_f32_e32 v138, v12, v20
	v_dual_max_f32 v16, v16, v16 :: v_dual_min_f32 v139, v29, v25
	v_max_f32_e32 v24, v24, v24
	v_add_f32_e32 v109, v109, v140
	s_delay_alu instid0(VALU_DEP_3) | instskip(NEXT) | instid1(VALU_DEP_4)
	v_dual_add_f32 v111, v111, v138 :: v_dual_min_f32 v138, v16, v20
	v_dual_min_f32 v140, v17, v21 :: v_dual_add_f32 v139, v119, v139
	v_min_f32_e32 v119, v1, v25
	v_dual_add_f32 v91, v91, v156 :: v_dual_add_f32 v90, v90, v157
	s_delay_alu instid0(VALU_DEP_3) | instskip(NEXT) | instid1(VALU_DEP_3)
	v_dual_add_f32 v113, v113, v138 :: v_dual_add_f32 v112, v112, v140
	v_dual_min_f32 v138, v33, v21 :: v_dual_add_f32 v143, v64, v119
	v_min_f32_e32 v21, v37, v21
	v_dual_add_f32 v65, v65, v185 :: v_dual_add_f32 v106, v106, v186
	s_delay_alu instid0(VALU_DEP_3)
	v_add_f32_e32 v114, v114, v138
	s_waitcnt lgkmcnt(1)
	v_dual_min_f32 v138, v28, v24 :: v_dual_max_f32 v41, v41, v41
	v_add_f32_e32 v21, v116, v21
	v_min_f32_e32 v116, v9, v25
	v_dual_add_f32 v94, v94, v208 :: v_dual_add_f32 v91, v91, v201
	s_delay_alu instid0(VALU_DEP_4) | instskip(SKIP_1) | instid1(VALU_DEP_4)
	v_add_f32_e32 v138, v120, v138
	v_min_f32_e32 v120, v4, v24
	v_add_f32_e32 v141, v121, v116
	v_min_f32_e32 v116, v5, v25
	v_min_f32_e32 v64, v13, v25
	v_max_f32_e32 v40, v40, v40
	v_add_f32_e32 v144, v65, v120
	v_min_f32_e32 v65, v16, v24
	v_min_f32_e32 v20, v36, v20
	v_add_f32_e32 v107, v107, v116
	v_add_f32_e32 v105, v105, v64
	v_min_f32_e32 v64, v33, v25
	v_min_f32_e32 v116, v17, v25
	v_dual_add_f32 v103, v103, v65 :: v_dual_add_f32 v20, v118, v20
	v_dual_min_f32 v25, v37, v25 :: v_dual_min_f32 v118, v8, v24
	v_dual_add_f32 v93, v93, v154 :: v_dual_add_f32 v92, v92, v155
	s_delay_alu instid0(VALU_DEP_2) | instskip(NEXT) | instid1(VALU_DEP_3)
	v_dual_add_f32 v96, v96, v198 :: v_dual_add_f32 v25, v98, v25
	v_add_f32_e32 v140, v122, v118
	v_min_f32_e32 v118, v0, v24
	v_dual_add_f32 v104, v104, v196 :: v_dual_add_f32 v97, v97, v207
	v_dual_add_f32 v93, v93, v200 :: v_dual_add_f32 v88, v88, v158
	s_delay_alu instid0(VALU_DEP_3) | instskip(SKIP_4) | instid1(VALU_DEP_3)
	v_dual_add_f32 v89, v89, v159 :: v_dual_add_f32 v142, v63, v118
	v_dual_min_f32 v63, v12, v24 :: v_dual_add_f32 v90, v90, v210
	v_add_f32_e32 v87, v87, v212
	v_add_f32_e32 v145, v123, v64
	s_waitcnt lgkmcnt(0)
	v_dual_max_f32 v45, v45, v45 :: v_dual_add_f32 v106, v106, v63
	v_min_f32_e32 v63, v32, v24
	v_dual_max_f32 v23, v23, v23 :: v_dual_add_f32 v92, v92, v209
	v_dual_add_f32 v89, v89, v211 :: v_dual_min_f32 v24, v36, v24
	s_delay_alu instid0(VALU_DEP_3) | instskip(SKIP_3) | instid1(VALU_DEP_4)
	v_dual_add_f32 v102, v102, v63 :: v_dual_min_f32 v63, v28, v40
	v_max_f32_e32 v44, v44, v44
	v_dual_add_f32 v88, v88, v202 :: v_dual_add_f32 v85, v85, v204
	v_add_f32_e32 v104, v104, v116
	v_dual_add_f32 v96, v96, v63 :: v_dual_min_f32 v63, v9, v41
	v_dual_add_f32 v82, v82, v217 :: v_dual_add_f32 v81, v81, v214
	v_max_f32_e32 v11, v11, v11
	s_delay_alu instid0(VALU_DEP_3) | instskip(SKIP_3) | instid1(VALU_DEP_3)
	v_dual_min_f32 v9, v9, v45 :: v_dual_add_f32 v94, v94, v63
	v_dual_min_f32 v63, v5, v41 :: v_dual_min_f32 v98, v4, v40
	v_dual_min_f32 v65, v8, v40 :: v_dual_max_f32 v22, v22, v22
	v_max_f32_e32 v3, v3, v3
	v_dual_add_f32 v90, v90, v63 :: v_dual_add_f32 v91, v91, v98
	v_min_f32_e32 v98, v17, v41
	v_min_f32_e32 v64, v29, v41
	v_dual_min_f32 v63, v13, v41 :: v_dual_add_f32 v24, v124, v24
	v_add_f32_e32 v95, v95, v65
	s_delay_alu instid0(VALU_DEP_4) | instskip(NEXT) | instid1(VALU_DEP_4)
	v_add_f32_e32 v87, v87, v98
	v_add_f32_e32 v97, v97, v64
	s_delay_alu instid0(VALU_DEP_4)
	v_dual_add_f32 v89, v89, v63 :: v_dual_min_f32 v64, v0, v40
	v_min_f32_e32 v63, v33, v41
	v_min_f32_e32 v65, v1, v41
	v_dual_min_f32 v1, v1, v45 :: v_dual_min_f32 v8, v8, v44
	v_min_f32_e32 v13, v13, v45
	v_add_f32_e32 v93, v93, v64
	v_dual_min_f32 v64, v12, v40 :: v_dual_min_f32 v41, v37, v41
	v_dual_min_f32 v0, v0, v44 :: v_dual_min_f32 v33, v33, v45
	s_delay_alu instid0(VALU_DEP_4) | instskip(SKIP_1) | instid1(VALU_DEP_4)
	v_dual_min_f32 v4, v4, v44 :: v_dual_add_f32 v13, v73, v13
	v_min_f32_e32 v12, v12, v44
	v_dual_add_f32 v88, v88, v64 :: v_dual_add_f32 v41, v82, v41
	v_min_f32_e32 v64, v32, v40
	s_delay_alu instid0(VALU_DEP_4) | instskip(SKIP_2) | instid1(VALU_DEP_4)
	v_dual_add_f32 v4, v75, v4 :: v_dual_min_f32 v37, v37, v45
	v_dual_min_f32 v32, v32, v44 :: v_dual_add_f32 v33, v69, v33
	v_add_f32_e32 v12, v72, v12
	v_dual_add_f32 v92, v92, v65 :: v_dual_add_f32 v85, v85, v64
	v_min_f32_e32 v65, v16, v40
	v_dual_min_f32 v40, v36, v40 :: v_dual_add_f32 v9, v79, v9
	v_min_f32_e32 v29, v29, v45
	v_dual_add_f32 v146, v125, v63 :: v_dual_add_f32 v37, v127, v37
	v_dual_add_f32 v32, v68, v32 :: v_dual_min_f32 v63, v11, v23
	v_max_f32_e32 v30, v30, v30
	v_dual_add_f32 v40, v126, v40 :: v_dual_min_f32 v5, v5, v45
	v_dual_add_f32 v8, v78, v8 :: v_dual_min_f32 v17, v17, v45
	s_delay_alu instid0(VALU_DEP_4) | instskip(NEXT) | instid1(VALU_DEP_4)
	v_dual_add_f32 v125, v83, v63 :: v_dual_min_f32 v16, v16, v44
	v_min_f32_e32 v45, v30, v22
	v_dual_add_f32 v86, v86, v65 :: v_dual_max_f32 v31, v31, v31
	v_min_f32_e32 v36, v36, v44
	s_delay_alu instid0(VALU_DEP_3) | instskip(SKIP_3) | instid1(VALU_DEP_3)
	v_dual_max_f32 v10, v10, v10 :: v_dual_add_f32 v127, v67, v45
	v_dual_min_f32 v45, v3, v23 :: v_dual_max_f32 v6, v6, v6
	v_dual_min_f32 v28, v28, v44 :: v_dual_add_f32 v5, v74, v5
	v_add_f32_e32 v16, v71, v16
	v_dual_max_f32 v2, v2, v2 :: v_dual_add_f32 v123, v99, v45
	s_delay_alu instid0(VALU_DEP_4) | instskip(SKIP_3) | instid1(VALU_DEP_3)
	v_min_f32_e32 v45, v6, v22
	v_max_f32_e32 v14, v14, v14
	v_min_f32_e32 v44, v31, v23
	v_dual_add_f32 v36, v128, v36 :: v_dual_max_f32 v7, v7, v7
	v_dual_add_f32 v122, v109, v45 :: v_dual_min_f32 v45, v14, v22
	s_delay_alu instid0(VALU_DEP_3) | instskip(SKIP_3) | instid1(VALU_DEP_3)
	v_add_f32_e32 v128, v66, v44
	v_dual_min_f32 v44, v10, v22 :: v_dual_max_f32 v15, v15, v15
	v_max_f32_e32 v35, v35, v35
	v_min_f32_e32 v63, v7, v23
	v_dual_max_f32 v19, v19, v19 :: v_dual_add_f32 v126, v84, v44
	v_min_f32_e32 v44, v2, v22
	v_max_f32_e32 v18, v18, v18
	v_add_f32_e32 v120, v111, v45
	v_dual_min_f32 v45, v35, v23 :: v_dual_max_f32 v26, v26, v26
	s_delay_alu instid0(VALU_DEP_4)
	v_add_f32_e32 v124, v100, v44
	v_min_f32_e32 v44, v15, v23
	v_add_f32_e32 v121, v108, v63
	v_min_f32_e32 v63, v18, v22
	v_dual_max_f32 v34, v34, v34 :: v_dual_max_f32 v39, v39, v39
	v_add_f32_e32 v64, v114, v45
	v_min_f32_e32 v45, v30, v26
	v_dual_add_f32 v119, v110, v44 :: v_dual_min_f32 v44, v19, v23
	v_add_f32_e32 v63, v113, v63
	v_max_f32_e32 v27, v27, v27
	s_delay_alu instid0(VALU_DEP_4)
	v_add_f32_e32 v113, v138, v45
	v_max_f32_e32 v38, v38, v38
	v_add_f32_e32 v118, v112, v44
	v_dual_min_f32 v44, v34, v22 :: v_dual_min_f32 v23, v39, v23
	v_dual_add_f32 v29, v80, v29 :: v_dual_add_f32 v28, v81, v28
	v_add_f32_e32 v1, v76, v1
	s_delay_alu instid0(VALU_DEP_3) | instskip(NEXT) | instid1(VALU_DEP_4)
	v_add_f32_e32 v65, v115, v44
	v_add_f32_e32 v115, v21, v23
	v_dual_min_f32 v21, v11, v27 :: v_dual_min_f32 v22, v38, v22
	v_dual_min_f32 v23, v7, v27 :: v_dual_add_f32 v0, v77, v0
	v_add_f32_e32 v17, v70, v17
	s_delay_alu instid0(VALU_DEP_3) | instskip(NEXT) | instid1(VALU_DEP_4)
	v_add_f32_e32 v111, v141, v21
	v_dual_min_f32 v21, v3, v27 :: v_dual_add_f32 v116, v20, v22
	s_delay_alu instid0(VALU_DEP_4) | instskip(SKIP_1) | instid1(VALU_DEP_3)
	v_dual_min_f32 v20, v10, v26 :: v_dual_add_f32 v107, v107, v23
	v_min_f32_e32 v22, v2, v26
	v_add_f32_e32 v110, v143, v21
	v_min_f32_e32 v21, v15, v27
	v_min_f32_e32 v44, v31, v27
	v_add_f32_e32 v112, v140, v20
	v_min_f32_e32 v20, v6, v26
	v_add_f32_e32 v109, v142, v22
	s_delay_alu instid0(VALU_DEP_4) | instskip(SKIP_1) | instid1(VALU_DEP_4)
	v_dual_min_f32 v23, v18, v26 :: v_dual_add_f32 v114, v139, v44
	v_add_f32_e32 v105, v105, v21
	v_dual_min_f32 v21, v35, v27 :: v_dual_add_f32 v108, v144, v20
	s_delay_alu instid0(VALU_DEP_3) | instskip(NEXT) | instid1(VALU_DEP_2)
	v_dual_add_f32 v103, v103, v23 :: v_dual_min_f32 v20, v14, v26
	v_dual_min_f32 v23, v39, v27 :: v_dual_add_f32 v100, v145, v21
	v_max_f32_e32 v21, v43, v43
	v_add_co_u32 v131, s2, v131, s6
	s_delay_alu instid0(VALU_DEP_4) | instskip(NEXT) | instid1(VALU_DEP_4)
	v_add_f32_e32 v106, v106, v20
	v_dual_min_f32 v20, v34, v26 :: v_dual_add_f32 v99, v25, v23
	s_delay_alu instid0(VALU_DEP_4) | instskip(SKIP_2) | instid1(VALU_DEP_4)
	v_min_f32_e32 v23, v11, v21
	v_min_f32_e32 v25, v7, v21
	v_add_co_ci_u32_e64 v132, s2, s7, v132, s2
	v_add_f32_e32 v102, v102, v20
	v_min_f32_e32 v20, v31, v21
	v_min_f32_e32 v22, v19, v27
	v_add_f32_e32 v94, v94, v23
	v_add_f32_e32 v90, v90, v25
	s_add_i32 s28, s28, 8
	s_delay_alu instid0(VALU_DEP_3)
	v_dual_add_f32 v97, v97, v20 :: v_dual_add_f32 v104, v104, v22
	v_max_f32_e32 v22, v42, v42
	s_cmp_ge_i32 s28, s12
	ds_store_b32 v129, v135
	ds_store_2addr_stride64_b32 v130, v137, v136 offset1:4
	s_waitcnt lgkmcnt(0)
	s_barrier
	v_min_f32_e32 v20, v10, v22
	v_min_f32_e32 v26, v38, v26
	;; [unrolled: 1-line block ×5, first 2 shown]
	s_delay_alu instid0(VALU_DEP_4) | instskip(NEXT) | instid1(VALU_DEP_4)
	v_dual_add_f32 v95, v95, v20 :: v_dual_add_f32 v98, v24, v26
	v_add_f32_e32 v93, v93, v23
	v_min_f32_e32 v23, v15, v21
	v_min_f32_e32 v24, v3, v21
	buffer_gl0_inv
	v_add_f32_e32 v89, v89, v23
	v_min_f32_e32 v23, v35, v21
	s_delay_alu instid0(VALU_DEP_1) | instskip(SKIP_2) | instid1(VALU_DEP_1)
	v_add_f32_e32 v84, v146, v23
	v_dual_max_f32 v23, v46, v46 :: v_dual_add_f32 v92, v92, v24
	v_min_f32_e32 v24, v14, v22
	v_add_f32_e32 v88, v88, v24
	v_max_f32_e32 v24, v47, v47
	v_min_f32_e32 v20, v6, v22
	v_add_f32_e32 v86, v86, v25
	s_delay_alu instid0(VALU_DEP_3) | instskip(NEXT) | instid1(VALU_DEP_3)
	v_dual_min_f32 v2, v2, v23 :: v_dual_min_f32 v25, v31, v24
	v_dual_add_f32 v96, v96, v27 :: v_dual_add_f32 v91, v91, v20
	v_min_f32_e32 v11, v11, v24
	v_min_f32_e32 v20, v19, v21
	;; [unrolled: 1-line block ×3, first 2 shown]
	v_dual_add_f32 v77, v0, v2 :: v_dual_min_f32 v0, v6, v23
	s_delay_alu instid0(VALU_DEP_4) | instskip(NEXT) | instid1(VALU_DEP_4)
	v_add_f32_e32 v79, v9, v11
	v_dual_add_f32 v87, v87, v20 :: v_dual_min_f32 v20, v34, v22
	s_delay_alu instid0(VALU_DEP_3) | instskip(SKIP_2) | instid1(VALU_DEP_4)
	v_dual_add_f32 v80, v29, v25 :: v_dual_add_f32 v75, v4, v0
	v_min_f32_e32 v0, v18, v23
	v_add_f32_e32 v76, v1, v3
	v_dual_add_f32 v85, v85, v20 :: v_dual_min_f32 v20, v30, v23
	v_min_f32_e32 v3, v14, v23
	v_dual_min_f32 v21, v39, v21 :: v_dual_min_f32 v4, v38, v23
	v_add_f32_e32 v71, v16, v0
	s_delay_alu instid0(VALU_DEP_4) | instskip(SKIP_4) | instid1(VALU_DEP_4)
	v_dual_add_f32 v81, v28, v20 :: v_dual_min_f32 v22, v38, v22
	v_min_f32_e32 v1, v7, v24
	v_min_f32_e32 v2, v15, v24
	v_min_f32_e32 v10, v10, v23
	v_dual_add_f32 v72, v12, v3 :: v_dual_min_f32 v3, v39, v24
	v_add_f32_e32 v74, v5, v1
	s_delay_alu instid0(VALU_DEP_4) | instskip(SKIP_3) | instid1(VALU_DEP_3)
	v_add_f32_e32 v73, v13, v2
	v_dual_min_f32 v1, v19, v24 :: v_dual_add_f32 v82, v40, v22
	v_add_f32_e32 v78, v8, v10
	v_dual_min_f32 v2, v34, v23 :: v_dual_add_f32 v83, v41, v21
	v_dual_add_f32 v70, v17, v1 :: v_dual_min_f32 v1, v35, v24
	s_delay_alu instid0(VALU_DEP_2) | instskip(NEXT) | instid1(VALU_DEP_2)
	v_dual_add_f32 v67, v37, v3 :: v_dual_add_f32 v68, v32, v2
	v_dual_add_f32 v66, v36, v4 :: v_dual_add_f32 v69, v33, v1
	s_cbranch_scc1 .LBB32_36
.LBB32_24:                              ; =>This Inner Loop Header: Depth=1
	v_dual_mov_b32 v138, 0 :: v_dual_add_nc_u32 v137, s28, v58
	s_delay_alu instid0(VALU_DEP_1) | instskip(NEXT) | instid1(VALU_DEP_1)
	v_dual_mov_b32 v139, 0 :: v_dual_add_nc_u32 v0, 8, v137
	v_cmp_gt_i32_e64 s2, s18, v0
	s_delay_alu instid0(VALU_DEP_1) | instskip(NEXT) | instid1(SALU_CYCLE_1)
	s_and_b32 s2, vcc_lo, s2
	s_and_b32 s2, s23, s2
	s_delay_alu instid0(SALU_CYCLE_1)
	s_and_saveexec_b32 s3, s2
	s_cbranch_execz .LBB32_26
; %bb.25:                               ;   in Loop: Header=BB32_24 Depth=1
	v_add_co_u32 v0, s2, v131, v50
	s_delay_alu instid0(VALU_DEP_1)
	v_add_co_ci_u32_e64 v1, s2, v132, v51, s2
	flat_load_b32 v0, v[0:1]
	s_waitcnt vmcnt(0) lgkmcnt(0)
	v_mul_f32_e32 v139, s19, v0
.LBB32_26:                              ;   in Loop: Header=BB32_24 Depth=1
	s_or_b32 exec_lo, exec_lo, s3
	v_add_nc_u32_e32 v136, s28, v59
	s_delay_alu instid0(VALU_DEP_1) | instskip(NEXT) | instid1(VALU_DEP_1)
	v_add_nc_u32_e32 v2, 8, v136
	v_min_i32_e32 v0, s25, v2
	v_cmp_le_i32_e64 s2, s18, v2
	s_delay_alu instid0(VALU_DEP_2) | instskip(NEXT) | instid1(VALU_DEP_1)
	v_ashrrev_i32_e32 v1, 31, v0
	v_lshlrev_b64 v[0:1], 2, v[0:1]
	s_delay_alu instid0(VALU_DEP_1) | instskip(NEXT) | instid1(VALU_DEP_1)
	v_add_co_u32 v0, s3, s8, v0
	v_add_co_ci_u32_e64 v1, s3, s9, v1, s3
	s_or_b32 s3, s26, s2
	s_delay_alu instid0(SALU_CYCLE_1) | instskip(NEXT) | instid1(SALU_CYCLE_1)
	s_xor_b32 s3, s3, -1
	s_and_saveexec_b32 s13, s3
	s_cbranch_execz .LBB32_28
; %bb.27:                               ;   in Loop: Header=BB32_24 Depth=1
	v_add_co_u32 v2, s3, v0, v52
	s_delay_alu instid0(VALU_DEP_1)
	v_add_co_ci_u32_e64 v3, s3, v1, v53, s3
	flat_load_b32 v2, v[2:3]
	s_waitcnt vmcnt(0) lgkmcnt(0)
	v_mul_f32_e32 v138, s19, v2
.LBB32_28:                              ;   in Loop: Header=BB32_24 Depth=1
	s_or_b32 exec_lo, exec_lo, s13
	v_dual_mov_b32 v135, 0 :: v_dual_mov_b32 v140, 0
	s_or_b32 s2, s27, s2
	s_delay_alu instid0(SALU_CYCLE_1) | instskip(NEXT) | instid1(SALU_CYCLE_1)
	s_xor_b32 s2, s2, -1
	s_and_saveexec_b32 s3, s2
	s_cbranch_execz .LBB32_30
; %bb.29:                               ;   in Loop: Header=BB32_24 Depth=1
	v_add_co_u32 v0, s2, v0, v54
	s_delay_alu instid0(VALU_DEP_1)
	v_add_co_ci_u32_e64 v1, s2, v1, v55, s2
	flat_load_b32 v0, v[0:1]
	s_waitcnt vmcnt(0) lgkmcnt(0)
	v_mul_f32_e32 v140, s19, v0
.LBB32_30:                              ;   in Loop: Header=BB32_24 Depth=1
	s_or_b32 exec_lo, exec_lo, s3
	ds_load_b128 v[40:43], v133
	ds_load_b128 v[36:39], v133 offset:128
	ds_load_b128 v[32:35], v133 offset:256
	;; [unrolled: 1-line block ×7, first 2 shown]
	ds_load_b128 v[44:47], v134
	ds_load_b128 v[8:11], v134 offset:512
	ds_load_b128 v[4:7], v134 offset:1024
	ds_load_b128 v[0:3], v134 offset:1536
	v_add_nc_u32_e32 v137, 12, v137
	ds_store_b32 v101, v139
	ds_store_2addr_stride64_b32 v62, v138, v140 offset1:4
	s_waitcnt lgkmcnt(0)
	s_barrier
	buffer_gl0_inv
	v_cmp_gt_i32_e64 s2, s18, v137
	s_delay_alu instid0(VALU_DEP_1) | instskip(NEXT) | instid1(SALU_CYCLE_1)
	s_and_b32 s2, vcc_lo, s2
	s_and_b32 s2, s23, s2
	s_delay_alu instid0(SALU_CYCLE_1)
	s_and_saveexec_b32 s3, s2
	s_cbranch_execz .LBB32_32
; %bb.31:                               ;   in Loop: Header=BB32_24 Depth=1
	v_add_co_u32 v137, s2, v131, v48
	s_delay_alu instid0(VALU_DEP_1)
	v_add_co_ci_u32_e64 v138, s2, v132, v49, s2
	flat_load_b32 v135, v[137:138]
	s_waitcnt vmcnt(0) lgkmcnt(0)
	v_mul_f32_e32 v135, s19, v135
.LBB32_32:                              ;   in Loop: Header=BB32_24 Depth=1
	s_or_b32 exec_lo, exec_lo, s3
	v_add_nc_u32_e32 v140, 12, v136
	s_delay_alu instid0(VALU_DEP_1) | instskip(NEXT) | instid1(VALU_DEP_1)
	v_min_i32_e32 v136, s25, v140
	v_ashrrev_i32_e32 v137, 31, v136
	s_delay_alu instid0(VALU_DEP_1) | instskip(SKIP_3) | instid1(VALU_DEP_4)
	v_lshlrev_b64 v[138:139], 2, v[136:137]
	v_mov_b32_e32 v137, 0
	v_cmp_le_i32_e64 s2, s18, v140
	v_mov_b32_e32 v136, 0
	v_add_co_u32 v138, s3, s8, v138
	s_delay_alu instid0(VALU_DEP_1) | instskip(NEXT) | instid1(VALU_DEP_4)
	v_add_co_ci_u32_e64 v139, s3, s9, v139, s3
	s_or_b32 s3, s26, s2
	s_delay_alu instid0(SALU_CYCLE_1) | instskip(NEXT) | instid1(SALU_CYCLE_1)
	s_xor_b32 s3, s3, -1
	s_and_saveexec_b32 s13, s3
	s_cbranch_execz .LBB32_34
; %bb.33:                               ;   in Loop: Header=BB32_24 Depth=1
	v_add_co_u32 v140, s3, v138, v52
	s_delay_alu instid0(VALU_DEP_1)
	v_add_co_ci_u32_e64 v141, s3, v139, v53, s3
	flat_load_b32 v137, v[140:141]
	s_waitcnt vmcnt(0) lgkmcnt(0)
	v_mul_f32_e32 v137, s19, v137
.LBB32_34:                              ;   in Loop: Header=BB32_24 Depth=1
	s_or_b32 exec_lo, exec_lo, s13
	v_dual_max_f32 v174, v20, v20 :: v_dual_max_f32 v175, v21, v21
	v_dual_max_f32 v149, v8, v8 :: v_dual_max_f32 v150, v9, v9
	;; [unrolled: 1-line block ×6, first 2 shown]
	s_delay_alu instid0(VALU_DEP_3)
	v_dual_max_f32 v178, v12, v12 :: v_dual_min_f32 v17, v165, v150
	v_dual_min_f32 v146, v174, v149 :: v_dual_max_f32 v163, v4, v4
	v_dual_max_f32 v180, v5, v5 :: v_dual_max_f32 v181, v0, v0
	v_dual_max_f32 v183, v46, v46 :: v_dual_max_f32 v184, v47, v47
	;; [unrolled: 1-line block ×3, first 2 shown]
	v_dual_min_f32 v16, v172, v44 :: v_dual_max_f32 v179, v13, v13
	v_dual_min_f32 v8, v177, v45 :: v_dual_min_f32 v9, v178, v44
	v_min_f32_e32 v5, v178, v149
	v_dual_max_f32 v182, v1, v1 :: v_dual_min_f32 v1, v178, v163
	v_dual_max_f32 v214, v42, v42 :: v_dual_max_f32 v215, v43, v43
	v_max_f32_e32 v219, v38, v38
	s_delay_alu instid0(VALU_DEP_3)
	v_dual_min_f32 v43, v178, v181 :: v_dual_min_f32 v46, v179, v182
	v_max_f32_e32 v178, v39, v39
	v_dual_max_f32 v222, v30, v30 :: v_dual_max_f32 v223, v31, v31
	v_dual_max_f32 v224, v26, v26 :: v_dual_max_f32 v227, v23, v23
	v_dual_min_f32 v23, v228, v183 :: v_dual_max_f32 v10, v10, v10
	v_dual_max_f32 v166, v36, v36 :: v_dual_max_f32 v167, v37, v37
	v_dual_min_f32 v36, v164, v44 :: v_dual_max_f32 v169, v33, v33
	v_dual_max_f32 v168, v32, v32 :: v_dual_max_f32 v171, v29, v29
	v_max_f32_e32 v170, v28, v28
	v_dual_max_f32 v220, v34, v34 :: v_dual_max_f32 v221, v35, v35
	v_dual_min_f32 v34, v178, v184 :: v_dual_max_f32 v225, v27, v27
	v_max_f32_e32 v226, v22, v22
	v_dual_min_f32 v18, v224, v183 :: v_dual_max_f32 v229, v14, v14
	v_dual_max_f32 v230, v15, v15 :: v_dual_min_f32 v185, v222, v10
	v_dual_max_f32 v11, v11, v11 :: v_dual_max_f32 v6, v6, v6
	v_max_f32_e32 v7, v7, v7
	v_dual_max_f32 v231, v2, v2 :: v_dual_max_f32 v232, v3, v3
	v_dual_min_f32 v40, v165, v45 :: v_dual_min_f32 v41, v166, v44
	v_dual_min_f32 v28, v167, v45 :: v_dual_min_f32 v29, v168, v44
	v_min_f32_e32 v37, v171, v45
	v_dual_min_f32 v32, v169, v45 :: v_dual_min_f32 v33, v170, v44
	v_dual_min_f32 v20, v173, v45 :: v_dual_min_f32 v21, v174, v44
	;; [unrolled: 1-line block ×16, first 2 shown]
	v_min_f32_e32 v162, v176, v163
	v_dual_min_f32 v0, v177, v180 :: v_dual_min_f32 v167, v167, v182
	v_dual_min_f32 v163, v179, v180 :: v_dual_min_f32 v164, v164, v181
	;; [unrolled: 1-line block ×13, first 2 shown]
	v_min_f32_e32 v189, v19, v184
	v_dual_min_f32 v181, v229, v183 :: v_dual_min_f32 v182, v214, v10
	v_dual_min_f32 v190, v230, v184 :: v_dual_min_f32 v191, v215, v11
	v_min_f32_e32 v184, v220, v10
	v_dual_min_f32 v183, v219, v10 :: v_dual_min_f32 v192, v178, v11
	v_dual_min_f32 v193, v221, v11 :: v_dual_min_f32 v186, v224, v10
	;; [unrolled: 1-line block ×13, first 2 shown]
	v_min_f32_e32 v216, v19, v7
	v_dual_min_f32 v217, v230, v7 :: v_dual_min_f32 v218, v215, v232
	v_dual_min_f32 v214, v214, v231 :: v_dual_min_f32 v27, v223, v232
	;; [unrolled: 1-line block ×4, first 2 shown]
	v_min_f32_e32 v15, v19, v232
	v_dual_min_f32 v11, v222, v231 :: v_dual_min_f32 v178, v225, v232
	v_dual_min_f32 v2, v224, v231 :: v_dual_min_f32 v19, v230, v232
	;; [unrolled: 1-line block ×3, first 2 shown]
	v_min_f32_e32 v6, v228, v231
	v_min_f32_e32 v7, v229, v231
	s_or_b32 s2, s27, s2
	s_delay_alu instid0(SALU_CYCLE_1) | instskip(NEXT) | instid1(SALU_CYCLE_1)
	s_xor_b32 s2, s2, -1
	s_and_saveexec_b32 s3, s2
	s_cbranch_execz .LBB32_23
; %bb.35:                               ;   in Loop: Header=BB32_24 Depth=1
	v_add_co_u32 v138, s2, v138, v54
	s_delay_alu instid0(VALU_DEP_1)
	v_add_co_ci_u32_e64 v139, s2, v139, v55, s2
	flat_load_b32 v136, v[138:139]
	s_waitcnt vmcnt(0) lgkmcnt(0)
	v_mul_f32_e32 v136, s19, v136
	s_branch .LBB32_23
.LBB32_36:
	s_clause 0x2
	s_load_b32 s12, s[0:1], 0x50
	s_load_b32 s9, s[0:1], 0x68
	s_load_b64 s[0:1], s[0:1], 0x70
	v_add_nc_u32_e32 v117, s24, v57
	ds_load_b128 v[32:35], v61 offset:5120
	ds_load_b128 v[28:31], v61 offset:5248
	;; [unrolled: 1-line block ×12, first 2 shown]
	v_add_nc_u32_e32 v48, s14, v56
	v_cmp_gt_i32_e64 s8, s17, v117
	v_cndmask_b32_e64 v101, 0, 1, s22
	s_waitcnt lgkmcnt(0)
	v_mad_i64_i32 v[49:50], null, v117, s12, 0
	v_mad_i64_i32 v[51:52], null, v117, s9, 0
	s_lshl_b64 s[0:1], s[0:1], 2
	s_delay_alu instid0(SALU_CYCLE_1) | instskip(SKIP_1) | instid1(VALU_DEP_2)
	s_add_u32 s13, s4, s0
	s_addc_u32 s14, s5, s1
	v_lshlrev_b64 v[49:50], 2, v[49:50]
	v_cmp_gt_i32_e64 s0, s16, v48
	s_delay_alu instid0(VALU_DEP_3) | instskip(NEXT) | instid1(VALU_DEP_2)
	v_lshlrev_b64 v[51:52], 2, v[51:52]
	s_and_b32 s2, s0, s8
	s_delay_alu instid0(VALU_DEP_3) | instskip(NEXT) | instid1(VALU_DEP_4)
	v_add_co_u32 v131, vcc_lo, s10, v49
	v_add_co_ci_u32_e32 v132, vcc_lo, s11, v50, vcc_lo
	s_delay_alu instid0(VALU_DEP_3) | instskip(NEXT) | instid1(VALU_DEP_4)
	v_add_co_u32 v129, vcc_lo, s13, v51
	v_add_co_ci_u32_e32 v130, vcc_lo, s14, v52, vcc_lo
	v_ashrrev_i32_e32 v49, 31, v48
	s_and_saveexec_b32 s1, s2
	s_cbranch_execz .LBB32_41
; %bb.37:
	s_delay_alu instid0(VALU_DEP_1)
	v_lshlrev_b64 v[50:51], 2, v[48:49]
	s_and_not1_b32 vcc_lo, exec_lo, s22
	s_cbranch_vccnz .LBB32_39
; %bb.38:
	s_delay_alu instid0(VALU_DEP_1) | instskip(NEXT) | instid1(VALU_DEP_2)
	v_add_co_u32 v52, vcc_lo, v131, v50
	v_add_co_ci_u32_e32 v53, vcc_lo, v132, v51, vcc_lo
	flat_load_b32 v52, v[52:53]
	s_waitcnt vmcnt(0) lgkmcnt(0)
	v_mul_f32_e32 v52, s15, v52
	s_branch .LBB32_40
.LBB32_39:
	v_mov_b32_e32 v52, 0
.LBB32_40:
	v_dual_max_f32 v53, v45, v45 :: v_dual_max_f32 v56, v32, v32
	v_dual_max_f32 v54, v33, v33 :: v_dual_max_f32 v55, v44, v44
	;; [unrolled: 1-line block ×3, first 2 shown]
	v_max_f32_e32 v59, v35, v35
	s_delay_alu instid0(VALU_DEP_3) | instskip(NEXT) | instid1(VALU_DEP_4)
	v_min_f32_e32 v53, v54, v53
	v_dual_max_f32 v54, v34, v34 :: v_dual_min_f32 v55, v56, v55
	v_add_co_u32 v50, vcc_lo, v129, v50
	v_add_co_ci_u32_e32 v51, vcc_lo, v130, v51, vcc_lo
	s_delay_alu instid0(VALU_DEP_3) | instskip(SKIP_2) | instid1(VALU_DEP_1)
	v_min_f32_e32 v54, v54, v57
	v_min_f32_e32 v56, v59, v58
	v_add_f32_e32 v55, v127, v55
	v_dual_add_f32 v53, v128, v53 :: v_dual_add_f32 v54, v55, v54
	s_delay_alu instid0(VALU_DEP_1) | instskip(NEXT) | instid1(VALU_DEP_1)
	v_add_f32_e32 v53, v53, v56
	v_add_f32_e32 v53, v54, v53
	s_delay_alu instid0(VALU_DEP_1)
	v_add_f32_e32 v52, v53, v52
	global_store_b32 v[50:51], v52, off
.LBB32_41:
	s_or_b32 exec_lo, exec_lo, s1
	v_add_nc_u32_e32 v50, 8, v48
	s_delay_alu instid0(VALU_DEP_1) | instskip(SKIP_1) | instid1(VALU_DEP_2)
	v_cmp_gt_i32_e64 s1, s16, v50
	v_ashrrev_i32_e32 v51, 31, v50
	s_and_b32 s3, s1, s8
	s_delay_alu instid0(SALU_CYCLE_1)
	s_and_saveexec_b32 s2, s3
	s_cbranch_execz .LBB32_46
; %bb.42:
	v_cmp_ne_u32_e32 vcc_lo, 1, v101
	v_lshlrev_b64 v[52:53], 2, v[50:51]
	s_cbranch_vccnz .LBB32_44
; %bb.43:
	s_delay_alu instid0(VALU_DEP_1) | instskip(NEXT) | instid1(VALU_DEP_2)
	v_add_co_u32 v54, vcc_lo, v131, v52
	v_add_co_ci_u32_e32 v55, vcc_lo, v132, v53, vcc_lo
	flat_load_b32 v54, v[54:55]
	s_waitcnt vmcnt(0) lgkmcnt(0)
	v_mul_f32_e32 v54, s15, v54
	s_branch .LBB32_45
.LBB32_44:
	v_mov_b32_e32 v54, 0
.LBB32_45:
	v_dual_max_f32 v55, v45, v45 :: v_dual_max_f32 v58, v28, v28
	v_dual_max_f32 v56, v29, v29 :: v_dual_max_f32 v57, v44, v44
	;; [unrolled: 1-line block ×3, first 2 shown]
	v_add_co_u32 v52, vcc_lo, v129, v52
	s_delay_alu instid0(VALU_DEP_3) | instskip(NEXT) | instid1(VALU_DEP_4)
	v_dual_min_f32 v55, v56, v55 :: v_dual_max_f32 v56, v30, v30
	v_min_f32_e32 v57, v58, v57
	v_add_co_ci_u32_e32 v53, vcc_lo, v130, v53, vcc_lo
	s_delay_alu instid0(VALU_DEP_3) | instskip(NEXT) | instid1(VALU_DEP_3)
	v_add_f32_e32 v55, v125, v55
	v_dual_min_f32 v56, v56, v59 :: v_dual_add_f32 v57, v126, v57
	s_delay_alu instid0(VALU_DEP_1) | instskip(NEXT) | instid1(VALU_DEP_1)
	v_dual_max_f32 v61, v31, v31 :: v_dual_add_f32 v56, v57, v56
	v_min_f32_e32 v58, v61, v60
	s_delay_alu instid0(VALU_DEP_1) | instskip(NEXT) | instid1(VALU_DEP_1)
	v_add_f32_e32 v55, v55, v58
	v_add_f32_e32 v55, v56, v55
	s_delay_alu instid0(VALU_DEP_1)
	v_add_f32_e32 v54, v55, v54
	global_store_b32 v[52:53], v54, off
.LBB32_46:
	s_or_b32 exec_lo, exec_lo, s2
	v_add_nc_u32_e32 v52, 16, v48
	s_delay_alu instid0(VALU_DEP_1) | instskip(SKIP_1) | instid1(VALU_DEP_2)
	v_cmp_gt_i32_e64 s2, s16, v52
	v_ashrrev_i32_e32 v53, 31, v52
	s_and_b32 s4, s2, s8
	s_delay_alu instid0(SALU_CYCLE_1)
	s_and_saveexec_b32 s3, s4
	s_cbranch_execz .LBB32_51
; %bb.47:
	v_cmp_ne_u32_e32 vcc_lo, 1, v101
	v_lshlrev_b64 v[54:55], 2, v[52:53]
	s_cbranch_vccnz .LBB32_49
; %bb.48:
	s_delay_alu instid0(VALU_DEP_1) | instskip(NEXT) | instid1(VALU_DEP_2)
	v_add_co_u32 v56, vcc_lo, v131, v54
	v_add_co_ci_u32_e32 v57, vcc_lo, v132, v55, vcc_lo
	flat_load_b32 v56, v[56:57]
	s_waitcnt vmcnt(0) lgkmcnt(0)
	v_mul_f32_e32 v56, s15, v56
	s_branch .LBB32_50
.LBB32_49:
	v_mov_b32_e32 v56, 0
.LBB32_50:
	v_dual_max_f32 v57, v45, v45 :: v_dual_max_f32 v60, v24, v24
	v_dual_max_f32 v58, v25, v25 :: v_dual_max_f32 v59, v44, v44
	;; [unrolled: 1-line block ×3, first 2 shown]
	v_max_f32_e32 v125, v27, v27
	s_delay_alu instid0(VALU_DEP_3) | instskip(NEXT) | instid1(VALU_DEP_4)
	v_min_f32_e32 v57, v58, v57
	v_dual_max_f32 v58, v26, v26 :: v_dual_min_f32 v59, v60, v59
	v_add_co_u32 v54, vcc_lo, v129, v54
	v_add_co_ci_u32_e32 v55, vcc_lo, v130, v55, vcc_lo
	s_delay_alu instid0(VALU_DEP_3) | instskip(SKIP_2) | instid1(VALU_DEP_1)
	v_min_f32_e32 v58, v58, v61
	v_dual_min_f32 v60, v125, v62 :: v_dual_add_f32 v57, v123, v57
	v_add_f32_e32 v59, v124, v59
	v_dual_add_f32 v57, v57, v60 :: v_dual_add_f32 v58, v59, v58
	s_delay_alu instid0(VALU_DEP_1) | instskip(NEXT) | instid1(VALU_DEP_1)
	v_add_f32_e32 v57, v58, v57
	v_add_f32_e32 v56, v57, v56
	global_store_b32 v[54:55], v56, off
.LBB32_51:
	s_or_b32 exec_lo, exec_lo, s3
	v_add_nc_u32_e32 v54, 24, v48
	s_delay_alu instid0(VALU_DEP_1) | instskip(SKIP_1) | instid1(VALU_DEP_2)
	v_cmp_gt_i32_e64 s3, s16, v54
	v_ashrrev_i32_e32 v55, 31, v54
	s_and_b32 s5, s3, s8
	s_delay_alu instid0(SALU_CYCLE_1)
	s_and_saveexec_b32 s4, s5
	s_cbranch_execz .LBB32_56
; %bb.52:
	v_cmp_ne_u32_e32 vcc_lo, 1, v101
	v_lshlrev_b64 v[56:57], 2, v[54:55]
	s_cbranch_vccnz .LBB32_54
; %bb.53:
	s_delay_alu instid0(VALU_DEP_1) | instskip(NEXT) | instid1(VALU_DEP_2)
	v_add_co_u32 v58, vcc_lo, v131, v56
	v_add_co_ci_u32_e32 v59, vcc_lo, v132, v57, vcc_lo
	flat_load_b32 v58, v[58:59]
	s_waitcnt vmcnt(0) lgkmcnt(0)
	v_mul_f32_e32 v58, s15, v58
	s_branch .LBB32_55
.LBB32_54:
	v_mov_b32_e32 v58, 0
.LBB32_55:
	v_dual_max_f32 v59, v45, v45 :: v_dual_max_f32 v62, v20, v20
	v_dual_max_f32 v60, v21, v21 :: v_dual_max_f32 v61, v44, v44
	;; [unrolled: 1-line block ×3, first 2 shown]
	v_add_co_u32 v56, vcc_lo, v129, v56
	s_delay_alu instid0(VALU_DEP_3) | instskip(NEXT) | instid1(VALU_DEP_4)
	v_dual_min_f32 v59, v60, v59 :: v_dual_max_f32 v60, v22, v22
	v_min_f32_e32 v61, v62, v61
	v_add_co_ci_u32_e32 v57, vcc_lo, v130, v57, vcc_lo
	s_delay_alu instid0(VALU_DEP_3) | instskip(NEXT) | instid1(VALU_DEP_3)
	v_add_f32_e32 v59, v121, v59
	v_dual_min_f32 v60, v60, v123 :: v_dual_add_f32 v61, v122, v61
	s_delay_alu instid0(VALU_DEP_1) | instskip(NEXT) | instid1(VALU_DEP_1)
	v_dual_max_f32 v125, v23, v23 :: v_dual_add_f32 v60, v61, v60
	v_min_f32_e32 v62, v125, v124
	s_delay_alu instid0(VALU_DEP_1) | instskip(NEXT) | instid1(VALU_DEP_1)
	v_add_f32_e32 v59, v59, v62
	v_add_f32_e32 v59, v60, v59
	s_delay_alu instid0(VALU_DEP_1)
	v_add_f32_e32 v58, v59, v58
	global_store_b32 v[56:57], v58, off
.LBB32_56:
	s_or_b32 exec_lo, exec_lo, s4
	v_add_nc_u32_e32 v56, 32, v48
	s_delay_alu instid0(VALU_DEP_1) | instskip(SKIP_1) | instid1(VALU_DEP_2)
	v_cmp_gt_i32_e64 s4, s16, v56
	v_ashrrev_i32_e32 v57, 31, v56
	s_and_b32 s6, s4, s8
	s_delay_alu instid0(SALU_CYCLE_1)
	s_and_saveexec_b32 s5, s6
	s_cbranch_execz .LBB32_61
; %bb.57:
	v_cmp_ne_u32_e32 vcc_lo, 1, v101
	v_lshlrev_b64 v[58:59], 2, v[56:57]
	s_cbranch_vccnz .LBB32_59
; %bb.58:
	s_delay_alu instid0(VALU_DEP_1) | instskip(NEXT) | instid1(VALU_DEP_2)
	v_add_co_u32 v60, vcc_lo, v131, v58
	v_add_co_ci_u32_e32 v61, vcc_lo, v132, v59, vcc_lo
	flat_load_b32 v60, v[60:61]
	s_waitcnt vmcnt(0) lgkmcnt(0)
	v_mul_f32_e32 v60, s15, v60
	s_branch .LBB32_60
.LBB32_59:
	v_mov_b32_e32 v60, 0
.LBB32_60:
	v_dual_max_f32 v61, v45, v45 :: v_dual_max_f32 v122, v16, v16
	v_dual_max_f32 v62, v17, v17 :: v_dual_max_f32 v121, v44, v44
	;; [unrolled: 1-line block ×3, first 2 shown]
	v_add_co_u32 v58, vcc_lo, v129, v58
	s_delay_alu instid0(VALU_DEP_3) | instskip(SKIP_1) | instid1(VALU_DEP_2)
	v_min_f32_e32 v121, v122, v121
	v_add_co_ci_u32_e32 v59, vcc_lo, v130, v59, vcc_lo
	v_dual_max_f32 v125, v19, v19 :: v_dual_add_f32 v120, v120, v121
	v_min_f32_e32 v61, v62, v61
	v_max_f32_e32 v62, v18, v18
	s_delay_alu instid0(VALU_DEP_1) | instskip(NEXT) | instid1(VALU_DEP_1)
	v_min_f32_e32 v62, v62, v123
	v_dual_add_f32 v62, v120, v62 :: v_dual_add_f32 v61, v119, v61
	v_min_f32_e32 v119, v125, v124
	s_delay_alu instid0(VALU_DEP_1) | instskip(NEXT) | instid1(VALU_DEP_1)
	v_add_f32_e32 v61, v61, v119
	v_add_f32_e32 v61, v62, v61
	s_delay_alu instid0(VALU_DEP_1)
	v_add_f32_e32 v60, v61, v60
	global_store_b32 v[58:59], v60, off
.LBB32_61:
	s_or_b32 exec_lo, exec_lo, s5
	v_add_nc_u32_e32 v58, 40, v48
	s_delay_alu instid0(VALU_DEP_1) | instskip(SKIP_1) | instid1(VALU_DEP_2)
	v_cmp_gt_i32_e64 s5, s16, v58
	v_ashrrev_i32_e32 v59, 31, v58
	s_and_b32 s7, s5, s8
	s_delay_alu instid0(SALU_CYCLE_1)
	s_and_saveexec_b32 s6, s7
	s_cbranch_execz .LBB32_66
; %bb.62:
	v_cmp_ne_u32_e32 vcc_lo, 1, v101
	v_lshlrev_b64 v[60:61], 2, v[58:59]
	s_cbranch_vccnz .LBB32_64
; %bb.63:
	s_delay_alu instid0(VALU_DEP_1) | instskip(NEXT) | instid1(VALU_DEP_2)
	v_add_co_u32 v119, vcc_lo, v131, v60
	v_add_co_ci_u32_e32 v120, vcc_lo, v132, v61, vcc_lo
	flat_load_b32 v62, v[119:120]
	s_waitcnt vmcnt(0) lgkmcnt(0)
	v_mul_f32_e32 v62, s15, v62
	s_branch .LBB32_65
.LBB32_64:
	v_mov_b32_e32 v62, 0
.LBB32_65:
	v_dual_max_f32 v119, v45, v45 :: v_dual_max_f32 v122, v12, v12
	v_dual_max_f32 v120, v13, v13 :: v_dual_max_f32 v121, v44, v44
	;; [unrolled: 1-line block ×3, first 2 shown]
	v_add_co_u32 v60, vcc_lo, v129, v60
	s_delay_alu instid0(VALU_DEP_3) | instskip(SKIP_1) | instid1(VALU_DEP_2)
	v_dual_min_f32 v119, v120, v119 :: v_dual_max_f32 v120, v14, v14
	v_add_co_ci_u32_e32 v61, vcc_lo, v130, v61, vcc_lo
	v_add_f32_e32 v118, v118, v119
	v_max_f32_e32 v125, v15, v15
	v_min_f32_e32 v121, v122, v121
	s_delay_alu instid0(VALU_DEP_2) | instskip(NEXT) | instid1(VALU_DEP_1)
	v_dual_min_f32 v119, v120, v123 :: v_dual_min_f32 v120, v125, v124
	v_dual_add_f32 v63, v63, v121 :: v_dual_add_f32 v118, v118, v120
	s_delay_alu instid0(VALU_DEP_1) | instskip(NEXT) | instid1(VALU_DEP_1)
	v_add_f32_e32 v63, v63, v119
	v_add_f32_e32 v63, v63, v118
	s_delay_alu instid0(VALU_DEP_1)
	v_add_f32_e32 v62, v63, v62
	global_store_b32 v[60:61], v62, off
.LBB32_66:
	s_or_b32 exec_lo, exec_lo, s6
	v_add_nc_u32_e32 v60, 48, v48
	s_delay_alu instid0(VALU_DEP_1) | instskip(SKIP_1) | instid1(VALU_DEP_2)
	v_cmp_gt_i32_e64 s6, s16, v60
	v_ashrrev_i32_e32 v61, 31, v60
	s_and_b32 s18, s6, s8
	s_delay_alu instid0(SALU_CYCLE_1)
	s_and_saveexec_b32 s7, s18
	s_cbranch_execz .LBB32_71
; %bb.67:
	v_cmp_ne_u32_e32 vcc_lo, 1, v101
	v_lshlrev_b64 v[62:63], 2, v[60:61]
	s_cbranch_vccnz .LBB32_69
; %bb.68:
	s_delay_alu instid0(VALU_DEP_1) | instskip(NEXT) | instid1(VALU_DEP_2)
	v_add_co_u32 v118, vcc_lo, v131, v62
	v_add_co_ci_u32_e32 v119, vcc_lo, v132, v63, vcc_lo
	flat_load_b32 v118, v[118:119]
	s_waitcnt vmcnt(0) lgkmcnt(0)
	v_mul_f32_e32 v118, s15, v118
	s_branch .LBB32_70
.LBB32_69:
	v_mov_b32_e32 v118, 0
.LBB32_70:
	v_dual_max_f32 v119, v45, v45 :: v_dual_max_f32 v122, v8, v8
	v_dual_max_f32 v120, v9, v9 :: v_dual_max_f32 v121, v44, v44
	;; [unrolled: 1-line block ×3, first 2 shown]
	v_add_co_u32 v62, vcc_lo, v129, v62
	s_delay_alu instid0(VALU_DEP_3) | instskip(NEXT) | instid1(VALU_DEP_4)
	v_dual_min_f32 v119, v120, v119 :: v_dual_max_f32 v120, v10, v10
	v_min_f32_e32 v121, v122, v121
	v_add_co_ci_u32_e32 v63, vcc_lo, v130, v63, vcc_lo
	s_delay_alu instid0(VALU_DEP_3) | instskip(SKIP_3) | instid1(VALU_DEP_3)
	v_add_f32_e32 v64, v64, v119
	v_max_f32_e32 v125, v11, v11
	v_min_f32_e32 v119, v120, v123
	v_add_f32_e32 v65, v65, v121
	v_min_f32_e32 v120, v125, v124
	s_delay_alu instid0(VALU_DEP_1) | instskip(NEXT) | instid1(VALU_DEP_1)
	v_dual_add_f32 v65, v65, v119 :: v_dual_add_f32 v64, v64, v120
	v_add_f32_e32 v64, v65, v64
	s_delay_alu instid0(VALU_DEP_1)
	v_add_f32_e32 v64, v64, v118
	global_store_b32 v[62:63], v64, off
.LBB32_71:
	s_or_b32 exec_lo, exec_lo, s7
	v_add_nc_u32_e32 v62, 56, v48
	s_delay_alu instid0(VALU_DEP_1) | instskip(SKIP_1) | instid1(VALU_DEP_2)
	v_cmp_gt_i32_e64 s7, s16, v62
	v_ashrrev_i32_e32 v63, 31, v62
	s_and_b32 s16, s7, s8
	s_delay_alu instid0(SALU_CYCLE_1)
	s_and_saveexec_b32 s8, s16
	s_cbranch_execz .LBB32_76
; %bb.72:
	v_cmp_ne_u32_e32 vcc_lo, 1, v101
	v_lshlrev_b64 v[64:65], 2, v[62:63]
	s_cbranch_vccnz .LBB32_74
; %bb.73:
	s_delay_alu instid0(VALU_DEP_1) | instskip(NEXT) | instid1(VALU_DEP_2)
	v_add_co_u32 v118, vcc_lo, v131, v64
	v_add_co_ci_u32_e32 v119, vcc_lo, v132, v65, vcc_lo
	flat_load_b32 v118, v[118:119]
	s_waitcnt vmcnt(0) lgkmcnt(0)
	v_mul_f32_e32 v118, s15, v118
	s_branch .LBB32_75
.LBB32_74:
	v_mov_b32_e32 v118, 0
.LBB32_75:
	v_dual_max_f32 v45, v45, v45 :: v_dual_max_f32 v44, v44, v44
	v_dual_max_f32 v119, v1, v1 :: v_dual_max_f32 v120, v0, v0
	s_delay_alu instid0(VALU_DEP_1) | instskip(NEXT) | instid1(VALU_DEP_2)
	v_dual_max_f32 v46, v46, v46 :: v_dual_min_f32 v45, v119, v45
	v_dual_max_f32 v119, v2, v2 :: v_dual_min_f32 v44, v120, v44
	v_max_f32_e32 v47, v47, v47
	s_delay_alu instid0(VALU_DEP_2) | instskip(NEXT) | instid1(VALU_DEP_3)
	v_dual_add_f32 v45, v115, v45 :: v_dual_add_f32 v44, v116, v44
	v_min_f32_e32 v46, v119, v46
	s_delay_alu instid0(VALU_DEP_1) | instskip(NEXT) | instid1(VALU_DEP_1)
	v_dual_max_f32 v121, v3, v3 :: v_dual_add_f32 v44, v44, v46
	v_min_f32_e32 v47, v121, v47
	s_delay_alu instid0(VALU_DEP_1) | instskip(NEXT) | instid1(VALU_DEP_1)
	v_add_f32_e32 v45, v45, v47
	v_add_f32_e32 v44, v44, v45
	s_delay_alu instid0(VALU_DEP_1)
	v_add_f32_e32 v46, v44, v118
	v_add_co_u32 v44, vcc_lo, v129, v64
	v_add_co_ci_u32_e32 v45, vcc_lo, v130, v65, vcc_lo
	global_store_b32 v[44:45], v46, off
.LBB32_76:
	s_or_b32 exec_lo, exec_lo, s8
	v_add_nc_u32_e32 v64, 32, v117
	s_delay_alu instid0(VALU_DEP_1) | instskip(SKIP_2) | instid1(VALU_DEP_3)
	v_mad_i64_i32 v[44:45], null, v64, s12, 0
	v_mad_i64_i32 v[46:47], null, v64, s9, 0
	v_cmp_gt_i32_e64 s8, s17, v64
	v_lshlrev_b64 v[44:45], 2, v[44:45]
	s_delay_alu instid0(VALU_DEP_2) | instskip(NEXT) | instid1(VALU_DEP_3)
	s_and_b32 s18, s0, s8
	v_lshlrev_b64 v[46:47], 2, v[46:47]
	s_delay_alu instid0(VALU_DEP_2) | instskip(NEXT) | instid1(VALU_DEP_3)
	v_add_co_u32 v64, vcc_lo, s10, v44
	v_add_co_ci_u32_e32 v65, vcc_lo, s11, v45, vcc_lo
	s_delay_alu instid0(VALU_DEP_3) | instskip(NEXT) | instid1(VALU_DEP_4)
	v_add_co_u32 v46, vcc_lo, s13, v46
	v_add_co_ci_u32_e32 v47, vcc_lo, s14, v47, vcc_lo
	s_and_saveexec_b32 s16, s18
	s_cbranch_execnz .LBB32_84
; %bb.77:
	s_or_b32 exec_lo, exec_lo, s16
	s_and_b32 s18, s1, s8
	s_delay_alu instid0(SALU_CYCLE_1)
	s_and_saveexec_b32 s16, s18
	s_cbranch_execnz .LBB32_88
.LBB32_78:
	s_or_b32 exec_lo, exec_lo, s16
	s_and_b32 s18, s2, s8
	s_delay_alu instid0(SALU_CYCLE_1)
	s_and_saveexec_b32 s16, s18
	s_cbranch_execnz .LBB32_92
.LBB32_79:
	s_or_b32 exec_lo, exec_lo, s16
	s_and_b32 s18, s3, s8
	s_delay_alu instid0(SALU_CYCLE_1)
	s_and_saveexec_b32 s16, s18
	s_cbranch_execnz .LBB32_96
.LBB32_80:
	s_or_b32 exec_lo, exec_lo, s16
	s_and_b32 s18, s4, s8
	s_delay_alu instid0(SALU_CYCLE_1)
	s_and_saveexec_b32 s16, s18
	s_cbranch_execnz .LBB32_100
.LBB32_81:
	s_or_b32 exec_lo, exec_lo, s16
	s_and_b32 s18, s5, s8
	s_delay_alu instid0(SALU_CYCLE_1)
	s_and_saveexec_b32 s16, s18
	s_cbranch_execnz .LBB32_104
.LBB32_82:
	s_or_b32 exec_lo, exec_lo, s16
	s_and_b32 s18, s6, s8
	s_delay_alu instid0(SALU_CYCLE_1)
	s_and_saveexec_b32 s16, s18
	s_cbranch_execnz .LBB32_108
.LBB32_83:
	s_or_b32 exec_lo, exec_lo, s16
	s_and_b32 s16, s7, s8
	s_delay_alu instid0(SALU_CYCLE_1)
	s_and_saveexec_b32 s8, s16
	s_cbranch_execnz .LBB32_112
	s_branch .LBB32_116
.LBB32_84:
	v_cmp_ne_u32_e32 vcc_lo, 1, v101
	v_lshlrev_b64 v[44:45], 2, v[48:49]
	s_cbranch_vccnz .LBB32_86
; %bb.85:
	s_delay_alu instid0(VALU_DEP_1) | instskip(NEXT) | instid1(VALU_DEP_2)
	v_add_co_u32 v115, vcc_lo, v64, v44
	v_add_co_ci_u32_e32 v116, vcc_lo, v65, v45, vcc_lo
	flat_load_b32 v115, v[115:116]
	s_waitcnt vmcnt(0) lgkmcnt(0)
	v_mul_f32_e32 v115, s15, v115
	s_branch .LBB32_87
.LBB32_86:
	v_mov_b32_e32 v115, 0
.LBB32_87:
	v_dual_max_f32 v116, v41, v41 :: v_dual_max_f32 v119, v40, v40
	v_dual_max_f32 v118, v33, v33 :: v_dual_max_f32 v121, v42, v42
	;; [unrolled: 1-line block ×3, first 2 shown]
	v_add_co_u32 v44, vcc_lo, v46, v44
	s_delay_alu instid0(VALU_DEP_2) | instskip(SKIP_2) | instid1(VALU_DEP_3)
	v_dual_min_f32 v116, v118, v116 :: v_dual_min_f32 v119, v120, v119
	v_max_f32_e32 v118, v34, v34
	v_add_co_ci_u32_e32 v45, vcc_lo, v47, v45, vcc_lo
	v_dual_add_f32 v114, v114, v116 :: v_dual_add_f32 v113, v113, v119
	s_delay_alu instid0(VALU_DEP_3) | instskip(NEXT) | instid1(VALU_DEP_1)
	v_min_f32_e32 v116, v118, v121
	v_dual_max_f32 v122, v43, v43 :: v_dual_add_f32 v113, v113, v116
	s_delay_alu instid0(VALU_DEP_1) | instskip(NEXT) | instid1(VALU_DEP_1)
	v_min_f32_e32 v118, v123, v122
	v_add_f32_e32 v114, v114, v118
	s_delay_alu instid0(VALU_DEP_1) | instskip(NEXT) | instid1(VALU_DEP_1)
	v_add_f32_e32 v113, v113, v114
	v_add_f32_e32 v113, v113, v115
	global_store_b32 v[44:45], v113, off
	s_or_b32 exec_lo, exec_lo, s16
	s_and_b32 s18, s1, s8
	s_delay_alu instid0(SALU_CYCLE_1)
	s_and_saveexec_b32 s16, s18
	s_cbranch_execz .LBB32_78
.LBB32_88:
	v_cmp_ne_u32_e32 vcc_lo, 1, v101
	v_lshlrev_b64 v[44:45], 2, v[50:51]
	s_cbranch_vccnz .LBB32_90
; %bb.89:
	s_delay_alu instid0(VALU_DEP_1) | instskip(NEXT) | instid1(VALU_DEP_2)
	v_add_co_u32 v113, vcc_lo, v64, v44
	v_add_co_ci_u32_e32 v114, vcc_lo, v65, v45, vcc_lo
	flat_load_b32 v113, v[113:114]
	s_waitcnt vmcnt(0) lgkmcnt(0)
	v_mul_f32_e32 v113, s15, v113
	s_branch .LBB32_91
.LBB32_90:
	v_mov_b32_e32 v113, 0
.LBB32_91:
	v_dual_max_f32 v114, v41, v41 :: v_dual_max_f32 v119, v42, v42
	v_dual_max_f32 v115, v29, v29 :: v_dual_max_f32 v116, v40, v40
	v_max_f32_e32 v118, v28, v28
	v_max_f32_e32 v120, v43, v43
	;; [unrolled: 1-line block ×3, first 2 shown]
	s_delay_alu instid0(VALU_DEP_4) | instskip(SKIP_3) | instid1(VALU_DEP_4)
	v_min_f32_e32 v114, v115, v114
	v_max_f32_e32 v115, v30, v30
	v_min_f32_e32 v116, v118, v116
	v_add_co_u32 v44, vcc_lo, v46, v44
	v_add_f32_e32 v111, v111, v114
	s_delay_alu instid0(VALU_DEP_4) | instskip(NEXT) | instid1(VALU_DEP_4)
	v_min_f32_e32 v114, v115, v119
	v_add_f32_e32 v112, v112, v116
	v_min_f32_e32 v115, v121, v120
	v_add_co_ci_u32_e32 v45, vcc_lo, v47, v45, vcc_lo
	s_delay_alu instid0(VALU_DEP_2) | instskip(NEXT) | instid1(VALU_DEP_1)
	v_dual_add_f32 v112, v112, v114 :: v_dual_add_f32 v111, v111, v115
	v_add_f32_e32 v111, v112, v111
	s_delay_alu instid0(VALU_DEP_1) | instskip(SKIP_3) | instid1(SALU_CYCLE_1)
	v_add_f32_e32 v111, v111, v113
	global_store_b32 v[44:45], v111, off
	s_or_b32 exec_lo, exec_lo, s16
	s_and_b32 s18, s2, s8
	s_and_saveexec_b32 s16, s18
	s_cbranch_execz .LBB32_79
.LBB32_92:
	v_cmp_ne_u32_e32 vcc_lo, 1, v101
	v_lshlrev_b64 v[44:45], 2, v[52:53]
	s_cbranch_vccnz .LBB32_94
; %bb.93:
	s_delay_alu instid0(VALU_DEP_1) | instskip(NEXT) | instid1(VALU_DEP_2)
	v_add_co_u32 v111, vcc_lo, v64, v44
	v_add_co_ci_u32_e32 v112, vcc_lo, v65, v45, vcc_lo
	flat_load_b32 v111, v[111:112]
	s_waitcnt vmcnt(0) lgkmcnt(0)
	v_mul_f32_e32 v111, s15, v111
	s_branch .LBB32_95
.LBB32_94:
	v_mov_b32_e32 v111, 0
.LBB32_95:
	v_dual_max_f32 v112, v41, v41 :: v_dual_max_f32 v115, v24, v24
	v_dual_max_f32 v113, v25, v25 :: v_dual_max_f32 v114, v40, v40
	;; [unrolled: 1-line block ×3, first 2 shown]
	v_add_co_u32 v44, vcc_lo, v46, v44
	s_delay_alu instid0(VALU_DEP_3) | instskip(SKIP_1) | instid1(VALU_DEP_2)
	v_dual_min_f32 v112, v113, v112 :: v_dual_max_f32 v113, v26, v26
	v_add_co_ci_u32_e32 v45, vcc_lo, v47, v45, vcc_lo
	v_add_f32_e32 v110, v110, v112
	s_delay_alu instid0(VALU_DEP_3) | instskip(SKIP_1) | instid1(VALU_DEP_1)
	v_min_f32_e32 v112, v113, v116
	v_min_f32_e32 v114, v115, v114
	v_dual_max_f32 v118, v43, v43 :: v_dual_add_f32 v109, v109, v114
	s_delay_alu instid0(VALU_DEP_1) | instskip(NEXT) | instid1(VALU_DEP_1)
	v_min_f32_e32 v113, v119, v118
	v_dual_add_f32 v109, v109, v112 :: v_dual_add_f32 v110, v110, v113
	s_delay_alu instid0(VALU_DEP_1) | instskip(NEXT) | instid1(VALU_DEP_1)
	v_add_f32_e32 v109, v109, v110
	v_add_f32_e32 v109, v109, v111
	global_store_b32 v[44:45], v109, off
	s_or_b32 exec_lo, exec_lo, s16
	s_and_b32 s18, s3, s8
	s_delay_alu instid0(SALU_CYCLE_1)
	s_and_saveexec_b32 s16, s18
	s_cbranch_execz .LBB32_80
.LBB32_96:
	v_cmp_ne_u32_e32 vcc_lo, 1, v101
	v_lshlrev_b64 v[44:45], 2, v[54:55]
	s_cbranch_vccnz .LBB32_98
; %bb.97:
	s_delay_alu instid0(VALU_DEP_1) | instskip(NEXT) | instid1(VALU_DEP_2)
	v_add_co_u32 v109, vcc_lo, v64, v44
	v_add_co_ci_u32_e32 v110, vcc_lo, v65, v45, vcc_lo
	flat_load_b32 v109, v[109:110]
	s_waitcnt vmcnt(0) lgkmcnt(0)
	v_mul_f32_e32 v109, s15, v109
	s_branch .LBB32_99
.LBB32_98:
	v_mov_b32_e32 v109, 0
.LBB32_99:
	v_dual_max_f32 v110, v41, v41 :: v_dual_max_f32 v113, v20, v20
	v_dual_max_f32 v111, v21, v21 :: v_dual_max_f32 v112, v40, v40
	;; [unrolled: 1-line block ×3, first 2 shown]
	v_max_f32_e32 v116, v23, v23
	s_delay_alu instid0(VALU_DEP_3) | instskip(NEXT) | instid1(VALU_DEP_4)
	v_min_f32_e32 v110, v111, v110
	v_dual_max_f32 v111, v22, v22 :: v_dual_min_f32 v112, v113, v112
	v_add_co_u32 v44, vcc_lo, v46, v44
	s_delay_alu instid0(VALU_DEP_3) | instskip(NEXT) | instid1(VALU_DEP_3)
	v_add_f32_e32 v107, v107, v110
	v_dual_min_f32 v110, v111, v114 :: v_dual_min_f32 v111, v116, v115
	s_delay_alu instid0(VALU_DEP_4) | instskip(SKIP_1) | instid1(VALU_DEP_2)
	v_add_f32_e32 v108, v108, v112
	v_add_co_ci_u32_e32 v45, vcc_lo, v47, v45, vcc_lo
	v_dual_add_f32 v107, v107, v111 :: v_dual_add_f32 v108, v108, v110
	s_delay_alu instid0(VALU_DEP_1) | instskip(NEXT) | instid1(VALU_DEP_1)
	v_add_f32_e32 v107, v108, v107
	v_add_f32_e32 v107, v107, v109
	global_store_b32 v[44:45], v107, off
	s_or_b32 exec_lo, exec_lo, s16
	s_and_b32 s18, s4, s8
	s_delay_alu instid0(SALU_CYCLE_1)
	s_and_saveexec_b32 s16, s18
	s_cbranch_execz .LBB32_81
.LBB32_100:
	v_cmp_ne_u32_e32 vcc_lo, 1, v101
	v_lshlrev_b64 v[44:45], 2, v[56:57]
	s_cbranch_vccnz .LBB32_102
; %bb.101:
	s_delay_alu instid0(VALU_DEP_1) | instskip(NEXT) | instid1(VALU_DEP_2)
	v_add_co_u32 v107, vcc_lo, v64, v44
	v_add_co_ci_u32_e32 v108, vcc_lo, v65, v45, vcc_lo
	flat_load_b32 v107, v[107:108]
	s_waitcnt vmcnt(0) lgkmcnt(0)
	v_mul_f32_e32 v107, s15, v107
	s_branch .LBB32_103
.LBB32_102:
	v_mov_b32_e32 v107, 0
.LBB32_103:
	v_dual_max_f32 v108, v41, v41 :: v_dual_max_f32 v111, v16, v16
	v_dual_max_f32 v109, v17, v17 :: v_dual_max_f32 v110, v40, v40
	;; [unrolled: 1-line block ×3, first 2 shown]
	v_add_co_u32 v44, vcc_lo, v46, v44
	s_delay_alu instid0(VALU_DEP_3) | instskip(SKIP_2) | instid1(VALU_DEP_3)
	v_dual_min_f32 v108, v109, v108 :: v_dual_max_f32 v109, v18, v18
	v_max_f32_e32 v114, v19, v19
	v_add_co_ci_u32_e32 v45, vcc_lo, v47, v45, vcc_lo
	v_dual_add_f32 v105, v105, v108 :: v_dual_min_f32 v110, v111, v110
	s_delay_alu instid0(VALU_DEP_3) | instskip(NEXT) | instid1(VALU_DEP_1)
	v_dual_min_f32 v108, v109, v112 :: v_dual_min_f32 v109, v114, v113
	v_dual_add_f32 v106, v106, v110 :: v_dual_add_f32 v105, v105, v109
	s_delay_alu instid0(VALU_DEP_1) | instskip(NEXT) | instid1(VALU_DEP_1)
	v_add_f32_e32 v106, v106, v108
	v_add_f32_e32 v105, v106, v105
	s_delay_alu instid0(VALU_DEP_1) | instskip(SKIP_3) | instid1(SALU_CYCLE_1)
	v_add_f32_e32 v105, v105, v107
	global_store_b32 v[44:45], v105, off
	s_or_b32 exec_lo, exec_lo, s16
	s_and_b32 s18, s5, s8
	s_and_saveexec_b32 s16, s18
	s_cbranch_execz .LBB32_82
.LBB32_104:
	v_cmp_ne_u32_e32 vcc_lo, 1, v101
	v_lshlrev_b64 v[44:45], 2, v[58:59]
	s_cbranch_vccnz .LBB32_106
; %bb.105:
	s_delay_alu instid0(VALU_DEP_1) | instskip(NEXT) | instid1(VALU_DEP_2)
	v_add_co_u32 v105, vcc_lo, v64, v44
	v_add_co_ci_u32_e32 v106, vcc_lo, v65, v45, vcc_lo
	flat_load_b32 v105, v[105:106]
	s_waitcnt vmcnt(0) lgkmcnt(0)
	v_mul_f32_e32 v105, s15, v105
	s_branch .LBB32_107
.LBB32_106:
	v_mov_b32_e32 v105, 0
.LBB32_107:
	v_dual_max_f32 v106, v41, v41 :: v_dual_max_f32 v109, v12, v12
	v_dual_max_f32 v107, v13, v13 :: v_dual_max_f32 v108, v40, v40
	;; [unrolled: 1-line block ×3, first 2 shown]
	v_max_f32_e32 v112, v15, v15
	s_delay_alu instid0(VALU_DEP_3) | instskip(NEXT) | instid1(VALU_DEP_4)
	v_min_f32_e32 v106, v107, v106
	v_dual_max_f32 v107, v14, v14 :: v_dual_min_f32 v108, v109, v108
	v_add_co_u32 v44, vcc_lo, v46, v44
	s_delay_alu instid0(VALU_DEP_3) | instskip(NEXT) | instid1(VALU_DEP_3)
	v_add_f32_e32 v104, v104, v106
	v_min_f32_e32 v106, v107, v110
	s_delay_alu instid0(VALU_DEP_4) | instskip(SKIP_2) | instid1(VALU_DEP_2)
	v_add_f32_e32 v103, v103, v108
	v_min_f32_e32 v107, v112, v111
	v_add_co_ci_u32_e32 v45, vcc_lo, v47, v45, vcc_lo
	v_dual_add_f32 v103, v103, v106 :: v_dual_add_f32 v104, v104, v107
	s_delay_alu instid0(VALU_DEP_1) | instskip(NEXT) | instid1(VALU_DEP_1)
	v_add_f32_e32 v103, v103, v104
	v_add_f32_e32 v103, v103, v105
	global_store_b32 v[44:45], v103, off
	s_or_b32 exec_lo, exec_lo, s16
	s_and_b32 s18, s6, s8
	s_delay_alu instid0(SALU_CYCLE_1)
	s_and_saveexec_b32 s16, s18
	s_cbranch_execz .LBB32_83
.LBB32_108:
	v_cmp_ne_u32_e32 vcc_lo, 1, v101
	v_lshlrev_b64 v[44:45], 2, v[60:61]
	s_cbranch_vccnz .LBB32_110
; %bb.109:
	s_delay_alu instid0(VALU_DEP_1) | instskip(NEXT) | instid1(VALU_DEP_2)
	v_add_co_u32 v103, vcc_lo, v64, v44
	v_add_co_ci_u32_e32 v104, vcc_lo, v65, v45, vcc_lo
	flat_load_b32 v103, v[103:104]
	s_waitcnt vmcnt(0) lgkmcnt(0)
	v_mul_f32_e32 v103, s15, v103
	s_branch .LBB32_111
.LBB32_110:
	v_mov_b32_e32 v103, 0
.LBB32_111:
	v_dual_max_f32 v104, v41, v41 :: v_dual_max_f32 v107, v8, v8
	v_dual_max_f32 v105, v9, v9 :: v_dual_max_f32 v106, v40, v40
	;; [unrolled: 1-line block ×3, first 2 shown]
	v_max_f32_e32 v110, v11, v11
	s_delay_alu instid0(VALU_DEP_3) | instskip(NEXT) | instid1(VALU_DEP_4)
	v_dual_min_f32 v104, v105, v104 :: v_dual_max_f32 v105, v10, v10
	v_min_f32_e32 v106, v107, v106
	v_add_co_u32 v44, vcc_lo, v46, v44
	s_delay_alu instid0(VALU_DEP_3) | instskip(NEXT) | instid1(VALU_DEP_4)
	v_add_f32_e32 v100, v100, v104
	v_dual_min_f32 v104, v105, v108 :: v_dual_min_f32 v105, v110, v109
	s_delay_alu instid0(VALU_DEP_4) | instskip(SKIP_1) | instid1(VALU_DEP_3)
	v_add_f32_e32 v102, v102, v106
	v_add_co_ci_u32_e32 v45, vcc_lo, v47, v45, vcc_lo
	v_add_f32_e32 v100, v100, v105
	s_delay_alu instid0(VALU_DEP_3) | instskip(NEXT) | instid1(VALU_DEP_1)
	v_add_f32_e32 v102, v102, v104
	v_add_f32_e32 v100, v102, v100
	s_delay_alu instid0(VALU_DEP_1) | instskip(SKIP_3) | instid1(SALU_CYCLE_1)
	v_add_f32_e32 v100, v100, v103
	global_store_b32 v[44:45], v100, off
	s_or_b32 exec_lo, exec_lo, s16
	s_and_b32 s16, s7, s8
	s_and_saveexec_b32 s8, s16
	s_cbranch_execz .LBB32_116
.LBB32_112:
	v_cmp_ne_u32_e32 vcc_lo, 1, v101
	v_lshlrev_b64 v[44:45], 2, v[62:63]
	s_cbranch_vccnz .LBB32_114
; %bb.113:
	s_delay_alu instid0(VALU_DEP_1) | instskip(NEXT) | instid1(VALU_DEP_2)
	v_add_co_u32 v64, vcc_lo, v64, v44
	v_add_co_ci_u32_e32 v65, vcc_lo, v65, v45, vcc_lo
	flat_load_b32 v64, v[64:65]
	s_waitcnt vmcnt(0) lgkmcnt(0)
	v_mul_f32_e32 v64, s15, v64
	s_branch .LBB32_115
.LBB32_114:
	v_mov_b32_e32 v64, 0
.LBB32_115:
	v_dual_max_f32 v41, v41, v41 :: v_dual_max_f32 v40, v40, v40
	v_dual_max_f32 v65, v1, v1 :: v_dual_max_f32 v100, v0, v0
	;; [unrolled: 1-line block ×3, first 2 shown]
	s_delay_alu instid0(VALU_DEP_2) | instskip(NEXT) | instid1(VALU_DEP_3)
	v_dual_max_f32 v102, v3, v3 :: v_dual_min_f32 v41, v65, v41
	v_dual_min_f32 v40, v100, v40 :: v_dual_max_f32 v65, v2, v2
	s_delay_alu instid0(VALU_DEP_1) | instskip(NEXT) | instid1(VALU_DEP_2)
	v_dual_add_f32 v41, v99, v41 :: v_dual_min_f32 v42, v65, v42
	v_add_f32_e32 v40, v98, v40
	s_delay_alu instid0(VALU_DEP_1) | instskip(NEXT) | instid1(VALU_DEP_1)
	v_dual_min_f32 v43, v102, v43 :: v_dual_add_f32 v40, v40, v42
	v_add_f32_e32 v41, v41, v43
	s_delay_alu instid0(VALU_DEP_1) | instskip(NEXT) | instid1(VALU_DEP_1)
	v_add_f32_e32 v40, v40, v41
	v_add_f32_e32 v42, v40, v64
	v_add_co_u32 v40, vcc_lo, v46, v44
	v_add_co_ci_u32_e32 v41, vcc_lo, v47, v45, vcc_lo
	global_store_b32 v[40:41], v42, off
.LBB32_116:
	s_or_b32 exec_lo, exec_lo, s8
	v_add_nc_u32_e32 v44, 64, v117
	s_delay_alu instid0(VALU_DEP_1) | instskip(SKIP_2) | instid1(VALU_DEP_3)
	v_mad_i64_i32 v[40:41], null, v44, s12, 0
	v_mad_i64_i32 v[42:43], null, v44, s9, 0
	v_cmp_gt_i32_e64 s8, s17, v44
	v_lshlrev_b64 v[40:41], 2, v[40:41]
	s_delay_alu instid0(VALU_DEP_2) | instskip(NEXT) | instid1(VALU_DEP_3)
	s_and_b32 s18, s0, s8
	v_lshlrev_b64 v[42:43], 2, v[42:43]
	s_delay_alu instid0(VALU_DEP_2) | instskip(NEXT) | instid1(VALU_DEP_3)
	v_add_co_u32 v44, vcc_lo, s10, v40
	v_add_co_ci_u32_e32 v45, vcc_lo, s11, v41, vcc_lo
	s_delay_alu instid0(VALU_DEP_3) | instskip(NEXT) | instid1(VALU_DEP_4)
	v_add_co_u32 v42, vcc_lo, s13, v42
	v_add_co_ci_u32_e32 v43, vcc_lo, s14, v43, vcc_lo
	s_and_saveexec_b32 s16, s18
	s_cbranch_execnz .LBB32_124
; %bb.117:
	s_or_b32 exec_lo, exec_lo, s16
	s_and_b32 s18, s1, s8
	s_delay_alu instid0(SALU_CYCLE_1)
	s_and_saveexec_b32 s16, s18
	s_cbranch_execnz .LBB32_128
.LBB32_118:
	s_or_b32 exec_lo, exec_lo, s16
	s_and_b32 s18, s2, s8
	s_delay_alu instid0(SALU_CYCLE_1)
	s_and_saveexec_b32 s16, s18
	s_cbranch_execnz .LBB32_132
.LBB32_119:
	s_or_b32 exec_lo, exec_lo, s16
	s_and_b32 s18, s3, s8
	s_delay_alu instid0(SALU_CYCLE_1)
	s_and_saveexec_b32 s16, s18
	s_cbranch_execnz .LBB32_136
.LBB32_120:
	s_or_b32 exec_lo, exec_lo, s16
	s_and_b32 s18, s4, s8
	s_delay_alu instid0(SALU_CYCLE_1)
	s_and_saveexec_b32 s16, s18
	s_cbranch_execnz .LBB32_140
.LBB32_121:
	s_or_b32 exec_lo, exec_lo, s16
	s_and_b32 s18, s5, s8
	s_delay_alu instid0(SALU_CYCLE_1)
	s_and_saveexec_b32 s16, s18
	s_cbranch_execnz .LBB32_144
.LBB32_122:
	s_or_b32 exec_lo, exec_lo, s16
	s_and_b32 s18, s6, s8
	s_delay_alu instid0(SALU_CYCLE_1)
	s_and_saveexec_b32 s16, s18
	s_cbranch_execnz .LBB32_148
.LBB32_123:
	s_or_b32 exec_lo, exec_lo, s16
	s_and_b32 s16, s7, s8
	s_delay_alu instid0(SALU_CYCLE_1)
	s_and_saveexec_b32 s8, s16
	s_cbranch_execnz .LBB32_152
	s_branch .LBB32_156
.LBB32_124:
	v_cmp_ne_u32_e32 vcc_lo, 1, v101
	v_lshlrev_b64 v[40:41], 2, v[48:49]
	s_cbranch_vccnz .LBB32_126
; %bb.125:
	s_delay_alu instid0(VALU_DEP_1) | instskip(NEXT) | instid1(VALU_DEP_2)
	v_add_co_u32 v46, vcc_lo, v44, v40
	v_add_co_ci_u32_e32 v47, vcc_lo, v45, v41, vcc_lo
	flat_load_b32 v46, v[46:47]
	s_waitcnt vmcnt(0) lgkmcnt(0)
	v_mul_f32_e32 v46, s15, v46
	s_branch .LBB32_127
.LBB32_126:
	v_mov_b32_e32 v46, 0
.LBB32_127:
	v_dual_max_f32 v47, v37, v37 :: v_dual_max_f32 v98, v32, v32
	v_dual_max_f32 v64, v33, v33 :: v_dual_max_f32 v65, v36, v36
	;; [unrolled: 1-line block ×3, first 2 shown]
	v_max_f32_e32 v102, v35, v35
	s_delay_alu instid0(VALU_DEP_3) | instskip(NEXT) | instid1(VALU_DEP_4)
	v_dual_min_f32 v47, v64, v47 :: v_dual_max_f32 v64, v34, v34
	v_min_f32_e32 v65, v98, v65
	v_add_co_u32 v40, vcc_lo, v42, v40
	s_delay_alu instid0(VALU_DEP_3) | instskip(NEXT) | instid1(VALU_DEP_4)
	v_add_f32_e32 v47, v97, v47
	v_dual_min_f32 v64, v64, v99 :: v_dual_min_f32 v97, v102, v100
	s_delay_alu instid0(VALU_DEP_4) | instskip(SKIP_1) | instid1(VALU_DEP_2)
	v_add_f32_e32 v65, v96, v65
	v_add_co_ci_u32_e32 v41, vcc_lo, v43, v41, vcc_lo
	v_dual_add_f32 v47, v47, v97 :: v_dual_add_f32 v64, v65, v64
	s_delay_alu instid0(VALU_DEP_1) | instskip(NEXT) | instid1(VALU_DEP_1)
	v_add_f32_e32 v47, v64, v47
	v_add_f32_e32 v46, v47, v46
	global_store_b32 v[40:41], v46, off
	s_or_b32 exec_lo, exec_lo, s16
	s_and_b32 s18, s1, s8
	s_delay_alu instid0(SALU_CYCLE_1)
	s_and_saveexec_b32 s16, s18
	s_cbranch_execz .LBB32_118
.LBB32_128:
	v_cmp_ne_u32_e32 vcc_lo, 1, v101
	v_lshlrev_b64 v[40:41], 2, v[50:51]
	s_cbranch_vccnz .LBB32_130
; %bb.129:
	s_delay_alu instid0(VALU_DEP_1) | instskip(NEXT) | instid1(VALU_DEP_2)
	v_add_co_u32 v46, vcc_lo, v44, v40
	v_add_co_ci_u32_e32 v47, vcc_lo, v45, v41, vcc_lo
	flat_load_b32 v46, v[46:47]
	s_waitcnt vmcnt(0) lgkmcnt(0)
	v_mul_f32_e32 v46, s15, v46
	s_branch .LBB32_131
.LBB32_130:
	v_mov_b32_e32 v46, 0
.LBB32_131:
	v_dual_max_f32 v47, v37, v37 :: v_dual_max_f32 v96, v28, v28
	v_dual_max_f32 v64, v29, v29 :: v_dual_max_f32 v65, v36, v36
	;; [unrolled: 1-line block ×3, first 2 shown]
	v_add_co_u32 v40, vcc_lo, v42, v40
	s_delay_alu instid0(VALU_DEP_3) | instskip(SKIP_2) | instid1(VALU_DEP_3)
	v_dual_min_f32 v47, v64, v47 :: v_dual_max_f32 v64, v30, v30
	v_max_f32_e32 v99, v31, v31
	v_add_co_ci_u32_e32 v41, vcc_lo, v43, v41, vcc_lo
	v_min_f32_e32 v64, v64, v97
	v_min_f32_e32 v65, v96, v65
	s_delay_alu instid0(VALU_DEP_4) | instskip(NEXT) | instid1(VALU_DEP_2)
	v_dual_add_f32 v47, v94, v47 :: v_dual_min_f32 v94, v99, v98
	v_add_f32_e32 v65, v95, v65
	s_delay_alu instid0(VALU_DEP_1) | instskip(NEXT) | instid1(VALU_DEP_1)
	v_dual_add_f32 v64, v65, v64 :: v_dual_add_f32 v47, v47, v94
	v_add_f32_e32 v47, v64, v47
	s_delay_alu instid0(VALU_DEP_1) | instskip(SKIP_3) | instid1(SALU_CYCLE_1)
	v_add_f32_e32 v46, v47, v46
	global_store_b32 v[40:41], v46, off
	s_or_b32 exec_lo, exec_lo, s16
	s_and_b32 s18, s2, s8
	s_and_saveexec_b32 s16, s18
	s_cbranch_execz .LBB32_119
.LBB32_132:
	v_cmp_ne_u32_e32 vcc_lo, 1, v101
	v_lshlrev_b64 v[40:41], 2, v[52:53]
	s_cbranch_vccnz .LBB32_134
; %bb.133:
	s_delay_alu instid0(VALU_DEP_1) | instskip(NEXT) | instid1(VALU_DEP_2)
	v_add_co_u32 v46, vcc_lo, v44, v40
	v_add_co_ci_u32_e32 v47, vcc_lo, v45, v41, vcc_lo
	flat_load_b32 v46, v[46:47]
	s_waitcnt vmcnt(0) lgkmcnt(0)
	v_mul_f32_e32 v46, s15, v46
	s_branch .LBB32_135
.LBB32_134:
	v_mov_b32_e32 v46, 0
.LBB32_135:
	v_dual_max_f32 v47, v37, v37 :: v_dual_max_f32 v94, v24, v24
	v_dual_max_f32 v64, v25, v25 :: v_dual_max_f32 v65, v36, v36
	;; [unrolled: 1-line block ×3, first 2 shown]
	v_add_co_u32 v40, vcc_lo, v42, v40
	s_delay_alu instid0(VALU_DEP_3) | instskip(NEXT) | instid1(VALU_DEP_4)
	v_dual_min_f32 v47, v64, v47 :: v_dual_max_f32 v64, v26, v26
	v_min_f32_e32 v65, v94, v65
	v_add_co_ci_u32_e32 v41, vcc_lo, v43, v41, vcc_lo
	s_delay_alu instid0(VALU_DEP_2) | instskip(NEXT) | instid1(VALU_DEP_1)
	v_dual_min_f32 v64, v64, v95 :: v_dual_add_f32 v65, v93, v65
	v_dual_max_f32 v97, v27, v27 :: v_dual_add_f32 v64, v65, v64
	s_delay_alu instid0(VALU_DEP_1) | instskip(NEXT) | instid1(VALU_DEP_1)
	v_dual_add_f32 v47, v92, v47 :: v_dual_min_f32 v92, v97, v96
	v_add_f32_e32 v47, v47, v92
	s_delay_alu instid0(VALU_DEP_1) | instskip(NEXT) | instid1(VALU_DEP_1)
	v_add_f32_e32 v47, v64, v47
	v_add_f32_e32 v46, v47, v46
	global_store_b32 v[40:41], v46, off
	s_or_b32 exec_lo, exec_lo, s16
	s_and_b32 s18, s3, s8
	s_delay_alu instid0(SALU_CYCLE_1)
	s_and_saveexec_b32 s16, s18
	s_cbranch_execz .LBB32_120
.LBB32_136:
	v_cmp_ne_u32_e32 vcc_lo, 1, v101
	v_lshlrev_b64 v[40:41], 2, v[54:55]
	s_cbranch_vccnz .LBB32_138
; %bb.137:
	s_delay_alu instid0(VALU_DEP_1) | instskip(NEXT) | instid1(VALU_DEP_2)
	v_add_co_u32 v46, vcc_lo, v44, v40
	v_add_co_ci_u32_e32 v47, vcc_lo, v45, v41, vcc_lo
	flat_load_b32 v46, v[46:47]
	s_waitcnt vmcnt(0) lgkmcnt(0)
	v_mul_f32_e32 v46, s15, v46
	s_branch .LBB32_139
.LBB32_138:
	v_mov_b32_e32 v46, 0
.LBB32_139:
	v_dual_max_f32 v47, v37, v37 :: v_dual_max_f32 v92, v20, v20
	v_dual_max_f32 v64, v21, v21 :: v_dual_max_f32 v65, v36, v36
	;; [unrolled: 1-line block ×3, first 2 shown]
	v_add_co_u32 v40, vcc_lo, v42, v40
	s_delay_alu instid0(VALU_DEP_3) | instskip(SKIP_2) | instid1(VALU_DEP_3)
	v_dual_min_f32 v47, v64, v47 :: v_dual_max_f32 v64, v22, v22
	v_max_f32_e32 v95, v23, v23
	v_add_co_ci_u32_e32 v41, vcc_lo, v43, v41, vcc_lo
	v_min_f32_e32 v64, v64, v93
	v_min_f32_e32 v65, v92, v65
	s_delay_alu instid0(VALU_DEP_4) | instskip(NEXT) | instid1(VALU_DEP_2)
	v_dual_add_f32 v47, v90, v47 :: v_dual_min_f32 v90, v95, v94
	v_add_f32_e32 v65, v91, v65
	s_delay_alu instid0(VALU_DEP_1) | instskip(NEXT) | instid1(VALU_DEP_1)
	v_dual_add_f32 v64, v65, v64 :: v_dual_add_f32 v47, v47, v90
	v_add_f32_e32 v47, v64, v47
	s_delay_alu instid0(VALU_DEP_1) | instskip(SKIP_3) | instid1(SALU_CYCLE_1)
	v_add_f32_e32 v46, v47, v46
	global_store_b32 v[40:41], v46, off
	s_or_b32 exec_lo, exec_lo, s16
	s_and_b32 s18, s4, s8
	s_and_saveexec_b32 s16, s18
	s_cbranch_execz .LBB32_121
.LBB32_140:
	v_cmp_ne_u32_e32 vcc_lo, 1, v101
	v_lshlrev_b64 v[40:41], 2, v[56:57]
	s_cbranch_vccnz .LBB32_142
; %bb.141:
	s_delay_alu instid0(VALU_DEP_1) | instskip(NEXT) | instid1(VALU_DEP_2)
	v_add_co_u32 v46, vcc_lo, v44, v40
	v_add_co_ci_u32_e32 v47, vcc_lo, v45, v41, vcc_lo
	flat_load_b32 v46, v[46:47]
	s_waitcnt vmcnt(0) lgkmcnt(0)
	v_mul_f32_e32 v46, s15, v46
	s_branch .LBB32_143
.LBB32_142:
	v_mov_b32_e32 v46, 0
.LBB32_143:
	v_dual_max_f32 v47, v37, v37 :: v_dual_max_f32 v90, v16, v16
	v_dual_max_f32 v64, v17, v17 :: v_dual_max_f32 v65, v36, v36
	;; [unrolled: 1-line block ×3, first 2 shown]
	v_add_co_u32 v40, vcc_lo, v42, v40
	s_delay_alu instid0(VALU_DEP_3) | instskip(NEXT) | instid1(VALU_DEP_4)
	v_dual_min_f32 v47, v64, v47 :: v_dual_max_f32 v64, v18, v18
	v_min_f32_e32 v65, v90, v65
	v_add_co_ci_u32_e32 v41, vcc_lo, v43, v41, vcc_lo
	s_delay_alu instid0(VALU_DEP_3) | instskip(NEXT) | instid1(VALU_DEP_4)
	v_add_f32_e32 v47, v89, v47
	v_min_f32_e32 v64, v64, v91
	s_delay_alu instid0(VALU_DEP_4) | instskip(NEXT) | instid1(VALU_DEP_1)
	v_add_f32_e32 v65, v88, v65
	v_dual_max_f32 v93, v19, v19 :: v_dual_add_f32 v64, v65, v64
	s_delay_alu instid0(VALU_DEP_1) | instskip(NEXT) | instid1(VALU_DEP_1)
	v_min_f32_e32 v89, v93, v92
	v_add_f32_e32 v47, v47, v89
	s_delay_alu instid0(VALU_DEP_1) | instskip(NEXT) | instid1(VALU_DEP_1)
	v_add_f32_e32 v47, v64, v47
	v_add_f32_e32 v46, v47, v46
	global_store_b32 v[40:41], v46, off
	s_or_b32 exec_lo, exec_lo, s16
	s_and_b32 s18, s5, s8
	s_delay_alu instid0(SALU_CYCLE_1)
	s_and_saveexec_b32 s16, s18
	s_cbranch_execz .LBB32_122
.LBB32_144:
	v_cmp_ne_u32_e32 vcc_lo, 1, v101
	v_lshlrev_b64 v[40:41], 2, v[58:59]
	s_cbranch_vccnz .LBB32_146
; %bb.145:
	s_delay_alu instid0(VALU_DEP_1) | instskip(NEXT) | instid1(VALU_DEP_2)
	v_add_co_u32 v46, vcc_lo, v44, v40
	v_add_co_ci_u32_e32 v47, vcc_lo, v45, v41, vcc_lo
	flat_load_b32 v46, v[46:47]
	s_waitcnt vmcnt(0) lgkmcnt(0)
	v_mul_f32_e32 v46, s15, v46
	s_branch .LBB32_147
.LBB32_146:
	v_mov_b32_e32 v46, 0
.LBB32_147:
	v_dual_max_f32 v47, v37, v37 :: v_dual_max_f32 v88, v12, v12
	v_dual_max_f32 v64, v13, v13 :: v_dual_max_f32 v65, v36, v36
	;; [unrolled: 1-line block ×3, first 2 shown]
	v_add_co_u32 v40, vcc_lo, v42, v40
	s_delay_alu instid0(VALU_DEP_3) | instskip(SKIP_3) | instid1(VALU_DEP_4)
	v_dual_min_f32 v47, v64, v47 :: v_dual_max_f32 v64, v14, v14
	v_max_f32_e32 v91, v15, v15
	v_min_f32_e32 v65, v88, v65
	v_add_co_ci_u32_e32 v41, vcc_lo, v43, v41, vcc_lo
	v_min_f32_e32 v64, v64, v89
	s_delay_alu instid0(VALU_DEP_3) | instskip(SKIP_1) | instid1(VALU_DEP_2)
	v_add_f32_e32 v65, v86, v65
	v_add_f32_e32 v47, v87, v47
	v_dual_min_f32 v87, v91, v90 :: v_dual_add_f32 v64, v65, v64
	s_delay_alu instid0(VALU_DEP_1) | instskip(NEXT) | instid1(VALU_DEP_1)
	v_add_f32_e32 v47, v47, v87
	v_add_f32_e32 v47, v64, v47
	s_delay_alu instid0(VALU_DEP_1) | instskip(SKIP_3) | instid1(SALU_CYCLE_1)
	v_add_f32_e32 v46, v47, v46
	global_store_b32 v[40:41], v46, off
	s_or_b32 exec_lo, exec_lo, s16
	s_and_b32 s18, s6, s8
	s_and_saveexec_b32 s16, s18
	s_cbranch_execz .LBB32_123
.LBB32_148:
	v_cmp_ne_u32_e32 vcc_lo, 1, v101
	v_lshlrev_b64 v[40:41], 2, v[60:61]
	s_cbranch_vccnz .LBB32_150
; %bb.149:
	s_delay_alu instid0(VALU_DEP_1) | instskip(NEXT) | instid1(VALU_DEP_2)
	v_add_co_u32 v46, vcc_lo, v44, v40
	v_add_co_ci_u32_e32 v47, vcc_lo, v45, v41, vcc_lo
	flat_load_b32 v46, v[46:47]
	s_waitcnt vmcnt(0) lgkmcnt(0)
	v_mul_f32_e32 v46, s15, v46
	s_branch .LBB32_151
.LBB32_150:
	v_mov_b32_e32 v46, 0
.LBB32_151:
	v_dual_max_f32 v47, v37, v37 :: v_dual_max_f32 v86, v8, v8
	v_dual_max_f32 v64, v9, v9 :: v_dual_max_f32 v65, v36, v36
	;; [unrolled: 1-line block ×3, first 2 shown]
	v_add_co_u32 v40, vcc_lo, v42, v40
	s_delay_alu instid0(VALU_DEP_3) | instskip(NEXT) | instid1(VALU_DEP_4)
	v_dual_min_f32 v47, v64, v47 :: v_dual_max_f32 v64, v10, v10
	v_min_f32_e32 v65, v86, v65
	v_add_co_ci_u32_e32 v41, vcc_lo, v43, v41, vcc_lo
	s_delay_alu instid0(VALU_DEP_2) | instskip(NEXT) | instid1(VALU_DEP_1)
	v_dual_min_f32 v64, v64, v87 :: v_dual_add_f32 v65, v85, v65
	v_dual_max_f32 v89, v11, v11 :: v_dual_add_f32 v64, v65, v64
	s_delay_alu instid0(VALU_DEP_1) | instskip(NEXT) | instid1(VALU_DEP_1)
	v_dual_add_f32 v47, v84, v47 :: v_dual_min_f32 v84, v89, v88
	v_add_f32_e32 v47, v47, v84
	s_delay_alu instid0(VALU_DEP_1) | instskip(NEXT) | instid1(VALU_DEP_1)
	v_add_f32_e32 v47, v64, v47
	v_add_f32_e32 v46, v47, v46
	global_store_b32 v[40:41], v46, off
	s_or_b32 exec_lo, exec_lo, s16
	s_and_b32 s16, s7, s8
	s_delay_alu instid0(SALU_CYCLE_1)
	s_and_saveexec_b32 s8, s16
	s_cbranch_execz .LBB32_156
.LBB32_152:
	v_cmp_ne_u32_e32 vcc_lo, 1, v101
	v_lshlrev_b64 v[40:41], 2, v[62:63]
	s_cbranch_vccnz .LBB32_154
; %bb.153:
	s_delay_alu instid0(VALU_DEP_1) | instskip(NEXT) | instid1(VALU_DEP_2)
	v_add_co_u32 v44, vcc_lo, v44, v40
	v_add_co_ci_u32_e32 v45, vcc_lo, v45, v41, vcc_lo
	flat_load_b32 v44, v[44:45]
	s_waitcnt vmcnt(0) lgkmcnt(0)
	v_mul_f32_e32 v44, s15, v44
	s_branch .LBB32_155
.LBB32_154:
	v_mov_b32_e32 v44, 0
.LBB32_155:
	v_dual_max_f32 v37, v37, v37 :: v_dual_max_f32 v36, v36, v36
	v_dual_max_f32 v45, v1, v1 :: v_dual_max_f32 v46, v0, v0
	;; [unrolled: 1-line block ×3, first 2 shown]
	s_delay_alu instid0(VALU_DEP_2) | instskip(SKIP_1) | instid1(VALU_DEP_2)
	v_dual_min_f32 v37, v45, v37 :: v_dual_min_f32 v36, v46, v36
	v_max_f32_e32 v47, v3, v3
	v_dual_add_f32 v37, v83, v37 :: v_dual_add_f32 v36, v82, v36
	s_delay_alu instid0(VALU_DEP_2) | instskip(NEXT) | instid1(VALU_DEP_1)
	v_min_f32_e32 v39, v47, v39
	v_add_f32_e32 v37, v37, v39
	v_max_f32_e32 v45, v2, v2
	s_delay_alu instid0(VALU_DEP_1) | instskip(NEXT) | instid1(VALU_DEP_1)
	v_min_f32_e32 v38, v45, v38
	v_add_f32_e32 v36, v36, v38
	s_delay_alu instid0(VALU_DEP_1) | instskip(NEXT) | instid1(VALU_DEP_1)
	v_add_f32_e32 v36, v36, v37
	v_add_f32_e32 v38, v36, v44
	v_add_co_u32 v36, vcc_lo, v42, v40
	v_add_co_ci_u32_e32 v37, vcc_lo, v43, v41, vcc_lo
	global_store_b32 v[36:37], v38, off
.LBB32_156:
	s_or_b32 exec_lo, exec_lo, s8
	v_add_nc_u32_e32 v40, 0x60, v117
	s_delay_alu instid0(VALU_DEP_1) | instskip(SKIP_2) | instid1(VALU_DEP_3)
	v_mad_i64_i32 v[36:37], null, v40, s12, 0
	v_mad_i64_i32 v[38:39], null, v40, s9, 0
	v_cmp_gt_i32_e64 s8, s17, v40
	v_lshlrev_b64 v[36:37], 2, v[36:37]
	s_delay_alu instid0(VALU_DEP_2) | instskip(NEXT) | instid1(VALU_DEP_3)
	s_and_b32 s9, s0, s8
	v_lshlrev_b64 v[38:39], 2, v[38:39]
	s_delay_alu instid0(VALU_DEP_2) | instskip(NEXT) | instid1(VALU_DEP_3)
	v_add_co_u32 v40, vcc_lo, s10, v36
	v_add_co_ci_u32_e32 v41, vcc_lo, s11, v37, vcc_lo
	s_delay_alu instid0(VALU_DEP_3) | instskip(NEXT) | instid1(VALU_DEP_4)
	v_add_co_u32 v38, vcc_lo, s13, v38
	v_add_co_ci_u32_e32 v39, vcc_lo, s14, v39, vcc_lo
	s_and_saveexec_b32 s0, s9
	s_cbranch_execnz .LBB32_165
; %bb.157:
	s_or_b32 exec_lo, exec_lo, s0
	s_and_b32 s1, s1, s8
	s_delay_alu instid0(SALU_CYCLE_1)
	s_and_saveexec_b32 s0, s1
	s_cbranch_execnz .LBB32_169
.LBB32_158:
	s_or_b32 exec_lo, exec_lo, s0
	s_and_b32 s1, s2, s8
	s_delay_alu instid0(SALU_CYCLE_1)
	s_and_saveexec_b32 s0, s1
	s_cbranch_execnz .LBB32_173
.LBB32_159:
	s_or_b32 exec_lo, exec_lo, s0
	s_and_b32 s1, s3, s8
	s_delay_alu instid0(SALU_CYCLE_1)
	s_and_saveexec_b32 s0, s1
	s_cbranch_execnz .LBB32_177
.LBB32_160:
	s_or_b32 exec_lo, exec_lo, s0
	s_and_b32 s1, s4, s8
	s_delay_alu instid0(SALU_CYCLE_1)
	s_and_saveexec_b32 s0, s1
	s_cbranch_execnz .LBB32_181
.LBB32_161:
	s_or_b32 exec_lo, exec_lo, s0
	s_and_b32 s1, s5, s8
	s_delay_alu instid0(SALU_CYCLE_1)
	s_and_saveexec_b32 s0, s1
	s_cbranch_execnz .LBB32_185
.LBB32_162:
	s_or_b32 exec_lo, exec_lo, s0
	s_and_b32 s1, s6, s8
	s_delay_alu instid0(SALU_CYCLE_1)
	s_and_saveexec_b32 s0, s1
	s_cbranch_execnz .LBB32_189
.LBB32_163:
	s_or_b32 exec_lo, exec_lo, s0
	s_and_b32 s0, s7, s8
	s_delay_alu instid0(SALU_CYCLE_1)
	s_and_saveexec_b32 s1, s0
	s_cbranch_execnz .LBB32_193
.LBB32_164:
	s_nop 0
	s_sendmsg sendmsg(MSG_DEALLOC_VGPRS)
	s_endpgm
.LBB32_165:
	v_cmp_ne_u32_e32 vcc_lo, 1, v101
	v_lshlrev_b64 v[36:37], 2, v[48:49]
	s_cbranch_vccnz .LBB32_167
; %bb.166:
	s_delay_alu instid0(VALU_DEP_1) | instskip(NEXT) | instid1(VALU_DEP_2)
	v_add_co_u32 v42, vcc_lo, v40, v36
	v_add_co_ci_u32_e32 v43, vcc_lo, v41, v37, vcc_lo
	flat_load_b32 v42, v[42:43]
	s_waitcnt vmcnt(0) lgkmcnt(0)
	v_mul_f32_e32 v42, s15, v42
	s_branch .LBB32_168
.LBB32_167:
	v_mov_b32_e32 v42, 0
.LBB32_168:
	v_dual_max_f32 v43, v5, v5 :: v_dual_max_f32 v44, v4, v4
	v_dual_max_f32 v33, v33, v33 :: v_dual_max_f32 v32, v32, v32
	v_max_f32_e32 v45, v6, v6
	s_delay_alu instid0(VALU_DEP_2) | instskip(NEXT) | instid1(VALU_DEP_3)
	v_dual_max_f32 v34, v34, v34 :: v_dual_min_f32 v33, v33, v43
	v_dual_min_f32 v32, v32, v44 :: v_dual_max_f32 v43, v7, v7
	s_delay_alu instid0(VALU_DEP_2) | instskip(NEXT) | instid1(VALU_DEP_2)
	v_dual_min_f32 v34, v34, v45 :: v_dual_max_f32 v35, v35, v35
	v_dual_add_f32 v33, v80, v33 :: v_dual_add_f32 v32, v81, v32
	s_delay_alu instid0(VALU_DEP_1) | instskip(NEXT) | instid1(VALU_DEP_1)
	v_dual_min_f32 v35, v35, v43 :: v_dual_add_f32 v32, v32, v34
	v_add_f32_e32 v33, v33, v35
	s_delay_alu instid0(VALU_DEP_1) | instskip(NEXT) | instid1(VALU_DEP_1)
	v_add_f32_e32 v32, v32, v33
	v_add_f32_e32 v34, v32, v42
	v_add_co_u32 v32, vcc_lo, v38, v36
	v_add_co_ci_u32_e32 v33, vcc_lo, v39, v37, vcc_lo
	global_store_b32 v[32:33], v34, off
	s_or_b32 exec_lo, exec_lo, s0
	s_and_b32 s1, s1, s8
	s_delay_alu instid0(SALU_CYCLE_1)
	s_and_saveexec_b32 s0, s1
	s_cbranch_execz .LBB32_158
.LBB32_169:
	v_cmp_ne_u32_e32 vcc_lo, 1, v101
	v_lshlrev_b64 v[32:33], 2, v[50:51]
	s_cbranch_vccnz .LBB32_171
; %bb.170:
	s_delay_alu instid0(VALU_DEP_1) | instskip(NEXT) | instid1(VALU_DEP_2)
	v_add_co_u32 v34, vcc_lo, v40, v32
	v_add_co_ci_u32_e32 v35, vcc_lo, v41, v33, vcc_lo
	flat_load_b32 v34, v[34:35]
	s_waitcnt vmcnt(0) lgkmcnt(0)
	v_mul_f32_e32 v34, s15, v34
	s_branch .LBB32_172
.LBB32_171:
	v_mov_b32_e32 v34, 0
.LBB32_172:
	v_dual_max_f32 v35, v5, v5 :: v_dual_max_f32 v36, v4, v4
	v_dual_max_f32 v29, v29, v29 :: v_dual_max_f32 v28, v28, v28
	v_max_f32_e32 v37, v6, v6
	s_delay_alu instid0(VALU_DEP_2) | instskip(NEXT) | instid1(VALU_DEP_3)
	v_dual_max_f32 v30, v30, v30 :: v_dual_min_f32 v29, v29, v35
	v_dual_min_f32 v28, v28, v36 :: v_dual_max_f32 v35, v7, v7
	s_delay_alu instid0(VALU_DEP_2) | instskip(NEXT) | instid1(VALU_DEP_2)
	v_dual_min_f32 v30, v30, v37 :: v_dual_max_f32 v31, v31, v31
	v_dual_add_f32 v28, v78, v28 :: v_dual_add_f32 v29, v79, v29
	s_delay_alu instid0(VALU_DEP_1) | instskip(NEXT) | instid1(VALU_DEP_1)
	v_dual_add_f32 v28, v28, v30 :: v_dual_min_f32 v31, v31, v35
	v_add_f32_e32 v29, v29, v31
	s_delay_alu instid0(VALU_DEP_1) | instskip(NEXT) | instid1(VALU_DEP_1)
	v_add_f32_e32 v28, v28, v29
	v_add_f32_e32 v30, v28, v34
	v_add_co_u32 v28, vcc_lo, v38, v32
	v_add_co_ci_u32_e32 v29, vcc_lo, v39, v33, vcc_lo
	global_store_b32 v[28:29], v30, off
	s_or_b32 exec_lo, exec_lo, s0
	s_and_b32 s1, s2, s8
	s_delay_alu instid0(SALU_CYCLE_1)
	s_and_saveexec_b32 s0, s1
	s_cbranch_execz .LBB32_159
.LBB32_173:
	v_cmp_ne_u32_e32 vcc_lo, 1, v101
	v_lshlrev_b64 v[28:29], 2, v[52:53]
	s_cbranch_vccnz .LBB32_175
; %bb.174:
	s_delay_alu instid0(VALU_DEP_1) | instskip(NEXT) | instid1(VALU_DEP_2)
	v_add_co_u32 v30, vcc_lo, v40, v28
	v_add_co_ci_u32_e32 v31, vcc_lo, v41, v29, vcc_lo
	flat_load_b32 v30, v[30:31]
	s_waitcnt vmcnt(0) lgkmcnt(0)
	v_mul_f32_e32 v30, s15, v30
	s_branch .LBB32_176
.LBB32_175:
	v_mov_b32_e32 v30, 0
.LBB32_176:
	v_dual_max_f32 v31, v5, v5 :: v_dual_max_f32 v32, v4, v4
	v_dual_max_f32 v25, v25, v25 :: v_dual_max_f32 v24, v24, v24
	v_max_f32_e32 v33, v6, v6
	s_delay_alu instid0(VALU_DEP_2) | instskip(NEXT) | instid1(VALU_DEP_3)
	v_dual_max_f32 v26, v26, v26 :: v_dual_min_f32 v25, v25, v31
	v_dual_min_f32 v24, v24, v32 :: v_dual_max_f32 v31, v7, v7
	s_delay_alu instid0(VALU_DEP_2) | instskip(NEXT) | instid1(VALU_DEP_2)
	v_dual_min_f32 v26, v26, v33 :: v_dual_max_f32 v27, v27, v27
	v_dual_add_f32 v25, v76, v25 :: v_dual_add_f32 v24, v77, v24
	s_delay_alu instid0(VALU_DEP_1) | instskip(NEXT) | instid1(VALU_DEP_1)
	v_dual_min_f32 v27, v27, v31 :: v_dual_add_f32 v24, v24, v26
	v_add_f32_e32 v25, v25, v27
	s_delay_alu instid0(VALU_DEP_1) | instskip(NEXT) | instid1(VALU_DEP_1)
	v_add_f32_e32 v24, v24, v25
	v_add_f32_e32 v26, v24, v30
	v_add_co_u32 v24, vcc_lo, v38, v28
	v_add_co_ci_u32_e32 v25, vcc_lo, v39, v29, vcc_lo
	global_store_b32 v[24:25], v26, off
	s_or_b32 exec_lo, exec_lo, s0
	s_and_b32 s1, s3, s8
	s_delay_alu instid0(SALU_CYCLE_1)
	s_and_saveexec_b32 s0, s1
	s_cbranch_execz .LBB32_160
.LBB32_177:
	v_cmp_ne_u32_e32 vcc_lo, 1, v101
	v_lshlrev_b64 v[24:25], 2, v[54:55]
	s_cbranch_vccnz .LBB32_179
; %bb.178:
	s_delay_alu instid0(VALU_DEP_1) | instskip(NEXT) | instid1(VALU_DEP_2)
	v_add_co_u32 v26, vcc_lo, v40, v24
	v_add_co_ci_u32_e32 v27, vcc_lo, v41, v25, vcc_lo
	flat_load_b32 v26, v[26:27]
	s_waitcnt vmcnt(0) lgkmcnt(0)
	v_mul_f32_e32 v26, s15, v26
	s_branch .LBB32_180
.LBB32_179:
	v_mov_b32_e32 v26, 0
.LBB32_180:
	v_dual_max_f32 v27, v5, v5 :: v_dual_max_f32 v28, v4, v4
	v_dual_max_f32 v21, v21, v21 :: v_dual_max_f32 v20, v20, v20
	v_max_f32_e32 v29, v6, v6
	s_delay_alu instid0(VALU_DEP_2) | instskip(NEXT) | instid1(VALU_DEP_3)
	v_dual_max_f32 v22, v22, v22 :: v_dual_min_f32 v21, v21, v27
	v_dual_min_f32 v20, v20, v28 :: v_dual_max_f32 v27, v7, v7
	s_delay_alu instid0(VALU_DEP_2) | instskip(NEXT) | instid1(VALU_DEP_2)
	v_min_f32_e32 v22, v22, v29
	v_dual_add_f32 v21, v74, v21 :: v_dual_add_f32 v20, v75, v20
	s_delay_alu instid0(VALU_DEP_1) | instskip(NEXT) | instid1(VALU_DEP_1)
	v_dual_max_f32 v23, v23, v23 :: v_dual_add_f32 v20, v20, v22
	v_min_f32_e32 v23, v23, v27
	s_delay_alu instid0(VALU_DEP_1) | instskip(NEXT) | instid1(VALU_DEP_1)
	v_add_f32_e32 v21, v21, v23
	v_add_f32_e32 v20, v20, v21
	s_delay_alu instid0(VALU_DEP_1)
	v_add_f32_e32 v22, v20, v26
	v_add_co_u32 v20, vcc_lo, v38, v24
	v_add_co_ci_u32_e32 v21, vcc_lo, v39, v25, vcc_lo
	global_store_b32 v[20:21], v22, off
	s_or_b32 exec_lo, exec_lo, s0
	s_and_b32 s1, s4, s8
	s_delay_alu instid0(SALU_CYCLE_1)
	s_and_saveexec_b32 s0, s1
	s_cbranch_execz .LBB32_161
.LBB32_181:
	v_cmp_ne_u32_e32 vcc_lo, 1, v101
	v_lshlrev_b64 v[20:21], 2, v[56:57]
	s_cbranch_vccnz .LBB32_183
; %bb.182:
	s_delay_alu instid0(VALU_DEP_1) | instskip(NEXT) | instid1(VALU_DEP_2)
	v_add_co_u32 v22, vcc_lo, v40, v20
	v_add_co_ci_u32_e32 v23, vcc_lo, v41, v21, vcc_lo
	flat_load_b32 v22, v[22:23]
	s_waitcnt vmcnt(0) lgkmcnt(0)
	v_mul_f32_e32 v22, s15, v22
	s_branch .LBB32_184
.LBB32_183:
	v_mov_b32_e32 v22, 0
.LBB32_184:
	v_dual_max_f32 v23, v5, v5 :: v_dual_max_f32 v24, v4, v4
	v_dual_max_f32 v17, v17, v17 :: v_dual_max_f32 v16, v16, v16
	v_max_f32_e32 v25, v6, v6
	s_delay_alu instid0(VALU_DEP_2) | instskip(NEXT) | instid1(VALU_DEP_3)
	v_dual_max_f32 v18, v18, v18 :: v_dual_min_f32 v17, v17, v23
	v_dual_min_f32 v16, v16, v24 :: v_dual_max_f32 v23, v7, v7
	s_delay_alu instid0(VALU_DEP_2) | instskip(NEXT) | instid1(VALU_DEP_2)
	v_dual_min_f32 v18, v18, v25 :: v_dual_max_f32 v19, v19, v19
	v_dual_add_f32 v16, v72, v16 :: v_dual_add_f32 v17, v73, v17
	s_delay_alu instid0(VALU_DEP_1) | instskip(NEXT) | instid1(VALU_DEP_1)
	v_dual_add_f32 v16, v16, v18 :: v_dual_min_f32 v19, v19, v23
	v_add_f32_e32 v17, v17, v19
	s_delay_alu instid0(VALU_DEP_1) | instskip(NEXT) | instid1(VALU_DEP_1)
	v_add_f32_e32 v16, v16, v17
	v_add_f32_e32 v18, v16, v22
	v_add_co_u32 v16, vcc_lo, v38, v20
	v_add_co_ci_u32_e32 v17, vcc_lo, v39, v21, vcc_lo
	global_store_b32 v[16:17], v18, off
	s_or_b32 exec_lo, exec_lo, s0
	s_and_b32 s1, s5, s8
	s_delay_alu instid0(SALU_CYCLE_1)
	s_and_saveexec_b32 s0, s1
	s_cbranch_execz .LBB32_162
.LBB32_185:
	v_cmp_ne_u32_e32 vcc_lo, 1, v101
	v_lshlrev_b64 v[16:17], 2, v[58:59]
	s_cbranch_vccnz .LBB32_187
; %bb.186:
	s_delay_alu instid0(VALU_DEP_1) | instskip(NEXT) | instid1(VALU_DEP_2)
	v_add_co_u32 v18, vcc_lo, v40, v16
	v_add_co_ci_u32_e32 v19, vcc_lo, v41, v17, vcc_lo
	flat_load_b32 v18, v[18:19]
	s_waitcnt vmcnt(0) lgkmcnt(0)
	v_mul_f32_e32 v18, s15, v18
	s_branch .LBB32_188
.LBB32_187:
	v_mov_b32_e32 v18, 0
.LBB32_188:
	v_dual_max_f32 v19, v5, v5 :: v_dual_max_f32 v20, v4, v4
	v_dual_max_f32 v13, v13, v13 :: v_dual_max_f32 v12, v12, v12
	v_max_f32_e32 v21, v6, v6
	s_delay_alu instid0(VALU_DEP_2) | instskip(NEXT) | instid1(VALU_DEP_3)
	v_dual_max_f32 v14, v14, v14 :: v_dual_min_f32 v13, v13, v19
	v_dual_min_f32 v12, v12, v20 :: v_dual_max_f32 v19, v7, v7
	s_delay_alu instid0(VALU_DEP_2) | instskip(NEXT) | instid1(VALU_DEP_2)
	v_min_f32_e32 v14, v14, v21
	v_dual_add_f32 v13, v70, v13 :: v_dual_add_f32 v12, v71, v12
	s_delay_alu instid0(VALU_DEP_1) | instskip(NEXT) | instid1(VALU_DEP_1)
	v_dual_max_f32 v15, v15, v15 :: v_dual_add_f32 v12, v12, v14
	v_min_f32_e32 v15, v15, v19
	s_delay_alu instid0(VALU_DEP_1) | instskip(NEXT) | instid1(VALU_DEP_1)
	v_add_f32_e32 v13, v13, v15
	v_add_f32_e32 v12, v12, v13
	s_delay_alu instid0(VALU_DEP_1)
	v_add_f32_e32 v14, v12, v18
	v_add_co_u32 v12, vcc_lo, v38, v16
	v_add_co_ci_u32_e32 v13, vcc_lo, v39, v17, vcc_lo
	global_store_b32 v[12:13], v14, off
	s_or_b32 exec_lo, exec_lo, s0
	s_and_b32 s1, s6, s8
	s_delay_alu instid0(SALU_CYCLE_1)
	s_and_saveexec_b32 s0, s1
	s_cbranch_execz .LBB32_163
.LBB32_189:
	v_cmp_ne_u32_e32 vcc_lo, 1, v101
	v_lshlrev_b64 v[12:13], 2, v[60:61]
	s_cbranch_vccnz .LBB32_191
; %bb.190:
	s_delay_alu instid0(VALU_DEP_1) | instskip(NEXT) | instid1(VALU_DEP_2)
	v_add_co_u32 v14, vcc_lo, v40, v12
	v_add_co_ci_u32_e32 v15, vcc_lo, v41, v13, vcc_lo
	flat_load_b32 v14, v[14:15]
	s_waitcnt vmcnt(0) lgkmcnt(0)
	v_mul_f32_e32 v14, s15, v14
	s_branch .LBB32_192
.LBB32_191:
	v_mov_b32_e32 v14, 0
.LBB32_192:
	v_dual_max_f32 v15, v5, v5 :: v_dual_max_f32 v16, v4, v4
	v_dual_max_f32 v9, v9, v9 :: v_dual_max_f32 v8, v8, v8
	v_max_f32_e32 v17, v6, v6
	s_delay_alu instid0(VALU_DEP_2) | instskip(NEXT) | instid1(VALU_DEP_3)
	v_dual_max_f32 v10, v10, v10 :: v_dual_min_f32 v9, v9, v15
	v_dual_min_f32 v8, v8, v16 :: v_dual_max_f32 v15, v7, v7
	s_delay_alu instid0(VALU_DEP_2) | instskip(NEXT) | instid1(VALU_DEP_2)
	v_dual_min_f32 v10, v10, v17 :: v_dual_max_f32 v11, v11, v11
	v_dual_add_f32 v8, v68, v8 :: v_dual_add_f32 v9, v69, v9
	s_delay_alu instid0(VALU_DEP_1) | instskip(NEXT) | instid1(VALU_DEP_1)
	v_dual_add_f32 v8, v8, v10 :: v_dual_min_f32 v11, v11, v15
	v_add_f32_e32 v9, v9, v11
	s_delay_alu instid0(VALU_DEP_1) | instskip(NEXT) | instid1(VALU_DEP_1)
	v_add_f32_e32 v8, v8, v9
	v_add_f32_e32 v10, v8, v14
	v_add_co_u32 v8, vcc_lo, v38, v12
	v_add_co_ci_u32_e32 v9, vcc_lo, v39, v13, vcc_lo
	global_store_b32 v[8:9], v10, off
	s_or_b32 exec_lo, exec_lo, s0
	s_and_b32 s0, s7, s8
	s_delay_alu instid0(SALU_CYCLE_1)
	s_and_saveexec_b32 s1, s0
	s_cbranch_execz .LBB32_164
.LBB32_193:
	v_cmp_ne_u32_e32 vcc_lo, 1, v101
	v_lshlrev_b64 v[8:9], 2, v[62:63]
	s_cbranch_vccnz .LBB32_195
; %bb.194:
	s_delay_alu instid0(VALU_DEP_1) | instskip(NEXT) | instid1(VALU_DEP_2)
	v_add_co_u32 v10, vcc_lo, v40, v8
	v_add_co_ci_u32_e32 v11, vcc_lo, v41, v9, vcc_lo
	flat_load_b32 v10, v[10:11]
	s_waitcnt vmcnt(0) lgkmcnt(0)
	v_mul_f32_e32 v10, s15, v10
	s_branch .LBB32_196
.LBB32_195:
	v_mov_b32_e32 v10, 0
.LBB32_196:
	v_dual_max_f32 v5, v5, v5 :: v_dual_max_f32 v4, v4, v4
	v_dual_max_f32 v1, v1, v1 :: v_dual_max_f32 v0, v0, v0
	v_max_f32_e32 v6, v6, v6
	v_dual_max_f32 v2, v2, v2 :: v_dual_max_f32 v3, v3, v3
	s_delay_alu instid0(VALU_DEP_3) | instskip(NEXT) | instid1(VALU_DEP_2)
	v_dual_min_f32 v1, v1, v5 :: v_dual_min_f32 v0, v0, v4
	v_dual_max_f32 v5, v7, v7 :: v_dual_min_f32 v2, v2, v6
	s_delay_alu instid0(VALU_DEP_2) | instskip(NEXT) | instid1(VALU_DEP_1)
	v_dual_add_f32 v1, v67, v1 :: v_dual_add_f32 v0, v66, v0
	v_dual_min_f32 v3, v3, v5 :: v_dual_add_f32 v0, v0, v2
	s_delay_alu instid0(VALU_DEP_1) | instskip(NEXT) | instid1(VALU_DEP_1)
	v_add_f32_e32 v1, v1, v3
	v_add_f32_e32 v0, v0, v1
	s_delay_alu instid0(VALU_DEP_1)
	v_add_f32_e32 v2, v0, v10
	v_add_co_u32 v0, vcc_lo, v38, v8
	v_add_co_ci_u32_e32 v1, vcc_lo, v39, v9, vcc_lo
	global_store_b32 v[0:1], v2, off
	s_nop 0
	s_sendmsg sendmsg(MSG_DEALLOC_VGPRS)
	s_endpgm
	.section	.rodata,"a",@progbits
	.p2align	6, 0x0
	.amdhsa_kernel _ZN12_GLOBAL__N_120geam_min_plus_kernelIf15HIP_vector_typeIfLj2EES2_Li8ELi32ELi64ELi128ELi4ELi64ELi4ELi4ELi64ELc78ELc78ELb0ELb1ELb0EfKPKfKPfEEviiiT16_PT17_ilSA_ilS8_SA_ilPT18_ili26rocblas_geam_ex_operation_
		.amdhsa_group_segment_fixed_size 6144
		.amdhsa_private_segment_fixed_size 0
		.amdhsa_kernarg_size 128
		.amdhsa_user_sgpr_count 14
		.amdhsa_user_sgpr_dispatch_ptr 0
		.amdhsa_user_sgpr_queue_ptr 0
		.amdhsa_user_sgpr_kernarg_segment_ptr 1
		.amdhsa_user_sgpr_dispatch_id 0
		.amdhsa_user_sgpr_private_segment_size 0
		.amdhsa_wavefront_size32 1
		.amdhsa_uses_dynamic_stack 0
		.amdhsa_enable_private_segment 0
		.amdhsa_system_sgpr_workgroup_id_x 1
		.amdhsa_system_sgpr_workgroup_id_y 0
		.amdhsa_system_sgpr_workgroup_id_z 1
		.amdhsa_system_sgpr_workgroup_info 0
		.amdhsa_system_vgpr_workitem_id 1
		.amdhsa_next_free_vgpr 233
		.amdhsa_next_free_sgpr 29
		.amdhsa_reserve_vcc 1
		.amdhsa_float_round_mode_32 0
		.amdhsa_float_round_mode_16_64 0
		.amdhsa_float_denorm_mode_32 3
		.amdhsa_float_denorm_mode_16_64 3
		.amdhsa_dx10_clamp 1
		.amdhsa_ieee_mode 1
		.amdhsa_fp16_overflow 0
		.amdhsa_workgroup_processor_mode 1
		.amdhsa_memory_ordered 1
		.amdhsa_forward_progress 0
		.amdhsa_shared_vgpr_count 0
		.amdhsa_exception_fp_ieee_invalid_op 0
		.amdhsa_exception_fp_denorm_src 0
		.amdhsa_exception_fp_ieee_div_zero 0
		.amdhsa_exception_fp_ieee_overflow 0
		.amdhsa_exception_fp_ieee_underflow 0
		.amdhsa_exception_fp_ieee_inexact 0
		.amdhsa_exception_int_div_zero 0
	.end_amdhsa_kernel
	.section	.text._ZN12_GLOBAL__N_120geam_min_plus_kernelIf15HIP_vector_typeIfLj2EES2_Li8ELi32ELi64ELi128ELi4ELi64ELi4ELi4ELi64ELc78ELc78ELb0ELb1ELb0EfKPKfKPfEEviiiT16_PT17_ilSA_ilS8_SA_ilPT18_ili26rocblas_geam_ex_operation_,"axG",@progbits,_ZN12_GLOBAL__N_120geam_min_plus_kernelIf15HIP_vector_typeIfLj2EES2_Li8ELi32ELi64ELi128ELi4ELi64ELi4ELi4ELi64ELc78ELc78ELb0ELb1ELb0EfKPKfKPfEEviiiT16_PT17_ilSA_ilS8_SA_ilPT18_ili26rocblas_geam_ex_operation_,comdat
.Lfunc_end32:
	.size	_ZN12_GLOBAL__N_120geam_min_plus_kernelIf15HIP_vector_typeIfLj2EES2_Li8ELi32ELi64ELi128ELi4ELi64ELi4ELi4ELi64ELc78ELc78ELb0ELb1ELb0EfKPKfKPfEEviiiT16_PT17_ilSA_ilS8_SA_ilPT18_ili26rocblas_geam_ex_operation_, .Lfunc_end32-_ZN12_GLOBAL__N_120geam_min_plus_kernelIf15HIP_vector_typeIfLj2EES2_Li8ELi32ELi64ELi128ELi4ELi64ELi4ELi4ELi64ELc78ELc78ELb0ELb1ELb0EfKPKfKPfEEviiiT16_PT17_ilSA_ilS8_SA_ilPT18_ili26rocblas_geam_ex_operation_
                                        ; -- End function
	.section	.AMDGPU.csdata,"",@progbits
; Kernel info:
; codeLenInByte = 13424
; NumSgprs: 31
; NumVgprs: 233
; ScratchSize: 0
; MemoryBound: 0
; FloatMode: 240
; IeeeMode: 1
; LDSByteSize: 6144 bytes/workgroup (compile time only)
; SGPRBlocks: 3
; VGPRBlocks: 29
; NumSGPRsForWavesPerEU: 31
; NumVGPRsForWavesPerEU: 233
; Occupancy: 6
; WaveLimiterHint : 1
; COMPUTE_PGM_RSRC2:SCRATCH_EN: 0
; COMPUTE_PGM_RSRC2:USER_SGPR: 14
; COMPUTE_PGM_RSRC2:TRAP_HANDLER: 0
; COMPUTE_PGM_RSRC2:TGID_X_EN: 1
; COMPUTE_PGM_RSRC2:TGID_Y_EN: 0
; COMPUTE_PGM_RSRC2:TGID_Z_EN: 1
; COMPUTE_PGM_RSRC2:TIDIG_COMP_CNT: 1
	.section	.text._ZN12_GLOBAL__N_120geam_min_plus_kernelIf15HIP_vector_typeIfLj2EES2_Li8ELi32ELi64ELi128ELi4ELi4ELi64ELi4ELi64ELc84ELc78ELb0ELb0ELb0EPKfKS4_KPfEEviiiT16_PT17_ilSA_ilS8_SA_ilPT18_ili26rocblas_geam_ex_operation_,"axG",@progbits,_ZN12_GLOBAL__N_120geam_min_plus_kernelIf15HIP_vector_typeIfLj2EES2_Li8ELi32ELi64ELi128ELi4ELi4ELi64ELi4ELi64ELc84ELc78ELb0ELb0ELb0EPKfKS4_KPfEEviiiT16_PT17_ilSA_ilS8_SA_ilPT18_ili26rocblas_geam_ex_operation_,comdat
	.globl	_ZN12_GLOBAL__N_120geam_min_plus_kernelIf15HIP_vector_typeIfLj2EES2_Li8ELi32ELi64ELi128ELi4ELi4ELi64ELi4ELi64ELc84ELc78ELb0ELb0ELb0EPKfKS4_KPfEEviiiT16_PT17_ilSA_ilS8_SA_ilPT18_ili26rocblas_geam_ex_operation_ ; -- Begin function _ZN12_GLOBAL__N_120geam_min_plus_kernelIf15HIP_vector_typeIfLj2EES2_Li8ELi32ELi64ELi128ELi4ELi4ELi64ELi4ELi64ELc84ELc78ELb0ELb0ELb0EPKfKS4_KPfEEviiiT16_PT17_ilSA_ilS8_SA_ilPT18_ili26rocblas_geam_ex_operation_
	.p2align	8
	.type	_ZN12_GLOBAL__N_120geam_min_plus_kernelIf15HIP_vector_typeIfLj2EES2_Li8ELi32ELi64ELi128ELi4ELi4ELi64ELi4ELi64ELc84ELc78ELb0ELb0ELb0EPKfKS4_KPfEEviiiT16_PT17_ilSA_ilS8_SA_ilPT18_ili26rocblas_geam_ex_operation_,@function
_ZN12_GLOBAL__N_120geam_min_plus_kernelIf15HIP_vector_typeIfLj2EES2_Li8ELi32ELi64ELi128ELi4ELi4ELi64ELi4ELi64ELc84ELc78ELb0ELb0ELb0EPKfKS4_KPfEEviiiT16_PT17_ilSA_ilS8_SA_ilPT18_ili26rocblas_geam_ex_operation_: ; @_ZN12_GLOBAL__N_120geam_min_plus_kernelIf15HIP_vector_typeIfLj2EES2_Li8ELi32ELi64ELi128ELi4ELi4ELi64ELi4ELi64ELc84ELc78ELb0ELb0ELb0EPKfKS4_KPfEEviiiT16_PT17_ilSA_ilS8_SA_ilPT18_ili26rocblas_geam_ex_operation_
; %bb.0:
	s_clause 0x1
	s_load_b128 s[16:19], s[0:1], 0x10
	s_load_b128 s[4:7], s[0:1], 0x28
	s_mov_b32 s20, s15
	s_mov_b32 s21, 0
	s_delay_alu instid0(SALU_CYCLE_1)
	s_lshl_b64 s[2:3], s[20:21], 2
	s_waitcnt lgkmcnt(0)
	s_add_u32 s8, s16, s2
	s_addc_u32 s9, s17, s3
	s_load_b32 s22, s[8:9], 0x0
	s_clause 0x1
	s_load_b128 s[8:11], s[0:1], 0x40
	s_load_b64 s[16:17], s[0:1], 0x50
	s_waitcnt lgkmcnt(0)
	v_cmp_eq_f32_e64 s12, s22, 0
	v_cmp_neq_f32_e64 s23, s22, 0
	s_add_u32 s2, s10, s2
	s_addc_u32 s3, s11, s3
	s_mov_b64 s[10:11], 0
	s_and_b32 vcc_lo, exec_lo, s12
	s_mov_b64 s[12:13], 0
	s_cbranch_vccnz .LBB33_2
; %bb.1:
	s_lshl_b64 s[12:13], s[20:21], 3
	s_delay_alu instid0(SALU_CYCLE_1)
	s_add_u32 s12, s18, s12
	s_addc_u32 s13, s19, s13
	s_lshl_b64 s[4:5], s[4:5], 2
	s_load_b64 s[12:13], s[12:13], 0x0
	s_waitcnt lgkmcnt(0)
	s_add_u32 s12, s12, s4
	s_addc_u32 s13, s13, s5
.LBB33_2:
	s_load_b32 s15, s[2:3], 0x0
	v_cndmask_b32_e64 v1, 0, 1, s23
	s_and_not1_b32 vcc_lo, exec_lo, s23
	s_delay_alu instid0(VALU_DEP_1)
	v_cmp_ne_u32_e64 s3, 1, v1
	s_cbranch_vccnz .LBB33_4
; %bb.3:
	s_lshl_b64 s[4:5], s[20:21], 3
	s_delay_alu instid0(SALU_CYCLE_1)
	s_add_u32 s4, s6, s4
	s_addc_u32 s5, s7, s5
	s_lshl_b64 s[6:7], s[8:9], 2
	s_load_b64 s[4:5], s[4:5], 0x0
	s_waitcnt lgkmcnt(0)
	s_add_u32 s10, s4, s6
	s_addc_u32 s11, s5, s7
.LBB33_4:
	s_load_b128 s[4:7], s[0:1], 0x60
	s_waitcnt lgkmcnt(0)
	v_cmp_eq_f32_e64 s2, s15, 0
	s_delay_alu instid0(VALU_DEP_1) | instskip(NEXT) | instid1(SALU_CYCLE_1)
	s_and_b32 s2, exec_lo, s2
	s_mov_b32 vcc_lo, s2
	s_cbranch_vccnz .LBB33_6
; %bb.5:
	s_lshl_b64 s[8:9], s[20:21], 3
	s_delay_alu instid0(SALU_CYCLE_1)
	s_add_u32 s8, s16, s8
	s_addc_u32 s9, s17, s9
	s_lshl_b64 s[4:5], s[4:5], 2
	s_load_b64 s[8:9], s[8:9], 0x0
	s_waitcnt lgkmcnt(0)
	s_add_u32 s4, s8, s4
	s_addc_u32 s5, s9, s5
	s_branch .LBB33_7
.LBB33_6:
	s_mov_b64 s[4:5], 0
.LBB33_7:
	s_clause 0x1
	s_load_b32 s17, s[0:1], 0x0
	s_load_b32 s16, s[0:1], 0x20
	s_lshl_b64 s[8:9], s[20:21], 3
	v_and_b32_e32 v48, 0x3ff, v0
	s_add_u32 s6, s6, s8
	s_addc_u32 s7, s7, s9
	v_bfe_u32 v49, v0, 10, 10
	s_delay_alu instid0(VALU_DEP_1) | instskip(NEXT) | instid1(VALU_DEP_1)
	v_lshl_add_u32 v0, v49, 3, v48
	v_lshrrev_b32_e32 v6, 2, v0
	s_waitcnt lgkmcnt(0)
	s_add_i32 s8, s17, -1
	s_delay_alu instid0(SALU_CYCLE_1) | instskip(NEXT) | instid1(SALU_CYCLE_1)
	s_ashr_i32 s9, s8, 31
	s_lshr_b32 s9, s9, 26
	s_delay_alu instid0(SALU_CYCLE_1) | instskip(NEXT) | instid1(SALU_CYCLE_1)
	s_add_i32 s8, s8, s9
	s_ashr_i32 s8, s8, 6
	s_delay_alu instid0(SALU_CYCLE_1) | instskip(SKIP_2) | instid1(VALU_DEP_1)
	s_add_i32 s17, s8, 1
	s_not_b32 s8, s8
	v_cvt_f32_u32_e32 v1, s17
	v_rcp_iflag_f32_e32 v1, v1
	s_waitcnt_depctr 0xfff
	v_mul_f32_e32 v1, 0x4f7ffffe, v1
	s_delay_alu instid0(VALU_DEP_1) | instskip(NEXT) | instid1(VALU_DEP_1)
	v_cvt_u32_f32_e32 v1, v1
	v_readfirstlane_b32 s9, v1
	v_and_b32_e32 v1, 3, v48
	s_delay_alu instid0(VALU_DEP_2) | instskip(NEXT) | instid1(VALU_DEP_1)
	s_mul_i32 s8, s8, s9
	v_lshlrev_b32_e32 v52, 2, v1
	s_mul_hi_u32 s8, s9, s8
	s_delay_alu instid0(SALU_CYCLE_1) | instskip(NEXT) | instid1(SALU_CYCLE_1)
	s_add_i32 s9, s9, s8
	s_mul_hi_u32 s8, s14, s9
	s_delay_alu instid0(SALU_CYCLE_1) | instskip(SKIP_2) | instid1(SALU_CYCLE_1)
	s_mul_i32 s9, s8, s17
	s_add_i32 s18, s8, 1
	s_sub_i32 s9, s14, s9
	s_sub_i32 s19, s9, s17
	s_cmp_ge_u32 s9, s17
	s_cselect_b32 s8, s18, s8
	s_cselect_b32 s9, s19, s9
	s_add_i32 s18, s8, 1
	s_cmp_ge_u32 s9, s17
	s_cselect_b32 s9, s18, s8
	s_and_b32 vcc_lo, exec_lo, s3
	s_mul_i32 s8, s9, s17
	s_delay_alu instid0(SALU_CYCLE_1) | instskip(NEXT) | instid1(SALU_CYCLE_1)
	s_sub_i32 s8, s14, s8
	s_lshl_b32 s8, s8, 6
	s_delay_alu instid0(SALU_CYCLE_1)
	v_add_nc_u32_e32 v0, s8, v6
	s_cbranch_vccnz .LBB33_9
; %bb.8:
	s_delay_alu instid0(VALU_DEP_1) | instskip(NEXT) | instid1(VALU_DEP_1)
	v_mad_i64_i32 v[1:2], null, v0, s16, 0
	v_lshlrev_b64 v[1:2], 2, v[1:2]
	s_delay_alu instid0(VALU_DEP_1) | instskip(NEXT) | instid1(VALU_DEP_2)
	v_add_co_u32 v1, vcc_lo, s12, v1
	v_add_co_ci_u32_e32 v2, vcc_lo, s13, v2, vcc_lo
	s_delay_alu instid0(VALU_DEP_2) | instskip(NEXT) | instid1(VALU_DEP_2)
	v_add_co_u32 v1, vcc_lo, v1, v52
	v_add_co_ci_u32_e32 v2, vcc_lo, 0, v2, vcc_lo
	flat_load_b32 v1, v[1:2]
	s_waitcnt vmcnt(0) lgkmcnt(0)
	v_mul_f32_e32 v7, s22, v1
	s_branch .LBB33_10
.LBB33_9:
	v_mov_b32_e32 v7, 0
.LBB33_10:
	s_load_b32 s14, s[0:1], 0x38
	s_lshl_b32 s9, s9, 7
	s_and_b32 vcc_lo, exec_lo, s3
	v_add_nc_u32_e32 v1, s9, v6
	s_delay_alu instid0(VALU_DEP_1)
	v_add_nc_u32_e32 v2, 64, v1
	s_cbranch_vccnz .LBB33_14
; %bb.11:
	s_waitcnt lgkmcnt(0)
	v_mad_i64_i32 v[3:4], null, v1, s14, 0
	s_delay_alu instid0(VALU_DEP_2) | instskip(SKIP_1) | instid1(VALU_DEP_1)
	v_mad_i64_i32 v[8:9], null, v2, s14, 0
	v_add_co_u32 v5, s17, s10, v52
	v_add_co_ci_u32_e64 v10, null, s11, 0, s17
	s_delay_alu instid0(VALU_DEP_4) | instskip(NEXT) | instid1(VALU_DEP_4)
	v_lshlrev_b64 v[3:4], 2, v[3:4]
	v_lshlrev_b64 v[8:9], 2, v[8:9]
	s_delay_alu instid0(VALU_DEP_2) | instskip(NEXT) | instid1(VALU_DEP_3)
	v_add_co_u32 v3, vcc_lo, v5, v3
	v_add_co_ci_u32_e32 v4, vcc_lo, v10, v4, vcc_lo
	s_delay_alu instid0(VALU_DEP_3) | instskip(NEXT) | instid1(VALU_DEP_4)
	v_add_co_u32 v8, vcc_lo, v5, v8
	v_add_co_ci_u32_e32 v9, vcc_lo, v10, v9, vcc_lo
	s_clause 0x1
	flat_load_b32 v3, v[3:4]
	flat_load_b32 v4, v[8:9]
	s_waitcnt vmcnt(0) lgkmcnt(0)
	v_dual_mul_f32 v8, s22, v3 :: v_dual_mul_f32 v9, s22, v4
	s_and_b32 vcc_lo, exec_lo, s3
	s_cbranch_vccnz .LBB33_15
.LBB33_12:
	v_mad_i64_i32 v[3:4], null, v0, s16, 0
	s_delay_alu instid0(VALU_DEP_1) | instskip(NEXT) | instid1(VALU_DEP_1)
	v_lshlrev_b64 v[3:4], 2, v[3:4]
	v_add_co_u32 v3, vcc_lo, s12, v3
	s_delay_alu instid0(VALU_DEP_2) | instskip(NEXT) | instid1(VALU_DEP_2)
	v_add_co_ci_u32_e32 v4, vcc_lo, s13, v4, vcc_lo
	v_add_co_u32 v3, vcc_lo, v3, v52
	s_delay_alu instid0(VALU_DEP_2)
	v_add_co_ci_u32_e32 v4, vcc_lo, 0, v4, vcc_lo
	flat_load_b32 v3, v[3:4] offset:16
	s_waitcnt vmcnt(0) lgkmcnt(0)
	v_mul_f32_e32 v3, s22, v3
	s_and_b32 vcc_lo, exec_lo, s3
	s_cbranch_vccnz .LBB33_16
.LBB33_13:
	s_waitcnt lgkmcnt(0)
	v_mad_i64_i32 v[4:5], null, v1, s14, 0
	v_mad_i64_i32 v[10:11], null, v2, s14, 0
	v_add_co_u32 v12, s17, s10, v52
	s_delay_alu instid0(VALU_DEP_1) | instskip(NEXT) | instid1(VALU_DEP_4)
	v_add_co_ci_u32_e64 v13, null, s11, 0, s17
	v_lshlrev_b64 v[4:5], 2, v[4:5]
	s_delay_alu instid0(VALU_DEP_4) | instskip(NEXT) | instid1(VALU_DEP_2)
	v_lshlrev_b64 v[10:11], 2, v[10:11]
	v_add_co_u32 v4, vcc_lo, v12, v4
	s_delay_alu instid0(VALU_DEP_3) | instskip(NEXT) | instid1(VALU_DEP_3)
	v_add_co_ci_u32_e32 v5, vcc_lo, v13, v5, vcc_lo
	v_add_co_u32 v10, vcc_lo, v12, v10
	s_delay_alu instid0(VALU_DEP_4)
	v_add_co_ci_u32_e32 v11, vcc_lo, v13, v11, vcc_lo
	s_clause 0x1
	flat_load_b32 v4, v[4:5] offset:16
	flat_load_b32 v5, v[10:11] offset:16
	s_waitcnt vmcnt(0) lgkmcnt(0)
	v_dual_mul_f32 v4, s22, v4 :: v_dual_mul_f32 v5, s22, v5
	s_branch .LBB33_17
.LBB33_14:
	v_dual_mov_b32 v8, 0 :: v_dual_mov_b32 v9, 0
	s_and_b32 vcc_lo, exec_lo, s3
	s_cbranch_vccz .LBB33_12
.LBB33_15:
	v_mov_b32_e32 v3, 0
	s_and_b32 vcc_lo, exec_lo, s3
	s_cbranch_vccz .LBB33_13
.LBB33_16:
	v_dual_mov_b32 v4, 0 :: v_dual_mov_b32 v5, 0
.LBB33_17:
	v_lshl_or_b32 v65, v6, 4, v52
	v_lshlrev_b32_e32 v50, 4, v49
	v_lshlrev_b32_e32 v51, 4, v48
	s_load_b64 s[6:7], s[6:7], 0x0
	s_load_b32 s17, s[0:1], 0x8
	ds_store_b32 v65, v7 offset:4096
	ds_store_2addr_stride64_b32 v65, v8, v9 offset1:4
	s_waitcnt lgkmcnt(0)
	s_barrier
	buffer_gl0_inv
	ds_load_b128 v[6:9], v50
	ds_load_b128 v[10:13], v51 offset:4096
	ds_load_b128 v[14:17], v51 offset:4224
	;; [unrolled: 1-line block ×11, first 2 shown]
	ds_store_b32 v65, v3 offset:5120
	ds_store_2addr_stride64_b32 v65, v4, v5 offset0:8 offset1:12
	s_waitcnt lgkmcnt(0)
	s_barrier
	buffer_gl0_inv
	v_max_f32_e32 v6, v6, v6
	v_dual_max_f32 v10, v10, v10 :: v_dual_max_f32 v11, v11, v11
	v_dual_max_f32 v7, v7, v7 :: v_dual_max_f32 v14, v14, v14
	;; [unrolled: 1-line block ×4, first 2 shown]
	s_delay_alu instid0(VALU_DEP_3) | instskip(SKIP_2) | instid1(VALU_DEP_4)
	v_dual_min_f32 v47, v11, v7 :: v_dual_min_f32 v46, v10, v6
	v_dual_max_f32 v19, v19, v19 :: v_dual_max_f32 v22, v22, v22
	v_dual_max_f32 v23, v23, v23 :: v_dual_max_f32 v30, v30, v30
	v_dual_min_f32 v69, v27, v7 :: v_dual_min_f32 v68, v26, v6
	v_dual_max_f32 v31, v31, v31 :: v_dual_max_f32 v34, v34, v34
	v_dual_max_f32 v35, v35, v35 :: v_dual_max_f32 v38, v38, v38
	;; [unrolled: 1-line block ×3, first 2 shown]
	v_dual_min_f32 v61, v14, v6 :: v_dual_min_f32 v62, v15, v7
	v_dual_min_f32 v63, v18, v6 :: v_dual_min_f32 v64, v19, v7
	;; [unrolled: 1-line block ×5, first 2 shown]
	v_dual_min_f32 v6, v38, v6 :: v_dual_max_f32 v43, v43, v43
	v_dual_min_f32 v7, v39, v7 :: v_dual_max_f32 v8, v8, v8
	v_dual_max_f32 v9, v9, v9 :: v_dual_max_f32 v12, v12, v12
	v_dual_max_f32 v13, v13, v13 :: v_dual_min_f32 v86, v34, v42
	v_dual_max_f32 v53, v53, v53 :: v_dual_max_f32 v54, v54, v54
	v_max_f32_e32 v45, v45, v45
	v_dual_max_f32 v57, v57, v57 :: v_dual_max_f32 v58, v58, v58
	v_dual_min_f32 v74, v10, v42 :: v_dual_min_f32 v75, v11, v43
	v_dual_min_f32 v76, v14, v42 :: v_dual_min_f32 v77, v15, v43
	v_dual_max_f32 v16, v16, v16 :: v_dual_max_f32 v17, v17, v17
	v_dual_min_f32 v78, v18, v42 :: v_dual_min_f32 v79, v19, v43
	v_dual_max_f32 v20, v20, v20 :: v_dual_max_f32 v21, v21, v21
	;; [unrolled: 2-line block ×3, first 2 shown]
	v_dual_min_f32 v82, v26, v42 :: v_dual_min_f32 v83, v27, v43
	v_dual_min_f32 v84, v30, v42 :: v_dual_min_f32 v85, v31, v43
	;; [unrolled: 1-line block ×4, first 2 shown]
	v_dual_min_f32 v119, v14, v53 :: v_dual_max_f32 v44, v44, v44
	v_dual_min_f32 v120, v18, v53 :: v_dual_max_f32 v55, v55, v55
	;; [unrolled: 1-line block ×3, first 2 shown]
	v_dual_max_f32 v122, v59, v59 :: v_dual_max_f32 v123, v60, v60
	v_dual_min_f32 v59, v26, v53 :: v_dual_min_f32 v126, v19, v54
	v_min_f32_e32 v60, v30, v53
	v_dual_min_f32 v124, v34, v53 :: v_dual_min_f32 v125, v15, v54
	v_dual_min_f32 v53, v38, v53 :: v_dual_min_f32 v128, v27, v54
	v_dual_min_f32 v38, v38, v57 :: v_dual_add_f32 v47, 0, v47
	v_dual_min_f32 v130, v35, v54 :: v_dual_min_f32 v89, v12, v8
	v_min_f32_e32 v88, v13, v9
	v_add_f32_e32 v46, 0, v46
	v_dual_max_f32 v28, v28, v28 :: v_dual_max_f32 v29, v29, v29
	v_dual_max_f32 v32, v32, v32 :: v_dual_max_f32 v33, v33, v33
	v_dual_min_f32 v10, v10, v57 :: v_dual_min_f32 v127, v23, v54
	v_dual_min_f32 v14, v14, v57 :: v_dual_min_f32 v129, v31, v54
	v_min_f32_e32 v18, v18, v57
	v_dual_min_f32 v22, v22, v57 :: v_dual_min_f32 v15, v15, v58
	v_dual_min_f32 v26, v26, v57 :: v_dual_min_f32 v19, v19, v58
	;; [unrolled: 1-line block ×4, first 2 shown]
	v_min_f32_e32 v57, v11, v54
	v_min_f32_e32 v54, v39, v54
	;; [unrolled: 1-line block ×4, first 2 shown]
	v_dual_min_f32 v35, v35, v58 :: v_dual_add_f32 v116, v88, v47
	v_dual_min_f32 v39, v39, v58 :: v_dual_add_f32 v58, 0, v61
	v_min_f32_e32 v47, v17, v9
	v_min_f32_e32 v61, v16, v8
	v_add_f32_e32 v117, v89, v46
	v_dual_add_f32 v46, 0, v62 :: v_dual_add_f32 v63, 0, v63
	v_add_f32_e32 v62, 0, v64
	v_dual_min_f32 v64, v21, v9 :: v_dual_add_f32 v67, 0, v67
	v_dual_min_f32 v88, v20, v8 :: v_dual_min_f32 v89, v25, v9
	v_dual_max_f32 v36, v36, v36 :: v_dual_max_f32 v37, v37, v37
	v_dual_max_f32 v40, v40, v40 :: v_dual_max_f32 v41, v41, v41
	s_delay_alu instid0(VALU_DEP_3)
	v_dual_add_f32 v114, v47, v46 :: v_dual_add_f32 v113, v88, v63
	v_dual_add_f32 v115, v61, v58 :: v_dual_add_f32 v58, 0, v69
	v_dual_add_f32 v112, v64, v62 :: v_dual_min_f32 v61, v29, v9
	v_dual_add_f32 v110, v89, v67 :: v_dual_min_f32 v47, v24, v8
	;; [unrolled: 1-line block ×3, first 2 shown]
	v_dual_add_f32 v62, 0, v68 :: v_dual_add_f32 v67, 0, v70
	s_delay_alu instid0(VALU_DEP_2) | instskip(NEXT) | instid1(VALU_DEP_2)
	v_dual_add_f32 v64, 0, v71 :: v_dual_add_f32 v111, v47, v46
	v_dual_min_f32 v66, v33, v9 :: v_dual_add_f32 v109, v63, v62
	v_dual_min_f32 v68, v32, v8 :: v_dual_min_f32 v47, v37, v9
	v_add_f32_e32 v108, v61, v58
	s_delay_alu instid0(VALU_DEP_3) | instskip(SKIP_3) | instid1(VALU_DEP_2)
	v_dual_add_f32 v106, v66, v64 :: v_dual_add_f32 v7, 0, v7
	v_dual_add_f32 v46, 0, v73 :: v_dual_min_f32 v61, v36, v8
	v_dual_add_f32 v58, 0, v72 :: v_dual_min_f32 v9, v41, v9
	;; [unrolled: 1-line block ×3, first 2 shown]
	v_dual_min_f32 v8, v40, v8 :: v_dual_add_f32 v105, v61, v58
	v_add_f32_e32 v62, 0, v75
	v_add_f32_e32 v104, v47, v46
	v_dual_add_f32 v102, v9, v7 :: v_dual_min_f32 v47, v16, v44
	s_delay_alu instid0(VALU_DEP_4) | instskip(SKIP_4) | instid1(VALU_DEP_3)
	v_add_f32_e32 v103, v8, v6
	v_dual_add_f32 v6, 0, v74 :: v_dual_min_f32 v61, v21, v45
	v_dual_min_f32 v7, v12, v44 :: v_dual_add_f32 v100, v63, v62
	v_min_f32_e32 v9, v17, v45
	v_dual_add_f32 v8, 0, v77 :: v_dual_min_f32 v63, v20, v44
	v_dual_add_f32 v46, 0, v76 :: v_dual_add_f32 v101, v7, v6
	v_add_f32_e32 v58, 0, v79
	v_dual_add_f32 v62, 0, v78 :: v_dual_min_f32 v7, v25, v45
	s_delay_alu instid0(VALU_DEP_3) | instskip(NEXT) | instid1(VALU_DEP_3)
	v_dual_add_f32 v98, v9, v8 :: v_dual_add_f32 v99, v47, v46
	v_dual_add_f32 v96, v61, v58 :: v_dual_min_f32 v9, v24, v44
	v_dual_add_f32 v6, 0, v81 :: v_dual_min_f32 v61, v28, v44
	;; [unrolled: 1-line block ×3, first 2 shown]
	v_dual_add_f32 v46, 0, v83 :: v_dual_add_f32 v97, v63, v62
	v_dual_min_f32 v63, v33, v45 :: v_dual_add_f32 v58, 0, v82
	s_delay_alu instid0(VALU_DEP_3) | instskip(SKIP_1) | instid1(VALU_DEP_4)
	v_dual_add_f32 v95, v9, v8 :: v_dual_add_f32 v62, 0, v85
	v_dual_add_f32 v94, v7, v6 :: v_dual_min_f32 v7, v32, v44
	v_dual_add_f32 v92, v47, v46 :: v_dual_min_f32 v9, v37, v45
	v_dual_add_f32 v6, 0, v84 :: v_dual_add_f32 v43, 0, v43
	v_dual_add_f32 v8, 0, v87 :: v_dual_min_f32 v45, v41, v45
	v_add_f32_e32 v93, v61, v58
	v_dual_add_f32 v90, v63, v62 :: v_dual_min_f32 v47, v36, v44
	v_add_f32_e32 v46, 0, v86
	v_add_f32_e32 v42, 0, v42
	v_dual_min_f32 v44, v40, v44 :: v_dual_add_f32 v91, v7, v6
	v_dual_add_f32 v6, 0, v57 :: v_dual_min_f32 v7, v13, v56
	s_delay_alu instid0(VALU_DEP_4) | instskip(SKIP_1) | instid1(VALU_DEP_4)
	v_dual_add_f32 v88, v9, v8 :: v_dual_add_f32 v89, v47, v46
	v_dual_add_f32 v8, 0, v118 :: v_dual_min_f32 v9, v12, v55
	v_dual_add_f32 v86, v45, v43 :: v_dual_add_f32 v87, v44, v42
	v_dual_add_f32 v42, 0, v125 :: v_dual_min_f32 v47, v21, v56
	v_min_f32_e32 v43, v17, v56
	v_min_f32_e32 v45, v16, v55
	v_dual_add_f32 v44, 0, v119 :: v_dual_add_f32 v85, v9, v8
	v_add_f32_e32 v46, 0, v126
	v_dual_add_f32 v84, v7, v6 :: v_dual_min_f32 v7, v20, v55
	v_add_f32_e32 v6, 0, v120
	v_dual_add_f32 v82, v43, v42 :: v_dual_min_f32 v9, v25, v56
	s_delay_alu instid0(VALU_DEP_4)
	v_dual_add_f32 v83, v45, v44 :: v_dual_add_f32 v80, v47, v46
	v_min_f32_e32 v43, v24, v55
	v_dual_add_f32 v8, 0, v127 :: v_dual_min_f32 v45, v29, v56
	v_add_f32_e32 v46, 0, v59
	v_dual_min_f32 v47, v28, v55 :: v_dual_add_f32 v42, 0, v121
	v_dual_add_f32 v81, v7, v6 :: v_dual_add_f32 v44, 0, v128
	v_dual_add_f32 v6, 0, v129 :: v_dual_min_f32 v7, v33, v56
	s_delay_alu instid0(VALU_DEP_3) | instskip(NEXT) | instid1(VALU_DEP_3)
	v_dual_add_f32 v78, v9, v8 :: v_dual_add_f32 v77, v47, v46
	v_dual_add_f32 v79, v43, v42 :: v_dual_add_f32 v76, v45, v44
	v_dual_min_f32 v9, v32, v55 :: v_dual_add_f32 v8, 0, v60
	v_dual_min_f32 v45, v36, v55 :: v_dual_add_f32 v42, 0, v130
	;; [unrolled: 1-line block ×3, first 2 shown]
	s_delay_alu instid0(VALU_DEP_3) | instskip(SKIP_4) | instid1(VALU_DEP_3)
	v_add_f32_e32 v75, v9, v8
	v_min_f32_e32 v43, v37, v56
	v_add_f32_e32 v44, 0, v124
	v_dual_add_f32 v8, 0, v11 :: v_dual_add_f32 v9, 0, v14
	v_add_f32_e32 v69, v47, v46
	v_dual_add_f32 v74, v7, v6 :: v_dual_add_f32 v73, v45, v44
	v_dual_add_f32 v6, 0, v53 :: v_dual_add_f32 v7, 0, v10
	;; [unrolled: 1-line block ×6, first 2 shown]
	v_min_f32_e32 v30, v40, v55
	v_add_f32_e32 v72, v43, v42
	v_dual_add_f32 v26, 0, v31 :: v_dual_add_f32 v27, 0, v34
	v_add_f32_e32 v31, 0, v35
	v_dual_min_f32 v13, v13, v123 :: v_dual_add_f32 v34, 0, v38
	v_add_f32_e32 v35, 0, v39
	v_add_f32_e32 v71, v30, v6
	v_min_f32_e32 v6, v12, v122
	s_delay_alu instid0(VALU_DEP_4) | instskip(SKIP_2) | instid1(VALU_DEP_4)
	v_dual_add_f32 v107, v68, v67 :: v_dual_add_f32 v68, v13, v8
	v_dual_min_f32 v12, v16, v122 :: v_dual_min_f32 v13, v21, v123
	v_min_f32_e32 v8, v17, v123
	v_add_f32_e32 v70, v6, v7
	v_dual_min_f32 v6, v20, v122 :: v_dual_min_f32 v7, v25, v123
	s_delay_alu instid0(VALU_DEP_4) | instskip(NEXT) | instid1(VALU_DEP_4)
	v_add_f32_e32 v67, v12, v9
	v_add_f32_e32 v66, v8, v10
	v_min_f32_e32 v9, v28, v122
	s_cmp_lt_i32 s17, 9
	v_add_f32_e32 v61, v7, v18
	v_min_f32_e32 v7, v33, v123
	v_min_f32_e32 v8, v29, v123
	v_add_f32_e32 v60, v9, v19
	v_dual_min_f32 v9, v41, v123 :: v_dual_min_f32 v10, v40, v122
	s_delay_alu instid0(VALU_DEP_4) | instskip(NEXT) | instid1(VALU_DEP_4)
	v_dual_add_f32 v55, v7, v26 :: v_dual_add_f32 v64, v6, v11
	v_add_f32_e32 v59, v8, v22
	v_dual_min_f32 v6, v24, v122 :: v_dual_min_f32 v7, v37, v123
	v_add_f32_e32 v62, v13, v14
	v_dual_min_f32 v8, v36, v122 :: v_dual_add_f32 v53, v9, v35
	s_delay_alu instid0(VALU_DEP_3) | instskip(NEXT) | instid1(VALU_DEP_4)
	v_add_f32_e32 v63, v6, v15
	v_dual_add_f32 v57, v7, v31 :: v_dual_min_f32 v6, v32, v122
	s_delay_alu instid0(VALU_DEP_3) | instskip(SKIP_1) | instid1(VALU_DEP_3)
	v_add_f32_e32 v56, v8, v27
	v_add_f32_e32 v54, v10, v34
	;; [unrolled: 1-line block ×3, first 2 shown]
	s_cbranch_scc1 .LBB33_31
; %bb.18:
	v_mad_i64_i32 v[3:4], null, v0, s16, 0
	v_mad_i64_i32 v[5:6], null, s14, v2, 0
	;; [unrolled: 1-line block ×3, first 2 shown]
	v_add_nc_u32_e32 v118, 0x1000, v65
	v_add_nc_u32_e32 v119, 0x1000, v51
	v_lshlrev_b64 v[2:3], 2, v[3:4]
	v_add_nc_u32_e32 v120, 0x1400, v65
	v_lshlrev_b64 v[0:1], 2, v[5:6]
	v_add_nc_u32_e32 v121, 0x800, v65
	v_lshl_add_u32 v124, v48, 4, 0x1400
	v_lshl_add_u32 v125, v49, 4, 0x800
	v_add_co_u32 v122, vcc_lo, s12, v2
	v_add_co_ci_u32_e32 v123, vcc_lo, s13, v3, vcc_lo
	v_lshlrev_b64 v[2:3], 2, v[7:8]
	v_add_co_u32 v126, vcc_lo, s10, v0
	v_add_co_ci_u32_e32 v127, vcc_lo, s11, v1, vcc_lo
	s_delay_alu instid0(VALU_DEP_3) | instskip(NEXT) | instid1(VALU_DEP_4)
	v_add_co_u32 v128, vcc_lo, s10, v2
	v_add_co_ci_u32_e32 v129, vcc_lo, s11, v3, vcc_lo
	s_add_i32 s10, s17, -8
	s_mov_b32 s11, 0
	s_branch .LBB33_21
.LBB33_19:                              ;   in Loop: Header=BB33_21 Depth=1
	v_add_co_u32 v0, vcc_lo, v128, v52
	v_add_co_ci_u32_e32 v1, vcc_lo, 0, v129, vcc_lo
	v_add_co_u32 v213, vcc_lo, v126, v52
	v_add_co_ci_u32_e32 v214, vcc_lo, 0, v127, vcc_lo
	flat_load_b32 v0, v[0:1] offset:48
	flat_load_b32 v1, v[213:214] offset:48
	s_waitcnt vmcnt(0) lgkmcnt(0)
	v_dual_mul_f32 v0, s22, v0 :: v_dual_mul_f32 v1, s22, v1
.LBB33_20:                              ;   in Loop: Header=BB33_21 Depth=1
	v_dual_add_f32 v36, v36, v117 :: v_dual_add_f32 v41, v41, v115
	v_dual_add_f32 v40, v40, v116 :: v_dual_add_f32 v29, v29, v113
	;; [unrolled: 1-line block ×18, first 2 shown]
	ds_load_b128 v[20:23], v50
	ds_load_b128 v[28:31], v119
	v_dual_add_f32 v64, v10, v64 :: v_dual_add_f32 v63, v11, v63
	ds_load_b128 v[8:11], v119 offset:128
	v_dual_add_f32 v5, v5, v87 :: v_dual_add_f32 v86, v140, v86
	v_dual_add_f32 v67, v159, v67 :: v_dual_add_f32 v66, v160, v66
	v_dual_add_f32 v62, v162, v62 :: v_dual_add_f32 v61, v164, v61
	v_dual_add_f32 v60, v165, v60 :: v_dual_add_f32 v59, v166, v59
	v_dual_add_f32 v58, v167, v58 :: v_dual_add_f32 v55, v168, v55
	v_dual_add_f32 v56, v169, v56 :: v_dual_add_f32 v57, v170, v57
	v_dual_add_f32 v43, v43, v54 :: v_dual_add_f32 v46, v46, v53
	v_dual_add_f32 v97, v131, v97 :: v_dual_add_f32 v96, v132, v96
	v_dual_add_f32 v87, v47, v40 :: v_dual_add_f32 v112, v184, v17
	v_dual_add_f32 v99, v42, v41 :: v_dual_add_f32 v100, v35, v32
	v_dual_add_f32 v102, v39, v37 :: v_dual_add_f32 v105, v18, v16
	v_dual_add_f32 v116, v198, v4 :: v_dual_add_f32 v89, v181, v89
	v_dual_add_f32 v86, v199, v86 :: v_dual_add_f32 v117, v190, v5
	v_dual_add_f32 v66, v212, v66 :: v_dual_add_f32 v61, v27, v61
	v_dual_add_f32 v67, v208, v67 :: v_dual_add_f32 v62, v26, v62
	v_dual_add_f32 v59, v171, v59 :: v_dual_add_f32 v60, v2, v60
	v_dual_add_f32 v131, v14, v55 :: v_dual_add_f32 v58, v3, v58
	v_dual_add_f32 v57, v15, v57 :: v_dual_add_f32 v6, v6, v56
	s_waitcnt lgkmcnt(2)
	v_dual_add_f32 v132, v19, v46 :: v_dual_max_f32 v21, v21, v21
	ds_load_b128 v[2:5], v119 offset:256
	ds_load_b128 v[12:15], v119 offset:384
	;; [unrolled: 1-line block ×5, first 2 shown]
	v_dual_add_f32 v7, v7, v43 :: v_dual_max_f32 v20, v20, v20
	s_waitcnt lgkmcnt(6)
	v_dual_max_f32 v28, v28, v28 :: v_dual_max_f32 v29, v29, v29
	s_waitcnt lgkmcnt(5)
	v_dual_max_f32 v8, v8, v8 :: v_dual_max_f32 v9, v9, v9
	ds_load_b128 v[36:39], v119 offset:768
	ds_load_b128 v[40:43], v119 offset:896
	v_dual_add_f32 v95, v133, v95 :: v_dual_add_f32 v94, v134, v94
	v_dual_add_f32 v93, v135, v93 :: v_dual_add_f32 v92, v136, v92
	v_dual_min_f32 v133, v28, v20 :: v_dual_min_f32 v134, v29, v21
	v_dual_min_f32 v135, v8, v20 :: v_dual_add_f32 v114, v185, v45
	s_waitcnt lgkmcnt(6)
	v_dual_add_f32 v115, v176, v44 :: v_dual_max_f32 v2, v2, v2
	s_delay_alu instid0(VALU_DEP_3) | instskip(SKIP_2) | instid1(VALU_DEP_3)
	v_dual_add_f32 v88, v133, v88 :: v_dual_add_f32 v87, v134, v87
	s_waitcnt lgkmcnt(5)
	v_dual_min_f32 v133, v9, v21 :: v_dual_max_f32 v12, v12, v12
	v_dual_add_f32 v99, v135, v99 :: v_dual_min_f32 v134, v2, v20
	s_delay_alu instid0(VALU_DEP_2)
	v_dual_max_f32 v3, v3, v3 :: v_dual_add_f32 v98, v133, v98
	s_waitcnt lgkmcnt(4)
	v_dual_max_f32 v13, v13, v13 :: v_dual_max_f32 v16, v16, v16
	v_min_f32_e32 v135, v12, v20
	v_add_f32_e32 v101, v134, v101
	s_waitcnt lgkmcnt(1)
	v_dual_max_f32 v17, v17, v17 :: v_dual_max_f32 v36, v36, v36
	v_min_f32_e32 v134, v13, v21
	v_min_f32_e32 v133, v3, v21
	v_dual_add_f32 v103, v135, v103 :: v_dual_max_f32 v24, v24, v24
	v_dual_max_f32 v37, v37, v37 :: v_dual_max_f32 v32, v32, v32
	s_delay_alu instid0(VALU_DEP_4) | instskip(NEXT) | instid1(VALU_DEP_4)
	v_add_f32_e32 v102, v134, v102
	v_add_f32_e32 v100, v133, v100
	v_dual_min_f32 v133, v16, v20 :: v_dual_min_f32 v134, v17, v21
	s_waitcnt lgkmcnt(0)
	v_dual_max_f32 v25, v25, v25 :: v_dual_max_f32 v40, v40, v40
	v_max_f32_e32 v41, v41, v41
	s_delay_alu instid0(VALU_DEP_3) | instskip(NEXT) | instid1(VALU_DEP_3)
	v_dual_add_f32 v105, v133, v105 :: v_dual_add_f32 v104, v134, v104
	v_dual_min_f32 v134, v36, v20 :: v_dual_min_f32 v135, v25, v21
	v_min_f32_e32 v133, v24, v20
	v_dual_min_f32 v20, v40, v20 :: v_dual_max_f32 v33, v33, v33
	ds_load_b128 v[44:47], v50 offset:1024
	ds_load_b128 v[53:56], v50 offset:1536
	v_dual_add_f32 v106, v135, v106 :: v_dual_add_f32 v107, v133, v107
	v_add_f32_e32 v134, v134, v109
	v_dual_min_f32 v133, v37, v21 :: v_dual_add_f32 v20, v20, v111
	v_min_f32_e32 v111, v8, v32
	v_dual_add_f32 v91, v137, v91 :: v_dual_add_f32 v90, v138, v90
	s_delay_alu instid0(VALU_DEP_3) | instskip(SKIP_3) | instid1(VALU_DEP_3)
	v_add_f32_e32 v133, v133, v108
	v_min_f32_e32 v108, v28, v32
	v_dual_add_f32 v96, v186, v96 :: v_dual_add_f32 v97, v177, v97
	v_dual_add_f32 v94, v187, v94 :: v_dual_add_f32 v95, v178, v95
	v_add_f32_e32 v135, v108, v113
	v_min_f32_e32 v108, v9, v33
	v_min_f32_e32 v21, v41, v21
	v_dual_add_f32 v137, v111, v115 :: v_dual_add_f32 v92, v188, v92
	s_delay_alu instid0(VALU_DEP_3) | instskip(NEXT) | instid1(VALU_DEP_3)
	v_dual_add_f32 v93, v179, v93 :: v_dual_add_f32 v138, v108, v114
	v_dual_add_f32 v21, v21, v110 :: v_dual_min_f32 v110, v3, v33
	v_min_f32_e32 v109, v29, v33
	v_dual_min_f32 v108, v13, v33 :: v_dual_min_f32 v111, v12, v32
	v_dual_add_f32 v85, v141, v85 :: v_dual_add_f32 v84, v142, v84
	s_delay_alu instid0(VALU_DEP_4) | instskip(NEXT) | instid1(VALU_DEP_4)
	v_add_f32_e32 v96, v110, v96
	v_add_f32_e32 v136, v109, v112
	s_delay_alu instid0(VALU_DEP_4) | instskip(SKIP_3) | instid1(VALU_DEP_3)
	v_dual_min_f32 v109, v2, v32 :: v_dual_add_f32 v94, v108, v94
	v_dual_min_f32 v108, v17, v33 :: v_dual_add_f32 v83, v143, v83
	v_add_f32_e32 v82, v144, v82
	v_dual_add_f32 v90, v189, v90 :: v_dual_add_f32 v91, v180, v91
	v_dual_add_f32 v97, v109, v97 :: v_dual_add_f32 v92, v108, v92
	v_dual_add_f32 v95, v111, v95 :: v_dual_min_f32 v108, v37, v33
	v_dual_min_f32 v110, v24, v32 :: v_dual_min_f32 v111, v25, v33
	s_waitcnt lgkmcnt(1)
	v_max_f32_e32 v44, v44, v44
	v_dual_add_f32 v84, v200, v84 :: v_dual_add_f32 v85, v191, v85
	v_dual_add_f32 v82, v201, v82 :: v_dual_add_f32 v83, v192, v83
	v_dual_min_f32 v109, v16, v32 :: v_dual_add_f32 v90, v111, v90
	v_add_f32_e32 v91, v110, v91
	v_add_f32_e32 v139, v108, v116
	v_dual_min_f32 v108, v28, v44 :: v_dual_add_f32 v81, v145, v81
	s_delay_alu instid0(VALU_DEP_4) | instskip(SKIP_2) | instid1(VALU_DEP_4)
	v_dual_add_f32 v80, v146, v80 :: v_dual_add_f32 v93, v109, v93
	v_max_f32_e32 v45, v45, v45
	v_min_f32_e32 v33, v41, v33
	v_dual_add_f32 v85, v108, v85 :: v_dual_min_f32 v108, v2, v44
	v_min_f32_e32 v109, v36, v32
	v_dual_min_f32 v32, v40, v32 :: v_dual_add_f32 v79, v147, v79
	v_dual_add_f32 v78, v148, v78 :: v_dual_add_f32 v77, v149, v77
	v_add_f32_e32 v76, v150, v76
	v_dual_add_f32 v80, v202, v80 :: v_dual_add_f32 v81, v193, v81
	s_delay_alu instid0(VALU_DEP_4)
	v_dual_add_f32 v32, v32, v117 :: v_dual_add_f32 v33, v33, v86
	v_min_f32_e32 v110, v8, v44
	v_min_f32_e32 v86, v9, v45
	v_add_f32_e32 v89, v109, v89
	v_min_f32_e32 v109, v29, v45
	v_dual_add_f32 v75, v151, v75 :: v_dual_add_f32 v74, v152, v74
	v_dual_add_f32 v78, v203, v78 :: v_dual_add_f32 v79, v194, v79
	;; [unrolled: 1-line block ×3, first 2 shown]
	v_dual_add_f32 v83, v110, v83 :: v_dual_min_f32 v110, v12, v44
	v_add_f32_e32 v82, v86, v82
	v_min_f32_e32 v86, v13, v45
	v_add_f32_e32 v81, v108, v81
	v_min_f32_e32 v108, v16, v44
	v_dual_add_f32 v84, v109, v84 :: v_dual_min_f32 v109, v3, v45
	s_delay_alu instid0(VALU_DEP_4) | instskip(SKIP_2) | instid1(VALU_DEP_4)
	v_add_f32_e32 v78, v86, v78
	v_dual_add_f32 v74, v205, v74 :: v_dual_add_f32 v75, v196, v75
	v_dual_add_f32 v79, v110, v79 :: v_dual_min_f32 v86, v17, v45
	v_add_f32_e32 v80, v109, v80
	v_dual_min_f32 v109, v24, v44 :: v_dual_min_f32 v110, v25, v45
	s_delay_alu instid0(VALU_DEP_3) | instskip(NEXT) | instid1(VALU_DEP_2)
	v_dual_add_f32 v77, v108, v77 :: v_dual_add_f32 v76, v86, v76
	v_dual_min_f32 v108, v36, v44 :: v_dual_add_f32 v75, v109, v75
	s_waitcnt lgkmcnt(0)
	v_dual_min_f32 v44, v40, v44 :: v_dual_max_f32 v53, v53, v53
	v_max_f32_e32 v54, v54, v54
	v_min_f32_e32 v86, v37, v45
	v_min_f32_e32 v45, v41, v45
	v_dual_add_f32 v73, v153, v73 :: v_dual_add_f32 v72, v154, v72
	s_delay_alu instid0(VALU_DEP_4) | instskip(SKIP_1) | instid1(VALU_DEP_2)
	v_dual_min_f32 v3, v3, v54 :: v_dual_min_f32 v12, v12, v53
	v_dual_min_f32 v16, v16, v53 :: v_dual_min_f32 v25, v25, v54
	v_dual_min_f32 v24, v24, v53 :: v_dual_add_f32 v3, v3, v62
	s_delay_alu instid0(VALU_DEP_3) | instskip(SKIP_4) | instid1(VALU_DEP_4)
	v_dual_add_f32 v12, v12, v63 :: v_dual_min_f32 v37, v37, v54
	v_dual_min_f32 v36, v36, v53 :: v_dual_max_f32 v23, v23, v23
	v_dual_add_f32 v69, v156, v69 :: v_dual_add_f32 v68, v158, v68
	v_add_f32_e32 v72, v209, v72
	v_dual_add_f32 v25, v25, v131 :: v_dual_add_f32 v24, v24, v58
	v_dual_max_f32 v31, v31, v31 :: v_dual_add_f32 v6, v36, v6
	v_dual_add_f32 v36, v37, v57 :: v_dual_max_f32 v11, v11, v11
	v_dual_min_f32 v37, v40, v53 :: v_dual_max_f32 v22, v22, v22
	v_max_f32_e32 v30, v30, v30
	v_min_f32_e32 v40, v41, v54
	v_dual_add_f32 v73, v197, v73 :: v_dual_add_f32 v68, v211, v68
	v_add_f32_e32 v69, v210, v69
	v_dual_add_f32 v72, v86, v72 :: v_dual_min_f32 v29, v29, v54
	v_dual_min_f32 v28, v28, v53 :: v_dual_min_f32 v9, v9, v54
	v_min_f32_e32 v8, v8, v53
	v_dual_min_f32 v2, v2, v53 :: v_dual_min_f32 v13, v13, v54
	v_add_f32_e32 v7, v37, v7
	v_min_f32_e32 v37, v31, v23
	v_min_f32_e32 v53, v11, v23
	v_dual_min_f32 v41, v30, v22 :: v_dual_add_f32 v40, v40, v132
	v_dual_max_f32 v10, v10, v10 :: v_dual_max_f32 v5, v5, v5
	v_max_f32_e32 v4, v4, v4
	s_delay_alu instid0(VALU_DEP_3) | instskip(NEXT) | instid1(VALU_DEP_3)
	v_add_f32_e32 v117, v41, v88
	v_dual_add_f32 v116, v37, v87 :: v_dual_min_f32 v37, v10, v22
	v_dual_add_f32 v114, v53, v98 :: v_dual_max_f32 v15, v15, v15
	v_dual_min_f32 v41, v5, v23 :: v_dual_max_f32 v14, v14, v14
	s_delay_alu instid0(VALU_DEP_3) | instskip(NEXT) | instid1(VALU_DEP_2)
	v_dual_add_f32 v115, v37, v99 :: v_dual_max_f32 v18, v18, v18
	v_dual_min_f32 v37, v4, v22 :: v_dual_add_f32 v112, v41, v100
	s_delay_alu instid0(VALU_DEP_4) | instskip(SKIP_2) | instid1(VALU_DEP_4)
	v_dual_min_f32 v53, v15, v23 :: v_dual_max_f32 v26, v26, v26
	v_dual_max_f32 v19, v19, v19 :: v_dual_add_f32 v74, v110, v74
	v_add_f32_e32 v73, v108, v73
	v_dual_add_f32 v113, v37, v101 :: v_dual_max_f32 v38, v38, v38
	s_delay_alu instid0(VALU_DEP_3) | instskip(SKIP_2) | instid1(VALU_DEP_3)
	v_dual_add_f32 v110, v53, v102 :: v_dual_min_f32 v37, v19, v23
	v_min_f32_e32 v41, v14, v22
	v_dual_max_f32 v27, v27, v27 :: v_dual_max_f32 v34, v34, v34
	v_dual_max_f32 v43, v43, v43 :: v_dual_add_f32 v108, v37, v104
	v_max_f32_e32 v37, v39, v39
	s_delay_alu instid0(VALU_DEP_3)
	v_min_f32_e32 v39, v27, v23
	v_add_f32_e32 v111, v41, v103
	v_min_f32_e32 v41, v18, v22
	v_max_f32_e32 v35, v35, v35
	v_dual_add_f32 v71, v155, v71 :: v_dual_add_f32 v70, v157, v70
	v_add_f32_e32 v29, v29, v68
	s_delay_alu instid0(VALU_DEP_4) | instskip(SKIP_4) | instid1(VALU_DEP_3)
	v_add_f32_e32 v109, v41, v105
	v_min_f32_e32 v41, v37, v23
	v_min_f32_e32 v23, v43, v23
	v_dual_add_f32 v8, v8, v67 :: v_dual_add_f32 v9, v9, v66
	v_dual_add_f32 v71, v206, v71 :: v_dual_add_f32 v70, v207, v70
	v_add_f32_e32 v102, v23, v21
	v_dual_min_f32 v21, v11, v35 :: v_dual_add_f32 v104, v41, v133
	v_max_f32_e32 v41, v42, v42
	v_min_f32_e32 v42, v30, v34
	v_add_f32_e32 v106, v39, v106
	s_delay_alu instid0(VALU_DEP_4) | instskip(SKIP_4) | instid1(VALU_DEP_3)
	v_add_f32_e32 v98, v21, v138
	v_min_f32_e32 v21, v5, v35
	v_min_f32_e32 v39, v38, v22
	v_dual_add_f32 v28, v28, v70 :: v_dual_add_f32 v13, v13, v61
	v_dual_add_f32 v2, v2, v64 :: v_dual_min_f32 v17, v17, v54
	v_dual_add_f32 v96, v21, v96 :: v_dual_add_f32 v105, v39, v134
	v_min_f32_e32 v39, v31, v35
	v_min_f32_e32 v53, v26, v22
	;; [unrolled: 1-line block ×3, first 2 shown]
	v_dual_add_f32 v16, v16, v60 :: v_dual_add_f32 v17, v17, v59
	s_delay_alu instid0(VALU_DEP_3) | instskip(NEXT) | instid1(VALU_DEP_3)
	v_dual_add_f32 v100, v39, v136 :: v_dual_add_f32 v107, v53, v107
	v_add_f32_e32 v103, v22, v20
	v_min_f32_e32 v20, v10, v34
	v_min_f32_e32 v22, v4, v34
	v_dual_add_f32 v44, v44, v71 :: v_dual_add_f32 v45, v45, v69
	v_add_co_u32 v126, vcc_lo, v126, 32
	s_delay_alu instid0(VALU_DEP_4) | instskip(SKIP_2) | instid1(VALU_DEP_3)
	v_dual_add_f32 v99, v20, v137 :: v_dual_min_f32 v20, v14, v34
	v_add_co_ci_u32_e32 v127, vcc_lo, 0, v127, vcc_lo
	v_add_co_u32 v128, vcc_lo, v128, 32
	v_dual_add_f32 v95, v20, v95 :: v_dual_min_f32 v20, v18, v34
	v_min_f32_e32 v21, v19, v35
	v_add_co_ci_u32_e32 v129, vcc_lo, 0, v129, vcc_lo
	v_add_co_u32 v122, vcc_lo, v122, 32
	s_delay_alu instid0(VALU_DEP_3) | instskip(SKIP_3) | instid1(VALU_DEP_3)
	v_add_f32_e32 v92, v21, v92
	v_min_f32_e32 v21, v37, v35
	v_dual_add_f32 v93, v20, v93 :: v_dual_min_f32 v20, v38, v34
	v_add_co_ci_u32_e32 v123, vcc_lo, 0, v123, vcc_lo
	v_add_f32_e32 v88, v21, v139
	v_max_f32_e32 v21, v47, v47
	s_delay_alu instid0(VALU_DEP_4)
	v_add_f32_e32 v89, v20, v89
	s_add_i32 s11, s11, 8
	ds_store_b32 v120, v130
	ds_store_2addr_stride64_b32 v121, v0, v1 offset1:4
	s_cmp_ge_i32 s11, s10
	v_min_f32_e32 v20, v31, v21
	v_min_f32_e32 v23, v15, v35
	s_waitcnt lgkmcnt(0)
	s_barrier
	buffer_gl0_inv
	v_add_f32_e32 v84, v20, v84
	v_add_f32_e32 v94, v23, v94
	v_min_f32_e32 v23, v26, v34
	s_delay_alu instid0(VALU_DEP_1) | instskip(SKIP_1) | instid1(VALU_DEP_1)
	v_add_f32_e32 v91, v23, v91
	v_min_f32_e32 v23, v43, v35
	v_add_f32_e32 v86, v23, v33
	v_min_f32_e32 v23, v11, v21
	v_dual_add_f32 v97, v22, v97 :: v_dual_min_f32 v22, v27, v35
	v_dual_add_f32 v101, v42, v135 :: v_dual_min_f32 v34, v41, v34
	s_delay_alu instid0(VALU_DEP_2) | instskip(SKIP_1) | instid1(VALU_DEP_3)
	v_add_f32_e32 v90, v22, v90
	v_max_f32_e32 v22, v46, v46
	v_dual_add_f32 v87, v34, v32 :: v_dual_min_f32 v32, v5, v21
	s_delay_alu instid0(VALU_DEP_2) | instskip(NEXT) | instid1(VALU_DEP_2)
	v_min_f32_e32 v20, v10, v22
	v_add_f32_e32 v80, v32, v80
	v_min_f32_e32 v32, v18, v22
	v_min_f32_e32 v35, v30, v22
	s_delay_alu instid0(VALU_DEP_4) | instskip(NEXT) | instid1(VALU_DEP_3)
	v_dual_add_f32 v83, v20, v83 :: v_dual_min_f32 v20, v14, v22
	v_add_f32_e32 v77, v32, v77
	v_max_f32_e32 v32, v56, v56
	s_delay_alu instid0(VALU_DEP_3) | instskip(SKIP_1) | instid1(VALU_DEP_3)
	v_dual_add_f32 v79, v20, v79 :: v_dual_min_f32 v20, v27, v21
	v_add_f32_e32 v85, v35, v85
	v_min_f32_e32 v31, v31, v32
	s_delay_alu instid0(VALU_DEP_3) | instskip(SKIP_2) | instid1(VALU_DEP_4)
	v_dual_min_f32 v5, v5, v32 :: v_dual_add_f32 v74, v20, v74
	v_min_f32_e32 v20, v38, v22
	v_add_f32_e32 v82, v23, v82
	v_dual_min_f32 v23, v4, v22 :: v_dual_add_f32 v68, v31, v29
	s_delay_alu instid0(VALU_DEP_4) | instskip(NEXT) | instid1(VALU_DEP_2)
	v_dual_add_f32 v62, v5, v3 :: v_dual_min_f32 v3, v15, v32
	v_add_f32_e32 v81, v23, v81
	v_min_f32_e32 v23, v19, v21
	s_delay_alu instid0(VALU_DEP_3) | instskip(SKIP_1) | instid1(VALU_DEP_3)
	v_add_f32_e32 v61, v3, v13
	v_min_f32_e32 v3, v27, v32
	v_dual_add_f32 v76, v23, v76 :: v_dual_min_f32 v23, v37, v21
	s_delay_alu instid0(VALU_DEP_1) | instskip(SKIP_1) | instid1(VALU_DEP_4)
	v_add_f32_e32 v72, v23, v72
	v_max_f32_e32 v23, v55, v55
	v_add_f32_e32 v55, v3, v25
	v_min_f32_e32 v3, v37, v32
	s_delay_alu instid0(VALU_DEP_3) | instskip(NEXT) | instid1(VALU_DEP_2)
	v_min_f32_e32 v5, v18, v23
	v_add_f32_e32 v57, v3, v36
	s_delay_alu instid0(VALU_DEP_2) | instskip(SKIP_2) | instid1(VALU_DEP_3)
	v_dual_add_f32 v60, v5, v16 :: v_dual_min_f32 v33, v15, v21
	v_dual_add_f32 v73, v20, v73 :: v_dual_min_f32 v20, v30, v23
	v_dual_min_f32 v4, v4, v23 :: v_dual_min_f32 v21, v43, v21
	v_add_f32_e32 v78, v33, v78
	v_min_f32_e32 v33, v26, v22
	v_min_f32_e32 v22, v41, v22
	;; [unrolled: 1-line block ×3, first 2 shown]
	v_add_f32_e32 v64, v4, v2
	v_min_f32_e32 v2, v14, v23
	v_dual_add_f32 v75, v33, v75 :: v_dual_min_f32 v4, v19, v32
	v_add_f32_e32 v71, v22, v44
	v_dual_add_f32 v67, v10, v8 :: v_dual_min_f32 v8, v41, v23
	s_delay_alu instid0(VALU_DEP_4) | instskip(NEXT) | instid1(VALU_DEP_4)
	v_add_f32_e32 v63, v2, v12
	v_dual_add_f32 v59, v4, v17 :: v_dual_min_f32 v2, v26, v23
	v_dual_min_f32 v4, v38, v23 :: v_dual_min_f32 v11, v11, v32
	v_min_f32_e32 v5, v43, v32
	s_delay_alu instid0(VALU_DEP_3) | instskip(SKIP_1) | instid1(VALU_DEP_4)
	v_dual_add_f32 v69, v21, v45 :: v_dual_add_f32 v58, v2, v24
	v_add_f32_e32 v70, v20, v28
	v_add_f32_e32 v56, v4, v6
	s_delay_alu instid0(VALU_DEP_4)
	v_dual_add_f32 v66, v11, v9 :: v_dual_add_f32 v53, v5, v40
	v_add_f32_e32 v54, v8, v7
	s_cbranch_scc1 .LBB33_31
.LBB33_21:                              ; =>This Inner Loop Header: Depth=1
	v_mov_b32_e32 v130, 0
	s_and_b32 vcc_lo, exec_lo, s3
	s_cbranch_vccnz .LBB33_23
; %bb.22:                               ;   in Loop: Header=BB33_21 Depth=1
	v_add_co_u32 v0, vcc_lo, v122, v52
	v_add_co_ci_u32_e32 v1, vcc_lo, 0, v123, vcc_lo
	flat_load_b32 v0, v[0:1] offset:32
	s_waitcnt vmcnt(0) lgkmcnt(0)
	v_mul_f32_e32 v130, s22, v0
.LBB33_23:                              ;   in Loop: Header=BB33_21 Depth=1
	s_and_b32 vcc_lo, exec_lo, s3
	s_cbranch_vccnz .LBB33_25
; %bb.24:                               ;   in Loop: Header=BB33_21 Depth=1
	v_add_co_u32 v0, vcc_lo, v128, v52
	v_add_co_ci_u32_e32 v1, vcc_lo, 0, v129, vcc_lo
	v_add_co_u32 v2, vcc_lo, v126, v52
	v_add_co_ci_u32_e32 v3, vcc_lo, 0, v127, vcc_lo
	flat_load_b32 v0, v[0:1] offset:32
	flat_load_b32 v1, v[2:3] offset:32
	s_waitcnt vmcnt(0) lgkmcnt(0)
	v_dual_mul_f32 v131, s22, v0 :: v_dual_mul_f32 v132, s22, v1
	s_branch .LBB33_26
.LBB33_25:                              ;   in Loop: Header=BB33_21 Depth=1
	v_dual_mov_b32 v131, 0 :: v_dual_mov_b32 v132, 0
.LBB33_26:                              ;   in Loop: Header=BB33_21 Depth=1
	ds_load_b128 v[40:43], v124
	ds_load_b128 v[36:39], v124 offset:128
	ds_load_b128 v[32:35], v124 offset:256
	;; [unrolled: 1-line block ×7, first 2 shown]
	ds_load_b128 v[44:47], v125
	ds_load_b128 v[8:11], v125 offset:512
	ds_load_b128 v[4:7], v125 offset:1024
	;; [unrolled: 1-line block ×3, first 2 shown]
	s_and_b32 vcc_lo, exec_lo, s3
	ds_store_b32 v118, v130
	ds_store_2addr_stride64_b32 v65, v131, v132 offset1:4
	s_waitcnt lgkmcnt(0)
	s_barrier
	buffer_gl0_inv
	s_cbranch_vccnz .LBB33_28
; %bb.27:                               ;   in Loop: Header=BB33_21 Depth=1
	v_add_co_u32 v130, vcc_lo, v122, v52
	v_add_co_ci_u32_e32 v131, vcc_lo, 0, v123, vcc_lo
	flat_load_b32 v130, v[130:131] offset:48
	s_waitcnt vmcnt(0) lgkmcnt(0)
	v_mul_f32_e32 v130, s22, v130
	s_branch .LBB33_29
.LBB33_28:                              ;   in Loop: Header=BB33_21 Depth=1
	v_mov_b32_e32 v130, 0
.LBB33_29:                              ;   in Loop: Header=BB33_21 Depth=1
	v_dual_max_f32 v44, v44, v44 :: v_dual_max_f32 v45, v45, v45
	v_dual_max_f32 v157, v40, v40 :: v_dual_max_f32 v158, v41, v41
	v_max_f32_e32 v159, v36, v36
	v_dual_max_f32 v165, v24, v24 :: v_dual_max_f32 v166, v25, v25
	v_max_f32_e32 v169, v16, v16
	v_dual_max_f32 v155, v4, v4 :: v_dual_max_f32 v156, v5, v5
	s_delay_alu instid0(VALU_DEP_4)
	v_dual_min_f32 v40, v158, v45 :: v_dual_min_f32 v41, v159, v44
	v_dual_max_f32 v160, v37, v37 :: v_dual_max_f32 v161, v32, v32
	v_dual_max_f32 v162, v33, v33 :: v_dual_max_f32 v163, v28, v28
	;; [unrolled: 1-line block ×3, first 2 shown]
	v_max_f32_e32 v168, v21, v21
	v_min_f32_e32 v20, v166, v45
	v_dual_max_f32 v170, v17, v17 :: v_dual_max_f32 v171, v12, v12
	v_max_f32_e32 v172, v13, v13
	v_dual_max_f32 v140, v8, v8 :: v_dual_max_f32 v141, v9, v9
	v_dual_min_f32 v153, v169, v155 :: v_dual_max_f32 v0, v0, v0
	v_dual_min_f32 v36, v157, v44 :: v_dual_min_f32 v37, v164, v45
	v_dual_min_f32 v28, v160, v45 :: v_dual_min_f32 v29, v161, v44
	;; [unrolled: 1-line block ×7, first 2 shown]
	v_min_f32_e32 v13, v157, v140
	v_dual_min_f32 v44, v159, v140 :: v_dual_min_f32 v45, v160, v141
	v_dual_min_f32 v131, v161, v140 :: v_dual_min_f32 v132, v162, v141
	;; [unrolled: 1-line block ×13, first 2 shown]
	v_dual_max_f32 v1, v1, v1 :: v_dual_min_f32 v154, v170, v156
	v_min_f32_e32 v157, v157, v0
	v_min_f32_e32 v159, v159, v0
	s_delay_alu instid0(VALU_DEP_3)
	v_dual_min_f32 v161, v161, v0 :: v_dual_min_f32 v162, v162, v1
	v_dual_min_f32 v163, v163, v0 :: v_dual_min_f32 v164, v164, v1
	;; [unrolled: 1-line block ×5, first 2 shown]
	v_dual_max_f32 v174, v46, v46 :: v_dual_max_f32 v175, v47, v47
	v_dual_max_f32 v207, v42, v42 :: v_dual_max_f32 v208, v43, v43
	v_dual_max_f32 v212, v38, v38 :: v_dual_min_f32 v43, v171, v0
	v_dual_max_f32 v0, v39, v39 :: v_dual_max_f32 v213, v30, v30
	v_dual_min_f32 v155, v171, v155 :: v_dual_min_f32 v156, v172, v156
	v_min_f32_e32 v158, v158, v1
	v_min_f32_e32 v160, v160, v1
	v_dual_min_f32 v46, v172, v1 :: v_dual_max_f32 v1, v34, v34
	v_dual_min_f32 v42, v212, v174 :: v_dual_max_f32 v171, v35, v35
	v_dual_max_f32 v214, v31, v31 :: v_dual_min_f32 v31, v213, v174
	v_dual_min_f32 v34, v0, v175 :: v_dual_max_f32 v215, v26, v26
	v_dual_max_f32 v216, v27, v27 :: v_dual_max_f32 v217, v22, v22
	v_dual_max_f32 v218, v23, v23 :: v_dual_max_f32 v219, v18, v18
	;; [unrolled: 1-line block ×6, first 2 shown]
	v_max_f32_e32 v223, v3, v3
	v_dual_min_f32 v38, v207, v174 :: v_dual_min_f32 v47, v208, v175
	v_dual_min_f32 v30, v1, v174 :: v_dual_min_f32 v35, v171, v175
	v_dual_min_f32 v39, v214, v175 :: v_dual_min_f32 v18, v215, v174
	v_dual_min_f32 v172, v216, v175 :: v_dual_min_f32 v23, v219, v174
	v_dual_min_f32 v22, v217, v174 :: v_dual_min_f32 v173, v218, v175
	v_dual_min_f32 v182, v19, v175 :: v_dual_min_f32 v177, v1, v10
	v_dual_min_f32 v174, v220, v174 :: v_dual_min_f32 v183, v221, v175
	v_min_f32_e32 v176, v212, v10
	v_dual_min_f32 v175, v207, v10 :: v_dual_min_f32 v184, v208, v11
	v_dual_min_f32 v185, v0, v11 :: v_dual_min_f32 v178, v213, v10
	v_dual_min_f32 v186, v171, v11 :: v_dual_min_f32 v193, v1, v6
	v_dual_min_f32 v187, v214, v11 :: v_dual_min_f32 v180, v217, v10
	v_dual_min_f32 v179, v215, v10 :: v_dual_min_f32 v188, v216, v11
	v_dual_min_f32 v189, v218, v11 :: v_dual_min_f32 v190, v220, v10
	v_dual_min_f32 v181, v219, v10 :: v_dual_min_f32 v200, v208, v7
	v_min_f32_e32 v198, v19, v11
	;; [unrolled: 8-line block ×3, first 2 shown]
	v_min_f32_e32 v209, v19, v7
	v_dual_min_f32 v207, v207, v222 :: v_dual_min_f32 v14, v218, v223
	v_dual_min_f32 v211, v208, v223 :: v_dual_min_f32 v10, v1, v222
	v_min_f32_e32 v208, v212, v222
	v_min_f32_e32 v212, v0, v223
	v_dual_min_f32 v26, v171, v223 :: v_dual_min_f32 v7, v220, v222
	v_min_f32_e32 v11, v213, v222
	v_dual_min_f32 v27, v214, v223 :: v_dual_min_f32 v2, v215, v222
	v_dual_min_f32 v171, v216, v223 :: v_dual_min_f32 v6, v219, v222
	v_min_f32_e32 v15, v19, v223
	v_min_f32_e32 v19, v221, v223
	s_and_b32 vcc_lo, exec_lo, s3
	s_cbranch_vccz .LBB33_19
; %bb.30:                               ;   in Loop: Header=BB33_21 Depth=1
	v_dual_mov_b32 v0, 0 :: v_dual_mov_b32 v1, 0
	s_branch .LBB33_20
.LBB33_31:
	s_load_b32 s10, s[0:1], 0x58
	v_dual_mov_b32 v52, 0 :: v_dual_add_nc_u32 v49, s9, v49
	ds_load_b128 v[0:3], v51 offset:5120
	ds_load_b128 v[40:43], v50 offset:2048
	v_dual_mov_b32 v65, 0 :: v_dual_add_nc_u32 v46, s8, v48
	v_cmp_neq_f32_e64 s11, s15, 0
	s_delay_alu instid0(VALU_DEP_2) | instskip(NEXT) | instid1(VALU_DEP_2)
	v_ashrrev_i32_e32 v47, 31, v46
	s_and_b32 vcc_lo, exec_lo, s11
	s_delay_alu instid0(VALU_DEP_1) | instskip(SKIP_2) | instid1(VALU_DEP_1)
	v_lshlrev_b64 v[44:45], 2, v[46:47]
	s_waitcnt lgkmcnt(0)
	v_mad_i64_i32 v[4:5], null, v49, s10, 0
	v_lshlrev_b64 v[4:5], 2, v[4:5]
	s_delay_alu instid0(VALU_DEP_1) | instskip(NEXT) | instid1(VALU_DEP_1)
	v_add_co_u32 v118, s3, s4, v4
	v_add_co_ci_u32_e64 v119, s3, s5, v5, s3
	s_cbranch_vccz .LBB33_33
; %bb.32:
	s_delay_alu instid0(VALU_DEP_2) | instskip(NEXT) | instid1(VALU_DEP_2)
	v_add_co_u32 v4, vcc_lo, v118, v44
	v_add_co_ci_u32_e32 v5, vcc_lo, v119, v45, vcc_lo
	flat_load_b32 v4, v[4:5]
	s_waitcnt vmcnt(0) lgkmcnt(0)
	v_mul_f32_e32 v65, s15, v4
.LBB33_33:
	ds_load_b128 v[36:39], v51 offset:5248
	ds_load_b128 v[32:35], v51 offset:5376
	;; [unrolled: 1-line block ×4, first 2 shown]
	s_clause 0x1
	s_load_b32 s3, s[0:1], 0x70
	s_load_b64 s[0:1], s[0:1], 0x78
	v_dual_max_f32 v120, v40, v40 :: v_dual_max_f32 v121, v41, v41
	v_dual_max_f32 v47, v0, v0 :: v_dual_max_f32 v48, v1, v1
	ds_load_b128 v[20:23], v51 offset:5760
	ds_load_b128 v[16:19], v51 offset:5888
	;; [unrolled: 1-line block ×5, first 2 shown]
	v_dual_min_f32 v0, v47, v120 :: v_dual_min_f32 v1, v48, v121
	v_max_f32_e32 v122, v43, v43
	v_max_f32_e32 v43, v3, v3
	v_cndmask_b32_e64 v125, 0, 1, s11
	s_delay_alu instid0(VALU_DEP_4)
	v_add_f32_e32 v51, v0, v117
	v_dual_max_f32 v117, v42, v42 :: v_dual_add_f32 v116, v1, v116
	v_max_f32_e32 v42, v2, v2
	v_min_f32_e32 v123, v43, v122
	ds_load_b128 v[0:3], v50 offset:3584
	s_waitcnt lgkmcnt(0)
	v_mad_i64_i32 v[40:41], null, v49, s3, 0
	v_min_f32_e32 v124, v42, v117
	v_add_f32_e32 v116, v123, v116
	s_lshl_b64 s[8:9], s[0:1], 2
	v_cmp_ne_u32_e64 s0, 1, v125
	s_add_u32 s1, s6, s8
	v_add_f32_e32 v123, v124, v51
	v_lshlrev_b64 v[40:41], 2, v[40:41]
	s_addc_u32 s6, s7, s9
	s_delay_alu instid0(VALU_DEP_2) | instskip(SKIP_1) | instid1(VALU_DEP_3)
	v_add_f32_e32 v124, v123, v116
	v_add_nc_u32_e32 v50, 8, v46
	v_add_co_u32 v116, vcc_lo, s1, v40
	s_delay_alu instid0(VALU_DEP_4) | instskip(NEXT) | instid1(VALU_DEP_4)
	v_add_co_ci_u32_e32 v123, vcc_lo, s6, v41, vcc_lo
	v_add_f32_e32 v65, v124, v65
	s_delay_alu instid0(VALU_DEP_4) | instskip(NEXT) | instid1(VALU_DEP_4)
	v_ashrrev_i32_e32 v51, 31, v50
	v_add_co_u32 v124, vcc_lo, v116, v44
	s_delay_alu instid0(VALU_DEP_4) | instskip(NEXT) | instid1(VALU_DEP_3)
	v_add_co_ci_u32_e32 v125, vcc_lo, v123, v45, vcc_lo
	v_lshlrev_b64 v[40:41], 2, v[50:51]
	s_and_not1_b32 vcc_lo, exec_lo, s11
	global_store_b32 v[124:125], v65, off
	s_cbranch_vccnz .LBB33_35
; %bb.34:
	v_add_co_u32 v50, vcc_lo, v118, v40
	v_add_co_ci_u32_e32 v51, vcc_lo, v119, v41, vcc_lo
	flat_load_b32 v50, v[50:51]
	s_waitcnt vmcnt(0) lgkmcnt(0)
	v_mul_f32_e32 v52, s15, v50
.LBB33_35:
	v_dual_max_f32 v51, v37, v37 :: v_dual_max_f32 v50, v36, v36
	v_dual_max_f32 v38, v38, v38 :: v_dual_max_f32 v39, v39, v39
	s_delay_alu instid0(VALU_DEP_2) | instskip(NEXT) | instid1(VALU_DEP_2)
	v_dual_min_f32 v36, v51, v121 :: v_dual_min_f32 v37, v50, v120
	v_dual_min_f32 v65, v38, v117 :: v_dual_min_f32 v124, v39, v122
	s_delay_alu instid0(VALU_DEP_2) | instskip(SKIP_1) | instid1(VALU_DEP_2)
	v_dual_add_f32 v114, v36, v114 :: v_dual_add_f32 v37, v37, v115
	v_dual_mov_b32 v115, 0 :: v_dual_add_nc_u32 v36, 16, v46
	v_dual_add_f32 v114, v124, v114 :: v_dual_add_f32 v65, v65, v37
	s_delay_alu instid0(VALU_DEP_2) | instskip(SKIP_2) | instid1(VALU_DEP_4)
	v_ashrrev_i32_e32 v37, 31, v36
	v_add_co_u32 v124, vcc_lo, v116, v40
	v_add_co_ci_u32_e32 v125, vcc_lo, v123, v41, vcc_lo
	v_dual_add_f32 v65, v65, v114 :: v_dual_mov_b32 v114, 0
	s_delay_alu instid0(VALU_DEP_4) | instskip(SKIP_1) | instid1(VALU_DEP_2)
	v_lshlrev_b64 v[36:37], 2, v[36:37]
	s_and_b32 vcc_lo, exec_lo, s0
	v_add_f32_e32 v52, v65, v52
	global_store_b32 v[124:125], v52, off
	s_cbranch_vccnz .LBB33_37
; %bb.36:
	v_add_co_u32 v124, vcc_lo, v118, v36
	v_add_co_ci_u32_e32 v125, vcc_lo, v119, v37, vcc_lo
	flat_load_b32 v52, v[124:125]
	s_waitcnt vmcnt(0) lgkmcnt(0)
	v_mul_f32_e32 v115, s15, v52
.LBB33_37:
	v_dual_max_f32 v65, v33, v33 :: v_dual_max_f32 v52, v32, v32
	v_dual_max_f32 v34, v34, v34 :: v_dual_max_f32 v35, v35, v35
	s_delay_alu instid0(VALU_DEP_2) | instskip(NEXT) | instid1(VALU_DEP_2)
	v_dual_min_f32 v32, v65, v121 :: v_dual_min_f32 v33, v52, v120
	v_dual_min_f32 v124, v34, v117 :: v_dual_min_f32 v125, v35, v122
	s_delay_alu instid0(VALU_DEP_2) | instskip(SKIP_1) | instid1(VALU_DEP_2)
	v_dual_add_f32 v112, v32, v112 :: v_dual_add_f32 v33, v33, v113
	v_add_nc_u32_e32 v32, 24, v46
	v_dual_add_f32 v112, v125, v112 :: v_dual_add_f32 v113, v124, v33
	s_delay_alu instid0(VALU_DEP_2) | instskip(NEXT) | instid1(VALU_DEP_2)
	v_ashrrev_i32_e32 v33, 31, v32
	v_add_f32_e32 v124, v113, v112
	v_add_co_u32 v112, vcc_lo, v116, v36
	s_delay_alu instid0(VALU_DEP_3) | instskip(SKIP_1) | instid1(VALU_DEP_4)
	v_lshlrev_b64 v[32:33], 2, v[32:33]
	v_add_co_ci_u32_e32 v113, vcc_lo, v123, v37, vcc_lo
	v_add_f32_e32 v115, v124, v115
	s_and_b32 vcc_lo, exec_lo, s0
	global_store_b32 v[112:113], v115, off
	s_cbranch_vccnz .LBB33_39
; %bb.38:
	v_add_co_u32 v112, vcc_lo, v118, v32
	v_add_co_ci_u32_e32 v113, vcc_lo, v119, v33, vcc_lo
	flat_load_b32 v112, v[112:113]
	s_waitcnt vmcnt(0) lgkmcnt(0)
	v_mul_f32_e32 v114, s15, v112
.LBB33_39:
	v_dual_max_f32 v113, v29, v29 :: v_dual_max_f32 v112, v28, v28
	v_dual_max_f32 v30, v30, v30 :: v_dual_max_f32 v31, v31, v31
	s_delay_alu instid0(VALU_DEP_2) | instskip(NEXT) | instid1(VALU_DEP_2)
	v_dual_min_f32 v28, v113, v121 :: v_dual_min_f32 v29, v112, v120
	v_dual_min_f32 v115, v30, v117 :: v_dual_min_f32 v124, v31, v122
	s_delay_alu instid0(VALU_DEP_2) | instskip(SKIP_1) | instid1(VALU_DEP_2)
	v_dual_add_f32 v110, v28, v110 :: v_dual_add_f32 v29, v29, v111
	v_add_nc_u32_e32 v28, 32, v46
	v_dual_add_f32 v110, v124, v110 :: v_dual_add_f32 v111, v115, v29
	v_mov_b32_e32 v115, 0
	s_delay_alu instid0(VALU_DEP_3) | instskip(NEXT) | instid1(VALU_DEP_3)
	v_ashrrev_i32_e32 v29, 31, v28
	v_add_f32_e32 v124, v111, v110
	v_add_co_u32 v110, vcc_lo, v116, v32
	s_delay_alu instid0(VALU_DEP_3) | instskip(SKIP_1) | instid1(VALU_DEP_4)
	v_lshlrev_b64 v[28:29], 2, v[28:29]
	v_add_co_ci_u32_e32 v111, vcc_lo, v123, v33, vcc_lo
	v_add_f32_e32 v124, v124, v114
	v_mov_b32_e32 v114, 0
	s_and_b32 vcc_lo, exec_lo, s0
	global_store_b32 v[110:111], v124, off
	s_cbranch_vccnz .LBB33_41
; %bb.40:
	v_add_co_u32 v110, vcc_lo, v118, v28
	v_add_co_ci_u32_e32 v111, vcc_lo, v119, v29, vcc_lo
	flat_load_b32 v110, v[110:111]
	s_waitcnt vmcnt(0) lgkmcnt(0)
	v_mul_f32_e32 v114, s15, v110
.LBB33_41:
	v_dual_max_f32 v111, v25, v25 :: v_dual_max_f32 v110, v24, v24
	v_dual_max_f32 v26, v26, v26 :: v_dual_max_f32 v27, v27, v27
	s_delay_alu instid0(VALU_DEP_2) | instskip(NEXT) | instid1(VALU_DEP_2)
	v_dual_min_f32 v24, v111, v121 :: v_dual_min_f32 v25, v110, v120
	v_dual_min_f32 v124, v26, v117 :: v_dual_min_f32 v125, v27, v122
	s_delay_alu instid0(VALU_DEP_2) | instskip(SKIP_1) | instid1(VALU_DEP_2)
	v_dual_add_f32 v108, v24, v108 :: v_dual_add_f32 v25, v25, v109
	v_add_nc_u32_e32 v24, 40, v46
	v_dual_add_f32 v108, v125, v108 :: v_dual_add_f32 v109, v124, v25
	s_delay_alu instid0(VALU_DEP_2) | instskip(NEXT) | instid1(VALU_DEP_2)
	v_ashrrev_i32_e32 v25, 31, v24
	v_add_f32_e32 v124, v109, v108
	v_add_co_u32 v108, vcc_lo, v116, v28
	s_delay_alu instid0(VALU_DEP_3) | instskip(SKIP_1) | instid1(VALU_DEP_4)
	v_lshlrev_b64 v[24:25], 2, v[24:25]
	v_add_co_ci_u32_e32 v109, vcc_lo, v123, v29, vcc_lo
	v_add_f32_e32 v114, v124, v114
	s_and_b32 vcc_lo, exec_lo, s0
	global_store_b32 v[108:109], v114, off
	s_cbranch_vccnz .LBB33_43
; %bb.42:
	v_add_co_u32 v108, vcc_lo, v118, v24
	v_add_co_ci_u32_e32 v109, vcc_lo, v119, v25, vcc_lo
	flat_load_b32 v108, v[108:109]
	s_waitcnt vmcnt(0) lgkmcnt(0)
	v_mul_f32_e32 v115, s15, v108
.LBB33_43:
	v_dual_max_f32 v109, v21, v21 :: v_dual_max_f32 v108, v20, v20
	v_dual_max_f32 v22, v22, v22 :: v_dual_max_f32 v23, v23, v23
	s_delay_alu instid0(VALU_DEP_2) | instskip(NEXT) | instid1(VALU_DEP_2)
	v_dual_min_f32 v20, v109, v121 :: v_dual_min_f32 v21, v108, v120
	v_min_f32_e32 v114, v22, v117
	s_delay_alu instid0(VALU_DEP_2) | instskip(NEXT) | instid1(VALU_DEP_4)
	v_dual_add_f32 v106, v20, v106 :: v_dual_add_f32 v21, v21, v107
	v_min_f32_e32 v124, v23, v122
	s_delay_alu instid0(VALU_DEP_2) | instskip(NEXT) | instid1(VALU_DEP_2)
	v_dual_add_f32 v107, v114, v21 :: v_dual_add_nc_u32 v20, 48, v46
	v_add_f32_e32 v106, v124, v106
	s_delay_alu instid0(VALU_DEP_2) | instskip(SKIP_1) | instid1(VALU_DEP_3)
	v_ashrrev_i32_e32 v21, 31, v20
	v_mov_b32_e32 v114, 0
	v_add_f32_e32 v124, v107, v106
	v_add_co_u32 v106, vcc_lo, v116, v24
	s_delay_alu instid0(VALU_DEP_4) | instskip(SKIP_1) | instid1(VALU_DEP_4)
	v_lshlrev_b64 v[20:21], 2, v[20:21]
	v_add_co_ci_u32_e32 v107, vcc_lo, v123, v25, vcc_lo
	v_dual_add_f32 v124, v124, v115 :: v_dual_mov_b32 v115, 0
	s_and_b32 vcc_lo, exec_lo, s0
	global_store_b32 v[106:107], v124, off
	s_cbranch_vccnz .LBB33_45
; %bb.44:
	v_add_co_u32 v106, vcc_lo, v118, v20
	v_add_co_ci_u32_e32 v107, vcc_lo, v119, v21, vcc_lo
	flat_load_b32 v106, v[106:107]
	s_waitcnt vmcnt(0) lgkmcnt(0)
	v_mul_f32_e32 v115, s15, v106
.LBB33_45:
	v_dual_max_f32 v107, v17, v17 :: v_dual_max_f32 v106, v16, v16
	v_dual_max_f32 v18, v18, v18 :: v_dual_max_f32 v19, v19, v19
	s_delay_alu instid0(VALU_DEP_2) | instskip(NEXT) | instid1(VALU_DEP_2)
	v_dual_min_f32 v16, v107, v121 :: v_dual_min_f32 v17, v106, v120
	v_dual_min_f32 v124, v18, v117 :: v_dual_min_f32 v125, v19, v122
	s_delay_alu instid0(VALU_DEP_2) | instskip(SKIP_1) | instid1(VALU_DEP_2)
	v_dual_add_f32 v104, v16, v104 :: v_dual_add_f32 v17, v17, v105
	v_add_nc_u32_e32 v16, 56, v46
	v_add_f32_e32 v46, v125, v104
	s_delay_alu instid0(VALU_DEP_3) | instskip(NEXT) | instid1(VALU_DEP_3)
	v_add_f32_e32 v104, v124, v17
	v_ashrrev_i32_e32 v17, 31, v16
	s_delay_alu instid0(VALU_DEP_2) | instskip(SKIP_1) | instid1(VALU_DEP_3)
	v_add_f32_e32 v46, v104, v46
	v_add_co_u32 v104, vcc_lo, v116, v20
	v_lshlrev_b64 v[16:17], 2, v[16:17]
	v_add_co_ci_u32_e32 v105, vcc_lo, v123, v21, vcc_lo
	s_delay_alu instid0(VALU_DEP_4)
	v_add_f32_e32 v46, v46, v115
	s_and_b32 vcc_lo, exec_lo, s0
	global_store_b32 v[104:105], v46, off
	s_cbranch_vccnz .LBB33_47
; %bb.46:
	v_add_co_u32 v104, vcc_lo, v118, v16
	v_add_co_ci_u32_e32 v105, vcc_lo, v119, v17, vcc_lo
	flat_load_b32 v46, v[104:105]
	s_waitcnt vmcnt(0) lgkmcnt(0)
	v_mul_f32_e32 v114, s15, v46
.LBB33_47:
	v_dual_max_f32 v12, v12, v12 :: v_dual_max_f32 v13, v13, v13
	v_dual_max_f32 v14, v14, v14 :: v_dual_add_nc_u32 v115, 32, v49
	s_delay_alu instid0(VALU_DEP_2) | instskip(NEXT) | instid1(VALU_DEP_3)
	v_dual_max_f32 v15, v15, v15 :: v_dual_min_f32 v46, v12, v120
	v_min_f32_e32 v118, v13, v121
	s_delay_alu instid0(VALU_DEP_3) | instskip(NEXT) | instid1(VALU_DEP_3)
	v_mad_i64_i32 v[104:105], null, v115, s10, 0
	v_min_f32_e32 v119, v15, v122
	s_delay_alu instid0(VALU_DEP_3) | instskip(SKIP_3) | instid1(VALU_DEP_4)
	v_add_f32_e32 v118, v118, v102
	v_min_f32_e32 v117, v14, v117
	v_add_f32_e32 v46, v46, v103
	v_lshlrev_b64 v[102:103], 2, v[104:105]
	v_add_f32_e32 v118, v119, v118
	s_delay_alu instid0(VALU_DEP_3) | instskip(SKIP_2) | instid1(VALU_DEP_3)
	v_add_f32_e32 v46, v117, v46
	v_add_co_u32 v104, vcc_lo, v116, v16
	v_add_co_ci_u32_e32 v105, vcc_lo, v123, v17, vcc_lo
	v_add_f32_e32 v116, v46, v118
	v_add_co_u32 v46, vcc_lo, s4, v102
	v_add_co_ci_u32_e32 v102, vcc_lo, s5, v103, vcc_lo
	s_delay_alu instid0(VALU_DEP_3)
	v_dual_add_f32 v103, v116, v114 :: v_dual_mov_b32 v114, 0
	v_mov_b32_e32 v116, 0
	s_and_b32 vcc_lo, exec_lo, s0
	global_store_b32 v[104:105], v103, off
	s_cbranch_vccnz .LBB33_49
; %bb.48:
	v_add_co_u32 v103, vcc_lo, v46, v44
	v_add_co_ci_u32_e32 v104, vcc_lo, v102, v45, vcc_lo
	flat_load_b32 v103, v[103:104]
	s_waitcnt vmcnt(0) lgkmcnt(0)
	v_mul_f32_e32 v116, s15, v103
.LBB33_49:
	v_dual_max_f32 v103, v8, v8 :: v_dual_max_f32 v104, v9, v9
	v_dual_max_f32 v105, v10, v10 :: v_dual_max_f32 v8, v11, v11
	v_mad_i64_i32 v[9:10], null, v115, s3, 0
	s_delay_alu instid0(VALU_DEP_3) | instskip(NEXT) | instid1(VALU_DEP_4)
	v_min_f32_e32 v117, v48, v104
	v_min_f32_e32 v11, v47, v103
	s_delay_alu instid0(VALU_DEP_4) | instskip(NEXT) | instid1(VALU_DEP_2)
	v_dual_min_f32 v115, v42, v105 :: v_dual_min_f32 v118, v43, v8
	v_dual_add_f32 v100, v117, v100 :: v_dual_add_f32 v11, v11, v101
	v_lshlrev_b64 v[9:10], 2, v[9:10]
	s_delay_alu instid0(VALU_DEP_2) | instskip(NEXT) | instid1(VALU_DEP_2)
	v_dual_add_f32 v100, v118, v100 :: v_dual_add_f32 v11, v115, v11
	v_add_co_u32 v9, vcc_lo, s1, v9
	s_delay_alu instid0(VALU_DEP_3) | instskip(NEXT) | instid1(VALU_DEP_3)
	v_add_co_ci_u32_e32 v10, vcc_lo, s6, v10, vcc_lo
	v_add_f32_e32 v11, v11, v100
	s_delay_alu instid0(VALU_DEP_3) | instskip(NEXT) | instid1(VALU_DEP_3)
	v_add_co_u32 v100, vcc_lo, v9, v44
	v_add_co_ci_u32_e32 v101, vcc_lo, v10, v45, vcc_lo
	s_delay_alu instid0(VALU_DEP_3)
	v_add_f32_e32 v11, v11, v116
	s_and_b32 vcc_lo, exec_lo, s0
	global_store_b32 v[100:101], v11, off
	s_cbranch_vccnz .LBB33_51
; %bb.50:
	v_add_co_u32 v100, vcc_lo, v46, v40
	v_add_co_ci_u32_e32 v101, vcc_lo, v102, v41, vcc_lo
	flat_load_b32 v11, v[100:101]
	s_waitcnt vmcnt(0) lgkmcnt(0)
	v_mul_f32_e32 v114, s15, v11
.LBB33_51:
	v_dual_min_f32 v11, v51, v104 :: v_dual_min_f32 v100, v50, v103
	v_min_f32_e32 v101, v38, v105
	s_delay_alu instid0(VALU_DEP_2) | instskip(SKIP_3) | instid1(VALU_DEP_3)
	v_dual_add_f32 v11, v11, v98 :: v_dual_add_f32 v98, v100, v99
	v_min_f32_e32 v115, v39, v8
	v_add_co_u32 v99, vcc_lo, v9, v40
	v_add_co_ci_u32_e32 v100, vcc_lo, v10, v41, vcc_lo
	v_dual_add_f32 v98, v101, v98 :: v_dual_add_f32 v11, v115, v11
	s_and_b32 vcc_lo, exec_lo, s0
	s_delay_alu instid0(VALU_DEP_1) | instskip(NEXT) | instid1(VALU_DEP_1)
	v_dual_add_f32 v11, v98, v11 :: v_dual_mov_b32 v98, 0
	v_add_f32_e32 v101, v11, v114
	v_mov_b32_e32 v11, 0
	global_store_b32 v[99:100], v101, off
	s_cbranch_vccnz .LBB33_53
; %bb.52:
	v_add_co_u32 v98, vcc_lo, v46, v36
	v_add_co_ci_u32_e32 v99, vcc_lo, v102, v37, vcc_lo
	flat_load_b32 v98, v[98:99]
	s_waitcnt vmcnt(0) lgkmcnt(0)
	v_mul_f32_e32 v98, s15, v98
.LBB33_53:
	v_dual_min_f32 v99, v65, v104 :: v_dual_min_f32 v100, v52, v103
	v_dual_min_f32 v101, v34, v105 :: v_dual_min_f32 v114, v35, v8
	s_delay_alu instid0(VALU_DEP_2) | instskip(NEXT) | instid1(VALU_DEP_1)
	v_dual_add_f32 v96, v99, v96 :: v_dual_add_f32 v97, v100, v97
	v_dual_add_f32 v96, v114, v96 :: v_dual_add_f32 v97, v101, v97
	s_delay_alu instid0(VALU_DEP_1) | instskip(NEXT) | instid1(VALU_DEP_1)
	v_add_f32_e32 v96, v97, v96
	v_add_f32_e32 v98, v96, v98
	v_add_co_u32 v96, vcc_lo, v9, v36
	v_add_co_ci_u32_e32 v97, vcc_lo, v10, v37, vcc_lo
	s_and_b32 vcc_lo, exec_lo, s0
	global_store_b32 v[96:97], v98, off
	s_cbranch_vccnz .LBB33_55
; %bb.54:
	v_add_co_u32 v96, vcc_lo, v46, v32
	v_add_co_ci_u32_e32 v97, vcc_lo, v102, v33, vcc_lo
	flat_load_b32 v11, v[96:97]
	s_waitcnt vmcnt(0) lgkmcnt(0)
	v_mul_f32_e32 v11, s15, v11
.LBB33_55:
	v_dual_min_f32 v96, v113, v104 :: v_dual_min_f32 v97, v112, v103
	v_dual_min_f32 v98, v30, v105 :: v_dual_min_f32 v99, v31, v8
	s_delay_alu instid0(VALU_DEP_2) | instskip(NEXT) | instid1(VALU_DEP_1)
	v_dual_add_f32 v94, v96, v94 :: v_dual_add_f32 v95, v97, v95
	v_dual_add_f32 v94, v99, v94 :: v_dual_add_f32 v95, v98, v95
	s_delay_alu instid0(VALU_DEP_1) | instskip(SKIP_2) | instid1(VALU_DEP_3)
	v_add_f32_e32 v94, v95, v94
	v_add_co_u32 v95, vcc_lo, v9, v32
	v_add_co_ci_u32_e32 v96, vcc_lo, v10, v33, vcc_lo
	v_dual_add_f32 v97, v94, v11 :: v_dual_mov_b32 v94, 0
	v_mov_b32_e32 v11, 0
	s_and_b32 vcc_lo, exec_lo, s0
	global_store_b32 v[95:96], v97, off
	s_cbranch_vccnz .LBB33_57
; %bb.56:
	v_add_co_u32 v94, vcc_lo, v46, v28
	v_add_co_ci_u32_e32 v95, vcc_lo, v102, v29, vcc_lo
	flat_load_b32 v94, v[94:95]
	s_waitcnt vmcnt(0) lgkmcnt(0)
	v_mul_f32_e32 v94, s15, v94
.LBB33_57:
	v_dual_min_f32 v95, v111, v104 :: v_dual_min_f32 v96, v110, v103
	v_dual_min_f32 v97, v26, v105 :: v_dual_min_f32 v98, v27, v8
	s_delay_alu instid0(VALU_DEP_2) | instskip(NEXT) | instid1(VALU_DEP_1)
	v_dual_add_f32 v92, v95, v92 :: v_dual_add_f32 v93, v96, v93
	v_dual_add_f32 v92, v98, v92 :: v_dual_add_f32 v93, v97, v93
	s_delay_alu instid0(VALU_DEP_1) | instskip(NEXT) | instid1(VALU_DEP_1)
	v_add_f32_e32 v92, v93, v92
	v_add_f32_e32 v94, v92, v94
	v_add_co_u32 v92, vcc_lo, v9, v28
	v_add_co_ci_u32_e32 v93, vcc_lo, v10, v29, vcc_lo
	s_and_b32 vcc_lo, exec_lo, s0
	global_store_b32 v[92:93], v94, off
	s_cbranch_vccnz .LBB33_59
; %bb.58:
	v_add_co_u32 v92, vcc_lo, v46, v24
	v_add_co_ci_u32_e32 v93, vcc_lo, v102, v25, vcc_lo
	flat_load_b32 v11, v[92:93]
	s_waitcnt vmcnt(0) lgkmcnt(0)
	v_mul_f32_e32 v11, s15, v11
.LBB33_59:
	v_dual_min_f32 v92, v109, v104 :: v_dual_min_f32 v93, v108, v103
	v_dual_min_f32 v94, v22, v105 :: v_dual_min_f32 v95, v23, v8
	s_delay_alu instid0(VALU_DEP_2) | instskip(NEXT) | instid1(VALU_DEP_1)
	v_dual_add_f32 v90, v92, v90 :: v_dual_add_f32 v91, v93, v91
	v_dual_add_f32 v90, v95, v90 :: v_dual_add_f32 v91, v94, v91
	s_delay_alu instid0(VALU_DEP_1) | instskip(SKIP_2) | instid1(VALU_DEP_3)
	v_add_f32_e32 v90, v91, v90
	v_add_co_u32 v91, vcc_lo, v9, v24
	v_add_co_ci_u32_e32 v92, vcc_lo, v10, v25, vcc_lo
	v_dual_add_f32 v93, v90, v11 :: v_dual_mov_b32 v90, 0
	v_mov_b32_e32 v11, 0
	s_and_b32 vcc_lo, exec_lo, s0
	global_store_b32 v[91:92], v93, off
	s_cbranch_vccnz .LBB33_61
; %bb.60:
	v_add_co_u32 v90, vcc_lo, v46, v20
	v_add_co_ci_u32_e32 v91, vcc_lo, v102, v21, vcc_lo
	flat_load_b32 v90, v[90:91]
	s_waitcnt vmcnt(0) lgkmcnt(0)
	v_mul_f32_e32 v90, s15, v90
.LBB33_61:
	v_dual_min_f32 v91, v107, v104 :: v_dual_min_f32 v92, v106, v103
	v_dual_min_f32 v93, v18, v105 :: v_dual_min_f32 v94, v19, v8
	s_delay_alu instid0(VALU_DEP_2) | instskip(NEXT) | instid1(VALU_DEP_1)
	v_dual_add_f32 v88, v91, v88 :: v_dual_add_f32 v89, v92, v89
	v_dual_add_f32 v88, v94, v88 :: v_dual_add_f32 v89, v93, v89
	s_delay_alu instid0(VALU_DEP_1) | instskip(NEXT) | instid1(VALU_DEP_1)
	v_add_f32_e32 v88, v89, v88
	v_add_f32_e32 v90, v88, v90
	v_add_co_u32 v88, vcc_lo, v9, v20
	v_add_co_ci_u32_e32 v89, vcc_lo, v10, v21, vcc_lo
	s_and_b32 vcc_lo, exec_lo, s0
	global_store_b32 v[88:89], v90, off
	s_cbranch_vccnz .LBB33_63
; %bb.62:
	v_add_co_u32 v88, vcc_lo, v46, v16
	v_add_co_ci_u32_e32 v89, vcc_lo, v102, v17, vcc_lo
	flat_load_b32 v11, v[88:89]
	s_waitcnt vmcnt(0) lgkmcnt(0)
	v_mul_f32_e32 v11, s15, v11
.LBB33_63:
	v_dual_min_f32 v46, v12, v103 :: v_dual_min_f32 v89, v13, v104
	v_add_nc_u32_e32 v88, 64, v49
	v_min_f32_e32 v90, v14, v105
	v_min_f32_e32 v8, v15, v8
	s_delay_alu instid0(VALU_DEP_4) | instskip(NEXT) | instid1(VALU_DEP_4)
	v_dual_add_f32 v46, v46, v87 :: v_dual_add_f32 v89, v89, v86
	v_mad_i64_i32 v[86:87], null, v88, s10, 0
	s_delay_alu instid0(VALU_DEP_2) | instskip(NEXT) | instid1(VALU_DEP_3)
	v_add_f32_e32 v46, v90, v46
	v_add_f32_e32 v8, v8, v89
	v_add_co_u32 v89, vcc_lo, v9, v16
	v_add_co_ci_u32_e32 v90, vcc_lo, v10, v17, vcc_lo
	v_lshlrev_b64 v[86:87], 2, v[86:87]
	s_delay_alu instid0(VALU_DEP_4) | instskip(NEXT) | instid1(VALU_DEP_1)
	v_add_f32_e32 v8, v46, v8
	v_add_f32_e32 v10, v8, v11
	s_delay_alu instid0(VALU_DEP_3) | instskip(NEXT) | instid1(VALU_DEP_4)
	v_add_co_u32 v8, vcc_lo, s4, v86
	v_add_co_ci_u32_e32 v9, vcc_lo, s5, v87, vcc_lo
	v_dual_mov_b32 v86, 0 :: v_dual_mov_b32 v87, 0
	s_and_b32 vcc_lo, exec_lo, s0
	global_store_b32 v[89:90], v10, off
	s_cbranch_vccnz .LBB33_65
; %bb.64:
	v_add_co_u32 v10, vcc_lo, v8, v44
	v_add_co_ci_u32_e32 v11, vcc_lo, v9, v45, vcc_lo
	flat_load_b32 v10, v[10:11]
	s_waitcnt vmcnt(0) lgkmcnt(0)
	v_mul_f32_e32 v87, s15, v10
.LBB33_65:
	v_dual_max_f32 v10, v4, v4 :: v_dual_max_f32 v11, v5, v5
	v_max_f32_e32 v46, v6, v6
	v_mad_i64_i32 v[5:6], null, v88, s3, 0
	v_max_f32_e32 v4, v7, v7
	s_delay_alu instid0(VALU_DEP_4) | instskip(NEXT) | instid1(VALU_DEP_1)
	v_min_f32_e32 v89, v48, v11
	v_dual_min_f32 v7, v47, v10 :: v_dual_add_f32 v84, v89, v84
	s_delay_alu instid0(VALU_DEP_1) | instskip(NEXT) | instid1(VALU_DEP_4)
	v_dual_min_f32 v88, v42, v46 :: v_dual_add_f32 v7, v7, v85
	v_min_f32_e32 v90, v43, v4
	v_lshlrev_b64 v[5:6], 2, v[5:6]
	s_delay_alu instid0(VALU_DEP_2) | instskip(NEXT) | instid1(VALU_DEP_2)
	v_dual_add_f32 v7, v88, v7 :: v_dual_add_f32 v84, v90, v84
	v_add_co_u32 v5, vcc_lo, s1, v5
	s_delay_alu instid0(VALU_DEP_3) | instskip(NEXT) | instid1(VALU_DEP_3)
	v_add_co_ci_u32_e32 v6, vcc_lo, s6, v6, vcc_lo
	v_add_f32_e32 v7, v7, v84
	s_delay_alu instid0(VALU_DEP_3) | instskip(NEXT) | instid1(VALU_DEP_3)
	v_add_co_u32 v84, vcc_lo, v5, v44
	v_add_co_ci_u32_e32 v85, vcc_lo, v6, v45, vcc_lo
	s_delay_alu instid0(VALU_DEP_3)
	v_add_f32_e32 v7, v7, v87
	s_and_b32 vcc_lo, exec_lo, s0
	global_store_b32 v[84:85], v7, off
	s_cbranch_vccnz .LBB33_67
; %bb.66:
	v_add_co_u32 v84, vcc_lo, v8, v40
	v_add_co_ci_u32_e32 v85, vcc_lo, v9, v41, vcc_lo
	flat_load_b32 v7, v[84:85]
	s_waitcnt vmcnt(0) lgkmcnt(0)
	v_mul_f32_e32 v86, s15, v7
.LBB33_67:
	v_dual_min_f32 v7, v51, v11 :: v_dual_min_f32 v84, v50, v10
	v_min_f32_e32 v85, v38, v46
	s_delay_alu instid0(VALU_DEP_2) | instskip(SKIP_3) | instid1(VALU_DEP_3)
	v_dual_add_f32 v7, v7, v82 :: v_dual_add_f32 v82, v84, v83
	v_min_f32_e32 v87, v39, v4
	v_add_co_u32 v83, vcc_lo, v5, v40
	v_add_co_ci_u32_e32 v84, vcc_lo, v6, v41, vcc_lo
	v_dual_add_f32 v82, v85, v82 :: v_dual_add_f32 v7, v87, v7
	s_and_b32 vcc_lo, exec_lo, s0
	s_delay_alu instid0(VALU_DEP_1) | instskip(NEXT) | instid1(VALU_DEP_1)
	v_dual_add_f32 v7, v82, v7 :: v_dual_mov_b32 v82, 0
	v_add_f32_e32 v85, v7, v86
	v_mov_b32_e32 v7, 0
	global_store_b32 v[83:84], v85, off
	s_cbranch_vccnz .LBB33_69
; %bb.68:
	v_add_co_u32 v82, vcc_lo, v8, v36
	v_add_co_ci_u32_e32 v83, vcc_lo, v9, v37, vcc_lo
	flat_load_b32 v82, v[82:83]
	s_waitcnt vmcnt(0) lgkmcnt(0)
	v_mul_f32_e32 v82, s15, v82
.LBB33_69:
	v_dual_min_f32 v83, v65, v11 :: v_dual_min_f32 v84, v52, v10
	v_dual_min_f32 v85, v34, v46 :: v_dual_min_f32 v86, v35, v4
	s_delay_alu instid0(VALU_DEP_2) | instskip(NEXT) | instid1(VALU_DEP_1)
	v_dual_add_f32 v80, v83, v80 :: v_dual_add_f32 v81, v84, v81
	v_dual_add_f32 v80, v86, v80 :: v_dual_add_f32 v81, v85, v81
	s_delay_alu instid0(VALU_DEP_1) | instskip(NEXT) | instid1(VALU_DEP_1)
	v_add_f32_e32 v80, v81, v80
	v_add_f32_e32 v82, v80, v82
	v_add_co_u32 v80, vcc_lo, v5, v36
	v_add_co_ci_u32_e32 v81, vcc_lo, v6, v37, vcc_lo
	s_and_b32 vcc_lo, exec_lo, s0
	global_store_b32 v[80:81], v82, off
	s_cbranch_vccnz .LBB33_71
; %bb.70:
	v_add_co_u32 v80, vcc_lo, v8, v32
	v_add_co_ci_u32_e32 v81, vcc_lo, v9, v33, vcc_lo
	flat_load_b32 v7, v[80:81]
	s_waitcnt vmcnt(0) lgkmcnt(0)
	v_mul_f32_e32 v7, s15, v7
.LBB33_71:
	v_dual_min_f32 v80, v113, v11 :: v_dual_min_f32 v81, v112, v10
	v_dual_min_f32 v82, v30, v46 :: v_dual_min_f32 v83, v31, v4
	s_delay_alu instid0(VALU_DEP_2) | instskip(NEXT) | instid1(VALU_DEP_1)
	v_dual_add_f32 v78, v80, v78 :: v_dual_add_f32 v79, v81, v79
	v_dual_add_f32 v78, v83, v78 :: v_dual_add_f32 v79, v82, v79
	s_delay_alu instid0(VALU_DEP_1) | instskip(SKIP_2) | instid1(VALU_DEP_3)
	v_add_f32_e32 v78, v79, v78
	v_add_co_u32 v79, vcc_lo, v5, v32
	v_add_co_ci_u32_e32 v80, vcc_lo, v6, v33, vcc_lo
	v_dual_add_f32 v81, v78, v7 :: v_dual_mov_b32 v78, 0
	v_mov_b32_e32 v7, 0
	s_and_b32 vcc_lo, exec_lo, s0
	global_store_b32 v[79:80], v81, off
	s_cbranch_vccnz .LBB33_73
; %bb.72:
	v_add_co_u32 v78, vcc_lo, v8, v28
	v_add_co_ci_u32_e32 v79, vcc_lo, v9, v29, vcc_lo
	flat_load_b32 v78, v[78:79]
	s_waitcnt vmcnt(0) lgkmcnt(0)
	v_mul_f32_e32 v78, s15, v78
.LBB33_73:
	v_dual_min_f32 v79, v111, v11 :: v_dual_min_f32 v80, v110, v10
	v_dual_min_f32 v81, v26, v46 :: v_dual_min_f32 v82, v27, v4
	s_delay_alu instid0(VALU_DEP_2) | instskip(NEXT) | instid1(VALU_DEP_1)
	v_dual_add_f32 v76, v79, v76 :: v_dual_add_f32 v77, v80, v77
	v_dual_add_f32 v76, v82, v76 :: v_dual_add_f32 v77, v81, v77
	s_delay_alu instid0(VALU_DEP_1) | instskip(NEXT) | instid1(VALU_DEP_1)
	v_add_f32_e32 v76, v77, v76
	v_add_f32_e32 v78, v76, v78
	v_add_co_u32 v76, vcc_lo, v5, v28
	v_add_co_ci_u32_e32 v77, vcc_lo, v6, v29, vcc_lo
	s_and_b32 vcc_lo, exec_lo, s0
	global_store_b32 v[76:77], v78, off
	s_cbranch_vccnz .LBB33_75
; %bb.74:
	v_add_co_u32 v76, vcc_lo, v8, v24
	v_add_co_ci_u32_e32 v77, vcc_lo, v9, v25, vcc_lo
	flat_load_b32 v7, v[76:77]
	s_waitcnt vmcnt(0) lgkmcnt(0)
	v_mul_f32_e32 v7, s15, v7
.LBB33_75:
	v_dual_min_f32 v76, v109, v11 :: v_dual_min_f32 v77, v108, v10
	v_dual_min_f32 v78, v22, v46 :: v_dual_min_f32 v79, v23, v4
	s_delay_alu instid0(VALU_DEP_2) | instskip(NEXT) | instid1(VALU_DEP_1)
	v_dual_add_f32 v74, v76, v74 :: v_dual_add_f32 v75, v77, v75
	v_dual_add_f32 v74, v79, v74 :: v_dual_add_f32 v75, v78, v75
	s_delay_alu instid0(VALU_DEP_1) | instskip(SKIP_2) | instid1(VALU_DEP_3)
	v_add_f32_e32 v74, v75, v74
	v_add_co_u32 v75, vcc_lo, v5, v24
	v_add_co_ci_u32_e32 v76, vcc_lo, v6, v25, vcc_lo
	v_dual_add_f32 v77, v74, v7 :: v_dual_mov_b32 v74, 0
	v_mov_b32_e32 v7, 0
	s_and_b32 vcc_lo, exec_lo, s0
	global_store_b32 v[75:76], v77, off
	s_cbranch_vccnz .LBB33_77
; %bb.76:
	v_add_co_u32 v74, vcc_lo, v8, v20
	v_add_co_ci_u32_e32 v75, vcc_lo, v9, v21, vcc_lo
	flat_load_b32 v74, v[74:75]
	s_waitcnt vmcnt(0) lgkmcnt(0)
	v_mul_f32_e32 v74, s15, v74
.LBB33_77:
	v_dual_min_f32 v75, v107, v11 :: v_dual_min_f32 v76, v106, v10
	v_dual_min_f32 v77, v18, v46 :: v_dual_min_f32 v78, v19, v4
	s_delay_alu instid0(VALU_DEP_2) | instskip(NEXT) | instid1(VALU_DEP_1)
	v_dual_add_f32 v72, v75, v72 :: v_dual_add_f32 v73, v76, v73
	v_dual_add_f32 v72, v78, v72 :: v_dual_add_f32 v73, v77, v73
	s_delay_alu instid0(VALU_DEP_1) | instskip(NEXT) | instid1(VALU_DEP_1)
	v_add_f32_e32 v72, v73, v72
	v_add_f32_e32 v74, v72, v74
	v_add_co_u32 v72, vcc_lo, v5, v20
	v_add_co_ci_u32_e32 v73, vcc_lo, v6, v21, vcc_lo
	s_and_b32 vcc_lo, exec_lo, s0
	global_store_b32 v[72:73], v74, off
	s_cbranch_vccnz .LBB33_79
; %bb.78:
	v_add_co_u32 v7, vcc_lo, v8, v16
	v_add_co_ci_u32_e32 v8, vcc_lo, v9, v17, vcc_lo
	flat_load_b32 v7, v[7:8]
	s_waitcnt vmcnt(0) lgkmcnt(0)
	v_mul_f32_e32 v7, s15, v7
.LBB33_79:
	v_dual_min_f32 v8, v12, v10 :: v_dual_add_nc_u32 v9, 0x60, v49
	v_min_f32_e32 v10, v13, v11
	v_min_f32_e32 v46, v14, v46
	;; [unrolled: 1-line block ×3, first 2 shown]
	s_delay_alu instid0(VALU_DEP_4) | instskip(SKIP_3) | instid1(VALU_DEP_4)
	v_add_f32_e32 v8, v8, v71
	v_add_co_u32 v71, vcc_lo, v5, v16
	v_add_f32_e32 v49, v10, v69
	v_mad_i64_i32 v[10:11], null, v9, s10, 0
	v_add_f32_e32 v8, v46, v8
	v_add_co_ci_u32_e32 v72, vcc_lo, v6, v17, vcc_lo
	s_delay_alu instid0(VALU_DEP_4) | instskip(NEXT) | instid1(VALU_DEP_4)
	v_add_f32_e32 v4, v4, v49
	v_lshlrev_b64 v[10:11], 2, v[10:11]
	s_delay_alu instid0(VALU_DEP_2) | instskip(SKIP_1) | instid1(VALU_DEP_2)
	v_add_f32_e32 v4, v8, v4
	v_mov_b32_e32 v8, 0
	v_add_f32_e32 v6, v4, v7
	s_delay_alu instid0(VALU_DEP_4)
	v_add_co_u32 v4, vcc_lo, s4, v10
	v_add_co_ci_u32_e32 v5, vcc_lo, s5, v11, vcc_lo
	v_mov_b32_e32 v10, 0
	s_and_b32 vcc_lo, exec_lo, s0
	global_store_b32 v[71:72], v6, off
	s_cbranch_vccnz .LBB33_81
; %bb.80:
	v_add_co_u32 v6, vcc_lo, v4, v44
	v_add_co_ci_u32_e32 v7, vcc_lo, v5, v45, vcc_lo
	flat_load_b32 v6, v[6:7]
	s_waitcnt vmcnt(0) lgkmcnt(0)
	v_mul_f32_e32 v10, s15, v6
.LBB33_81:
	v_dual_max_f32 v0, v0, v0 :: v_dual_max_f32 v1, v1, v1
	v_dual_max_f32 v2, v2, v2 :: v_dual_max_f32 v3, v3, v3
	v_mad_i64_i32 v[6:7], null, v9, s3, 0
	s_delay_alu instid0(VALU_DEP_3) | instskip(NEXT) | instid1(VALU_DEP_3)
	v_dual_min_f32 v11, v47, v0 :: v_dual_min_f32 v46, v48, v1
	v_dual_min_f32 v9, v42, v2 :: v_dual_min_f32 v42, v43, v3
	s_delay_alu instid0(VALU_DEP_2) | instskip(NEXT) | instid1(VALU_DEP_3)
	v_add_f32_e32 v43, v46, v68
	v_add_f32_e32 v11, v11, v70
	v_lshlrev_b64 v[6:7], 2, v[6:7]
	s_delay_alu instid0(VALU_DEP_3) | instskip(NEXT) | instid1(VALU_DEP_3)
	v_add_f32_e32 v42, v42, v43
	v_add_f32_e32 v9, v9, v11
	s_delay_alu instid0(VALU_DEP_3) | instskip(NEXT) | instid1(VALU_DEP_4)
	v_add_co_u32 v6, vcc_lo, s1, v6
	v_add_co_ci_u32_e32 v7, vcc_lo, s6, v7, vcc_lo
	s_delay_alu instid0(VALU_DEP_3) | instskip(NEXT) | instid1(VALU_DEP_1)
	v_add_f32_e32 v9, v9, v42
	v_add_f32_e32 v11, v9, v10
	s_delay_alu instid0(VALU_DEP_4) | instskip(NEXT) | instid1(VALU_DEP_4)
	v_add_co_u32 v9, vcc_lo, v6, v44
	v_add_co_ci_u32_e32 v10, vcc_lo, v7, v45, vcc_lo
	s_and_b32 vcc_lo, exec_lo, s0
	global_store_b32 v[9:10], v11, off
	s_cbranch_vccnz .LBB33_83
; %bb.82:
	v_add_co_u32 v8, vcc_lo, v4, v40
	v_add_co_ci_u32_e32 v9, vcc_lo, v5, v41, vcc_lo
	flat_load_b32 v8, v[8:9]
	s_waitcnt vmcnt(0) lgkmcnt(0)
	v_mul_f32_e32 v8, s15, v8
.LBB33_83:
	v_dual_min_f32 v9, v51, v1 :: v_dual_min_f32 v10, v50, v0
	v_dual_min_f32 v11, v38, v2 :: v_dual_min_f32 v38, v39, v3
	s_delay_alu instid0(VALU_DEP_2) | instskip(NEXT) | instid1(VALU_DEP_1)
	v_dual_add_f32 v9, v9, v66 :: v_dual_add_f32 v10, v10, v67
	v_dual_add_f32 v9, v38, v9 :: v_dual_add_f32 v10, v11, v10
	s_delay_alu instid0(VALU_DEP_1) | instskip(SKIP_2) | instid1(VALU_DEP_3)
	v_add_f32_e32 v9, v10, v9
	v_add_co_u32 v10, vcc_lo, v6, v40
	v_add_co_ci_u32_e32 v11, vcc_lo, v7, v41, vcc_lo
	v_dual_add_f32 v38, v9, v8 :: v_dual_mov_b32 v9, 0
	v_mov_b32_e32 v8, 0
	s_and_b32 vcc_lo, exec_lo, s0
	global_store_b32 v[10:11], v38, off
	s_cbranch_vccnz .LBB33_85
; %bb.84:
	v_add_co_u32 v9, vcc_lo, v4, v36
	v_add_co_ci_u32_e32 v10, vcc_lo, v5, v37, vcc_lo
	flat_load_b32 v9, v[9:10]
	s_waitcnt vmcnt(0) lgkmcnt(0)
	v_mul_f32_e32 v9, s15, v9
.LBB33_85:
	v_dual_min_f32 v10, v65, v1 :: v_dual_min_f32 v11, v52, v0
	v_dual_min_f32 v34, v34, v2 :: v_dual_min_f32 v35, v35, v3
	s_delay_alu instid0(VALU_DEP_2) | instskip(NEXT) | instid1(VALU_DEP_1)
	v_dual_add_f32 v10, v10, v62 :: v_dual_add_f32 v11, v11, v64
	v_dual_add_f32 v10, v35, v10 :: v_dual_add_f32 v11, v34, v11
	s_delay_alu instid0(VALU_DEP_1) | instskip(NEXT) | instid1(VALU_DEP_1)
	v_add_f32_e32 v10, v11, v10
	v_add_f32_e32 v11, v10, v9
	v_add_co_u32 v9, vcc_lo, v6, v36
	v_add_co_ci_u32_e32 v10, vcc_lo, v7, v37, vcc_lo
	s_and_b32 vcc_lo, exec_lo, s0
	global_store_b32 v[9:10], v11, off
	s_cbranch_vccnz .LBB33_87
; %bb.86:
	v_add_co_u32 v8, vcc_lo, v4, v32
	v_add_co_ci_u32_e32 v9, vcc_lo, v5, v33, vcc_lo
	flat_load_b32 v8, v[8:9]
	s_waitcnt vmcnt(0) lgkmcnt(0)
	v_mul_f32_e32 v8, s15, v8
.LBB33_87:
	v_dual_min_f32 v9, v113, v1 :: v_dual_min_f32 v10, v112, v0
	v_dual_min_f32 v11, v30, v2 :: v_dual_min_f32 v30, v31, v3
	s_delay_alu instid0(VALU_DEP_2) | instskip(NEXT) | instid1(VALU_DEP_1)
	v_dual_add_f32 v9, v9, v61 :: v_dual_add_f32 v10, v10, v63
	v_dual_add_f32 v9, v30, v9 :: v_dual_add_f32 v10, v11, v10
	s_delay_alu instid0(VALU_DEP_1) | instskip(SKIP_2) | instid1(VALU_DEP_3)
	v_add_f32_e32 v9, v10, v9
	v_add_co_u32 v10, vcc_lo, v6, v32
	v_add_co_ci_u32_e32 v11, vcc_lo, v7, v33, vcc_lo
	v_dual_add_f32 v30, v9, v8 :: v_dual_mov_b32 v9, 0
	v_mov_b32_e32 v8, 0
	s_and_b32 vcc_lo, exec_lo, s0
	global_store_b32 v[10:11], v30, off
	s_cbranch_vccnz .LBB33_89
; %bb.88:
	v_add_co_u32 v9, vcc_lo, v4, v28
	v_add_co_ci_u32_e32 v10, vcc_lo, v5, v29, vcc_lo
	flat_load_b32 v9, v[9:10]
	s_waitcnt vmcnt(0) lgkmcnt(0)
	v_mul_f32_e32 v9, s15, v9
.LBB33_89:
	v_dual_min_f32 v10, v111, v1 :: v_dual_min_f32 v11, v110, v0
	v_dual_min_f32 v26, v26, v2 :: v_dual_min_f32 v27, v27, v3
	s_delay_alu instid0(VALU_DEP_2) | instskip(NEXT) | instid1(VALU_DEP_1)
	v_dual_add_f32 v10, v10, v59 :: v_dual_add_f32 v11, v11, v60
	v_dual_add_f32 v10, v27, v10 :: v_dual_add_f32 v11, v26, v11
	s_delay_alu instid0(VALU_DEP_1) | instskip(NEXT) | instid1(VALU_DEP_1)
	v_add_f32_e32 v10, v11, v10
	v_add_f32_e32 v11, v10, v9
	v_add_co_u32 v9, vcc_lo, v6, v28
	v_add_co_ci_u32_e32 v10, vcc_lo, v7, v29, vcc_lo
	s_and_b32 vcc_lo, exec_lo, s0
	global_store_b32 v[9:10], v11, off
	s_cbranch_vccnz .LBB33_91
; %bb.90:
	v_add_co_u32 v8, vcc_lo, v4, v24
	v_add_co_ci_u32_e32 v9, vcc_lo, v5, v25, vcc_lo
	flat_load_b32 v8, v[8:9]
	s_waitcnt vmcnt(0) lgkmcnt(0)
	v_mul_f32_e32 v8, s15, v8
.LBB33_91:
	v_dual_min_f32 v9, v109, v1 :: v_dual_min_f32 v10, v108, v0
	v_dual_min_f32 v11, v22, v2 :: v_dual_min_f32 v22, v23, v3
	v_min_f32_e32 v23, v107, v1
	s_delay_alu instid0(VALU_DEP_3) | instskip(NEXT) | instid1(VALU_DEP_4)
	v_dual_add_f32 v9, v9, v55 :: v_dual_min_f32 v26, v106, v0
	v_add_f32_e32 v10, v10, v58
	s_delay_alu instid0(VALU_DEP_3) | instskip(NEXT) | instid1(VALU_DEP_2)
	v_dual_min_f32 v18, v18, v2 :: v_dual_add_f32 v23, v23, v57
	v_dual_add_f32 v9, v22, v9 :: v_dual_add_f32 v10, v11, v10
	v_min_f32_e32 v11, v19, v3
	v_add_f32_e32 v19, v26, v56
	s_delay_alu instid0(VALU_DEP_2) | instskip(NEXT) | instid1(VALU_DEP_2)
	v_dual_add_f32 v22, v10, v9 :: v_dual_add_f32 v11, v11, v23
	v_add_f32_e32 v18, v18, v19
	v_add_co_u32 v9, vcc_lo, v6, v24
	v_add_co_ci_u32_e32 v10, vcc_lo, v7, v25, vcc_lo
	s_delay_alu instid0(VALU_DEP_4) | instskip(NEXT) | instid1(VALU_DEP_4)
	v_add_f32_e32 v19, v22, v8
	v_add_f32_e32 v8, v18, v11
	s_mov_b32 vcc_lo, s2
	global_store_b32 v[9:10], v19, off
	s_cbranch_vccz .LBB33_94
; %bb.92:
	v_add_co_u32 v9, vcc_lo, v6, v20
	v_add_f32_e32 v11, 0, v8
	v_add_co_ci_u32_e32 v10, vcc_lo, v7, v21, vcc_lo
	s_mov_b32 s0, 0
	global_store_b32 v[9:10], v11, off
	s_cbranch_execz .LBB33_95
; %bb.93:
	v_mov_b32_e32 v4, s0
	s_branch .LBB33_96
.LBB33_94:
	s_mov_b32 s0, -1
.LBB33_95:
	v_add_co_u32 v9, vcc_lo, v4, v20
	v_add_co_ci_u32_e32 v10, vcc_lo, v5, v21, vcc_lo
	flat_load_b32 v11, v[9:10]
	v_add_co_u32 v9, vcc_lo, v6, v20
	v_add_co_ci_u32_e32 v10, vcc_lo, v7, v21, vcc_lo
	v_add_co_u32 v4, vcc_lo, v4, v16
	v_add_co_ci_u32_e32 v5, vcc_lo, v5, v17, vcc_lo
	s_waitcnt vmcnt(0) lgkmcnt(0)
	v_fmac_f32_e32 v8, s15, v11
	global_store_b32 v[9:10], v8, off
	flat_load_b32 v4, v[4:5]
	s_waitcnt vmcnt(0) lgkmcnt(0)
	v_mul_f32_e32 v4, s15, v4
.LBB33_96:
	v_dual_min_f32 v1, v13, v1 :: v_dual_min_f32 v0, v12, v0
	v_dual_min_f32 v2, v14, v2 :: v_dual_min_f32 v3, v15, v3
	s_delay_alu instid0(VALU_DEP_2) | instskip(NEXT) | instid1(VALU_DEP_1)
	v_dual_add_f32 v1, v1, v53 :: v_dual_add_f32 v0, v0, v54
	v_dual_add_f32 v1, v3, v1 :: v_dual_add_f32 v0, v2, v0
	s_delay_alu instid0(VALU_DEP_1) | instskip(NEXT) | instid1(VALU_DEP_1)
	v_add_f32_e32 v0, v0, v1
	v_add_f32_e32 v2, v0, v4
	v_add_co_u32 v0, vcc_lo, v6, v16
	v_add_co_ci_u32_e32 v1, vcc_lo, v7, v17, vcc_lo
	global_store_b32 v[0:1], v2, off
	s_nop 0
	s_sendmsg sendmsg(MSG_DEALLOC_VGPRS)
	s_endpgm
	.section	.rodata,"a",@progbits
	.p2align	6, 0x0
	.amdhsa_kernel _ZN12_GLOBAL__N_120geam_min_plus_kernelIf15HIP_vector_typeIfLj2EES2_Li8ELi32ELi64ELi128ELi4ELi4ELi64ELi4ELi64ELc84ELc78ELb0ELb0ELb0EPKfKS4_KPfEEviiiT16_PT17_ilSA_ilS8_SA_ilPT18_ili26rocblas_geam_ex_operation_
		.amdhsa_group_segment_fixed_size 6144
		.amdhsa_private_segment_fixed_size 0
		.amdhsa_kernarg_size 136
		.amdhsa_user_sgpr_count 14
		.amdhsa_user_sgpr_dispatch_ptr 0
		.amdhsa_user_sgpr_queue_ptr 0
		.amdhsa_user_sgpr_kernarg_segment_ptr 1
		.amdhsa_user_sgpr_dispatch_id 0
		.amdhsa_user_sgpr_private_segment_size 0
		.amdhsa_wavefront_size32 1
		.amdhsa_uses_dynamic_stack 0
		.amdhsa_enable_private_segment 0
		.amdhsa_system_sgpr_workgroup_id_x 1
		.amdhsa_system_sgpr_workgroup_id_y 0
		.amdhsa_system_sgpr_workgroup_id_z 1
		.amdhsa_system_sgpr_workgroup_info 0
		.amdhsa_system_vgpr_workitem_id 1
		.amdhsa_next_free_vgpr 224
		.amdhsa_next_free_sgpr 24
		.amdhsa_reserve_vcc 1
		.amdhsa_float_round_mode_32 0
		.amdhsa_float_round_mode_16_64 0
		.amdhsa_float_denorm_mode_32 3
		.amdhsa_float_denorm_mode_16_64 3
		.amdhsa_dx10_clamp 1
		.amdhsa_ieee_mode 1
		.amdhsa_fp16_overflow 0
		.amdhsa_workgroup_processor_mode 1
		.amdhsa_memory_ordered 1
		.amdhsa_forward_progress 0
		.amdhsa_shared_vgpr_count 0
		.amdhsa_exception_fp_ieee_invalid_op 0
		.amdhsa_exception_fp_denorm_src 0
		.amdhsa_exception_fp_ieee_div_zero 0
		.amdhsa_exception_fp_ieee_overflow 0
		.amdhsa_exception_fp_ieee_underflow 0
		.amdhsa_exception_fp_ieee_inexact 0
		.amdhsa_exception_int_div_zero 0
	.end_amdhsa_kernel
	.section	.text._ZN12_GLOBAL__N_120geam_min_plus_kernelIf15HIP_vector_typeIfLj2EES2_Li8ELi32ELi64ELi128ELi4ELi4ELi64ELi4ELi64ELc84ELc78ELb0ELb0ELb0EPKfKS4_KPfEEviiiT16_PT17_ilSA_ilS8_SA_ilPT18_ili26rocblas_geam_ex_operation_,"axG",@progbits,_ZN12_GLOBAL__N_120geam_min_plus_kernelIf15HIP_vector_typeIfLj2EES2_Li8ELi32ELi64ELi128ELi4ELi4ELi64ELi4ELi64ELc84ELc78ELb0ELb0ELb0EPKfKS4_KPfEEviiiT16_PT17_ilSA_ilS8_SA_ilPT18_ili26rocblas_geam_ex_operation_,comdat
.Lfunc_end33:
	.size	_ZN12_GLOBAL__N_120geam_min_plus_kernelIf15HIP_vector_typeIfLj2EES2_Li8ELi32ELi64ELi128ELi4ELi4ELi64ELi4ELi64ELc84ELc78ELb0ELb0ELb0EPKfKS4_KPfEEviiiT16_PT17_ilSA_ilS8_SA_ilPT18_ili26rocblas_geam_ex_operation_, .Lfunc_end33-_ZN12_GLOBAL__N_120geam_min_plus_kernelIf15HIP_vector_typeIfLj2EES2_Li8ELi32ELi64ELi128ELi4ELi4ELi64ELi4ELi64ELc84ELc78ELb0ELb0ELb0EPKfKS4_KPfEEviiiT16_PT17_ilSA_ilS8_SA_ilPT18_ili26rocblas_geam_ex_operation_
                                        ; -- End function
	.section	.AMDGPU.csdata,"",@progbits
; Kernel info:
; codeLenInByte = 10240
; NumSgprs: 26
; NumVgprs: 224
; ScratchSize: 0
; MemoryBound: 0
; FloatMode: 240
; IeeeMode: 1
; LDSByteSize: 6144 bytes/workgroup (compile time only)
; SGPRBlocks: 3
; VGPRBlocks: 27
; NumSGPRsForWavesPerEU: 26
; NumVGPRsForWavesPerEU: 224
; Occupancy: 6
; WaveLimiterHint : 1
; COMPUTE_PGM_RSRC2:SCRATCH_EN: 0
; COMPUTE_PGM_RSRC2:USER_SGPR: 14
; COMPUTE_PGM_RSRC2:TRAP_HANDLER: 0
; COMPUTE_PGM_RSRC2:TGID_X_EN: 1
; COMPUTE_PGM_RSRC2:TGID_Y_EN: 0
; COMPUTE_PGM_RSRC2:TGID_Z_EN: 1
; COMPUTE_PGM_RSRC2:TIDIG_COMP_CNT: 1
	.section	.text._ZN12_GLOBAL__N_120geam_min_plus_kernelIf15HIP_vector_typeIfLj2EES2_Li8ELi32ELi64ELi128ELi4ELi4ELi64ELi4ELi64ELc84ELc78ELb1ELb0ELb0EfKPKfKPfEEviiiT16_PT17_ilSA_ilS8_SA_ilPT18_ili26rocblas_geam_ex_operation_,"axG",@progbits,_ZN12_GLOBAL__N_120geam_min_plus_kernelIf15HIP_vector_typeIfLj2EES2_Li8ELi32ELi64ELi128ELi4ELi4ELi64ELi4ELi64ELc84ELc78ELb1ELb0ELb0EfKPKfKPfEEviiiT16_PT17_ilSA_ilS8_SA_ilPT18_ili26rocblas_geam_ex_operation_,comdat
	.globl	_ZN12_GLOBAL__N_120geam_min_plus_kernelIf15HIP_vector_typeIfLj2EES2_Li8ELi32ELi64ELi128ELi4ELi4ELi64ELi4ELi64ELc84ELc78ELb1ELb0ELb0EfKPKfKPfEEviiiT16_PT17_ilSA_ilS8_SA_ilPT18_ili26rocblas_geam_ex_operation_ ; -- Begin function _ZN12_GLOBAL__N_120geam_min_plus_kernelIf15HIP_vector_typeIfLj2EES2_Li8ELi32ELi64ELi128ELi4ELi4ELi64ELi4ELi64ELc84ELc78ELb1ELb0ELb0EfKPKfKPfEEviiiT16_PT17_ilSA_ilS8_SA_ilPT18_ili26rocblas_geam_ex_operation_
	.p2align	8
	.type	_ZN12_GLOBAL__N_120geam_min_plus_kernelIf15HIP_vector_typeIfLj2EES2_Li8ELi32ELi64ELi128ELi4ELi4ELi64ELi4ELi64ELc84ELc78ELb1ELb0ELb0EfKPKfKPfEEviiiT16_PT17_ilSA_ilS8_SA_ilPT18_ili26rocblas_geam_ex_operation_,@function
_ZN12_GLOBAL__N_120geam_min_plus_kernelIf15HIP_vector_typeIfLj2EES2_Li8ELi32ELi64ELi128ELi4ELi4ELi64ELi4ELi64ELc84ELc78ELb1ELb0ELb0EfKPKfKPfEEviiiT16_PT17_ilSA_ilS8_SA_ilPT18_ili26rocblas_geam_ex_operation_: ; @_ZN12_GLOBAL__N_120geam_min_plus_kernelIf15HIP_vector_typeIfLj2EES2_Li8ELi32ELi64ELi128ELi4ELi4ELi64ELi4ELi64ELc84ELc78ELb1ELb0ELb0EfKPKfKPfEEviiiT16_PT17_ilSA_ilS8_SA_ilPT18_ili26rocblas_geam_ex_operation_
; %bb.0:
	s_clause 0x1
	s_load_b64 s[8:9], s[0:1], 0x8
	s_load_b128 s[4:7], s[0:1], 0x20
	s_mov_b32 s16, s15
	s_mov_b32 s17, 0
	s_waitcnt lgkmcnt(0)
	v_cmp_eq_f32_e64 s2, s9, 0
	s_delay_alu instid0(VALU_DEP_1)
	s_and_b32 vcc_lo, exec_lo, s2
	s_cbranch_vccnz .LBB34_3
; %bb.1:
	s_load_b64 s[10:11], s[0:1], 0x10
	s_lshl_b64 s[12:13], s[16:17], 3
	s_waitcnt lgkmcnt(0)
	s_add_u32 s10, s10, s12
	s_addc_u32 s11, s11, s13
	s_lshl_b64 s[4:5], s[4:5], 2
	s_load_b64 s[10:11], s[10:11], 0x0
	s_waitcnt lgkmcnt(0)
	s_add_u32 s12, s10, s4
	s_addc_u32 s13, s11, s5
	s_and_not1_b32 vcc_lo, exec_lo, s2
	s_cbranch_vccnz .LBB34_4
.LBB34_2:
	s_mov_b64 s[10:11], 0
	s_and_not1_b32 vcc_lo, exec_lo, s17
	s_cbranch_vccz .LBB34_5
	s_branch .LBB34_6
.LBB34_3:
	s_mov_b64 s[12:13], 0
	s_and_not1_b32 vcc_lo, exec_lo, s2
	s_cbranch_vccz .LBB34_2
.LBB34_4:
	s_mov_b32 s17, -1
                                        ; implicit-def: $sgpr10_sgpr11
.LBB34_5:
	s_mov_b32 s17, 0
	s_load_b64 s[4:5], s[0:1], 0x38
	s_lshl_b64 s[2:3], s[16:17], 3
	s_delay_alu instid0(SALU_CYCLE_1) | instskip(SKIP_4) | instid1(SALU_CYCLE_1)
	s_add_u32 s2, s6, s2
	s_addc_u32 s3, s7, s3
	s_load_b64 s[2:3], s[2:3], 0x0
	s_waitcnt lgkmcnt(0)
	s_lshl_b64 s[4:5], s[4:5], 2
	s_add_u32 s10, s2, s4
	s_addc_u32 s11, s3, s5
.LBB34_6:
	s_clause 0x1
	s_load_b32 s9, s[0:1], 0x40
	s_load_b128 s[4:7], s[0:1], 0x58
	s_waitcnt lgkmcnt(0)
	v_cmp_eq_f32_e64 s2, s9, 0
	s_delay_alu instid0(VALU_DEP_1) | instskip(NEXT) | instid1(SALU_CYCLE_1)
	s_and_b32 s2, exec_lo, s2
	s_mov_b32 vcc_lo, s2
	s_cbranch_vccnz .LBB34_8
; %bb.7:
	s_load_b64 s[18:19], s[0:1], 0x48
	s_lshl_b64 s[20:21], s[16:17], 3
	s_waitcnt lgkmcnt(0)
	s_add_u32 s18, s18, s20
	s_addc_u32 s19, s19, s21
	s_lshl_b64 s[4:5], s[4:5], 2
	s_load_b64 s[18:19], s[18:19], 0x0
	s_waitcnt lgkmcnt(0)
	s_add_u32 s4, s18, s4
	s_addc_u32 s5, s19, s5
	s_branch .LBB34_9
.LBB34_8:
	s_mov_b64 s[4:5], 0
.LBB34_9:
	s_load_b32 s3, s[0:1], 0x0
	s_lshl_b64 s[16:17], s[16:17], 3
	v_and_b32_e32 v61, 0x3ff, v0
	s_add_u32 s6, s6, s16
	s_addc_u32 s7, s7, s17
	v_bfe_u32 v63, v0, 10, 10
	s_clause 0x1
	s_load_b32 s15, s[0:1], 0x18
	s_load_b32 s18, s[0:1], 0x30
	v_and_b32_e32 v3, 3, v61
	v_lshlrev_b32_e32 v67, 4, v61
	v_lshl_add_u32 v0, v63, 3, v61
	v_lshlrev_b32_e32 v64, 4, v63
	s_delay_alu instid0(VALU_DEP_4) | instskip(NEXT) | instid1(VALU_DEP_3)
	v_lshlrev_b32_e32 v74, 2, v3
	v_lshrrev_b32_e32 v10, 2, v0
	s_delay_alu instid0(VALU_DEP_1) | instskip(SKIP_2) | instid1(SALU_CYCLE_1)
	v_lshl_or_b32 v79, v10, 4, v74
	s_waitcnt lgkmcnt(0)
	s_add_i32 s3, s3, -1
	s_ashr_i32 s16, s3, 31
	s_delay_alu instid0(SALU_CYCLE_1) | instskip(NEXT) | instid1(SALU_CYCLE_1)
	s_lshr_b32 s16, s16, 26
	s_add_i32 s3, s3, s16
	s_delay_alu instid0(SALU_CYCLE_1) | instskip(NEXT) | instid1(SALU_CYCLE_1)
	s_ashr_i32 s3, s3, 6
	s_add_i32 s16, s3, 1
	s_not_b32 s3, s3
	v_cvt_f32_u32_e32 v1, s16
	s_delay_alu instid0(VALU_DEP_1) | instskip(SKIP_2) | instid1(VALU_DEP_1)
	v_rcp_iflag_f32_e32 v1, v1
	s_waitcnt_depctr 0xfff
	v_mul_f32_e32 v1, 0x4f7ffffe, v1
	v_cvt_u32_f32_e32 v1, v1
	s_delay_alu instid0(VALU_DEP_1) | instskip(NEXT) | instid1(VALU_DEP_1)
	v_readfirstlane_b32 s17, v1
	s_mul_i32 s3, s3, s17
	s_delay_alu instid0(SALU_CYCLE_1) | instskip(NEXT) | instid1(SALU_CYCLE_1)
	s_mul_hi_u32 s3, s17, s3
	s_add_i32 s17, s17, s3
	s_delay_alu instid0(SALU_CYCLE_1) | instskip(NEXT) | instid1(SALU_CYCLE_1)
	s_mul_hi_u32 s3, s14, s17
	s_mul_i32 s17, s3, s16
	s_add_i32 s19, s3, 1
	s_sub_i32 s17, s14, s17
	s_delay_alu instid0(SALU_CYCLE_1)
	s_sub_i32 s20, s17, s16
	s_cmp_ge_u32 s17, s16
	s_cselect_b32 s3, s19, s3
	s_cselect_b32 s17, s20, s17
	s_add_i32 s19, s3, 1
	s_cmp_ge_u32 s17, s16
	s_cselect_b32 s3, s19, s3
	s_delay_alu instid0(SALU_CYCLE_1)
	s_mul_i32 s16, s3, s16
	s_lshl_b32 s3, s3, 7
	s_sub_i32 s14, s14, s16
	v_add_nc_u32_e32 v2, s3, v10
	s_lshl_b32 s14, s14, 6
	s_cmp_lt_i32 s8, 9
	v_add_nc_u32_e32 v4, s14, v10
	s_delay_alu instid0(VALU_DEP_2) | instskip(SKIP_1) | instid1(VALU_DEP_3)
	v_mad_i64_i32 v[0:1], null, v2, s18, 0
	v_add_nc_u32_e32 v6, 64, v2
	v_mad_i64_i32 v[2:3], null, v4, s15, 0
	v_add_co_u32 v11, s15, s10, v74
	s_delay_alu instid0(VALU_DEP_3) | instskip(SKIP_3) | instid1(VALU_DEP_4)
	v_mad_i64_i32 v[4:5], null, v6, s18, 0
	v_lshlrev_b64 v[0:1], 2, v[0:1]
	v_add_co_ci_u32_e64 v12, null, s11, 0, s15
	v_lshlrev_b64 v[6:7], 2, v[2:3]
	v_lshlrev_b64 v[2:3], 2, v[4:5]
	s_delay_alu instid0(VALU_DEP_4) | instskip(NEXT) | instid1(VALU_DEP_4)
	v_add_co_u32 v8, vcc_lo, v11, v0
	v_add_co_ci_u32_e32 v9, vcc_lo, v12, v1, vcc_lo
	s_delay_alu instid0(VALU_DEP_4) | instskip(SKIP_3) | instid1(VALU_DEP_4)
	v_add_co_u32 v75, vcc_lo, s12, v6
	v_add_co_ci_u32_e32 v76, vcc_lo, s13, v7, vcc_lo
	v_add_co_u32 v4, vcc_lo, v11, v2
	v_add_co_ci_u32_e32 v5, vcc_lo, v12, v3, vcc_lo
	v_add_co_u32 v6, vcc_lo, v75, v74
	s_delay_alu instid0(VALU_DEP_4)
	v_add_co_ci_u32_e32 v7, vcc_lo, 0, v76, vcc_lo
	s_clause 0x1
	flat_load_b32 v11, v[8:9]
	flat_load_b32 v12, v[4:5]
	s_clause 0x1
	flat_load_b32 v13, v[6:7]
	flat_load_b32 v54, v[6:7] offset:16
	s_load_b64 s[6:7], s[6:7], 0x0
	s_clause 0x1
	flat_load_b32 v4, v[4:5] offset:16
	flat_load_b32 v5, v[8:9] offset:16
	s_waitcnt vmcnt(4) lgkmcnt(0)
	ds_store_2addr_stride64_b32 v79, v11, v12 offset1:4
	s_waitcnt vmcnt(3)
	ds_store_b32 v79, v13 offset:4096
	s_waitcnt vmcnt(0) lgkmcnt(0)
	s_barrier
	buffer_gl0_inv
	ds_load_b128 v[6:9], v64
	ds_load_b128 v[10:13], v67 offset:4096
	ds_load_b128 v[14:17], v67 offset:4224
	;; [unrolled: 1-line block ×11, first 2 shown]
	ds_store_b32 v79, v54 offset:5120
	ds_store_2addr_stride64_b32 v79, v5, v4 offset0:8 offset1:12
	s_waitcnt lgkmcnt(0)
	s_barrier
	buffer_gl0_inv
	v_dual_max_f32 v6, v6, v6 :: v_dual_max_f32 v11, v11, v11
	v_dual_max_f32 v10, v10, v10 :: v_dual_max_f32 v7, v7, v7
	;; [unrolled: 1-line block ×12, first 2 shown]
	v_max_f32_e32 v8, v8, v8
	v_dual_max_f32 v12, v12, v12 :: v_dual_max_f32 v17, v17, v17
	v_max_f32_e32 v9, v9, v9
	v_dual_max_f32 v13, v13, v13 :: v_dual_max_f32 v16, v16, v16
	v_dual_max_f32 v21, v21, v21 :: v_dual_max_f32 v20, v20, v20
	;; [unrolled: 1-line block ×10, first 2 shown]
	v_dual_min_f32 v55, v11, v7 :: v_dual_min_f32 v54, v10, v6
	v_dual_min_f32 v57, v15, v7 :: v_dual_min_f32 v56, v14, v6
	;; [unrolled: 1-line block ×4, first 2 shown]
	v_min_f32_e32 v71, v35, v7
	v_dual_min_f32 v62, v23, v7 :: v_dual_min_f32 v65, v26, v6
	v_dual_min_f32 v66, v27, v7 :: v_dual_min_f32 v77, v14, v42
	;; [unrolled: 1-line block ×7, first 2 shown]
	v_min_f32_e32 v80, v18, v42
	v_dual_min_f32 v82, v26, v42 :: v_dual_min_f32 v97, v15, v47
	v_min_f32_e32 v83, v30, v42
	v_dual_min_f32 v84, v34, v42 :: v_dual_min_f32 v99, v23, v47
	v_dual_min_f32 v42, v38, v42 :: v_dual_min_f32 v101, v31, v47
	;; [unrolled: 1-line block ×3, first 2 shown]
	v_min_f32_e32 v86, v14, v46
	v_dual_min_f32 v87, v18, v46 :: v_dual_min_f32 v94, v31, v43
	v_min_f32_e32 v88, v22, v46
	v_dual_min_f32 v89, v26, v46 :: v_dual_min_f32 v96, v11, v47
	v_dual_min_f32 v90, v30, v46 :: v_dual_min_f32 v15, v15, v51
	;; [unrolled: 1-line block ×3, first 2 shown]
	v_min_f32_e32 v46, v38, v46
	v_dual_min_f32 v10, v10, v50 :: v_dual_min_f32 v23, v23, v51
	v_min_f32_e32 v14, v14, v50
	v_dual_min_f32 v18, v18, v50 :: v_dual_min_f32 v31, v31, v51
	v_min_f32_e32 v22, v22, v50
	v_min_f32_e32 v26, v26, v50
	;; [unrolled: 1-line block ×3, first 2 shown]
	v_dual_min_f32 v34, v34, v50 :: v_dual_min_f32 v103, v16, v8
	v_dual_min_f32 v38, v38, v50 :: v_dual_min_f32 v105, v24, v8
	v_min_f32_e32 v50, v19, v43
	v_min_f32_e32 v43, v39, v43
	v_dual_min_f32 v100, v27, v47 :: v_dual_min_f32 v107, v32, v8
	v_dual_min_f32 v102, v35, v47 :: v_dual_min_f32 v119, v16, v44
	v_min_f32_e32 v47, v39, v47
	v_min_f32_e32 v11, v11, v51
	;; [unrolled: 1-line block ×7, first 2 shown]
	v_dual_min_f32 v104, v20, v8 :: v_dual_min_f32 v109, v17, v9
	v_dual_min_f32 v106, v28, v8 :: v_dual_min_f32 v111, v25, v9
	;; [unrolled: 1-line block ×3, first 2 shown]
	v_min_f32_e32 v8, v40, v8
	v_dual_min_f32 v118, v12, v44 :: v_dual_min_f32 v139, v13, v45
	v_dual_min_f32 v120, v20, v44 :: v_dual_min_f32 v141, v21, v45
	v_min_f32_e32 v121, v24, v44
	v_dual_min_f32 v122, v28, v44 :: v_dual_min_f32 v143, v29, v45
	v_dual_min_f32 v123, v32, v44 :: v_dual_min_f32 v110, v21, v9
	;; [unrolled: 1-line block ×3, first 2 shown]
	v_min_f32_e32 v44, v40, v44
	v_dual_min_f32 v125, v12, v48 :: v_dual_min_f32 v112, v29, v9
	v_dual_min_f32 v126, v16, v48 :: v_dual_min_f32 v147, v17, v49
	;; [unrolled: 1-line block ×7, first 2 shown]
	v_min_f32_e32 v48, v40, v48
	v_min_f32_e32 v12, v12, v52
	v_dual_min_f32 v16, v16, v52 :: v_dual_min_f32 v17, v17, v53
	v_min_f32_e32 v20, v20, v52
	v_dual_min_f32 v24, v24, v52 :: v_dual_min_f32 v25, v25, v53
	v_min_f32_e32 v28, v28, v52
	v_min_f32_e32 v32, v32, v52
	;; [unrolled: 1-line block ×11, first 2 shown]
	v_dual_min_f32 v152, v37, v49 :: v_dual_add_f32 v7, 0, v7
	v_min_f32_e32 v49, v41, v49
	v_min_f32_e32 v13, v13, v53
	;; [unrolled: 1-line block ×7, first 2 shown]
	v_dual_add_f32 v53, 0, v55 :: v_dual_add_f32 v54, 0, v54
	v_dual_add_f32 v55, 0, v57 :: v_dual_add_f32 v56, 0, v56
	v_add_f32_e32 v65, 0, v65
	v_dual_add_f32 v57, 0, v59 :: v_dual_add_f32 v58, 0, v58
	v_dual_add_f32 v59, 0, v62 :: v_dual_add_f32 v60, 0, v60
	v_dual_add_f32 v62, 0, v66 :: v_dual_add_f32 v77, 0, v77
	v_add_f32_e32 v66, 0, v69
	v_dual_add_f32 v68, 0, v68 :: v_dual_add_f32 v81, 0, v81
	v_dual_add_f32 v69, 0, v71 :: v_dual_add_f32 v70, 0, v70
	v_dual_add_f32 v83, 0, v83 :: v_dual_add_f32 v6, 0, v6
	v_add_f32_e32 v43, 0, v43
	v_dual_add_f32 v71, 0, v73 :: v_dual_add_f32 v72, 0, v72
	v_add_f32_e32 v85, 0, v85
	v_add_f32_e32 v73, 0, v78
	v_dual_add_f32 v50, 0, v50 :: v_dual_add_f32 v153, 0, v96
	v_dual_add_f32 v78, 0, v80 :: v_dual_add_f32 v155, 0, v98
	;; [unrolled: 1-line block ×10, first 2 shown]
	v_add_f32_e32 v15, 0, v15
	v_dual_add_f32 v156, 0, v99 :: v_dual_add_f32 v133, v51, v54
	v_dual_add_f32 v158, 0, v100 :: v_dual_add_f32 v19, 0, v19
	;; [unrolled: 1-line block ×10, first 2 shown]
	v_add_f32_e32 v30, 0, v30
	v_add_f32_e32 v34, 0, v34
	v_dual_add_f32 v38, 0, v38 :: v_dual_add_f32 v105, v119, v77
	v_dual_add_f32 v132, v52, v53 :: v_dual_add_f32 v99, v122, v82
	;; [unrolled: 1-line block ×3, first 2 shown]
	v_add_f32_e32 v128, v110, v57
	v_dual_add_f32 v116, v111, v59 :: v_dual_add_f32 v109, v8, v6
	v_dual_add_f32 v114, v112, v62 :: v_dual_add_f32 v101, v121, v81
	;; [unrolled: 1-line block ×4, first 2 shown]
	v_add_f32_e32 v103, v120, v78
	v_dual_add_f32 v111, v108, v70 :: v_dual_add_f32 v108, v9, v7
	v_dual_add_f32 v95, v124, v84 :: v_dual_add_f32 v106, v139, v71
	v_dual_add_f32 v107, v118, v72 :: v_dual_add_f32 v104, v140, v73
	v_add_f32_e32 v89, v126, v86
	v_dual_add_f32 v102, v141, v50 :: v_dual_add_f32 v87, v127, v87
	v_dual_add_f32 v100, v142, v80 :: v_dual_add_f32 v91, v125, v85
	;; [unrolled: 1-line block ×7, first 2 shown]
	v_add_f32_e32 v73, v48, v46
	v_dual_add_f32 v88, v147, v154 :: v_dual_add_f32 v65, v21, v19
	v_add_f32_e32 v86, v148, v155
	v_dual_add_f32 v84, v149, v156 :: v_dual_add_f32 v71, v12, v10
	v_dual_add_f32 v82, v150, v158 :: v_dual_add_f32 v55, v37, v35
	;; [unrolled: 1-line block ×6, first 2 shown]
	v_add_f32_e32 v68, v17, v15
	v_add_f32_e32 v66, v20, v18
	;; [unrolled: 1-line block ×8, first 2 shown]
	s_cbranch_scc1 .LBB34_12
; %bb.10:
	v_add_co_u32 v124, vcc_lo, s10, v2
	v_add_co_ci_u32_e32 v125, vcc_lo, s11, v3, vcc_lo
	v_add_co_u32 v126, vcc_lo, s10, v0
	v_add_nc_u32_e32 v118, 0x1000, v79
	v_add_nc_u32_e32 v119, 0x1000, v67
	;; [unrolled: 1-line block ×4, first 2 shown]
	v_lshl_add_u32 v122, v61, 4, 0x1400
	v_lshl_add_u32 v123, v63, 4, 0x800
	v_add_co_ci_u32_e32 v127, vcc_lo, s11, v1, vcc_lo
	s_add_i32 s8, s8, -8
	s_mov_b32 s10, 0
.LBB34_11:                              ; =>This Inner Loop Header: Depth=1
	ds_load_b128 v[44:47], v123
	ds_load_b128 v[40:43], v122
	ds_load_b128 v[36:39], v122 offset:128
	ds_load_b128 v[32:35], v122 offset:256
	;; [unrolled: 1-line block ×10, first 2 shown]
	v_add_co_u32 v48, vcc_lo, v75, v74
	v_add_co_ci_u32_e32 v49, vcc_lo, 0, v76, vcc_lo
	v_add_co_u32 v50, vcc_lo, v126, v74
	v_add_co_ci_u32_e32 v51, vcc_lo, 0, v127, vcc_lo
	s_waitcnt lgkmcnt(11)
	v_max_f32_e32 v44, v44, v44
	v_max_f32_e32 v134, v45, v45
	s_waitcnt lgkmcnt(9)
	v_max_f32_e32 v36, v36, v36
	s_waitcnt lgkmcnt(7)
	v_dual_max_f32 v40, v40, v40 :: v_dual_max_f32 v213, v31, v31
	s_waitcnt lgkmcnt(5)
	v_dual_max_f32 v142, v29, v29 :: v_dual_max_f32 v215, v23, v23
	v_max_f32_e32 v28, v28, v28
	s_waitcnt lgkmcnt(3)
	v_dual_max_f32 v136, v41, v41 :: v_dual_max_f32 v217, v15, v15
	s_waitcnt lgkmcnt(0)
	v_dual_max_f32 v4, v4, v4 :: v_dual_max_f32 v1, v1, v1
	v_dual_max_f32 v219, v3, v3 :: v_dual_max_f32 v138, v37, v37
	v_min_f32_e32 v221, v36, v44
	v_dual_max_f32 v32, v32, v32 :: v_dual_min_f32 v205, v142, v134
	v_min_f32_e32 v145, v28, v44
	s_delay_alu instid0(VALU_DEP_4) | instskip(SKIP_4) | instid1(VALU_DEP_3)
	v_dual_min_f32 v223, v138, v134 :: v_dual_max_f32 v8, v8, v8
	v_max_f32_e32 v162, v34, v34
	v_max_f32_e32 v34, v9, v9
	v_dual_max_f32 v140, v33, v33 :: v_dual_min_f32 v147, v32, v44
	v_min_f32_e32 v33, v40, v4
	v_dual_max_f32 v12, v12, v12 :: v_dual_min_f32 v193, v138, v34
	v_dual_max_f32 v146, v21, v21 :: v_dual_min_f32 v189, v142, v34
	;; [unrolled: 1-line block ×4, first 2 shown]
	v_max_f32_e32 v20, v20, v20
	v_max_f32_e32 v158, v38, v38
	s_delay_alu instid0(VALU_DEP_3)
	v_dual_max_f32 v0, v0, v0 :: v_dual_min_f32 v183, v42, v34
	v_min_f32_e32 v137, v12, v44
	v_dual_max_f32 v24, v24, v24 :: v_dual_min_f32 v201, v146, v134
	v_dual_max_f32 v160, v39, v39 :: v_dual_min_f32 v199, v42, v134
	;; [unrolled: 1-line block ×3, first 2 shown]
	v_max_f32_e32 v16, v16, v16
	s_delay_alu instid0(VALU_DEP_4)
	v_dual_max_f32 v144, v25, v25 :: v_dual_min_f32 v143, v24, v44
	v_dual_max_f32 v46, v46, v46 :: v_dual_min_f32 v141, v20, v44
	v_max_f32_e32 v156, v43, v43
	v_dual_max_f32 v172, v14, v14 :: v_dual_min_f32 v17, v40, v0
	v_dual_max_f32 v10, v10, v10 :: v_dual_min_f32 v15, v36, v0
	;; [unrolled: 1-line block ×6, first 2 shown]
	v_min_f32_e32 v43, v28, v8
	v_dual_min_f32 v3, v12, v0 :: v_dual_min_f32 v148, v158, v46
	v_min_f32_e32 v197, v38, v134
	v_min_f32_e32 v185, v146, v34
	v_dual_max_f32 v164, v30, v30 :: v_dual_min_f32 v31, v36, v4
	v_dual_max_f32 v30, v5, v5 :: v_dual_min_f32 v29, v32, v4
	v_dual_min_f32 v5, v16, v0 :: v_dual_min_f32 v150, v38, v1
	v_add_co_u32 v0, vcc_lo, v124, v74
	v_dual_max_f32 v152, v47, v47 :: v_dual_min_f32 v139, v16, v44
	v_dual_max_f32 v212, v35, v35 :: v_dual_min_f32 v35, v12, v8
	v_max_f32_e32 v166, v26, v26
	v_dual_max_f32 v168, v22, v22 :: v_dual_min_f32 v23, v20, v4
	v_dual_max_f32 v170, v18, v18 :: v_dual_min_f32 v21, v16, v4
	v_dual_min_f32 v222, v136, v134 :: v_dual_min_f32 v161, v138, v1
	v_dual_max_f32 v214, v27, v27 :: v_dual_min_f32 v25, v24, v4
	v_dual_max_f32 v216, v19, v19 :: v_dual_min_f32 v19, v12, v4
	v_dual_min_f32 v220, v40, v44 :: v_dual_min_f32 v181, v38, v34
	v_min_f32_e32 v37, v16, v8
	v_min_f32_e32 v27, v28, v4
	;; [unrolled: 1-line block ×8, first 2 shown]
	v_add_co_ci_u32_e32 v1, vcc_lo, 0, v125, vcc_lo
	v_min_f32_e32 v47, v36, v8
	v_min_f32_e32 v41, v24, v8
	v_dual_min_f32 v207, v140, v134 :: v_dual_min_f32 v208, v213, v152
	v_dual_min_f32 v203, v144, v134 :: v_dual_min_f32 v206, v214, v152
	;; [unrolled: 1-line block ×4, first 2 shown]
	v_min_f32_e32 v187, v144, v34
	v_min_f32_e32 v179, v136, v30
	v_dual_min_f32 v177, v138, v30 :: v_dual_min_f32 v210, v160, v152
	v_min_f32_e32 v175, v140, v30
	v_dual_min_f32 v173, v142, v30 :: v_dual_min_f32 v202, v216, v152
	v_min_f32_e32 v171, v144, v30
	v_min_f32_e32 v169, v146, v30
	;; [unrolled: 1-line block ×10, first 2 shown]
	v_dual_min_f32 v46, v158, v10 :: v_dual_min_f32 v209, v212, v152
	v_dual_min_f32 v44, v162, v10 :: v_dual_add_f32 v133, v220, v133
	v_dual_min_f32 v32, v154, v6 :: v_dual_add_f32 v111, v139, v111
	;; [unrolled: 1-line block ×5, first 2 shown]
	v_min_f32_e32 v178, v212, v218
	v_min_f32_e32 v162, v212, v219
	v_dual_add_f32 v212, v222, v132 :: v_dual_add_f32 v21, v21, v78
	flat_load_b32 v132, v[48:49] offset:32
	v_min_f32_e32 v167, v42, v30
	v_dual_min_f32 v134, v154, v10 :: v_dual_min_f32 v211, v156, v152
	v_min_f32_e32 v42, v164, v10
	v_dual_min_f32 v40, v166, v10 :: v_dual_add_f32 v129, v147, v129
	v_dual_min_f32 v38, v168, v10 :: v_dual_add_f32 v117, v145, v117
	v_dual_min_f32 v36, v170, v10 :: v_dual_add_f32 v115, v143, v115
	v_dual_min_f32 v34, v172, v10 :: v_dual_add_f32 v113, v141, v113
	v_dual_min_f32 v30, v158, v6 :: v_dual_add_f32 v109, v137, v109
	v_dual_min_f32 v26, v164, v6 :: v_dual_add_f32 v47, v47, v105
	v_dual_min_f32 v16, v154, v2 :: v_dual_add_f32 v37, v37, v95
	v_dual_min_f32 v14, v158, v2 :: v_dual_add_f32 v35, v35, v93
	v_dual_min_f32 v10, v164, v2 :: v_dual_add_f32 v31, v31, v89
	v_dual_min_f32 v196, v160, v174 :: v_dual_add_f32 v19, v19, v73
	v_dual_min_f32 v192, v213, v174 :: v_dual_add_f32 v15, v15, v69
	v_dual_min_f32 v190, v214, v174 :: v_dual_add_f32 v65, v159, v65
	v_dual_min_f32 v188, v215, v174 :: v_dual_add_f32 v9, v9, v59
	v_dual_min_f32 v186, v216, v174 :: v_dual_add_f32 v7, v7, v57
	v_dual_min_f32 v184, v217, v174 :: v_dual_add_f32 v3, v3, v53
	v_min_f32_e32 v176, v213, v218
	v_min_f32_e32 v164, v160, v219
	v_dual_min_f32 v198, v156, v174 :: v_dual_add_f32 v77, v167, v77
	v_min_f32_e32 v158, v214, v219
	v_min_f32_e32 v154, v216, v219
	;; [unrolled: 1-line block ×4, first 2 shown]
	v_add_f32_e32 v213, v221, v131
	flat_load_b32 v131, v[50:51] offset:32
	v_dual_add_f32 v116, v205, v116 :: v_dual_add_f32 v11, v11, v62
	v_min_f32_e32 v174, v214, v218
	v_add_f32_e32 v214, v223, v130
	flat_load_b32 v130, v[0:1] offset:32
	v_dual_min_f32 v24, v166, v6 :: v_dual_add_f32 v45, v45, v103
	v_dual_min_f32 v22, v168, v6 :: v_dual_add_f32 v43, v43, v101
	v_dual_min_f32 v20, v170, v6 :: v_dual_add_f32 v41, v41, v99
	v_dual_min_f32 v18, v172, v6 :: v_dual_add_f32 v39, v39, v97
	v_dual_min_f32 v8, v166, v2 :: v_dual_add_f32 v29, v29, v87
	v_dual_min_f32 v6, v168, v2 :: v_dual_add_f32 v27, v27, v85
	v_dual_min_f32 v4, v170, v2 :: v_dual_add_f32 v25, v25, v83
	v_dual_min_f32 v2, v172, v2 :: v_dual_add_f32 v23, v23, v81
	v_dual_add_f32 v128, v207, v128 :: v_dual_add_f32 v13, v13, v66
	v_dual_add_f32 v5, v5, v54 :: v_dual_add_f32 v54, v151, v55
	v_dual_min_f32 v170, v216, v218 :: v_dual_add_f32 v95, v134, v107
	v_dual_add_f32 v110, v199, v110 :: v_dual_add_f32 v91, v136, v109
	v_add_f32_e32 v70, v163, v70
	v_add_f32_e32 v68, v161, v68
	v_dual_add_f32 v60, v157, v60 :: v_dual_add_f32 v135, v4, v5
	v_add_f32_e32 v55, v149, v133
	v_add_f32_e32 v62, v209, v128
	;; [unrolled: 1-line block ×3, first 2 shown]
	v_dual_add_f32 v128, v12, v13 :: v_dual_add_f32 v129, v10, v11
	v_dual_add_f32 v133, v8, v9 :: v_dual_add_f32 v134, v6, v7
	v_add_f32_e32 v136, v2, v3
	v_add_f32_e32 v108, v197, v108
	;; [unrolled: 1-line block ×3, first 2 shown]
	v_dual_add_f32 v104, v193, v104 :: v_dual_add_f32 v85, v202, v110
	v_add_f32_e32 v106, v195, v106
	v_dual_add_f32 v102, v191, v102 :: v_dual_add_f32 v99, v46, v47
	v_dual_add_f32 v83, v140, v113 :: v_dual_add_f32 v112, v201, v112
	v_add_f32_e32 v57, v210, v214
	v_dual_min_f32 v182, v156, v218 :: v_dual_add_f32 v53, v211, v212
	v_dual_min_f32 v172, v215, v218 :: v_dual_add_f32 v71, v144, v117
	s_delay_alu instid0(VALU_DEP_4)
	v_dual_min_f32 v168, v217, v218 :: v_dual_add_f32 v81, v204, v112
	v_min_f32_e32 v166, v156, v219
	v_min_f32_e32 v156, v215, v219
	;; [unrolled: 1-line block ×3, first 2 shown]
	v_dual_add_f32 v98, v187, v98 :: v_dual_add_f32 v103, v42, v43
	v_dual_add_f32 v96, v185, v96 :: v_dual_add_f32 v101, v194, v102
	;; [unrolled: 1-line block ×5, first 2 shown]
	v_add_f32_e32 v88, v177, v88
	v_dual_add_f32 v86, v175, v86 :: v_dual_add_f32 v113, v22, v23
	v_add_f32_e32 v82, v171, v82
	v_dual_add_f32 v80, v169, v80 :: v_dual_add_f32 v117, v14, v15
	v_add_f32_e32 v69, v208, v116
	v_add_f32_e32 v87, v138, v111
	;; [unrolled: 1-line block ×5, first 2 shown]
	v_dual_add_f32 v100, v189, v100 :: v_dual_add_f32 v93, v198, v106
	v_add_f32_e32 v102, v44, v45
	v_add_f32_e32 v104, v40, v41
	v_add_f32_e32 v106, v36, v37
	v_add_f32_e32 v108, v32, v33
	v_dual_add_f32 v110, v28, v29 :: v_dual_add_f32 v111, v26, v27
	v_add_f32_e32 v114, v20, v21
	v_add_f32_e32 v116, v16, v17
	v_dual_add_f32 v84, v173, v84 :: v_dual_add_f32 v77, v170, v77
	v_dual_add_f32 v72, v165, v72 :: v_dual_add_f32 v65, v162, v65
	v_add_f32_e32 v59, v148, v213
	v_add_co_u32 v124, vcc_lo, v124, 32
	v_add_co_ci_u32_e32 v125, vcc_lo, 0, v125, vcc_lo
	v_add_co_u32 v126, vcc_lo, v126, 32
	v_add_co_ci_u32_e32 v127, vcc_lo, 0, v127, vcc_lo
	;; [unrolled: 2-line block ×3, first 2 shown]
	s_add_i32 s10, s10, 8
	s_waitcnt vmcnt(2) lgkmcnt(2)
	ds_store_b32 v118, v132
	s_waitcnt vmcnt(0) lgkmcnt(1)
	ds_store_2addr_stride64_b32 v79, v131, v130 offset1:4
	s_waitcnt lgkmcnt(0)
	s_barrier
	buffer_gl0_inv
	ds_load_b128 v[2:5], v64
	ds_load_b128 v[6:9], v119
	ds_load_b128 v[10:13], v119 offset:128
	flat_load_b32 v137, v[48:49] offset:48
	flat_load_b32 v50, v[50:51] offset:48
	;; [unrolled: 1-line block ×3, first 2 shown]
	v_add_f32_e32 v56, v153, v56
	v_add_f32_e32 v78, v142, v115
	v_dual_add_f32 v115, v18, v19 :: v_dual_add_f32 v58, v155, v58
	v_add_f32_e32 v52, v150, v52
	v_add_f32_e32 v98, v190, v98
	s_cmp_ge_i32 s10, s8
	s_waitcnt lgkmcnt(5)
	v_max_f32_e32 v1, v2, v2
	s_waitcnt lgkmcnt(4)
	v_max_f32_e32 v2, v6, v6
	s_waitcnt lgkmcnt(3)
	v_dual_max_f32 v6, v7, v7 :: v_dual_max_f32 v7, v10, v10
	v_add_f32_e32 v112, v24, v25
	ds_load_b128 v[14:17], v119 offset:256
	ds_load_b128 v[18:21], v119 offset:384
	;; [unrolled: 1-line block ×9, first 2 shown]
	v_add_f32_e32 v100, v192, v100
	v_add_f32_e32 v96, v188, v96
	;; [unrolled: 1-line block ×3, first 2 shown]
	v_dual_add_f32 v84, v176, v84 :: v_dual_max_f32 v3, v3, v3
	v_max_f32_e32 v10, v11, v11
	v_add_f32_e32 v94, v186, v94
	v_add_f32_e32 v90, v182, v90
	;; [unrolled: 1-line block ×5, first 2 shown]
	s_waitcnt lgkmcnt(8)
	v_dual_max_f32 v11, v14, v14 :: v_dual_max_f32 v14, v15, v15
	s_waitcnt lgkmcnt(7)
	v_dual_max_f32 v15, v18, v18 :: v_dual_max_f32 v18, v19, v19
	;; [unrolled: 2-line block ×7, first 2 shown]
	v_max_f32_e32 v32, v32, v32
	s_waitcnt lgkmcnt(1)
	v_dual_max_f32 v38, v39, v39 :: v_dual_max_f32 v39, v42, v42
	v_max_f32_e32 v4, v4, v4
	v_max_f32_e32 v40, v40, v40
	s_waitcnt lgkmcnt(0)
	v_dual_max_f32 v42, v43, v43 :: v_dual_max_f32 v43, v46, v46
	v_max_f32_e32 v12, v12, v12
	v_dual_add_f32 v80, v172, v80 :: v_dual_max_f32 v37, v37, v37
	v_dual_add_f32 v72, v168, v72 :: v_dual_max_f32 v41, v41, v41
	;; [unrolled: 1-line block ×3, first 2 shown]
	v_dual_add_f32 v60, v160, v60 :: v_dual_min_f32 v51, v7, v1
	v_dual_add_f32 v56, v156, v56 :: v_dual_min_f32 v139, v27, v1
	;; [unrolled: 1-line block ×3, first 2 shown]
	v_dual_max_f32 v5, v5, v5 :: v_dual_add_f32 v58, v158, v58
	v_dual_min_f32 v131, v15, v1 :: v_dual_max_f32 v8, v8, v8
	v_max_f32_e32 v9, v9, v9
	v_dual_max_f32 v13, v13, v13 :: v_dual_max_f32 v16, v16, v16
	v_dual_max_f32 v17, v17, v17 :: v_dual_max_f32 v20, v20, v20
	v_max_f32_e32 v21, v21, v21
	v_dual_max_f32 v25, v25, v25 :: v_dual_max_f32 v28, v28, v28
	v_max_f32_e32 v29, v29, v29
	v_dual_max_f32 v33, v33, v33 :: v_dual_max_f32 v36, v36, v36
	v_min_f32_e32 v132, v19, v1
	v_min_f32_e32 v138, v23, v1
	;; [unrolled: 1-line block ×7, first 2 shown]
	v_dual_min_f32 v150, v15, v39 :: v_dual_min_f32 v195, v17, v5
	v_dual_min_f32 v151, v19, v39 :: v_dual_add_f32 v68, v164, v68
	v_dual_add_f32 v52, v152, v52 :: v_dual_min_f32 v147, v2, v39
	v_dual_min_f32 v152, v23, v39 :: v_dual_min_f32 v197, v25, v5
	v_min_f32_e32 v153, v27, v39
	v_min_f32_e32 v39, v31, v39
	;; [unrolled: 1-line block ×4, first 2 shown]
	v_dual_max_f32 v46, v47, v47 :: v_dual_max_f32 v47, v48, v48
	v_max_f32_e32 v48, v49, v49
	v_min_f32_e32 v49, v2, v1
	v_min_f32_e32 v23, v23, v43
	;; [unrolled: 1-line block ×7, first 2 shown]
	v_dual_min_f32 v165, v26, v38 :: v_dual_max_f32 v44, v44, v44
	v_min_f32_e32 v155, v14, v3
	v_min_f32_e32 v140, v2, v35
	;; [unrolled: 1-line block ×5, first 2 shown]
	v_dual_min_f32 v2, v2, v43 :: v_dual_min_f32 v199, v33, v5
	v_min_f32_e32 v19, v19, v43
	v_dual_min_f32 v177, v24, v4 :: v_dual_min_f32 v130, v11, v1
	v_min_f32_e32 v159, v30, v3
	v_min_f32_e32 v1, v31, v1
	;; [unrolled: 1-line block ×7, first 2 shown]
	v_dual_min_f32 v156, v18, v3 :: v_dual_min_f32 v201, v13, v41
	v_min_f32_e32 v169, v14, v42
	v_min_f32_e32 v157, v22, v3
	;; [unrolled: 1-line block ×3, first 2 shown]
	v_dual_min_f32 v158, v26, v3 :: v_dual_min_f32 v203, v21, v41
	v_min_f32_e32 v173, v30, v42
	v_min_f32_e32 v3, v34, v3
	v_dual_min_f32 v160, v6, v38 :: v_dual_min_f32 v205, v29, v41
	v_min_f32_e32 v162, v14, v38
	v_dual_min_f32 v164, v22, v38 :: v_dual_min_f32 v207, v9, v45
	v_dual_min_f32 v166, v30, v38 :: v_dual_min_f32 v209, v17, v45
	;; [unrolled: 1-line block ×4, first 2 shown]
	v_min_f32_e32 v170, v18, v42
	v_min_f32_e32 v172, v26, v42
	;; [unrolled: 1-line block ×9, first 2 shown]
	v_dual_min_f32 v183, v20, v40 :: v_dual_min_f32 v6, v6, v46
	v_min_f32_e32 v10, v10, v46
	v_min_f32_e32 v14, v14, v46
	;; [unrolled: 1-line block ×5, first 2 shown]
	v_dual_min_f32 v30, v30, v46 :: v_dual_add_f32 v43, v43, v53
	v_min_f32_e32 v34, v34, v46
	v_min_f32_e32 v46, v8, v4
	v_dual_min_f32 v184, v24, v40 :: v_dual_add_f32 v1, v1, v91
	v_min_f32_e32 v185, v28, v40
	v_min_f32_e32 v4, v36, v4
	;; [unrolled: 3-line block ×3, first 2 shown]
	v_min_f32_e32 v188, v12, v44
	v_min_f32_e32 v189, v16, v44
	v_dual_min_f32 v190, v20, v44 :: v_dual_add_f32 v89, v142, v102
	v_min_f32_e32 v191, v24, v44
	v_min_f32_e32 v193, v32, v44
	;; [unrolled: 1-line block ×4, first 2 shown]
	v_dual_min_f32 v16, v16, v47 :: v_dual_add_f32 v77, v173, v77
	v_dual_min_f32 v20, v20, v47 :: v_dual_add_f32 v7, v7, v117
	;; [unrolled: 1-line block ×4, first 2 shown]
	v_min_f32_e32 v194, v13, v5
	v_min_f32_e32 v196, v21, v5
	v_dual_min_f32 v198, v29, v5 :: v_dual_add_f32 v35, v35, v107
	v_min_f32_e32 v200, v9, v41
	v_dual_min_f32 v202, v17, v41 :: v_dual_add_f32 v39, v39, v115
	v_dual_min_f32 v204, v25, v41 :: v_dual_add_f32 v27, v27, v135
	;; [unrolled: 1-line block ×3, first 2 shown]
	v_dual_min_f32 v41, v37, v41 :: v_dual_min_f32 v192, v28, v44
	v_dual_add_f32 v91, v162, v101 :: v_dual_min_f32 v44, v36, v44
	v_dual_min_f32 v28, v28, v47 :: v_dual_add_f32 v15, v15, v129
	v_dual_min_f32 v36, v36, v47 :: v_dual_add_f32 v23, v23, v134
	v_min_f32_e32 v47, v9, v5
	v_min_f32_e32 v5, v37, v5
	;; [unrolled: 1-line block ×10, first 2 shown]
	v_dual_add_f32 v53, v130, v66 :: v_dual_add_f32 v66, v157, v73
	v_add_f32_e32 v73, v139, v87
	v_dual_add_f32 v139, v146, v106 :: v_dual_min_f32 v210, v21, v45
	v_min_f32_e32 v45, v37, v45
	v_min_f32_e32 v21, v21, v48
	;; [unrolled: 1-line block ×3, first 2 shown]
	v_add_f32_e32 v48, v49, v55
	v_add_f32_e32 v49, v51, v59
	;; [unrolled: 1-line block ×5, first 2 shown]
	v_dual_add_f32 v57, v131, v71 :: v_dual_add_f32 v62, v132, v78
	v_add_f32_e32 v131, v174, v49
	v_dual_add_f32 v69, v138, v83 :: v_dual_add_f32 v78, v159, v85
	v_dual_add_f32 v83, v160, v93 :: v_dual_add_f32 v96, v165, v96
	v_add_f32_e32 v85, v141, v99
	v_add_f32_e32 v87, v161, v97
	v_dual_add_f32 v93, v143, v103 :: v_dual_add_f32 v142, v149, v110
	v_add_f32_e32 v143, v150, v111
	v_add_f32_e32 v71, v158, v81
	;; [unrolled: 1-line block ×5, first 2 shown]
	v_dual_add_f32 v98, v164, v98 :: v_dual_add_f32 v129, v175, v53
	v_add_f32_e32 v138, v145, v105
	v_dual_add_f32 v94, v166, v94 :: v_dual_add_f32 v141, v148, v109
	v_dual_add_f32 v38, v38, v92 :: v_dual_add_f32 v145, v152, v113
	;; [unrolled: 1-line block ×11, first 2 shown]
	v_add_f32_e32 v6, v6, v70
	v_dual_add_f32 v10, v10, v68 :: v_dual_add_f32 v81, v192, v145
	v_dual_add_f32 v14, v14, v65 :: v_dual_add_f32 v73, v44, v39
	;; [unrolled: 1-line block ×4, first 2 shown]
	v_add_f32_e32 v30, v30, v54
	s_delay_alu instid0(VALU_DEP_4)
	v_dual_add_f32 v34, v34, v52 :: v_dual_add_f32 v65, v17, v14
	v_dual_add_f32 v109, v4, v1 :: v_dual_add_f32 v2, v2, v116
	v_add_f32_e32 v104, v201, v87
	v_dual_add_f32 v87, v189, v142 :: v_dual_add_f32 v26, v26, v56
	v_add_f32_e32 v85, v190, v143
	;; [unrolled: 2-line block ×3, first 2 shown]
	v_add_f32_e32 v130, v194, v51
	v_add_f32_e32 v128, v195, v55
	v_dual_add_f32 v116, v196, v59 :: v_dual_add_f32 v115, v177, v62
	v_add_f32_e32 v112, v198, v71
	v_dual_add_f32 v110, v199, v78 :: v_dual_add_f32 v53, v36, v31
	v_add_f32_e32 v108, v5, v3
	v_add_f32_e32 v106, v200, v83
	v_add_f32_e32 v102, v202, v91
	v_add_f32_e32 v100, v203, v95
	v_add_f32_e32 v98, v204, v98
	v_add_f32_e32 v96, v205, v96
	v_add_f32_e32 v94, v206, v94
	v_dual_add_f32 v95, v186, v139 :: v_dual_add_f32 v92, v41, v38
	v_dual_add_f32 v93, v40, v35 :: v_dual_add_f32 v90, v207, v90
	;; [unrolled: 1-line block ×3, first 2 shown]
	v_add_f32_e32 v57, v28, v23
	v_add_f32_e32 v88, v208, v88
	;; [unrolled: 1-line block ×15, first 2 shown]
	v_dual_add_f32 v58, v25, v22 :: v_dual_add_f32 v59, v24, v19
	v_dual_add_f32 v132, v47, v43 :: v_dual_add_f32 v55, v33, v30
	v_add_f32_e32 v56, v29, v26
	v_add_f32_e32 v54, v32, v27
	;; [unrolled: 1-line block ×3, first 2 shown]
	s_waitcnt vmcnt(2)
	ds_store_b32 v120, v137
	s_waitcnt vmcnt(0)
	ds_store_2addr_stride64_b32 v121, v50, v0 offset1:4
	s_waitcnt lgkmcnt(0)
	s_barrier
	buffer_gl0_inv
	s_cbranch_scc0 .LBB34_11
.LBB34_12:
	s_load_b32 s8, s[0:1], 0x50
	v_add_nc_u32_e32 v48, s3, v63
	v_dual_mov_b32 v61, 0 :: v_dual_add_nc_u32 v46, s14, v61
	ds_load_b128 v[0:3], v67 offset:5120
	ds_load_b128 v[40:43], v64 offset:2048
	v_cmp_neq_f32_e64 s10, s9, 0
	v_ashrrev_i32_e32 v47, 31, v46
	v_mov_b32_e32 v50, 0
	s_delay_alu instid0(VALU_DEP_3) | instskip(NEXT) | instid1(VALU_DEP_2)
	s_and_b32 vcc_lo, exec_lo, s10
	v_lshlrev_b64 v[44:45], 2, v[46:47]
	s_waitcnt lgkmcnt(0)
	v_mad_i64_i32 v[4:5], null, v48, s8, 0
	s_delay_alu instid0(VALU_DEP_1) | instskip(NEXT) | instid1(VALU_DEP_1)
	v_lshlrev_b64 v[4:5], 2, v[4:5]
	v_add_co_u32 v118, s3, s4, v4
	s_delay_alu instid0(VALU_DEP_1)
	v_add_co_ci_u32_e64 v119, s3, s5, v5, s3
	s_cbranch_vccz .LBB34_14
; %bb.13:
	s_delay_alu instid0(VALU_DEP_2) | instskip(NEXT) | instid1(VALU_DEP_2)
	v_add_co_u32 v4, vcc_lo, v118, v44
	v_add_co_ci_u32_e32 v5, vcc_lo, v119, v45, vcc_lo
	flat_load_b32 v4, v[4:5]
	s_waitcnt vmcnt(0) lgkmcnt(0)
	v_mul_f32_e32 v50, s9, v4
.LBB34_14:
	ds_load_b128 v[36:39], v67 offset:5248
	ds_load_b128 v[32:35], v67 offset:5376
	;; [unrolled: 1-line block ×4, first 2 shown]
	s_clause 0x1
	s_load_b32 s3, s[0:1], 0x68
	s_load_b64 s[0:1], s[0:1], 0x70
	v_dual_max_f32 v120, v40, v40 :: v_dual_max_f32 v121, v41, v41
	v_dual_max_f32 v47, v0, v0 :: v_dual_max_f32 v122, v43, v43
	v_max_f32_e32 v49, v1, v1
	v_max_f32_e32 v43, v3, v3
	s_delay_alu instid0(VALU_DEP_3) | instskip(NEXT) | instid1(VALU_DEP_3)
	v_dual_max_f32 v123, v42, v42 :: v_dual_min_f32 v0, v47, v120
	v_dual_max_f32 v42, v2, v2 :: v_dual_min_f32 v1, v49, v121
	ds_load_b128 v[20:23], v67 offset:5760
	ds_load_b128 v[16:19], v67 offset:5888
	;; [unrolled: 1-line block ×3, first 2 shown]
	v_dual_add_f32 v51, v0, v133 :: v_dual_min_f32 v74, v42, v123
	v_add_f32_e32 v63, v1, v132
	v_min_f32_e32 v67, v43, v122
	ds_load_b128 v[8:11], v64 offset:2560
	ds_load_b128 v[4:7], v64 offset:3072
	;; [unrolled: 1-line block ×3, first 2 shown]
	s_waitcnt lgkmcnt(0)
	v_mad_i64_i32 v[40:41], null, v48, s3, 0
	v_add_f32_e32 v67, v67, v63
	v_add_f32_e32 v51, v74, v51
	s_lshl_b64 s[12:13], s[0:1], 2
	v_add_nc_u32_e32 v63, 8, v46
	s_add_u32 s1, s6, s12
	s_addc_u32 s6, s7, s13
	s_delay_alu instid0(VALU_DEP_4) | instskip(SKIP_3) | instid1(VALU_DEP_3)
	v_lshlrev_b64 v[40:41], 2, v[40:41]
	v_add_f32_e32 v51, v51, v67
	v_ashrrev_i32_e32 v64, 31, v63
	v_cndmask_b32_e64 v67, 0, 1, s10
	v_add_f32_e32 v74, v51, v50
	v_add_co_u32 v124, vcc_lo, s1, v40
	v_add_co_ci_u32_e32 v125, vcc_lo, s6, v41, vcc_lo
	v_lshlrev_b64 v[40:41], 2, v[63:64]
	s_delay_alu instid0(VALU_DEP_3) | instskip(SKIP_1) | instid1(VALU_DEP_4)
	v_add_co_u32 v50, vcc_lo, v124, v44
	v_cmp_ne_u32_e64 s0, 1, v67
	v_add_co_ci_u32_e32 v51, vcc_lo, v125, v45, vcc_lo
	s_and_not1_b32 vcc_lo, exec_lo, s10
	global_store_b32 v[50:51], v74, off
	s_cbranch_vccnz .LBB34_16
; %bb.15:
	v_add_co_u32 v50, vcc_lo, v118, v40
	v_add_co_ci_u32_e32 v51, vcc_lo, v119, v41, vcc_lo
	flat_load_b32 v50, v[50:51]
	s_waitcnt vmcnt(0) lgkmcnt(0)
	v_mul_f32_e32 v61, s9, v50
.LBB34_16:
	v_dual_max_f32 v51, v37, v37 :: v_dual_max_f32 v50, v36, v36
	v_dual_max_f32 v38, v38, v38 :: v_dual_max_f32 v39, v39, v39
	v_add_co_u32 v75, vcc_lo, v124, v40
	s_delay_alu instid0(VALU_DEP_3) | instskip(NEXT) | instid1(VALU_DEP_3)
	v_dual_min_f32 v36, v51, v121 :: v_dual_min_f32 v37, v50, v120
	v_dual_min_f32 v63, v38, v123 :: v_dual_min_f32 v64, v39, v122
	s_delay_alu instid0(VALU_DEP_2) | instskip(NEXT) | instid1(VALU_DEP_3)
	v_dual_mov_b32 v74, 0 :: v_dual_add_f32 v67, v36, v130
	v_dual_add_f32 v37, v37, v131 :: v_dual_add_nc_u32 v36, 16, v46
	v_add_co_ci_u32_e32 v76, vcc_lo, v125, v41, vcc_lo
	s_delay_alu instid0(VALU_DEP_2) | instskip(NEXT) | instid1(VALU_DEP_3)
	v_dual_add_f32 v64, v64, v67 :: v_dual_add_f32 v63, v63, v37
	v_ashrrev_i32_e32 v37, 31, v36
	s_and_b32 vcc_lo, exec_lo, s0
	s_delay_alu instid0(VALU_DEP_2) | instskip(NEXT) | instid1(VALU_DEP_2)
	v_dual_add_f32 v63, v63, v64 :: v_dual_mov_b32 v64, 0
	v_lshlrev_b64 v[36:37], 2, v[36:37]
	s_delay_alu instid0(VALU_DEP_2)
	v_add_f32_e32 v61, v63, v61
	global_store_b32 v[75:76], v61, off
	s_cbranch_vccnz .LBB34_18
; %bb.17:
	v_add_co_u32 v63, vcc_lo, v118, v36
	v_add_co_ci_u32_e32 v64, vcc_lo, v119, v37, vcc_lo
	flat_load_b32 v61, v[63:64]
	s_waitcnt vmcnt(0) lgkmcnt(0)
	v_mul_f32_e32 v64, s9, v61
.LBB34_18:
	v_dual_max_f32 v63, v33, v33 :: v_dual_max_f32 v34, v34, v34
	s_delay_alu instid0(VALU_DEP_1) | instskip(SKIP_1) | instid1(VALU_DEP_2)
	v_dual_max_f32 v61, v32, v32 :: v_dual_min_f32 v32, v63, v121
	v_max_f32_e32 v35, v35, v35
	v_min_f32_e32 v33, v61, v120
	s_delay_alu instid0(VALU_DEP_3) | instskip(SKIP_1) | instid1(VALU_DEP_4)
	v_dual_min_f32 v67, v34, v123 :: v_dual_add_f32 v76, v32, v128
	v_add_nc_u32_e32 v32, 24, v46
	v_min_f32_e32 v75, v35, v122
	s_delay_alu instid0(VALU_DEP_4) | instskip(NEXT) | instid1(VALU_DEP_2)
	v_add_f32_e32 v33, v33, v129
	v_add_f32_e32 v75, v75, v76
	s_delay_alu instid0(VALU_DEP_2) | instskip(SKIP_1) | instid1(VALU_DEP_2)
	v_add_f32_e32 v67, v67, v33
	v_ashrrev_i32_e32 v33, 31, v32
	v_add_f32_e32 v67, v67, v75
	v_add_co_u32 v75, vcc_lo, v124, v36
	s_delay_alu instid0(VALU_DEP_3) | instskip(SKIP_1) | instid1(VALU_DEP_4)
	v_lshlrev_b64 v[32:33], 2, v[32:33]
	v_add_co_ci_u32_e32 v76, vcc_lo, v125, v37, vcc_lo
	v_add_f32_e32 v64, v67, v64
	s_and_b32 vcc_lo, exec_lo, s0
	global_store_b32 v[75:76], v64, off
	s_cbranch_vccnz .LBB34_20
; %bb.19:
	v_add_co_u32 v74, vcc_lo, v118, v32
	v_add_co_ci_u32_e32 v75, vcc_lo, v119, v33, vcc_lo
	flat_load_b32 v64, v[74:75]
	s_waitcnt vmcnt(0) lgkmcnt(0)
	v_mul_f32_e32 v74, s9, v64
.LBB34_20:
	v_dual_max_f32 v67, v29, v29 :: v_dual_max_f32 v64, v28, v28
	v_dual_max_f32 v30, v30, v30 :: v_dual_max_f32 v31, v31, v31
	v_add_co_u32 v126, vcc_lo, v124, v32
	s_delay_alu instid0(VALU_DEP_3) | instskip(NEXT) | instid1(VALU_DEP_3)
	v_dual_min_f32 v28, v67, v121 :: v_dual_min_f32 v29, v64, v120
	v_dual_min_f32 v75, v30, v123 :: v_dual_min_f32 v76, v31, v122
	v_add_co_ci_u32_e32 v127, vcc_lo, v125, v33, vcc_lo
	s_delay_alu instid0(VALU_DEP_3) | instskip(NEXT) | instid1(VALU_DEP_4)
	v_dual_add_f32 v79, v28, v116 :: v_dual_add_nc_u32 v28, 32, v46
	v_dual_add_f32 v29, v29, v117 :: v_dual_mov_b32 v116, 0
	s_and_b32 vcc_lo, exec_lo, s0
	s_delay_alu instid0(VALU_DEP_1) | instskip(NEXT) | instid1(VALU_DEP_3)
	v_dual_add_f32 v76, v76, v79 :: v_dual_add_f32 v75, v75, v29
	v_ashrrev_i32_e32 v29, 31, v28
	s_delay_alu instid0(VALU_DEP_2) | instskip(NEXT) | instid1(VALU_DEP_2)
	v_dual_add_f32 v75, v75, v76 :: v_dual_mov_b32 v76, 0
	v_lshlrev_b64 v[28:29], 2, v[28:29]
	s_delay_alu instid0(VALU_DEP_2)
	v_add_f32_e32 v74, v75, v74
	global_store_b32 v[126:127], v74, off
	s_cbranch_vccnz .LBB34_22
; %bb.21:
	v_add_co_u32 v74, vcc_lo, v118, v28
	v_add_co_ci_u32_e32 v75, vcc_lo, v119, v29, vcc_lo
	flat_load_b32 v74, v[74:75]
	s_waitcnt vmcnt(0) lgkmcnt(0)
	v_mul_f32_e32 v76, s9, v74
.LBB34_22:
	v_dual_max_f32 v75, v25, v25 :: v_dual_max_f32 v74, v24, v24
	v_dual_max_f32 v26, v26, v26 :: v_dual_max_f32 v27, v27, v27
	s_delay_alu instid0(VALU_DEP_2) | instskip(NEXT) | instid1(VALU_DEP_2)
	v_dual_min_f32 v24, v75, v121 :: v_dual_min_f32 v25, v74, v120
	v_min_f32_e32 v79, v26, v123
	s_delay_alu instid0(VALU_DEP_3) | instskip(NEXT) | instid1(VALU_DEP_3)
	v_min_f32_e32 v117, v27, v122
	v_dual_add_f32 v114, v24, v114 :: v_dual_add_f32 v25, v25, v115
	v_add_nc_u32_e32 v24, 40, v46
	s_delay_alu instid0(VALU_DEP_2) | instskip(NEXT) | instid1(VALU_DEP_2)
	v_dual_add_f32 v114, v117, v114 :: v_dual_add_f32 v79, v79, v25
	v_ashrrev_i32_e32 v25, 31, v24
	s_delay_alu instid0(VALU_DEP_2) | instskip(SKIP_1) | instid1(VALU_DEP_3)
	v_add_f32_e32 v79, v79, v114
	v_add_co_u32 v114, vcc_lo, v124, v28
	v_lshlrev_b64 v[24:25], 2, v[24:25]
	v_add_co_ci_u32_e32 v115, vcc_lo, v125, v29, vcc_lo
	s_delay_alu instid0(VALU_DEP_4)
	v_add_f32_e32 v76, v79, v76
	s_and_b32 vcc_lo, exec_lo, s0
	global_store_b32 v[114:115], v76, off
	s_cbranch_vccnz .LBB34_24
; %bb.23:
	v_add_co_u32 v114, vcc_lo, v118, v24
	v_add_co_ci_u32_e32 v115, vcc_lo, v119, v25, vcc_lo
	flat_load_b32 v76, v[114:115]
	s_waitcnt vmcnt(0) lgkmcnt(0)
	v_mul_f32_e32 v116, s9, v76
.LBB34_24:
	v_dual_max_f32 v79, v21, v21 :: v_dual_max_f32 v76, v20, v20
	v_dual_max_f32 v22, v22, v22 :: v_dual_max_f32 v23, v23, v23
	s_delay_alu instid0(VALU_DEP_2) | instskip(NEXT) | instid1(VALU_DEP_2)
	v_dual_min_f32 v20, v79, v121 :: v_dual_min_f32 v21, v76, v120
	v_dual_min_f32 v114, v22, v123 :: v_dual_min_f32 v115, v23, v122
	s_delay_alu instid0(VALU_DEP_2) | instskip(SKIP_1) | instid1(VALU_DEP_2)
	v_dual_add_f32 v112, v20, v112 :: v_dual_add_f32 v21, v21, v113
	v_add_nc_u32_e32 v20, 48, v46
	v_dual_add_f32 v112, v115, v112 :: v_dual_add_f32 v113, v114, v21
	s_delay_alu instid0(VALU_DEP_2) | instskip(NEXT) | instid1(VALU_DEP_2)
	v_ashrrev_i32_e32 v21, 31, v20
	v_dual_mov_b32 v114, 0 :: v_dual_add_f32 v115, v113, v112
	v_add_co_u32 v112, vcc_lo, v124, v24
	s_delay_alu instid0(VALU_DEP_3) | instskip(SKIP_1) | instid1(VALU_DEP_4)
	v_lshlrev_b64 v[20:21], 2, v[20:21]
	v_add_co_ci_u32_e32 v113, vcc_lo, v125, v25, vcc_lo
	v_dual_add_f32 v116, v115, v116 :: v_dual_mov_b32 v115, 0
	s_and_b32 vcc_lo, exec_lo, s0
	global_store_b32 v[112:113], v116, off
	s_cbranch_vccnz .LBB34_26
; %bb.25:
	v_add_co_u32 v112, vcc_lo, v118, v20
	v_add_co_ci_u32_e32 v113, vcc_lo, v119, v21, vcc_lo
	flat_load_b32 v112, v[112:113]
	s_waitcnt vmcnt(0) lgkmcnt(0)
	v_mul_f32_e32 v115, s9, v112
.LBB34_26:
	v_dual_max_f32 v113, v17, v17 :: v_dual_max_f32 v112, v16, v16
	v_dual_max_f32 v18, v18, v18 :: v_dual_max_f32 v19, v19, v19
	s_delay_alu instid0(VALU_DEP_2) | instskip(NEXT) | instid1(VALU_DEP_2)
	v_dual_min_f32 v16, v113, v121 :: v_dual_min_f32 v17, v112, v120
	v_dual_min_f32 v116, v18, v123 :: v_dual_min_f32 v117, v19, v122
	s_delay_alu instid0(VALU_DEP_2) | instskip(SKIP_1) | instid1(VALU_DEP_2)
	v_dual_add_f32 v110, v16, v110 :: v_dual_add_f32 v17, v17, v111
	v_add_nc_u32_e32 v16, 56, v46
	v_add_f32_e32 v46, v117, v110
	s_delay_alu instid0(VALU_DEP_3) | instskip(NEXT) | instid1(VALU_DEP_3)
	v_add_f32_e32 v110, v116, v17
	v_ashrrev_i32_e32 v17, 31, v16
	s_delay_alu instid0(VALU_DEP_2) | instskip(SKIP_1) | instid1(VALU_DEP_3)
	v_add_f32_e32 v46, v110, v46
	v_add_co_u32 v110, vcc_lo, v124, v20
	v_lshlrev_b64 v[16:17], 2, v[16:17]
	v_add_co_ci_u32_e32 v111, vcc_lo, v125, v21, vcc_lo
	s_delay_alu instid0(VALU_DEP_4)
	v_add_f32_e32 v46, v46, v115
	s_and_b32 vcc_lo, exec_lo, s0
	global_store_b32 v[110:111], v46, off
	s_cbranch_vccnz .LBB34_28
; %bb.27:
	v_add_co_u32 v110, vcc_lo, v118, v16
	v_add_co_ci_u32_e32 v111, vcc_lo, v119, v17, vcc_lo
	flat_load_b32 v46, v[110:111]
	s_waitcnt vmcnt(0) lgkmcnt(0)
	v_mul_f32_e32 v114, s9, v46
.LBB34_28:
	v_dual_max_f32 v12, v12, v12 :: v_dual_max_f32 v13, v13, v13
	v_dual_max_f32 v14, v14, v14 :: v_dual_add_nc_u32 v115, 32, v48
	s_delay_alu instid0(VALU_DEP_2) | instskip(NEXT) | instid1(VALU_DEP_2)
	v_dual_max_f32 v15, v15, v15 :: v_dual_min_f32 v46, v12, v120
	v_dual_min_f32 v116, v13, v121 :: v_dual_min_f32 v117, v14, v123
	s_delay_alu instid0(VALU_DEP_3) | instskip(NEXT) | instid1(VALU_DEP_3)
	v_mad_i64_i32 v[110:111], null, v115, s8, 0
	v_min_f32_e32 v118, v15, v122
	s_delay_alu instid0(VALU_DEP_3) | instskip(SKIP_1) | instid1(VALU_DEP_4)
	v_add_f32_e32 v116, v116, v108
	v_add_f32_e32 v46, v46, v109
	v_lshlrev_b64 v[108:109], 2, v[110:111]
	s_delay_alu instid0(VALU_DEP_3) | instskip(NEXT) | instid1(VALU_DEP_3)
	v_add_f32_e32 v116, v118, v116
	v_add_f32_e32 v46, v117, v46
	v_add_co_u32 v110, vcc_lo, v124, v16
	v_add_co_ci_u32_e32 v111, vcc_lo, v125, v17, vcc_lo
	s_delay_alu instid0(VALU_DEP_3) | instskip(SKIP_2) | instid1(VALU_DEP_3)
	v_add_f32_e32 v116, v46, v116
	v_add_co_u32 v46, vcc_lo, s4, v108
	v_add_co_ci_u32_e32 v108, vcc_lo, s5, v109, vcc_lo
	v_dual_add_f32 v109, v116, v114 :: v_dual_mov_b32 v114, 0
	v_mov_b32_e32 v116, 0
	s_and_b32 vcc_lo, exec_lo, s0
	global_store_b32 v[110:111], v109, off
	s_cbranch_vccnz .LBB34_30
; %bb.29:
	v_add_co_u32 v109, vcc_lo, v46, v44
	v_add_co_ci_u32_e32 v110, vcc_lo, v108, v45, vcc_lo
	flat_load_b32 v109, v[109:110]
	s_waitcnt vmcnt(0) lgkmcnt(0)
	v_mul_f32_e32 v116, s9, v109
.LBB34_30:
	v_dual_max_f32 v109, v8, v8 :: v_dual_max_f32 v110, v9, v9
	v_dual_max_f32 v111, v10, v10 :: v_dual_max_f32 v8, v11, v11
	v_mad_i64_i32 v[9:10], null, v115, s3, 0
	s_delay_alu instid0(VALU_DEP_3) | instskip(NEXT) | instid1(VALU_DEP_3)
	v_min_f32_e32 v117, v49, v110
	v_dual_min_f32 v115, v42, v111 :: v_dual_min_f32 v118, v43, v8
	s_delay_alu instid0(VALU_DEP_2) | instskip(NEXT) | instid1(VALU_DEP_4)
	v_dual_min_f32 v11, v47, v109 :: v_dual_add_f32 v106, v117, v106
	v_lshlrev_b64 v[9:10], 2, v[9:10]
	s_delay_alu instid0(VALU_DEP_2) | instskip(NEXT) | instid1(VALU_DEP_2)
	v_dual_add_f32 v11, v11, v107 :: v_dual_add_f32 v106, v118, v106
	v_add_co_u32 v9, vcc_lo, s1, v9
	s_delay_alu instid0(VALU_DEP_2) | instskip(NEXT) | instid1(VALU_DEP_4)
	v_add_f32_e32 v11, v115, v11
	v_add_co_ci_u32_e32 v10, vcc_lo, s6, v10, vcc_lo
	s_delay_alu instid0(VALU_DEP_2) | instskip(NEXT) | instid1(VALU_DEP_4)
	v_add_f32_e32 v11, v11, v106
	v_add_co_u32 v106, vcc_lo, v9, v44
	s_delay_alu instid0(VALU_DEP_3) | instskip(NEXT) | instid1(VALU_DEP_3)
	v_add_co_ci_u32_e32 v107, vcc_lo, v10, v45, vcc_lo
	v_add_f32_e32 v11, v11, v116
	s_and_b32 vcc_lo, exec_lo, s0
	global_store_b32 v[106:107], v11, off
	s_cbranch_vccnz .LBB34_32
; %bb.31:
	v_add_co_u32 v106, vcc_lo, v46, v40
	v_add_co_ci_u32_e32 v107, vcc_lo, v108, v41, vcc_lo
	flat_load_b32 v11, v[106:107]
	s_waitcnt vmcnt(0) lgkmcnt(0)
	v_mul_f32_e32 v114, s9, v11
.LBB34_32:
	v_dual_min_f32 v11, v51, v110 :: v_dual_min_f32 v106, v50, v109
	v_min_f32_e32 v107, v38, v111
	v_min_f32_e32 v115, v39, v8
	s_delay_alu instid0(VALU_DEP_3) | instskip(SKIP_2) | instid1(VALU_DEP_3)
	v_dual_add_f32 v11, v11, v104 :: v_dual_add_f32 v104, v106, v105
	v_add_co_u32 v105, vcc_lo, v9, v40
	v_add_co_ci_u32_e32 v106, vcc_lo, v10, v41, vcc_lo
	v_add_f32_e32 v11, v115, v11
	s_delay_alu instid0(VALU_DEP_4) | instskip(SKIP_1) | instid1(VALU_DEP_1)
	v_add_f32_e32 v104, v107, v104
	s_and_b32 vcc_lo, exec_lo, s0
	v_dual_add_f32 v11, v104, v11 :: v_dual_mov_b32 v104, 0
	s_delay_alu instid0(VALU_DEP_1)
	v_add_f32_e32 v107, v11, v114
	v_mov_b32_e32 v11, 0
	global_store_b32 v[105:106], v107, off
	s_cbranch_vccnz .LBB34_34
; %bb.33:
	v_add_co_u32 v104, vcc_lo, v46, v36
	v_add_co_ci_u32_e32 v105, vcc_lo, v108, v37, vcc_lo
	flat_load_b32 v104, v[104:105]
	s_waitcnt vmcnt(0) lgkmcnt(0)
	v_mul_f32_e32 v104, s9, v104
.LBB34_34:
	v_dual_min_f32 v105, v63, v110 :: v_dual_min_f32 v106, v61, v109
	v_dual_min_f32 v107, v34, v111 :: v_dual_min_f32 v114, v35, v8
	s_delay_alu instid0(VALU_DEP_2) | instskip(NEXT) | instid1(VALU_DEP_1)
	v_dual_add_f32 v102, v105, v102 :: v_dual_add_f32 v103, v106, v103
	v_dual_add_f32 v102, v114, v102 :: v_dual_add_f32 v103, v107, v103
	s_delay_alu instid0(VALU_DEP_1) | instskip(NEXT) | instid1(VALU_DEP_1)
	v_add_f32_e32 v102, v103, v102
	v_add_f32_e32 v104, v102, v104
	v_add_co_u32 v102, vcc_lo, v9, v36
	v_add_co_ci_u32_e32 v103, vcc_lo, v10, v37, vcc_lo
	s_and_b32 vcc_lo, exec_lo, s0
	global_store_b32 v[102:103], v104, off
	s_cbranch_vccnz .LBB34_36
; %bb.35:
	v_add_co_u32 v102, vcc_lo, v46, v32
	v_add_co_ci_u32_e32 v103, vcc_lo, v108, v33, vcc_lo
	flat_load_b32 v11, v[102:103]
	s_waitcnt vmcnt(0) lgkmcnt(0)
	v_mul_f32_e32 v11, s9, v11
.LBB34_36:
	v_dual_min_f32 v102, v67, v110 :: v_dual_min_f32 v103, v64, v109
	v_dual_min_f32 v104, v30, v111 :: v_dual_min_f32 v105, v31, v8
	s_delay_alu instid0(VALU_DEP_2) | instskip(NEXT) | instid1(VALU_DEP_1)
	v_dual_add_f32 v100, v102, v100 :: v_dual_add_f32 v101, v103, v101
	v_dual_add_f32 v100, v105, v100 :: v_dual_add_f32 v101, v104, v101
	s_delay_alu instid0(VALU_DEP_1) | instskip(SKIP_2) | instid1(VALU_DEP_3)
	v_add_f32_e32 v100, v101, v100
	v_add_co_u32 v101, vcc_lo, v9, v32
	v_add_co_ci_u32_e32 v102, vcc_lo, v10, v33, vcc_lo
	v_dual_add_f32 v103, v100, v11 :: v_dual_mov_b32 v100, 0
	v_mov_b32_e32 v11, 0
	s_and_b32 vcc_lo, exec_lo, s0
	global_store_b32 v[101:102], v103, off
	s_cbranch_vccnz .LBB34_38
; %bb.37:
	v_add_co_u32 v100, vcc_lo, v46, v28
	v_add_co_ci_u32_e32 v101, vcc_lo, v108, v29, vcc_lo
	flat_load_b32 v100, v[100:101]
	s_waitcnt vmcnt(0) lgkmcnt(0)
	v_mul_f32_e32 v100, s9, v100
.LBB34_38:
	v_dual_min_f32 v101, v75, v110 :: v_dual_min_f32 v102, v74, v109
	v_dual_min_f32 v103, v26, v111 :: v_dual_min_f32 v104, v27, v8
	s_delay_alu instid0(VALU_DEP_2) | instskip(NEXT) | instid1(VALU_DEP_1)
	v_dual_add_f32 v98, v101, v98 :: v_dual_add_f32 v99, v102, v99
	v_dual_add_f32 v98, v104, v98 :: v_dual_add_f32 v99, v103, v99
	s_delay_alu instid0(VALU_DEP_1) | instskip(NEXT) | instid1(VALU_DEP_1)
	v_add_f32_e32 v98, v99, v98
	v_add_f32_e32 v100, v98, v100
	v_add_co_u32 v98, vcc_lo, v9, v28
	v_add_co_ci_u32_e32 v99, vcc_lo, v10, v29, vcc_lo
	s_and_b32 vcc_lo, exec_lo, s0
	global_store_b32 v[98:99], v100, off
	s_cbranch_vccnz .LBB34_40
; %bb.39:
	v_add_co_u32 v98, vcc_lo, v46, v24
	v_add_co_ci_u32_e32 v99, vcc_lo, v108, v25, vcc_lo
	flat_load_b32 v11, v[98:99]
	s_waitcnt vmcnt(0) lgkmcnt(0)
	v_mul_f32_e32 v11, s9, v11
.LBB34_40:
	v_dual_min_f32 v98, v79, v110 :: v_dual_min_f32 v99, v76, v109
	v_dual_min_f32 v100, v22, v111 :: v_dual_min_f32 v101, v23, v8
	s_delay_alu instid0(VALU_DEP_2) | instskip(NEXT) | instid1(VALU_DEP_1)
	v_dual_add_f32 v96, v98, v96 :: v_dual_add_f32 v97, v99, v97
	v_dual_add_f32 v96, v101, v96 :: v_dual_add_f32 v97, v100, v97
	s_delay_alu instid0(VALU_DEP_1) | instskip(SKIP_2) | instid1(VALU_DEP_3)
	v_add_f32_e32 v96, v97, v96
	v_add_co_u32 v97, vcc_lo, v9, v24
	v_add_co_ci_u32_e32 v98, vcc_lo, v10, v25, vcc_lo
	v_dual_add_f32 v99, v96, v11 :: v_dual_mov_b32 v96, 0
	v_mov_b32_e32 v11, 0
	s_and_b32 vcc_lo, exec_lo, s0
	global_store_b32 v[97:98], v99, off
	s_cbranch_vccnz .LBB34_42
; %bb.41:
	v_add_co_u32 v96, vcc_lo, v46, v20
	v_add_co_ci_u32_e32 v97, vcc_lo, v108, v21, vcc_lo
	flat_load_b32 v96, v[96:97]
	s_waitcnt vmcnt(0) lgkmcnt(0)
	v_mul_f32_e32 v96, s9, v96
.LBB34_42:
	v_dual_min_f32 v97, v113, v110 :: v_dual_min_f32 v98, v112, v109
	v_dual_min_f32 v99, v18, v111 :: v_dual_min_f32 v100, v19, v8
	s_delay_alu instid0(VALU_DEP_2) | instskip(NEXT) | instid1(VALU_DEP_1)
	v_dual_add_f32 v94, v97, v94 :: v_dual_add_f32 v95, v98, v95
	v_dual_add_f32 v94, v100, v94 :: v_dual_add_f32 v95, v99, v95
	s_delay_alu instid0(VALU_DEP_1) | instskip(NEXT) | instid1(VALU_DEP_1)
	v_add_f32_e32 v94, v95, v94
	v_add_f32_e32 v96, v94, v96
	v_add_co_u32 v94, vcc_lo, v9, v20
	v_add_co_ci_u32_e32 v95, vcc_lo, v10, v21, vcc_lo
	s_and_b32 vcc_lo, exec_lo, s0
	global_store_b32 v[94:95], v96, off
	s_cbranch_vccnz .LBB34_44
; %bb.43:
	v_add_co_u32 v94, vcc_lo, v46, v16
	v_add_co_ci_u32_e32 v95, vcc_lo, v108, v17, vcc_lo
	flat_load_b32 v11, v[94:95]
	s_waitcnt vmcnt(0) lgkmcnt(0)
	v_mul_f32_e32 v11, s9, v11
.LBB34_44:
	v_dual_min_f32 v46, v12, v109 :: v_dual_min_f32 v95, v13, v110
	v_add_nc_u32_e32 v94, 64, v48
	v_min_f32_e32 v96, v14, v111
	v_min_f32_e32 v8, v15, v8
	s_delay_alu instid0(VALU_DEP_4) | instskip(NEXT) | instid1(VALU_DEP_4)
	v_dual_add_f32 v46, v46, v93 :: v_dual_add_f32 v95, v95, v92
	v_mad_i64_i32 v[92:93], null, v94, s8, 0
	s_delay_alu instid0(VALU_DEP_2) | instskip(NEXT) | instid1(VALU_DEP_3)
	v_add_f32_e32 v46, v96, v46
	v_add_f32_e32 v8, v8, v95
	v_add_co_u32 v95, vcc_lo, v9, v16
	v_add_co_ci_u32_e32 v96, vcc_lo, v10, v17, vcc_lo
	v_lshlrev_b64 v[92:93], 2, v[92:93]
	s_delay_alu instid0(VALU_DEP_4) | instskip(NEXT) | instid1(VALU_DEP_1)
	v_add_f32_e32 v8, v46, v8
	v_add_f32_e32 v10, v8, v11
	s_delay_alu instid0(VALU_DEP_3) | instskip(NEXT) | instid1(VALU_DEP_4)
	v_add_co_u32 v8, vcc_lo, s4, v92
	v_add_co_ci_u32_e32 v9, vcc_lo, s5, v93, vcc_lo
	v_dual_mov_b32 v92, 0 :: v_dual_mov_b32 v93, 0
	s_and_b32 vcc_lo, exec_lo, s0
	global_store_b32 v[95:96], v10, off
	s_cbranch_vccnz .LBB34_46
; %bb.45:
	v_add_co_u32 v10, vcc_lo, v8, v44
	v_add_co_ci_u32_e32 v11, vcc_lo, v9, v45, vcc_lo
	flat_load_b32 v10, v[10:11]
	s_waitcnt vmcnt(0) lgkmcnt(0)
	v_mul_f32_e32 v93, s9, v10
.LBB34_46:
	v_dual_max_f32 v10, v4, v4 :: v_dual_max_f32 v11, v5, v5
	v_max_f32_e32 v46, v6, v6
	v_mad_i64_i32 v[5:6], null, v94, s3, 0
	v_max_f32_e32 v4, v7, v7
	s_delay_alu instid0(VALU_DEP_4) | instskip(SKIP_3) | instid1(VALU_DEP_3)
	v_min_f32_e32 v95, v49, v11
	v_min_f32_e32 v7, v47, v10
	v_min_f32_e32 v94, v42, v46
	v_lshlrev_b64 v[5:6], 2, v[5:6]
	v_add_f32_e32 v7, v7, v91
	v_min_f32_e32 v96, v43, v4
	s_delay_alu instid0(VALU_DEP_2) | instskip(NEXT) | instid1(VALU_DEP_4)
	v_dual_add_f32 v90, v95, v90 :: v_dual_add_f32 v7, v94, v7
	v_add_co_u32 v5, vcc_lo, s1, v5
	s_delay_alu instid0(VALU_DEP_2) | instskip(SKIP_1) | instid1(VALU_DEP_2)
	v_add_f32_e32 v90, v96, v90
	v_add_co_ci_u32_e32 v6, vcc_lo, s6, v6, vcc_lo
	v_add_f32_e32 v7, v7, v90
	s_delay_alu instid0(VALU_DEP_4) | instskip(NEXT) | instid1(VALU_DEP_3)
	v_add_co_u32 v90, vcc_lo, v5, v44
	v_add_co_ci_u32_e32 v91, vcc_lo, v6, v45, vcc_lo
	s_delay_alu instid0(VALU_DEP_3)
	v_add_f32_e32 v7, v7, v93
	s_and_b32 vcc_lo, exec_lo, s0
	global_store_b32 v[90:91], v7, off
	s_cbranch_vccnz .LBB34_48
; %bb.47:
	v_add_co_u32 v90, vcc_lo, v8, v40
	v_add_co_ci_u32_e32 v91, vcc_lo, v9, v41, vcc_lo
	flat_load_b32 v7, v[90:91]
	s_waitcnt vmcnt(0) lgkmcnt(0)
	v_mul_f32_e32 v92, s9, v7
.LBB34_48:
	v_dual_min_f32 v7, v51, v11 :: v_dual_min_f32 v90, v50, v10
	v_min_f32_e32 v91, v38, v46
	v_min_f32_e32 v93, v39, v4
	s_delay_alu instid0(VALU_DEP_3) | instskip(SKIP_2) | instid1(VALU_DEP_3)
	v_dual_add_f32 v7, v7, v88 :: v_dual_add_f32 v88, v90, v89
	v_add_co_u32 v89, vcc_lo, v5, v40
	v_add_co_ci_u32_e32 v90, vcc_lo, v6, v41, vcc_lo
	v_dual_add_f32 v7, v93, v7 :: v_dual_add_f32 v88, v91, v88
	s_and_b32 vcc_lo, exec_lo, s0
	s_delay_alu instid0(VALU_DEP_1) | instskip(NEXT) | instid1(VALU_DEP_1)
	v_dual_add_f32 v7, v88, v7 :: v_dual_mov_b32 v88, 0
	v_add_f32_e32 v91, v7, v92
	v_mov_b32_e32 v7, 0
	global_store_b32 v[89:90], v91, off
	s_cbranch_vccnz .LBB34_50
; %bb.49:
	v_add_co_u32 v88, vcc_lo, v8, v36
	v_add_co_ci_u32_e32 v89, vcc_lo, v9, v37, vcc_lo
	flat_load_b32 v88, v[88:89]
	s_waitcnt vmcnt(0) lgkmcnt(0)
	v_mul_f32_e32 v88, s9, v88
.LBB34_50:
	v_dual_min_f32 v89, v63, v11 :: v_dual_min_f32 v90, v61, v10
	v_dual_min_f32 v91, v34, v46 :: v_dual_min_f32 v92, v35, v4
	s_delay_alu instid0(VALU_DEP_2) | instskip(NEXT) | instid1(VALU_DEP_1)
	v_dual_add_f32 v86, v89, v86 :: v_dual_add_f32 v87, v90, v87
	v_dual_add_f32 v86, v92, v86 :: v_dual_add_f32 v87, v91, v87
	s_delay_alu instid0(VALU_DEP_1) | instskip(NEXT) | instid1(VALU_DEP_1)
	v_add_f32_e32 v86, v87, v86
	v_add_f32_e32 v88, v86, v88
	v_add_co_u32 v86, vcc_lo, v5, v36
	v_add_co_ci_u32_e32 v87, vcc_lo, v6, v37, vcc_lo
	s_and_b32 vcc_lo, exec_lo, s0
	global_store_b32 v[86:87], v88, off
	s_cbranch_vccnz .LBB34_52
; %bb.51:
	v_add_co_u32 v86, vcc_lo, v8, v32
	v_add_co_ci_u32_e32 v87, vcc_lo, v9, v33, vcc_lo
	flat_load_b32 v7, v[86:87]
	s_waitcnt vmcnt(0) lgkmcnt(0)
	v_mul_f32_e32 v7, s9, v7
.LBB34_52:
	v_dual_min_f32 v86, v67, v11 :: v_dual_min_f32 v87, v64, v10
	v_dual_min_f32 v88, v30, v46 :: v_dual_min_f32 v89, v31, v4
	s_delay_alu instid0(VALU_DEP_2) | instskip(NEXT) | instid1(VALU_DEP_1)
	v_dual_add_f32 v84, v86, v84 :: v_dual_add_f32 v85, v87, v85
	v_dual_add_f32 v84, v89, v84 :: v_dual_add_f32 v85, v88, v85
	s_delay_alu instid0(VALU_DEP_1) | instskip(SKIP_2) | instid1(VALU_DEP_3)
	v_add_f32_e32 v84, v85, v84
	v_add_co_u32 v85, vcc_lo, v5, v32
	v_add_co_ci_u32_e32 v86, vcc_lo, v6, v33, vcc_lo
	v_dual_add_f32 v87, v84, v7 :: v_dual_mov_b32 v84, 0
	v_mov_b32_e32 v7, 0
	s_and_b32 vcc_lo, exec_lo, s0
	global_store_b32 v[85:86], v87, off
	s_cbranch_vccnz .LBB34_54
; %bb.53:
	v_add_co_u32 v84, vcc_lo, v8, v28
	v_add_co_ci_u32_e32 v85, vcc_lo, v9, v29, vcc_lo
	flat_load_b32 v84, v[84:85]
	s_waitcnt vmcnt(0) lgkmcnt(0)
	v_mul_f32_e32 v84, s9, v84
.LBB34_54:
	v_dual_min_f32 v85, v75, v11 :: v_dual_min_f32 v86, v74, v10
	v_dual_min_f32 v87, v26, v46 :: v_dual_min_f32 v88, v27, v4
	s_delay_alu instid0(VALU_DEP_2) | instskip(NEXT) | instid1(VALU_DEP_1)
	v_dual_add_f32 v82, v85, v82 :: v_dual_add_f32 v83, v86, v83
	v_dual_add_f32 v82, v88, v82 :: v_dual_add_f32 v83, v87, v83
	s_delay_alu instid0(VALU_DEP_1) | instskip(NEXT) | instid1(VALU_DEP_1)
	v_add_f32_e32 v82, v83, v82
	v_add_f32_e32 v84, v82, v84
	v_add_co_u32 v82, vcc_lo, v5, v28
	v_add_co_ci_u32_e32 v83, vcc_lo, v6, v29, vcc_lo
	s_and_b32 vcc_lo, exec_lo, s0
	global_store_b32 v[82:83], v84, off
	s_cbranch_vccnz .LBB34_56
; %bb.55:
	v_add_co_u32 v82, vcc_lo, v8, v24
	v_add_co_ci_u32_e32 v83, vcc_lo, v9, v25, vcc_lo
	flat_load_b32 v7, v[82:83]
	s_waitcnt vmcnt(0) lgkmcnt(0)
	v_mul_f32_e32 v7, s9, v7
.LBB34_56:
	v_dual_min_f32 v82, v79, v11 :: v_dual_min_f32 v83, v76, v10
	v_dual_min_f32 v84, v22, v46 :: v_dual_min_f32 v85, v23, v4
	s_delay_alu instid0(VALU_DEP_2) | instskip(NEXT) | instid1(VALU_DEP_1)
	v_dual_add_f32 v80, v82, v80 :: v_dual_add_f32 v81, v83, v81
	v_dual_add_f32 v80, v85, v80 :: v_dual_add_f32 v81, v84, v81
	s_delay_alu instid0(VALU_DEP_1) | instskip(SKIP_2) | instid1(VALU_DEP_3)
	v_add_f32_e32 v80, v81, v80
	v_add_co_u32 v81, vcc_lo, v5, v24
	v_add_co_ci_u32_e32 v82, vcc_lo, v6, v25, vcc_lo
	v_dual_add_f32 v83, v80, v7 :: v_dual_mov_b32 v80, 0
	v_mov_b32_e32 v7, 0
	s_and_b32 vcc_lo, exec_lo, s0
	global_store_b32 v[81:82], v83, off
	s_cbranch_vccnz .LBB34_58
; %bb.57:
	v_add_co_u32 v80, vcc_lo, v8, v20
	v_add_co_ci_u32_e32 v81, vcc_lo, v9, v21, vcc_lo
	flat_load_b32 v80, v[80:81]
	s_waitcnt vmcnt(0) lgkmcnt(0)
	v_mul_f32_e32 v80, s9, v80
.LBB34_58:
	v_dual_min_f32 v81, v113, v11 :: v_dual_min_f32 v82, v112, v10
	v_dual_min_f32 v83, v18, v46 :: v_dual_min_f32 v84, v19, v4
	s_delay_alu instid0(VALU_DEP_2) | instskip(NEXT) | instid1(VALU_DEP_1)
	v_dual_add_f32 v77, v81, v77 :: v_dual_add_f32 v78, v82, v78
	v_dual_add_f32 v77, v84, v77 :: v_dual_add_f32 v78, v83, v78
	s_delay_alu instid0(VALU_DEP_1) | instskip(NEXT) | instid1(VALU_DEP_1)
	v_add_f32_e32 v77, v78, v77
	v_add_f32_e32 v80, v77, v80
	v_add_co_u32 v77, vcc_lo, v5, v20
	v_add_co_ci_u32_e32 v78, vcc_lo, v6, v21, vcc_lo
	s_and_b32 vcc_lo, exec_lo, s0
	global_store_b32 v[77:78], v80, off
	s_cbranch_vccnz .LBB34_60
; %bb.59:
	v_add_co_u32 v7, vcc_lo, v8, v16
	v_add_co_ci_u32_e32 v8, vcc_lo, v9, v17, vcc_lo
	flat_load_b32 v7, v[7:8]
	s_waitcnt vmcnt(0) lgkmcnt(0)
	v_mul_f32_e32 v7, s9, v7
.LBB34_60:
	v_dual_min_f32 v8, v12, v10 :: v_dual_add_nc_u32 v9, 0x60, v48
	v_min_f32_e32 v10, v13, v11
	v_min_f32_e32 v46, v14, v46
	;; [unrolled: 1-line block ×3, first 2 shown]
	s_delay_alu instid0(VALU_DEP_4) | instskip(NEXT) | instid1(VALU_DEP_4)
	v_add_f32_e32 v8, v8, v73
	v_add_f32_e32 v48, v10, v72
	v_mad_i64_i32 v[10:11], null, v9, s8, 0
	s_delay_alu instid0(VALU_DEP_3) | instskip(SKIP_1) | instid1(VALU_DEP_4)
	v_add_f32_e32 v8, v46, v8
	v_add_co_u32 v72, vcc_lo, v5, v16
	v_add_f32_e32 v4, v4, v48
	v_add_co_ci_u32_e32 v73, vcc_lo, v6, v17, vcc_lo
	v_lshlrev_b64 v[10:11], 2, v[10:11]
	s_delay_alu instid0(VALU_DEP_3) | instskip(SKIP_1) | instid1(VALU_DEP_2)
	v_add_f32_e32 v4, v8, v4
	v_mov_b32_e32 v8, 0
	v_add_f32_e32 v6, v4, v7
	s_delay_alu instid0(VALU_DEP_4)
	v_add_co_u32 v4, vcc_lo, s4, v10
	v_add_co_ci_u32_e32 v5, vcc_lo, s5, v11, vcc_lo
	v_mov_b32_e32 v10, 0
	s_and_b32 vcc_lo, exec_lo, s0
	global_store_b32 v[72:73], v6, off
	s_cbranch_vccnz .LBB34_62
; %bb.61:
	v_add_co_u32 v6, vcc_lo, v4, v44
	v_add_co_ci_u32_e32 v7, vcc_lo, v5, v45, vcc_lo
	flat_load_b32 v6, v[6:7]
	s_waitcnt vmcnt(0) lgkmcnt(0)
	v_mul_f32_e32 v10, s9, v6
.LBB34_62:
	v_dual_max_f32 v0, v0, v0 :: v_dual_max_f32 v1, v1, v1
	v_dual_max_f32 v2, v2, v2 :: v_dual_max_f32 v3, v3, v3
	v_mad_i64_i32 v[6:7], null, v9, s3, 0
	s_delay_alu instid0(VALU_DEP_3) | instskip(NEXT) | instid1(VALU_DEP_3)
	v_dual_min_f32 v11, v47, v0 :: v_dual_min_f32 v46, v49, v1
	v_dual_min_f32 v9, v42, v2 :: v_dual_min_f32 v42, v43, v3
	s_delay_alu instid0(VALU_DEP_2) | instskip(NEXT) | instid1(VALU_DEP_3)
	v_add_f32_e32 v11, v11, v71
	v_add_f32_e32 v43, v46, v70
	v_lshlrev_b64 v[6:7], 2, v[6:7]
	s_delay_alu instid0(VALU_DEP_3) | instskip(NEXT) | instid1(VALU_DEP_3)
	v_add_f32_e32 v9, v9, v11
	v_add_f32_e32 v42, v42, v43
	s_delay_alu instid0(VALU_DEP_3) | instskip(NEXT) | instid1(VALU_DEP_4)
	v_add_co_u32 v6, vcc_lo, s1, v6
	v_add_co_ci_u32_e32 v7, vcc_lo, s6, v7, vcc_lo
	s_delay_alu instid0(VALU_DEP_3) | instskip(NEXT) | instid1(VALU_DEP_1)
	v_add_f32_e32 v9, v9, v42
	v_add_f32_e32 v11, v9, v10
	s_delay_alu instid0(VALU_DEP_4) | instskip(NEXT) | instid1(VALU_DEP_4)
	v_add_co_u32 v9, vcc_lo, v6, v44
	v_add_co_ci_u32_e32 v10, vcc_lo, v7, v45, vcc_lo
	s_and_b32 vcc_lo, exec_lo, s0
	global_store_b32 v[9:10], v11, off
	s_cbranch_vccnz .LBB34_64
; %bb.63:
	v_add_co_u32 v8, vcc_lo, v4, v40
	v_add_co_ci_u32_e32 v9, vcc_lo, v5, v41, vcc_lo
	flat_load_b32 v8, v[8:9]
	s_waitcnt vmcnt(0) lgkmcnt(0)
	v_mul_f32_e32 v8, s9, v8
.LBB34_64:
	v_dual_min_f32 v9, v51, v1 :: v_dual_min_f32 v10, v50, v0
	v_dual_min_f32 v11, v38, v2 :: v_dual_min_f32 v38, v39, v3
	s_delay_alu instid0(VALU_DEP_2) | instskip(NEXT) | instid1(VALU_DEP_1)
	v_dual_add_f32 v9, v9, v68 :: v_dual_add_f32 v10, v10, v69
	v_dual_add_f32 v9, v38, v9 :: v_dual_add_f32 v10, v11, v10
	s_delay_alu instid0(VALU_DEP_1) | instskip(SKIP_2) | instid1(VALU_DEP_3)
	v_add_f32_e32 v9, v10, v9
	v_add_co_u32 v10, vcc_lo, v6, v40
	v_add_co_ci_u32_e32 v11, vcc_lo, v7, v41, vcc_lo
	v_dual_add_f32 v38, v9, v8 :: v_dual_mov_b32 v9, 0
	v_mov_b32_e32 v8, 0
	s_and_b32 vcc_lo, exec_lo, s0
	global_store_b32 v[10:11], v38, off
	s_cbranch_vccnz .LBB34_66
; %bb.65:
	v_add_co_u32 v9, vcc_lo, v4, v36
	v_add_co_ci_u32_e32 v10, vcc_lo, v5, v37, vcc_lo
	flat_load_b32 v9, v[9:10]
	s_waitcnt vmcnt(0) lgkmcnt(0)
	v_mul_f32_e32 v9, s9, v9
.LBB34_66:
	v_dual_min_f32 v10, v63, v1 :: v_dual_min_f32 v11, v61, v0
	v_dual_min_f32 v34, v34, v2 :: v_dual_min_f32 v35, v35, v3
	s_delay_alu instid0(VALU_DEP_2) | instskip(NEXT) | instid1(VALU_DEP_1)
	v_dual_add_f32 v10, v10, v65 :: v_dual_add_f32 v11, v11, v66
	v_dual_add_f32 v10, v35, v10 :: v_dual_add_f32 v11, v34, v11
	s_delay_alu instid0(VALU_DEP_1) | instskip(NEXT) | instid1(VALU_DEP_1)
	v_add_f32_e32 v10, v11, v10
	v_add_f32_e32 v11, v10, v9
	v_add_co_u32 v9, vcc_lo, v6, v36
	v_add_co_ci_u32_e32 v10, vcc_lo, v7, v37, vcc_lo
	s_and_b32 vcc_lo, exec_lo, s0
	global_store_b32 v[9:10], v11, off
	s_cbranch_vccnz .LBB34_68
; %bb.67:
	v_add_co_u32 v8, vcc_lo, v4, v32
	v_add_co_ci_u32_e32 v9, vcc_lo, v5, v33, vcc_lo
	flat_load_b32 v8, v[8:9]
	s_waitcnt vmcnt(0) lgkmcnt(0)
	v_mul_f32_e32 v8, s9, v8
.LBB34_68:
	v_dual_min_f32 v9, v67, v1 :: v_dual_min_f32 v10, v64, v0
	v_dual_min_f32 v11, v30, v2 :: v_dual_min_f32 v30, v31, v3
	s_delay_alu instid0(VALU_DEP_2) | instskip(NEXT) | instid1(VALU_DEP_1)
	v_dual_add_f32 v9, v9, v60 :: v_dual_add_f32 v10, v10, v62
	v_dual_add_f32 v9, v30, v9 :: v_dual_add_f32 v10, v11, v10
	s_delay_alu instid0(VALU_DEP_1) | instskip(SKIP_2) | instid1(VALU_DEP_3)
	v_add_f32_e32 v9, v10, v9
	v_add_co_u32 v10, vcc_lo, v6, v32
	v_add_co_ci_u32_e32 v11, vcc_lo, v7, v33, vcc_lo
	v_dual_add_f32 v30, v9, v8 :: v_dual_mov_b32 v9, 0
	v_mov_b32_e32 v8, 0
	s_and_b32 vcc_lo, exec_lo, s0
	global_store_b32 v[10:11], v30, off
	s_cbranch_vccnz .LBB34_70
; %bb.69:
	v_add_co_u32 v9, vcc_lo, v4, v28
	v_add_co_ci_u32_e32 v10, vcc_lo, v5, v29, vcc_lo
	flat_load_b32 v9, v[9:10]
	s_waitcnt vmcnt(0) lgkmcnt(0)
	v_mul_f32_e32 v9, s9, v9
.LBB34_70:
	v_dual_min_f32 v10, v75, v1 :: v_dual_min_f32 v11, v74, v0
	v_dual_min_f32 v26, v26, v2 :: v_dual_min_f32 v27, v27, v3
	s_delay_alu instid0(VALU_DEP_2) | instskip(NEXT) | instid1(VALU_DEP_1)
	v_dual_add_f32 v10, v10, v58 :: v_dual_add_f32 v11, v11, v59
	v_dual_add_f32 v10, v27, v10 :: v_dual_add_f32 v11, v26, v11
	s_delay_alu instid0(VALU_DEP_1) | instskip(NEXT) | instid1(VALU_DEP_1)
	v_add_f32_e32 v10, v11, v10
	v_add_f32_e32 v11, v10, v9
	v_add_co_u32 v9, vcc_lo, v6, v28
	v_add_co_ci_u32_e32 v10, vcc_lo, v7, v29, vcc_lo
	s_and_b32 vcc_lo, exec_lo, s0
	global_store_b32 v[9:10], v11, off
	s_cbranch_vccnz .LBB34_72
; %bb.71:
	v_add_co_u32 v8, vcc_lo, v4, v24
	v_add_co_ci_u32_e32 v9, vcc_lo, v5, v25, vcc_lo
	flat_load_b32 v8, v[8:9]
	s_waitcnt vmcnt(0) lgkmcnt(0)
	v_mul_f32_e32 v8, s9, v8
.LBB34_72:
	v_dual_min_f32 v9, v79, v1 :: v_dual_min_f32 v10, v76, v0
	v_dual_min_f32 v11, v22, v2 :: v_dual_min_f32 v22, v23, v3
	;; [unrolled: 1-line block ×3, first 2 shown]
	s_delay_alu instid0(VALU_DEP_3) | instskip(NEXT) | instid1(VALU_DEP_2)
	v_dual_add_f32 v9, v9, v56 :: v_dual_add_f32 v10, v10, v57
	v_dual_min_f32 v18, v18, v2 :: v_dual_add_f32 v23, v23, v55
	s_delay_alu instid0(VALU_DEP_2) | instskip(SKIP_2) | instid1(VALU_DEP_2)
	v_dual_add_f32 v9, v22, v9 :: v_dual_add_f32 v10, v11, v10
	v_min_f32_e32 v11, v19, v3
	v_add_f32_e32 v19, v26, v54
	v_dual_add_f32 v22, v10, v9 :: v_dual_add_f32 v11, v11, v23
	s_delay_alu instid0(VALU_DEP_2) | instskip(SKIP_2) | instid1(VALU_DEP_4)
	v_add_f32_e32 v18, v18, v19
	v_add_co_u32 v9, vcc_lo, v6, v24
	v_add_co_ci_u32_e32 v10, vcc_lo, v7, v25, vcc_lo
	v_add_f32_e32 v19, v22, v8
	s_delay_alu instid0(VALU_DEP_4)
	v_add_f32_e32 v8, v18, v11
	s_mov_b32 vcc_lo, s2
	global_store_b32 v[9:10], v19, off
	s_cbranch_vccz .LBB34_75
; %bb.73:
	v_add_co_u32 v9, vcc_lo, v6, v20
	v_add_f32_e32 v11, 0, v8
	v_add_co_ci_u32_e32 v10, vcc_lo, v7, v21, vcc_lo
	s_mov_b32 s0, 0
	global_store_b32 v[9:10], v11, off
	s_cbranch_execz .LBB34_76
; %bb.74:
	v_mov_b32_e32 v4, s0
	s_branch .LBB34_77
.LBB34_75:
	s_mov_b32 s0, -1
.LBB34_76:
	v_add_co_u32 v9, vcc_lo, v4, v20
	v_add_co_ci_u32_e32 v10, vcc_lo, v5, v21, vcc_lo
	flat_load_b32 v11, v[9:10]
	v_add_co_u32 v9, vcc_lo, v6, v20
	v_add_co_ci_u32_e32 v10, vcc_lo, v7, v21, vcc_lo
	v_add_co_u32 v4, vcc_lo, v4, v16
	v_add_co_ci_u32_e32 v5, vcc_lo, v5, v17, vcc_lo
	s_waitcnt vmcnt(0) lgkmcnt(0)
	v_fmac_f32_e32 v8, s9, v11
	global_store_b32 v[9:10], v8, off
	flat_load_b32 v4, v[4:5]
	s_waitcnt vmcnt(0) lgkmcnt(0)
	v_mul_f32_e32 v4, s9, v4
.LBB34_77:
	v_dual_min_f32 v1, v13, v1 :: v_dual_min_f32 v0, v12, v0
	v_dual_min_f32 v2, v14, v2 :: v_dual_min_f32 v3, v15, v3
	s_delay_alu instid0(VALU_DEP_2) | instskip(NEXT) | instid1(VALU_DEP_1)
	v_dual_add_f32 v1, v1, v52 :: v_dual_add_f32 v0, v0, v53
	v_dual_add_f32 v1, v3, v1 :: v_dual_add_f32 v0, v2, v0
	s_delay_alu instid0(VALU_DEP_1) | instskip(NEXT) | instid1(VALU_DEP_1)
	v_add_f32_e32 v0, v0, v1
	v_add_f32_e32 v2, v0, v4
	v_add_co_u32 v0, vcc_lo, v6, v16
	v_add_co_ci_u32_e32 v1, vcc_lo, v7, v17, vcc_lo
	global_store_b32 v[0:1], v2, off
	s_nop 0
	s_sendmsg sendmsg(MSG_DEALLOC_VGPRS)
	s_endpgm
	.section	.rodata,"a",@progbits
	.p2align	6, 0x0
	.amdhsa_kernel _ZN12_GLOBAL__N_120geam_min_plus_kernelIf15HIP_vector_typeIfLj2EES2_Li8ELi32ELi64ELi128ELi4ELi4ELi64ELi4ELi64ELc84ELc78ELb1ELb0ELb0EfKPKfKPfEEviiiT16_PT17_ilSA_ilS8_SA_ilPT18_ili26rocblas_geam_ex_operation_
		.amdhsa_group_segment_fixed_size 6144
		.amdhsa_private_segment_fixed_size 0
		.amdhsa_kernarg_size 128
		.amdhsa_user_sgpr_count 14
		.amdhsa_user_sgpr_dispatch_ptr 0
		.amdhsa_user_sgpr_queue_ptr 0
		.amdhsa_user_sgpr_kernarg_segment_ptr 1
		.amdhsa_user_sgpr_dispatch_id 0
		.amdhsa_user_sgpr_private_segment_size 0
		.amdhsa_wavefront_size32 1
		.amdhsa_uses_dynamic_stack 0
		.amdhsa_enable_private_segment 0
		.amdhsa_system_sgpr_workgroup_id_x 1
		.amdhsa_system_sgpr_workgroup_id_y 0
		.amdhsa_system_sgpr_workgroup_id_z 1
		.amdhsa_system_sgpr_workgroup_info 0
		.amdhsa_system_vgpr_workitem_id 1
		.amdhsa_next_free_vgpr 224
		.amdhsa_next_free_sgpr 22
		.amdhsa_reserve_vcc 1
		.amdhsa_float_round_mode_32 0
		.amdhsa_float_round_mode_16_64 0
		.amdhsa_float_denorm_mode_32 3
		.amdhsa_float_denorm_mode_16_64 3
		.amdhsa_dx10_clamp 1
		.amdhsa_ieee_mode 1
		.amdhsa_fp16_overflow 0
		.amdhsa_workgroup_processor_mode 1
		.amdhsa_memory_ordered 1
		.amdhsa_forward_progress 0
		.amdhsa_shared_vgpr_count 0
		.amdhsa_exception_fp_ieee_invalid_op 0
		.amdhsa_exception_fp_denorm_src 0
		.amdhsa_exception_fp_ieee_div_zero 0
		.amdhsa_exception_fp_ieee_overflow 0
		.amdhsa_exception_fp_ieee_underflow 0
		.amdhsa_exception_fp_ieee_inexact 0
		.amdhsa_exception_int_div_zero 0
	.end_amdhsa_kernel
	.section	.text._ZN12_GLOBAL__N_120geam_min_plus_kernelIf15HIP_vector_typeIfLj2EES2_Li8ELi32ELi64ELi128ELi4ELi4ELi64ELi4ELi64ELc84ELc78ELb1ELb0ELb0EfKPKfKPfEEviiiT16_PT17_ilSA_ilS8_SA_ilPT18_ili26rocblas_geam_ex_operation_,"axG",@progbits,_ZN12_GLOBAL__N_120geam_min_plus_kernelIf15HIP_vector_typeIfLj2EES2_Li8ELi32ELi64ELi128ELi4ELi4ELi64ELi4ELi64ELc84ELc78ELb1ELb0ELb0EfKPKfKPfEEviiiT16_PT17_ilSA_ilS8_SA_ilPT18_ili26rocblas_geam_ex_operation_,comdat
.Lfunc_end34:
	.size	_ZN12_GLOBAL__N_120geam_min_plus_kernelIf15HIP_vector_typeIfLj2EES2_Li8ELi32ELi64ELi128ELi4ELi4ELi64ELi4ELi64ELc84ELc78ELb1ELb0ELb0EfKPKfKPfEEviiiT16_PT17_ilSA_ilS8_SA_ilPT18_ili26rocblas_geam_ex_operation_, .Lfunc_end34-_ZN12_GLOBAL__N_120geam_min_plus_kernelIf15HIP_vector_typeIfLj2EES2_Li8ELi32ELi64ELi128ELi4ELi4ELi64ELi4ELi64ELc84ELc78ELb1ELb0ELb0EfKPKfKPfEEviiiT16_PT17_ilSA_ilS8_SA_ilPT18_ili26rocblas_geam_ex_operation_
                                        ; -- End function
	.section	.AMDGPU.csdata,"",@progbits
; Kernel info:
; codeLenInByte = 9572
; NumSgprs: 24
; NumVgprs: 224
; ScratchSize: 0
; MemoryBound: 0
; FloatMode: 240
; IeeeMode: 1
; LDSByteSize: 6144 bytes/workgroup (compile time only)
; SGPRBlocks: 2
; VGPRBlocks: 27
; NumSGPRsForWavesPerEU: 24
; NumVGPRsForWavesPerEU: 224
; Occupancy: 6
; WaveLimiterHint : 1
; COMPUTE_PGM_RSRC2:SCRATCH_EN: 0
; COMPUTE_PGM_RSRC2:USER_SGPR: 14
; COMPUTE_PGM_RSRC2:TRAP_HANDLER: 0
; COMPUTE_PGM_RSRC2:TGID_X_EN: 1
; COMPUTE_PGM_RSRC2:TGID_Y_EN: 0
; COMPUTE_PGM_RSRC2:TGID_Z_EN: 1
; COMPUTE_PGM_RSRC2:TIDIG_COMP_CNT: 1
	.section	.text._ZN12_GLOBAL__N_120geam_min_plus_kernelIf15HIP_vector_typeIfLj2EES2_Li8ELi32ELi64ELi128ELi4ELi4ELi64ELi4ELi64ELc84ELc78ELb0ELb0ELb0EfKPKfKPfEEviiiT16_PT17_ilSA_ilS8_SA_ilPT18_ili26rocblas_geam_ex_operation_,"axG",@progbits,_ZN12_GLOBAL__N_120geam_min_plus_kernelIf15HIP_vector_typeIfLj2EES2_Li8ELi32ELi64ELi128ELi4ELi4ELi64ELi4ELi64ELc84ELc78ELb0ELb0ELb0EfKPKfKPfEEviiiT16_PT17_ilSA_ilS8_SA_ilPT18_ili26rocblas_geam_ex_operation_,comdat
	.globl	_ZN12_GLOBAL__N_120geam_min_plus_kernelIf15HIP_vector_typeIfLj2EES2_Li8ELi32ELi64ELi128ELi4ELi4ELi64ELi4ELi64ELc84ELc78ELb0ELb0ELb0EfKPKfKPfEEviiiT16_PT17_ilSA_ilS8_SA_ilPT18_ili26rocblas_geam_ex_operation_ ; -- Begin function _ZN12_GLOBAL__N_120geam_min_plus_kernelIf15HIP_vector_typeIfLj2EES2_Li8ELi32ELi64ELi128ELi4ELi4ELi64ELi4ELi64ELc84ELc78ELb0ELb0ELb0EfKPKfKPfEEviiiT16_PT17_ilSA_ilS8_SA_ilPT18_ili26rocblas_geam_ex_operation_
	.p2align	8
	.type	_ZN12_GLOBAL__N_120geam_min_plus_kernelIf15HIP_vector_typeIfLj2EES2_Li8ELi32ELi64ELi128ELi4ELi4ELi64ELi4ELi64ELc84ELc78ELb0ELb0ELb0EfKPKfKPfEEviiiT16_PT17_ilSA_ilS8_SA_ilPT18_ili26rocblas_geam_ex_operation_,@function
_ZN12_GLOBAL__N_120geam_min_plus_kernelIf15HIP_vector_typeIfLj2EES2_Li8ELi32ELi64ELi128ELi4ELi4ELi64ELi4ELi64ELc84ELc78ELb0ELb0ELb0EfKPKfKPfEEviiiT16_PT17_ilSA_ilS8_SA_ilPT18_ili26rocblas_geam_ex_operation_: ; @_ZN12_GLOBAL__N_120geam_min_plus_kernelIf15HIP_vector_typeIfLj2EES2_Li8ELi32ELi64ELi128ELi4ELi4ELi64ELi4ELi64ELc84ELc78ELb0ELb0ELb0EfKPKfKPfEEviiiT16_PT17_ilSA_ilS8_SA_ilPT18_ili26rocblas_geam_ex_operation_
; %bb.0:
	s_clause 0x1
	s_load_b64 s[8:9], s[0:1], 0x8
	s_load_b128 s[4:7], s[0:1], 0x20
	s_mov_b32 s16, s15
	s_mov_b32 s17, 0
	s_waitcnt lgkmcnt(0)
	v_cmp_eq_f32_e64 s2, s9, 0
	s_delay_alu instid0(VALU_DEP_1)
	s_and_b32 vcc_lo, exec_lo, s2
	s_cbranch_vccnz .LBB35_3
; %bb.1:
	s_load_b64 s[10:11], s[0:1], 0x10
	s_lshl_b64 s[12:13], s[16:17], 3
	s_waitcnt lgkmcnt(0)
	s_add_u32 s10, s10, s12
	s_addc_u32 s11, s11, s13
	s_lshl_b64 s[4:5], s[4:5], 2
	s_load_b64 s[10:11], s[10:11], 0x0
	s_waitcnt lgkmcnt(0)
	s_add_u32 s10, s10, s4
	s_addc_u32 s11, s11, s5
	s_and_not1_b32 vcc_lo, exec_lo, s2
	s_cbranch_vccnz .LBB35_4
.LBB35_2:
	s_mov_b64 s[12:13], 0
	s_and_not1_b32 vcc_lo, exec_lo, s17
	s_cbranch_vccz .LBB35_5
	s_branch .LBB35_6
.LBB35_3:
	s_mov_b64 s[10:11], 0
	s_and_not1_b32 vcc_lo, exec_lo, s2
	s_cbranch_vccz .LBB35_2
.LBB35_4:
	s_mov_b32 s17, -1
                                        ; implicit-def: $sgpr12_sgpr13
.LBB35_5:
	s_mov_b32 s17, 0
	s_load_b64 s[4:5], s[0:1], 0x38
	s_lshl_b64 s[2:3], s[16:17], 3
	s_delay_alu instid0(SALU_CYCLE_1) | instskip(SKIP_4) | instid1(SALU_CYCLE_1)
	s_add_u32 s2, s6, s2
	s_addc_u32 s3, s7, s3
	s_load_b64 s[2:3], s[2:3], 0x0
	s_waitcnt lgkmcnt(0)
	s_lshl_b64 s[4:5], s[4:5], 2
	s_add_u32 s12, s2, s4
	s_addc_u32 s13, s3, s5
.LBB35_6:
	s_clause 0x1
	s_load_b32 s15, s[0:1], 0x40
	s_load_b128 s[4:7], s[0:1], 0x58
	v_cmp_neq_f32_e64 s18, s9, 0
	s_waitcnt lgkmcnt(0)
	v_cmp_eq_f32_e64 s2, s15, 0
	s_delay_alu instid0(VALU_DEP_1) | instskip(NEXT) | instid1(SALU_CYCLE_1)
	s_and_b32 s2, exec_lo, s2
	s_mov_b32 vcc_lo, s2
	s_cbranch_vccnz .LBB35_8
; %bb.7:
	s_load_b64 s[20:21], s[0:1], 0x48
	s_lshl_b64 s[22:23], s[16:17], 3
	s_waitcnt lgkmcnt(0)
	s_add_u32 s20, s20, s22
	s_addc_u32 s21, s21, s23
	s_lshl_b64 s[4:5], s[4:5], 2
	s_load_b64 s[20:21], s[20:21], 0x0
	s_waitcnt lgkmcnt(0)
	s_add_u32 s4, s20, s4
	s_addc_u32 s5, s21, s5
	s_branch .LBB35_9
.LBB35_8:
	s_mov_b64 s[4:5], 0
.LBB35_9:
	s_load_b32 s3, s[0:1], 0x0
	s_lshl_b64 s[20:21], s[16:17], 3
	s_load_b32 s17, s[0:1], 0x18
	s_add_u32 s6, s6, s20
	s_addc_u32 s7, s7, s21
	v_and_b32_e32 v48, 0x3ff, v0
	v_bfe_u32 v49, v0, 10, 10
	s_delay_alu instid0(VALU_DEP_2) | instskip(NEXT) | instid1(VALU_DEP_2)
	v_and_b32_e32 v2, 3, v48
	v_lshl_add_u32 v0, v49, 3, v48
	s_delay_alu instid0(VALU_DEP_2) | instskip(NEXT) | instid1(VALU_DEP_2)
	v_lshlrev_b32_e32 v52, 2, v2
	v_lshrrev_b32_e32 v6, 2, v0
	s_waitcnt lgkmcnt(0)
	s_add_i32 s3, s3, -1
	s_delay_alu instid0(SALU_CYCLE_1) | instskip(NEXT) | instid1(SALU_CYCLE_1)
	s_ashr_i32 s16, s3, 31
	s_lshr_b32 s16, s16, 26
	s_delay_alu instid0(SALU_CYCLE_1) | instskip(NEXT) | instid1(SALU_CYCLE_1)
	s_add_i32 s3, s3, s16
	s_ashr_i32 s3, s3, 6
	s_delay_alu instid0(SALU_CYCLE_1) | instskip(SKIP_2) | instid1(VALU_DEP_1)
	s_add_i32 s19, s3, 1
	s_not_b32 s3, s3
	v_cvt_f32_u32_e32 v1, s19
	v_rcp_iflag_f32_e32 v1, v1
	s_waitcnt_depctr 0xfff
	v_mul_f32_e32 v1, 0x4f7ffffe, v1
	s_delay_alu instid0(VALU_DEP_1) | instskip(NEXT) | instid1(VALU_DEP_1)
	v_cvt_u32_f32_e32 v1, v1
	v_readfirstlane_b32 s16, v1
	v_cndmask_b32_e64 v1, 0, 1, s18
	s_delay_alu instid0(VALU_DEP_2) | instskip(NEXT) | instid1(SALU_CYCLE_1)
	s_mul_i32 s3, s3, s16
	s_mul_hi_u32 s3, s16, s3
	s_delay_alu instid0(SALU_CYCLE_1) | instskip(NEXT) | instid1(SALU_CYCLE_1)
	s_add_i32 s16, s16, s3
	s_mul_hi_u32 s3, s14, s16
	s_delay_alu instid0(SALU_CYCLE_1) | instskip(SKIP_2) | instid1(SALU_CYCLE_1)
	s_mul_i32 s16, s3, s19
	s_add_i32 s20, s3, 1
	s_sub_i32 s16, s14, s16
	s_sub_i32 s21, s16, s19
	s_cmp_ge_u32 s16, s19
	s_cselect_b32 s3, s20, s3
	s_cselect_b32 s16, s21, s16
	s_add_i32 s20, s3, 1
	s_cmp_ge_u32 s16, s19
	s_cselect_b32 s16, s20, s3
	s_and_not1_b32 vcc_lo, exec_lo, s18
	s_mul_i32 s3, s16, s19
	s_delay_alu instid0(SALU_CYCLE_1) | instskip(SKIP_2) | instid1(SALU_CYCLE_1)
	s_sub_i32 s14, s14, s3
	v_cmp_ne_u32_e64 s3, 1, v1
	s_lshl_b32 s14, s14, 6
	v_add_nc_u32_e32 v0, s14, v6
	s_cbranch_vccnz .LBB35_11
; %bb.10:
	s_delay_alu instid0(VALU_DEP_1) | instskip(NEXT) | instid1(VALU_DEP_1)
	v_mad_i64_i32 v[1:2], null, v0, s17, 0
	v_lshlrev_b64 v[1:2], 2, v[1:2]
	s_delay_alu instid0(VALU_DEP_1) | instskip(NEXT) | instid1(VALU_DEP_2)
	v_add_co_u32 v1, vcc_lo, s10, v1
	v_add_co_ci_u32_e32 v2, vcc_lo, s11, v2, vcc_lo
	s_delay_alu instid0(VALU_DEP_2) | instskip(NEXT) | instid1(VALU_DEP_2)
	v_add_co_u32 v1, vcc_lo, v1, v52
	v_add_co_ci_u32_e32 v2, vcc_lo, 0, v2, vcc_lo
	flat_load_b32 v1, v[1:2]
	s_waitcnt vmcnt(0) lgkmcnt(0)
	v_mul_f32_e32 v7, s9, v1
	s_branch .LBB35_12
.LBB35_11:
	v_mov_b32_e32 v7, 0
.LBB35_12:
	s_load_b32 s18, s[0:1], 0x30
	s_lshl_b32 s16, s16, 7
	s_and_b32 vcc_lo, exec_lo, s3
	v_add_nc_u32_e32 v1, s16, v6
	s_delay_alu instid0(VALU_DEP_1)
	v_add_nc_u32_e32 v2, 64, v1
	s_cbranch_vccnz .LBB35_16
; %bb.13:
	s_waitcnt lgkmcnt(0)
	v_mad_i64_i32 v[3:4], null, v1, s18, 0
	s_delay_alu instid0(VALU_DEP_2) | instskip(SKIP_1) | instid1(VALU_DEP_1)
	v_mad_i64_i32 v[8:9], null, v2, s18, 0
	v_add_co_u32 v5, s19, s12, v52
	v_add_co_ci_u32_e64 v10, null, s13, 0, s19
	s_delay_alu instid0(VALU_DEP_4) | instskip(NEXT) | instid1(VALU_DEP_4)
	v_lshlrev_b64 v[3:4], 2, v[3:4]
	v_lshlrev_b64 v[8:9], 2, v[8:9]
	s_delay_alu instid0(VALU_DEP_2) | instskip(NEXT) | instid1(VALU_DEP_3)
	v_add_co_u32 v3, vcc_lo, v5, v3
	v_add_co_ci_u32_e32 v4, vcc_lo, v10, v4, vcc_lo
	s_delay_alu instid0(VALU_DEP_3) | instskip(NEXT) | instid1(VALU_DEP_4)
	v_add_co_u32 v8, vcc_lo, v5, v8
	v_add_co_ci_u32_e32 v9, vcc_lo, v10, v9, vcc_lo
	s_clause 0x1
	flat_load_b32 v3, v[3:4]
	flat_load_b32 v4, v[8:9]
	s_waitcnt vmcnt(0) lgkmcnt(0)
	v_dual_mul_f32 v8, s9, v3 :: v_dual_mul_f32 v9, s9, v4
	s_and_b32 vcc_lo, exec_lo, s3
	s_cbranch_vccnz .LBB35_17
.LBB35_14:
	v_mad_i64_i32 v[3:4], null, v0, s17, 0
	s_delay_alu instid0(VALU_DEP_1) | instskip(NEXT) | instid1(VALU_DEP_1)
	v_lshlrev_b64 v[3:4], 2, v[3:4]
	v_add_co_u32 v3, vcc_lo, s10, v3
	s_delay_alu instid0(VALU_DEP_2) | instskip(NEXT) | instid1(VALU_DEP_2)
	v_add_co_ci_u32_e32 v4, vcc_lo, s11, v4, vcc_lo
	v_add_co_u32 v3, vcc_lo, v3, v52
	s_delay_alu instid0(VALU_DEP_2)
	v_add_co_ci_u32_e32 v4, vcc_lo, 0, v4, vcc_lo
	flat_load_b32 v3, v[3:4] offset:16
	s_waitcnt vmcnt(0) lgkmcnt(0)
	v_mul_f32_e32 v3, s9, v3
	s_and_b32 vcc_lo, exec_lo, s3
	s_cbranch_vccnz .LBB35_18
.LBB35_15:
	s_waitcnt lgkmcnt(0)
	v_mad_i64_i32 v[4:5], null, v1, s18, 0
	v_mad_i64_i32 v[10:11], null, v2, s18, 0
	v_add_co_u32 v12, s19, s12, v52
	s_delay_alu instid0(VALU_DEP_1) | instskip(NEXT) | instid1(VALU_DEP_4)
	v_add_co_ci_u32_e64 v13, null, s13, 0, s19
	v_lshlrev_b64 v[4:5], 2, v[4:5]
	s_delay_alu instid0(VALU_DEP_4) | instskip(NEXT) | instid1(VALU_DEP_2)
	v_lshlrev_b64 v[10:11], 2, v[10:11]
	v_add_co_u32 v4, vcc_lo, v12, v4
	s_delay_alu instid0(VALU_DEP_3) | instskip(NEXT) | instid1(VALU_DEP_3)
	v_add_co_ci_u32_e32 v5, vcc_lo, v13, v5, vcc_lo
	v_add_co_u32 v10, vcc_lo, v12, v10
	s_delay_alu instid0(VALU_DEP_4)
	v_add_co_ci_u32_e32 v11, vcc_lo, v13, v11, vcc_lo
	s_clause 0x1
	flat_load_b32 v4, v[4:5] offset:16
	flat_load_b32 v5, v[10:11] offset:16
	s_waitcnt vmcnt(0) lgkmcnt(0)
	v_dual_mul_f32 v4, s9, v4 :: v_dual_mul_f32 v5, s9, v5
	s_branch .LBB35_19
.LBB35_16:
	v_dual_mov_b32 v8, 0 :: v_dual_mov_b32 v9, 0
	s_and_b32 vcc_lo, exec_lo, s3
	s_cbranch_vccz .LBB35_14
.LBB35_17:
	v_mov_b32_e32 v3, 0
	s_and_b32 vcc_lo, exec_lo, s3
	s_cbranch_vccz .LBB35_15
.LBB35_18:
	v_dual_mov_b32 v4, 0 :: v_dual_mov_b32 v5, 0
.LBB35_19:
	v_lshl_or_b32 v65, v6, 4, v52
	v_lshlrev_b32_e32 v50, 4, v49
	v_lshlrev_b32_e32 v51, 4, v48
	s_load_b64 s[6:7], s[6:7], 0x0
	s_cmp_lt_i32 s8, 9
	ds_store_b32 v65, v7 offset:4096
	ds_store_2addr_stride64_b32 v65, v8, v9 offset1:4
	s_waitcnt lgkmcnt(0)
	s_barrier
	buffer_gl0_inv
	ds_load_b128 v[6:9], v50
	ds_load_b128 v[10:13], v51 offset:4096
	ds_load_b128 v[14:17], v51 offset:4224
	;; [unrolled: 1-line block ×11, first 2 shown]
	ds_store_b32 v65, v3 offset:5120
	ds_store_2addr_stride64_b32 v65, v4, v5 offset0:8 offset1:12
	s_waitcnt lgkmcnt(0)
	s_barrier
	buffer_gl0_inv
	v_max_f32_e32 v6, v6, v6
	v_dual_max_f32 v10, v10, v10 :: v_dual_max_f32 v11, v11, v11
	v_dual_max_f32 v7, v7, v7 :: v_dual_max_f32 v14, v14, v14
	;; [unrolled: 1-line block ×4, first 2 shown]
	s_delay_alu instid0(VALU_DEP_3) | instskip(SKIP_2) | instid1(VALU_DEP_4)
	v_dual_min_f32 v47, v11, v7 :: v_dual_min_f32 v46, v10, v6
	v_dual_max_f32 v19, v19, v19 :: v_dual_max_f32 v22, v22, v22
	v_dual_max_f32 v23, v23, v23 :: v_dual_max_f32 v30, v30, v30
	v_dual_min_f32 v69, v27, v7 :: v_dual_min_f32 v68, v26, v6
	v_dual_max_f32 v31, v31, v31 :: v_dual_max_f32 v34, v34, v34
	v_dual_max_f32 v35, v35, v35 :: v_dual_max_f32 v38, v38, v38
	;; [unrolled: 1-line block ×3, first 2 shown]
	v_dual_min_f32 v61, v14, v6 :: v_dual_min_f32 v62, v15, v7
	v_dual_min_f32 v63, v18, v6 :: v_dual_min_f32 v64, v19, v7
	;; [unrolled: 1-line block ×5, first 2 shown]
	v_dual_min_f32 v6, v38, v6 :: v_dual_max_f32 v43, v43, v43
	v_dual_min_f32 v7, v39, v7 :: v_dual_max_f32 v8, v8, v8
	v_dual_max_f32 v9, v9, v9 :: v_dual_max_f32 v12, v12, v12
	v_dual_max_f32 v13, v13, v13 :: v_dual_min_f32 v86, v34, v42
	v_dual_max_f32 v53, v53, v53 :: v_dual_max_f32 v54, v54, v54
	v_max_f32_e32 v45, v45, v45
	v_dual_max_f32 v57, v57, v57 :: v_dual_max_f32 v58, v58, v58
	v_dual_min_f32 v74, v10, v42 :: v_dual_min_f32 v75, v11, v43
	v_dual_min_f32 v76, v14, v42 :: v_dual_min_f32 v77, v15, v43
	v_dual_max_f32 v16, v16, v16 :: v_dual_max_f32 v17, v17, v17
	v_dual_min_f32 v78, v18, v42 :: v_dual_min_f32 v79, v19, v43
	v_dual_max_f32 v20, v20, v20 :: v_dual_max_f32 v21, v21, v21
	;; [unrolled: 2-line block ×3, first 2 shown]
	v_dual_min_f32 v82, v26, v42 :: v_dual_min_f32 v83, v27, v43
	v_dual_min_f32 v84, v30, v42 :: v_dual_min_f32 v85, v31, v43
	;; [unrolled: 1-line block ×4, first 2 shown]
	v_dual_min_f32 v119, v14, v53 :: v_dual_max_f32 v44, v44, v44
	v_dual_min_f32 v120, v18, v53 :: v_dual_max_f32 v55, v55, v55
	;; [unrolled: 1-line block ×3, first 2 shown]
	v_dual_max_f32 v122, v59, v59 :: v_dual_max_f32 v123, v60, v60
	v_dual_min_f32 v59, v26, v53 :: v_dual_min_f32 v126, v19, v54
	v_min_f32_e32 v60, v30, v53
	v_dual_min_f32 v124, v34, v53 :: v_dual_min_f32 v125, v15, v54
	v_dual_min_f32 v53, v38, v53 :: v_dual_min_f32 v128, v27, v54
	v_dual_min_f32 v38, v38, v57 :: v_dual_add_f32 v47, 0, v47
	v_dual_min_f32 v130, v35, v54 :: v_dual_min_f32 v89, v12, v8
	v_min_f32_e32 v88, v13, v9
	v_add_f32_e32 v46, 0, v46
	v_dual_max_f32 v28, v28, v28 :: v_dual_max_f32 v29, v29, v29
	v_dual_max_f32 v32, v32, v32 :: v_dual_max_f32 v33, v33, v33
	v_dual_min_f32 v10, v10, v57 :: v_dual_min_f32 v127, v23, v54
	v_dual_min_f32 v14, v14, v57 :: v_dual_min_f32 v129, v31, v54
	v_min_f32_e32 v18, v18, v57
	v_dual_min_f32 v22, v22, v57 :: v_dual_min_f32 v15, v15, v58
	v_dual_min_f32 v26, v26, v57 :: v_dual_min_f32 v19, v19, v58
	;; [unrolled: 1-line block ×4, first 2 shown]
	v_min_f32_e32 v57, v11, v54
	v_min_f32_e32 v54, v39, v54
	;; [unrolled: 1-line block ×4, first 2 shown]
	v_dual_min_f32 v35, v35, v58 :: v_dual_add_f32 v116, v88, v47
	v_dual_min_f32 v39, v39, v58 :: v_dual_add_f32 v58, 0, v61
	v_min_f32_e32 v47, v17, v9
	v_min_f32_e32 v61, v16, v8
	v_add_f32_e32 v117, v89, v46
	v_dual_add_f32 v46, 0, v62 :: v_dual_add_f32 v63, 0, v63
	v_add_f32_e32 v62, 0, v64
	v_dual_min_f32 v64, v21, v9 :: v_dual_add_f32 v67, 0, v67
	v_dual_min_f32 v88, v20, v8 :: v_dual_min_f32 v89, v25, v9
	v_dual_max_f32 v36, v36, v36 :: v_dual_max_f32 v37, v37, v37
	v_dual_max_f32 v40, v40, v40 :: v_dual_max_f32 v41, v41, v41
	s_delay_alu instid0(VALU_DEP_3)
	v_dual_add_f32 v114, v47, v46 :: v_dual_add_f32 v113, v88, v63
	v_dual_add_f32 v115, v61, v58 :: v_dual_add_f32 v58, 0, v69
	v_dual_add_f32 v112, v64, v62 :: v_dual_min_f32 v61, v29, v9
	v_dual_add_f32 v110, v89, v67 :: v_dual_min_f32 v47, v24, v8
	;; [unrolled: 1-line block ×3, first 2 shown]
	v_dual_add_f32 v62, 0, v68 :: v_dual_add_f32 v67, 0, v70
	s_delay_alu instid0(VALU_DEP_2) | instskip(NEXT) | instid1(VALU_DEP_2)
	v_dual_add_f32 v64, 0, v71 :: v_dual_add_f32 v111, v47, v46
	v_dual_min_f32 v66, v33, v9 :: v_dual_add_f32 v109, v63, v62
	v_dual_min_f32 v68, v32, v8 :: v_dual_min_f32 v47, v37, v9
	v_add_f32_e32 v108, v61, v58
	s_delay_alu instid0(VALU_DEP_3) | instskip(SKIP_3) | instid1(VALU_DEP_2)
	v_dual_add_f32 v106, v66, v64 :: v_dual_add_f32 v7, 0, v7
	v_dual_add_f32 v46, 0, v73 :: v_dual_min_f32 v61, v36, v8
	v_dual_add_f32 v58, 0, v72 :: v_dual_min_f32 v9, v41, v9
	;; [unrolled: 1-line block ×3, first 2 shown]
	v_dual_min_f32 v8, v40, v8 :: v_dual_add_f32 v105, v61, v58
	v_add_f32_e32 v62, 0, v75
	v_add_f32_e32 v104, v47, v46
	v_dual_add_f32 v102, v9, v7 :: v_dual_min_f32 v47, v16, v44
	s_delay_alu instid0(VALU_DEP_4) | instskip(SKIP_4) | instid1(VALU_DEP_3)
	v_add_f32_e32 v103, v8, v6
	v_dual_add_f32 v6, 0, v74 :: v_dual_min_f32 v61, v21, v45
	v_dual_min_f32 v7, v12, v44 :: v_dual_add_f32 v100, v63, v62
	v_min_f32_e32 v9, v17, v45
	v_dual_add_f32 v8, 0, v77 :: v_dual_min_f32 v63, v20, v44
	v_dual_add_f32 v46, 0, v76 :: v_dual_add_f32 v101, v7, v6
	v_add_f32_e32 v58, 0, v79
	v_dual_add_f32 v62, 0, v78 :: v_dual_min_f32 v7, v25, v45
	s_delay_alu instid0(VALU_DEP_3) | instskip(NEXT) | instid1(VALU_DEP_3)
	v_dual_add_f32 v98, v9, v8 :: v_dual_add_f32 v99, v47, v46
	v_dual_add_f32 v96, v61, v58 :: v_dual_min_f32 v9, v24, v44
	v_dual_add_f32 v6, 0, v81 :: v_dual_min_f32 v61, v28, v44
	;; [unrolled: 1-line block ×3, first 2 shown]
	v_dual_add_f32 v46, 0, v83 :: v_dual_add_f32 v97, v63, v62
	v_dual_min_f32 v63, v33, v45 :: v_dual_add_f32 v58, 0, v82
	s_delay_alu instid0(VALU_DEP_3) | instskip(SKIP_1) | instid1(VALU_DEP_4)
	v_dual_add_f32 v95, v9, v8 :: v_dual_add_f32 v62, 0, v85
	v_dual_add_f32 v94, v7, v6 :: v_dual_min_f32 v7, v32, v44
	v_dual_add_f32 v92, v47, v46 :: v_dual_min_f32 v9, v37, v45
	v_dual_add_f32 v6, 0, v84 :: v_dual_add_f32 v43, 0, v43
	v_dual_add_f32 v8, 0, v87 :: v_dual_min_f32 v45, v41, v45
	v_add_f32_e32 v93, v61, v58
	v_dual_add_f32 v90, v63, v62 :: v_dual_min_f32 v47, v36, v44
	v_add_f32_e32 v46, 0, v86
	v_add_f32_e32 v42, 0, v42
	v_dual_min_f32 v44, v40, v44 :: v_dual_add_f32 v91, v7, v6
	v_dual_add_f32 v6, 0, v57 :: v_dual_min_f32 v7, v13, v56
	s_delay_alu instid0(VALU_DEP_4) | instskip(SKIP_1) | instid1(VALU_DEP_4)
	v_dual_add_f32 v88, v9, v8 :: v_dual_add_f32 v89, v47, v46
	v_dual_add_f32 v8, 0, v118 :: v_dual_min_f32 v9, v12, v55
	v_dual_add_f32 v86, v45, v43 :: v_dual_add_f32 v87, v44, v42
	v_dual_add_f32 v42, 0, v125 :: v_dual_min_f32 v47, v21, v56
	v_min_f32_e32 v43, v17, v56
	v_min_f32_e32 v45, v16, v55
	v_dual_add_f32 v44, 0, v119 :: v_dual_add_f32 v85, v9, v8
	v_add_f32_e32 v46, 0, v126
	v_dual_add_f32 v84, v7, v6 :: v_dual_min_f32 v7, v20, v55
	v_add_f32_e32 v6, 0, v120
	v_dual_add_f32 v82, v43, v42 :: v_dual_min_f32 v9, v25, v56
	s_delay_alu instid0(VALU_DEP_4)
	v_dual_add_f32 v83, v45, v44 :: v_dual_add_f32 v80, v47, v46
	v_min_f32_e32 v43, v24, v55
	v_dual_add_f32 v8, 0, v127 :: v_dual_min_f32 v45, v29, v56
	v_add_f32_e32 v46, 0, v59
	v_dual_min_f32 v47, v28, v55 :: v_dual_add_f32 v42, 0, v121
	v_dual_add_f32 v81, v7, v6 :: v_dual_add_f32 v44, 0, v128
	v_dual_add_f32 v6, 0, v129 :: v_dual_min_f32 v7, v33, v56
	s_delay_alu instid0(VALU_DEP_3) | instskip(NEXT) | instid1(VALU_DEP_3)
	v_dual_add_f32 v78, v9, v8 :: v_dual_add_f32 v77, v47, v46
	v_dual_add_f32 v79, v43, v42 :: v_dual_add_f32 v76, v45, v44
	v_dual_min_f32 v9, v32, v55 :: v_dual_add_f32 v8, 0, v60
	v_dual_min_f32 v45, v36, v55 :: v_dual_add_f32 v42, 0, v130
	v_dual_min_f32 v47, v41, v56 :: v_dual_add_f32 v46, 0, v54
	s_delay_alu instid0(VALU_DEP_3) | instskip(SKIP_4) | instid1(VALU_DEP_3)
	v_add_f32_e32 v75, v9, v8
	v_min_f32_e32 v43, v37, v56
	v_add_f32_e32 v44, 0, v124
	v_dual_add_f32 v8, 0, v11 :: v_dual_add_f32 v9, 0, v14
	v_add_f32_e32 v69, v47, v46
	v_dual_add_f32 v74, v7, v6 :: v_dual_add_f32 v73, v45, v44
	v_dual_add_f32 v6, 0, v53 :: v_dual_add_f32 v7, 0, v10
	v_dual_add_f32 v10, 0, v15 :: v_dual_add_f32 v11, 0, v18
	v_dual_add_f32 v14, 0, v19 :: v_dual_add_f32 v15, 0, v22
	v_dual_add_f32 v18, 0, v23 :: v_dual_add_f32 v19, 0, v26
	v_dual_add_f32 v22, 0, v27 :: v_dual_add_f32 v23, 0, v30
	v_min_f32_e32 v30, v40, v55
	v_add_f32_e32 v72, v43, v42
	v_dual_add_f32 v26, 0, v31 :: v_dual_add_f32 v27, 0, v34
	v_add_f32_e32 v31, 0, v35
	v_dual_min_f32 v13, v13, v123 :: v_dual_add_f32 v34, 0, v38
	v_add_f32_e32 v35, 0, v39
	v_add_f32_e32 v71, v30, v6
	v_min_f32_e32 v6, v12, v122
	s_delay_alu instid0(VALU_DEP_4) | instskip(SKIP_2) | instid1(VALU_DEP_4)
	v_dual_add_f32 v107, v68, v67 :: v_dual_add_f32 v68, v13, v8
	v_dual_min_f32 v12, v16, v122 :: v_dual_min_f32 v13, v21, v123
	v_min_f32_e32 v8, v17, v123
	v_add_f32_e32 v70, v6, v7
	v_dual_min_f32 v6, v20, v122 :: v_dual_min_f32 v7, v25, v123
	s_delay_alu instid0(VALU_DEP_4) | instskip(NEXT) | instid1(VALU_DEP_4)
	v_add_f32_e32 v67, v12, v9
	v_add_f32_e32 v66, v8, v10
	v_min_f32_e32 v9, v28, v122
	s_delay_alu instid0(VALU_DEP_4) | instskip(SKIP_2) | instid1(VALU_DEP_4)
	v_add_f32_e32 v61, v7, v18
	v_min_f32_e32 v7, v33, v123
	v_min_f32_e32 v8, v29, v123
	v_add_f32_e32 v60, v9, v19
	v_dual_min_f32 v9, v41, v123 :: v_dual_min_f32 v10, v40, v122
	s_delay_alu instid0(VALU_DEP_4) | instskip(NEXT) | instid1(VALU_DEP_4)
	v_dual_add_f32 v55, v7, v26 :: v_dual_add_f32 v64, v6, v11
	v_add_f32_e32 v59, v8, v22
	v_dual_min_f32 v6, v24, v122 :: v_dual_min_f32 v7, v37, v123
	v_add_f32_e32 v62, v13, v14
	v_dual_min_f32 v8, v36, v122 :: v_dual_add_f32 v53, v9, v35
	s_delay_alu instid0(VALU_DEP_3) | instskip(NEXT) | instid1(VALU_DEP_4)
	v_add_f32_e32 v63, v6, v15
	v_dual_add_f32 v57, v7, v31 :: v_dual_min_f32 v6, v32, v122
	s_delay_alu instid0(VALU_DEP_3) | instskip(SKIP_1) | instid1(VALU_DEP_3)
	v_add_f32_e32 v56, v8, v27
	v_add_f32_e32 v54, v10, v34
	v_add_f32_e32 v58, v6, v23
	s_cbranch_scc1 .LBB35_33
; %bb.20:
	v_mad_i64_i32 v[3:4], null, v0, s17, 0
	v_mad_i64_i32 v[5:6], null, s18, v2, 0
	;; [unrolled: 1-line block ×3, first 2 shown]
	v_add_nc_u32_e32 v118, 0x1000, v65
	v_add_nc_u32_e32 v119, 0x1000, v51
	v_lshlrev_b64 v[2:3], 2, v[3:4]
	v_add_nc_u32_e32 v120, 0x1400, v65
	v_lshlrev_b64 v[0:1], 2, v[5:6]
	v_add_nc_u32_e32 v121, 0x800, v65
	v_lshl_add_u32 v124, v48, 4, 0x1400
	v_lshl_add_u32 v125, v49, 4, 0x800
	v_add_co_u32 v122, vcc_lo, s10, v2
	v_add_co_ci_u32_e32 v123, vcc_lo, s11, v3, vcc_lo
	v_lshlrev_b64 v[2:3], 2, v[7:8]
	v_add_co_u32 v126, vcc_lo, s12, v0
	v_add_co_ci_u32_e32 v127, vcc_lo, s13, v1, vcc_lo
	s_add_i32 s8, s8, -8
	s_delay_alu instid0(VALU_DEP_3) | instskip(NEXT) | instid1(VALU_DEP_4)
	v_add_co_u32 v128, vcc_lo, s12, v2
	v_add_co_ci_u32_e32 v129, vcc_lo, s13, v3, vcc_lo
	s_mov_b32 s10, 0
	s_branch .LBB35_23
.LBB35_21:                              ;   in Loop: Header=BB35_23 Depth=1
	v_add_co_u32 v0, vcc_lo, v128, v52
	v_add_co_ci_u32_e32 v1, vcc_lo, 0, v129, vcc_lo
	v_add_co_u32 v213, vcc_lo, v126, v52
	v_add_co_ci_u32_e32 v214, vcc_lo, 0, v127, vcc_lo
	flat_load_b32 v0, v[0:1] offset:48
	flat_load_b32 v1, v[213:214] offset:48
	s_waitcnt vmcnt(0) lgkmcnt(0)
	v_dual_mul_f32 v0, s9, v0 :: v_dual_mul_f32 v1, s9, v1
.LBB35_22:                              ;   in Loop: Header=BB35_23 Depth=1
	v_dual_add_f32 v36, v36, v117 :: v_dual_add_f32 v41, v41, v115
	v_dual_add_f32 v40, v40, v116 :: v_dual_add_f32 v29, v29, v113
	;; [unrolled: 1-line block ×18, first 2 shown]
	ds_load_b128 v[20:23], v50
	ds_load_b128 v[28:31], v119
	v_dual_add_f32 v64, v10, v64 :: v_dual_add_f32 v63, v11, v63
	ds_load_b128 v[8:11], v119 offset:128
	v_dual_add_f32 v5, v5, v87 :: v_dual_add_f32 v86, v140, v86
	v_dual_add_f32 v67, v159, v67 :: v_dual_add_f32 v66, v160, v66
	;; [unrolled: 1-line block ×18, first 2 shown]
	s_waitcnt lgkmcnt(2)
	v_dual_add_f32 v132, v19, v46 :: v_dual_max_f32 v21, v21, v21
	ds_load_b128 v[2:5], v119 offset:256
	ds_load_b128 v[12:15], v119 offset:384
	;; [unrolled: 1-line block ×5, first 2 shown]
	v_dual_add_f32 v7, v7, v43 :: v_dual_max_f32 v20, v20, v20
	s_waitcnt lgkmcnt(6)
	v_dual_max_f32 v28, v28, v28 :: v_dual_max_f32 v29, v29, v29
	s_waitcnt lgkmcnt(5)
	v_dual_max_f32 v8, v8, v8 :: v_dual_max_f32 v9, v9, v9
	ds_load_b128 v[36:39], v119 offset:768
	ds_load_b128 v[40:43], v119 offset:896
	v_dual_add_f32 v95, v133, v95 :: v_dual_add_f32 v94, v134, v94
	v_dual_add_f32 v93, v135, v93 :: v_dual_add_f32 v92, v136, v92
	v_dual_min_f32 v133, v28, v20 :: v_dual_min_f32 v134, v29, v21
	v_dual_min_f32 v135, v8, v20 :: v_dual_add_f32 v114, v185, v45
	s_waitcnt lgkmcnt(6)
	v_dual_add_f32 v115, v176, v44 :: v_dual_max_f32 v2, v2, v2
	s_delay_alu instid0(VALU_DEP_3) | instskip(SKIP_2) | instid1(VALU_DEP_3)
	v_dual_add_f32 v88, v133, v88 :: v_dual_add_f32 v87, v134, v87
	s_waitcnt lgkmcnt(5)
	v_dual_min_f32 v133, v9, v21 :: v_dual_max_f32 v12, v12, v12
	v_dual_add_f32 v99, v135, v99 :: v_dual_min_f32 v134, v2, v20
	s_delay_alu instid0(VALU_DEP_2)
	v_dual_max_f32 v3, v3, v3 :: v_dual_add_f32 v98, v133, v98
	s_waitcnt lgkmcnt(4)
	v_dual_max_f32 v13, v13, v13 :: v_dual_max_f32 v16, v16, v16
	v_min_f32_e32 v135, v12, v20
	v_add_f32_e32 v101, v134, v101
	s_waitcnt lgkmcnt(1)
	v_dual_max_f32 v17, v17, v17 :: v_dual_max_f32 v36, v36, v36
	v_min_f32_e32 v134, v13, v21
	v_min_f32_e32 v133, v3, v21
	v_dual_add_f32 v103, v135, v103 :: v_dual_max_f32 v24, v24, v24
	v_dual_max_f32 v37, v37, v37 :: v_dual_max_f32 v32, v32, v32
	s_delay_alu instid0(VALU_DEP_4) | instskip(NEXT) | instid1(VALU_DEP_4)
	v_add_f32_e32 v102, v134, v102
	v_add_f32_e32 v100, v133, v100
	v_dual_min_f32 v133, v16, v20 :: v_dual_min_f32 v134, v17, v21
	s_waitcnt lgkmcnt(0)
	v_dual_max_f32 v25, v25, v25 :: v_dual_max_f32 v40, v40, v40
	v_max_f32_e32 v41, v41, v41
	s_delay_alu instid0(VALU_DEP_3) | instskip(NEXT) | instid1(VALU_DEP_3)
	v_dual_add_f32 v105, v133, v105 :: v_dual_add_f32 v104, v134, v104
	v_dual_min_f32 v134, v36, v20 :: v_dual_min_f32 v135, v25, v21
	v_min_f32_e32 v133, v24, v20
	v_dual_min_f32 v20, v40, v20 :: v_dual_max_f32 v33, v33, v33
	ds_load_b128 v[44:47], v50 offset:1024
	ds_load_b128 v[53:56], v50 offset:1536
	v_dual_add_f32 v106, v135, v106 :: v_dual_add_f32 v107, v133, v107
	v_add_f32_e32 v134, v134, v109
	v_dual_min_f32 v133, v37, v21 :: v_dual_add_f32 v20, v20, v111
	v_min_f32_e32 v111, v8, v32
	v_dual_add_f32 v91, v137, v91 :: v_dual_add_f32 v90, v138, v90
	s_delay_alu instid0(VALU_DEP_3) | instskip(SKIP_3) | instid1(VALU_DEP_3)
	v_add_f32_e32 v133, v133, v108
	v_min_f32_e32 v108, v28, v32
	v_dual_add_f32 v96, v186, v96 :: v_dual_add_f32 v97, v177, v97
	v_dual_add_f32 v94, v187, v94 :: v_dual_add_f32 v95, v178, v95
	v_add_f32_e32 v135, v108, v113
	v_min_f32_e32 v108, v9, v33
	v_min_f32_e32 v21, v41, v21
	v_dual_add_f32 v137, v111, v115 :: v_dual_add_f32 v92, v188, v92
	s_delay_alu instid0(VALU_DEP_3) | instskip(NEXT) | instid1(VALU_DEP_3)
	v_dual_add_f32 v93, v179, v93 :: v_dual_add_f32 v138, v108, v114
	v_dual_add_f32 v21, v21, v110 :: v_dual_min_f32 v110, v3, v33
	v_min_f32_e32 v109, v29, v33
	v_dual_min_f32 v108, v13, v33 :: v_dual_min_f32 v111, v12, v32
	v_dual_add_f32 v85, v141, v85 :: v_dual_add_f32 v84, v142, v84
	s_delay_alu instid0(VALU_DEP_4) | instskip(NEXT) | instid1(VALU_DEP_4)
	v_add_f32_e32 v96, v110, v96
	v_add_f32_e32 v136, v109, v112
	s_delay_alu instid0(VALU_DEP_4) | instskip(SKIP_3) | instid1(VALU_DEP_3)
	v_dual_min_f32 v109, v2, v32 :: v_dual_add_f32 v94, v108, v94
	v_dual_min_f32 v108, v17, v33 :: v_dual_add_f32 v83, v143, v83
	v_add_f32_e32 v82, v144, v82
	v_dual_add_f32 v90, v189, v90 :: v_dual_add_f32 v91, v180, v91
	v_dual_add_f32 v97, v109, v97 :: v_dual_add_f32 v92, v108, v92
	v_dual_add_f32 v95, v111, v95 :: v_dual_min_f32 v108, v37, v33
	v_dual_min_f32 v110, v24, v32 :: v_dual_min_f32 v111, v25, v33
	s_waitcnt lgkmcnt(1)
	v_max_f32_e32 v44, v44, v44
	v_dual_add_f32 v84, v200, v84 :: v_dual_add_f32 v85, v191, v85
	v_dual_add_f32 v82, v201, v82 :: v_dual_add_f32 v83, v192, v83
	v_dual_min_f32 v109, v16, v32 :: v_dual_add_f32 v90, v111, v90
	v_add_f32_e32 v91, v110, v91
	v_add_f32_e32 v139, v108, v116
	v_dual_min_f32 v108, v28, v44 :: v_dual_add_f32 v81, v145, v81
	s_delay_alu instid0(VALU_DEP_4) | instskip(SKIP_2) | instid1(VALU_DEP_4)
	v_dual_add_f32 v80, v146, v80 :: v_dual_add_f32 v93, v109, v93
	v_max_f32_e32 v45, v45, v45
	v_min_f32_e32 v33, v41, v33
	v_dual_add_f32 v85, v108, v85 :: v_dual_min_f32 v108, v2, v44
	v_min_f32_e32 v109, v36, v32
	v_dual_min_f32 v32, v40, v32 :: v_dual_add_f32 v79, v147, v79
	v_dual_add_f32 v78, v148, v78 :: v_dual_add_f32 v77, v149, v77
	v_add_f32_e32 v76, v150, v76
	v_dual_add_f32 v80, v202, v80 :: v_dual_add_f32 v81, v193, v81
	s_delay_alu instid0(VALU_DEP_4)
	v_dual_add_f32 v32, v32, v117 :: v_dual_add_f32 v33, v33, v86
	v_min_f32_e32 v110, v8, v44
	v_min_f32_e32 v86, v9, v45
	v_add_f32_e32 v89, v109, v89
	v_min_f32_e32 v109, v29, v45
	v_dual_add_f32 v75, v151, v75 :: v_dual_add_f32 v74, v152, v74
	v_dual_add_f32 v78, v203, v78 :: v_dual_add_f32 v79, v194, v79
	;; [unrolled: 1-line block ×3, first 2 shown]
	v_dual_add_f32 v83, v110, v83 :: v_dual_min_f32 v110, v12, v44
	v_add_f32_e32 v82, v86, v82
	v_min_f32_e32 v86, v13, v45
	v_add_f32_e32 v81, v108, v81
	v_min_f32_e32 v108, v16, v44
	v_dual_add_f32 v84, v109, v84 :: v_dual_min_f32 v109, v3, v45
	s_delay_alu instid0(VALU_DEP_4) | instskip(SKIP_2) | instid1(VALU_DEP_4)
	v_add_f32_e32 v78, v86, v78
	v_dual_add_f32 v74, v205, v74 :: v_dual_add_f32 v75, v196, v75
	v_dual_add_f32 v79, v110, v79 :: v_dual_min_f32 v86, v17, v45
	v_add_f32_e32 v80, v109, v80
	v_dual_min_f32 v109, v24, v44 :: v_dual_min_f32 v110, v25, v45
	s_delay_alu instid0(VALU_DEP_3) | instskip(NEXT) | instid1(VALU_DEP_2)
	v_dual_add_f32 v77, v108, v77 :: v_dual_add_f32 v76, v86, v76
	v_dual_min_f32 v108, v36, v44 :: v_dual_add_f32 v75, v109, v75
	s_waitcnt lgkmcnt(0)
	v_dual_min_f32 v44, v40, v44 :: v_dual_max_f32 v53, v53, v53
	v_max_f32_e32 v54, v54, v54
	v_min_f32_e32 v86, v37, v45
	v_min_f32_e32 v45, v41, v45
	v_dual_add_f32 v73, v153, v73 :: v_dual_add_f32 v72, v154, v72
	s_delay_alu instid0(VALU_DEP_4) | instskip(SKIP_1) | instid1(VALU_DEP_2)
	v_dual_min_f32 v3, v3, v54 :: v_dual_min_f32 v12, v12, v53
	v_dual_min_f32 v16, v16, v53 :: v_dual_min_f32 v25, v25, v54
	v_dual_min_f32 v24, v24, v53 :: v_dual_add_f32 v3, v3, v62
	s_delay_alu instid0(VALU_DEP_3) | instskip(SKIP_4) | instid1(VALU_DEP_4)
	v_dual_add_f32 v12, v12, v63 :: v_dual_min_f32 v37, v37, v54
	v_dual_min_f32 v36, v36, v53 :: v_dual_max_f32 v23, v23, v23
	v_dual_add_f32 v69, v156, v69 :: v_dual_add_f32 v68, v158, v68
	v_add_f32_e32 v72, v209, v72
	v_dual_add_f32 v25, v25, v131 :: v_dual_add_f32 v24, v24, v58
	v_dual_max_f32 v31, v31, v31 :: v_dual_add_f32 v6, v36, v6
	v_dual_add_f32 v36, v37, v57 :: v_dual_max_f32 v11, v11, v11
	v_dual_min_f32 v37, v40, v53 :: v_dual_max_f32 v22, v22, v22
	v_max_f32_e32 v30, v30, v30
	v_min_f32_e32 v40, v41, v54
	v_dual_add_f32 v73, v197, v73 :: v_dual_add_f32 v68, v211, v68
	v_add_f32_e32 v69, v210, v69
	v_dual_add_f32 v72, v86, v72 :: v_dual_min_f32 v29, v29, v54
	v_dual_min_f32 v28, v28, v53 :: v_dual_min_f32 v9, v9, v54
	v_min_f32_e32 v8, v8, v53
	v_dual_min_f32 v2, v2, v53 :: v_dual_min_f32 v13, v13, v54
	v_add_f32_e32 v7, v37, v7
	v_min_f32_e32 v37, v31, v23
	v_min_f32_e32 v53, v11, v23
	v_dual_min_f32 v41, v30, v22 :: v_dual_add_f32 v40, v40, v132
	v_dual_max_f32 v10, v10, v10 :: v_dual_max_f32 v5, v5, v5
	v_max_f32_e32 v4, v4, v4
	s_delay_alu instid0(VALU_DEP_3) | instskip(NEXT) | instid1(VALU_DEP_3)
	v_add_f32_e32 v117, v41, v88
	v_dual_add_f32 v116, v37, v87 :: v_dual_min_f32 v37, v10, v22
	v_dual_add_f32 v114, v53, v98 :: v_dual_max_f32 v15, v15, v15
	v_dual_min_f32 v41, v5, v23 :: v_dual_max_f32 v14, v14, v14
	s_delay_alu instid0(VALU_DEP_3) | instskip(NEXT) | instid1(VALU_DEP_2)
	v_dual_add_f32 v115, v37, v99 :: v_dual_max_f32 v18, v18, v18
	v_dual_min_f32 v37, v4, v22 :: v_dual_add_f32 v112, v41, v100
	s_delay_alu instid0(VALU_DEP_4) | instskip(SKIP_2) | instid1(VALU_DEP_4)
	v_dual_min_f32 v53, v15, v23 :: v_dual_max_f32 v26, v26, v26
	v_dual_max_f32 v19, v19, v19 :: v_dual_add_f32 v74, v110, v74
	v_add_f32_e32 v73, v108, v73
	v_dual_add_f32 v113, v37, v101 :: v_dual_max_f32 v38, v38, v38
	s_delay_alu instid0(VALU_DEP_3) | instskip(SKIP_2) | instid1(VALU_DEP_3)
	v_dual_add_f32 v110, v53, v102 :: v_dual_min_f32 v37, v19, v23
	v_min_f32_e32 v41, v14, v22
	v_dual_max_f32 v27, v27, v27 :: v_dual_max_f32 v34, v34, v34
	v_dual_max_f32 v43, v43, v43 :: v_dual_add_f32 v108, v37, v104
	v_max_f32_e32 v37, v39, v39
	s_delay_alu instid0(VALU_DEP_3)
	v_min_f32_e32 v39, v27, v23
	v_add_f32_e32 v111, v41, v103
	v_min_f32_e32 v41, v18, v22
	v_max_f32_e32 v35, v35, v35
	v_dual_add_f32 v71, v155, v71 :: v_dual_add_f32 v70, v157, v70
	v_add_f32_e32 v29, v29, v68
	s_delay_alu instid0(VALU_DEP_4) | instskip(SKIP_4) | instid1(VALU_DEP_3)
	v_add_f32_e32 v109, v41, v105
	v_min_f32_e32 v41, v37, v23
	v_min_f32_e32 v23, v43, v23
	v_dual_add_f32 v8, v8, v67 :: v_dual_add_f32 v9, v9, v66
	v_dual_add_f32 v71, v206, v71 :: v_dual_add_f32 v70, v207, v70
	v_add_f32_e32 v102, v23, v21
	v_dual_min_f32 v21, v11, v35 :: v_dual_add_f32 v104, v41, v133
	v_max_f32_e32 v41, v42, v42
	v_min_f32_e32 v42, v30, v34
	v_add_f32_e32 v106, v39, v106
	s_delay_alu instid0(VALU_DEP_4) | instskip(SKIP_4) | instid1(VALU_DEP_3)
	v_add_f32_e32 v98, v21, v138
	v_min_f32_e32 v21, v5, v35
	v_min_f32_e32 v39, v38, v22
	v_dual_add_f32 v28, v28, v70 :: v_dual_add_f32 v13, v13, v61
	v_dual_add_f32 v2, v2, v64 :: v_dual_min_f32 v17, v17, v54
	v_dual_add_f32 v96, v21, v96 :: v_dual_add_f32 v105, v39, v134
	v_min_f32_e32 v39, v31, v35
	v_min_f32_e32 v53, v26, v22
	;; [unrolled: 1-line block ×3, first 2 shown]
	v_dual_add_f32 v16, v16, v60 :: v_dual_add_f32 v17, v17, v59
	s_delay_alu instid0(VALU_DEP_3) | instskip(NEXT) | instid1(VALU_DEP_3)
	v_dual_add_f32 v100, v39, v136 :: v_dual_add_f32 v107, v53, v107
	v_add_f32_e32 v103, v22, v20
	v_min_f32_e32 v20, v10, v34
	v_min_f32_e32 v22, v4, v34
	v_dual_add_f32 v44, v44, v71 :: v_dual_add_f32 v45, v45, v69
	v_add_co_u32 v126, vcc_lo, v126, 32
	s_delay_alu instid0(VALU_DEP_4) | instskip(SKIP_2) | instid1(VALU_DEP_3)
	v_dual_add_f32 v99, v20, v137 :: v_dual_min_f32 v20, v14, v34
	v_add_co_ci_u32_e32 v127, vcc_lo, 0, v127, vcc_lo
	v_add_co_u32 v128, vcc_lo, v128, 32
	v_dual_add_f32 v95, v20, v95 :: v_dual_min_f32 v20, v18, v34
	v_min_f32_e32 v21, v19, v35
	v_add_co_ci_u32_e32 v129, vcc_lo, 0, v129, vcc_lo
	v_add_co_u32 v122, vcc_lo, v122, 32
	s_delay_alu instid0(VALU_DEP_3) | instskip(SKIP_3) | instid1(VALU_DEP_3)
	v_add_f32_e32 v92, v21, v92
	v_min_f32_e32 v21, v37, v35
	v_dual_add_f32 v93, v20, v93 :: v_dual_min_f32 v20, v38, v34
	v_add_co_ci_u32_e32 v123, vcc_lo, 0, v123, vcc_lo
	v_add_f32_e32 v88, v21, v139
	v_max_f32_e32 v21, v47, v47
	s_delay_alu instid0(VALU_DEP_4)
	v_add_f32_e32 v89, v20, v89
	s_add_i32 s10, s10, 8
	ds_store_b32 v120, v130
	ds_store_2addr_stride64_b32 v121, v0, v1 offset1:4
	s_cmp_ge_i32 s10, s8
	v_min_f32_e32 v20, v31, v21
	v_min_f32_e32 v23, v15, v35
	s_waitcnt lgkmcnt(0)
	s_barrier
	buffer_gl0_inv
	v_add_f32_e32 v84, v20, v84
	v_add_f32_e32 v94, v23, v94
	v_min_f32_e32 v23, v26, v34
	s_delay_alu instid0(VALU_DEP_1) | instskip(SKIP_1) | instid1(VALU_DEP_1)
	v_add_f32_e32 v91, v23, v91
	v_min_f32_e32 v23, v43, v35
	v_add_f32_e32 v86, v23, v33
	v_min_f32_e32 v23, v11, v21
	v_dual_add_f32 v97, v22, v97 :: v_dual_min_f32 v22, v27, v35
	v_dual_add_f32 v101, v42, v135 :: v_dual_min_f32 v34, v41, v34
	s_delay_alu instid0(VALU_DEP_2) | instskip(SKIP_1) | instid1(VALU_DEP_3)
	v_add_f32_e32 v90, v22, v90
	v_max_f32_e32 v22, v46, v46
	v_dual_add_f32 v87, v34, v32 :: v_dual_min_f32 v32, v5, v21
	s_delay_alu instid0(VALU_DEP_2) | instskip(NEXT) | instid1(VALU_DEP_2)
	v_min_f32_e32 v20, v10, v22
	v_add_f32_e32 v80, v32, v80
	v_min_f32_e32 v32, v18, v22
	v_min_f32_e32 v35, v30, v22
	s_delay_alu instid0(VALU_DEP_4) | instskip(NEXT) | instid1(VALU_DEP_3)
	v_dual_add_f32 v83, v20, v83 :: v_dual_min_f32 v20, v14, v22
	v_add_f32_e32 v77, v32, v77
	v_max_f32_e32 v32, v56, v56
	s_delay_alu instid0(VALU_DEP_3) | instskip(SKIP_1) | instid1(VALU_DEP_3)
	v_dual_add_f32 v79, v20, v79 :: v_dual_min_f32 v20, v27, v21
	v_add_f32_e32 v85, v35, v85
	v_min_f32_e32 v31, v31, v32
	s_delay_alu instid0(VALU_DEP_3) | instskip(SKIP_2) | instid1(VALU_DEP_4)
	v_dual_min_f32 v5, v5, v32 :: v_dual_add_f32 v74, v20, v74
	v_min_f32_e32 v20, v38, v22
	v_add_f32_e32 v82, v23, v82
	v_dual_min_f32 v23, v4, v22 :: v_dual_add_f32 v68, v31, v29
	s_delay_alu instid0(VALU_DEP_4) | instskip(NEXT) | instid1(VALU_DEP_2)
	v_dual_add_f32 v62, v5, v3 :: v_dual_min_f32 v3, v15, v32
	v_add_f32_e32 v81, v23, v81
	v_min_f32_e32 v23, v19, v21
	s_delay_alu instid0(VALU_DEP_3) | instskip(SKIP_1) | instid1(VALU_DEP_3)
	v_add_f32_e32 v61, v3, v13
	v_min_f32_e32 v3, v27, v32
	v_dual_add_f32 v76, v23, v76 :: v_dual_min_f32 v23, v37, v21
	s_delay_alu instid0(VALU_DEP_1) | instskip(SKIP_1) | instid1(VALU_DEP_4)
	v_add_f32_e32 v72, v23, v72
	v_max_f32_e32 v23, v55, v55
	v_add_f32_e32 v55, v3, v25
	v_min_f32_e32 v3, v37, v32
	s_delay_alu instid0(VALU_DEP_3) | instskip(NEXT) | instid1(VALU_DEP_2)
	v_min_f32_e32 v5, v18, v23
	v_add_f32_e32 v57, v3, v36
	s_delay_alu instid0(VALU_DEP_2) | instskip(SKIP_2) | instid1(VALU_DEP_3)
	v_dual_add_f32 v60, v5, v16 :: v_dual_min_f32 v33, v15, v21
	v_dual_add_f32 v73, v20, v73 :: v_dual_min_f32 v20, v30, v23
	v_dual_min_f32 v4, v4, v23 :: v_dual_min_f32 v21, v43, v21
	v_add_f32_e32 v78, v33, v78
	v_min_f32_e32 v33, v26, v22
	v_min_f32_e32 v22, v41, v22
	;; [unrolled: 1-line block ×3, first 2 shown]
	v_add_f32_e32 v64, v4, v2
	v_min_f32_e32 v2, v14, v23
	v_dual_add_f32 v75, v33, v75 :: v_dual_min_f32 v4, v19, v32
	v_add_f32_e32 v71, v22, v44
	v_dual_add_f32 v67, v10, v8 :: v_dual_min_f32 v8, v41, v23
	s_delay_alu instid0(VALU_DEP_4) | instskip(NEXT) | instid1(VALU_DEP_4)
	v_add_f32_e32 v63, v2, v12
	v_dual_add_f32 v59, v4, v17 :: v_dual_min_f32 v2, v26, v23
	v_dual_min_f32 v4, v38, v23 :: v_dual_min_f32 v11, v11, v32
	v_min_f32_e32 v5, v43, v32
	s_delay_alu instid0(VALU_DEP_3) | instskip(SKIP_1) | instid1(VALU_DEP_4)
	v_dual_add_f32 v69, v21, v45 :: v_dual_add_f32 v58, v2, v24
	v_add_f32_e32 v70, v20, v28
	v_add_f32_e32 v56, v4, v6
	s_delay_alu instid0(VALU_DEP_4)
	v_dual_add_f32 v66, v11, v9 :: v_dual_add_f32 v53, v5, v40
	v_add_f32_e32 v54, v8, v7
	s_cbranch_scc1 .LBB35_33
.LBB35_23:                              ; =>This Inner Loop Header: Depth=1
	v_mov_b32_e32 v130, 0
	s_and_b32 vcc_lo, exec_lo, s3
	s_cbranch_vccnz .LBB35_25
; %bb.24:                               ;   in Loop: Header=BB35_23 Depth=1
	v_add_co_u32 v0, vcc_lo, v122, v52
	v_add_co_ci_u32_e32 v1, vcc_lo, 0, v123, vcc_lo
	flat_load_b32 v0, v[0:1] offset:32
	s_waitcnt vmcnt(0) lgkmcnt(0)
	v_mul_f32_e32 v130, s9, v0
.LBB35_25:                              ;   in Loop: Header=BB35_23 Depth=1
	s_and_b32 vcc_lo, exec_lo, s3
	s_cbranch_vccnz .LBB35_27
; %bb.26:                               ;   in Loop: Header=BB35_23 Depth=1
	v_add_co_u32 v0, vcc_lo, v128, v52
	v_add_co_ci_u32_e32 v1, vcc_lo, 0, v129, vcc_lo
	v_add_co_u32 v2, vcc_lo, v126, v52
	v_add_co_ci_u32_e32 v3, vcc_lo, 0, v127, vcc_lo
	flat_load_b32 v0, v[0:1] offset:32
	flat_load_b32 v1, v[2:3] offset:32
	s_waitcnt vmcnt(0) lgkmcnt(0)
	v_dual_mul_f32 v131, s9, v0 :: v_dual_mul_f32 v132, s9, v1
	s_branch .LBB35_28
.LBB35_27:                              ;   in Loop: Header=BB35_23 Depth=1
	v_dual_mov_b32 v131, 0 :: v_dual_mov_b32 v132, 0
.LBB35_28:                              ;   in Loop: Header=BB35_23 Depth=1
	ds_load_b128 v[40:43], v124
	ds_load_b128 v[36:39], v124 offset:128
	ds_load_b128 v[32:35], v124 offset:256
	ds_load_b128 v[28:31], v124 offset:384
	ds_load_b128 v[24:27], v124 offset:512
	ds_load_b128 v[20:23], v124 offset:640
	ds_load_b128 v[16:19], v124 offset:768
	ds_load_b128 v[12:15], v124 offset:896
	ds_load_b128 v[44:47], v125
	ds_load_b128 v[8:11], v125 offset:512
	ds_load_b128 v[4:7], v125 offset:1024
	;; [unrolled: 1-line block ×3, first 2 shown]
	s_and_b32 vcc_lo, exec_lo, s3
	ds_store_b32 v118, v130
	ds_store_2addr_stride64_b32 v65, v131, v132 offset1:4
	s_waitcnt lgkmcnt(0)
	s_barrier
	buffer_gl0_inv
	s_cbranch_vccnz .LBB35_30
; %bb.29:                               ;   in Loop: Header=BB35_23 Depth=1
	v_add_co_u32 v130, vcc_lo, v122, v52
	v_add_co_ci_u32_e32 v131, vcc_lo, 0, v123, vcc_lo
	flat_load_b32 v130, v[130:131] offset:48
	s_waitcnt vmcnt(0) lgkmcnt(0)
	v_mul_f32_e32 v130, s9, v130
	s_branch .LBB35_31
.LBB35_30:                              ;   in Loop: Header=BB35_23 Depth=1
	v_mov_b32_e32 v130, 0
.LBB35_31:                              ;   in Loop: Header=BB35_23 Depth=1
	v_dual_max_f32 v44, v44, v44 :: v_dual_max_f32 v45, v45, v45
	v_dual_max_f32 v157, v40, v40 :: v_dual_max_f32 v158, v41, v41
	v_max_f32_e32 v159, v36, v36
	v_dual_max_f32 v165, v24, v24 :: v_dual_max_f32 v166, v25, v25
	v_max_f32_e32 v169, v16, v16
	v_dual_max_f32 v155, v4, v4 :: v_dual_max_f32 v156, v5, v5
	s_delay_alu instid0(VALU_DEP_4)
	v_dual_min_f32 v40, v158, v45 :: v_dual_min_f32 v41, v159, v44
	v_dual_max_f32 v160, v37, v37 :: v_dual_max_f32 v161, v32, v32
	v_dual_max_f32 v162, v33, v33 :: v_dual_max_f32 v163, v28, v28
	;; [unrolled: 1-line block ×3, first 2 shown]
	v_max_f32_e32 v168, v21, v21
	v_min_f32_e32 v20, v166, v45
	v_dual_max_f32 v170, v17, v17 :: v_dual_max_f32 v171, v12, v12
	v_max_f32_e32 v172, v13, v13
	v_dual_max_f32 v140, v8, v8 :: v_dual_max_f32 v141, v9, v9
	v_dual_min_f32 v153, v169, v155 :: v_dual_max_f32 v0, v0, v0
	v_dual_min_f32 v36, v157, v44 :: v_dual_min_f32 v37, v164, v45
	v_dual_min_f32 v28, v160, v45 :: v_dual_min_f32 v29, v161, v44
	;; [unrolled: 1-line block ×7, first 2 shown]
	v_min_f32_e32 v13, v157, v140
	v_dual_min_f32 v44, v159, v140 :: v_dual_min_f32 v45, v160, v141
	v_dual_min_f32 v131, v161, v140 :: v_dual_min_f32 v132, v162, v141
	;; [unrolled: 1-line block ×13, first 2 shown]
	v_dual_max_f32 v1, v1, v1 :: v_dual_min_f32 v154, v170, v156
	v_min_f32_e32 v157, v157, v0
	v_min_f32_e32 v159, v159, v0
	s_delay_alu instid0(VALU_DEP_3)
	v_dual_min_f32 v161, v161, v0 :: v_dual_min_f32 v162, v162, v1
	v_dual_min_f32 v163, v163, v0 :: v_dual_min_f32 v164, v164, v1
	;; [unrolled: 1-line block ×5, first 2 shown]
	v_dual_max_f32 v174, v46, v46 :: v_dual_max_f32 v175, v47, v47
	v_dual_max_f32 v207, v42, v42 :: v_dual_max_f32 v208, v43, v43
	v_dual_max_f32 v212, v38, v38 :: v_dual_min_f32 v43, v171, v0
	v_dual_max_f32 v0, v39, v39 :: v_dual_max_f32 v213, v30, v30
	v_dual_min_f32 v155, v171, v155 :: v_dual_min_f32 v156, v172, v156
	v_min_f32_e32 v158, v158, v1
	v_min_f32_e32 v160, v160, v1
	v_dual_min_f32 v46, v172, v1 :: v_dual_max_f32 v1, v34, v34
	v_dual_min_f32 v42, v212, v174 :: v_dual_max_f32 v171, v35, v35
	v_dual_max_f32 v214, v31, v31 :: v_dual_min_f32 v31, v213, v174
	v_dual_min_f32 v34, v0, v175 :: v_dual_max_f32 v215, v26, v26
	v_dual_max_f32 v216, v27, v27 :: v_dual_max_f32 v217, v22, v22
	v_dual_max_f32 v218, v23, v23 :: v_dual_max_f32 v219, v18, v18
	;; [unrolled: 1-line block ×6, first 2 shown]
	v_max_f32_e32 v223, v3, v3
	v_dual_min_f32 v38, v207, v174 :: v_dual_min_f32 v47, v208, v175
	v_dual_min_f32 v30, v1, v174 :: v_dual_min_f32 v35, v171, v175
	v_dual_min_f32 v39, v214, v175 :: v_dual_min_f32 v18, v215, v174
	v_dual_min_f32 v172, v216, v175 :: v_dual_min_f32 v23, v219, v174
	v_dual_min_f32 v22, v217, v174 :: v_dual_min_f32 v173, v218, v175
	v_dual_min_f32 v182, v19, v175 :: v_dual_min_f32 v177, v1, v10
	v_dual_min_f32 v174, v220, v174 :: v_dual_min_f32 v183, v221, v175
	v_min_f32_e32 v176, v212, v10
	v_dual_min_f32 v175, v207, v10 :: v_dual_min_f32 v184, v208, v11
	v_dual_min_f32 v185, v0, v11 :: v_dual_min_f32 v178, v213, v10
	v_dual_min_f32 v186, v171, v11 :: v_dual_min_f32 v193, v1, v6
	v_dual_min_f32 v187, v214, v11 :: v_dual_min_f32 v180, v217, v10
	v_dual_min_f32 v179, v215, v10 :: v_dual_min_f32 v188, v216, v11
	v_dual_min_f32 v189, v218, v11 :: v_dual_min_f32 v190, v220, v10
	v_dual_min_f32 v181, v219, v10 :: v_dual_min_f32 v200, v208, v7
	v_min_f32_e32 v198, v19, v11
	;; [unrolled: 8-line block ×3, first 2 shown]
	v_min_f32_e32 v209, v19, v7
	v_dual_min_f32 v207, v207, v222 :: v_dual_min_f32 v14, v218, v223
	v_dual_min_f32 v211, v208, v223 :: v_dual_min_f32 v10, v1, v222
	v_min_f32_e32 v208, v212, v222
	v_min_f32_e32 v212, v0, v223
	v_dual_min_f32 v26, v171, v223 :: v_dual_min_f32 v7, v220, v222
	v_min_f32_e32 v11, v213, v222
	v_dual_min_f32 v27, v214, v223 :: v_dual_min_f32 v2, v215, v222
	v_dual_min_f32 v171, v216, v223 :: v_dual_min_f32 v6, v219, v222
	v_min_f32_e32 v15, v19, v223
	v_min_f32_e32 v19, v221, v223
	s_and_b32 vcc_lo, exec_lo, s3
	s_cbranch_vccz .LBB35_21
; %bb.32:                               ;   in Loop: Header=BB35_23 Depth=1
	v_dual_mov_b32 v0, 0 :: v_dual_mov_b32 v1, 0
	s_branch .LBB35_22
.LBB35_33:
	s_load_b32 s8, s[0:1], 0x50
	v_dual_mov_b32 v52, 0 :: v_dual_add_nc_u32 v49, s16, v49
	ds_load_b128 v[0:3], v51 offset:5120
	ds_load_b128 v[40:43], v50 offset:2048
	v_dual_mov_b32 v65, 0 :: v_dual_add_nc_u32 v46, s14, v48
	v_cmp_neq_f32_e64 s9, s15, 0
	s_delay_alu instid0(VALU_DEP_2) | instskip(NEXT) | instid1(VALU_DEP_2)
	v_ashrrev_i32_e32 v47, 31, v46
	s_and_b32 vcc_lo, exec_lo, s9
	s_delay_alu instid0(VALU_DEP_1) | instskip(SKIP_2) | instid1(VALU_DEP_1)
	v_lshlrev_b64 v[44:45], 2, v[46:47]
	s_waitcnt lgkmcnt(0)
	v_mad_i64_i32 v[4:5], null, v49, s8, 0
	v_lshlrev_b64 v[4:5], 2, v[4:5]
	s_delay_alu instid0(VALU_DEP_1) | instskip(NEXT) | instid1(VALU_DEP_1)
	v_add_co_u32 v118, s3, s4, v4
	v_add_co_ci_u32_e64 v119, s3, s5, v5, s3
	s_cbranch_vccz .LBB35_35
; %bb.34:
	s_delay_alu instid0(VALU_DEP_2) | instskip(NEXT) | instid1(VALU_DEP_2)
	v_add_co_u32 v4, vcc_lo, v118, v44
	v_add_co_ci_u32_e32 v5, vcc_lo, v119, v45, vcc_lo
	flat_load_b32 v4, v[4:5]
	s_waitcnt vmcnt(0) lgkmcnt(0)
	v_mul_f32_e32 v65, s15, v4
.LBB35_35:
	ds_load_b128 v[36:39], v51 offset:5248
	ds_load_b128 v[32:35], v51 offset:5376
	;; [unrolled: 1-line block ×4, first 2 shown]
	s_clause 0x1
	s_load_b32 s3, s[0:1], 0x68
	s_load_b64 s[0:1], s[0:1], 0x70
	v_dual_max_f32 v120, v40, v40 :: v_dual_max_f32 v121, v41, v41
	v_dual_max_f32 v47, v0, v0 :: v_dual_max_f32 v48, v1, v1
	ds_load_b128 v[20:23], v51 offset:5760
	ds_load_b128 v[16:19], v51 offset:5888
	;; [unrolled: 1-line block ×5, first 2 shown]
	v_dual_min_f32 v0, v47, v120 :: v_dual_min_f32 v1, v48, v121
	v_max_f32_e32 v122, v43, v43
	v_max_f32_e32 v43, v3, v3
	v_cndmask_b32_e64 v125, 0, 1, s9
	s_delay_alu instid0(VALU_DEP_4)
	v_add_f32_e32 v51, v0, v117
	v_dual_max_f32 v117, v42, v42 :: v_dual_add_f32 v116, v1, v116
	v_max_f32_e32 v42, v2, v2
	v_min_f32_e32 v123, v43, v122
	ds_load_b128 v[0:3], v50 offset:3584
	s_waitcnt lgkmcnt(0)
	v_mad_i64_i32 v[40:41], null, v49, s3, 0
	v_min_f32_e32 v124, v42, v117
	v_add_f32_e32 v116, v123, v116
	s_lshl_b64 s[10:11], s[0:1], 2
	v_cmp_ne_u32_e64 s0, 1, v125
	s_add_u32 s1, s6, s10
	v_add_f32_e32 v123, v124, v51
	v_lshlrev_b64 v[40:41], 2, v[40:41]
	s_addc_u32 s6, s7, s11
	s_delay_alu instid0(VALU_DEP_2) | instskip(SKIP_1) | instid1(VALU_DEP_3)
	v_add_f32_e32 v124, v123, v116
	v_add_nc_u32_e32 v50, 8, v46
	v_add_co_u32 v116, vcc_lo, s1, v40
	s_delay_alu instid0(VALU_DEP_4) | instskip(NEXT) | instid1(VALU_DEP_4)
	v_add_co_ci_u32_e32 v123, vcc_lo, s6, v41, vcc_lo
	v_add_f32_e32 v65, v124, v65
	s_delay_alu instid0(VALU_DEP_4) | instskip(NEXT) | instid1(VALU_DEP_4)
	v_ashrrev_i32_e32 v51, 31, v50
	v_add_co_u32 v124, vcc_lo, v116, v44
	s_delay_alu instid0(VALU_DEP_4) | instskip(NEXT) | instid1(VALU_DEP_3)
	v_add_co_ci_u32_e32 v125, vcc_lo, v123, v45, vcc_lo
	v_lshlrev_b64 v[40:41], 2, v[50:51]
	s_and_not1_b32 vcc_lo, exec_lo, s9
	global_store_b32 v[124:125], v65, off
	s_cbranch_vccnz .LBB35_37
; %bb.36:
	v_add_co_u32 v50, vcc_lo, v118, v40
	v_add_co_ci_u32_e32 v51, vcc_lo, v119, v41, vcc_lo
	flat_load_b32 v50, v[50:51]
	s_waitcnt vmcnt(0) lgkmcnt(0)
	v_mul_f32_e32 v52, s15, v50
.LBB35_37:
	v_dual_max_f32 v51, v37, v37 :: v_dual_max_f32 v50, v36, v36
	v_dual_max_f32 v38, v38, v38 :: v_dual_max_f32 v39, v39, v39
	s_delay_alu instid0(VALU_DEP_2) | instskip(NEXT) | instid1(VALU_DEP_2)
	v_dual_min_f32 v36, v51, v121 :: v_dual_min_f32 v37, v50, v120
	v_dual_min_f32 v65, v38, v117 :: v_dual_min_f32 v124, v39, v122
	s_delay_alu instid0(VALU_DEP_2) | instskip(SKIP_1) | instid1(VALU_DEP_2)
	v_dual_add_f32 v114, v36, v114 :: v_dual_add_f32 v37, v37, v115
	v_dual_mov_b32 v115, 0 :: v_dual_add_nc_u32 v36, 16, v46
	v_dual_add_f32 v114, v124, v114 :: v_dual_add_f32 v65, v65, v37
	s_delay_alu instid0(VALU_DEP_2) | instskip(SKIP_2) | instid1(VALU_DEP_4)
	v_ashrrev_i32_e32 v37, 31, v36
	v_add_co_u32 v124, vcc_lo, v116, v40
	v_add_co_ci_u32_e32 v125, vcc_lo, v123, v41, vcc_lo
	v_dual_add_f32 v65, v65, v114 :: v_dual_mov_b32 v114, 0
	s_delay_alu instid0(VALU_DEP_4) | instskip(SKIP_1) | instid1(VALU_DEP_2)
	v_lshlrev_b64 v[36:37], 2, v[36:37]
	s_and_b32 vcc_lo, exec_lo, s0
	v_add_f32_e32 v52, v65, v52
	global_store_b32 v[124:125], v52, off
	s_cbranch_vccnz .LBB35_39
; %bb.38:
	v_add_co_u32 v124, vcc_lo, v118, v36
	v_add_co_ci_u32_e32 v125, vcc_lo, v119, v37, vcc_lo
	flat_load_b32 v52, v[124:125]
	s_waitcnt vmcnt(0) lgkmcnt(0)
	v_mul_f32_e32 v115, s15, v52
.LBB35_39:
	v_dual_max_f32 v65, v33, v33 :: v_dual_max_f32 v52, v32, v32
	v_dual_max_f32 v34, v34, v34 :: v_dual_max_f32 v35, v35, v35
	s_delay_alu instid0(VALU_DEP_2) | instskip(NEXT) | instid1(VALU_DEP_2)
	v_dual_min_f32 v32, v65, v121 :: v_dual_min_f32 v33, v52, v120
	v_dual_min_f32 v124, v34, v117 :: v_dual_min_f32 v125, v35, v122
	s_delay_alu instid0(VALU_DEP_2) | instskip(SKIP_1) | instid1(VALU_DEP_2)
	v_dual_add_f32 v112, v32, v112 :: v_dual_add_f32 v33, v33, v113
	v_add_nc_u32_e32 v32, 24, v46
	v_dual_add_f32 v112, v125, v112 :: v_dual_add_f32 v113, v124, v33
	s_delay_alu instid0(VALU_DEP_2) | instskip(NEXT) | instid1(VALU_DEP_2)
	v_ashrrev_i32_e32 v33, 31, v32
	v_add_f32_e32 v124, v113, v112
	v_add_co_u32 v112, vcc_lo, v116, v36
	s_delay_alu instid0(VALU_DEP_3) | instskip(SKIP_1) | instid1(VALU_DEP_4)
	v_lshlrev_b64 v[32:33], 2, v[32:33]
	v_add_co_ci_u32_e32 v113, vcc_lo, v123, v37, vcc_lo
	v_add_f32_e32 v115, v124, v115
	s_and_b32 vcc_lo, exec_lo, s0
	global_store_b32 v[112:113], v115, off
	s_cbranch_vccnz .LBB35_41
; %bb.40:
	v_add_co_u32 v112, vcc_lo, v118, v32
	v_add_co_ci_u32_e32 v113, vcc_lo, v119, v33, vcc_lo
	flat_load_b32 v112, v[112:113]
	s_waitcnt vmcnt(0) lgkmcnt(0)
	v_mul_f32_e32 v114, s15, v112
.LBB35_41:
	v_dual_max_f32 v113, v29, v29 :: v_dual_max_f32 v112, v28, v28
	v_dual_max_f32 v30, v30, v30 :: v_dual_max_f32 v31, v31, v31
	s_delay_alu instid0(VALU_DEP_2) | instskip(NEXT) | instid1(VALU_DEP_2)
	v_dual_min_f32 v28, v113, v121 :: v_dual_min_f32 v29, v112, v120
	v_dual_min_f32 v115, v30, v117 :: v_dual_min_f32 v124, v31, v122
	s_delay_alu instid0(VALU_DEP_2) | instskip(SKIP_1) | instid1(VALU_DEP_2)
	v_dual_add_f32 v110, v28, v110 :: v_dual_add_f32 v29, v29, v111
	v_add_nc_u32_e32 v28, 32, v46
	v_dual_add_f32 v110, v124, v110 :: v_dual_add_f32 v111, v115, v29
	v_mov_b32_e32 v115, 0
	s_delay_alu instid0(VALU_DEP_3) | instskip(NEXT) | instid1(VALU_DEP_3)
	v_ashrrev_i32_e32 v29, 31, v28
	v_add_f32_e32 v124, v111, v110
	v_add_co_u32 v110, vcc_lo, v116, v32
	s_delay_alu instid0(VALU_DEP_3) | instskip(SKIP_1) | instid1(VALU_DEP_4)
	v_lshlrev_b64 v[28:29], 2, v[28:29]
	v_add_co_ci_u32_e32 v111, vcc_lo, v123, v33, vcc_lo
	v_add_f32_e32 v124, v124, v114
	v_mov_b32_e32 v114, 0
	s_and_b32 vcc_lo, exec_lo, s0
	global_store_b32 v[110:111], v124, off
	s_cbranch_vccnz .LBB35_43
; %bb.42:
	v_add_co_u32 v110, vcc_lo, v118, v28
	v_add_co_ci_u32_e32 v111, vcc_lo, v119, v29, vcc_lo
	flat_load_b32 v110, v[110:111]
	s_waitcnt vmcnt(0) lgkmcnt(0)
	v_mul_f32_e32 v114, s15, v110
.LBB35_43:
	v_dual_max_f32 v111, v25, v25 :: v_dual_max_f32 v110, v24, v24
	v_dual_max_f32 v26, v26, v26 :: v_dual_max_f32 v27, v27, v27
	s_delay_alu instid0(VALU_DEP_2) | instskip(NEXT) | instid1(VALU_DEP_2)
	v_dual_min_f32 v24, v111, v121 :: v_dual_min_f32 v25, v110, v120
	v_dual_min_f32 v124, v26, v117 :: v_dual_min_f32 v125, v27, v122
	s_delay_alu instid0(VALU_DEP_2) | instskip(SKIP_1) | instid1(VALU_DEP_2)
	v_dual_add_f32 v108, v24, v108 :: v_dual_add_f32 v25, v25, v109
	v_add_nc_u32_e32 v24, 40, v46
	v_dual_add_f32 v108, v125, v108 :: v_dual_add_f32 v109, v124, v25
	s_delay_alu instid0(VALU_DEP_2) | instskip(NEXT) | instid1(VALU_DEP_2)
	v_ashrrev_i32_e32 v25, 31, v24
	v_add_f32_e32 v124, v109, v108
	v_add_co_u32 v108, vcc_lo, v116, v28
	s_delay_alu instid0(VALU_DEP_3) | instskip(SKIP_1) | instid1(VALU_DEP_4)
	v_lshlrev_b64 v[24:25], 2, v[24:25]
	v_add_co_ci_u32_e32 v109, vcc_lo, v123, v29, vcc_lo
	v_add_f32_e32 v114, v124, v114
	s_and_b32 vcc_lo, exec_lo, s0
	global_store_b32 v[108:109], v114, off
	s_cbranch_vccnz .LBB35_45
; %bb.44:
	v_add_co_u32 v108, vcc_lo, v118, v24
	v_add_co_ci_u32_e32 v109, vcc_lo, v119, v25, vcc_lo
	flat_load_b32 v108, v[108:109]
	s_waitcnt vmcnt(0) lgkmcnt(0)
	v_mul_f32_e32 v115, s15, v108
.LBB35_45:
	v_dual_max_f32 v109, v21, v21 :: v_dual_max_f32 v108, v20, v20
	v_dual_max_f32 v22, v22, v22 :: v_dual_max_f32 v23, v23, v23
	s_delay_alu instid0(VALU_DEP_2) | instskip(NEXT) | instid1(VALU_DEP_2)
	v_dual_min_f32 v20, v109, v121 :: v_dual_min_f32 v21, v108, v120
	v_min_f32_e32 v114, v22, v117
	s_delay_alu instid0(VALU_DEP_2) | instskip(NEXT) | instid1(VALU_DEP_4)
	v_dual_add_f32 v106, v20, v106 :: v_dual_add_f32 v21, v21, v107
	v_min_f32_e32 v124, v23, v122
	s_delay_alu instid0(VALU_DEP_2) | instskip(NEXT) | instid1(VALU_DEP_2)
	v_dual_add_f32 v107, v114, v21 :: v_dual_add_nc_u32 v20, 48, v46
	v_add_f32_e32 v106, v124, v106
	s_delay_alu instid0(VALU_DEP_2) | instskip(SKIP_1) | instid1(VALU_DEP_3)
	v_ashrrev_i32_e32 v21, 31, v20
	v_mov_b32_e32 v114, 0
	v_add_f32_e32 v124, v107, v106
	v_add_co_u32 v106, vcc_lo, v116, v24
	s_delay_alu instid0(VALU_DEP_4) | instskip(SKIP_1) | instid1(VALU_DEP_4)
	v_lshlrev_b64 v[20:21], 2, v[20:21]
	v_add_co_ci_u32_e32 v107, vcc_lo, v123, v25, vcc_lo
	v_dual_add_f32 v124, v124, v115 :: v_dual_mov_b32 v115, 0
	s_and_b32 vcc_lo, exec_lo, s0
	global_store_b32 v[106:107], v124, off
	s_cbranch_vccnz .LBB35_47
; %bb.46:
	v_add_co_u32 v106, vcc_lo, v118, v20
	v_add_co_ci_u32_e32 v107, vcc_lo, v119, v21, vcc_lo
	flat_load_b32 v106, v[106:107]
	s_waitcnt vmcnt(0) lgkmcnt(0)
	v_mul_f32_e32 v115, s15, v106
.LBB35_47:
	v_dual_max_f32 v107, v17, v17 :: v_dual_max_f32 v106, v16, v16
	v_dual_max_f32 v18, v18, v18 :: v_dual_max_f32 v19, v19, v19
	s_delay_alu instid0(VALU_DEP_2) | instskip(NEXT) | instid1(VALU_DEP_2)
	v_dual_min_f32 v16, v107, v121 :: v_dual_min_f32 v17, v106, v120
	v_dual_min_f32 v124, v18, v117 :: v_dual_min_f32 v125, v19, v122
	s_delay_alu instid0(VALU_DEP_2) | instskip(SKIP_1) | instid1(VALU_DEP_2)
	v_dual_add_f32 v104, v16, v104 :: v_dual_add_f32 v17, v17, v105
	v_add_nc_u32_e32 v16, 56, v46
	v_add_f32_e32 v46, v125, v104
	s_delay_alu instid0(VALU_DEP_3) | instskip(NEXT) | instid1(VALU_DEP_3)
	v_add_f32_e32 v104, v124, v17
	v_ashrrev_i32_e32 v17, 31, v16
	s_delay_alu instid0(VALU_DEP_2) | instskip(SKIP_1) | instid1(VALU_DEP_3)
	v_add_f32_e32 v46, v104, v46
	v_add_co_u32 v104, vcc_lo, v116, v20
	v_lshlrev_b64 v[16:17], 2, v[16:17]
	v_add_co_ci_u32_e32 v105, vcc_lo, v123, v21, vcc_lo
	s_delay_alu instid0(VALU_DEP_4)
	v_add_f32_e32 v46, v46, v115
	s_and_b32 vcc_lo, exec_lo, s0
	global_store_b32 v[104:105], v46, off
	s_cbranch_vccnz .LBB35_49
; %bb.48:
	v_add_co_u32 v104, vcc_lo, v118, v16
	v_add_co_ci_u32_e32 v105, vcc_lo, v119, v17, vcc_lo
	flat_load_b32 v46, v[104:105]
	s_waitcnt vmcnt(0) lgkmcnt(0)
	v_mul_f32_e32 v114, s15, v46
.LBB35_49:
	v_dual_max_f32 v12, v12, v12 :: v_dual_max_f32 v13, v13, v13
	v_dual_max_f32 v14, v14, v14 :: v_dual_add_nc_u32 v115, 32, v49
	s_delay_alu instid0(VALU_DEP_2) | instskip(NEXT) | instid1(VALU_DEP_3)
	v_dual_max_f32 v15, v15, v15 :: v_dual_min_f32 v46, v12, v120
	v_min_f32_e32 v118, v13, v121
	s_delay_alu instid0(VALU_DEP_3) | instskip(NEXT) | instid1(VALU_DEP_3)
	v_mad_i64_i32 v[104:105], null, v115, s8, 0
	v_min_f32_e32 v119, v15, v122
	s_delay_alu instid0(VALU_DEP_3) | instskip(SKIP_3) | instid1(VALU_DEP_4)
	v_add_f32_e32 v118, v118, v102
	v_min_f32_e32 v117, v14, v117
	v_add_f32_e32 v46, v46, v103
	v_lshlrev_b64 v[102:103], 2, v[104:105]
	v_add_f32_e32 v118, v119, v118
	s_delay_alu instid0(VALU_DEP_3) | instskip(SKIP_2) | instid1(VALU_DEP_3)
	v_add_f32_e32 v46, v117, v46
	v_add_co_u32 v104, vcc_lo, v116, v16
	v_add_co_ci_u32_e32 v105, vcc_lo, v123, v17, vcc_lo
	v_add_f32_e32 v116, v46, v118
	v_add_co_u32 v46, vcc_lo, s4, v102
	v_add_co_ci_u32_e32 v102, vcc_lo, s5, v103, vcc_lo
	s_delay_alu instid0(VALU_DEP_3)
	v_dual_add_f32 v103, v116, v114 :: v_dual_mov_b32 v114, 0
	v_mov_b32_e32 v116, 0
	s_and_b32 vcc_lo, exec_lo, s0
	global_store_b32 v[104:105], v103, off
	s_cbranch_vccnz .LBB35_51
; %bb.50:
	v_add_co_u32 v103, vcc_lo, v46, v44
	v_add_co_ci_u32_e32 v104, vcc_lo, v102, v45, vcc_lo
	flat_load_b32 v103, v[103:104]
	s_waitcnt vmcnt(0) lgkmcnt(0)
	v_mul_f32_e32 v116, s15, v103
.LBB35_51:
	v_dual_max_f32 v103, v8, v8 :: v_dual_max_f32 v104, v9, v9
	v_dual_max_f32 v105, v10, v10 :: v_dual_max_f32 v8, v11, v11
	v_mad_i64_i32 v[9:10], null, v115, s3, 0
	s_delay_alu instid0(VALU_DEP_3) | instskip(NEXT) | instid1(VALU_DEP_4)
	v_min_f32_e32 v117, v48, v104
	v_min_f32_e32 v11, v47, v103
	s_delay_alu instid0(VALU_DEP_4) | instskip(NEXT) | instid1(VALU_DEP_2)
	v_dual_min_f32 v115, v42, v105 :: v_dual_min_f32 v118, v43, v8
	v_dual_add_f32 v100, v117, v100 :: v_dual_add_f32 v11, v11, v101
	v_lshlrev_b64 v[9:10], 2, v[9:10]
	s_delay_alu instid0(VALU_DEP_2) | instskip(NEXT) | instid1(VALU_DEP_2)
	v_dual_add_f32 v100, v118, v100 :: v_dual_add_f32 v11, v115, v11
	v_add_co_u32 v9, vcc_lo, s1, v9
	s_delay_alu instid0(VALU_DEP_3) | instskip(NEXT) | instid1(VALU_DEP_3)
	v_add_co_ci_u32_e32 v10, vcc_lo, s6, v10, vcc_lo
	v_add_f32_e32 v11, v11, v100
	s_delay_alu instid0(VALU_DEP_3) | instskip(NEXT) | instid1(VALU_DEP_3)
	v_add_co_u32 v100, vcc_lo, v9, v44
	v_add_co_ci_u32_e32 v101, vcc_lo, v10, v45, vcc_lo
	s_delay_alu instid0(VALU_DEP_3)
	v_add_f32_e32 v11, v11, v116
	s_and_b32 vcc_lo, exec_lo, s0
	global_store_b32 v[100:101], v11, off
	s_cbranch_vccnz .LBB35_53
; %bb.52:
	v_add_co_u32 v100, vcc_lo, v46, v40
	v_add_co_ci_u32_e32 v101, vcc_lo, v102, v41, vcc_lo
	flat_load_b32 v11, v[100:101]
	s_waitcnt vmcnt(0) lgkmcnt(0)
	v_mul_f32_e32 v114, s15, v11
.LBB35_53:
	v_dual_min_f32 v11, v51, v104 :: v_dual_min_f32 v100, v50, v103
	v_min_f32_e32 v101, v38, v105
	s_delay_alu instid0(VALU_DEP_2) | instskip(SKIP_3) | instid1(VALU_DEP_3)
	v_dual_add_f32 v11, v11, v98 :: v_dual_add_f32 v98, v100, v99
	v_min_f32_e32 v115, v39, v8
	v_add_co_u32 v99, vcc_lo, v9, v40
	v_add_co_ci_u32_e32 v100, vcc_lo, v10, v41, vcc_lo
	v_dual_add_f32 v98, v101, v98 :: v_dual_add_f32 v11, v115, v11
	s_and_b32 vcc_lo, exec_lo, s0
	s_delay_alu instid0(VALU_DEP_1) | instskip(NEXT) | instid1(VALU_DEP_1)
	v_dual_add_f32 v11, v98, v11 :: v_dual_mov_b32 v98, 0
	v_add_f32_e32 v101, v11, v114
	v_mov_b32_e32 v11, 0
	global_store_b32 v[99:100], v101, off
	s_cbranch_vccnz .LBB35_55
; %bb.54:
	v_add_co_u32 v98, vcc_lo, v46, v36
	v_add_co_ci_u32_e32 v99, vcc_lo, v102, v37, vcc_lo
	flat_load_b32 v98, v[98:99]
	s_waitcnt vmcnt(0) lgkmcnt(0)
	v_mul_f32_e32 v98, s15, v98
.LBB35_55:
	v_dual_min_f32 v99, v65, v104 :: v_dual_min_f32 v100, v52, v103
	v_dual_min_f32 v101, v34, v105 :: v_dual_min_f32 v114, v35, v8
	s_delay_alu instid0(VALU_DEP_2) | instskip(NEXT) | instid1(VALU_DEP_1)
	v_dual_add_f32 v96, v99, v96 :: v_dual_add_f32 v97, v100, v97
	v_dual_add_f32 v96, v114, v96 :: v_dual_add_f32 v97, v101, v97
	s_delay_alu instid0(VALU_DEP_1) | instskip(NEXT) | instid1(VALU_DEP_1)
	v_add_f32_e32 v96, v97, v96
	v_add_f32_e32 v98, v96, v98
	v_add_co_u32 v96, vcc_lo, v9, v36
	v_add_co_ci_u32_e32 v97, vcc_lo, v10, v37, vcc_lo
	s_and_b32 vcc_lo, exec_lo, s0
	global_store_b32 v[96:97], v98, off
	s_cbranch_vccnz .LBB35_57
; %bb.56:
	v_add_co_u32 v96, vcc_lo, v46, v32
	v_add_co_ci_u32_e32 v97, vcc_lo, v102, v33, vcc_lo
	flat_load_b32 v11, v[96:97]
	s_waitcnt vmcnt(0) lgkmcnt(0)
	v_mul_f32_e32 v11, s15, v11
.LBB35_57:
	v_dual_min_f32 v96, v113, v104 :: v_dual_min_f32 v97, v112, v103
	v_dual_min_f32 v98, v30, v105 :: v_dual_min_f32 v99, v31, v8
	s_delay_alu instid0(VALU_DEP_2) | instskip(NEXT) | instid1(VALU_DEP_1)
	v_dual_add_f32 v94, v96, v94 :: v_dual_add_f32 v95, v97, v95
	v_dual_add_f32 v94, v99, v94 :: v_dual_add_f32 v95, v98, v95
	s_delay_alu instid0(VALU_DEP_1) | instskip(SKIP_2) | instid1(VALU_DEP_3)
	v_add_f32_e32 v94, v95, v94
	v_add_co_u32 v95, vcc_lo, v9, v32
	v_add_co_ci_u32_e32 v96, vcc_lo, v10, v33, vcc_lo
	v_dual_add_f32 v97, v94, v11 :: v_dual_mov_b32 v94, 0
	v_mov_b32_e32 v11, 0
	s_and_b32 vcc_lo, exec_lo, s0
	global_store_b32 v[95:96], v97, off
	s_cbranch_vccnz .LBB35_59
; %bb.58:
	v_add_co_u32 v94, vcc_lo, v46, v28
	v_add_co_ci_u32_e32 v95, vcc_lo, v102, v29, vcc_lo
	flat_load_b32 v94, v[94:95]
	s_waitcnt vmcnt(0) lgkmcnt(0)
	v_mul_f32_e32 v94, s15, v94
.LBB35_59:
	v_dual_min_f32 v95, v111, v104 :: v_dual_min_f32 v96, v110, v103
	v_dual_min_f32 v97, v26, v105 :: v_dual_min_f32 v98, v27, v8
	s_delay_alu instid0(VALU_DEP_2) | instskip(NEXT) | instid1(VALU_DEP_1)
	v_dual_add_f32 v92, v95, v92 :: v_dual_add_f32 v93, v96, v93
	v_dual_add_f32 v92, v98, v92 :: v_dual_add_f32 v93, v97, v93
	s_delay_alu instid0(VALU_DEP_1) | instskip(NEXT) | instid1(VALU_DEP_1)
	v_add_f32_e32 v92, v93, v92
	v_add_f32_e32 v94, v92, v94
	v_add_co_u32 v92, vcc_lo, v9, v28
	v_add_co_ci_u32_e32 v93, vcc_lo, v10, v29, vcc_lo
	s_and_b32 vcc_lo, exec_lo, s0
	global_store_b32 v[92:93], v94, off
	s_cbranch_vccnz .LBB35_61
; %bb.60:
	v_add_co_u32 v92, vcc_lo, v46, v24
	v_add_co_ci_u32_e32 v93, vcc_lo, v102, v25, vcc_lo
	flat_load_b32 v11, v[92:93]
	s_waitcnt vmcnt(0) lgkmcnt(0)
	v_mul_f32_e32 v11, s15, v11
.LBB35_61:
	v_dual_min_f32 v92, v109, v104 :: v_dual_min_f32 v93, v108, v103
	v_dual_min_f32 v94, v22, v105 :: v_dual_min_f32 v95, v23, v8
	s_delay_alu instid0(VALU_DEP_2) | instskip(NEXT) | instid1(VALU_DEP_1)
	v_dual_add_f32 v90, v92, v90 :: v_dual_add_f32 v91, v93, v91
	v_dual_add_f32 v90, v95, v90 :: v_dual_add_f32 v91, v94, v91
	s_delay_alu instid0(VALU_DEP_1) | instskip(SKIP_2) | instid1(VALU_DEP_3)
	v_add_f32_e32 v90, v91, v90
	v_add_co_u32 v91, vcc_lo, v9, v24
	v_add_co_ci_u32_e32 v92, vcc_lo, v10, v25, vcc_lo
	v_dual_add_f32 v93, v90, v11 :: v_dual_mov_b32 v90, 0
	v_mov_b32_e32 v11, 0
	s_and_b32 vcc_lo, exec_lo, s0
	global_store_b32 v[91:92], v93, off
	s_cbranch_vccnz .LBB35_63
; %bb.62:
	v_add_co_u32 v90, vcc_lo, v46, v20
	v_add_co_ci_u32_e32 v91, vcc_lo, v102, v21, vcc_lo
	flat_load_b32 v90, v[90:91]
	s_waitcnt vmcnt(0) lgkmcnt(0)
	v_mul_f32_e32 v90, s15, v90
.LBB35_63:
	v_dual_min_f32 v91, v107, v104 :: v_dual_min_f32 v92, v106, v103
	v_dual_min_f32 v93, v18, v105 :: v_dual_min_f32 v94, v19, v8
	s_delay_alu instid0(VALU_DEP_2) | instskip(NEXT) | instid1(VALU_DEP_1)
	v_dual_add_f32 v88, v91, v88 :: v_dual_add_f32 v89, v92, v89
	v_dual_add_f32 v88, v94, v88 :: v_dual_add_f32 v89, v93, v89
	s_delay_alu instid0(VALU_DEP_1) | instskip(NEXT) | instid1(VALU_DEP_1)
	v_add_f32_e32 v88, v89, v88
	v_add_f32_e32 v90, v88, v90
	v_add_co_u32 v88, vcc_lo, v9, v20
	v_add_co_ci_u32_e32 v89, vcc_lo, v10, v21, vcc_lo
	s_and_b32 vcc_lo, exec_lo, s0
	global_store_b32 v[88:89], v90, off
	s_cbranch_vccnz .LBB35_65
; %bb.64:
	v_add_co_u32 v88, vcc_lo, v46, v16
	v_add_co_ci_u32_e32 v89, vcc_lo, v102, v17, vcc_lo
	flat_load_b32 v11, v[88:89]
	s_waitcnt vmcnt(0) lgkmcnt(0)
	v_mul_f32_e32 v11, s15, v11
.LBB35_65:
	v_dual_min_f32 v46, v12, v103 :: v_dual_min_f32 v89, v13, v104
	v_add_nc_u32_e32 v88, 64, v49
	v_min_f32_e32 v90, v14, v105
	v_min_f32_e32 v8, v15, v8
	s_delay_alu instid0(VALU_DEP_4) | instskip(NEXT) | instid1(VALU_DEP_4)
	v_dual_add_f32 v46, v46, v87 :: v_dual_add_f32 v89, v89, v86
	v_mad_i64_i32 v[86:87], null, v88, s8, 0
	s_delay_alu instid0(VALU_DEP_2) | instskip(NEXT) | instid1(VALU_DEP_3)
	v_add_f32_e32 v46, v90, v46
	v_add_f32_e32 v8, v8, v89
	v_add_co_u32 v89, vcc_lo, v9, v16
	v_add_co_ci_u32_e32 v90, vcc_lo, v10, v17, vcc_lo
	v_lshlrev_b64 v[86:87], 2, v[86:87]
	s_delay_alu instid0(VALU_DEP_4) | instskip(NEXT) | instid1(VALU_DEP_1)
	v_add_f32_e32 v8, v46, v8
	v_add_f32_e32 v10, v8, v11
	s_delay_alu instid0(VALU_DEP_3) | instskip(NEXT) | instid1(VALU_DEP_4)
	v_add_co_u32 v8, vcc_lo, s4, v86
	v_add_co_ci_u32_e32 v9, vcc_lo, s5, v87, vcc_lo
	v_dual_mov_b32 v86, 0 :: v_dual_mov_b32 v87, 0
	s_and_b32 vcc_lo, exec_lo, s0
	global_store_b32 v[89:90], v10, off
	s_cbranch_vccnz .LBB35_67
; %bb.66:
	v_add_co_u32 v10, vcc_lo, v8, v44
	v_add_co_ci_u32_e32 v11, vcc_lo, v9, v45, vcc_lo
	flat_load_b32 v10, v[10:11]
	s_waitcnt vmcnt(0) lgkmcnt(0)
	v_mul_f32_e32 v87, s15, v10
.LBB35_67:
	v_dual_max_f32 v10, v4, v4 :: v_dual_max_f32 v11, v5, v5
	v_max_f32_e32 v46, v6, v6
	v_mad_i64_i32 v[5:6], null, v88, s3, 0
	v_max_f32_e32 v4, v7, v7
	s_delay_alu instid0(VALU_DEP_4) | instskip(NEXT) | instid1(VALU_DEP_1)
	v_min_f32_e32 v89, v48, v11
	v_dual_min_f32 v7, v47, v10 :: v_dual_add_f32 v84, v89, v84
	s_delay_alu instid0(VALU_DEP_1) | instskip(NEXT) | instid1(VALU_DEP_4)
	v_dual_min_f32 v88, v42, v46 :: v_dual_add_f32 v7, v7, v85
	v_min_f32_e32 v90, v43, v4
	v_lshlrev_b64 v[5:6], 2, v[5:6]
	s_delay_alu instid0(VALU_DEP_2) | instskip(NEXT) | instid1(VALU_DEP_2)
	v_dual_add_f32 v7, v88, v7 :: v_dual_add_f32 v84, v90, v84
	v_add_co_u32 v5, vcc_lo, s1, v5
	s_delay_alu instid0(VALU_DEP_3) | instskip(NEXT) | instid1(VALU_DEP_3)
	v_add_co_ci_u32_e32 v6, vcc_lo, s6, v6, vcc_lo
	v_add_f32_e32 v7, v7, v84
	s_delay_alu instid0(VALU_DEP_3) | instskip(NEXT) | instid1(VALU_DEP_3)
	v_add_co_u32 v84, vcc_lo, v5, v44
	v_add_co_ci_u32_e32 v85, vcc_lo, v6, v45, vcc_lo
	s_delay_alu instid0(VALU_DEP_3)
	v_add_f32_e32 v7, v7, v87
	s_and_b32 vcc_lo, exec_lo, s0
	global_store_b32 v[84:85], v7, off
	s_cbranch_vccnz .LBB35_69
; %bb.68:
	v_add_co_u32 v84, vcc_lo, v8, v40
	v_add_co_ci_u32_e32 v85, vcc_lo, v9, v41, vcc_lo
	flat_load_b32 v7, v[84:85]
	s_waitcnt vmcnt(0) lgkmcnt(0)
	v_mul_f32_e32 v86, s15, v7
.LBB35_69:
	v_dual_min_f32 v7, v51, v11 :: v_dual_min_f32 v84, v50, v10
	v_min_f32_e32 v85, v38, v46
	s_delay_alu instid0(VALU_DEP_2) | instskip(SKIP_3) | instid1(VALU_DEP_3)
	v_dual_add_f32 v7, v7, v82 :: v_dual_add_f32 v82, v84, v83
	v_min_f32_e32 v87, v39, v4
	v_add_co_u32 v83, vcc_lo, v5, v40
	v_add_co_ci_u32_e32 v84, vcc_lo, v6, v41, vcc_lo
	v_dual_add_f32 v82, v85, v82 :: v_dual_add_f32 v7, v87, v7
	s_and_b32 vcc_lo, exec_lo, s0
	s_delay_alu instid0(VALU_DEP_1) | instskip(NEXT) | instid1(VALU_DEP_1)
	v_dual_add_f32 v7, v82, v7 :: v_dual_mov_b32 v82, 0
	v_add_f32_e32 v85, v7, v86
	v_mov_b32_e32 v7, 0
	global_store_b32 v[83:84], v85, off
	s_cbranch_vccnz .LBB35_71
; %bb.70:
	v_add_co_u32 v82, vcc_lo, v8, v36
	v_add_co_ci_u32_e32 v83, vcc_lo, v9, v37, vcc_lo
	flat_load_b32 v82, v[82:83]
	s_waitcnt vmcnt(0) lgkmcnt(0)
	v_mul_f32_e32 v82, s15, v82
.LBB35_71:
	v_dual_min_f32 v83, v65, v11 :: v_dual_min_f32 v84, v52, v10
	v_dual_min_f32 v85, v34, v46 :: v_dual_min_f32 v86, v35, v4
	s_delay_alu instid0(VALU_DEP_2) | instskip(NEXT) | instid1(VALU_DEP_1)
	v_dual_add_f32 v80, v83, v80 :: v_dual_add_f32 v81, v84, v81
	v_dual_add_f32 v80, v86, v80 :: v_dual_add_f32 v81, v85, v81
	s_delay_alu instid0(VALU_DEP_1) | instskip(NEXT) | instid1(VALU_DEP_1)
	v_add_f32_e32 v80, v81, v80
	v_add_f32_e32 v82, v80, v82
	v_add_co_u32 v80, vcc_lo, v5, v36
	v_add_co_ci_u32_e32 v81, vcc_lo, v6, v37, vcc_lo
	s_and_b32 vcc_lo, exec_lo, s0
	global_store_b32 v[80:81], v82, off
	s_cbranch_vccnz .LBB35_73
; %bb.72:
	v_add_co_u32 v80, vcc_lo, v8, v32
	v_add_co_ci_u32_e32 v81, vcc_lo, v9, v33, vcc_lo
	flat_load_b32 v7, v[80:81]
	s_waitcnt vmcnt(0) lgkmcnt(0)
	v_mul_f32_e32 v7, s15, v7
.LBB35_73:
	v_dual_min_f32 v80, v113, v11 :: v_dual_min_f32 v81, v112, v10
	v_dual_min_f32 v82, v30, v46 :: v_dual_min_f32 v83, v31, v4
	s_delay_alu instid0(VALU_DEP_2) | instskip(NEXT) | instid1(VALU_DEP_1)
	v_dual_add_f32 v78, v80, v78 :: v_dual_add_f32 v79, v81, v79
	v_dual_add_f32 v78, v83, v78 :: v_dual_add_f32 v79, v82, v79
	s_delay_alu instid0(VALU_DEP_1) | instskip(SKIP_2) | instid1(VALU_DEP_3)
	v_add_f32_e32 v78, v79, v78
	v_add_co_u32 v79, vcc_lo, v5, v32
	v_add_co_ci_u32_e32 v80, vcc_lo, v6, v33, vcc_lo
	v_dual_add_f32 v81, v78, v7 :: v_dual_mov_b32 v78, 0
	v_mov_b32_e32 v7, 0
	s_and_b32 vcc_lo, exec_lo, s0
	global_store_b32 v[79:80], v81, off
	s_cbranch_vccnz .LBB35_75
; %bb.74:
	v_add_co_u32 v78, vcc_lo, v8, v28
	v_add_co_ci_u32_e32 v79, vcc_lo, v9, v29, vcc_lo
	flat_load_b32 v78, v[78:79]
	s_waitcnt vmcnt(0) lgkmcnt(0)
	v_mul_f32_e32 v78, s15, v78
.LBB35_75:
	v_dual_min_f32 v79, v111, v11 :: v_dual_min_f32 v80, v110, v10
	v_dual_min_f32 v81, v26, v46 :: v_dual_min_f32 v82, v27, v4
	s_delay_alu instid0(VALU_DEP_2) | instskip(NEXT) | instid1(VALU_DEP_1)
	v_dual_add_f32 v76, v79, v76 :: v_dual_add_f32 v77, v80, v77
	v_dual_add_f32 v76, v82, v76 :: v_dual_add_f32 v77, v81, v77
	s_delay_alu instid0(VALU_DEP_1) | instskip(NEXT) | instid1(VALU_DEP_1)
	v_add_f32_e32 v76, v77, v76
	v_add_f32_e32 v78, v76, v78
	v_add_co_u32 v76, vcc_lo, v5, v28
	v_add_co_ci_u32_e32 v77, vcc_lo, v6, v29, vcc_lo
	s_and_b32 vcc_lo, exec_lo, s0
	global_store_b32 v[76:77], v78, off
	s_cbranch_vccnz .LBB35_77
; %bb.76:
	v_add_co_u32 v76, vcc_lo, v8, v24
	v_add_co_ci_u32_e32 v77, vcc_lo, v9, v25, vcc_lo
	flat_load_b32 v7, v[76:77]
	s_waitcnt vmcnt(0) lgkmcnt(0)
	v_mul_f32_e32 v7, s15, v7
.LBB35_77:
	v_dual_min_f32 v76, v109, v11 :: v_dual_min_f32 v77, v108, v10
	v_dual_min_f32 v78, v22, v46 :: v_dual_min_f32 v79, v23, v4
	s_delay_alu instid0(VALU_DEP_2) | instskip(NEXT) | instid1(VALU_DEP_1)
	v_dual_add_f32 v74, v76, v74 :: v_dual_add_f32 v75, v77, v75
	v_dual_add_f32 v74, v79, v74 :: v_dual_add_f32 v75, v78, v75
	s_delay_alu instid0(VALU_DEP_1) | instskip(SKIP_2) | instid1(VALU_DEP_3)
	v_add_f32_e32 v74, v75, v74
	v_add_co_u32 v75, vcc_lo, v5, v24
	v_add_co_ci_u32_e32 v76, vcc_lo, v6, v25, vcc_lo
	v_dual_add_f32 v77, v74, v7 :: v_dual_mov_b32 v74, 0
	v_mov_b32_e32 v7, 0
	s_and_b32 vcc_lo, exec_lo, s0
	global_store_b32 v[75:76], v77, off
	s_cbranch_vccnz .LBB35_79
; %bb.78:
	v_add_co_u32 v74, vcc_lo, v8, v20
	v_add_co_ci_u32_e32 v75, vcc_lo, v9, v21, vcc_lo
	flat_load_b32 v74, v[74:75]
	s_waitcnt vmcnt(0) lgkmcnt(0)
	v_mul_f32_e32 v74, s15, v74
.LBB35_79:
	v_dual_min_f32 v75, v107, v11 :: v_dual_min_f32 v76, v106, v10
	v_dual_min_f32 v77, v18, v46 :: v_dual_min_f32 v78, v19, v4
	s_delay_alu instid0(VALU_DEP_2) | instskip(NEXT) | instid1(VALU_DEP_1)
	v_dual_add_f32 v72, v75, v72 :: v_dual_add_f32 v73, v76, v73
	v_dual_add_f32 v72, v78, v72 :: v_dual_add_f32 v73, v77, v73
	s_delay_alu instid0(VALU_DEP_1) | instskip(NEXT) | instid1(VALU_DEP_1)
	v_add_f32_e32 v72, v73, v72
	v_add_f32_e32 v74, v72, v74
	v_add_co_u32 v72, vcc_lo, v5, v20
	v_add_co_ci_u32_e32 v73, vcc_lo, v6, v21, vcc_lo
	s_and_b32 vcc_lo, exec_lo, s0
	global_store_b32 v[72:73], v74, off
	s_cbranch_vccnz .LBB35_81
; %bb.80:
	v_add_co_u32 v7, vcc_lo, v8, v16
	v_add_co_ci_u32_e32 v8, vcc_lo, v9, v17, vcc_lo
	flat_load_b32 v7, v[7:8]
	s_waitcnt vmcnt(0) lgkmcnt(0)
	v_mul_f32_e32 v7, s15, v7
.LBB35_81:
	v_dual_min_f32 v8, v12, v10 :: v_dual_add_nc_u32 v9, 0x60, v49
	v_min_f32_e32 v10, v13, v11
	v_min_f32_e32 v46, v14, v46
	;; [unrolled: 1-line block ×3, first 2 shown]
	s_delay_alu instid0(VALU_DEP_4) | instskip(SKIP_3) | instid1(VALU_DEP_4)
	v_add_f32_e32 v8, v8, v71
	v_add_co_u32 v71, vcc_lo, v5, v16
	v_add_f32_e32 v49, v10, v69
	v_mad_i64_i32 v[10:11], null, v9, s8, 0
	v_add_f32_e32 v8, v46, v8
	v_add_co_ci_u32_e32 v72, vcc_lo, v6, v17, vcc_lo
	s_delay_alu instid0(VALU_DEP_4) | instskip(NEXT) | instid1(VALU_DEP_4)
	v_add_f32_e32 v4, v4, v49
	v_lshlrev_b64 v[10:11], 2, v[10:11]
	s_delay_alu instid0(VALU_DEP_2) | instskip(SKIP_1) | instid1(VALU_DEP_2)
	v_add_f32_e32 v4, v8, v4
	v_mov_b32_e32 v8, 0
	v_add_f32_e32 v6, v4, v7
	s_delay_alu instid0(VALU_DEP_4)
	v_add_co_u32 v4, vcc_lo, s4, v10
	v_add_co_ci_u32_e32 v5, vcc_lo, s5, v11, vcc_lo
	v_mov_b32_e32 v10, 0
	s_and_b32 vcc_lo, exec_lo, s0
	global_store_b32 v[71:72], v6, off
	s_cbranch_vccnz .LBB35_83
; %bb.82:
	v_add_co_u32 v6, vcc_lo, v4, v44
	v_add_co_ci_u32_e32 v7, vcc_lo, v5, v45, vcc_lo
	flat_load_b32 v6, v[6:7]
	s_waitcnt vmcnt(0) lgkmcnt(0)
	v_mul_f32_e32 v10, s15, v6
.LBB35_83:
	v_dual_max_f32 v0, v0, v0 :: v_dual_max_f32 v1, v1, v1
	v_dual_max_f32 v2, v2, v2 :: v_dual_max_f32 v3, v3, v3
	v_mad_i64_i32 v[6:7], null, v9, s3, 0
	s_delay_alu instid0(VALU_DEP_3) | instskip(NEXT) | instid1(VALU_DEP_3)
	v_dual_min_f32 v11, v47, v0 :: v_dual_min_f32 v46, v48, v1
	v_dual_min_f32 v9, v42, v2 :: v_dual_min_f32 v42, v43, v3
	s_delay_alu instid0(VALU_DEP_2) | instskip(NEXT) | instid1(VALU_DEP_3)
	v_add_f32_e32 v43, v46, v68
	v_add_f32_e32 v11, v11, v70
	v_lshlrev_b64 v[6:7], 2, v[6:7]
	s_delay_alu instid0(VALU_DEP_3) | instskip(NEXT) | instid1(VALU_DEP_3)
	v_add_f32_e32 v42, v42, v43
	v_add_f32_e32 v9, v9, v11
	s_delay_alu instid0(VALU_DEP_3) | instskip(NEXT) | instid1(VALU_DEP_4)
	v_add_co_u32 v6, vcc_lo, s1, v6
	v_add_co_ci_u32_e32 v7, vcc_lo, s6, v7, vcc_lo
	s_delay_alu instid0(VALU_DEP_3) | instskip(NEXT) | instid1(VALU_DEP_1)
	v_add_f32_e32 v9, v9, v42
	v_add_f32_e32 v11, v9, v10
	s_delay_alu instid0(VALU_DEP_4) | instskip(NEXT) | instid1(VALU_DEP_4)
	v_add_co_u32 v9, vcc_lo, v6, v44
	v_add_co_ci_u32_e32 v10, vcc_lo, v7, v45, vcc_lo
	s_and_b32 vcc_lo, exec_lo, s0
	global_store_b32 v[9:10], v11, off
	s_cbranch_vccnz .LBB35_85
; %bb.84:
	v_add_co_u32 v8, vcc_lo, v4, v40
	v_add_co_ci_u32_e32 v9, vcc_lo, v5, v41, vcc_lo
	flat_load_b32 v8, v[8:9]
	s_waitcnt vmcnt(0) lgkmcnt(0)
	v_mul_f32_e32 v8, s15, v8
.LBB35_85:
	v_dual_min_f32 v9, v51, v1 :: v_dual_min_f32 v10, v50, v0
	v_dual_min_f32 v11, v38, v2 :: v_dual_min_f32 v38, v39, v3
	s_delay_alu instid0(VALU_DEP_2) | instskip(NEXT) | instid1(VALU_DEP_1)
	v_dual_add_f32 v9, v9, v66 :: v_dual_add_f32 v10, v10, v67
	v_dual_add_f32 v9, v38, v9 :: v_dual_add_f32 v10, v11, v10
	s_delay_alu instid0(VALU_DEP_1) | instskip(SKIP_2) | instid1(VALU_DEP_3)
	v_add_f32_e32 v9, v10, v9
	v_add_co_u32 v10, vcc_lo, v6, v40
	v_add_co_ci_u32_e32 v11, vcc_lo, v7, v41, vcc_lo
	v_dual_add_f32 v38, v9, v8 :: v_dual_mov_b32 v9, 0
	v_mov_b32_e32 v8, 0
	s_and_b32 vcc_lo, exec_lo, s0
	global_store_b32 v[10:11], v38, off
	s_cbranch_vccnz .LBB35_87
; %bb.86:
	v_add_co_u32 v9, vcc_lo, v4, v36
	v_add_co_ci_u32_e32 v10, vcc_lo, v5, v37, vcc_lo
	flat_load_b32 v9, v[9:10]
	s_waitcnt vmcnt(0) lgkmcnt(0)
	v_mul_f32_e32 v9, s15, v9
.LBB35_87:
	v_dual_min_f32 v10, v65, v1 :: v_dual_min_f32 v11, v52, v0
	v_dual_min_f32 v34, v34, v2 :: v_dual_min_f32 v35, v35, v3
	s_delay_alu instid0(VALU_DEP_2) | instskip(NEXT) | instid1(VALU_DEP_1)
	v_dual_add_f32 v10, v10, v62 :: v_dual_add_f32 v11, v11, v64
	v_dual_add_f32 v10, v35, v10 :: v_dual_add_f32 v11, v34, v11
	s_delay_alu instid0(VALU_DEP_1) | instskip(NEXT) | instid1(VALU_DEP_1)
	v_add_f32_e32 v10, v11, v10
	v_add_f32_e32 v11, v10, v9
	v_add_co_u32 v9, vcc_lo, v6, v36
	v_add_co_ci_u32_e32 v10, vcc_lo, v7, v37, vcc_lo
	s_and_b32 vcc_lo, exec_lo, s0
	global_store_b32 v[9:10], v11, off
	s_cbranch_vccnz .LBB35_89
; %bb.88:
	v_add_co_u32 v8, vcc_lo, v4, v32
	v_add_co_ci_u32_e32 v9, vcc_lo, v5, v33, vcc_lo
	flat_load_b32 v8, v[8:9]
	s_waitcnt vmcnt(0) lgkmcnt(0)
	v_mul_f32_e32 v8, s15, v8
.LBB35_89:
	v_dual_min_f32 v9, v113, v1 :: v_dual_min_f32 v10, v112, v0
	v_dual_min_f32 v11, v30, v2 :: v_dual_min_f32 v30, v31, v3
	s_delay_alu instid0(VALU_DEP_2) | instskip(NEXT) | instid1(VALU_DEP_1)
	v_dual_add_f32 v9, v9, v61 :: v_dual_add_f32 v10, v10, v63
	v_dual_add_f32 v9, v30, v9 :: v_dual_add_f32 v10, v11, v10
	s_delay_alu instid0(VALU_DEP_1) | instskip(SKIP_2) | instid1(VALU_DEP_3)
	v_add_f32_e32 v9, v10, v9
	v_add_co_u32 v10, vcc_lo, v6, v32
	v_add_co_ci_u32_e32 v11, vcc_lo, v7, v33, vcc_lo
	v_dual_add_f32 v30, v9, v8 :: v_dual_mov_b32 v9, 0
	v_mov_b32_e32 v8, 0
	s_and_b32 vcc_lo, exec_lo, s0
	global_store_b32 v[10:11], v30, off
	s_cbranch_vccnz .LBB35_91
; %bb.90:
	v_add_co_u32 v9, vcc_lo, v4, v28
	v_add_co_ci_u32_e32 v10, vcc_lo, v5, v29, vcc_lo
	flat_load_b32 v9, v[9:10]
	s_waitcnt vmcnt(0) lgkmcnt(0)
	v_mul_f32_e32 v9, s15, v9
.LBB35_91:
	v_dual_min_f32 v10, v111, v1 :: v_dual_min_f32 v11, v110, v0
	v_dual_min_f32 v26, v26, v2 :: v_dual_min_f32 v27, v27, v3
	s_delay_alu instid0(VALU_DEP_2) | instskip(NEXT) | instid1(VALU_DEP_1)
	v_dual_add_f32 v10, v10, v59 :: v_dual_add_f32 v11, v11, v60
	v_dual_add_f32 v10, v27, v10 :: v_dual_add_f32 v11, v26, v11
	s_delay_alu instid0(VALU_DEP_1) | instskip(NEXT) | instid1(VALU_DEP_1)
	v_add_f32_e32 v10, v11, v10
	v_add_f32_e32 v11, v10, v9
	v_add_co_u32 v9, vcc_lo, v6, v28
	v_add_co_ci_u32_e32 v10, vcc_lo, v7, v29, vcc_lo
	s_and_b32 vcc_lo, exec_lo, s0
	global_store_b32 v[9:10], v11, off
	s_cbranch_vccnz .LBB35_93
; %bb.92:
	v_add_co_u32 v8, vcc_lo, v4, v24
	v_add_co_ci_u32_e32 v9, vcc_lo, v5, v25, vcc_lo
	flat_load_b32 v8, v[8:9]
	s_waitcnt vmcnt(0) lgkmcnt(0)
	v_mul_f32_e32 v8, s15, v8
.LBB35_93:
	v_dual_min_f32 v9, v109, v1 :: v_dual_min_f32 v10, v108, v0
	v_dual_min_f32 v11, v22, v2 :: v_dual_min_f32 v22, v23, v3
	v_min_f32_e32 v23, v107, v1
	s_delay_alu instid0(VALU_DEP_3) | instskip(NEXT) | instid1(VALU_DEP_4)
	v_dual_add_f32 v9, v9, v55 :: v_dual_min_f32 v26, v106, v0
	v_add_f32_e32 v10, v10, v58
	s_delay_alu instid0(VALU_DEP_3) | instskip(NEXT) | instid1(VALU_DEP_2)
	v_dual_min_f32 v18, v18, v2 :: v_dual_add_f32 v23, v23, v57
	v_dual_add_f32 v9, v22, v9 :: v_dual_add_f32 v10, v11, v10
	v_min_f32_e32 v11, v19, v3
	v_add_f32_e32 v19, v26, v56
	s_delay_alu instid0(VALU_DEP_2) | instskip(NEXT) | instid1(VALU_DEP_2)
	v_dual_add_f32 v22, v10, v9 :: v_dual_add_f32 v11, v11, v23
	v_add_f32_e32 v18, v18, v19
	v_add_co_u32 v9, vcc_lo, v6, v24
	v_add_co_ci_u32_e32 v10, vcc_lo, v7, v25, vcc_lo
	s_delay_alu instid0(VALU_DEP_4) | instskip(NEXT) | instid1(VALU_DEP_4)
	v_add_f32_e32 v19, v22, v8
	v_add_f32_e32 v8, v18, v11
	s_mov_b32 vcc_lo, s2
	global_store_b32 v[9:10], v19, off
	s_cbranch_vccz .LBB35_96
; %bb.94:
	v_add_co_u32 v9, vcc_lo, v6, v20
	v_add_f32_e32 v11, 0, v8
	v_add_co_ci_u32_e32 v10, vcc_lo, v7, v21, vcc_lo
	s_mov_b32 s0, 0
	global_store_b32 v[9:10], v11, off
	s_cbranch_execz .LBB35_97
; %bb.95:
	v_mov_b32_e32 v4, s0
	s_branch .LBB35_98
.LBB35_96:
	s_mov_b32 s0, -1
.LBB35_97:
	v_add_co_u32 v9, vcc_lo, v4, v20
	v_add_co_ci_u32_e32 v10, vcc_lo, v5, v21, vcc_lo
	flat_load_b32 v11, v[9:10]
	v_add_co_u32 v9, vcc_lo, v6, v20
	v_add_co_ci_u32_e32 v10, vcc_lo, v7, v21, vcc_lo
	v_add_co_u32 v4, vcc_lo, v4, v16
	v_add_co_ci_u32_e32 v5, vcc_lo, v5, v17, vcc_lo
	s_waitcnt vmcnt(0) lgkmcnt(0)
	v_fmac_f32_e32 v8, s15, v11
	global_store_b32 v[9:10], v8, off
	flat_load_b32 v4, v[4:5]
	s_waitcnt vmcnt(0) lgkmcnt(0)
	v_mul_f32_e32 v4, s15, v4
.LBB35_98:
	v_dual_min_f32 v1, v13, v1 :: v_dual_min_f32 v0, v12, v0
	v_dual_min_f32 v2, v14, v2 :: v_dual_min_f32 v3, v15, v3
	s_delay_alu instid0(VALU_DEP_2) | instskip(NEXT) | instid1(VALU_DEP_1)
	v_dual_add_f32 v1, v1, v53 :: v_dual_add_f32 v0, v0, v54
	v_dual_add_f32 v1, v3, v1 :: v_dual_add_f32 v0, v2, v0
	s_delay_alu instid0(VALU_DEP_1) | instskip(NEXT) | instid1(VALU_DEP_1)
	v_add_f32_e32 v0, v0, v1
	v_add_f32_e32 v2, v0, v4
	v_add_co_u32 v0, vcc_lo, v6, v16
	v_add_co_ci_u32_e32 v1, vcc_lo, v7, v17, vcc_lo
	global_store_b32 v[0:1], v2, off
	s_nop 0
	s_sendmsg sendmsg(MSG_DEALLOC_VGPRS)
	s_endpgm
	.section	.rodata,"a",@progbits
	.p2align	6, 0x0
	.amdhsa_kernel _ZN12_GLOBAL__N_120geam_min_plus_kernelIf15HIP_vector_typeIfLj2EES2_Li8ELi32ELi64ELi128ELi4ELi4ELi64ELi4ELi64ELc84ELc78ELb0ELb0ELb0EfKPKfKPfEEviiiT16_PT17_ilSA_ilS8_SA_ilPT18_ili26rocblas_geam_ex_operation_
		.amdhsa_group_segment_fixed_size 6144
		.amdhsa_private_segment_fixed_size 0
		.amdhsa_kernarg_size 128
		.amdhsa_user_sgpr_count 14
		.amdhsa_user_sgpr_dispatch_ptr 0
		.amdhsa_user_sgpr_queue_ptr 0
		.amdhsa_user_sgpr_kernarg_segment_ptr 1
		.amdhsa_user_sgpr_dispatch_id 0
		.amdhsa_user_sgpr_private_segment_size 0
		.amdhsa_wavefront_size32 1
		.amdhsa_uses_dynamic_stack 0
		.amdhsa_enable_private_segment 0
		.amdhsa_system_sgpr_workgroup_id_x 1
		.amdhsa_system_sgpr_workgroup_id_y 0
		.amdhsa_system_sgpr_workgroup_id_z 1
		.amdhsa_system_sgpr_workgroup_info 0
		.amdhsa_system_vgpr_workitem_id 1
		.amdhsa_next_free_vgpr 224
		.amdhsa_next_free_sgpr 24
		.amdhsa_reserve_vcc 1
		.amdhsa_float_round_mode_32 0
		.amdhsa_float_round_mode_16_64 0
		.amdhsa_float_denorm_mode_32 3
		.amdhsa_float_denorm_mode_16_64 3
		.amdhsa_dx10_clamp 1
		.amdhsa_ieee_mode 1
		.amdhsa_fp16_overflow 0
		.amdhsa_workgroup_processor_mode 1
		.amdhsa_memory_ordered 1
		.amdhsa_forward_progress 0
		.amdhsa_shared_vgpr_count 0
		.amdhsa_exception_fp_ieee_invalid_op 0
		.amdhsa_exception_fp_denorm_src 0
		.amdhsa_exception_fp_ieee_div_zero 0
		.amdhsa_exception_fp_ieee_overflow 0
		.amdhsa_exception_fp_ieee_underflow 0
		.amdhsa_exception_fp_ieee_inexact 0
		.amdhsa_exception_int_div_zero 0
	.end_amdhsa_kernel
	.section	.text._ZN12_GLOBAL__N_120geam_min_plus_kernelIf15HIP_vector_typeIfLj2EES2_Li8ELi32ELi64ELi128ELi4ELi4ELi64ELi4ELi64ELc84ELc78ELb0ELb0ELb0EfKPKfKPfEEviiiT16_PT17_ilSA_ilS8_SA_ilPT18_ili26rocblas_geam_ex_operation_,"axG",@progbits,_ZN12_GLOBAL__N_120geam_min_plus_kernelIf15HIP_vector_typeIfLj2EES2_Li8ELi32ELi64ELi128ELi4ELi4ELi64ELi4ELi64ELc84ELc78ELb0ELb0ELb0EfKPKfKPfEEviiiT16_PT17_ilSA_ilS8_SA_ilPT18_ili26rocblas_geam_ex_operation_,comdat
.Lfunc_end35:
	.size	_ZN12_GLOBAL__N_120geam_min_plus_kernelIf15HIP_vector_typeIfLj2EES2_Li8ELi32ELi64ELi128ELi4ELi4ELi64ELi4ELi64ELc84ELc78ELb0ELb0ELb0EfKPKfKPfEEviiiT16_PT17_ilSA_ilS8_SA_ilPT18_ili26rocblas_geam_ex_operation_, .Lfunc_end35-_ZN12_GLOBAL__N_120geam_min_plus_kernelIf15HIP_vector_typeIfLj2EES2_Li8ELi32ELi64ELi128ELi4ELi4ELi64ELi4ELi64ELc84ELc78ELb0ELb0ELb0EfKPKfKPfEEviiiT16_PT17_ilSA_ilS8_SA_ilPT18_ili26rocblas_geam_ex_operation_
                                        ; -- End function
	.section	.AMDGPU.csdata,"",@progbits
; Kernel info:
; codeLenInByte = 10232
; NumSgprs: 26
; NumVgprs: 224
; ScratchSize: 0
; MemoryBound: 0
; FloatMode: 240
; IeeeMode: 1
; LDSByteSize: 6144 bytes/workgroup (compile time only)
; SGPRBlocks: 3
; VGPRBlocks: 27
; NumSGPRsForWavesPerEU: 26
; NumVGPRsForWavesPerEU: 224
; Occupancy: 6
; WaveLimiterHint : 1
; COMPUTE_PGM_RSRC2:SCRATCH_EN: 0
; COMPUTE_PGM_RSRC2:USER_SGPR: 14
; COMPUTE_PGM_RSRC2:TRAP_HANDLER: 0
; COMPUTE_PGM_RSRC2:TGID_X_EN: 1
; COMPUTE_PGM_RSRC2:TGID_Y_EN: 0
; COMPUTE_PGM_RSRC2:TGID_Z_EN: 1
; COMPUTE_PGM_RSRC2:TIDIG_COMP_CNT: 1
	.section	.text._ZN12_GLOBAL__N_120geam_min_plus_kernelIf15HIP_vector_typeIfLj2EES2_Li8ELi32ELi64ELi128ELi4ELi4ELi64ELi4ELi64ELc84ELc78ELb0ELb1ELb0EPKfKS4_KPfEEviiiT16_PT17_ilSA_ilS8_SA_ilPT18_ili26rocblas_geam_ex_operation_,"axG",@progbits,_ZN12_GLOBAL__N_120geam_min_plus_kernelIf15HIP_vector_typeIfLj2EES2_Li8ELi32ELi64ELi128ELi4ELi4ELi64ELi4ELi64ELc84ELc78ELb0ELb1ELb0EPKfKS4_KPfEEviiiT16_PT17_ilSA_ilS8_SA_ilPT18_ili26rocblas_geam_ex_operation_,comdat
	.globl	_ZN12_GLOBAL__N_120geam_min_plus_kernelIf15HIP_vector_typeIfLj2EES2_Li8ELi32ELi64ELi128ELi4ELi4ELi64ELi4ELi64ELc84ELc78ELb0ELb1ELb0EPKfKS4_KPfEEviiiT16_PT17_ilSA_ilS8_SA_ilPT18_ili26rocblas_geam_ex_operation_ ; -- Begin function _ZN12_GLOBAL__N_120geam_min_plus_kernelIf15HIP_vector_typeIfLj2EES2_Li8ELi32ELi64ELi128ELi4ELi4ELi64ELi4ELi64ELc84ELc78ELb0ELb1ELb0EPKfKS4_KPfEEviiiT16_PT17_ilSA_ilS8_SA_ilPT18_ili26rocblas_geam_ex_operation_
	.p2align	8
	.type	_ZN12_GLOBAL__N_120geam_min_plus_kernelIf15HIP_vector_typeIfLj2EES2_Li8ELi32ELi64ELi128ELi4ELi4ELi64ELi4ELi64ELc84ELc78ELb0ELb1ELb0EPKfKS4_KPfEEviiiT16_PT17_ilSA_ilS8_SA_ilPT18_ili26rocblas_geam_ex_operation_,@function
_ZN12_GLOBAL__N_120geam_min_plus_kernelIf15HIP_vector_typeIfLj2EES2_Li8ELi32ELi64ELi128ELi4ELi4ELi64ELi4ELi64ELc84ELc78ELb0ELb1ELb0EPKfKS4_KPfEEviiiT16_PT17_ilSA_ilS8_SA_ilPT18_ili26rocblas_geam_ex_operation_: ; @_ZN12_GLOBAL__N_120geam_min_plus_kernelIf15HIP_vector_typeIfLj2EES2_Li8ELi32ELi64ELi128ELi4ELi4ELi64ELi4ELi64ELc84ELc78ELb0ELb1ELb0EPKfKS4_KPfEEviiiT16_PT17_ilSA_ilS8_SA_ilPT18_ili26rocblas_geam_ex_operation_
; %bb.0:
	s_clause 0x1
	s_load_b128 s[16:19], s[0:1], 0x10
	s_load_b128 s[4:7], s[0:1], 0x28
	s_mov_b32 s2, s15
	s_mov_b32 s3, 0
	s_mov_b64 s[20:21], 0
	s_lshl_b64 s[12:13], s[2:3], 2
	s_waitcnt lgkmcnt(0)
	s_add_u32 s8, s16, s12
	s_addc_u32 s9, s17, s13
	s_load_b32 s22, s[8:9], 0x0
	s_clause 0x1
	s_load_b128 s[8:11], s[0:1], 0x40
	s_load_b64 s[16:17], s[0:1], 0x50
	s_waitcnt lgkmcnt(0)
	v_cmp_eq_f32_e64 s15, s22, 0
	v_cmp_neq_f32_e64 s23, s22, 0
	s_add_u32 s10, s10, s12
	s_addc_u32 s11, s11, s13
	s_mov_b64 s[12:13], 0
	s_and_b32 vcc_lo, exec_lo, s15
	s_cbranch_vccnz .LBB36_2
; %bb.1:
	s_lshl_b64 s[20:21], s[2:3], 3
	s_delay_alu instid0(SALU_CYCLE_1)
	s_add_u32 s18, s18, s20
	s_addc_u32 s19, s19, s21
	s_lshl_b64 s[4:5], s[4:5], 2
	s_load_b64 s[18:19], s[18:19], 0x0
	s_waitcnt lgkmcnt(0)
	s_add_u32 s20, s18, s4
	s_addc_u32 s21, s19, s5
.LBB36_2:
	s_load_b32 s15, s[10:11], 0x0
	s_and_not1_b32 vcc_lo, exec_lo, s23
	s_cbranch_vccnz .LBB36_4
; %bb.3:
	s_lshl_b64 s[4:5], s[2:3], 3
	s_delay_alu instid0(SALU_CYCLE_1)
	s_add_u32 s4, s6, s4
	s_addc_u32 s5, s7, s5
	s_lshl_b64 s[6:7], s[8:9], 2
	s_load_b64 s[4:5], s[4:5], 0x0
	s_waitcnt lgkmcnt(0)
	s_add_u32 s12, s4, s6
	s_addc_u32 s13, s5, s7
.LBB36_4:
	s_load_b128 s[4:7], s[0:1], 0x60
	s_waitcnt lgkmcnt(0)
	v_cmp_eq_f32_e64 s8, s15, 0
	v_cmp_neq_f32_e64 s9, s15, 0
	s_delay_alu instid0(VALU_DEP_2)
	s_and_b32 vcc_lo, exec_lo, s8
	s_cbranch_vccnz .LBB36_6
; %bb.5:
	s_lshl_b64 s[10:11], s[2:3], 3
	s_delay_alu instid0(SALU_CYCLE_1)
	s_add_u32 s10, s16, s10
	s_addc_u32 s11, s17, s11
	s_lshl_b64 s[4:5], s[4:5], 2
	s_load_b64 s[10:11], s[10:11], 0x0
	s_waitcnt lgkmcnt(0)
	s_add_u32 s10, s10, s4
	s_addc_u32 s11, s11, s5
	s_branch .LBB36_7
.LBB36_6:
	s_mov_b64 s[10:11], 0
.LBB36_7:
	s_clause 0x1
	s_load_b128 s[16:19], s[0:1], 0x0
	s_load_b32 s26, s[0:1], 0x20
	s_lshl_b64 s[2:3], s[2:3], 3
	v_dual_mov_b32 v7, 0 :: v_dual_and_b32 v54, 0x3ff, v0
	s_add_u32 s4, s6, s2
	s_addc_u32 s5, s7, s3
	v_bfe_u32 v55, v0, 10, 10
	s_load_b64 s[4:5], s[4:5], 0x0
	v_and_b32_e32 v56, 3, v54
	v_mov_b32_e32 v8, 0
	s_delay_alu instid0(VALU_DEP_3) | instskip(SKIP_2) | instid1(SALU_CYCLE_1)
	v_lshl_add_u32 v0, v55, 3, v54
	s_waitcnt lgkmcnt(0)
	s_add_i32 s2, s16, -1
	s_ashr_i32 s3, s2, 31
	s_delay_alu instid0(SALU_CYCLE_1) | instskip(NEXT) | instid1(SALU_CYCLE_1)
	s_lshr_b32 s3, s3, 26
	s_add_i32 s2, s2, s3
	s_delay_alu instid0(SALU_CYCLE_1) | instskip(NEXT) | instid1(SALU_CYCLE_1)
	s_ashr_i32 s2, s2, 6
	s_add_i32 s6, s2, 1
	s_not_b32 s2, s2
	v_cvt_f32_u32_e32 v1, s6
	s_delay_alu instid0(VALU_DEP_1) | instskip(SKIP_2) | instid1(VALU_DEP_1)
	v_rcp_iflag_f32_e32 v1, v1
	s_waitcnt_depctr 0xfff
	v_mul_f32_e32 v1, 0x4f7ffffe, v1
	v_cvt_u32_f32_e32 v1, v1
	s_delay_alu instid0(VALU_DEP_1) | instskip(SKIP_2) | instid1(VALU_DEP_3)
	v_readfirstlane_b32 s3, v1
	v_lshrrev_b32_e32 v1, 2, v0
	v_lshlrev_b32_e32 v0, 2, v56
	s_mul_i32 s2, s2, s3
	s_delay_alu instid0(SALU_CYCLE_1) | instskip(NEXT) | instid1(SALU_CYCLE_1)
	s_mul_hi_u32 s2, s3, s2
	s_add_i32 s3, s3, s2
	s_delay_alu instid0(SALU_CYCLE_1) | instskip(NEXT) | instid1(SALU_CYCLE_1)
	s_mul_hi_u32 s2, s14, s3
	s_mul_i32 s3, s2, s6
	s_add_i32 s7, s2, 1
	s_sub_i32 s3, s14, s3
	s_delay_alu instid0(SALU_CYCLE_1)
	s_sub_i32 s8, s3, s6
	s_cmp_ge_u32 s3, s6
	s_cselect_b32 s2, s7, s2
	s_cselect_b32 s3, s8, s3
	s_add_i32 s7, s2, 1
	s_cmp_ge_u32 s3, s6
	s_cselect_b32 s3, s7, s2
	s_delay_alu instid0(SALU_CYCLE_1) | instskip(NEXT) | instid1(SALU_CYCLE_1)
	s_mul_i32 s27, s3, s6
	s_sub_i32 s2, s14, s27
	s_delay_alu instid0(SALU_CYCLE_1) | instskip(SKIP_2) | instid1(VALU_DEP_1)
	s_lshl_b32 s6, s2, 6
	v_cmp_gt_i32_e64 s2, s18, v56
	v_add_nc_u32_e32 v5, s6, v1
	v_cmp_gt_i32_e32 vcc_lo, s16, v5
	s_delay_alu instid0(VALU_DEP_3) | instskip(NEXT) | instid1(SALU_CYCLE_1)
	s_and_b32 s2, s2, vcc_lo
	s_and_b32 s2, s23, s2
	s_delay_alu instid0(SALU_CYCLE_1)
	s_and_saveexec_b32 s7, s2
	s_cbranch_execz .LBB36_9
; %bb.8:
	v_mad_i64_i32 v[2:3], null, v5, s26, 0
	s_delay_alu instid0(VALU_DEP_1) | instskip(NEXT) | instid1(VALU_DEP_1)
	v_lshlrev_b64 v[2:3], 2, v[2:3]
	v_add_co_u32 v2, s2, s20, v2
	s_delay_alu instid0(VALU_DEP_1) | instskip(NEXT) | instid1(VALU_DEP_2)
	v_add_co_ci_u32_e64 v3, s2, s21, v3, s2
	v_add_co_u32 v2, s2, v2, v0
	s_delay_alu instid0(VALU_DEP_1)
	v_add_co_ci_u32_e64 v3, s2, 0, v3, s2
	flat_load_b32 v2, v[2:3]
	s_waitcnt vmcnt(0) lgkmcnt(0)
	v_mul_f32_e32 v8, s22, v2
.LBB36_9:
	s_or_b32 exec_lo, exec_lo, s7
	s_add_i32 s8, s18, -1
	s_load_b32 s28, s[0:1], 0x38
	v_min_i32_e32 v3, s8, v56
	s_lshl_b32 s7, s3, 7
	s_xor_b32 s24, s23, -1
	v_add_nc_u32_e32 v2, s7, v1
	v_cmp_le_i32_e64 s2, s18, v56
	v_ashrrev_i32_e32 v4, 31, v3
	s_delay_alu instid0(VALU_DEP_3) | instskip(NEXT) | instid1(VALU_DEP_2)
	v_cmp_le_i32_e64 s3, s17, v2
	v_lshlrev_b64 v[3:4], 2, v[3:4]
	s_delay_alu instid0(VALU_DEP_2) | instskip(NEXT) | instid1(VALU_DEP_1)
	s_or_b32 s19, s3, s24
	v_add_co_u32 v6, s3, s12, v3
	s_delay_alu instid0(VALU_DEP_1) | instskip(SKIP_1) | instid1(SALU_CYCLE_1)
	v_add_co_ci_u32_e64 v10, s3, s13, v4, s3
	s_or_b32 s3, s2, s19
	s_xor_b32 s3, s3, -1
	s_delay_alu instid0(SALU_CYCLE_1)
	s_and_saveexec_b32 s25, s3
	s_cbranch_execz .LBB36_11
; %bb.10:
	s_waitcnt lgkmcnt(0)
	v_mad_i64_i32 v[3:4], null, v2, s28, 0
	s_delay_alu instid0(VALU_DEP_1) | instskip(NEXT) | instid1(VALU_DEP_1)
	v_lshlrev_b64 v[3:4], 2, v[3:4]
	v_add_co_u32 v3, s3, v6, v3
	s_delay_alu instid0(VALU_DEP_1)
	v_add_co_ci_u32_e64 v4, s3, v10, v4, s3
	flat_load_b32 v3, v[3:4]
	s_waitcnt vmcnt(0) lgkmcnt(0)
	v_mul_f32_e32 v7, s22, v3
.LBB36_11:
	s_or_b32 exec_lo, exec_lo, s25
	v_dual_mov_b32 v4, 0 :: v_dual_add_nc_u32 v3, 64, v2
	v_mov_b32_e32 v9, 0
	s_delay_alu instid0(VALU_DEP_2) | instskip(NEXT) | instid1(VALU_DEP_1)
	v_cmp_le_i32_e64 s3, s17, v3
	s_or_b32 s24, s3, s24
	s_delay_alu instid0(SALU_CYCLE_1) | instskip(NEXT) | instid1(SALU_CYCLE_1)
	s_or_b32 s2, s2, s24
	s_xor_b32 s2, s2, -1
	s_delay_alu instid0(SALU_CYCLE_1)
	s_and_saveexec_b32 s3, s2
	s_cbranch_execz .LBB36_13
; %bb.12:
	s_waitcnt lgkmcnt(0)
	v_mad_i64_i32 v[11:12], null, v3, s28, 0
	s_delay_alu instid0(VALU_DEP_1) | instskip(NEXT) | instid1(VALU_DEP_1)
	v_lshlrev_b64 v[11:12], 2, v[11:12]
	v_add_co_u32 v9, s2, v6, v11
	s_delay_alu instid0(VALU_DEP_1)
	v_add_co_ci_u32_e64 v10, s2, v10, v12, s2
	flat_load_b32 v6, v[9:10]
	s_waitcnt vmcnt(0) lgkmcnt(0)
	v_mul_f32_e32 v9, s22, v6
.LBB36_13:
	s_or_b32 exec_lo, exec_lo, s3
	v_or_b32_e32 v6, 4, v56
	s_delay_alu instid0(VALU_DEP_1) | instskip(NEXT) | instid1(VALU_DEP_1)
	v_cmp_gt_i32_e64 s2, s18, v6
	s_and_b32 s2, s2, vcc_lo
	s_delay_alu instid0(SALU_CYCLE_1) | instskip(NEXT) | instid1(SALU_CYCLE_1)
	s_and_b32 s2, s23, s2
	s_and_saveexec_b32 s3, s2
	s_cbranch_execz .LBB36_15
; %bb.14:
	v_mad_i64_i32 v[10:11], null, v5, s26, 0
	s_delay_alu instid0(VALU_DEP_1) | instskip(NEXT) | instid1(VALU_DEP_1)
	v_lshlrev_b64 v[4:5], 2, v[10:11]
	v_add_co_u32 v4, s2, s20, v4
	s_delay_alu instid0(VALU_DEP_1) | instskip(NEXT) | instid1(VALU_DEP_2)
	v_add_co_ci_u32_e64 v5, s2, s21, v5, s2
	v_add_co_u32 v4, s2, v4, v0
	s_delay_alu instid0(VALU_DEP_1)
	v_add_co_ci_u32_e64 v5, s2, 0, v5, s2
	flat_load_b32 v4, v[4:5] offset:16
	s_waitcnt vmcnt(0) lgkmcnt(0)
	v_mul_f32_e32 v4, s22, v4
.LBB36_15:
	s_or_b32 exec_lo, exec_lo, s3
	v_min_i32_e32 v10, s8, v6
	v_cmp_le_i32_e64 s2, s18, v6
	v_dual_mov_b32 v5, 0 :: v_dual_mov_b32 v6, 0
	s_delay_alu instid0(VALU_DEP_3) | instskip(NEXT) | instid1(VALU_DEP_1)
	v_ashrrev_i32_e32 v11, 31, v10
	v_lshlrev_b64 v[10:11], 2, v[10:11]
	s_delay_alu instid0(VALU_DEP_1) | instskip(NEXT) | instid1(VALU_DEP_1)
	v_add_co_u32 v10, s3, s12, v10
	v_add_co_ci_u32_e64 v11, s3, s13, v11, s3
	s_or_b32 s3, s2, s19
	s_delay_alu instid0(SALU_CYCLE_1) | instskip(NEXT) | instid1(SALU_CYCLE_1)
	s_xor_b32 s3, s3, -1
	s_and_saveexec_b32 s25, s3
	s_cbranch_execz .LBB36_17
; %bb.16:
	s_waitcnt lgkmcnt(0)
	v_mad_i64_i32 v[12:13], null, v2, s28, 0
	s_delay_alu instid0(VALU_DEP_1) | instskip(NEXT) | instid1(VALU_DEP_1)
	v_lshlrev_b64 v[12:13], 2, v[12:13]
	v_add_co_u32 v12, s3, v10, v12
	s_delay_alu instid0(VALU_DEP_1)
	v_add_co_ci_u32_e64 v13, s3, v11, v13, s3
	flat_load_b32 v6, v[12:13]
	s_waitcnt vmcnt(0) lgkmcnt(0)
	v_mul_f32_e32 v6, s22, v6
.LBB36_17:
	s_or_b32 exec_lo, exec_lo, s25
	s_or_b32 s2, s2, s24
	s_delay_alu instid0(SALU_CYCLE_1) | instskip(NEXT) | instid1(SALU_CYCLE_1)
	s_xor_b32 s2, s2, -1
	s_and_saveexec_b32 s3, s2
	s_cbranch_execz .LBB36_19
; %bb.18:
	s_waitcnt lgkmcnt(0)
	v_mad_i64_i32 v[12:13], null, v3, s28, 0
	s_delay_alu instid0(VALU_DEP_1) | instskip(NEXT) | instid1(VALU_DEP_1)
	v_lshlrev_b64 v[12:13], 2, v[12:13]
	v_add_co_u32 v10, s2, v10, v12
	s_delay_alu instid0(VALU_DEP_1)
	v_add_co_ci_u32_e64 v11, s2, v11, v13, s2
	flat_load_b32 v5, v[10:11]
	s_waitcnt vmcnt(0) lgkmcnt(0)
	v_mul_f32_e32 v5, s22, v5
.LBB36_19:
	s_or_b32 exec_lo, exec_lo, s3
	v_lshl_or_b32 v59, v1, 4, v0
	v_lshlrev_b32_e32 v57, 4, v55
	v_lshlrev_b32_e32 v58, 4, v54
	s_mov_b32 s25, 0
	s_cmp_lt_i32 s18, 9
	ds_store_b32 v59, v8 offset:4096
	ds_store_2addr_stride64_b32 v59, v7, v9 offset1:4
	s_waitcnt lgkmcnt(0)
	s_barrier
	buffer_gl0_inv
	ds_load_b128 v[7:10], v57
	ds_load_b128 v[11:14], v58 offset:4096
	ds_load_b128 v[15:18], v58 offset:4224
	;; [unrolled: 1-line block ×11, first 2 shown]
	ds_store_b32 v59, v4 offset:5120
	ds_store_2addr_stride64_b32 v59, v6, v5 offset0:8 offset1:12
	s_waitcnt lgkmcnt(0)
	s_barrier
	buffer_gl0_inv
	v_max_f32_e32 v7, v7, v7
	v_dual_max_f32 v11, v11, v11 :: v_dual_max_f32 v12, v12, v12
	v_dual_max_f32 v15, v15, v15 :: v_dual_max_f32 v16, v16, v16
	v_dual_max_f32 v8, v8, v8 :: v_dual_max_f32 v19, v19, v19
	s_delay_alu instid0(VALU_DEP_2) | instskip(SKIP_1) | instid1(VALU_DEP_2)
	v_dual_max_f32 v20, v20, v20 :: v_dual_min_f32 v53, v15, v7
	v_dual_max_f32 v23, v23, v23 :: v_dual_max_f32 v28, v28, v28
	v_dual_max_f32 v27, v27, v27 :: v_dual_min_f32 v66, v20, v8
	v_dual_max_f32 v31, v31, v31 :: v_dual_max_f32 v32, v32, v32
	v_dual_max_f32 v35, v35, v35 :: v_dual_max_f32 v36, v36, v36
	v_max_f32_e32 v39, v39, v39
	v_dual_max_f32 v43, v43, v43 :: v_dual_max_f32 v44, v44, v44
	v_dual_max_f32 v47, v47, v47 :: v_dual_max_f32 v38, v38, v38
	v_dual_min_f32 v51, v11, v7 :: v_dual_min_f32 v64, v16, v8
	v_dual_min_f32 v52, v12, v8 :: v_dual_min_f32 v65, v19, v7
	v_dual_max_f32 v24, v24, v24 :: v_dual_min_f32 v67, v23, v7
	v_dual_min_f32 v69, v27, v7 :: v_dual_min_f32 v70, v28, v8
	v_dual_min_f32 v71, v31, v7 :: v_dual_min_f32 v74, v36, v8
	;; [unrolled: 1-line block ×3, first 2 shown]
	v_dual_max_f32 v40, v40, v40 :: v_dual_min_f32 v7, v39, v7
	v_dual_max_f32 v10, v10, v10 :: v_dual_max_f32 v9, v9, v9
	v_dual_min_f32 v75, v11, v43 :: v_dual_max_f32 v14, v14, v14
	v_dual_max_f32 v13, v13, v13 :: v_dual_min_f32 v76, v12, v44
	v_dual_min_f32 v77, v15, v43 :: v_dual_max_f32 v18, v18, v18
	v_dual_min_f32 v79, v19, v43 :: v_dual_max_f32 v22, v22, v22
	;; [unrolled: 1-line block ×8, first 2 shown]
	v_min_f32_e32 v68, v24, v8
	v_dual_min_f32 v8, v40, v8 :: v_dual_max_f32 v17, v17, v17
	v_dual_min_f32 v78, v16, v44 :: v_dual_max_f32 v21, v21, v21
	v_dual_min_f32 v80, v20, v44 :: v_dual_max_f32 v25, v25, v25
	v_dual_min_f32 v82, v24, v44 :: v_dual_max_f32 v37, v37, v37
	v_min_f32_e32 v88, v11, v47
	v_dual_min_f32 v89, v15, v47 :: v_dual_max_f32 v50, v50, v50
	v_dual_max_f32 v45, v45, v45 :: v_dual_min_f32 v90, v19, v47
	v_dual_max_f32 v49, v49, v49 :: v_dual_max_f32 v100, v62, v62
	v_dual_max_f32 v61, v61, v61 :: v_dual_min_f32 v126, v27, v47
	v_dual_max_f32 v117, v63, v63 :: v_dual_min_f32 v92, v36, v44
	v_min_f32_e32 v127, v31, v47
	v_dual_min_f32 v128, v35, v47 :: v_dual_min_f32 v93, v12, v48
	v_dual_min_f32 v47, v39, v47 :: v_dual_min_f32 v94, v16, v48
	;; [unrolled: 1-line block ×4, first 2 shown]
	v_min_f32_e32 v19, v19, v60
	v_min_f32_e32 v23, v23, v60
	;; [unrolled: 1-line block ×5, first 2 shown]
	v_dual_min_f32 v39, v39, v60 :: v_dual_min_f32 v62, v13, v9
	v_min_f32_e32 v95, v20, v48
	v_dual_min_f32 v130, v28, v48 :: v_dual_add_f32 v51, 0, v51
	v_add_f32_e32 v52, 0, v52
	v_dual_min_f32 v60, v14, v10 :: v_dual_add_f32 v63, 0, v64
	v_dual_min_f32 v64, v18, v10 :: v_dual_max_f32 v29, v29, v29
	v_dual_min_f32 v84, v28, v44 :: v_dual_max_f32 v33, v33, v33
	v_min_f32_e32 v86, v32, v44
	v_min_f32_e32 v44, v40, v44
	v_dual_min_f32 v129, v24, v48 :: v_dual_add_f32 v124, v51, v62
	v_min_f32_e32 v131, v32, v48
	v_dual_min_f32 v132, v36, v48 :: v_dual_add_f32 v51, 0, v53
	v_dual_min_f32 v48, v40, v48 :: v_dual_add_f32 v53, 0, v66
	v_min_f32_e32 v20, v20, v61
	v_min_f32_e32 v24, v24, v61
	;; [unrolled: 1-line block ×6, first 2 shown]
	v_dual_add_f32 v122, v63, v64 :: v_dual_add_f32 v61, 0, v65
	v_add_f32_e32 v65, 0, v67
	v_dual_add_f32 v125, v52, v60 :: v_dual_min_f32 v60, v22, v10
	v_min_f32_e32 v52, v17, v9
	v_dual_min_f32 v62, v21, v9 :: v_dual_add_f32 v63, 0, v68
	v_min_f32_e32 v64, v26, v10
	v_min_f32_e32 v66, v25, v9
	v_dual_max_f32 v41, v41, v41 :: v_dual_max_f32 v46, v46, v46
	v_add_f32_e32 v123, v51, v52
	v_dual_add_f32 v120, v53, v60 :: v_dual_add_f32 v51, 0, v70
	s_delay_alu instid0(VALU_DEP_4)
	v_add_f32_e32 v119, v65, v66
	v_dual_min_f32 v52, v30, v10 :: v_dual_add_f32 v53, 0, v69
	v_dual_add_f32 v121, v61, v62 :: v_dual_add_f32 v118, v63, v64
	v_dual_min_f32 v61, v29, v9 :: v_dual_add_f32 v62, 0, v72
	v_dual_min_f32 v63, v34, v10 :: v_dual_add_f32 v64, 0, v71
	;; [unrolled: 1-line block ×3, first 2 shown]
	s_delay_alu instid0(VALU_DEP_3) | instskip(SKIP_1) | instid1(VALU_DEP_3)
	v_add_f32_e32 v61, v53, v61
	v_dual_min_f32 v67, v38, v10 :: v_dual_add_f32 v60, v51, v52
	v_dual_add_f32 v63, v62, v63 :: v_dual_add_f32 v62, v64, v65
	s_delay_alu instid0(VALU_DEP_2) | instskip(SKIP_4) | instid1(VALU_DEP_4)
	v_dual_add_f32 v51, 0, v73 :: v_dual_add_f32 v64, v66, v67
	v_dual_min_f32 v52, v37, v9 :: v_dual_add_f32 v7, 0, v7
	v_dual_add_f32 v8, 0, v8 :: v_dual_min_f32 v9, v41, v9
	v_dual_min_f32 v10, v42, v10 :: v_dual_add_f32 v53, 0, v76
	v_dual_min_f32 v66, v14, v46 :: v_dual_add_f32 v67, 0, v75
	;; [unrolled: 1-line block ×3, first 2 shown]
	s_delay_alu instid0(VALU_DEP_3)
	v_dual_add_f32 v115, v8, v10 :: v_dual_add_f32 v116, v7, v9
	v_dual_add_f32 v7, 0, v78 :: v_dual_min_f32 v10, v17, v45
	v_dual_min_f32 v8, v18, v46 :: v_dual_add_f32 v9, 0, v77
	v_dual_add_f32 v51, 0, v80 :: v_dual_min_f32 v52, v22, v46
	v_dual_add_f32 v114, v53, v66 :: v_dual_add_f32 v113, v67, v68
	v_dual_add_f32 v53, 0, v79 :: v_dual_min_f32 v66, v21, v45
	s_delay_alu instid0(VALU_DEP_3)
	v_dual_add_f32 v67, 0, v82 :: v_dual_add_f32 v110, v51, v52
	v_dual_min_f32 v68, v26, v46 :: v_dual_add_f32 v111, v7, v8
	v_dual_add_f32 v112, v9, v10 :: v_dual_add_f32 v7, 0, v81
	v_min_f32_e32 v10, v30, v46
	v_dual_min_f32 v8, v25, v45 :: v_dual_add_f32 v9, 0, v84
	v_dual_add_f32 v51, 0, v83 :: v_dual_min_f32 v52, v29, v45
	s_delay_alu instid0(VALU_DEP_2)
	v_dual_add_f32 v109, v53, v66 :: v_dual_add_f32 v108, v7, v8
	v_add_f32_e32 v107, v67, v68
	v_dual_add_f32 v53, 0, v86 :: v_dual_min_f32 v68, v33, v45
	v_dual_min_f32 v66, v34, v46 :: v_dual_add_f32 v67, 0, v85
	v_dual_add_f32 v105, v9, v10 :: v_dual_add_f32 v106, v51, v52
	v_dual_add_f32 v7, 0, v92 :: v_dual_min_f32 v8, v38, v46
	v_dual_add_f32 v9, 0, v87 :: v_dual_min_f32 v10, v37, v45
	v_dual_add_f32 v44, 0, v44 :: v_dual_add_f32 v43, 0, v43
	v_dual_min_f32 v46, v42, v46 :: v_dual_min_f32 v45, v41, v45
	v_dual_add_f32 v51, 0, v93 :: v_dual_min_f32 v52, v14, v50
	s_delay_alu instid0(VALU_DEP_4) | instskip(NEXT) | instid1(VALU_DEP_3)
	v_dual_add_f32 v101, v7, v8 :: v_dual_add_f32 v102, v9, v10
	v_dual_add_f32 v99, v44, v46 :: v_dual_add_f32 v98, v43, v45
	s_delay_alu instid0(VALU_DEP_3) | instskip(SKIP_3) | instid1(VALU_DEP_3)
	v_dual_add_f32 v96, v51, v52 :: v_dual_add_f32 v9, 0, v94
	v_dual_add_f32 v7, 0, v88 :: v_dual_min_f32 v8, v13, v49
	v_dual_min_f32 v10, v18, v50 :: v_dual_add_f32 v43, 0, v89
	v_dual_min_f32 v44, v17, v49 :: v_dual_add_f32 v45, 0, v95
	;; [unrolled: 1-line block ×3, first 2 shown]
	v_dual_add_f32 v51, 0, v90 :: v_dual_min_f32 v52, v21, v49
	s_delay_alu instid0(VALU_DEP_3) | instskip(NEXT) | instid1(VALU_DEP_3)
	v_dual_add_f32 v94, v9, v10 :: v_dual_add_f32 v95, v43, v44
	v_dual_add_f32 v92, v45, v46 :: v_dual_add_f32 v7, 0, v129
	v_min_f32_e32 v8, v26, v50
	v_dual_add_f32 v43, 0, v130 :: v_dual_min_f32 v46, v29, v49
	v_add_f32_e32 v45, 0, v126
	v_dual_add_f32 v9, 0, v91 :: v_dual_min_f32 v10, v25, v49
	v_min_f32_e32 v44, v30, v50
	v_add_f32_e32 v90, v7, v8
	s_delay_alu instid0(VALU_DEP_4)
	v_dual_add_f32 v88, v45, v46 :: v_dual_add_f32 v7, 0, v127
	v_dual_min_f32 v8, v33, v49 :: v_dual_add_f32 v93, v51, v52
	v_dual_add_f32 v51, 0, v131 :: v_dual_min_f32 v52, v34, v50
	v_add_f32_e32 v89, v43, v44
	v_add_f32_e32 v91, v9, v10
	v_dual_add_f32 v9, 0, v132 :: v_dual_min_f32 v10, v38, v50
	v_dual_add_f32 v43, 0, v128 :: v_dual_min_f32 v44, v37, v49
	;; [unrolled: 1-line block ×3, first 2 shown]
	v_add_f32_e32 v87, v7, v8
	v_dual_add_f32 v7, 0, v11 :: v_dual_add_f32 v8, 0, v12
	v_dual_add_f32 v11, 0, v19 :: v_dual_add_f32 v12, 0, v20
	;; [unrolled: 1-line block ×3, first 2 shown]
	v_dual_add_f32 v27, 0, v35 :: v_dual_min_f32 v14, v14, v117
	v_dual_add_f32 v84, v9, v10 :: v_dual_add_f32 v85, v43, v44
	v_dual_add_f32 v9, 0, v15 :: v_dual_add_f32 v10, 0, v16
	s_delay_alu instid0(VALU_DEP_3)
	v_dual_min_f32 v13, v13, v100 :: v_dual_add_f32 v80, v8, v14
	v_dual_min_f32 v8, v18, v117 :: v_dual_add_f32 v15, 0, v23
	v_dual_add_f32 v16, 0, v24 :: v_dual_add_f32 v23, 0, v31
	v_add_f32_e32 v24, 0, v32
	v_add_f32_e32 v32, 0, v40
	v_dual_min_f32 v14, v17, v100 :: v_dual_add_f32 v81, v7, v13
	v_min_f32_e32 v17, v22, v117
	v_min_f32_e32 v7, v21, v100
	s_delay_alu instid0(VALU_DEP_3) | instskip(SKIP_1) | instid1(VALU_DEP_3)
	v_dual_add_f32 v79, v10, v8 :: v_dual_add_f32 v78, v9, v14
	v_min_f32_e32 v8, v26, v117
	v_dual_add_f32 v76, v12, v17 :: v_dual_add_f32 v77, v11, v7
	v_min_f32_e32 v7, v25, v100
	v_dual_min_f32 v9, v30, v117 :: v_dual_min_f32 v10, v29, v100
	s_delay_alu instid0(VALU_DEP_4)
	v_add_f32_e32 v74, v16, v8
	v_min_f32_e32 v8, v34, v117
	v_dual_min_f32 v46, v42, v50 :: v_dual_add_f32 v47, 0, v47
	v_dual_add_f32 v28, 0, v36 :: v_dual_add_f32 v31, 0, v39
	v_add_f32_e32 v75, v15, v7
	v_dual_add_f32 v73, v20, v9 :: v_dual_add_f32 v72, v19, v10
	v_min_f32_e32 v7, v33, v100
	v_add_f32_e32 v70, v24, v8
	v_dual_min_f32 v8, v38, v117 :: v_dual_min_f32 v9, v37, v100
	v_dual_min_f32 v10, v42, v117 :: v_dual_min_f32 v11, v41, v100
	v_dual_add_f32 v104, v53, v66 :: v_dual_add_f32 v103, v67, v68
	v_dual_add_f32 v86, v51, v52 :: v_dual_add_f32 v83, v45, v46
	v_add_f32_e32 v82, v47, v48
	v_add_f32_e32 v71, v23, v7
	v_dual_add_f32 v69, v28, v8 :: v_dual_add_f32 v68, v27, v9
	v_dual_add_f32 v67, v32, v10 :: v_dual_add_f32 v66, v31, v11
	s_cbranch_scc1 .LBB36_34
; %bb.20:
	v_lshl_add_u32 v1, s14, 6, v1
	s_lshl_b32 s2, s27, 6
	v_mad_i64_i32 v[6:7], null, v2, s28, 0
	v_add_nc_u32_e32 v100, 0x1000, v59
	s_delay_alu instid0(VALU_DEP_3)
	v_subrev_nc_u32_e32 v1, s2, v1
	v_add_nc_u32_e32 v117, 0x1000, v58
	v_add_nc_u32_e32 v126, 0x1400, v59
	;; [unrolled: 1-line block ×3, first 2 shown]
	v_lshl_add_u32 v128, v54, 4, 0x1400
	v_mad_i64_i32 v[4:5], null, s26, v1, 0
	v_lshlrev_b64 v[48:49], 2, v[6:7]
	v_lshl_add_u32 v129, v55, 4, 0x800
	s_add_i32 s14, s18, -8
	s_delay_alu instid0(VALU_DEP_3) | instskip(SKIP_1) | instid1(VALU_DEP_2)
	v_lshlrev_b64 v[1:2], 2, v[4:5]
	v_mad_i64_i32 v[4:5], null, v3, s28, 0
	v_add_co_u32 v0, s2, v1, v0
	s_delay_alu instid0(VALU_DEP_1) | instskip(NEXT) | instid1(VALU_DEP_3)
	v_add_co_ci_u32_e64 v1, s2, 0, v2, s2
	v_lshlrev_b64 v[50:51], 2, v[4:5]
	s_delay_alu instid0(VALU_DEP_3) | instskip(NEXT) | instid1(VALU_DEP_1)
	v_add_co_u32 v0, s2, v0, s20
	v_add_co_ci_u32_e64 v1, s2, s21, v1, s2
	s_delay_alu instid0(VALU_DEP_2) | instskip(NEXT) | instid1(VALU_DEP_1)
	v_add_co_u32 v52, s2, v0, 48
	v_add_co_ci_u32_e64 v53, s2, 0, v1, s2
	s_branch .LBB36_22
.LBB36_21:                              ;   in Loop: Header=BB36_22 Depth=1
	s_or_b32 exec_lo, exec_lo, s3
	v_dual_add_f32 v40, v125, v40 :: v_dual_add_f32 v33, v119, v33
	v_dual_add_f32 v28, v122, v28 :: v_dual_add_f32 v29, v121, v29
	v_dual_add_f32 v16, v61, v16 :: v_dual_add_f32 v21, v62, v21
	v_dual_add_f32 v20, v60, v20 :: v_dual_add_f32 v25, v65, v25
	v_dual_add_f32 v24, v63, v24 :: v_dual_add_f32 v9, v116, v9
	v_dual_add_f32 v8, v64, v8 :: v_dual_add_f32 v13, v113, v13
	v_dual_add_f32 v12, v115, v12 :: v_dual_add_f32 v17, v114, v17
	v_dual_add_f32 v78, v78, v161 :: v_dual_add_f32 v77, v77, v163
	v_dual_add_f32 v76, v76, v164 :: v_dual_add_f32 v75, v75, v165
	v_dual_add_f32 v44, v112, v44 :: v_dual_add_f32 v45, v111, v45
	v_dual_add_f32 v62, v108, v136 :: v_dual_add_f32 v63, v107, v137
	v_dual_add_f32 v64, v106, v138 :: v_dual_add_f32 v65, v105, v139
	v_dual_add_f32 v1, v84, v1 :: v_dual_add_f32 v74, v74, v166
	v_dual_add_f32 v84, v28, v34 :: v_dual_add_f32 v107, v33, v31
	v_add_f32_e32 v105, v29, v30
	v_dual_add_f32 v108, v20, v174 :: v_dual_add_f32 v113, v25, v23
	v_dual_add_f32 v111, v21, v22 :: v_dual_add_f32 v112, v8, v184
	;; [unrolled: 1-line block ×3, first 2 shown]
	ds_load_b128 v[20:23], v57
	ds_load_b128 v[28:31], v117
	v_dual_add_f32 v76, v76, v26 :: v_dual_add_f32 v75, v75, v11
	v_dual_add_f32 v77, v77, v10 :: v_dual_add_f32 v74, v74, v27
	ds_load_b128 v[8:11], v117 offset:128
	v_dual_add_f32 v32, v120, v32 :: v_dual_add_f32 v37, v118, v37
	v_dual_add_f32 v4, v101, v4 :: v_dual_add_f32 v5, v98, v5
	;; [unrolled: 1-line block ×12, first 2 shown]
	v_add_f32_e32 v110, v24, v175
	s_delay_alu instid0(VALU_DEP_4)
	v_dual_add_f32 v121, v4, v200 :: v_dual_add_f32 v102, v102, v183
	v_dual_add_f32 v88, v88, v197 :: v_dual_add_f32 v123, v1, v211
	;; [unrolled: 1-line block ×5, first 2 shown]
	s_waitcnt lgkmcnt(2)
	v_dual_add_f32 v124, v46, v19 :: v_dual_max_f32 v21, v21, v21
	ds_load_b128 v[1:4], v117 offset:256
	ds_load_b128 v[12:15], v117 offset:384
	ds_load_b128 v[16:19], v117 offset:512
	ds_load_b128 v[24:27], v117 offset:640
	ds_load_b128 v[32:35], v57 offset:512
	v_dual_add_f32 v125, v43, v7 :: v_dual_max_f32 v20, v20, v20
	s_waitcnt lgkmcnt(6)
	v_dual_max_f32 v28, v28, v28 :: v_dual_max_f32 v29, v29, v29
	s_waitcnt lgkmcnt(5)
	v_dual_max_f32 v133, v8, v8 :: v_dual_add_f32 v98, v99, v143
	v_dual_add_f32 v93, v93, v148 :: v_dual_add_f32 v66, v40, v47
	v_add_f32_e32 v99, v41, v42
	v_dual_add_f32 v67, v36, v38 :: v_dual_add_f32 v106, v37, v39
	v_dual_min_f32 v132, v28, v20 :: v_dual_max_f32 v9, v9, v9
	v_min_f32_e32 v134, v29, v21
	v_min_f32_e32 v135, v133, v20
	s_waitcnt lgkmcnt(4)
	v_dual_max_f32 v1, v1, v1 :: v_dual_max_f32 v2, v2, v2
	v_dual_add_f32 v67, v67, v132 :: v_dual_min_f32 v132, v9, v21
	s_delay_alu instid0(VALU_DEP_3)
	v_dual_add_f32 v66, v66, v134 :: v_dual_add_f32 v99, v99, v135
	s_waitcnt lgkmcnt(3)
	v_max_f32_e32 v12, v12, v12
	ds_load_b128 v[36:39], v117 offset:768
	ds_load_b128 v[40:43], v117 offset:896
	v_dual_add_f32 v84, v84, v132 :: v_dual_max_f32 v13, v13, v13
	v_dual_min_f32 v132, v2, v21 :: v_dual_min_f32 v135, v12, v20
	v_min_f32_e32 v134, v1, v20
	s_waitcnt lgkmcnt(4)
	v_dual_max_f32 v16, v16, v16 :: v_dual_max_f32 v17, v17, v17
	s_delay_alu instid0(VALU_DEP_3) | instskip(SKIP_1) | instid1(VALU_DEP_3)
	v_add_f32_e32 v101, v101, v132
	v_add_f32_e32 v107, v107, v135
	v_dual_add_f32 v105, v105, v134 :: v_dual_min_f32 v132, v16, v20
	s_waitcnt lgkmcnt(3)
	v_dual_max_f32 v24, v24, v24 :: v_dual_max_f32 v25, v25, v25
	v_dual_add_f32 v119, v45, v187 :: v_dual_add_f32 v120, v44, v178
	s_delay_alu instid0(VALU_DEP_3) | instskip(NEXT) | instid1(VALU_DEP_3)
	v_add_f32_e32 v109, v109, v132
	v_dual_min_f32 v132, v24, v20 :: v_dual_min_f32 v135, v25, v21
	s_waitcnt lgkmcnt(1)
	v_max_f32_e32 v37, v37, v37
	v_min_f32_e32 v134, v13, v21
	v_max_f32_e32 v36, v36, v36
	v_add_f32_e32 v111, v111, v132
	s_waitcnt lgkmcnt(0)
	v_dual_max_f32 v40, v40, v40 :: v_dual_max_f32 v33, v33, v33
	v_add_f32_e32 v106, v106, v134
	v_min_f32_e32 v134, v17, v21
	v_max_f32_e32 v41, v41, v41
	v_dual_add_f32 v92, v92, v149 :: v_dual_add_f32 v87, v87, v154
	v_add_f32_e32 v122, v5, v192
	s_delay_alu instid0(VALU_DEP_4)
	v_add_f32_e32 v108, v108, v134
	v_min_f32_e32 v134, v36, v20
	ds_load_b128 v[5:8], v57 offset:1024
	ds_load_b128 v[44:47], v57 offset:1536
	v_dual_add_f32 v103, v103, v140 :: v_dual_add_f32 v104, v104, v141
	v_dual_add_f32 v63, v63, v189 :: v_dual_add_f32 v62, v62, v180
	v_min_f32_e32 v132, v37, v21
	v_dual_max_f32 v32, v32, v32 :: v_dual_min_f32 v21, v41, v21
	v_min_f32_e32 v20, v40, v20
	v_dual_add_f32 v104, v104, v191 :: v_dual_add_f32 v103, v103, v182
	v_dual_add_f32 v110, v110, v135 :: v_dual_add_f32 v113, v113, v134
	v_min_f32_e32 v134, v29, v33
	s_delay_alu instid0(VALU_DEP_4) | instskip(SKIP_2) | instid1(VALU_DEP_4)
	v_dual_add_f32 v21, v114, v21 :: v_dual_add_f32 v20, v115, v20
	v_min_f32_e32 v115, v133, v32
	v_dual_add_f32 v61, v61, v188 :: v_dual_add_f32 v60, v60, v179
	v_add_f32_e32 v114, v116, v134
	v_dual_add_f32 v96, v96, v145 :: v_dual_add_f32 v95, v95, v146
	s_delay_alu instid0(VALU_DEP_4) | instskip(SKIP_3) | instid1(VALU_DEP_3)
	v_dual_add_f32 v134, v120, v115 :: v_dual_min_f32 v115, v1, v32
	s_waitcnt lgkmcnt(1)
	v_dual_min_f32 v120, v12, v32 :: v_dual_max_f32 v5, v5, v5
	v_dual_add_f32 v94, v94, v147 :: v_dual_add_f32 v91, v91, v150
	v_add_f32_e32 v136, v60, v115
	s_delay_alu instid0(VALU_DEP_3) | instskip(SKIP_4) | instid1(VALU_DEP_4)
	v_add_f32_e32 v138, v62, v120
	v_min_f32_e32 v62, v24, v32
	v_dual_add_f32 v98, v98, v201 :: v_dual_add_f32 v95, v95, v194
	v_max_f32_e32 v23, v23, v23
	v_dual_add_f32 v94, v94, v203 :: v_dual_add_f32 v91, v91, v196
	v_dual_add_f32 v103, v103, v62 :: v_dual_min_f32 v62, v133, v5
	v_min_f32_e32 v116, v9, v33
	v_dual_add_f32 v65, v65, v190 :: v_dual_add_f32 v64, v64, v181
	v_dual_add_f32 v96, v96, v202 :: v_dual_add_f32 v97, v97, v193
	s_delay_alu instid0(VALU_DEP_4) | instskip(NEXT) | instid1(VALU_DEP_4)
	v_add_f32_e32 v95, v95, v62
	v_dual_add_f32 v135, v119, v116 :: v_dual_min_f32 v116, v13, v33
	v_max_f32_e32 v6, v6, v6
	v_dual_add_f32 v90, v90, v151 :: v_dual_add_f32 v89, v89, v153
	v_dual_add_f32 v86, v86, v155 :: v_dual_add_f32 v85, v85, v156
	s_delay_alu instid0(VALU_DEP_4) | instskip(SKIP_4) | instid1(VALU_DEP_3)
	v_add_f32_e32 v139, v63, v116
	v_add_f32_e32 v112, v112, v132
	v_dual_min_f32 v132, v28, v32 :: v_dual_min_f32 v63, v25, v33
	v_dual_add_f32 v82, v82, v157 :: v_dual_add_f32 v81, v81, v159
	v_dual_add_f32 v92, v92, v204 :: v_dual_add_f32 v93, v93, v195
	v_add_f32_e32 v132, v118, v132
	s_delay_alu instid0(VALU_DEP_4) | instskip(SKIP_4) | instid1(VALU_DEP_3)
	v_add_f32_e32 v104, v104, v63
	v_min_f32_e32 v63, v12, v5
	v_min_f32_e32 v118, v2, v33
	v_dual_add_f32 v90, v90, v205 :: v_dual_add_f32 v89, v89, v206
	v_dual_add_f32 v85, v85, v199 :: v_dual_add_f32 v82, v82, v208
	v_add_f32_e32 v137, v61, v118
	v_dual_min_f32 v61, v17, v33 :: v_dual_min_f32 v62, v2, v6
	v_add_f32_e32 v91, v91, v63
	s_waitcnt lgkmcnt(0)
	v_dual_min_f32 v63, v25, v6 :: v_dual_max_f32 v44, v44, v44
	s_delay_alu instid0(VALU_DEP_3) | instskip(SKIP_4) | instid1(VALU_DEP_4)
	v_add_f32_e32 v141, v65, v61
	v_min_f32_e32 v61, v37, v33
	v_dual_min_f32 v33, v41, v33 :: v_dual_min_f32 v60, v16, v32
	v_add_f32_e32 v87, v87, v198
	v_add_f32_e32 v92, v92, v62
	;; [unrolled: 1-line block ×3, first 2 shown]
	v_min_f32_e32 v61, v29, v6
	v_add_f32_e32 v33, v98, v33
	v_dual_min_f32 v62, v24, v5 :: v_dual_max_f32 v31, v31, v31
	v_dual_add_f32 v80, v80, v160 :: v_dual_add_f32 v79, v79, v162
	s_delay_alu instid0(VALU_DEP_4) | instskip(SKIP_3) | instid1(VALU_DEP_3)
	v_add_f32_e32 v96, v96, v61
	v_dual_min_f32 v61, v1, v5 :: v_dual_add_f32 v140, v64, v60
	v_min_f32_e32 v60, v36, v32
	v_dual_min_f32 v32, v40, v32 :: v_dual_add_f32 v87, v87, v62
	v_add_f32_e32 v93, v93, v61
	s_delay_alu instid0(VALU_DEP_3) | instskip(SKIP_1) | instid1(VALU_DEP_4)
	v_dual_min_f32 v61, v16, v5 :: v_dual_add_f32 v102, v102, v60
	v_dual_min_f32 v60, v28, v5 :: v_dual_min_f32 v1, v1, v44
	v_add_f32_e32 v32, v122, v32
	s_delay_alu instid0(VALU_DEP_3) | instskip(NEXT) | instid1(VALU_DEP_3)
	v_dual_add_f32 v88, v88, v61 :: v_dual_max_f32 v11, v11, v11
	v_add_f32_e32 v97, v97, v60
	v_dual_min_f32 v60, v9, v6 :: v_dual_min_f32 v61, v36, v5
	v_min_f32_e32 v5, v40, v5
	v_max_f32_e32 v45, v45, v45
	v_dual_add_f32 v80, v80, v213 :: v_dual_add_f32 v79, v79, v214
	s_delay_alu instid0(VALU_DEP_4) | instskip(NEXT) | instid1(VALU_DEP_4)
	v_add_f32_e32 v94, v94, v60
	v_dual_min_f32 v60, v13, v6 :: v_dual_add_f32 v5, v82, v5
	s_delay_alu instid0(VALU_DEP_4) | instskip(SKIP_1) | instid1(VALU_DEP_3)
	v_min_f32_e32 v29, v29, v45
	v_dual_min_f32 v13, v13, v45 :: v_dual_min_f32 v28, v28, v44
	v_dual_add_f32 v1, v77, v1 :: v_dual_add_f32 v90, v90, v60
	v_min_f32_e32 v9, v9, v45
	s_delay_alu instid0(VALU_DEP_4) | instskip(SKIP_2) | instid1(VALU_DEP_3)
	v_dual_min_f32 v60, v17, v6 :: v_dual_add_f32 v29, v80, v29
	v_dual_min_f32 v12, v12, v44 :: v_dual_min_f32 v25, v25, v45
	v_min_f32_e32 v16, v16, v44
	v_add_f32_e32 v89, v89, v60
	v_dual_min_f32 v60, v37, v6 :: v_dual_add_f32 v13, v74, v13
	v_dual_min_f32 v24, v24, v44 :: v_dual_max_f32 v19, v19, v19
	v_dual_min_f32 v40, v40, v44 :: v_dual_max_f32 v27, v27, v27
	s_delay_alu instid0(VALU_DEP_3)
	v_dual_add_f32 v143, v123, v60 :: v_dual_max_f32 v22, v22, v22
	v_max_f32_e32 v30, v30, v30
	v_min_f32_e32 v60, v133, v44
	v_dual_max_f32 v10, v10, v10 :: v_dual_max_f32 v39, v39, v39
	v_max_f32_e32 v14, v14, v14
	v_min_f32_e32 v36, v36, v44
	v_min_f32_e32 v44, v31, v23
	v_dual_min_f32 v2, v2, v45 :: v_dual_max_f32 v3, v3, v3
	v_max_f32_e32 v18, v18, v18
	v_add_f32_e32 v40, v125, v40
	s_delay_alu instid0(VALU_DEP_4) | instskip(SKIP_3) | instid1(VALU_DEP_3)
	v_add_f32_e32 v125, v66, v44
	v_dual_min_f32 v44, v10, v22 :: v_dual_max_f32 v43, v43, v43
	v_dual_add_f32 v86, v86, v207 :: v_dual_add_f32 v83, v83, v212
	v_dual_min_f32 v6, v41, v6 :: v_dual_add_f32 v25, v70, v25
	v_add_f32_e32 v123, v99, v44
	v_dual_min_f32 v44, v3, v22 :: v_dual_add_f32 v81, v81, v209
	v_add_f32_e32 v78, v78, v210
	s_delay_alu instid0(VALU_DEP_4) | instskip(SKIP_4) | instid1(VALU_DEP_4)
	v_dual_add_f32 v6, v83, v6 :: v_dual_min_f32 v17, v17, v45
	v_dual_add_f32 v12, v75, v12 :: v_dual_min_f32 v41, v41, v45
	v_dual_min_f32 v37, v37, v45 :: v_dual_max_f32 v4, v4, v4
	v_add_f32_e32 v121, v105, v44
	v_dual_min_f32 v45, v30, v22 :: v_dual_add_f32 v28, v81, v28
	v_dual_add_f32 v41, v124, v41 :: v_dual_add_f32 v24, v71, v24
	v_dual_add_f32 v78, v78, v60 :: v_dual_add_f32 v17, v73, v17
	s_delay_alu instid0(VALU_DEP_3) | instskip(SKIP_3) | instid1(VALU_DEP_4)
	v_dual_add_f32 v124, v67, v45 :: v_dual_min_f32 v45, v4, v23
	v_dual_add_f32 v16, v72, v16 :: v_dual_max_f32 v15, v15, v15
	v_min_f32_e32 v60, v11, v23
	v_dual_max_f32 v34, v34, v34 :: v_dual_max_f32 v7, v7, v7
	v_dual_add_f32 v120, v101, v45 :: v_dual_min_f32 v45, v14, v22
	v_add_f32_e32 v36, v68, v36
	s_delay_alu instid0(VALU_DEP_4) | instskip(SKIP_4) | instid1(VALU_DEP_4)
	v_dual_add_f32 v122, v84, v60 :: v_dual_max_f32 v35, v35, v35
	v_min_f32_e32 v60, v15, v23
	v_min_f32_e32 v44, v19, v23
	v_add_f32_e32 v119, v107, v45
	v_min_f32_e32 v45, v18, v22
	v_dual_add_f32 v85, v85, v61 :: v_dual_add_f32 v118, v106, v60
	s_delay_alu instid0(VALU_DEP_4) | instskip(NEXT) | instid1(VALU_DEP_3)
	v_add_f32_e32 v60, v108, v44
	v_dual_min_f32 v44, v27, v23 :: v_dual_add_f32 v61, v109, v45
	v_min_f32_e32 v45, v39, v23
	v_min_f32_e32 v23, v43, v23
	v_dual_add_f32 v86, v86, v63 :: v_dual_add_f32 v9, v79, v9
	v_max_f32_e32 v8, v8, v8
	s_delay_alu instid0(VALU_DEP_3) | instskip(SKIP_4) | instid1(VALU_DEP_3)
	v_dual_add_f32 v64, v112, v45 :: v_dual_add_f32 v115, v21, v23
	v_dual_min_f32 v21, v11, v35 :: v_dual_max_f32 v26, v26, v26
	v_dual_min_f32 v23, v15, v35 :: v_dual_max_f32 v38, v38, v38
	v_min_f32_e32 v45, v30, v34
	v_dual_add_f32 v2, v76, v2 :: v_dual_add_f32 v37, v69, v37
	v_dual_min_f32 v62, v26, v22 :: v_dual_add_f32 v107, v139, v23
	v_add_co_u32 v52, s2, v52, 32
	s_delay_alu instid0(VALU_DEP_1) | instskip(NEXT) | instid1(VALU_DEP_3)
	v_add_co_ci_u32_e64 v53, s2, 0, v53, s2
	v_add_f32_e32 v62, v111, v62
	v_add_f32_e32 v111, v135, v21
	v_min_f32_e32 v21, v4, v35
	v_min_f32_e32 v23, v26, v34
	v_add_f32_e32 v63, v110, v44
	v_min_f32_e32 v44, v38, v22
	v_max_f32_e32 v42, v42, v42
	v_dual_add_f32 v110, v137, v21 :: v_dual_min_f32 v21, v19, v35
	v_add_f32_e32 v103, v103, v23
	s_delay_alu instid0(VALU_DEP_3) | instskip(SKIP_1) | instid1(VALU_DEP_4)
	v_dual_add_f32 v65, v113, v44 :: v_dual_min_f32 v22, v42, v22
	v_min_f32_e32 v23, v30, v7
	v_add_f32_e32 v105, v141, v21
	v_min_f32_e32 v21, v39, v35
	v_dual_min_f32 v44, v31, v35 :: v_dual_add_f32 v113, v132, v45
	s_delay_alu instid0(VALU_DEP_4) | instskip(SKIP_1) | instid1(VALU_DEP_4)
	v_add_f32_e32 v97, v97, v23
	v_min_f32_e32 v23, v15, v8
	v_add_f32_e32 v101, v142, v21
	v_dual_min_f32 v21, v43, v35 :: v_dual_add_f32 v116, v20, v22
	v_min_f32_e32 v20, v10, v34
	v_add_f32_e32 v114, v114, v44
	s_delay_alu instid0(VALU_DEP_3) | instskip(SKIP_1) | instid1(VALU_DEP_4)
	v_dual_min_f32 v22, v3, v34 :: v_dual_add_f32 v99, v33, v21
	v_min_f32_e32 v21, v11, v8
	v_add_f32_e32 v112, v134, v20
	v_min_f32_e32 v20, v14, v34
	v_add_f32_e32 v90, v90, v23
	v_min_f32_e32 v23, v26, v7
	v_dual_add_f32 v94, v94, v21 :: v_dual_min_f32 v21, v3, v7
	s_delay_alu instid0(VALU_DEP_4) | instskip(NEXT) | instid1(VALU_DEP_3)
	v_add_f32_e32 v108, v138, v20
	v_dual_min_f32 v20, v18, v34 :: v_dual_add_f32 v87, v87, v23
	v_add_f32_e32 v109, v136, v22
	s_delay_alu instid0(VALU_DEP_4) | instskip(SKIP_1) | instid1(VALU_DEP_4)
	v_add_f32_e32 v93, v93, v21
	v_min_f32_e32 v21, v19, v8
	v_add_f32_e32 v106, v140, v20
	v_min_f32_e32 v20, v38, v34
	v_min_f32_e32 v22, v27, v35
	s_add_i32 s25, s25, 8
	v_add_f32_e32 v89, v89, v21
	v_min_f32_e32 v21, v39, v8
	v_add_f32_e32 v102, v102, v20
	v_min_f32_e32 v20, v31, v8
	s_cmp_ge_i32 s25, s14
	ds_store_b32 v126, v130
	ds_store_2addr_stride64_b32 v127, v131, v0 offset1:4
	v_dual_add_f32 v84, v143, v21 :: v_dual_max_f32 v21, v46, v46
	v_add_f32_e32 v96, v96, v20
	v_min_f32_e32 v20, v10, v7
	s_waitcnt lgkmcnt(0)
	s_barrier
	v_min_f32_e32 v3, v3, v21
	buffer_gl0_inv
	v_dual_add_f32 v95, v95, v20 :: v_dual_min_f32 v20, v14, v7
	v_dual_add_f32 v104, v104, v22 :: v_dual_add_f32 v77, v1, v3
	v_min_f32_e32 v1, v14, v21
	s_delay_alu instid0(VALU_DEP_3) | instskip(NEXT) | instid1(VALU_DEP_2)
	v_add_f32_e32 v91, v91, v20
	v_dual_min_f32 v20, v27, v8 :: v_dual_add_f32 v75, v12, v1
	v_min_f32_e32 v1, v26, v21
	s_delay_alu instid0(VALU_DEP_2) | instskip(SKIP_1) | instid1(VALU_DEP_3)
	v_add_f32_e32 v86, v86, v20
	v_min_f32_e32 v20, v38, v7
	v_dual_min_f32 v22, v42, v34 :: v_dual_add_f32 v71, v24, v1
	s_delay_alu instid0(VALU_DEP_1) | instskip(SKIP_2) | instid1(VALU_DEP_2)
	v_dual_add_f32 v85, v85, v20 :: v_dual_add_f32 v98, v32, v22
	v_min_f32_e32 v22, v4, v8
	v_min_f32_e32 v8, v43, v8
	v_add_f32_e32 v92, v92, v22
	v_min_f32_e32 v22, v18, v7
	v_min_f32_e32 v7, v42, v7
	s_delay_alu instid0(VALU_DEP_2) | instskip(SKIP_1) | instid1(VALU_DEP_3)
	v_dual_add_f32 v83, v6, v8 :: v_dual_add_f32 v88, v88, v22
	v_max_f32_e32 v22, v47, v47
	v_dual_add_f32 v82, v5, v7 :: v_dual_min_f32 v5, v30, v21
	s_delay_alu instid0(VALU_DEP_2) | instskip(SKIP_2) | instid1(VALU_DEP_4)
	v_dual_min_f32 v7, v10, v21 :: v_dual_min_f32 v4, v4, v22
	v_min_f32_e32 v23, v31, v22
	v_min_f32_e32 v3, v19, v22
	v_dual_min_f32 v6, v11, v22 :: v_dual_add_f32 v81, v28, v5
	s_delay_alu instid0(VALU_DEP_4) | instskip(SKIP_4) | instid1(VALU_DEP_4)
	v_add_f32_e32 v76, v2, v4
	v_min_f32_e32 v2, v15, v22
	v_min_f32_e32 v4, v18, v21
	v_dual_add_f32 v80, v29, v23 :: v_dual_min_f32 v5, v42, v21
	v_add_f32_e32 v73, v17, v3
	v_add_f32_e32 v74, v13, v2
	v_min_f32_e32 v2, v27, v22
	v_dual_add_f32 v72, v16, v4 :: v_dual_min_f32 v3, v38, v21
	v_min_f32_e32 v4, v43, v22
	v_add_f32_e32 v79, v9, v6
	s_delay_alu instid0(VALU_DEP_4) | instskip(SKIP_3) | instid1(VALU_DEP_3)
	v_add_f32_e32 v70, v25, v2
	v_min_f32_e32 v2, v39, v22
	v_add_f32_e32 v78, v78, v7
	v_dual_add_f32 v68, v36, v3 :: v_dual_add_f32 v67, v41, v4
	v_dual_add_f32 v66, v40, v5 :: v_dual_add_f32 v69, v37, v2
	s_cbranch_scc1 .LBB36_34
.LBB36_22:                              ; =>This Inner Loop Header: Depth=1
	v_dual_mov_b32 v131, 0 :: v_dual_add_nc_u32 v130, s25, v56
	s_delay_alu instid0(VALU_DEP_1) | instskip(NEXT) | instid1(VALU_DEP_1)
	v_add_nc_u32_e32 v0, 8, v130
	v_cmp_gt_i32_e64 s2, s18, v0
	s_delay_alu instid0(VALU_DEP_1) | instskip(NEXT) | instid1(SALU_CYCLE_1)
	s_and_b32 s2, s2, vcc_lo
	s_and_b32 s2, s23, s2
	s_delay_alu instid0(SALU_CYCLE_1)
	s_and_saveexec_b32 s3, s2
	s_cbranch_execz .LBB36_24
; %bb.23:                               ;   in Loop: Header=BB36_22 Depth=1
	v_add_co_u32 v1, s2, -16, v52
	s_delay_alu instid0(VALU_DEP_1)
	v_add_co_ci_u32_e64 v2, s2, -1, v53, s2
	flat_load_b32 v1, v[1:2]
	s_waitcnt vmcnt(0) lgkmcnt(0)
	v_mul_f32_e32 v131, s22, v1
.LBB36_24:                              ;   in Loop: Header=BB36_22 Depth=1
	s_or_b32 exec_lo, exec_lo, s3
	v_min_i32_e32 v1, s8, v0
	v_cmp_le_i32_e64 s2, s18, v0
	v_dual_mov_b32 v132, 0 :: v_dual_mov_b32 v133, 0
	s_delay_alu instid0(VALU_DEP_3) | instskip(NEXT) | instid1(VALU_DEP_1)
	v_ashrrev_i32_e32 v2, 31, v1
	v_lshlrev_b64 v[1:2], 2, v[1:2]
	s_delay_alu instid0(VALU_DEP_1) | instskip(NEXT) | instid1(VALU_DEP_1)
	v_add_co_u32 v0, s3, s12, v1
	v_add_co_ci_u32_e64 v1, s3, s13, v2, s3
	s_or_b32 s3, s19, s2
	s_delay_alu instid0(SALU_CYCLE_1) | instskip(NEXT) | instid1(SALU_CYCLE_1)
	s_xor_b32 s3, s3, -1
	s_and_saveexec_b32 s20, s3
	s_cbranch_execz .LBB36_26
; %bb.25:                               ;   in Loop: Header=BB36_22 Depth=1
	v_add_co_u32 v2, s3, v0, v48
	s_delay_alu instid0(VALU_DEP_1)
	v_add_co_ci_u32_e64 v3, s3, v1, v49, s3
	flat_load_b32 v2, v[2:3]
	s_waitcnt vmcnt(0) lgkmcnt(0)
	v_mul_f32_e32 v133, s22, v2
.LBB36_26:                              ;   in Loop: Header=BB36_22 Depth=1
	s_or_b32 exec_lo, exec_lo, s20
	s_or_b32 s2, s24, s2
	s_delay_alu instid0(SALU_CYCLE_1) | instskip(NEXT) | instid1(SALU_CYCLE_1)
	s_xor_b32 s2, s2, -1
	s_and_saveexec_b32 s3, s2
	s_cbranch_execz .LBB36_28
; %bb.27:                               ;   in Loop: Header=BB36_22 Depth=1
	v_add_co_u32 v0, s2, v0, v50
	s_delay_alu instid0(VALU_DEP_1)
	v_add_co_ci_u32_e64 v1, s2, v1, v51, s2
	flat_load_b32 v0, v[0:1]
	s_waitcnt vmcnt(0) lgkmcnt(0)
	v_mul_f32_e32 v132, s22, v0
.LBB36_28:                              ;   in Loop: Header=BB36_22 Depth=1
	s_or_b32 exec_lo, exec_lo, s3
	ds_load_b128 v[40:43], v128
	ds_load_b128 v[36:39], v128 offset:128
	ds_load_b128 v[32:35], v128 offset:256
	;; [unrolled: 1-line block ×7, first 2 shown]
	ds_load_b128 v[44:47], v129
	ds_load_b128 v[8:11], v129 offset:512
	ds_load_b128 v[4:7], v129 offset:1024
	;; [unrolled: 1-line block ×3, first 2 shown]
	v_add_nc_u32_e32 v134, 12, v130
	ds_store_b32 v100, v131
	v_dual_mov_b32 v131, 0 :: v_dual_mov_b32 v130, 0
	ds_store_2addr_stride64_b32 v59, v133, v132 offset1:4
	v_cmp_gt_i32_e64 s2, s18, v134
	s_waitcnt lgkmcnt(0)
	s_barrier
	buffer_gl0_inv
	s_and_b32 s2, s2, vcc_lo
	s_delay_alu instid0(SALU_CYCLE_1) | instskip(NEXT) | instid1(SALU_CYCLE_1)
	s_and_b32 s3, s23, s2
	s_and_saveexec_b32 s2, s3
	s_cbranch_execz .LBB36_30
; %bb.29:                               ;   in Loop: Header=BB36_22 Depth=1
	flat_load_b32 v130, v[52:53]
	s_waitcnt vmcnt(0) lgkmcnt(0)
	v_mul_f32_e32 v130, s22, v130
.LBB36_30:                              ;   in Loop: Header=BB36_22 Depth=1
	s_or_b32 exec_lo, exec_lo, s2
	v_min_i32_e32 v132, s8, v134
	v_cmp_le_i32_e64 s2, s18, v134
	s_delay_alu instid0(VALU_DEP_2) | instskip(NEXT) | instid1(VALU_DEP_1)
	v_ashrrev_i32_e32 v133, 31, v132
	v_lshlrev_b64 v[132:133], 2, v[132:133]
	s_delay_alu instid0(VALU_DEP_1) | instskip(NEXT) | instid1(VALU_DEP_1)
	v_add_co_u32 v132, s3, s12, v132
	v_add_co_ci_u32_e64 v133, s3, s13, v133, s3
	s_or_b32 s3, s19, s2
	s_delay_alu instid0(SALU_CYCLE_1) | instskip(NEXT) | instid1(SALU_CYCLE_1)
	s_xor_b32 s3, s3, -1
	s_and_saveexec_b32 s20, s3
	s_cbranch_execz .LBB36_32
; %bb.31:                               ;   in Loop: Header=BB36_22 Depth=1
	v_add_co_u32 v134, s3, v132, v48
	s_delay_alu instid0(VALU_DEP_1)
	v_add_co_ci_u32_e64 v135, s3, v133, v49, s3
	flat_load_b32 v131, v[134:135]
	s_waitcnt vmcnt(0) lgkmcnt(0)
	v_mul_f32_e32 v131, s22, v131
.LBB36_32:                              ;   in Loop: Header=BB36_22 Depth=1
	s_or_b32 exec_lo, exec_lo, s20
	v_dual_max_f32 v44, v44, v44 :: v_dual_max_f32 v45, v45, v45
	v_dual_max_f32 v169, v20, v20 :: v_dual_max_f32 v170, v21, v21
	v_max_f32_e32 v171, v16, v16
	v_dual_max_f32 v159, v40, v40 :: v_dual_max_f32 v160, v41, v41
	v_dual_max_f32 v161, v36, v36 :: v_dual_max_f32 v162, v37, v37
	;; [unrolled: 1-line block ×5, first 2 shown]
	v_dual_min_f32 v24, v170, v45 :: v_dual_min_f32 v25, v171, v44
	v_dual_max_f32 v172, v17, v17 :: v_dual_max_f32 v173, v12, v12
	v_dual_max_f32 v174, v13, v13 :: v_dual_max_f32 v143, v8, v8
	;; [unrolled: 1-line block ×3, first 2 shown]
	v_max_f32_e32 v158, v5, v5
	v_dual_max_f32 v0, v0, v0 :: v_dual_max_f32 v175, v1, v1
	v_dual_max_f32 v176, v46, v46 :: v_dual_max_f32 v177, v47, v47
	;; [unrolled: 1-line block ×3, first 2 shown]
	v_dual_min_f32 v36, v159, v44 :: v_dual_min_f32 v37, v166, v45
	v_dual_min_f32 v40, v160, v45 :: v_dual_min_f32 v41, v161, v44
	v_dual_min_f32 v28, v162, v45 :: v_dual_min_f32 v29, v163, v44
	v_dual_min_f32 v32, v164, v45 :: v_dual_min_f32 v33, v165, v44
	v_dual_min_f32 v16, v167, v44 :: v_dual_min_f32 v5, v173, v143
	v_dual_min_f32 v20, v168, v45 :: v_dual_min_f32 v21, v169, v44
	v_dual_min_f32 v8, v172, v45 :: v_dual_min_f32 v9, v173, v44
	v_dual_min_f32 v12, v174, v45 :: v_dual_min_f32 v13, v159, v143
	v_dual_min_f32 v17, v160, v144 :: v_dual_min_f32 v44, v161, v143
	v_dual_min_f32 v45, v162, v144 :: v_dual_min_f32 v134, v163, v143
	v_dual_min_f32 v135, v164, v144 :: v_dual_min_f32 v136, v165, v143
	v_dual_min_f32 v137, v166, v144 :: v_dual_min_f32 v138, v167, v143
	v_dual_min_f32 v139, v168, v144 :: v_dual_min_f32 v140, v169, v143
	v_dual_min_f32 v141, v170, v144 :: v_dual_min_f32 v142, v171, v143
	v_dual_min_f32 v4, v172, v144 :: v_dual_min_f32 v147, v162, v158
	v_dual_min_f32 v143, v174, v144 :: v_dual_min_f32 v144, v159, v157
	v_dual_min_f32 v145, v160, v158 :: v_dual_min_f32 v146, v161, v157
	v_dual_min_f32 v148, v163, v157 :: v_dual_min_f32 v149, v164, v158
	v_dual_min_f32 v150, v165, v157 :: v_dual_min_f32 v151, v166, v158
	v_dual_min_f32 v152, v167, v157 :: v_dual_min_f32 v153, v168, v158
	v_dual_min_f32 v154, v169, v157 :: v_dual_min_f32 v155, v170, v158
	v_dual_min_f32 v156, v171, v157 :: v_dual_min_f32 v1, v172, v158
	v_dual_min_f32 v157, v173, v157 :: v_dual_min_f32 v158, v174, v158
	v_dual_min_f32 v159, v159, v0 :: v_dual_min_f32 v160, v160, v175
	v_dual_min_f32 v161, v161, v0 :: v_dual_min_f32 v162, v162, v175
	v_dual_min_f32 v163, v163, v0 :: v_dual_min_f32 v164, v164, v175
	v_dual_min_f32 v165, v165, v0 :: v_dual_min_f32 v166, v166, v175
	v_dual_min_f32 v167, v167, v0 :: v_dual_min_f32 v168, v168, v175
	v_dual_min_f32 v169, v169, v0 :: v_dual_min_f32 v170, v170, v175
	v_dual_min_f32 v171, v171, v0 :: v_dual_min_f32 v172, v172, v175
	v_dual_max_f32 v209, v42, v42 :: v_dual_max_f32 v210, v43, v43
	v_dual_max_f32 v214, v38, v38 :: v_dual_min_f32 v43, v173, v0
	v_dual_max_f32 v0, v39, v39 :: v_dual_max_f32 v173, v34, v34
	v_dual_min_f32 v31, v216, v176 :: v_dual_max_f32 v218, v26, v26
	v_dual_min_f32 v39, v217, v177 :: v_dual_max_f32 v220, v22, v22
	s_delay_alu instid0(VALU_DEP_4) | instskip(NEXT) | instid1(VALU_DEP_4)
	v_dual_min_f32 v42, v214, v176 :: v_dual_max_f32 v215, v35, v35
	v_dual_min_f32 v34, v0, v177 :: v_dual_max_f32 v219, v27, v27
	;; [unrolled: 1-line block ×3, first 2 shown]
	v_max_f32_e32 v222, v18, v18
	v_dual_min_f32 v18, v218, v176 :: v_dual_max_f32 v19, v19, v19
	v_dual_min_f32 v22, v220, v176 :: v_dual_max_f32 v223, v14, v14
	v_dual_max_f32 v10, v10, v10 :: v_dual_max_f32 v11, v11, v11
	v_max_f32_e32 v224, v15, v15
	v_dual_min_f32 v46, v174, v175 :: v_dual_min_f32 v35, v215, v177
	v_dual_min_f32 v38, v209, v176 :: v_dual_min_f32 v47, v210, v177
	v_min_f32_e32 v175, v221, v177
	v_dual_min_f32 v174, v219, v177 :: v_dual_min_f32 v23, v222, v176
	v_dual_min_f32 v184, v19, v177 :: v_dual_min_f32 v187, v0, v11
	;; [unrolled: 1-line block ×3, first 2 shown]
	v_min_f32_e32 v177, v209, v10
	v_dual_min_f32 v182, v220, v10 :: v_dual_max_f32 v7, v7, v7
	v_dual_max_f32 v6, v6, v6 :: v_dual_min_f32 v201, v224, v11
	v_dual_max_f32 v225, v2, v2 :: v_dual_max_f32 v226, v3, v3
	v_dual_min_f32 v186, v210, v11 :: v_dual_min_f32 v179, v173, v10
	v_dual_min_f32 v178, v214, v10 :: v_dual_min_f32 v189, v217, v11
	;; [unrolled: 1-line block ×22, first 2 shown]
	v_mov_b32_e32 v0, 0
	s_or_b32 s2, s24, s2
	s_delay_alu instid0(SALU_CYCLE_1) | instskip(NEXT) | instid1(SALU_CYCLE_1)
	s_xor_b32 s2, s2, -1
	s_and_saveexec_b32 s3, s2
	s_cbranch_execz .LBB36_21
; %bb.33:                               ;   in Loop: Header=BB36_22 Depth=1
	v_add_co_u32 v132, s2, v132, v50
	s_delay_alu instid0(VALU_DEP_1)
	v_add_co_ci_u32_e64 v133, s2, v133, v51, s2
	flat_load_b32 v0, v[132:133]
	s_waitcnt vmcnt(0) lgkmcnt(0)
	v_mul_f32_e32 v0, s22, v0
	s_branch .LBB36_21
.LBB36_34:
	s_clause 0x2
	s_load_b32 s13, s[0:1], 0x58
	s_load_b32 s12, s[0:1], 0x70
	s_load_b64 s[0:1], s[0:1], 0x78
	v_add_nc_u32_e32 v117, s7, v55
	ds_load_b128 v[32:35], v58 offset:5120
	ds_load_b128 v[28:31], v58 offset:5248
	;; [unrolled: 1-line block ×12, first 2 shown]
	v_add_nc_u32_e32 v48, s6, v54
	v_cmp_gt_i32_e64 s8, s17, v117
	v_cndmask_b32_e64 v100, 0, 1, s9
	s_waitcnt lgkmcnt(0)
	v_mad_i64_i32 v[49:50], null, v117, s13, 0
	v_mad_i64_i32 v[51:52], null, v117, s12, 0
	s_lshl_b64 s[0:1], s[0:1], 2
	s_delay_alu instid0(SALU_CYCLE_1) | instskip(SKIP_1) | instid1(VALU_DEP_2)
	s_add_u32 s14, s4, s0
	s_addc_u32 s18, s5, s1
	v_lshlrev_b64 v[49:50], 2, v[49:50]
	v_cmp_gt_i32_e64 s0, s16, v48
	s_delay_alu instid0(VALU_DEP_3) | instskip(NEXT) | instid1(VALU_DEP_2)
	v_lshlrev_b64 v[51:52], 2, v[51:52]
	s_and_b32 s2, s0, s8
	s_delay_alu instid0(VALU_DEP_3) | instskip(NEXT) | instid1(VALU_DEP_4)
	v_add_co_u32 v128, vcc_lo, s10, v49
	v_add_co_ci_u32_e32 v129, vcc_lo, s11, v50, vcc_lo
	s_delay_alu instid0(VALU_DEP_3) | instskip(NEXT) | instid1(VALU_DEP_4)
	v_add_co_u32 v126, vcc_lo, s14, v51
	v_add_co_ci_u32_e32 v127, vcc_lo, s18, v52, vcc_lo
	v_ashrrev_i32_e32 v49, 31, v48
	s_and_saveexec_b32 s1, s2
	s_cbranch_execz .LBB36_39
; %bb.35:
	s_delay_alu instid0(VALU_DEP_1)
	v_lshlrev_b64 v[50:51], 2, v[48:49]
	s_and_not1_b32 vcc_lo, exec_lo, s9
	s_cbranch_vccnz .LBB36_37
; %bb.36:
	s_delay_alu instid0(VALU_DEP_1) | instskip(NEXT) | instid1(VALU_DEP_2)
	v_add_co_u32 v52, vcc_lo, v128, v50
	v_add_co_ci_u32_e32 v53, vcc_lo, v129, v51, vcc_lo
	flat_load_b32 v52, v[52:53]
	s_waitcnt vmcnt(0) lgkmcnt(0)
	v_mul_f32_e32 v52, s15, v52
	s_branch .LBB36_38
.LBB36_37:
	v_mov_b32_e32 v52, 0
.LBB36_38:
	v_dual_max_f32 v53, v45, v45 :: v_dual_max_f32 v56, v32, v32
	v_dual_max_f32 v54, v33, v33 :: v_dual_max_f32 v55, v44, v44
	;; [unrolled: 1-line block ×3, first 2 shown]
	v_max_f32_e32 v59, v35, v35
	s_delay_alu instid0(VALU_DEP_3) | instskip(NEXT) | instid1(VALU_DEP_4)
	v_min_f32_e32 v53, v54, v53
	v_dual_max_f32 v54, v34, v34 :: v_dual_min_f32 v55, v56, v55
	v_add_co_u32 v50, vcc_lo, v126, v50
	v_add_co_ci_u32_e32 v51, vcc_lo, v127, v51, vcc_lo
	s_delay_alu instid0(VALU_DEP_3) | instskip(NEXT) | instid1(VALU_DEP_4)
	v_min_f32_e32 v54, v54, v57
	v_dual_min_f32 v56, v59, v58 :: v_dual_add_f32 v55, v124, v55
	s_delay_alu instid0(VALU_DEP_1) | instskip(NEXT) | instid1(VALU_DEP_1)
	v_dual_add_f32 v53, v125, v53 :: v_dual_add_f32 v54, v55, v54
	v_add_f32_e32 v53, v53, v56
	s_delay_alu instid0(VALU_DEP_1) | instskip(NEXT) | instid1(VALU_DEP_1)
	v_add_f32_e32 v53, v54, v53
	v_add_f32_e32 v52, v53, v52
	global_store_b32 v[50:51], v52, off
.LBB36_39:
	s_or_b32 exec_lo, exec_lo, s1
	v_add_nc_u32_e32 v50, 8, v48
	s_delay_alu instid0(VALU_DEP_1) | instskip(SKIP_1) | instid1(VALU_DEP_2)
	v_cmp_gt_i32_e64 s1, s16, v50
	v_ashrrev_i32_e32 v51, 31, v50
	s_and_b32 s3, s1, s8
	s_delay_alu instid0(SALU_CYCLE_1)
	s_and_saveexec_b32 s2, s3
	s_cbranch_execz .LBB36_44
; %bb.40:
	v_cmp_ne_u32_e32 vcc_lo, 1, v100
	v_lshlrev_b64 v[52:53], 2, v[50:51]
	s_cbranch_vccnz .LBB36_42
; %bb.41:
	s_delay_alu instid0(VALU_DEP_1) | instskip(NEXT) | instid1(VALU_DEP_2)
	v_add_co_u32 v54, vcc_lo, v128, v52
	v_add_co_ci_u32_e32 v55, vcc_lo, v129, v53, vcc_lo
	flat_load_b32 v54, v[54:55]
	s_waitcnt vmcnt(0) lgkmcnt(0)
	v_mul_f32_e32 v54, s15, v54
	s_branch .LBB36_43
.LBB36_42:
	v_mov_b32_e32 v54, 0
.LBB36_43:
	v_dual_max_f32 v55, v45, v45 :: v_dual_max_f32 v58, v28, v28
	v_dual_max_f32 v56, v29, v29 :: v_dual_max_f32 v57, v44, v44
	;; [unrolled: 1-line block ×3, first 2 shown]
	v_add_co_u32 v52, vcc_lo, v126, v52
	s_delay_alu instid0(VALU_DEP_3) | instskip(NEXT) | instid1(VALU_DEP_4)
	v_dual_min_f32 v55, v56, v55 :: v_dual_max_f32 v56, v30, v30
	v_min_f32_e32 v57, v58, v57
	v_add_co_ci_u32_e32 v53, vcc_lo, v127, v53, vcc_lo
	s_delay_alu instid0(VALU_DEP_2) | instskip(NEXT) | instid1(VALU_DEP_1)
	v_dual_min_f32 v56, v56, v59 :: v_dual_add_f32 v57, v123, v57
	v_dual_max_f32 v125, v31, v31 :: v_dual_add_f32 v56, v57, v56
	s_delay_alu instid0(VALU_DEP_1) | instskip(NEXT) | instid1(VALU_DEP_1)
	v_dual_add_f32 v55, v122, v55 :: v_dual_min_f32 v58, v125, v124
	v_add_f32_e32 v55, v55, v58
	s_delay_alu instid0(VALU_DEP_1) | instskip(NEXT) | instid1(VALU_DEP_1)
	v_add_f32_e32 v55, v56, v55
	v_add_f32_e32 v54, v55, v54
	global_store_b32 v[52:53], v54, off
.LBB36_44:
	s_or_b32 exec_lo, exec_lo, s2
	v_add_nc_u32_e32 v52, 16, v48
	s_delay_alu instid0(VALU_DEP_1) | instskip(SKIP_1) | instid1(VALU_DEP_2)
	v_cmp_gt_i32_e64 s2, s16, v52
	v_ashrrev_i32_e32 v53, 31, v52
	s_and_b32 s4, s2, s8
	s_delay_alu instid0(SALU_CYCLE_1)
	s_and_saveexec_b32 s3, s4
	s_cbranch_execz .LBB36_49
; %bb.45:
	v_cmp_ne_u32_e32 vcc_lo, 1, v100
	v_lshlrev_b64 v[54:55], 2, v[52:53]
	s_cbranch_vccnz .LBB36_47
; %bb.46:
	s_delay_alu instid0(VALU_DEP_1) | instskip(NEXT) | instid1(VALU_DEP_2)
	v_add_co_u32 v56, vcc_lo, v128, v54
	v_add_co_ci_u32_e32 v57, vcc_lo, v129, v55, vcc_lo
	flat_load_b32 v56, v[56:57]
	s_waitcnt vmcnt(0) lgkmcnt(0)
	v_mul_f32_e32 v56, s15, v56
	s_branch .LBB36_48
.LBB36_47:
	v_mov_b32_e32 v56, 0
.LBB36_48:
	v_dual_max_f32 v57, v45, v45 :: v_dual_max_f32 v122, v24, v24
	v_dual_max_f32 v58, v25, v25 :: v_dual_max_f32 v59, v44, v44
	;; [unrolled: 1-line block ×3, first 2 shown]
	v_max_f32_e32 v125, v27, v27
	s_delay_alu instid0(VALU_DEP_3) | instskip(SKIP_3) | instid1(VALU_DEP_4)
	v_min_f32_e32 v57, v58, v57
	v_max_f32_e32 v58, v26, v26
	v_min_f32_e32 v59, v122, v59
	v_add_co_u32 v54, vcc_lo, v126, v54
	v_dual_add_f32 v57, v120, v57 :: v_dual_min_f32 v120, v125, v124
	s_delay_alu instid0(VALU_DEP_4) | instskip(NEXT) | instid1(VALU_DEP_4)
	v_min_f32_e32 v58, v58, v123
	v_add_f32_e32 v59, v121, v59
	v_add_co_ci_u32_e32 v55, vcc_lo, v127, v55, vcc_lo
	s_delay_alu instid0(VALU_DEP_2) | instskip(NEXT) | instid1(VALU_DEP_1)
	v_dual_add_f32 v57, v57, v120 :: v_dual_add_f32 v58, v59, v58
	v_add_f32_e32 v57, v58, v57
	s_delay_alu instid0(VALU_DEP_1)
	v_add_f32_e32 v56, v57, v56
	global_store_b32 v[54:55], v56, off
.LBB36_49:
	s_or_b32 exec_lo, exec_lo, s3
	v_add_nc_u32_e32 v54, 24, v48
	s_delay_alu instid0(VALU_DEP_1) | instskip(SKIP_1) | instid1(VALU_DEP_2)
	v_cmp_gt_i32_e64 s3, s16, v54
	v_ashrrev_i32_e32 v55, 31, v54
	s_and_b32 s5, s3, s8
	s_delay_alu instid0(SALU_CYCLE_1)
	s_and_saveexec_b32 s4, s5
	s_cbranch_execz .LBB36_54
; %bb.50:
	v_cmp_ne_u32_e32 vcc_lo, 1, v100
	v_lshlrev_b64 v[56:57], 2, v[54:55]
	s_cbranch_vccnz .LBB36_52
; %bb.51:
	s_delay_alu instid0(VALU_DEP_1) | instskip(NEXT) | instid1(VALU_DEP_2)
	v_add_co_u32 v58, vcc_lo, v128, v56
	v_add_co_ci_u32_e32 v59, vcc_lo, v129, v57, vcc_lo
	flat_load_b32 v58, v[58:59]
	s_waitcnt vmcnt(0) lgkmcnt(0)
	v_mul_f32_e32 v58, s15, v58
	s_branch .LBB36_53
.LBB36_52:
	v_mov_b32_e32 v58, 0
.LBB36_53:
	v_dual_max_f32 v59, v45, v45 :: v_dual_max_f32 v122, v20, v20
	v_dual_max_f32 v120, v21, v21 :: v_dual_max_f32 v121, v44, v44
	;; [unrolled: 1-line block ×3, first 2 shown]
	v_max_f32_e32 v125, v23, v23
	s_delay_alu instid0(VALU_DEP_3) | instskip(NEXT) | instid1(VALU_DEP_4)
	v_dual_min_f32 v59, v120, v59 :: v_dual_max_f32 v120, v22, v22
	v_min_f32_e32 v121, v122, v121
	v_add_co_u32 v56, vcc_lo, v126, v56
	s_delay_alu instid0(VALU_DEP_3) | instskip(NEXT) | instid1(VALU_DEP_4)
	v_add_f32_e32 v59, v118, v59
	v_min_f32_e32 v118, v120, v123
	s_delay_alu instid0(VALU_DEP_4) | instskip(SKIP_1) | instid1(VALU_DEP_2)
	v_dual_min_f32 v120, v125, v124 :: v_dual_add_f32 v119, v119, v121
	v_add_co_ci_u32_e32 v57, vcc_lo, v127, v57, vcc_lo
	v_add_f32_e32 v59, v59, v120
	s_delay_alu instid0(VALU_DEP_3) | instskip(NEXT) | instid1(VALU_DEP_1)
	v_add_f32_e32 v118, v119, v118
	v_add_f32_e32 v59, v118, v59
	s_delay_alu instid0(VALU_DEP_1)
	v_add_f32_e32 v58, v59, v58
	global_store_b32 v[56:57], v58, off
.LBB36_54:
	s_or_b32 exec_lo, exec_lo, s4
	v_add_nc_u32_e32 v56, 32, v48
	s_delay_alu instid0(VALU_DEP_1) | instskip(SKIP_1) | instid1(VALU_DEP_2)
	v_cmp_gt_i32_e64 s4, s16, v56
	v_ashrrev_i32_e32 v57, 31, v56
	s_and_b32 s6, s4, s8
	s_delay_alu instid0(SALU_CYCLE_1)
	s_and_saveexec_b32 s5, s6
	s_cbranch_execz .LBB36_59
; %bb.55:
	v_cmp_ne_u32_e32 vcc_lo, 1, v100
	v_lshlrev_b64 v[58:59], 2, v[56:57]
	s_cbranch_vccnz .LBB36_57
; %bb.56:
	s_delay_alu instid0(VALU_DEP_1) | instskip(NEXT) | instid1(VALU_DEP_2)
	v_add_co_u32 v118, vcc_lo, v128, v58
	v_add_co_ci_u32_e32 v119, vcc_lo, v129, v59, vcc_lo
	flat_load_b32 v118, v[118:119]
	s_waitcnt vmcnt(0) lgkmcnt(0)
	v_mul_f32_e32 v118, s15, v118
	s_branch .LBB36_58
.LBB36_57:
	v_mov_b32_e32 v118, 0
.LBB36_58:
	v_dual_max_f32 v119, v45, v45 :: v_dual_max_f32 v122, v16, v16
	v_dual_max_f32 v120, v17, v17 :: v_dual_max_f32 v121, v44, v44
	;; [unrolled: 1-line block ×3, first 2 shown]
	v_add_co_u32 v58, vcc_lo, v126, v58
	s_delay_alu instid0(VALU_DEP_3) | instskip(NEXT) | instid1(VALU_DEP_4)
	v_dual_min_f32 v119, v120, v119 :: v_dual_max_f32 v120, v18, v18
	v_min_f32_e32 v121, v122, v121
	v_add_co_ci_u32_e32 v59, vcc_lo, v127, v59, vcc_lo
	s_delay_alu instid0(VALU_DEP_3) | instskip(SKIP_3) | instid1(VALU_DEP_3)
	v_add_f32_e32 v60, v60, v119
	v_max_f32_e32 v125, v19, v19
	v_min_f32_e32 v119, v120, v123
	v_add_f32_e32 v61, v61, v121
	v_min_f32_e32 v120, v125, v124
	s_delay_alu instid0(VALU_DEP_1) | instskip(NEXT) | instid1(VALU_DEP_1)
	v_dual_add_f32 v61, v61, v119 :: v_dual_add_f32 v60, v60, v120
	v_add_f32_e32 v60, v61, v60
	s_delay_alu instid0(VALU_DEP_1)
	v_add_f32_e32 v60, v60, v118
	global_store_b32 v[58:59], v60, off
.LBB36_59:
	s_or_b32 exec_lo, exec_lo, s5
	v_add_nc_u32_e32 v58, 40, v48
	s_delay_alu instid0(VALU_DEP_1) | instskip(SKIP_1) | instid1(VALU_DEP_2)
	v_cmp_gt_i32_e64 s5, s16, v58
	v_ashrrev_i32_e32 v59, 31, v58
	s_and_b32 s7, s5, s8
	s_delay_alu instid0(SALU_CYCLE_1)
	s_and_saveexec_b32 s6, s7
	s_cbranch_execz .LBB36_64
; %bb.60:
	v_cmp_ne_u32_e32 vcc_lo, 1, v100
	v_lshlrev_b64 v[60:61], 2, v[58:59]
	s_cbranch_vccnz .LBB36_62
; %bb.61:
	s_delay_alu instid0(VALU_DEP_1) | instskip(NEXT) | instid1(VALU_DEP_2)
	v_add_co_u32 v118, vcc_lo, v128, v60
	v_add_co_ci_u32_e32 v119, vcc_lo, v129, v61, vcc_lo
	flat_load_b32 v118, v[118:119]
	s_waitcnt vmcnt(0) lgkmcnt(0)
	v_mul_f32_e32 v118, s15, v118
	s_branch .LBB36_63
.LBB36_62:
	v_mov_b32_e32 v118, 0
.LBB36_63:
	v_dual_max_f32 v119, v45, v45 :: v_dual_max_f32 v122, v12, v12
	v_dual_max_f32 v120, v13, v13 :: v_dual_max_f32 v121, v44, v44
	;; [unrolled: 1-line block ×3, first 2 shown]
	v_add_co_u32 v60, vcc_lo, v126, v60
	s_delay_alu instid0(VALU_DEP_3) | instskip(NEXT) | instid1(VALU_DEP_4)
	v_dual_min_f32 v119, v120, v119 :: v_dual_max_f32 v120, v14, v14
	v_min_f32_e32 v121, v122, v121
	v_max_f32_e32 v125, v15, v15
	v_add_co_ci_u32_e32 v61, vcc_lo, v127, v61, vcc_lo
	s_delay_alu instid0(VALU_DEP_4) | instskip(NEXT) | instid1(VALU_DEP_4)
	v_add_f32_e32 v63, v63, v119
	v_dual_min_f32 v119, v120, v123 :: v_dual_add_f32 v62, v62, v121
	s_delay_alu instid0(VALU_DEP_4) | instskip(NEXT) | instid1(VALU_DEP_1)
	v_min_f32_e32 v120, v125, v124
	v_dual_add_f32 v62, v62, v119 :: v_dual_add_f32 v63, v63, v120
	s_delay_alu instid0(VALU_DEP_1) | instskip(NEXT) | instid1(VALU_DEP_1)
	v_add_f32_e32 v62, v62, v63
	v_add_f32_e32 v62, v62, v118
	global_store_b32 v[60:61], v62, off
.LBB36_64:
	s_or_b32 exec_lo, exec_lo, s6
	v_add_nc_u32_e32 v60, 48, v48
	s_delay_alu instid0(VALU_DEP_1) | instskip(SKIP_1) | instid1(VALU_DEP_2)
	v_cmp_gt_i32_e64 s6, s16, v60
	v_ashrrev_i32_e32 v61, 31, v60
	s_and_b32 s9, s6, s8
	s_delay_alu instid0(SALU_CYCLE_1)
	s_and_saveexec_b32 s7, s9
	s_cbranch_execz .LBB36_69
; %bb.65:
	v_cmp_ne_u32_e32 vcc_lo, 1, v100
	v_lshlrev_b64 v[62:63], 2, v[60:61]
	s_cbranch_vccnz .LBB36_67
; %bb.66:
	s_delay_alu instid0(VALU_DEP_1) | instskip(NEXT) | instid1(VALU_DEP_2)
	v_add_co_u32 v118, vcc_lo, v128, v62
	v_add_co_ci_u32_e32 v119, vcc_lo, v129, v63, vcc_lo
	flat_load_b32 v118, v[118:119]
	s_waitcnt vmcnt(0) lgkmcnt(0)
	v_mul_f32_e32 v118, s15, v118
	s_branch .LBB36_68
.LBB36_67:
	v_mov_b32_e32 v118, 0
.LBB36_68:
	v_dual_max_f32 v119, v45, v45 :: v_dual_max_f32 v122, v8, v8
	v_dual_max_f32 v120, v9, v9 :: v_dual_max_f32 v121, v44, v44
	;; [unrolled: 1-line block ×3, first 2 shown]
	v_add_co_u32 v62, vcc_lo, v126, v62
	s_delay_alu instid0(VALU_DEP_3) | instskip(NEXT) | instid1(VALU_DEP_4)
	v_dual_min_f32 v119, v120, v119 :: v_dual_max_f32 v120, v10, v10
	v_min_f32_e32 v121, v122, v121
	v_add_co_ci_u32_e32 v63, vcc_lo, v127, v63, vcc_lo
	s_delay_alu instid0(VALU_DEP_3) | instskip(SKIP_3) | instid1(VALU_DEP_3)
	v_add_f32_e32 v64, v64, v119
	v_max_f32_e32 v125, v11, v11
	v_min_f32_e32 v119, v120, v123
	v_add_f32_e32 v65, v65, v121
	v_min_f32_e32 v120, v125, v124
	s_delay_alu instid0(VALU_DEP_1) | instskip(NEXT) | instid1(VALU_DEP_1)
	v_dual_add_f32 v65, v65, v119 :: v_dual_add_f32 v64, v64, v120
	v_add_f32_e32 v64, v65, v64
	s_delay_alu instid0(VALU_DEP_1)
	v_add_f32_e32 v64, v64, v118
	global_store_b32 v[62:63], v64, off
.LBB36_69:
	s_or_b32 exec_lo, exec_lo, s7
	v_add_nc_u32_e32 v62, 56, v48
	s_delay_alu instid0(VALU_DEP_1) | instskip(SKIP_1) | instid1(VALU_DEP_2)
	v_cmp_gt_i32_e64 s7, s16, v62
	v_ashrrev_i32_e32 v63, 31, v62
	s_and_b32 s9, s7, s8
	s_delay_alu instid0(SALU_CYCLE_1)
	s_and_saveexec_b32 s8, s9
	s_cbranch_execz .LBB36_74
; %bb.70:
	v_cmp_ne_u32_e32 vcc_lo, 1, v100
	v_lshlrev_b64 v[64:65], 2, v[62:63]
	s_cbranch_vccnz .LBB36_72
; %bb.71:
	s_delay_alu instid0(VALU_DEP_1) | instskip(NEXT) | instid1(VALU_DEP_2)
	v_add_co_u32 v118, vcc_lo, v128, v64
	v_add_co_ci_u32_e32 v119, vcc_lo, v129, v65, vcc_lo
	flat_load_b32 v118, v[118:119]
	s_waitcnt vmcnt(0) lgkmcnt(0)
	v_mul_f32_e32 v118, s15, v118
	s_branch .LBB36_73
.LBB36_72:
	v_mov_b32_e32 v118, 0
.LBB36_73:
	v_dual_max_f32 v45, v45, v45 :: v_dual_max_f32 v44, v44, v44
	v_dual_max_f32 v119, v1, v1 :: v_dual_max_f32 v120, v0, v0
	s_delay_alu instid0(VALU_DEP_1) | instskip(NEXT) | instid1(VALU_DEP_2)
	v_dual_max_f32 v46, v46, v46 :: v_dual_min_f32 v45, v119, v45
	v_dual_max_f32 v119, v2, v2 :: v_dual_min_f32 v44, v120, v44
	v_max_f32_e32 v47, v47, v47
	s_delay_alu instid0(VALU_DEP_2) | instskip(NEXT) | instid1(VALU_DEP_3)
	v_dual_add_f32 v45, v115, v45 :: v_dual_add_f32 v44, v116, v44
	v_min_f32_e32 v46, v119, v46
	s_delay_alu instid0(VALU_DEP_1) | instskip(NEXT) | instid1(VALU_DEP_1)
	v_dual_max_f32 v121, v3, v3 :: v_dual_add_f32 v44, v44, v46
	v_min_f32_e32 v47, v121, v47
	s_delay_alu instid0(VALU_DEP_1) | instskip(NEXT) | instid1(VALU_DEP_1)
	v_add_f32_e32 v45, v45, v47
	v_add_f32_e32 v44, v44, v45
	s_delay_alu instid0(VALU_DEP_1)
	v_add_f32_e32 v46, v44, v118
	v_add_co_u32 v44, vcc_lo, v126, v64
	v_add_co_ci_u32_e32 v45, vcc_lo, v127, v65, vcc_lo
	global_store_b32 v[44:45], v46, off
.LBB36_74:
	s_or_b32 exec_lo, exec_lo, s8
	v_add_nc_u32_e32 v64, 32, v117
	s_delay_alu instid0(VALU_DEP_1) | instskip(SKIP_2) | instid1(VALU_DEP_3)
	v_mad_i64_i32 v[44:45], null, v64, s13, 0
	v_mad_i64_i32 v[46:47], null, v64, s12, 0
	v_cmp_gt_i32_e64 s8, s17, v64
	v_lshlrev_b64 v[44:45], 2, v[44:45]
	s_delay_alu instid0(VALU_DEP_2) | instskip(NEXT) | instid1(VALU_DEP_3)
	s_and_b32 s16, s0, s8
	v_lshlrev_b64 v[46:47], 2, v[46:47]
	s_delay_alu instid0(VALU_DEP_2) | instskip(NEXT) | instid1(VALU_DEP_3)
	v_add_co_u32 v64, vcc_lo, s10, v44
	v_add_co_ci_u32_e32 v65, vcc_lo, s11, v45, vcc_lo
	s_delay_alu instid0(VALU_DEP_3) | instskip(NEXT) | instid1(VALU_DEP_4)
	v_add_co_u32 v46, vcc_lo, s14, v46
	v_add_co_ci_u32_e32 v47, vcc_lo, s18, v47, vcc_lo
	s_and_saveexec_b32 s9, s16
	s_cbranch_execnz .LBB36_82
; %bb.75:
	s_or_b32 exec_lo, exec_lo, s9
	s_and_b32 s16, s1, s8
	s_delay_alu instid0(SALU_CYCLE_1)
	s_and_saveexec_b32 s9, s16
	s_cbranch_execnz .LBB36_86
.LBB36_76:
	s_or_b32 exec_lo, exec_lo, s9
	s_and_b32 s16, s2, s8
	s_delay_alu instid0(SALU_CYCLE_1)
	s_and_saveexec_b32 s9, s16
	s_cbranch_execnz .LBB36_90
.LBB36_77:
	s_or_b32 exec_lo, exec_lo, s9
	s_and_b32 s16, s3, s8
	s_delay_alu instid0(SALU_CYCLE_1)
	s_and_saveexec_b32 s9, s16
	s_cbranch_execnz .LBB36_94
.LBB36_78:
	s_or_b32 exec_lo, exec_lo, s9
	s_and_b32 s16, s4, s8
	s_delay_alu instid0(SALU_CYCLE_1)
	s_and_saveexec_b32 s9, s16
	s_cbranch_execnz .LBB36_98
.LBB36_79:
	s_or_b32 exec_lo, exec_lo, s9
	s_and_b32 s16, s5, s8
	s_delay_alu instid0(SALU_CYCLE_1)
	s_and_saveexec_b32 s9, s16
	s_cbranch_execnz .LBB36_102
.LBB36_80:
	s_or_b32 exec_lo, exec_lo, s9
	s_and_b32 s16, s6, s8
	s_delay_alu instid0(SALU_CYCLE_1)
	s_and_saveexec_b32 s9, s16
	s_cbranch_execnz .LBB36_106
.LBB36_81:
	s_or_b32 exec_lo, exec_lo, s9
	s_and_b32 s9, s7, s8
	s_delay_alu instid0(SALU_CYCLE_1)
	s_and_saveexec_b32 s8, s9
	s_cbranch_execnz .LBB36_110
	s_branch .LBB36_114
.LBB36_82:
	v_cmp_ne_u32_e32 vcc_lo, 1, v100
	v_lshlrev_b64 v[44:45], 2, v[48:49]
	s_cbranch_vccnz .LBB36_84
; %bb.83:
	s_delay_alu instid0(VALU_DEP_1) | instskip(NEXT) | instid1(VALU_DEP_2)
	v_add_co_u32 v115, vcc_lo, v64, v44
	v_add_co_ci_u32_e32 v116, vcc_lo, v65, v45, vcc_lo
	flat_load_b32 v115, v[115:116]
	s_waitcnt vmcnt(0) lgkmcnt(0)
	v_mul_f32_e32 v115, s15, v115
	s_branch .LBB36_85
.LBB36_84:
	v_mov_b32_e32 v115, 0
.LBB36_85:
	v_dual_max_f32 v116, v41, v41 :: v_dual_max_f32 v119, v40, v40
	v_dual_max_f32 v118, v33, v33 :: v_dual_max_f32 v121, v42, v42
	;; [unrolled: 1-line block ×3, first 2 shown]
	v_add_co_u32 v44, vcc_lo, v46, v44
	s_delay_alu instid0(VALU_DEP_2) | instskip(SKIP_2) | instid1(VALU_DEP_3)
	v_dual_min_f32 v116, v118, v116 :: v_dual_min_f32 v119, v120, v119
	v_max_f32_e32 v118, v34, v34
	v_add_co_ci_u32_e32 v45, vcc_lo, v47, v45, vcc_lo
	v_dual_add_f32 v114, v114, v116 :: v_dual_add_f32 v113, v113, v119
	s_delay_alu instid0(VALU_DEP_3) | instskip(NEXT) | instid1(VALU_DEP_1)
	v_min_f32_e32 v116, v118, v121
	v_dual_max_f32 v122, v43, v43 :: v_dual_add_f32 v113, v113, v116
	s_delay_alu instid0(VALU_DEP_1) | instskip(NEXT) | instid1(VALU_DEP_1)
	v_min_f32_e32 v118, v123, v122
	v_add_f32_e32 v114, v114, v118
	s_delay_alu instid0(VALU_DEP_1) | instskip(NEXT) | instid1(VALU_DEP_1)
	v_add_f32_e32 v113, v113, v114
	v_add_f32_e32 v113, v113, v115
	global_store_b32 v[44:45], v113, off
	s_or_b32 exec_lo, exec_lo, s9
	s_and_b32 s16, s1, s8
	s_delay_alu instid0(SALU_CYCLE_1)
	s_and_saveexec_b32 s9, s16
	s_cbranch_execz .LBB36_76
.LBB36_86:
	v_cmp_ne_u32_e32 vcc_lo, 1, v100
	v_lshlrev_b64 v[44:45], 2, v[50:51]
	s_cbranch_vccnz .LBB36_88
; %bb.87:
	s_delay_alu instid0(VALU_DEP_1) | instskip(NEXT) | instid1(VALU_DEP_2)
	v_add_co_u32 v113, vcc_lo, v64, v44
	v_add_co_ci_u32_e32 v114, vcc_lo, v65, v45, vcc_lo
	flat_load_b32 v113, v[113:114]
	s_waitcnt vmcnt(0) lgkmcnt(0)
	v_mul_f32_e32 v113, s15, v113
	s_branch .LBB36_89
.LBB36_88:
	v_mov_b32_e32 v113, 0
.LBB36_89:
	v_dual_max_f32 v114, v41, v41 :: v_dual_max_f32 v119, v42, v42
	v_dual_max_f32 v115, v29, v29 :: v_dual_max_f32 v116, v40, v40
	v_max_f32_e32 v118, v28, v28
	v_max_f32_e32 v120, v43, v43
	;; [unrolled: 1-line block ×3, first 2 shown]
	s_delay_alu instid0(VALU_DEP_4) | instskip(SKIP_3) | instid1(VALU_DEP_4)
	v_min_f32_e32 v114, v115, v114
	v_max_f32_e32 v115, v30, v30
	v_min_f32_e32 v116, v118, v116
	v_add_co_u32 v44, vcc_lo, v46, v44
	v_add_f32_e32 v111, v111, v114
	s_delay_alu instid0(VALU_DEP_4) | instskip(NEXT) | instid1(VALU_DEP_4)
	v_min_f32_e32 v114, v115, v119
	v_add_f32_e32 v112, v112, v116
	v_min_f32_e32 v115, v121, v120
	v_add_co_ci_u32_e32 v45, vcc_lo, v47, v45, vcc_lo
	s_delay_alu instid0(VALU_DEP_2) | instskip(NEXT) | instid1(VALU_DEP_1)
	v_dual_add_f32 v112, v112, v114 :: v_dual_add_f32 v111, v111, v115
	v_add_f32_e32 v111, v112, v111
	s_delay_alu instid0(VALU_DEP_1) | instskip(SKIP_3) | instid1(SALU_CYCLE_1)
	v_add_f32_e32 v111, v111, v113
	global_store_b32 v[44:45], v111, off
	s_or_b32 exec_lo, exec_lo, s9
	s_and_b32 s16, s2, s8
	s_and_saveexec_b32 s9, s16
	s_cbranch_execz .LBB36_77
.LBB36_90:
	v_cmp_ne_u32_e32 vcc_lo, 1, v100
	v_lshlrev_b64 v[44:45], 2, v[52:53]
	s_cbranch_vccnz .LBB36_92
; %bb.91:
	s_delay_alu instid0(VALU_DEP_1) | instskip(NEXT) | instid1(VALU_DEP_2)
	v_add_co_u32 v111, vcc_lo, v64, v44
	v_add_co_ci_u32_e32 v112, vcc_lo, v65, v45, vcc_lo
	flat_load_b32 v111, v[111:112]
	s_waitcnt vmcnt(0) lgkmcnt(0)
	v_mul_f32_e32 v111, s15, v111
	s_branch .LBB36_93
.LBB36_92:
	v_mov_b32_e32 v111, 0
.LBB36_93:
	v_dual_max_f32 v112, v41, v41 :: v_dual_max_f32 v115, v24, v24
	v_dual_max_f32 v113, v25, v25 :: v_dual_max_f32 v114, v40, v40
	;; [unrolled: 1-line block ×3, first 2 shown]
	v_add_co_u32 v44, vcc_lo, v46, v44
	s_delay_alu instid0(VALU_DEP_3) | instskip(SKIP_1) | instid1(VALU_DEP_2)
	v_dual_min_f32 v112, v113, v112 :: v_dual_max_f32 v113, v26, v26
	v_add_co_ci_u32_e32 v45, vcc_lo, v47, v45, vcc_lo
	v_add_f32_e32 v110, v110, v112
	s_delay_alu instid0(VALU_DEP_3) | instskip(SKIP_1) | instid1(VALU_DEP_1)
	v_min_f32_e32 v112, v113, v116
	v_min_f32_e32 v114, v115, v114
	v_dual_max_f32 v118, v43, v43 :: v_dual_add_f32 v109, v109, v114
	s_delay_alu instid0(VALU_DEP_1) | instskip(NEXT) | instid1(VALU_DEP_1)
	v_min_f32_e32 v113, v119, v118
	v_dual_add_f32 v109, v109, v112 :: v_dual_add_f32 v110, v110, v113
	s_delay_alu instid0(VALU_DEP_1) | instskip(NEXT) | instid1(VALU_DEP_1)
	v_add_f32_e32 v109, v109, v110
	v_add_f32_e32 v109, v109, v111
	global_store_b32 v[44:45], v109, off
	s_or_b32 exec_lo, exec_lo, s9
	s_and_b32 s16, s3, s8
	s_delay_alu instid0(SALU_CYCLE_1)
	s_and_saveexec_b32 s9, s16
	s_cbranch_execz .LBB36_78
.LBB36_94:
	v_cmp_ne_u32_e32 vcc_lo, 1, v100
	v_lshlrev_b64 v[44:45], 2, v[54:55]
	s_cbranch_vccnz .LBB36_96
; %bb.95:
	s_delay_alu instid0(VALU_DEP_1) | instskip(NEXT) | instid1(VALU_DEP_2)
	v_add_co_u32 v109, vcc_lo, v64, v44
	v_add_co_ci_u32_e32 v110, vcc_lo, v65, v45, vcc_lo
	flat_load_b32 v109, v[109:110]
	s_waitcnt vmcnt(0) lgkmcnt(0)
	v_mul_f32_e32 v109, s15, v109
	s_branch .LBB36_97
.LBB36_96:
	v_mov_b32_e32 v109, 0
.LBB36_97:
	v_dual_max_f32 v110, v41, v41 :: v_dual_max_f32 v113, v20, v20
	v_dual_max_f32 v111, v21, v21 :: v_dual_max_f32 v112, v40, v40
	;; [unrolled: 1-line block ×3, first 2 shown]
	v_max_f32_e32 v116, v23, v23
	s_delay_alu instid0(VALU_DEP_3) | instskip(NEXT) | instid1(VALU_DEP_4)
	v_min_f32_e32 v110, v111, v110
	v_dual_max_f32 v111, v22, v22 :: v_dual_min_f32 v112, v113, v112
	v_add_co_u32 v44, vcc_lo, v46, v44
	s_delay_alu instid0(VALU_DEP_3) | instskip(NEXT) | instid1(VALU_DEP_3)
	v_add_f32_e32 v107, v107, v110
	v_dual_min_f32 v110, v111, v114 :: v_dual_min_f32 v111, v116, v115
	s_delay_alu instid0(VALU_DEP_4) | instskip(SKIP_1) | instid1(VALU_DEP_2)
	v_add_f32_e32 v108, v108, v112
	v_add_co_ci_u32_e32 v45, vcc_lo, v47, v45, vcc_lo
	v_dual_add_f32 v107, v107, v111 :: v_dual_add_f32 v108, v108, v110
	s_delay_alu instid0(VALU_DEP_1) | instskip(NEXT) | instid1(VALU_DEP_1)
	v_add_f32_e32 v107, v108, v107
	v_add_f32_e32 v107, v107, v109
	global_store_b32 v[44:45], v107, off
	s_or_b32 exec_lo, exec_lo, s9
	s_and_b32 s16, s4, s8
	s_delay_alu instid0(SALU_CYCLE_1)
	s_and_saveexec_b32 s9, s16
	s_cbranch_execz .LBB36_79
.LBB36_98:
	v_cmp_ne_u32_e32 vcc_lo, 1, v100
	v_lshlrev_b64 v[44:45], 2, v[56:57]
	s_cbranch_vccnz .LBB36_100
; %bb.99:
	s_delay_alu instid0(VALU_DEP_1) | instskip(NEXT) | instid1(VALU_DEP_2)
	v_add_co_u32 v107, vcc_lo, v64, v44
	v_add_co_ci_u32_e32 v108, vcc_lo, v65, v45, vcc_lo
	flat_load_b32 v107, v[107:108]
	s_waitcnt vmcnt(0) lgkmcnt(0)
	v_mul_f32_e32 v107, s15, v107
	s_branch .LBB36_101
.LBB36_100:
	v_mov_b32_e32 v107, 0
.LBB36_101:
	v_dual_max_f32 v108, v41, v41 :: v_dual_max_f32 v111, v16, v16
	v_dual_max_f32 v109, v17, v17 :: v_dual_max_f32 v110, v40, v40
	;; [unrolled: 1-line block ×3, first 2 shown]
	v_add_co_u32 v44, vcc_lo, v46, v44
	s_delay_alu instid0(VALU_DEP_3) | instskip(SKIP_2) | instid1(VALU_DEP_3)
	v_dual_min_f32 v108, v109, v108 :: v_dual_max_f32 v109, v18, v18
	v_max_f32_e32 v114, v19, v19
	v_add_co_ci_u32_e32 v45, vcc_lo, v47, v45, vcc_lo
	v_dual_add_f32 v105, v105, v108 :: v_dual_min_f32 v110, v111, v110
	s_delay_alu instid0(VALU_DEP_3) | instskip(NEXT) | instid1(VALU_DEP_1)
	v_dual_min_f32 v108, v109, v112 :: v_dual_min_f32 v109, v114, v113
	v_dual_add_f32 v106, v106, v110 :: v_dual_add_f32 v105, v105, v109
	s_delay_alu instid0(VALU_DEP_1) | instskip(NEXT) | instid1(VALU_DEP_1)
	v_add_f32_e32 v106, v106, v108
	v_add_f32_e32 v105, v106, v105
	s_delay_alu instid0(VALU_DEP_1) | instskip(SKIP_3) | instid1(SALU_CYCLE_1)
	v_add_f32_e32 v105, v105, v107
	global_store_b32 v[44:45], v105, off
	s_or_b32 exec_lo, exec_lo, s9
	s_and_b32 s16, s5, s8
	s_and_saveexec_b32 s9, s16
	s_cbranch_execz .LBB36_80
.LBB36_102:
	v_cmp_ne_u32_e32 vcc_lo, 1, v100
	v_lshlrev_b64 v[44:45], 2, v[58:59]
	s_cbranch_vccnz .LBB36_104
; %bb.103:
	s_delay_alu instid0(VALU_DEP_1) | instskip(NEXT) | instid1(VALU_DEP_2)
	v_add_co_u32 v105, vcc_lo, v64, v44
	v_add_co_ci_u32_e32 v106, vcc_lo, v65, v45, vcc_lo
	flat_load_b32 v105, v[105:106]
	s_waitcnt vmcnt(0) lgkmcnt(0)
	v_mul_f32_e32 v105, s15, v105
	s_branch .LBB36_105
.LBB36_104:
	v_mov_b32_e32 v105, 0
.LBB36_105:
	v_dual_max_f32 v106, v41, v41 :: v_dual_max_f32 v109, v12, v12
	v_dual_max_f32 v107, v13, v13 :: v_dual_max_f32 v108, v40, v40
	;; [unrolled: 1-line block ×3, first 2 shown]
	v_max_f32_e32 v112, v15, v15
	s_delay_alu instid0(VALU_DEP_3) | instskip(NEXT) | instid1(VALU_DEP_4)
	v_min_f32_e32 v106, v107, v106
	v_dual_max_f32 v107, v14, v14 :: v_dual_min_f32 v108, v109, v108
	v_add_co_u32 v44, vcc_lo, v46, v44
	s_delay_alu instid0(VALU_DEP_3) | instskip(NEXT) | instid1(VALU_DEP_3)
	v_add_f32_e32 v104, v104, v106
	v_min_f32_e32 v106, v107, v110
	s_delay_alu instid0(VALU_DEP_4) | instskip(SKIP_2) | instid1(VALU_DEP_2)
	v_add_f32_e32 v103, v103, v108
	v_min_f32_e32 v107, v112, v111
	v_add_co_ci_u32_e32 v45, vcc_lo, v47, v45, vcc_lo
	v_dual_add_f32 v103, v103, v106 :: v_dual_add_f32 v104, v104, v107
	s_delay_alu instid0(VALU_DEP_1) | instskip(NEXT) | instid1(VALU_DEP_1)
	v_add_f32_e32 v103, v103, v104
	v_add_f32_e32 v103, v103, v105
	global_store_b32 v[44:45], v103, off
	s_or_b32 exec_lo, exec_lo, s9
	s_and_b32 s16, s6, s8
	s_delay_alu instid0(SALU_CYCLE_1)
	s_and_saveexec_b32 s9, s16
	s_cbranch_execz .LBB36_81
.LBB36_106:
	v_cmp_ne_u32_e32 vcc_lo, 1, v100
	v_lshlrev_b64 v[44:45], 2, v[60:61]
	s_cbranch_vccnz .LBB36_108
; %bb.107:
	s_delay_alu instid0(VALU_DEP_1) | instskip(NEXT) | instid1(VALU_DEP_2)
	v_add_co_u32 v103, vcc_lo, v64, v44
	v_add_co_ci_u32_e32 v104, vcc_lo, v65, v45, vcc_lo
	flat_load_b32 v103, v[103:104]
	s_waitcnt vmcnt(0) lgkmcnt(0)
	v_mul_f32_e32 v103, s15, v103
	s_branch .LBB36_109
.LBB36_108:
	v_mov_b32_e32 v103, 0
.LBB36_109:
	v_dual_max_f32 v104, v41, v41 :: v_dual_max_f32 v107, v8, v8
	v_dual_max_f32 v105, v9, v9 :: v_dual_max_f32 v106, v40, v40
	;; [unrolled: 1-line block ×3, first 2 shown]
	v_add_co_u32 v44, vcc_lo, v46, v44
	s_delay_alu instid0(VALU_DEP_3) | instskip(SKIP_2) | instid1(VALU_DEP_3)
	v_dual_min_f32 v104, v105, v104 :: v_dual_max_f32 v105, v10, v10
	v_max_f32_e32 v110, v11, v11
	v_add_co_ci_u32_e32 v45, vcc_lo, v47, v45, vcc_lo
	v_dual_add_f32 v101, v101, v104 :: v_dual_min_f32 v106, v107, v106
	s_delay_alu instid0(VALU_DEP_3) | instskip(NEXT) | instid1(VALU_DEP_1)
	v_dual_min_f32 v104, v105, v108 :: v_dual_min_f32 v105, v110, v109
	v_dual_add_f32 v102, v102, v106 :: v_dual_add_f32 v101, v101, v105
	s_delay_alu instid0(VALU_DEP_1) | instskip(NEXT) | instid1(VALU_DEP_1)
	v_add_f32_e32 v102, v102, v104
	v_add_f32_e32 v101, v102, v101
	s_delay_alu instid0(VALU_DEP_1) | instskip(SKIP_3) | instid1(SALU_CYCLE_1)
	v_add_f32_e32 v101, v101, v103
	global_store_b32 v[44:45], v101, off
	s_or_b32 exec_lo, exec_lo, s9
	s_and_b32 s9, s7, s8
	s_and_saveexec_b32 s8, s9
	s_cbranch_execz .LBB36_114
.LBB36_110:
	v_cmp_ne_u32_e32 vcc_lo, 1, v100
	v_lshlrev_b64 v[44:45], 2, v[62:63]
	s_cbranch_vccnz .LBB36_112
; %bb.111:
	s_delay_alu instid0(VALU_DEP_1) | instskip(NEXT) | instid1(VALU_DEP_2)
	v_add_co_u32 v64, vcc_lo, v64, v44
	v_add_co_ci_u32_e32 v65, vcc_lo, v65, v45, vcc_lo
	flat_load_b32 v64, v[64:65]
	s_waitcnt vmcnt(0) lgkmcnt(0)
	v_mul_f32_e32 v64, s15, v64
	s_branch .LBB36_113
.LBB36_112:
	v_mov_b32_e32 v64, 0
.LBB36_113:
	v_dual_max_f32 v41, v41, v41 :: v_dual_max_f32 v40, v40, v40
	v_dual_max_f32 v65, v1, v1 :: v_dual_max_f32 v42, v42, v42
	;; [unrolled: 1-line block ×3, first 2 shown]
	s_delay_alu instid0(VALU_DEP_1) | instskip(NEXT) | instid1(VALU_DEP_1)
	v_dual_max_f32 v43, v43, v43 :: v_dual_min_f32 v40, v101, v40
	v_dual_min_f32 v41, v65, v41 :: v_dual_add_f32 v40, v98, v40
	s_delay_alu instid0(VALU_DEP_1) | instskip(NEXT) | instid1(VALU_DEP_3)
	v_add_f32_e32 v41, v99, v41
	v_min_f32_e32 v43, v102, v43
	s_delay_alu instid0(VALU_DEP_1) | instskip(SKIP_1) | instid1(VALU_DEP_1)
	v_add_f32_e32 v41, v41, v43
	v_max_f32_e32 v65, v2, v2
	v_min_f32_e32 v42, v65, v42
	s_delay_alu instid0(VALU_DEP_1) | instskip(NEXT) | instid1(VALU_DEP_1)
	v_add_f32_e32 v40, v40, v42
	v_add_f32_e32 v40, v40, v41
	s_delay_alu instid0(VALU_DEP_1)
	v_add_f32_e32 v42, v40, v64
	v_add_co_u32 v40, vcc_lo, v46, v44
	v_add_co_ci_u32_e32 v41, vcc_lo, v47, v45, vcc_lo
	global_store_b32 v[40:41], v42, off
.LBB36_114:
	s_or_b32 exec_lo, exec_lo, s8
	v_add_nc_u32_e32 v44, 64, v117
	s_delay_alu instid0(VALU_DEP_1) | instskip(SKIP_2) | instid1(VALU_DEP_3)
	v_mad_i64_i32 v[40:41], null, v44, s13, 0
	v_mad_i64_i32 v[42:43], null, v44, s12, 0
	v_cmp_gt_i32_e64 s8, s17, v44
	v_lshlrev_b64 v[40:41], 2, v[40:41]
	s_delay_alu instid0(VALU_DEP_2) | instskip(NEXT) | instid1(VALU_DEP_3)
	s_and_b32 s16, s0, s8
	v_lshlrev_b64 v[42:43], 2, v[42:43]
	s_delay_alu instid0(VALU_DEP_2) | instskip(NEXT) | instid1(VALU_DEP_3)
	v_add_co_u32 v44, vcc_lo, s10, v40
	v_add_co_ci_u32_e32 v45, vcc_lo, s11, v41, vcc_lo
	s_delay_alu instid0(VALU_DEP_3) | instskip(NEXT) | instid1(VALU_DEP_4)
	v_add_co_u32 v42, vcc_lo, s14, v42
	v_add_co_ci_u32_e32 v43, vcc_lo, s18, v43, vcc_lo
	s_and_saveexec_b32 s9, s16
	s_cbranch_execnz .LBB36_122
; %bb.115:
	s_or_b32 exec_lo, exec_lo, s9
	s_and_b32 s16, s1, s8
	s_delay_alu instid0(SALU_CYCLE_1)
	s_and_saveexec_b32 s9, s16
	s_cbranch_execnz .LBB36_126
.LBB36_116:
	s_or_b32 exec_lo, exec_lo, s9
	s_and_b32 s16, s2, s8
	s_delay_alu instid0(SALU_CYCLE_1)
	s_and_saveexec_b32 s9, s16
	s_cbranch_execnz .LBB36_130
.LBB36_117:
	s_or_b32 exec_lo, exec_lo, s9
	s_and_b32 s16, s3, s8
	s_delay_alu instid0(SALU_CYCLE_1)
	s_and_saveexec_b32 s9, s16
	s_cbranch_execnz .LBB36_134
.LBB36_118:
	s_or_b32 exec_lo, exec_lo, s9
	s_and_b32 s16, s4, s8
	s_delay_alu instid0(SALU_CYCLE_1)
	s_and_saveexec_b32 s9, s16
	s_cbranch_execnz .LBB36_138
.LBB36_119:
	s_or_b32 exec_lo, exec_lo, s9
	s_and_b32 s16, s5, s8
	s_delay_alu instid0(SALU_CYCLE_1)
	s_and_saveexec_b32 s9, s16
	s_cbranch_execnz .LBB36_142
.LBB36_120:
	s_or_b32 exec_lo, exec_lo, s9
	s_and_b32 s16, s6, s8
	s_delay_alu instid0(SALU_CYCLE_1)
	s_and_saveexec_b32 s9, s16
	s_cbranch_execnz .LBB36_146
.LBB36_121:
	s_or_b32 exec_lo, exec_lo, s9
	s_and_b32 s9, s7, s8
	s_delay_alu instid0(SALU_CYCLE_1)
	s_and_saveexec_b32 s8, s9
	s_cbranch_execnz .LBB36_150
	s_branch .LBB36_154
.LBB36_122:
	v_cmp_ne_u32_e32 vcc_lo, 1, v100
	v_lshlrev_b64 v[40:41], 2, v[48:49]
	s_cbranch_vccnz .LBB36_124
; %bb.123:
	s_delay_alu instid0(VALU_DEP_1) | instskip(NEXT) | instid1(VALU_DEP_2)
	v_add_co_u32 v46, vcc_lo, v44, v40
	v_add_co_ci_u32_e32 v47, vcc_lo, v45, v41, vcc_lo
	flat_load_b32 v46, v[46:47]
	s_waitcnt vmcnt(0) lgkmcnt(0)
	v_mul_f32_e32 v46, s15, v46
	s_branch .LBB36_125
.LBB36_124:
	v_mov_b32_e32 v46, 0
.LBB36_125:
	v_dual_max_f32 v47, v37, v37 :: v_dual_max_f32 v98, v32, v32
	v_dual_max_f32 v64, v33, v33 :: v_dual_max_f32 v65, v36, v36
	;; [unrolled: 1-line block ×3, first 2 shown]
	v_add_co_u32 v40, vcc_lo, v42, v40
	s_delay_alu instid0(VALU_DEP_3) | instskip(NEXT) | instid1(VALU_DEP_4)
	v_dual_min_f32 v47, v64, v47 :: v_dual_max_f32 v64, v34, v34
	v_min_f32_e32 v65, v98, v65
	v_add_co_ci_u32_e32 v41, vcc_lo, v43, v41, vcc_lo
	s_delay_alu instid0(VALU_DEP_2) | instskip(NEXT) | instid1(VALU_DEP_1)
	v_dual_min_f32 v64, v64, v99 :: v_dual_add_f32 v65, v97, v65
	v_dual_max_f32 v101, v39, v39 :: v_dual_add_f32 v64, v65, v64
	s_delay_alu instid0(VALU_DEP_1) | instskip(NEXT) | instid1(VALU_DEP_1)
	v_dual_add_f32 v47, v96, v47 :: v_dual_min_f32 v96, v102, v101
	v_add_f32_e32 v47, v47, v96
	s_delay_alu instid0(VALU_DEP_1) | instskip(NEXT) | instid1(VALU_DEP_1)
	v_add_f32_e32 v47, v64, v47
	v_add_f32_e32 v46, v47, v46
	global_store_b32 v[40:41], v46, off
	s_or_b32 exec_lo, exec_lo, s9
	s_and_b32 s16, s1, s8
	s_delay_alu instid0(SALU_CYCLE_1)
	s_and_saveexec_b32 s9, s16
	s_cbranch_execz .LBB36_116
.LBB36_126:
	v_cmp_ne_u32_e32 vcc_lo, 1, v100
	v_lshlrev_b64 v[40:41], 2, v[50:51]
	s_cbranch_vccnz .LBB36_128
; %bb.127:
	s_delay_alu instid0(VALU_DEP_1) | instskip(NEXT) | instid1(VALU_DEP_2)
	v_add_co_u32 v46, vcc_lo, v44, v40
	v_add_co_ci_u32_e32 v47, vcc_lo, v45, v41, vcc_lo
	flat_load_b32 v46, v[46:47]
	s_waitcnt vmcnt(0) lgkmcnt(0)
	v_mul_f32_e32 v46, s15, v46
	s_branch .LBB36_129
.LBB36_128:
	v_mov_b32_e32 v46, 0
.LBB36_129:
	v_dual_max_f32 v47, v37, v37 :: v_dual_max_f32 v96, v28, v28
	v_dual_max_f32 v64, v29, v29 :: v_dual_max_f32 v65, v36, v36
	;; [unrolled: 1-line block ×3, first 2 shown]
	v_add_co_u32 v40, vcc_lo, v42, v40
	s_delay_alu instid0(VALU_DEP_3) | instskip(SKIP_2) | instid1(VALU_DEP_3)
	v_dual_min_f32 v47, v64, v47 :: v_dual_max_f32 v64, v30, v30
	v_max_f32_e32 v99, v31, v31
	v_add_co_ci_u32_e32 v41, vcc_lo, v43, v41, vcc_lo
	v_min_f32_e32 v64, v64, v97
	v_min_f32_e32 v65, v96, v65
	s_delay_alu instid0(VALU_DEP_4) | instskip(NEXT) | instid1(VALU_DEP_2)
	v_dual_add_f32 v47, v94, v47 :: v_dual_min_f32 v94, v99, v98
	v_add_f32_e32 v65, v95, v65
	s_delay_alu instid0(VALU_DEP_1) | instskip(NEXT) | instid1(VALU_DEP_1)
	v_dual_add_f32 v64, v65, v64 :: v_dual_add_f32 v47, v47, v94
	v_add_f32_e32 v47, v64, v47
	s_delay_alu instid0(VALU_DEP_1) | instskip(SKIP_3) | instid1(SALU_CYCLE_1)
	v_add_f32_e32 v46, v47, v46
	global_store_b32 v[40:41], v46, off
	s_or_b32 exec_lo, exec_lo, s9
	s_and_b32 s16, s2, s8
	s_and_saveexec_b32 s9, s16
	s_cbranch_execz .LBB36_117
.LBB36_130:
	v_cmp_ne_u32_e32 vcc_lo, 1, v100
	v_lshlrev_b64 v[40:41], 2, v[52:53]
	s_cbranch_vccnz .LBB36_132
; %bb.131:
	s_delay_alu instid0(VALU_DEP_1) | instskip(NEXT) | instid1(VALU_DEP_2)
	v_add_co_u32 v46, vcc_lo, v44, v40
	v_add_co_ci_u32_e32 v47, vcc_lo, v45, v41, vcc_lo
	flat_load_b32 v46, v[46:47]
	s_waitcnt vmcnt(0) lgkmcnt(0)
	v_mul_f32_e32 v46, s15, v46
	s_branch .LBB36_133
.LBB36_132:
	v_mov_b32_e32 v46, 0
.LBB36_133:
	v_dual_max_f32 v47, v37, v37 :: v_dual_max_f32 v94, v24, v24
	v_dual_max_f32 v64, v25, v25 :: v_dual_max_f32 v65, v36, v36
	;; [unrolled: 1-line block ×3, first 2 shown]
	v_add_co_u32 v40, vcc_lo, v42, v40
	s_delay_alu instid0(VALU_DEP_3) | instskip(NEXT) | instid1(VALU_DEP_4)
	v_dual_min_f32 v47, v64, v47 :: v_dual_max_f32 v64, v26, v26
	v_min_f32_e32 v65, v94, v65
	v_add_co_ci_u32_e32 v41, vcc_lo, v43, v41, vcc_lo
	s_delay_alu instid0(VALU_DEP_2) | instskip(NEXT) | instid1(VALU_DEP_1)
	v_dual_min_f32 v64, v64, v95 :: v_dual_add_f32 v65, v93, v65
	v_dual_max_f32 v97, v27, v27 :: v_dual_add_f32 v64, v65, v64
	s_delay_alu instid0(VALU_DEP_1) | instskip(NEXT) | instid1(VALU_DEP_1)
	v_dual_add_f32 v47, v92, v47 :: v_dual_min_f32 v92, v97, v96
	v_add_f32_e32 v47, v47, v92
	s_delay_alu instid0(VALU_DEP_1) | instskip(NEXT) | instid1(VALU_DEP_1)
	v_add_f32_e32 v47, v64, v47
	v_add_f32_e32 v46, v47, v46
	global_store_b32 v[40:41], v46, off
	s_or_b32 exec_lo, exec_lo, s9
	s_and_b32 s16, s3, s8
	s_delay_alu instid0(SALU_CYCLE_1)
	s_and_saveexec_b32 s9, s16
	s_cbranch_execz .LBB36_118
.LBB36_134:
	v_cmp_ne_u32_e32 vcc_lo, 1, v100
	v_lshlrev_b64 v[40:41], 2, v[54:55]
	s_cbranch_vccnz .LBB36_136
; %bb.135:
	s_delay_alu instid0(VALU_DEP_1) | instskip(NEXT) | instid1(VALU_DEP_2)
	v_add_co_u32 v46, vcc_lo, v44, v40
	v_add_co_ci_u32_e32 v47, vcc_lo, v45, v41, vcc_lo
	flat_load_b32 v46, v[46:47]
	s_waitcnt vmcnt(0) lgkmcnt(0)
	v_mul_f32_e32 v46, s15, v46
	s_branch .LBB36_137
.LBB36_136:
	v_mov_b32_e32 v46, 0
.LBB36_137:
	v_dual_max_f32 v47, v37, v37 :: v_dual_max_f32 v92, v20, v20
	v_dual_max_f32 v64, v21, v21 :: v_dual_max_f32 v65, v36, v36
	;; [unrolled: 1-line block ×3, first 2 shown]
	v_add_co_u32 v40, vcc_lo, v42, v40
	s_delay_alu instid0(VALU_DEP_3) | instskip(SKIP_2) | instid1(VALU_DEP_3)
	v_dual_min_f32 v47, v64, v47 :: v_dual_max_f32 v64, v22, v22
	v_max_f32_e32 v95, v23, v23
	v_add_co_ci_u32_e32 v41, vcc_lo, v43, v41, vcc_lo
	v_min_f32_e32 v64, v64, v93
	v_min_f32_e32 v65, v92, v65
	s_delay_alu instid0(VALU_DEP_4) | instskip(NEXT) | instid1(VALU_DEP_2)
	v_dual_add_f32 v47, v90, v47 :: v_dual_min_f32 v90, v95, v94
	v_add_f32_e32 v65, v91, v65
	s_delay_alu instid0(VALU_DEP_1) | instskip(NEXT) | instid1(VALU_DEP_1)
	v_dual_add_f32 v64, v65, v64 :: v_dual_add_f32 v47, v47, v90
	v_add_f32_e32 v47, v64, v47
	s_delay_alu instid0(VALU_DEP_1) | instskip(SKIP_3) | instid1(SALU_CYCLE_1)
	v_add_f32_e32 v46, v47, v46
	global_store_b32 v[40:41], v46, off
	s_or_b32 exec_lo, exec_lo, s9
	s_and_b32 s16, s4, s8
	s_and_saveexec_b32 s9, s16
	s_cbranch_execz .LBB36_119
.LBB36_138:
	v_cmp_ne_u32_e32 vcc_lo, 1, v100
	v_lshlrev_b64 v[40:41], 2, v[56:57]
	s_cbranch_vccnz .LBB36_140
; %bb.139:
	s_delay_alu instid0(VALU_DEP_1) | instskip(NEXT) | instid1(VALU_DEP_2)
	v_add_co_u32 v46, vcc_lo, v44, v40
	v_add_co_ci_u32_e32 v47, vcc_lo, v45, v41, vcc_lo
	flat_load_b32 v46, v[46:47]
	s_waitcnt vmcnt(0) lgkmcnt(0)
	v_mul_f32_e32 v46, s15, v46
	s_branch .LBB36_141
.LBB36_140:
	v_mov_b32_e32 v46, 0
.LBB36_141:
	v_dual_max_f32 v47, v37, v37 :: v_dual_max_f32 v90, v16, v16
	v_dual_max_f32 v64, v17, v17 :: v_dual_max_f32 v65, v36, v36
	;; [unrolled: 1-line block ×3, first 2 shown]
	v_add_co_u32 v40, vcc_lo, v42, v40
	s_delay_alu instid0(VALU_DEP_3) | instskip(NEXT) | instid1(VALU_DEP_4)
	v_dual_min_f32 v47, v64, v47 :: v_dual_max_f32 v64, v18, v18
	v_min_f32_e32 v65, v90, v65
	v_add_co_ci_u32_e32 v41, vcc_lo, v43, v41, vcc_lo
	s_delay_alu instid0(VALU_DEP_3) | instskip(NEXT) | instid1(VALU_DEP_4)
	v_add_f32_e32 v47, v89, v47
	v_min_f32_e32 v64, v64, v91
	s_delay_alu instid0(VALU_DEP_4) | instskip(NEXT) | instid1(VALU_DEP_1)
	v_add_f32_e32 v65, v88, v65
	v_dual_max_f32 v93, v19, v19 :: v_dual_add_f32 v64, v65, v64
	s_delay_alu instid0(VALU_DEP_1) | instskip(NEXT) | instid1(VALU_DEP_1)
	v_min_f32_e32 v89, v93, v92
	v_add_f32_e32 v47, v47, v89
	s_delay_alu instid0(VALU_DEP_1) | instskip(NEXT) | instid1(VALU_DEP_1)
	v_add_f32_e32 v47, v64, v47
	v_add_f32_e32 v46, v47, v46
	global_store_b32 v[40:41], v46, off
	s_or_b32 exec_lo, exec_lo, s9
	s_and_b32 s16, s5, s8
	s_delay_alu instid0(SALU_CYCLE_1)
	s_and_saveexec_b32 s9, s16
	s_cbranch_execz .LBB36_120
.LBB36_142:
	v_cmp_ne_u32_e32 vcc_lo, 1, v100
	v_lshlrev_b64 v[40:41], 2, v[58:59]
	s_cbranch_vccnz .LBB36_144
; %bb.143:
	s_delay_alu instid0(VALU_DEP_1) | instskip(NEXT) | instid1(VALU_DEP_2)
	v_add_co_u32 v46, vcc_lo, v44, v40
	v_add_co_ci_u32_e32 v47, vcc_lo, v45, v41, vcc_lo
	flat_load_b32 v46, v[46:47]
	s_waitcnt vmcnt(0) lgkmcnt(0)
	v_mul_f32_e32 v46, s15, v46
	s_branch .LBB36_145
.LBB36_144:
	v_mov_b32_e32 v46, 0
.LBB36_145:
	v_dual_max_f32 v47, v37, v37 :: v_dual_max_f32 v88, v12, v12
	v_dual_max_f32 v64, v13, v13 :: v_dual_max_f32 v65, v36, v36
	;; [unrolled: 1-line block ×3, first 2 shown]
	v_add_co_u32 v40, vcc_lo, v42, v40
	s_delay_alu instid0(VALU_DEP_3) | instskip(SKIP_2) | instid1(VALU_DEP_3)
	v_dual_min_f32 v47, v64, v47 :: v_dual_max_f32 v64, v14, v14
	v_max_f32_e32 v91, v15, v15
	v_add_co_ci_u32_e32 v41, vcc_lo, v43, v41, vcc_lo
	v_min_f32_e32 v64, v64, v89
	v_min_f32_e32 v65, v88, v65
	s_delay_alu instid0(VALU_DEP_4) | instskip(NEXT) | instid1(VALU_DEP_2)
	v_dual_add_f32 v47, v86, v47 :: v_dual_min_f32 v86, v91, v90
	v_add_f32_e32 v65, v87, v65
	s_delay_alu instid0(VALU_DEP_1) | instskip(NEXT) | instid1(VALU_DEP_1)
	v_dual_add_f32 v64, v65, v64 :: v_dual_add_f32 v47, v47, v86
	v_add_f32_e32 v47, v64, v47
	s_delay_alu instid0(VALU_DEP_1) | instskip(SKIP_3) | instid1(SALU_CYCLE_1)
	v_add_f32_e32 v46, v47, v46
	global_store_b32 v[40:41], v46, off
	s_or_b32 exec_lo, exec_lo, s9
	s_and_b32 s16, s6, s8
	s_and_saveexec_b32 s9, s16
	s_cbranch_execz .LBB36_121
.LBB36_146:
	v_cmp_ne_u32_e32 vcc_lo, 1, v100
	v_lshlrev_b64 v[40:41], 2, v[60:61]
	s_cbranch_vccnz .LBB36_148
; %bb.147:
	s_delay_alu instid0(VALU_DEP_1) | instskip(NEXT) | instid1(VALU_DEP_2)
	v_add_co_u32 v46, vcc_lo, v44, v40
	v_add_co_ci_u32_e32 v47, vcc_lo, v45, v41, vcc_lo
	flat_load_b32 v46, v[46:47]
	s_waitcnt vmcnt(0) lgkmcnt(0)
	v_mul_f32_e32 v46, s15, v46
	s_branch .LBB36_149
.LBB36_148:
	v_mov_b32_e32 v46, 0
.LBB36_149:
	v_dual_max_f32 v47, v37, v37 :: v_dual_max_f32 v86, v8, v8
	v_dual_max_f32 v64, v9, v9 :: v_dual_max_f32 v65, v36, v36
	;; [unrolled: 1-line block ×3, first 2 shown]
	v_add_co_u32 v40, vcc_lo, v42, v40
	s_delay_alu instid0(VALU_DEP_3) | instskip(NEXT) | instid1(VALU_DEP_4)
	v_dual_min_f32 v47, v64, v47 :: v_dual_max_f32 v64, v10, v10
	v_min_f32_e32 v65, v86, v65
	v_add_co_ci_u32_e32 v41, vcc_lo, v43, v41, vcc_lo
	s_delay_alu instid0(VALU_DEP_2) | instskip(NEXT) | instid1(VALU_DEP_1)
	v_dual_min_f32 v64, v64, v87 :: v_dual_add_f32 v65, v85, v65
	v_dual_max_f32 v89, v11, v11 :: v_dual_add_f32 v64, v65, v64
	s_delay_alu instid0(VALU_DEP_1) | instskip(NEXT) | instid1(VALU_DEP_1)
	v_dual_add_f32 v47, v84, v47 :: v_dual_min_f32 v84, v89, v88
	v_add_f32_e32 v47, v47, v84
	s_delay_alu instid0(VALU_DEP_1) | instskip(NEXT) | instid1(VALU_DEP_1)
	v_add_f32_e32 v47, v64, v47
	v_add_f32_e32 v46, v47, v46
	global_store_b32 v[40:41], v46, off
	s_or_b32 exec_lo, exec_lo, s9
	s_and_b32 s9, s7, s8
	s_delay_alu instid0(SALU_CYCLE_1)
	s_and_saveexec_b32 s8, s9
	s_cbranch_execz .LBB36_154
.LBB36_150:
	v_cmp_ne_u32_e32 vcc_lo, 1, v100
	v_lshlrev_b64 v[40:41], 2, v[62:63]
	s_cbranch_vccnz .LBB36_152
; %bb.151:
	s_delay_alu instid0(VALU_DEP_1) | instskip(NEXT) | instid1(VALU_DEP_2)
	v_add_co_u32 v44, vcc_lo, v44, v40
	v_add_co_ci_u32_e32 v45, vcc_lo, v45, v41, vcc_lo
	flat_load_b32 v44, v[44:45]
	s_waitcnt vmcnt(0) lgkmcnt(0)
	v_mul_f32_e32 v44, s15, v44
	s_branch .LBB36_153
.LBB36_152:
	v_mov_b32_e32 v44, 0
.LBB36_153:
	v_dual_max_f32 v37, v37, v37 :: v_dual_max_f32 v36, v36, v36
	v_dual_max_f32 v45, v1, v1 :: v_dual_max_f32 v46, v0, v0
	;; [unrolled: 1-line block ×3, first 2 shown]
	s_delay_alu instid0(VALU_DEP_2) | instskip(SKIP_1) | instid1(VALU_DEP_2)
	v_dual_min_f32 v37, v45, v37 :: v_dual_min_f32 v36, v46, v36
	v_max_f32_e32 v47, v3, v3
	v_dual_add_f32 v37, v83, v37 :: v_dual_add_f32 v36, v82, v36
	s_delay_alu instid0(VALU_DEP_2) | instskip(NEXT) | instid1(VALU_DEP_1)
	v_min_f32_e32 v39, v47, v39
	v_add_f32_e32 v37, v37, v39
	v_max_f32_e32 v45, v2, v2
	s_delay_alu instid0(VALU_DEP_1) | instskip(NEXT) | instid1(VALU_DEP_1)
	v_min_f32_e32 v38, v45, v38
	v_add_f32_e32 v36, v36, v38
	s_delay_alu instid0(VALU_DEP_1) | instskip(NEXT) | instid1(VALU_DEP_1)
	v_add_f32_e32 v36, v36, v37
	v_add_f32_e32 v38, v36, v44
	v_add_co_u32 v36, vcc_lo, v42, v40
	v_add_co_ci_u32_e32 v37, vcc_lo, v43, v41, vcc_lo
	global_store_b32 v[36:37], v38, off
.LBB36_154:
	s_or_b32 exec_lo, exec_lo, s8
	v_add_nc_u32_e32 v40, 0x60, v117
	s_delay_alu instid0(VALU_DEP_1) | instskip(SKIP_2) | instid1(VALU_DEP_3)
	v_mad_i64_i32 v[36:37], null, v40, s13, 0
	v_mad_i64_i32 v[38:39], null, v40, s12, 0
	v_cmp_gt_i32_e64 s8, s17, v40
	v_lshlrev_b64 v[36:37], 2, v[36:37]
	s_delay_alu instid0(VALU_DEP_2) | instskip(NEXT) | instid1(VALU_DEP_3)
	s_and_b32 s9, s0, s8
	v_lshlrev_b64 v[38:39], 2, v[38:39]
	s_delay_alu instid0(VALU_DEP_2) | instskip(NEXT) | instid1(VALU_DEP_3)
	v_add_co_u32 v40, vcc_lo, s10, v36
	v_add_co_ci_u32_e32 v41, vcc_lo, s11, v37, vcc_lo
	s_delay_alu instid0(VALU_DEP_3) | instskip(NEXT) | instid1(VALU_DEP_4)
	v_add_co_u32 v38, vcc_lo, s14, v38
	v_add_co_ci_u32_e32 v39, vcc_lo, s18, v39, vcc_lo
	s_and_saveexec_b32 s0, s9
	s_cbranch_execnz .LBB36_163
; %bb.155:
	s_or_b32 exec_lo, exec_lo, s0
	s_and_b32 s1, s1, s8
	s_delay_alu instid0(SALU_CYCLE_1)
	s_and_saveexec_b32 s0, s1
	s_cbranch_execnz .LBB36_167
.LBB36_156:
	s_or_b32 exec_lo, exec_lo, s0
	s_and_b32 s1, s2, s8
	s_delay_alu instid0(SALU_CYCLE_1)
	s_and_saveexec_b32 s0, s1
	s_cbranch_execnz .LBB36_171
.LBB36_157:
	s_or_b32 exec_lo, exec_lo, s0
	s_and_b32 s1, s3, s8
	s_delay_alu instid0(SALU_CYCLE_1)
	s_and_saveexec_b32 s0, s1
	s_cbranch_execnz .LBB36_175
.LBB36_158:
	s_or_b32 exec_lo, exec_lo, s0
	s_and_b32 s1, s4, s8
	s_delay_alu instid0(SALU_CYCLE_1)
	s_and_saveexec_b32 s0, s1
	s_cbranch_execnz .LBB36_179
.LBB36_159:
	s_or_b32 exec_lo, exec_lo, s0
	s_and_b32 s1, s5, s8
	s_delay_alu instid0(SALU_CYCLE_1)
	s_and_saveexec_b32 s0, s1
	s_cbranch_execnz .LBB36_183
.LBB36_160:
	s_or_b32 exec_lo, exec_lo, s0
	s_and_b32 s1, s6, s8
	s_delay_alu instid0(SALU_CYCLE_1)
	s_and_saveexec_b32 s0, s1
	s_cbranch_execnz .LBB36_187
.LBB36_161:
	s_or_b32 exec_lo, exec_lo, s0
	s_and_b32 s0, s7, s8
	s_delay_alu instid0(SALU_CYCLE_1)
	s_and_saveexec_b32 s1, s0
	s_cbranch_execnz .LBB36_191
.LBB36_162:
	s_nop 0
	s_sendmsg sendmsg(MSG_DEALLOC_VGPRS)
	s_endpgm
.LBB36_163:
	v_cmp_ne_u32_e32 vcc_lo, 1, v100
	v_lshlrev_b64 v[36:37], 2, v[48:49]
	s_cbranch_vccnz .LBB36_165
; %bb.164:
	s_delay_alu instid0(VALU_DEP_1) | instskip(NEXT) | instid1(VALU_DEP_2)
	v_add_co_u32 v42, vcc_lo, v40, v36
	v_add_co_ci_u32_e32 v43, vcc_lo, v41, v37, vcc_lo
	flat_load_b32 v42, v[42:43]
	s_waitcnt vmcnt(0) lgkmcnt(0)
	v_mul_f32_e32 v42, s15, v42
	s_branch .LBB36_166
.LBB36_165:
	v_mov_b32_e32 v42, 0
.LBB36_166:
	v_dual_max_f32 v43, v5, v5 :: v_dual_max_f32 v44, v4, v4
	v_dual_max_f32 v33, v33, v33 :: v_dual_max_f32 v32, v32, v32
	v_max_f32_e32 v45, v6, v6
	s_delay_alu instid0(VALU_DEP_2) | instskip(NEXT) | instid1(VALU_DEP_3)
	v_dual_max_f32 v34, v34, v34 :: v_dual_min_f32 v33, v33, v43
	v_dual_min_f32 v32, v32, v44 :: v_dual_max_f32 v43, v7, v7
	s_delay_alu instid0(VALU_DEP_2) | instskip(NEXT) | instid1(VALU_DEP_2)
	v_dual_min_f32 v34, v34, v45 :: v_dual_max_f32 v35, v35, v35
	v_dual_add_f32 v33, v80, v33 :: v_dual_add_f32 v32, v81, v32
	s_delay_alu instid0(VALU_DEP_1) | instskip(NEXT) | instid1(VALU_DEP_1)
	v_dual_min_f32 v35, v35, v43 :: v_dual_add_f32 v32, v32, v34
	v_add_f32_e32 v33, v33, v35
	s_delay_alu instid0(VALU_DEP_1) | instskip(NEXT) | instid1(VALU_DEP_1)
	v_add_f32_e32 v32, v32, v33
	v_add_f32_e32 v34, v32, v42
	v_add_co_u32 v32, vcc_lo, v38, v36
	v_add_co_ci_u32_e32 v33, vcc_lo, v39, v37, vcc_lo
	global_store_b32 v[32:33], v34, off
	s_or_b32 exec_lo, exec_lo, s0
	s_and_b32 s1, s1, s8
	s_delay_alu instid0(SALU_CYCLE_1)
	s_and_saveexec_b32 s0, s1
	s_cbranch_execz .LBB36_156
.LBB36_167:
	v_cmp_ne_u32_e32 vcc_lo, 1, v100
	v_lshlrev_b64 v[32:33], 2, v[50:51]
	s_cbranch_vccnz .LBB36_169
; %bb.168:
	s_delay_alu instid0(VALU_DEP_1) | instskip(NEXT) | instid1(VALU_DEP_2)
	v_add_co_u32 v34, vcc_lo, v40, v32
	v_add_co_ci_u32_e32 v35, vcc_lo, v41, v33, vcc_lo
	flat_load_b32 v34, v[34:35]
	s_waitcnt vmcnt(0) lgkmcnt(0)
	v_mul_f32_e32 v34, s15, v34
	s_branch .LBB36_170
.LBB36_169:
	v_mov_b32_e32 v34, 0
.LBB36_170:
	v_dual_max_f32 v35, v5, v5 :: v_dual_max_f32 v36, v4, v4
	v_dual_max_f32 v29, v29, v29 :: v_dual_max_f32 v28, v28, v28
	v_max_f32_e32 v37, v6, v6
	s_delay_alu instid0(VALU_DEP_2) | instskip(NEXT) | instid1(VALU_DEP_3)
	v_dual_max_f32 v30, v30, v30 :: v_dual_min_f32 v29, v29, v35
	v_dual_min_f32 v28, v28, v36 :: v_dual_max_f32 v35, v7, v7
	s_delay_alu instid0(VALU_DEP_2) | instskip(NEXT) | instid1(VALU_DEP_2)
	v_dual_min_f32 v30, v30, v37 :: v_dual_max_f32 v31, v31, v31
	v_dual_add_f32 v28, v78, v28 :: v_dual_add_f32 v29, v79, v29
	s_delay_alu instid0(VALU_DEP_1) | instskip(NEXT) | instid1(VALU_DEP_1)
	v_dual_add_f32 v28, v28, v30 :: v_dual_min_f32 v31, v31, v35
	v_add_f32_e32 v29, v29, v31
	s_delay_alu instid0(VALU_DEP_1) | instskip(NEXT) | instid1(VALU_DEP_1)
	v_add_f32_e32 v28, v28, v29
	v_add_f32_e32 v30, v28, v34
	v_add_co_u32 v28, vcc_lo, v38, v32
	v_add_co_ci_u32_e32 v29, vcc_lo, v39, v33, vcc_lo
	global_store_b32 v[28:29], v30, off
	s_or_b32 exec_lo, exec_lo, s0
	s_and_b32 s1, s2, s8
	s_delay_alu instid0(SALU_CYCLE_1)
	s_and_saveexec_b32 s0, s1
	s_cbranch_execz .LBB36_157
.LBB36_171:
	v_cmp_ne_u32_e32 vcc_lo, 1, v100
	v_lshlrev_b64 v[28:29], 2, v[52:53]
	s_cbranch_vccnz .LBB36_173
; %bb.172:
	s_delay_alu instid0(VALU_DEP_1) | instskip(NEXT) | instid1(VALU_DEP_2)
	v_add_co_u32 v30, vcc_lo, v40, v28
	v_add_co_ci_u32_e32 v31, vcc_lo, v41, v29, vcc_lo
	flat_load_b32 v30, v[30:31]
	s_waitcnt vmcnt(0) lgkmcnt(0)
	v_mul_f32_e32 v30, s15, v30
	s_branch .LBB36_174
.LBB36_173:
	v_mov_b32_e32 v30, 0
.LBB36_174:
	v_dual_max_f32 v31, v5, v5 :: v_dual_max_f32 v32, v4, v4
	v_dual_max_f32 v25, v25, v25 :: v_dual_max_f32 v24, v24, v24
	v_max_f32_e32 v33, v6, v6
	s_delay_alu instid0(VALU_DEP_2) | instskip(NEXT) | instid1(VALU_DEP_3)
	v_dual_max_f32 v26, v26, v26 :: v_dual_min_f32 v25, v25, v31
	v_dual_min_f32 v24, v24, v32 :: v_dual_max_f32 v31, v7, v7
	s_delay_alu instid0(VALU_DEP_2) | instskip(NEXT) | instid1(VALU_DEP_2)
	v_dual_min_f32 v26, v26, v33 :: v_dual_max_f32 v27, v27, v27
	v_dual_add_f32 v25, v76, v25 :: v_dual_add_f32 v24, v77, v24
	s_delay_alu instid0(VALU_DEP_1) | instskip(NEXT) | instid1(VALU_DEP_1)
	v_dual_min_f32 v27, v27, v31 :: v_dual_add_f32 v24, v24, v26
	v_add_f32_e32 v25, v25, v27
	s_delay_alu instid0(VALU_DEP_1) | instskip(NEXT) | instid1(VALU_DEP_1)
	v_add_f32_e32 v24, v24, v25
	v_add_f32_e32 v26, v24, v30
	v_add_co_u32 v24, vcc_lo, v38, v28
	v_add_co_ci_u32_e32 v25, vcc_lo, v39, v29, vcc_lo
	global_store_b32 v[24:25], v26, off
	s_or_b32 exec_lo, exec_lo, s0
	s_and_b32 s1, s3, s8
	s_delay_alu instid0(SALU_CYCLE_1)
	s_and_saveexec_b32 s0, s1
	s_cbranch_execz .LBB36_158
.LBB36_175:
	v_cmp_ne_u32_e32 vcc_lo, 1, v100
	v_lshlrev_b64 v[24:25], 2, v[54:55]
	s_cbranch_vccnz .LBB36_177
; %bb.176:
	s_delay_alu instid0(VALU_DEP_1) | instskip(NEXT) | instid1(VALU_DEP_2)
	v_add_co_u32 v26, vcc_lo, v40, v24
	v_add_co_ci_u32_e32 v27, vcc_lo, v41, v25, vcc_lo
	flat_load_b32 v26, v[26:27]
	s_waitcnt vmcnt(0) lgkmcnt(0)
	v_mul_f32_e32 v26, s15, v26
	s_branch .LBB36_178
.LBB36_177:
	v_mov_b32_e32 v26, 0
.LBB36_178:
	v_dual_max_f32 v27, v5, v5 :: v_dual_max_f32 v28, v4, v4
	v_dual_max_f32 v21, v21, v21 :: v_dual_max_f32 v20, v20, v20
	v_max_f32_e32 v29, v6, v6
	s_delay_alu instid0(VALU_DEP_2) | instskip(NEXT) | instid1(VALU_DEP_3)
	v_dual_max_f32 v22, v22, v22 :: v_dual_min_f32 v21, v21, v27
	v_dual_min_f32 v20, v20, v28 :: v_dual_max_f32 v27, v7, v7
	s_delay_alu instid0(VALU_DEP_2) | instskip(NEXT) | instid1(VALU_DEP_2)
	v_min_f32_e32 v22, v22, v29
	v_dual_add_f32 v21, v74, v21 :: v_dual_add_f32 v20, v75, v20
	s_delay_alu instid0(VALU_DEP_1) | instskip(NEXT) | instid1(VALU_DEP_1)
	v_dual_max_f32 v23, v23, v23 :: v_dual_add_f32 v20, v20, v22
	v_min_f32_e32 v23, v23, v27
	s_delay_alu instid0(VALU_DEP_1) | instskip(NEXT) | instid1(VALU_DEP_1)
	v_add_f32_e32 v21, v21, v23
	v_add_f32_e32 v20, v20, v21
	s_delay_alu instid0(VALU_DEP_1)
	v_add_f32_e32 v22, v20, v26
	v_add_co_u32 v20, vcc_lo, v38, v24
	v_add_co_ci_u32_e32 v21, vcc_lo, v39, v25, vcc_lo
	global_store_b32 v[20:21], v22, off
	s_or_b32 exec_lo, exec_lo, s0
	s_and_b32 s1, s4, s8
	s_delay_alu instid0(SALU_CYCLE_1)
	s_and_saveexec_b32 s0, s1
	s_cbranch_execz .LBB36_159
.LBB36_179:
	v_cmp_ne_u32_e32 vcc_lo, 1, v100
	v_lshlrev_b64 v[20:21], 2, v[56:57]
	s_cbranch_vccnz .LBB36_181
; %bb.180:
	s_delay_alu instid0(VALU_DEP_1) | instskip(NEXT) | instid1(VALU_DEP_2)
	v_add_co_u32 v22, vcc_lo, v40, v20
	v_add_co_ci_u32_e32 v23, vcc_lo, v41, v21, vcc_lo
	flat_load_b32 v22, v[22:23]
	s_waitcnt vmcnt(0) lgkmcnt(0)
	v_mul_f32_e32 v22, s15, v22
	s_branch .LBB36_182
.LBB36_181:
	v_mov_b32_e32 v22, 0
.LBB36_182:
	v_dual_max_f32 v23, v5, v5 :: v_dual_max_f32 v24, v4, v4
	v_dual_max_f32 v17, v17, v17 :: v_dual_max_f32 v16, v16, v16
	v_max_f32_e32 v25, v6, v6
	s_delay_alu instid0(VALU_DEP_2) | instskip(NEXT) | instid1(VALU_DEP_3)
	v_dual_max_f32 v18, v18, v18 :: v_dual_min_f32 v17, v17, v23
	v_dual_min_f32 v16, v16, v24 :: v_dual_max_f32 v23, v7, v7
	s_delay_alu instid0(VALU_DEP_2) | instskip(NEXT) | instid1(VALU_DEP_2)
	v_dual_min_f32 v18, v18, v25 :: v_dual_max_f32 v19, v19, v19
	v_dual_add_f32 v16, v72, v16 :: v_dual_add_f32 v17, v73, v17
	s_delay_alu instid0(VALU_DEP_1) | instskip(NEXT) | instid1(VALU_DEP_1)
	v_dual_add_f32 v16, v16, v18 :: v_dual_min_f32 v19, v19, v23
	v_add_f32_e32 v17, v17, v19
	s_delay_alu instid0(VALU_DEP_1) | instskip(NEXT) | instid1(VALU_DEP_1)
	v_add_f32_e32 v16, v16, v17
	v_add_f32_e32 v18, v16, v22
	v_add_co_u32 v16, vcc_lo, v38, v20
	v_add_co_ci_u32_e32 v17, vcc_lo, v39, v21, vcc_lo
	global_store_b32 v[16:17], v18, off
	s_or_b32 exec_lo, exec_lo, s0
	s_and_b32 s1, s5, s8
	s_delay_alu instid0(SALU_CYCLE_1)
	s_and_saveexec_b32 s0, s1
	s_cbranch_execz .LBB36_160
.LBB36_183:
	v_cmp_ne_u32_e32 vcc_lo, 1, v100
	v_lshlrev_b64 v[16:17], 2, v[58:59]
	s_cbranch_vccnz .LBB36_185
; %bb.184:
	s_delay_alu instid0(VALU_DEP_1) | instskip(NEXT) | instid1(VALU_DEP_2)
	v_add_co_u32 v18, vcc_lo, v40, v16
	v_add_co_ci_u32_e32 v19, vcc_lo, v41, v17, vcc_lo
	flat_load_b32 v18, v[18:19]
	s_waitcnt vmcnt(0) lgkmcnt(0)
	v_mul_f32_e32 v18, s15, v18
	s_branch .LBB36_186
.LBB36_185:
	v_mov_b32_e32 v18, 0
.LBB36_186:
	v_dual_max_f32 v19, v5, v5 :: v_dual_max_f32 v20, v4, v4
	v_dual_max_f32 v13, v13, v13 :: v_dual_max_f32 v12, v12, v12
	v_max_f32_e32 v21, v6, v6
	s_delay_alu instid0(VALU_DEP_2) | instskip(NEXT) | instid1(VALU_DEP_3)
	v_dual_max_f32 v14, v14, v14 :: v_dual_min_f32 v13, v13, v19
	v_dual_min_f32 v12, v12, v20 :: v_dual_max_f32 v19, v7, v7
	s_delay_alu instid0(VALU_DEP_2) | instskip(NEXT) | instid1(VALU_DEP_2)
	v_min_f32_e32 v14, v14, v21
	v_dual_add_f32 v13, v70, v13 :: v_dual_add_f32 v12, v71, v12
	s_delay_alu instid0(VALU_DEP_1) | instskip(NEXT) | instid1(VALU_DEP_1)
	v_dual_max_f32 v15, v15, v15 :: v_dual_add_f32 v12, v12, v14
	v_min_f32_e32 v15, v15, v19
	s_delay_alu instid0(VALU_DEP_1) | instskip(NEXT) | instid1(VALU_DEP_1)
	v_add_f32_e32 v13, v13, v15
	v_add_f32_e32 v12, v12, v13
	s_delay_alu instid0(VALU_DEP_1)
	v_add_f32_e32 v14, v12, v18
	v_add_co_u32 v12, vcc_lo, v38, v16
	v_add_co_ci_u32_e32 v13, vcc_lo, v39, v17, vcc_lo
	global_store_b32 v[12:13], v14, off
	s_or_b32 exec_lo, exec_lo, s0
	s_and_b32 s1, s6, s8
	s_delay_alu instid0(SALU_CYCLE_1)
	s_and_saveexec_b32 s0, s1
	s_cbranch_execz .LBB36_161
.LBB36_187:
	v_cmp_ne_u32_e32 vcc_lo, 1, v100
	v_lshlrev_b64 v[12:13], 2, v[60:61]
	s_cbranch_vccnz .LBB36_189
; %bb.188:
	s_delay_alu instid0(VALU_DEP_1) | instskip(NEXT) | instid1(VALU_DEP_2)
	v_add_co_u32 v14, vcc_lo, v40, v12
	v_add_co_ci_u32_e32 v15, vcc_lo, v41, v13, vcc_lo
	flat_load_b32 v14, v[14:15]
	s_waitcnt vmcnt(0) lgkmcnt(0)
	v_mul_f32_e32 v14, s15, v14
	s_branch .LBB36_190
.LBB36_189:
	v_mov_b32_e32 v14, 0
.LBB36_190:
	v_dual_max_f32 v15, v5, v5 :: v_dual_max_f32 v16, v4, v4
	v_dual_max_f32 v9, v9, v9 :: v_dual_max_f32 v8, v8, v8
	v_max_f32_e32 v17, v6, v6
	s_delay_alu instid0(VALU_DEP_2) | instskip(NEXT) | instid1(VALU_DEP_3)
	v_dual_max_f32 v10, v10, v10 :: v_dual_min_f32 v9, v9, v15
	v_dual_min_f32 v8, v8, v16 :: v_dual_max_f32 v15, v7, v7
	s_delay_alu instid0(VALU_DEP_2) | instskip(NEXT) | instid1(VALU_DEP_2)
	v_dual_min_f32 v10, v10, v17 :: v_dual_max_f32 v11, v11, v11
	v_dual_add_f32 v8, v68, v8 :: v_dual_add_f32 v9, v69, v9
	s_delay_alu instid0(VALU_DEP_1) | instskip(NEXT) | instid1(VALU_DEP_1)
	v_dual_add_f32 v8, v8, v10 :: v_dual_min_f32 v11, v11, v15
	v_add_f32_e32 v9, v9, v11
	s_delay_alu instid0(VALU_DEP_1) | instskip(NEXT) | instid1(VALU_DEP_1)
	v_add_f32_e32 v8, v8, v9
	v_add_f32_e32 v10, v8, v14
	v_add_co_u32 v8, vcc_lo, v38, v12
	v_add_co_ci_u32_e32 v9, vcc_lo, v39, v13, vcc_lo
	global_store_b32 v[8:9], v10, off
	s_or_b32 exec_lo, exec_lo, s0
	s_and_b32 s0, s7, s8
	s_delay_alu instid0(SALU_CYCLE_1)
	s_and_saveexec_b32 s1, s0
	s_cbranch_execz .LBB36_162
.LBB36_191:
	v_cmp_ne_u32_e32 vcc_lo, 1, v100
	v_lshlrev_b64 v[8:9], 2, v[62:63]
	s_cbranch_vccnz .LBB36_193
; %bb.192:
	s_delay_alu instid0(VALU_DEP_1) | instskip(NEXT) | instid1(VALU_DEP_2)
	v_add_co_u32 v10, vcc_lo, v40, v8
	v_add_co_ci_u32_e32 v11, vcc_lo, v41, v9, vcc_lo
	flat_load_b32 v10, v[10:11]
	s_waitcnt vmcnt(0) lgkmcnt(0)
	v_mul_f32_e32 v10, s15, v10
	s_branch .LBB36_194
.LBB36_193:
	v_mov_b32_e32 v10, 0
.LBB36_194:
	v_dual_max_f32 v5, v5, v5 :: v_dual_max_f32 v4, v4, v4
	v_dual_max_f32 v1, v1, v1 :: v_dual_max_f32 v0, v0, v0
	v_max_f32_e32 v6, v6, v6
	v_dual_max_f32 v2, v2, v2 :: v_dual_max_f32 v3, v3, v3
	s_delay_alu instid0(VALU_DEP_3) | instskip(NEXT) | instid1(VALU_DEP_2)
	v_dual_min_f32 v1, v1, v5 :: v_dual_min_f32 v0, v0, v4
	v_dual_max_f32 v5, v7, v7 :: v_dual_min_f32 v2, v2, v6
	s_delay_alu instid0(VALU_DEP_2) | instskip(NEXT) | instid1(VALU_DEP_1)
	v_dual_add_f32 v1, v67, v1 :: v_dual_add_f32 v0, v66, v0
	v_dual_min_f32 v3, v3, v5 :: v_dual_add_f32 v0, v0, v2
	s_delay_alu instid0(VALU_DEP_1) | instskip(NEXT) | instid1(VALU_DEP_1)
	v_add_f32_e32 v1, v1, v3
	v_add_f32_e32 v0, v0, v1
	s_delay_alu instid0(VALU_DEP_1)
	v_add_f32_e32 v2, v0, v10
	v_add_co_u32 v0, vcc_lo, v38, v8
	v_add_co_ci_u32_e32 v1, vcc_lo, v39, v9, vcc_lo
	global_store_b32 v[0:1], v2, off
	s_nop 0
	s_sendmsg sendmsg(MSG_DEALLOC_VGPRS)
	s_endpgm
	.section	.rodata,"a",@progbits
	.p2align	6, 0x0
	.amdhsa_kernel _ZN12_GLOBAL__N_120geam_min_plus_kernelIf15HIP_vector_typeIfLj2EES2_Li8ELi32ELi64ELi128ELi4ELi4ELi64ELi4ELi64ELc84ELc78ELb0ELb1ELb0EPKfKS4_KPfEEviiiT16_PT17_ilSA_ilS8_SA_ilPT18_ili26rocblas_geam_ex_operation_
		.amdhsa_group_segment_fixed_size 6144
		.amdhsa_private_segment_fixed_size 0
		.amdhsa_kernarg_size 136
		.amdhsa_user_sgpr_count 14
		.amdhsa_user_sgpr_dispatch_ptr 0
		.amdhsa_user_sgpr_queue_ptr 0
		.amdhsa_user_sgpr_kernarg_segment_ptr 1
		.amdhsa_user_sgpr_dispatch_id 0
		.amdhsa_user_sgpr_private_segment_size 0
		.amdhsa_wavefront_size32 1
		.amdhsa_uses_dynamic_stack 0
		.amdhsa_enable_private_segment 0
		.amdhsa_system_sgpr_workgroup_id_x 1
		.amdhsa_system_sgpr_workgroup_id_y 0
		.amdhsa_system_sgpr_workgroup_id_z 1
		.amdhsa_system_sgpr_workgroup_info 0
		.amdhsa_system_vgpr_workitem_id 1
		.amdhsa_next_free_vgpr 227
		.amdhsa_next_free_sgpr 29
		.amdhsa_reserve_vcc 1
		.amdhsa_float_round_mode_32 0
		.amdhsa_float_round_mode_16_64 0
		.amdhsa_float_denorm_mode_32 3
		.amdhsa_float_denorm_mode_16_64 3
		.amdhsa_dx10_clamp 1
		.amdhsa_ieee_mode 1
		.amdhsa_fp16_overflow 0
		.amdhsa_workgroup_processor_mode 1
		.amdhsa_memory_ordered 1
		.amdhsa_forward_progress 0
		.amdhsa_shared_vgpr_count 0
		.amdhsa_exception_fp_ieee_invalid_op 0
		.amdhsa_exception_fp_denorm_src 0
		.amdhsa_exception_fp_ieee_div_zero 0
		.amdhsa_exception_fp_ieee_overflow 0
		.amdhsa_exception_fp_ieee_underflow 0
		.amdhsa_exception_fp_ieee_inexact 0
		.amdhsa_exception_int_div_zero 0
	.end_amdhsa_kernel
	.section	.text._ZN12_GLOBAL__N_120geam_min_plus_kernelIf15HIP_vector_typeIfLj2EES2_Li8ELi32ELi64ELi128ELi4ELi4ELi64ELi4ELi64ELc84ELc78ELb0ELb1ELb0EPKfKS4_KPfEEviiiT16_PT17_ilSA_ilS8_SA_ilPT18_ili26rocblas_geam_ex_operation_,"axG",@progbits,_ZN12_GLOBAL__N_120geam_min_plus_kernelIf15HIP_vector_typeIfLj2EES2_Li8ELi32ELi64ELi128ELi4ELi4ELi64ELi4ELi64ELc84ELc78ELb0ELb1ELb0EPKfKS4_KPfEEviiiT16_PT17_ilSA_ilS8_SA_ilPT18_ili26rocblas_geam_ex_operation_,comdat
.Lfunc_end36:
	.size	_ZN12_GLOBAL__N_120geam_min_plus_kernelIf15HIP_vector_typeIfLj2EES2_Li8ELi32ELi64ELi128ELi4ELi4ELi64ELi4ELi64ELc84ELc78ELb0ELb1ELb0EPKfKS4_KPfEEviiiT16_PT17_ilSA_ilS8_SA_ilPT18_ili26rocblas_geam_ex_operation_, .Lfunc_end36-_ZN12_GLOBAL__N_120geam_min_plus_kernelIf15HIP_vector_typeIfLj2EES2_Li8ELi32ELi64ELi128ELi4ELi4ELi64ELi4ELi64ELc84ELc78ELb0ELb1ELb0EPKfKS4_KPfEEviiiT16_PT17_ilSA_ilS8_SA_ilPT18_ili26rocblas_geam_ex_operation_
                                        ; -- End function
	.section	.AMDGPU.csdata,"",@progbits
; Kernel info:
; codeLenInByte = 13340
; NumSgprs: 31
; NumVgprs: 227
; ScratchSize: 0
; MemoryBound: 0
; FloatMode: 240
; IeeeMode: 1
; LDSByteSize: 6144 bytes/workgroup (compile time only)
; SGPRBlocks: 3
; VGPRBlocks: 28
; NumSGPRsForWavesPerEU: 31
; NumVGPRsForWavesPerEU: 227
; Occupancy: 6
; WaveLimiterHint : 1
; COMPUTE_PGM_RSRC2:SCRATCH_EN: 0
; COMPUTE_PGM_RSRC2:USER_SGPR: 14
; COMPUTE_PGM_RSRC2:TRAP_HANDLER: 0
; COMPUTE_PGM_RSRC2:TGID_X_EN: 1
; COMPUTE_PGM_RSRC2:TGID_Y_EN: 0
; COMPUTE_PGM_RSRC2:TGID_Z_EN: 1
; COMPUTE_PGM_RSRC2:TIDIG_COMP_CNT: 1
	.section	.text._ZN12_GLOBAL__N_120geam_min_plus_kernelIf15HIP_vector_typeIfLj2EES2_Li8ELi32ELi64ELi128ELi4ELi4ELi64ELi4ELi64ELc84ELc78ELb1ELb1ELb0EfKPKfKPfEEviiiT16_PT17_ilSA_ilS8_SA_ilPT18_ili26rocblas_geam_ex_operation_,"axG",@progbits,_ZN12_GLOBAL__N_120geam_min_plus_kernelIf15HIP_vector_typeIfLj2EES2_Li8ELi32ELi64ELi128ELi4ELi4ELi64ELi4ELi64ELc84ELc78ELb1ELb1ELb0EfKPKfKPfEEviiiT16_PT17_ilSA_ilS8_SA_ilPT18_ili26rocblas_geam_ex_operation_,comdat
	.globl	_ZN12_GLOBAL__N_120geam_min_plus_kernelIf15HIP_vector_typeIfLj2EES2_Li8ELi32ELi64ELi128ELi4ELi4ELi64ELi4ELi64ELc84ELc78ELb1ELb1ELb0EfKPKfKPfEEviiiT16_PT17_ilSA_ilS8_SA_ilPT18_ili26rocblas_geam_ex_operation_ ; -- Begin function _ZN12_GLOBAL__N_120geam_min_plus_kernelIf15HIP_vector_typeIfLj2EES2_Li8ELi32ELi64ELi128ELi4ELi4ELi64ELi4ELi64ELc84ELc78ELb1ELb1ELb0EfKPKfKPfEEviiiT16_PT17_ilSA_ilS8_SA_ilPT18_ili26rocblas_geam_ex_operation_
	.p2align	8
	.type	_ZN12_GLOBAL__N_120geam_min_plus_kernelIf15HIP_vector_typeIfLj2EES2_Li8ELi32ELi64ELi128ELi4ELi4ELi64ELi4ELi64ELc84ELc78ELb1ELb1ELb0EfKPKfKPfEEviiiT16_PT17_ilSA_ilS8_SA_ilPT18_ili26rocblas_geam_ex_operation_,@function
_ZN12_GLOBAL__N_120geam_min_plus_kernelIf15HIP_vector_typeIfLj2EES2_Li8ELi32ELi64ELi128ELi4ELi4ELi64ELi4ELi64ELc84ELc78ELb1ELb1ELb0EfKPKfKPfEEviiiT16_PT17_ilSA_ilS8_SA_ilPT18_ili26rocblas_geam_ex_operation_: ; @_ZN12_GLOBAL__N_120geam_min_plus_kernelIf15HIP_vector_typeIfLj2EES2_Li8ELi32ELi64ELi128ELi4ELi4ELi64ELi4ELi64ELc84ELc78ELb1ELb1ELb0EfKPKfKPfEEviiiT16_PT17_ilSA_ilS8_SA_ilPT18_ili26rocblas_geam_ex_operation_
; %bb.0:
	s_clause 0x1
	s_load_b128 s[16:19], s[0:1], 0x0
	s_load_b128 s[4:7], s[0:1], 0x20
	s_mov_b32 s2, s15
	s_mov_b32 s3, 0
	s_waitcnt lgkmcnt(0)
	v_cmp_eq_f32_e64 s10, s19, 0
	s_delay_alu instid0(VALU_DEP_1)
	s_and_b32 vcc_lo, exec_lo, s10
	s_cbranch_vccnz .LBB37_3
; %bb.1:
	s_load_b64 s[8:9], s[0:1], 0x10
	s_lshl_b64 s[12:13], s[2:3], 3
	s_waitcnt lgkmcnt(0)
	s_add_u32 s8, s8, s12
	s_addc_u32 s9, s9, s13
	s_lshl_b64 s[4:5], s[4:5], 2
	s_load_b64 s[8:9], s[8:9], 0x0
	s_waitcnt lgkmcnt(0)
	s_add_u32 s8, s8, s4
	s_addc_u32 s9, s9, s5
	s_and_not1_b32 vcc_lo, exec_lo, s10
	s_cbranch_vccnz .LBB37_4
.LBB37_2:
	s_mov_b64 s[12:13], 0
	s_and_not1_b32 vcc_lo, exec_lo, s3
	s_cbranch_vccz .LBB37_5
	s_branch .LBB37_6
.LBB37_3:
	s_mov_b64 s[8:9], 0
	s_and_not1_b32 vcc_lo, exec_lo, s10
	s_cbranch_vccz .LBB37_2
.LBB37_4:
	s_mov_b32 s3, -1
                                        ; implicit-def: $sgpr12_sgpr13
.LBB37_5:
	s_mov_b32 s3, 0
	s_load_b64 s[10:11], s[0:1], 0x38
	s_lshl_b64 s[4:5], s[2:3], 3
	s_delay_alu instid0(SALU_CYCLE_1) | instskip(SKIP_4) | instid1(SALU_CYCLE_1)
	s_add_u32 s4, s6, s4
	s_addc_u32 s5, s7, s5
	s_load_b64 s[4:5], s[4:5], 0x0
	s_waitcnt lgkmcnt(0)
	s_lshl_b64 s[6:7], s[10:11], 2
	s_add_u32 s12, s4, s6
	s_addc_u32 s13, s5, s7
.LBB37_6:
	s_clause 0x1
	s_load_b32 s15, s[0:1], 0x40
	s_load_b128 s[4:7], s[0:1], 0x58
	s_waitcnt lgkmcnt(0)
	v_cmp_eq_f32_e64 s10, s15, 0
	v_cmp_neq_f32_e64 s19, s15, 0
	s_delay_alu instid0(VALU_DEP_2)
	s_and_b32 vcc_lo, exec_lo, s10
	s_cbranch_vccnz .LBB37_8
; %bb.7:
	s_load_b64 s[10:11], s[0:1], 0x48
	s_lshl_b64 s[20:21], s[2:3], 3
	s_waitcnt lgkmcnt(0)
	s_add_u32 s10, s10, s20
	s_addc_u32 s11, s11, s21
	s_lshl_b64 s[4:5], s[4:5], 2
	s_load_b64 s[10:11], s[10:11], 0x0
	s_waitcnt lgkmcnt(0)
	s_add_u32 s10, s10, s4
	s_addc_u32 s11, s11, s5
	s_branch .LBB37_9
.LBB37_8:
	s_mov_b64 s[10:11], 0
.LBB37_9:
	s_lshl_b64 s[2:3], s[2:3], 3
	v_and_b32_e32 v50, 0x3ff, v0
	s_add_u32 s4, s6, s2
	s_addc_u32 s5, s7, s3
	s_add_i32 s2, s16, -1
	v_bfe_u32 v51, v0, 10, 10
	s_ashr_i32 s3, s2, 31
	s_load_b32 s23, s[0:1], 0x18
	s_lshr_b32 s3, s3, 26
	v_and_b32_e32 v48, 3, v50
	s_add_i32 s2, s2, s3
	v_lshl_add_u32 v0, v51, 3, v50
	s_ashr_i32 s2, s2, 6
	s_delay_alu instid0(SALU_CYCLE_1) | instskip(SKIP_4) | instid1(VALU_DEP_3)
	s_add_i32 s20, s2, 1
	s_not_b32 s2, s2
	v_cvt_f32_u32_e32 v1, s20
	v_lshrrev_b32_e32 v2, 2, v0
	v_lshlrev_b32_e32 v52, 2, v48
	v_rcp_iflag_f32_e32 v1, v1
	s_waitcnt_depctr 0xfff
	v_mul_f32_e32 v1, 0x4f7ffffe, v1
	s_delay_alu instid0(VALU_DEP_1) | instskip(NEXT) | instid1(VALU_DEP_1)
	v_cvt_u32_f32_e32 v1, v1
	v_readfirstlane_b32 s3, v1
                                        ; implicit-def: $vgpr0_vgpr1
	s_delay_alu instid0(VALU_DEP_1) | instskip(NEXT) | instid1(SALU_CYCLE_1)
	s_mul_i32 s2, s2, s3
	s_mul_hi_u32 s2, s3, s2
	s_delay_alu instid0(SALU_CYCLE_1) | instskip(NEXT) | instid1(SALU_CYCLE_1)
	s_add_i32 s3, s3, s2
	s_mul_hi_u32 s2, s14, s3
	s_delay_alu instid0(SALU_CYCLE_1) | instskip(SKIP_2) | instid1(SALU_CYCLE_1)
	s_mul_i32 s3, s2, s20
	s_add_i32 s6, s2, 1
	s_sub_i32 s3, s14, s3
	s_sub_i32 s7, s3, s20
	s_cmp_ge_u32 s3, s20
	s_cselect_b32 s2, s6, s2
	s_cselect_b32 s3, s7, s3
	s_add_i32 s6, s2, 1
	s_cmp_ge_u32 s3, s20
	s_cselect_b32 s3, s6, s2
	s_load_b64 s[6:7], s[4:5], 0x0
	s_mul_i32 s24, s3, s20
	v_cmp_le_i32_e64 s4, s18, v48
	s_sub_i32 s2, s14, s24
	s_delay_alu instid0(SALU_CYCLE_1) | instskip(NEXT) | instid1(SALU_CYCLE_1)
	s_lshl_b32 s20, s2, 6
	v_add_nc_u32_e32 v8, s20, v2
	s_delay_alu instid0(VALU_DEP_1) | instskip(SKIP_1) | instid1(SALU_CYCLE_1)
	v_cmp_le_i32_e32 vcc_lo, s16, v8
	s_or_b32 s2, s4, vcc_lo
	s_xor_b32 s2, s2, -1
	s_delay_alu instid0(SALU_CYCLE_1) | instskip(NEXT) | instid1(SALU_CYCLE_1)
	s_and_saveexec_b32 s5, s2
	s_xor_b32 s5, exec_lo, s5
	s_cbranch_execz .LBB37_11
; %bb.10:
	s_waitcnt lgkmcnt(0)
	v_mad_i64_i32 v[0:1], null, v8, s23, 0
	v_mov_b32_e32 v49, 0
	s_delay_alu instid0(VALU_DEP_2) | instskip(NEXT) | instid1(VALU_DEP_1)
	v_lshlrev_b64 v[0:1], 2, v[0:1]
	v_add_co_u32 v0, s2, s8, v0
	s_delay_alu instid0(VALU_DEP_1) | instskip(NEXT) | instid1(VALU_DEP_2)
	v_add_co_ci_u32_e64 v1, s2, s9, v1, s2
	v_add_co_u32 v3, s2, v0, v52
	s_delay_alu instid0(VALU_DEP_1)
	v_add_co_ci_u32_e64 v4, s2, 0, v1, s2
	v_dual_mov_b32 v0, v48 :: v_dual_mov_b32 v1, v49
	flat_load_b32 v49, v[3:4]
.LBB37_11:
	s_and_not1_saveexec_b32 s2, s5
	s_cbranch_execz .LBB37_13
; %bb.12:
	s_waitcnt vmcnt(0) lgkmcnt(0)
	v_mov_b32_e32 v49, 0
	s_delay_alu instid0(VALU_DEP_1)
	v_dual_mov_b32 v0, v48 :: v_dual_mov_b32 v1, v49
.LBB37_13:
	s_or_b32 exec_lo, exec_lo, s2
	s_load_b32 s25, s[0:1], 0x30
	s_lshl_b32 s21, s3, 7
	s_delay_alu instid0(VALU_DEP_1) | instskip(SKIP_2) | instid1(VALU_DEP_3)
	v_lshlrev_b64 v[0:1], 2, v[0:1]
	v_dual_mov_b32 v6, 0 :: v_dual_add_nc_u32 v3, s21, v2
	v_mov_b32_e32 v7, 0
	v_add_co_u32 v0, s3, s12, v0
	s_delay_alu instid0(VALU_DEP_3) | instskip(SKIP_1) | instid1(VALU_DEP_2)
	v_cmp_le_i32_e64 s2, s17, v3
	v_add_co_ci_u32_e64 v1, s3, s13, v1, s3
	s_or_b32 s3, s4, s2
	s_delay_alu instid0(SALU_CYCLE_1) | instskip(NEXT) | instid1(SALU_CYCLE_1)
	s_xor_b32 s3, s3, -1
	s_and_saveexec_b32 s5, s3
	s_cbranch_execz .LBB37_15
; %bb.14:
	s_waitcnt lgkmcnt(0)
	v_mad_i64_i32 v[4:5], null, v3, s25, 0
	s_delay_alu instid0(VALU_DEP_1) | instskip(NEXT) | instid1(VALU_DEP_1)
	v_lshlrev_b64 v[4:5], 2, v[4:5]
	v_add_co_u32 v4, s3, v0, v4
	s_delay_alu instid0(VALU_DEP_1)
	v_add_co_ci_u32_e64 v5, s3, v1, v5, s3
	flat_load_b32 v7, v[4:5]
.LBB37_15:
	s_or_b32 exec_lo, exec_lo, s5
	v_add_nc_u32_e32 v4, 64, v3
	s_delay_alu instid0(VALU_DEP_1) | instskip(NEXT) | instid1(VALU_DEP_1)
	v_cmp_le_i32_e64 s3, s17, v4
	s_or_b32 s4, s4, s3
	s_delay_alu instid0(SALU_CYCLE_1) | instskip(NEXT) | instid1(SALU_CYCLE_1)
	s_xor_b32 s4, s4, -1
	s_and_saveexec_b32 s5, s4
	s_cbranch_execz .LBB37_17
; %bb.16:
	s_waitcnt lgkmcnt(0)
	v_mad_i64_i32 v[5:6], null, v4, s25, 0
	s_delay_alu instid0(VALU_DEP_1) | instskip(NEXT) | instid1(VALU_DEP_1)
	v_lshlrev_b64 v[5:6], 2, v[5:6]
	v_add_co_u32 v0, s4, v0, v5
	s_delay_alu instid0(VALU_DEP_1)
	v_add_co_ci_u32_e64 v1, s4, v1, v6, s4
	flat_load_b32 v6, v[0:1]
.LBB37_17:
	s_or_b32 exec_lo, exec_lo, s5
	v_or_b32_e32 v0, 4, v48
                                        ; implicit-def: $vgpr5
	s_delay_alu instid0(VALU_DEP_1) | instskip(NEXT) | instid1(VALU_DEP_1)
	v_cmp_le_i32_e64 s4, s18, v0
	s_or_b32 s5, s4, vcc_lo
	s_delay_alu instid0(SALU_CYCLE_1) | instskip(NEXT) | instid1(SALU_CYCLE_1)
	s_xor_b32 s5, s5, -1
	s_and_saveexec_b32 s22, s5
	s_delay_alu instid0(SALU_CYCLE_1)
	s_xor_b32 s22, exec_lo, s22
	s_cbranch_execz .LBB37_19
; %bb.18:
	s_waitcnt lgkmcnt(0)
	v_mad_i64_i32 v[9:10], null, v8, s23, 0
	s_delay_alu instid0(VALU_DEP_1) | instskip(NEXT) | instid1(VALU_DEP_1)
	v_lshlrev_b64 v[8:9], 2, v[9:10]
	v_add_co_u32 v1, s5, s8, v8
	s_delay_alu instid0(VALU_DEP_1) | instskip(NEXT) | instid1(VALU_DEP_2)
	v_add_co_ci_u32_e64 v5, s5, s9, v9, s5
	v_add_co_u32 v8, s5, v1, v52
	s_delay_alu instid0(VALU_DEP_1)
	v_add_co_ci_u32_e64 v9, s5, 0, v5, s5
	v_mov_b32_e32 v1, 0
	flat_load_b32 v5, v[8:9] offset:16
.LBB37_19:
	s_and_not1_saveexec_b32 s5, s22
	s_cbranch_execz .LBB37_21
; %bb.20:
	v_mov_b32_e32 v1, 0
	s_waitcnt vmcnt(0) lgkmcnt(0)
	s_delay_alu instid0(VALU_DEP_1)
	v_mov_b32_e32 v5, v1
.LBB37_21:
	s_or_b32 exec_lo, exec_lo, s5
	v_lshlrev_b64 v[8:9], 2, v[0:1]
	v_dual_mov_b32 v0, 0 :: v_dual_mov_b32 v1, 0
	s_delay_alu instid0(VALU_DEP_2) | instskip(NEXT) | instid1(VALU_DEP_1)
	v_add_co_u32 v8, s5, s12, v8
	v_add_co_ci_u32_e64 v9, s5, s13, v9, s5
	s_or_b32 s5, s4, s2
	s_delay_alu instid0(SALU_CYCLE_1) | instskip(NEXT) | instid1(SALU_CYCLE_1)
	s_xor_b32 s5, s5, -1
	s_and_saveexec_b32 s22, s5
	s_cbranch_execz .LBB37_23
; %bb.22:
	s_waitcnt lgkmcnt(0)
	v_mad_i64_i32 v[10:11], null, v3, s25, 0
	s_delay_alu instid0(VALU_DEP_1) | instskip(NEXT) | instid1(VALU_DEP_1)
	v_lshlrev_b64 v[10:11], 2, v[10:11]
	v_add_co_u32 v10, s5, v8, v10
	s_delay_alu instid0(VALU_DEP_1)
	v_add_co_ci_u32_e64 v11, s5, v9, v11, s5
	flat_load_b32 v1, v[10:11]
.LBB37_23:
	s_or_b32 exec_lo, exec_lo, s22
	s_or_b32 s4, s4, s3
	s_delay_alu instid0(SALU_CYCLE_1) | instskip(NEXT) | instid1(SALU_CYCLE_1)
	s_xor_b32 s4, s4, -1
	s_and_saveexec_b32 s5, s4
	s_cbranch_execz .LBB37_25
; %bb.24:
	s_waitcnt lgkmcnt(0)
	v_mad_i64_i32 v[10:11], null, v4, s25, 0
	s_delay_alu instid0(VALU_DEP_1) | instskip(NEXT) | instid1(VALU_DEP_1)
	v_lshlrev_b64 v[10:11], 2, v[10:11]
	v_add_co_u32 v8, s4, v8, v10
	s_delay_alu instid0(VALU_DEP_1)
	v_add_co_ci_u32_e64 v9, s4, v9, v11, s4
	flat_load_b32 v0, v[8:9]
.LBB37_25:
	s_or_b32 exec_lo, exec_lo, s5
	v_lshl_or_b32 v55, v2, 4, v52
	v_lshlrev_b32_e32 v53, 4, v51
	v_lshlrev_b32_e32 v54, 4, v50
	s_mov_b32 s22, 0
	s_cmp_lt_i32 s18, 9
	s_waitcnt vmcnt(0) lgkmcnt(0)
	ds_store_b32 v55, v49 offset:4096
	ds_store_2addr_stride64_b32 v55, v7, v6 offset1:4
	s_waitcnt lgkmcnt(0)
	s_barrier
	buffer_gl0_inv
	ds_load_b128 v[6:9], v53
	ds_load_b128 v[10:13], v54 offset:4096
	ds_load_b128 v[14:17], v54 offset:4224
	;; [unrolled: 1-line block ×11, first 2 shown]
	ds_store_b32 v55, v5 offset:5120
	ds_store_2addr_stride64_b32 v55, v1, v0 offset0:8 offset1:12
	s_waitcnt lgkmcnt(0)
	s_barrier
	buffer_gl0_inv
	v_dual_max_f32 v7, v7, v7 :: v_dual_max_f32 v6, v6, v6
	v_dual_max_f32 v10, v10, v10 :: v_dual_max_f32 v11, v11, v11
	;; [unrolled: 1-line block ×3, first 2 shown]
	v_max_f32_e32 v18, v18, v18
	s_delay_alu instid0(VALU_DEP_3)
	v_dual_min_f32 v46, v10, v6 :: v_dual_max_f32 v19, v19, v19
	v_dual_max_f32 v22, v22, v22 :: v_dual_max_f32 v23, v23, v23
	v_dual_max_f32 v26, v26, v26 :: v_dual_max_f32 v27, v27, v27
	;; [unrolled: 1-line block ×7, first 2 shown]
	v_min_f32_e32 v47, v11, v7
	v_dual_min_f32 v49, v14, v6 :: v_dual_min_f32 v64, v15, v7
	v_dual_min_f32 v65, v18, v6 :: v_dual_min_f32 v66, v19, v7
	;; [unrolled: 1-line block ×6, first 2 shown]
	v_dual_min_f32 v6, v38, v6 :: v_dual_max_f32 v39, v39, v39
	v_dual_max_f32 v8, v8, v8 :: v_dual_max_f32 v13, v13, v13
	v_dual_max_f32 v12, v12, v12 :: v_dual_min_f32 v75, v10, v42
	v_dual_max_f32 v16, v16, v16 :: v_dual_max_f32 v17, v17, v17
	v_dual_min_f32 v76, v11, v43 :: v_dual_max_f32 v21, v21, v21
	v_min_f32_e32 v78, v15, v43
	v_dual_min_f32 v86, v10, v56 :: v_dual_max_f32 v57, v57, v57
	v_dual_max_f32 v44, v44, v44 :: v_dual_max_f32 v117, v59, v59
	v_dual_min_f32 v88, v18, v56 :: v_dual_max_f32 v59, v61, v61
	v_dual_max_f32 v100, v58, v58 :: v_dual_max_f32 v123, v63, v63
	v_dual_max_f32 v58, v60, v60 :: v_dual_min_f32 v91, v31, v43
	v_min_f32_e32 v7, v39, v7
	v_dual_min_f32 v77, v14, v42 :: v_dual_max_f32 v20, v20, v20
	v_dual_min_f32 v79, v18, v42 :: v_dual_max_f32 v24, v24, v24
	v_dual_max_f32 v25, v25, v25 :: v_dual_min_f32 v80, v19, v43
	v_dual_min_f32 v81, v22, v42 :: v_dual_max_f32 v28, v28, v28
	v_dual_max_f32 v29, v29, v29 :: v_dual_min_f32 v82, v23, v43
	;; [unrolled: 2-line block ×3, first 2 shown]
	v_dual_max_f32 v36, v36, v36 :: v_dual_min_f32 v85, v34, v42
	v_dual_min_f32 v42, v38, v42 :: v_dual_max_f32 v41, v41, v41
	v_dual_min_f32 v87, v14, v56 :: v_dual_min_f32 v90, v27, v43
	v_dual_min_f32 v89, v22, v56 :: v_dual_min_f32 v92, v35, v43
	v_dual_max_f32 v122, v62, v62 :: v_dual_min_f32 v43, v39, v43
	v_dual_min_f32 v124, v26, v56 :: v_dual_min_f32 v93, v11, v57
	v_dual_min_f32 v125, v30, v56 :: v_dual_min_f32 v94, v15, v57
	;; [unrolled: 1-line block ×11, first 2 shown]
	v_min_f32_e32 v38, v38, v58
	v_dual_min_f32 v130, v31, v57 :: v_dual_add_f32 v47, 0, v47
	v_dual_min_f32 v132, v39, v57 :: v_dual_min_f32 v57, v12, v8
	v_min_f32_e32 v31, v31, v59
	v_dual_min_f32 v35, v35, v59 :: v_dual_min_f32 v56, v13, v9
	v_dual_min_f32 v39, v39, v59 :: v_dual_add_f32 v46, 0, v46
	v_dual_add_f32 v58, 0, v64 :: v_dual_min_f32 v59, v17, v9
	v_dual_add_f32 v49, 0, v49 :: v_dual_min_f32 v60, v16, v8
	;; [unrolled: 1-line block ×3, first 2 shown]
	s_delay_alu instid0(VALU_DEP_4) | instskip(NEXT) | instid1(VALU_DEP_3)
	v_dual_add_f32 v121, v47, v56 :: v_dual_add_f32 v120, v46, v57
	v_dual_add_f32 v118, v58, v59 :: v_dual_add_f32 v119, v49, v60
	s_delay_alu instid0(VALU_DEP_3) | instskip(SKIP_3) | instid1(VALU_DEP_3)
	v_dual_add_f32 v56, v61, v62 :: v_dual_min_f32 v47, v20, v8
	v_dual_add_f32 v46, 0, v65 :: v_dual_add_f32 v49, 0, v68
	v_dual_min_f32 v58, v25, v9 :: v_dual_add_f32 v59, 0, v67
	v_dual_min_f32 v60, v24, v8 :: v_dual_add_f32 v61, 0, v70
	;; [unrolled: 1-line block ×3, first 2 shown]
	v_dual_add_f32 v63, 0, v69 :: v_dual_min_f32 v64, v28, v8
	v_dual_max_f32 v40, v40, v40 :: v_dual_max_f32 v45, v45, v45
	s_delay_alu instid0(VALU_DEP_4) | instskip(NEXT) | instid1(VALU_DEP_3)
	v_dual_add_f32 v58, v49, v58 :: v_dual_add_f32 v59, v59, v60
	v_dual_add_f32 v60, v61, v62 :: v_dual_add_f32 v61, v63, v64
	v_dual_add_f32 v46, 0, v72 :: v_dual_min_f32 v47, v33, v9
	v_dual_add_f32 v49, 0, v71 :: v_dual_min_f32 v62, v32, v8
	;; [unrolled: 1-line block ×4, first 2 shown]
	s_delay_alu instid0(VALU_DEP_3) | instskip(SKIP_1) | instid1(VALU_DEP_4)
	v_dual_add_f32 v7, 0, v7 :: v_dual_add_f32 v62, v49, v62
	v_dual_min_f32 v9, v41, v9 :: v_dual_add_f32 v6, 0, v6
	v_dual_add_f32 v63, v46, v47 :: v_dual_add_f32 v64, v64, v65
	s_delay_alu instid0(VALU_DEP_4) | instskip(NEXT) | instid1(VALU_DEP_3)
	v_add_f32_e32 v65, v66, v67
	v_dual_add_f32 v115, v7, v9 :: v_dual_add_f32 v46, 0, v75
	v_dual_min_f32 v7, v40, v8 :: v_dual_min_f32 v66, v17, v45
	v_dual_add_f32 v8, 0, v76 :: v_dual_min_f32 v9, v13, v45
	v_min_f32_e32 v68, v16, v44
	s_delay_alu instid0(VALU_DEP_3) | instskip(NEXT) | instid1(VALU_DEP_3)
	v_dual_min_f32 v47, v12, v44 :: v_dual_add_f32 v116, v6, v7
	v_dual_add_f32 v49, 0, v78 :: v_dual_add_f32 v114, v8, v9
	v_dual_add_f32 v67, 0, v77 :: v_dual_add_f32 v6, 0, v80
	s_delay_alu instid0(VALU_DEP_3) | instskip(NEXT) | instid1(VALU_DEP_3)
	v_add_f32_e32 v113, v46, v47
	v_dual_add_f32 v111, v49, v66 :: v_dual_add_f32 v8, 0, v79
	s_delay_alu instid0(VALU_DEP_3) | instskip(SKIP_3) | instid1(VALU_DEP_4)
	v_dual_add_f32 v112, v67, v68 :: v_dual_min_f32 v7, v21, v45
	v_dual_add_f32 v46, 0, v82 :: v_dual_min_f32 v9, v20, v44
	v_min_f32_e32 v68, v29, v45
	v_dual_min_f32 v47, v25, v45 :: v_dual_min_f32 v66, v24, v44
	v_dual_add_f32 v49, 0, v81 :: v_dual_add_f32 v110, v6, v7
	v_dual_add_f32 v67, 0, v90 :: v_dual_add_f32 v6, 0, v83
	s_delay_alu instid0(VALU_DEP_2) | instskip(NEXT) | instid1(VALU_DEP_4)
	v_dual_add_f32 v109, v8, v9 :: v_dual_add_f32 v108, v49, v66
	v_dual_add_f32 v107, v46, v47 :: v_dual_add_f32 v46, 0, v84
	s_delay_alu instid0(VALU_DEP_3) | instskip(SKIP_2) | instid1(VALU_DEP_2)
	v_dual_add_f32 v105, v67, v68 :: v_dual_add_f32 v8, 0, v91
	v_dual_min_f32 v7, v28, v44 :: v_dual_min_f32 v66, v37, v45
	v_dual_min_f32 v9, v33, v45 :: v_dual_min_f32 v68, v36, v44
	v_dual_min_f32 v47, v32, v44 :: v_dual_add_f32 v106, v6, v7
	s_delay_alu instid0(VALU_DEP_2) | instskip(SKIP_1) | instid1(VALU_DEP_3)
	v_dual_add_f32 v49, 0, v92 :: v_dual_add_f32 v104, v8, v9
	v_dual_add_f32 v67, 0, v85 :: v_dual_add_f32 v6, 0, v43
	v_add_f32_e32 v103, v46, v47
	s_delay_alu instid0(VALU_DEP_3)
	v_add_f32_e32 v101, v49, v66
	v_dual_min_f32 v7, v41, v45 :: v_dual_add_f32 v8, 0, v42
	v_dual_min_f32 v9, v40, v44 :: v_dual_add_f32 v44, 0, v86
	v_add_f32_e32 v42, 0, v93
	v_dual_min_f32 v43, v13, v117 :: v_dual_add_f32 v46, 0, v94
	v_min_f32_e32 v47, v17, v117
	s_delay_alu instid0(VALU_DEP_4) | instskip(SKIP_1) | instid1(VALU_DEP_3)
	v_dual_add_f32 v99, v6, v7 :: v_dual_add_f32 v98, v8, v9
	v_dual_add_f32 v6, 0, v87 :: v_dual_min_f32 v45, v12, v100
	v_add_f32_e32 v94, v46, v47
	v_add_f32_e32 v97, v42, v43
	v_dual_min_f32 v7, v16, v100 :: v_dual_add_f32 v8, 0, v95
	v_dual_min_f32 v9, v21, v117 :: v_dual_add_f32 v42, 0, v88
	;; [unrolled: 1-line block ×3, first 2 shown]
	v_min_f32_e32 v47, v24, v100
	v_add_f32_e32 v96, v44, v45
	v_dual_add_f32 v44, 0, v128 :: v_dual_min_f32 v45, v25, v117
	v_dual_add_f32 v95, v6, v7 :: v_dual_add_f32 v92, v8, v9
	s_delay_alu instid0(VALU_DEP_4)
	v_dual_add_f32 v6, 0, v129 :: v_dual_add_f32 v91, v46, v47
	v_dual_add_f32 v8, 0, v124 :: v_dual_min_f32 v7, v29, v117
	v_min_f32_e32 v9, v28, v100
	v_dual_add_f32 v93, v42, v43 :: v_dual_add_f32 v90, v44, v45
	v_dual_add_f32 v42, 0, v130 :: v_dual_min_f32 v43, v33, v117
	v_add_f32_e32 v46, 0, v131
	v_add_f32_e32 v44, 0, v125
	v_min_f32_e32 v47, v37, v117
	v_dual_add_f32 v89, v6, v7 :: v_dual_add_f32 v88, v8, v9
	v_dual_add_f32 v6, 0, v126 :: v_dual_min_f32 v7, v36, v100
	v_dual_add_f32 v8, 0, v132 :: v_dual_min_f32 v9, v41, v117
	s_delay_alu instid0(VALU_DEP_4)
	v_dual_min_f32 v45, v32, v100 :: v_dual_add_f32 v84, v46, v47
	v_add_f32_e32 v87, v42, v43
	v_dual_add_f32 v42, 0, v127 :: v_dual_min_f32 v43, v40, v100
	v_dual_add_f32 v10, 0, v10 :: v_dual_add_f32 v11, 0, v11
	v_dual_min_f32 v12, v12, v122 :: v_dual_min_f32 v13, v13, v123
	v_add_f32_e32 v85, v6, v7
	s_delay_alu instid0(VALU_DEP_4)
	v_dual_add_f32 v83, v8, v9 :: v_dual_add_f32 v82, v42, v43
	v_dual_add_f32 v6, 0, v14 :: v_dual_add_f32 v7, 0, v15
	v_add_f32_e32 v9, 0, v19
	v_dual_add_f32 v19, 0, v35 :: v_dual_min_f32 v16, v16, v122
	v_dual_min_f32 v17, v17, v123 :: v_dual_min_f32 v20, v20, v122
	v_dual_add_f32 v80, v11, v13 :: v_dual_add_f32 v81, v10, v12
	v_add_f32_e32 v8, 0, v18
	v_dual_add_f32 v10, 0, v22 :: v_dual_add_f32 v11, 0, v23
	v_dual_add_f32 v14, 0, v30 :: v_dual_min_f32 v21, v21, v123
	v_dual_add_f32 v78, v6, v16 :: v_dual_add_f32 v79, v7, v17
	v_min_f32_e32 v6, v25, v123
	v_dual_add_f32 v12, 0, v26 :: v_dual_add_f32 v13, 0, v27
	v_dual_add_f32 v18, 0, v34 :: v_dual_add_f32 v15, 0, v31
	;; [unrolled: 1-line block ×4, first 2 shown]
	v_dual_min_f32 v8, v29, v123 :: v_dual_min_f32 v7, v24, v122
	v_min_f32_e32 v9, v28, v122
	v_add_f32_e32 v74, v11, v6
	v_min_f32_e32 v6, v33, v123
	s_delay_alu instid0(VALU_DEP_4) | instskip(SKIP_1) | instid1(VALU_DEP_3)
	v_dual_add_f32 v102, v67, v68 :: v_dual_add_f32 v75, v10, v7
	v_add_f32_e32 v86, v44, v45
	v_add_f32_e32 v70, v15, v6
	v_min_f32_e32 v6, v37, v123
	v_dual_add_f32 v73, v13, v8 :: v_dual_add_f32 v72, v12, v9
	v_min_f32_e32 v8, v36, v122
	v_min_f32_e32 v7, v32, v122
	v_dual_min_f32 v9, v41, v123 :: v_dual_min_f32 v10, v40, v122
	s_delay_alu instid0(VALU_DEP_3) | instskip(NEXT) | instid1(VALU_DEP_3)
	v_dual_add_f32 v69, v19, v6 :: v_dual_add_f32 v68, v18, v8
	v_add_f32_e32 v71, v14, v7
	s_delay_alu instid0(VALU_DEP_3)
	v_dual_add_f32 v67, v23, v9 :: v_dual_add_f32 v66, v22, v10
	s_cbranch_scc1 .LBB37_40
; %bb.26:
	v_lshl_add_u32 v0, s14, 6, v2
	s_lshl_b32 s4, s24, 6
	v_mad_i64_i32 v[5:6], null, s25, v3, 0
	v_add_nc_u32_e32 v49, 0x1000, v55
	s_delay_alu instid0(VALU_DEP_3)
	v_subrev_nc_u32_e32 v2, s4, v0
	v_add_nc_u32_e32 v100, 0x1000, v54
	v_add_nc_u32_e32 v117, 0x1400, v55
	;; [unrolled: 1-line block ×3, first 2 shown]
	v_lshl_add_u32 v123, v50, 4, 0x1400
	v_mad_i64_i32 v[0:1], null, s23, v2, 0
	v_mad_i64_i32 v[2:3], null, s25, v4, 0
	v_lshlrev_b64 v[4:5], 2, v[5:6]
	v_lshl_add_u32 v124, v51, 4, 0x800
	s_delay_alu instid0(VALU_DEP_4) | instskip(NEXT) | instid1(VALU_DEP_4)
	v_lshlrev_b64 v[0:1], 2, v[0:1]
	v_lshlrev_b64 v[2:3], 2, v[2:3]
	s_delay_alu instid0(VALU_DEP_2) | instskip(NEXT) | instid1(VALU_DEP_1)
	v_add_co_u32 v125, s4, s8, v0
	v_add_co_ci_u32_e64 v126, s4, s9, v1, s4
	v_add_co_u32 v127, s4, s12, v4
	s_delay_alu instid0(VALU_DEP_1) | instskip(SKIP_1) | instid1(VALU_DEP_1)
	v_add_co_ci_u32_e64 v128, s4, s13, v5, s4
	v_add_co_u32 v129, s4, s12, v2
	v_add_co_ci_u32_e64 v130, s4, s13, v3, s4
	s_add_i32 s8, s18, -8
	s_branch .LBB37_28
.LBB37_27:                              ;   in Loop: Header=BB37_28 Depth=1
	s_or_b32 exec_lo, exec_lo, s5
	v_dual_add_f32 v40, v121, v40 :: v_dual_add_f32 v33, v59, v33
	v_dual_add_f32 v28, v118, v28 :: v_dual_add_f32 v29, v57, v29
	;; [unrolled: 1-line block ×20, first 2 shown]
	v_add_f32_e32 v103, v33, v31
	v_dual_add_f32 v107, v21, v22 :: v_dual_add_f32 v108, v8, v183
	v_dual_add_f32 v109, v25, v23 :: v_dual_add_f32 v110, v12, v184
	;; [unrolled: 1-line block ×3, first 2 shown]
	ds_load_b128 v[20:23], v53
	ds_load_b128 v[28:31], v100
	v_add_f32_e32 v77, v77, v10
	v_dual_add_f32 v75, v75, v11 :: v_dual_add_f32 v72, v72, v2
	ds_load_b128 v[8:11], v100 offset:128
	v_dual_add_f32 v36, v120, v36 :: v_dual_add_f32 v41, v119, v41
	v_dual_add_f32 v60, v106, v137 :: v_dual_add_f32 v61, v105, v138
	;; [unrolled: 1-line block ×17, first 2 shown]
	s_waitcnt lgkmcnt(2)
	v_max_f32_e32 v20, v20, v20
	v_add_f32_e32 v120, v46, v19
	ds_load_b128 v[1:4], v100 offset:256
	ds_load_b128 v[12:15], v100 offset:384
	;; [unrolled: 1-line block ×5, first 2 shown]
	s_waitcnt lgkmcnt(5)
	v_dual_max_f32 v21, v21, v21 :: v_dual_max_f32 v134, v8, v8
	v_dual_add_f32 v121, v43, v7 :: v_dual_max_f32 v28, v28, v28
	v_max_f32_e32 v29, v29, v29
	v_dual_add_f32 v67, v36, v38 :: v_dual_add_f32 v102, v37, v39
	s_delay_alu instid0(VALU_DEP_4)
	v_min_f32_e32 v136, v134, v20
	ds_load_b128 v[36:39], v100 offset:768
	ds_load_b128 v[40:43], v100 offset:896
	v_min_f32_e32 v135, v29, v21
	v_max_f32_e32 v9, v9, v9
	v_dual_add_f32 v114, v45, v186 :: v_dual_add_f32 v115, v44, v177
	v_add_f32_e32 v98, v98, v136
	s_delay_alu instid0(VALU_DEP_4) | instskip(SKIP_2) | instid1(VALU_DEP_2)
	v_dual_min_f32 v133, v28, v20 :: v_dual_add_f32 v66, v66, v135
	s_waitcnt lgkmcnt(5)
	v_dual_max_f32 v12, v12, v12 :: v_dual_max_f32 v1, v1, v1
	v_dual_max_f32 v2, v2, v2 :: v_dual_add_f32 v67, v67, v133
	s_waitcnt lgkmcnt(4)
	v_dual_min_f32 v133, v9, v21 :: v_dual_max_f32 v16, v16, v16
	s_delay_alu instid0(VALU_DEP_3) | instskip(NEXT) | instid1(VALU_DEP_2)
	v_dual_max_f32 v13, v13, v13 :: v_dual_min_f32 v136, v12, v20
	v_dual_min_f32 v135, v1, v20 :: v_dual_add_f32 v84, v84, v133
	s_waitcnt lgkmcnt(2)
	v_dual_max_f32 v25, v25, v25 :: v_dual_max_f32 v32, v32, v32
	s_delay_alu instid0(VALU_DEP_3)
	v_add_f32_e32 v103, v103, v136
	s_waitcnt lgkmcnt(1)
	v_dual_add_f32 v101, v101, v135 :: v_dual_max_f32 v36, v36, v36
	s_waitcnt lgkmcnt(0)
	v_dual_max_f32 v17, v17, v17 :: v_dual_max_f32 v40, v40, v40
	v_min_f32_e32 v136, v25, v21
	v_min_f32_e32 v135, v13, v21
	v_dual_min_f32 v133, v2, v21 :: v_dual_max_f32 v24, v24, v24
	v_dual_add_f32 v63, v63, v190 :: v_dual_add_f32 v118, v5, v191
	s_delay_alu instid0(VALU_DEP_4) | instskip(NEXT) | instid1(VALU_DEP_4)
	v_add_f32_e32 v106, v106, v136
	v_dual_add_f32 v102, v102, v135 :: v_dual_min_f32 v135, v17, v21
	ds_load_b128 v[5:8], v53 offset:1024
	ds_load_b128 v[44:47], v53 offset:1536
	v_add_f32_e32 v99, v99, v133
	v_min_f32_e32 v133, v16, v20
	v_dual_max_f32 v33, v33, v33 :: v_dual_add_f32 v104, v104, v135
	v_min_f32_e32 v135, v36, v20
	v_dual_add_f32 v57, v57, v187 :: v_dual_add_f32 v60, v60, v180
	v_dual_add_f32 v64, v64, v182 :: v_dual_add_f32 v65, v65, v200
	v_add_f32_e32 v105, v105, v133
	v_min_f32_e32 v133, v24, v20
	v_add_f32_e32 v109, v109, v135
	v_min_f32_e32 v135, v29, v33
	v_max_f32_e32 v37, v37, v37
	v_dual_add_f32 v93, v93, v147 :: v_dual_add_f32 v92, v92, v148
	v_add_f32_e32 v107, v107, v133
	v_dual_max_f32 v41, v41, v41 :: v_dual_min_f32 v20, v40, v20
	s_delay_alu instid0(VALU_DEP_4) | instskip(SKIP_4) | instid1(VALU_DEP_4)
	v_dual_add_f32 v112, v112, v135 :: v_dual_min_f32 v133, v37, v21
	v_min_f32_e32 v135, v12, v32
	v_dual_add_f32 v95, v95, v145 :: v_dual_add_f32 v94, v94, v146
	v_dual_add_f32 v59, v59, v188 :: v_dual_add_f32 v62, v62, v181
	;; [unrolled: 1-line block ×4, first 2 shown]
	v_min_f32_e32 v58, v24, v32
	v_add_f32_e32 v108, v108, v133
	v_min_f32_e32 v21, v41, v21
	s_waitcnt lgkmcnt(1)
	v_dual_min_f32 v133, v28, v32 :: v_dual_max_f32 v6, v6, v6
	v_max_f32_e32 v5, v5, v5
	v_min_f32_e32 v111, v134, v32
	v_dual_add_f32 v94, v94, v202 :: v_dual_add_f32 v95, v95, v193
	v_add_f32_e32 v142, v62, v58
	v_add_f32_e32 v21, v110, v21
	s_delay_alu instid0(VALU_DEP_4) | instskip(SKIP_3) | instid1(VALU_DEP_3)
	v_dual_add_f32 v110, v113, v133 :: v_dual_add_f32 v133, v115, v111
	v_dual_min_f32 v58, v134, v5 :: v_dual_min_f32 v111, v1, v32
	v_dual_add_f32 v96, v96, v143 :: v_dual_add_f32 v97, v97, v144
	v_dual_add_f32 v91, v91, v149 :: v_dual_add_f32 v90, v90, v150
	v_add_f32_e32 v95, v95, v58
	s_delay_alu instid0(VALU_DEP_4) | instskip(NEXT) | instid1(VALU_DEP_4)
	v_dual_min_f32 v58, v2, v6 :: v_dual_add_f32 v137, v56, v111
	v_dual_min_f32 v56, v16, v32 :: v_dual_add_f32 v97, v97, v201
	v_add_f32_e32 v96, v96, v192
	v_dual_add_f32 v88, v88, v151 :: v_dual_add_f32 v89, v89, v152
	s_delay_alu instid0(VALU_DEP_3) | instskip(SKIP_3) | instid1(VALU_DEP_3)
	v_add_f32_e32 v140, v60, v56
	v_min_f32_e32 v56, v36, v32
	v_dual_min_f32 v32, v40, v32 :: v_dual_min_f32 v113, v9, v33
	v_dual_add_f32 v86, v86, v153 :: v_dual_add_f32 v87, v87, v154
	v_add_f32_e32 v144, v64, v56
	v_min_f32_e32 v56, v28, v5
	v_min_f32_e32 v115, v2, v33
	v_add_f32_e32 v32, v118, v32
	v_add_f32_e32 v136, v114, v113
	v_dual_add_f32 v90, v90, v204 :: v_dual_add_f32 v91, v91, v195
	v_add_f32_e32 v96, v96, v56
	v_min_f32_e32 v56, v9, v6
	v_min_f32_e32 v113, v13, v33
	v_dual_add_f32 v89, v89, v205 :: v_dual_add_f32 v88, v88, v196
	v_dual_add_f32 v87, v87, v206 :: v_dual_add_f32 v86, v86, v197
	s_delay_alu instid0(VALU_DEP_4) | instskip(NEXT) | instid1(VALU_DEP_4)
	v_add_f32_e32 v94, v94, v56
	v_dual_min_f32 v56, v13, v6 :: v_dual_add_f32 v139, v59, v113
	s_waitcnt lgkmcnt(0)
	v_dual_min_f32 v59, v25, v33 :: v_dual_max_f32 v44, v44, v44
	v_add_f32_e32 v138, v57, v115
	v_add_f32_e32 v92, v92, v58
	s_delay_alu instid0(VALU_DEP_3) | instskip(SKIP_4) | instid1(VALU_DEP_4)
	v_dual_add_f32 v90, v90, v56 :: v_dual_add_f32 v143, v63, v59
	v_min_f32_e32 v56, v17, v6
	v_min_f32_e32 v58, v24, v5
	;; [unrolled: 1-line block ×3, first 2 shown]
	v_dual_add_f32 v83, v83, v157 :: v_dual_add_f32 v80, v80, v159
	v_dual_add_f32 v89, v89, v56 :: v_dual_max_f32 v30, v30, v30
	s_delay_alu instid0(VALU_DEP_4)
	v_add_f32_e32 v86, v86, v58
	v_min_f32_e32 v56, v37, v6
	v_add_f32_e32 v141, v61, v57
	v_dual_min_f32 v57, v37, v33 :: v_dual_min_f32 v28, v28, v44
	v_dual_add_f32 v83, v83, v211 :: v_dual_add_f32 v78, v78, v209
	v_dual_max_f32 v45, v45, v45 :: v_dual_min_f32 v24, v24, v44
	s_delay_alu instid0(VALU_DEP_3) | instskip(SKIP_2) | instid1(VALU_DEP_4)
	v_dual_add_f32 v145, v116, v57 :: v_dual_add_f32 v146, v119, v56
	v_dual_min_f32 v56, v134, v44 :: v_dual_min_f32 v57, v29, v6
	v_dual_min_f32 v59, v12, v5 :: v_dual_add_f32 v28, v81, v28
	v_min_f32_e32 v2, v2, v45
	s_delay_alu instid0(VALU_DEP_3) | instskip(SKIP_1) | instid1(VALU_DEP_4)
	v_dual_add_f32 v78, v78, v56 :: v_dual_add_f32 v97, v97, v57
	v_min_f32_e32 v57, v1, v5
	v_add_f32_e32 v91, v91, v59
	v_min_f32_e32 v59, v25, v6
	v_min_f32_e32 v6, v41, v6
	v_dual_min_f32 v33, v41, v33 :: v_dual_min_f32 v12, v12, v44
	v_dual_add_f32 v2, v76, v2 :: v_dual_add_f32 v93, v93, v57
	v_dual_min_f32 v57, v16, v5 :: v_dual_add_f32 v24, v71, v24
	s_delay_alu instid0(VALU_DEP_3) | instskip(SKIP_1) | instid1(VALU_DEP_3)
	v_dual_add_f32 v6, v83, v6 :: v_dual_add_f32 v33, v65, v33
	v_dual_add_f32 v85, v85, v198 :: v_dual_add_f32 v80, v80, v212
	v_add_f32_e32 v88, v88, v57
	v_dual_min_f32 v57, v36, v5 :: v_dual_max_f32 v22, v22, v22
	v_dual_max_f32 v23, v23, v23 :: v_dual_max_f32 v26, v26, v26
	v_max_f32_e32 v31, v31, v31
	s_delay_alu instid0(VALU_DEP_3)
	v_dual_add_f32 v85, v85, v57 :: v_dual_min_f32 v36, v36, v44
	v_min_f32_e32 v5, v40, v5
	v_dual_min_f32 v29, v29, v45 :: v_dual_min_f32 v40, v40, v44
	v_min_f32_e32 v9, v9, v45
	v_dual_min_f32 v1, v1, v44 :: v_dual_max_f32 v10, v10, v10
	v_min_f32_e32 v16, v16, v44
	s_delay_alu instid0(VALU_DEP_4) | instskip(SKIP_1) | instid1(VALU_DEP_4)
	v_dual_min_f32 v44, v31, v23 :: v_dual_add_f32 v29, v80, v29
	v_add_f32_e32 v40, v121, v40
	v_add_f32_e32 v1, v77, v1
	v_max_f32_e32 v3, v3, v3
	s_delay_alu instid0(VALU_DEP_4) | instskip(SKIP_3) | instid1(VALU_DEP_3)
	v_add_f32_e32 v121, v66, v44
	v_dual_min_f32 v44, v10, v22 :: v_dual_min_f32 v25, v25, v45
	v_dual_max_f32 v19, v19, v19 :: v_dual_max_f32 v42, v42, v42
	v_max_f32_e32 v27, v27, v27
	v_dual_add_f32 v119, v98, v44 :: v_dual_min_f32 v44, v3, v22
	s_delay_alu instid0(VALU_DEP_4)
	v_add_f32_e32 v25, v70, v25
	v_min_f32_e32 v41, v41, v45
	v_max_f32_e32 v15, v15, v15
	v_min_f32_e32 v37, v37, v45
	v_dual_add_f32 v57, v101, v44 :: v_dual_max_f32 v34, v34, v34
	v_min_f32_e32 v44, v19, v23
	v_dual_max_f32 v38, v38, v38 :: v_dual_add_f32 v9, v79, v9
	v_dual_max_f32 v4, v4, v4 :: v_dual_min_f32 v17, v17, v45
	v_max_f32_e32 v14, v14, v14
	s_delay_alu instid0(VALU_DEP_4)
	v_add_f32_e32 v60, v104, v44
	v_dual_min_f32 v44, v27, v23 :: v_dual_add_f32 v41, v120, v41
	v_dual_max_f32 v11, v11, v11 :: v_dual_min_f32 v62, v26, v22
	v_dual_min_f32 v13, v13, v45 :: v_dual_min_f32 v58, v15, v23
	v_dual_add_f32 v37, v69, v37 :: v_dual_max_f32 v18, v18, v18
	v_max_f32_e32 v35, v35, v35
	v_min_f32_e32 v45, v30, v22
	v_add_f32_e32 v63, v106, v44
	v_min_f32_e32 v44, v38, v22
	v_dual_min_f32 v56, v11, v23 :: v_dual_add_f32 v13, v74, v13
	v_add_f32_e32 v62, v107, v62
	v_dual_add_f32 v87, v87, v59 :: v_dual_add_f32 v16, v72, v16
	s_delay_alu instid0(VALU_DEP_4) | instskip(SKIP_2) | instid1(VALU_DEP_3)
	v_dual_add_f32 v65, v109, v44 :: v_dual_min_f32 v44, v31, v35
	v_dual_add_f32 v120, v67, v45 :: v_dual_min_f32 v45, v4, v23
	v_dual_add_f32 v118, v84, v56 :: v_dual_max_f32 v39, v39, v39
	v_dual_add_f32 v114, v112, v44 :: v_dual_max_f32 v43, v43, v43
	s_delay_alu instid0(VALU_DEP_3) | instskip(SKIP_2) | instid1(VALU_DEP_3)
	v_dual_add_f32 v56, v99, v45 :: v_dual_min_f32 v45, v14, v22
	v_dual_max_f32 v8, v8, v8 :: v_dual_add_f32 v17, v73, v17
	v_dual_add_f32 v58, v102, v58 :: v_dual_max_f32 v7, v7, v7
	v_add_f32_e32 v59, v103, v45
	v_min_f32_e32 v45, v18, v22
	v_min_f32_e32 v22, v42, v22
	v_dual_add_f32 v5, v82, v5 :: v_dual_add_f32 v36, v68, v36
	v_add_f32_e32 v12, v75, v12
	v_add_co_u32 v125, s4, v125, 32
	s_delay_alu instid0(VALU_DEP_4) | instskip(SKIP_4) | instid1(VALU_DEP_4)
	v_add_f32_e32 v116, v20, v22
	v_min_f32_e32 v20, v10, v34
	v_min_f32_e32 v22, v3, v34
	v_add_co_ci_u32_e64 v126, s4, 0, v126, s4
	v_add_co_u32 v127, s4, v127, 32
	v_add_f32_e32 v112, v133, v20
	v_add_f32_e32 v61, v105, v45
	v_dual_min_f32 v45, v39, v23 :: v_dual_min_f32 v20, v14, v34
	v_add_f32_e32 v109, v137, v22
	v_add_co_ci_u32_e64 v128, s4, 0, v128, s4
	s_delay_alu instid0(VALU_DEP_3) | instskip(NEXT) | instid1(VALU_DEP_4)
	v_dual_add_f32 v64, v108, v45 :: v_dual_min_f32 v45, v30, v34
	v_add_f32_e32 v108, v135, v20
	v_dual_min_f32 v20, v18, v34 :: v_dual_min_f32 v23, v43, v23
	v_min_f32_e32 v22, v27, v35
	v_add_co_u32 v129, s4, v129, 32
	s_delay_alu instid0(VALU_DEP_3) | instskip(SKIP_1) | instid1(VALU_DEP_4)
	v_dual_add_f32 v106, v140, v20 :: v_dual_add_f32 v115, v21, v23
	v_dual_min_f32 v20, v38, v34 :: v_dual_min_f32 v21, v11, v35
	v_add_f32_e32 v104, v143, v22
	v_dual_min_f32 v22, v42, v34 :: v_dual_min_f32 v23, v15, v35
	s_delay_alu instid0(VALU_DEP_3) | instskip(NEXT) | instid1(VALU_DEP_4)
	v_dual_add_f32 v113, v110, v45 :: v_dual_add_f32 v102, v144, v20
	v_add_f32_e32 v111, v136, v21
	v_dual_min_f32 v21, v4, v35 :: v_dual_min_f32 v20, v31, v8
	s_delay_alu instid0(VALU_DEP_4) | instskip(SKIP_1) | instid1(VALU_DEP_3)
	v_dual_add_f32 v98, v32, v22 :: v_dual_add_f32 v107, v139, v23
	v_min_f32_e32 v22, v4, v8
	v_dual_add_f32 v110, v138, v21 :: v_dual_min_f32 v21, v19, v35
	s_delay_alu instid0(VALU_DEP_4) | instskip(SKIP_1) | instid1(VALU_DEP_4)
	v_add_f32_e32 v97, v97, v20
	v_min_f32_e32 v23, v26, v34
	v_add_f32_e32 v92, v92, v22
	s_delay_alu instid0(VALU_DEP_4) | instskip(SKIP_2) | instid1(VALU_DEP_3)
	v_dual_min_f32 v22, v18, v7 :: v_dual_add_f32 v105, v141, v21
	v_min_f32_e32 v21, v39, v35
	v_add_co_ci_u32_e64 v130, s4, 0, v130, s4
	v_add_f32_e32 v88, v88, v22
	s_delay_alu instid0(VALU_DEP_3)
	v_dual_max_f32 v22, v47, v47 :: v_dual_add_f32 v101, v145, v21
	v_min_f32_e32 v21, v43, v35
	s_add_i32 s22, s22, 8
	s_waitcnt vmcnt(0)
	ds_store_b32 v117, v132
	ds_store_2addr_stride64_b32 v122, v131, v0 offset1:4
	v_min_f32_e32 v4, v4, v22
	s_cmp_ge_i32 s22, s8
	v_add_f32_e32 v99, v33, v21
	v_min_f32_e32 v21, v11, v8
	s_waitcnt lgkmcnt(0)
	v_add_f32_e32 v76, v2, v4
	v_min_f32_e32 v2, v15, v22
	s_barrier
	v_dual_add_f32 v94, v94, v21 :: v_dual_min_f32 v21, v3, v7
	v_min_f32_e32 v20, v10, v7
	s_delay_alu instid0(VALU_DEP_3) | instskip(SKIP_3) | instid1(VALU_DEP_1)
	v_add_f32_e32 v74, v13, v2
	buffer_gl0_inv
	v_add_f32_e32 v93, v93, v21
	v_min_f32_e32 v21, v19, v8
	v_add_f32_e32 v89, v89, v21
	v_min_f32_e32 v21, v39, v8
	v_dual_add_f32 v95, v95, v20 :: v_dual_min_f32 v20, v14, v7
	s_delay_alu instid0(VALU_DEP_2) | instskip(SKIP_1) | instid1(VALU_DEP_3)
	v_add_f32_e32 v84, v146, v21
	v_max_f32_e32 v21, v46, v46
	v_add_f32_e32 v91, v91, v20
	v_dual_min_f32 v20, v27, v8 :: v_dual_add_f32 v103, v142, v23
	v_min_f32_e32 v23, v30, v7
	s_delay_alu instid0(VALU_DEP_4) | instskip(NEXT) | instid1(VALU_DEP_3)
	v_min_f32_e32 v3, v3, v21
	v_dual_min_f32 v4, v18, v21 :: v_dual_add_f32 v87, v87, v20
	v_min_f32_e32 v20, v38, v7
	s_delay_alu instid0(VALU_DEP_4) | instskip(NEXT) | instid1(VALU_DEP_4)
	v_dual_add_f32 v96, v96, v23 :: v_dual_min_f32 v23, v15, v8
	v_dual_min_f32 v8, v43, v8 :: v_dual_add_f32 v77, v1, v3
	v_min_f32_e32 v1, v14, v21
	s_delay_alu instid0(VALU_DEP_3) | instskip(SKIP_3) | instid1(VALU_DEP_3)
	v_dual_min_f32 v3, v19, v22 :: v_dual_add_f32 v90, v90, v23
	v_min_f32_e32 v23, v26, v7
	v_dual_min_f32 v7, v42, v7 :: v_dual_add_f32 v72, v16, v4
	v_dual_min_f32 v2, v27, v22 :: v_dual_add_f32 v85, v85, v20
	v_add_f32_e32 v86, v86, v23
	s_delay_alu instid0(VALU_DEP_3) | instskip(SKIP_1) | instid1(VALU_DEP_4)
	v_dual_add_f32 v82, v5, v7 :: v_dual_min_f32 v5, v30, v21
	v_dual_min_f32 v4, v43, v22 :: v_dual_add_f32 v83, v6, v8
	v_add_f32_e32 v70, v25, v2
	v_dual_min_f32 v6, v11, v22 :: v_dual_min_f32 v7, v10, v21
	s_delay_alu instid0(VALU_DEP_4)
	v_add_f32_e32 v81, v28, v5
	v_add_f32_e32 v75, v12, v1
	;; [unrolled: 1-line block ×3, first 2 shown]
	v_dual_min_f32 v1, v26, v21 :: v_dual_min_f32 v2, v39, v22
	v_min_f32_e32 v3, v38, v21
	v_min_f32_e32 v23, v31, v22
	;; [unrolled: 1-line block ×3, first 2 shown]
	v_dual_add_f32 v79, v9, v6 :: v_dual_add_f32 v78, v78, v7
	v_add_f32_e32 v71, v24, v1
	s_delay_alu instid0(VALU_DEP_3)
	v_dual_add_f32 v69, v37, v2 :: v_dual_add_f32 v66, v40, v5
	v_add_f32_e32 v68, v36, v3
	v_add_f32_e32 v80, v29, v23
	;; [unrolled: 1-line block ×3, first 2 shown]
	s_cbranch_scc1 .LBB37_40
.LBB37_28:                              ; =>This Inner Loop Header: Depth=1
	v_dual_mov_b32 v132, 0 :: v_dual_add_nc_u32 v131, s22, v48
	s_delay_alu instid0(VALU_DEP_1) | instskip(NEXT) | instid1(VALU_DEP_1)
	v_add_nc_u32_e32 v0, 8, v131
	v_cmp_le_i32_e64 s4, s18, v0
	s_delay_alu instid0(VALU_DEP_1) | instskip(NEXT) | instid1(SALU_CYCLE_1)
	s_or_b32 s5, s4, vcc_lo
	s_xor_b32 s5, s5, -1
	s_delay_alu instid0(SALU_CYCLE_1)
	s_and_saveexec_b32 s9, s5
	s_cbranch_execz .LBB37_30
; %bb.29:                               ;   in Loop: Header=BB37_28 Depth=1
	v_add_co_u32 v0, s5, v125, v52
	s_delay_alu instid0(VALU_DEP_1)
	v_add_co_ci_u32_e64 v1, s5, 0, v126, s5
	flat_load_b32 v132, v[0:1] offset:32
.LBB37_30:                              ;   in Loop: Header=BB37_28 Depth=1
	s_or_b32 exec_lo, exec_lo, s9
	v_dual_mov_b32 v133, 0 :: v_dual_mov_b32 v134, 0
	s_or_b32 s5, s2, s4
	s_delay_alu instid0(SALU_CYCLE_1) | instskip(NEXT) | instid1(SALU_CYCLE_1)
	s_xor_b32 s5, s5, -1
	s_and_saveexec_b32 s9, s5
	s_cbranch_execz .LBB37_32
; %bb.31:                               ;   in Loop: Header=BB37_28 Depth=1
	v_add_co_u32 v0, s5, v127, v52
	s_delay_alu instid0(VALU_DEP_1)
	v_add_co_ci_u32_e64 v1, s5, 0, v128, s5
	flat_load_b32 v134, v[0:1] offset:32
.LBB37_32:                              ;   in Loop: Header=BB37_28 Depth=1
	s_or_b32 exec_lo, exec_lo, s9
	s_or_b32 s4, s3, s4
	s_delay_alu instid0(SALU_CYCLE_1) | instskip(NEXT) | instid1(SALU_CYCLE_1)
	s_xor_b32 s4, s4, -1
	s_and_saveexec_b32 s5, s4
	s_cbranch_execz .LBB37_34
; %bb.33:                               ;   in Loop: Header=BB37_28 Depth=1
	v_add_co_u32 v0, s4, v129, v52
	s_delay_alu instid0(VALU_DEP_1)
	v_add_co_ci_u32_e64 v1, s4, 0, v130, s4
	flat_load_b32 v133, v[0:1] offset:32
.LBB37_34:                              ;   in Loop: Header=BB37_28 Depth=1
	s_or_b32 exec_lo, exec_lo, s5
	ds_load_b128 v[40:43], v123
	ds_load_b128 v[36:39], v123 offset:128
	ds_load_b128 v[32:35], v123 offset:256
	ds_load_b128 v[28:31], v123 offset:384
	ds_load_b128 v[24:27], v123 offset:512
	ds_load_b128 v[20:23], v123 offset:640
	ds_load_b128 v[16:19], v123 offset:768
	ds_load_b128 v[12:15], v123 offset:896
	ds_load_b128 v[44:47], v124
	ds_load_b128 v[8:11], v124 offset:512
	ds_load_b128 v[4:7], v124 offset:1024
	;; [unrolled: 1-line block ×3, first 2 shown]
	v_add_nc_u32_e32 v131, 12, v131
	s_waitcnt vmcnt(0) lgkmcnt(12)
	ds_store_b32 v49, v132
	v_mov_b32_e32 v132, 0
	ds_store_2addr_stride64_b32 v55, v134, v133 offset1:4
	s_waitcnt lgkmcnt(0)
	v_cmp_le_i32_e64 s4, s18, v131
	v_mov_b32_e32 v131, 0
	s_barrier
	buffer_gl0_inv
	s_or_b32 s5, s4, vcc_lo
	s_delay_alu instid0(SALU_CYCLE_1) | instskip(NEXT) | instid1(SALU_CYCLE_1)
	s_xor_b32 s5, s5, -1
	s_and_saveexec_b32 s9, s5
	s_cbranch_execz .LBB37_36
; %bb.35:                               ;   in Loop: Header=BB37_28 Depth=1
	v_add_co_u32 v132, s5, v125, v52
	s_delay_alu instid0(VALU_DEP_1)
	v_add_co_ci_u32_e64 v133, s5, 0, v126, s5
	flat_load_b32 v132, v[132:133] offset:48
.LBB37_36:                              ;   in Loop: Header=BB37_28 Depth=1
	s_or_b32 exec_lo, exec_lo, s9
	s_or_b32 s5, s2, s4
	s_delay_alu instid0(SALU_CYCLE_1) | instskip(NEXT) | instid1(SALU_CYCLE_1)
	s_xor_b32 s5, s5, -1
	s_and_saveexec_b32 s9, s5
	s_cbranch_execz .LBB37_38
; %bb.37:                               ;   in Loop: Header=BB37_28 Depth=1
	v_add_co_u32 v133, s5, v127, v52
	s_delay_alu instid0(VALU_DEP_1)
	v_add_co_ci_u32_e64 v134, s5, 0, v128, s5
	flat_load_b32 v131, v[133:134] offset:48
.LBB37_38:                              ;   in Loop: Header=BB37_28 Depth=1
	s_or_b32 exec_lo, exec_lo, s9
	v_dual_max_f32 v44, v44, v44 :: v_dual_max_f32 v45, v45, v45
	v_dual_max_f32 v158, v40, v40 :: v_dual_max_f32 v159, v41, v41
	;; [unrolled: 1-line block ×5, first 2 shown]
	v_max_f32_e32 v142, v8, v8
	v_dual_max_f32 v160, v36, v36 :: v_dual_max_f32 v161, v37, v37
	v_dual_min_f32 v36, v158, v44 :: v_dual_max_f32 v163, v33, v33
	v_dual_max_f32 v162, v32, v32 :: v_dual_max_f32 v165, v29, v29
	v_max_f32_e32 v164, v28, v28
	v_dual_max_f32 v168, v20, v20 :: v_dual_max_f32 v169, v21, v21
	v_dual_min_f32 v16, v166, v44 :: v_dual_max_f32 v173, v13, v13
	v_min_f32_e32 v17, v159, v143
	v_dual_min_f32 v141, v170, v142 :: v_dual_max_f32 v156, v4, v4
	v_dual_max_f32 v157, v5, v5 :: v_dual_min_f32 v4, v171, v143
	v_dual_max_f32 v0, v0, v0 :: v_dual_max_f32 v175, v46, v46
	v_max_f32_e32 v176, v47, v47
	v_dual_max_f32 v208, v42, v42 :: v_dual_max_f32 v209, v43, v43
	v_dual_max_f32 v213, v38, v38 :: v_dual_min_f32 v40, v159, v45
	v_dual_min_f32 v41, v160, v44 :: v_dual_min_f32 v28, v161, v45
	v_min_f32_e32 v29, v162, v44
	v_min_f32_e32 v37, v165, v45
	v_dual_min_f32 v32, v163, v45 :: v_dual_min_f32 v33, v164, v44
	v_dual_min_f32 v20, v167, v45 :: v_dual_min_f32 v21, v168, v44
	;; [unrolled: 1-line block ×17, first 2 shown]
	v_dual_min_f32 v155, v170, v156 :: v_dual_max_f32 v174, v1, v1
	v_dual_min_f32 v1, v171, v157 :: v_dual_min_f32 v156, v172, v156
	v_dual_min_f32 v157, v173, v157 :: v_dual_min_f32 v158, v158, v0
	s_delay_alu instid0(VALU_DEP_3)
	v_dual_min_f32 v159, v159, v174 :: v_dual_min_f32 v160, v160, v0
	v_dual_min_f32 v161, v161, v174 :: v_dual_min_f32 v162, v162, v0
	;; [unrolled: 1-line block ×6, first 2 shown]
	v_min_f32_e32 v171, v171, v174
	v_dual_min_f32 v43, v172, v0 :: v_dual_min_f32 v46, v173, v174
	v_dual_min_f32 v38, v208, v175 :: v_dual_min_f32 v47, v209, v176
	v_max_f32_e32 v0, v39, v39
	v_dual_min_f32 v42, v213, v175 :: v_dual_max_f32 v215, v30, v30
	v_max_f32_e32 v172, v34, v34
	v_max_f32_e32 v216, v31, v31
	;; [unrolled: 1-line block ×3, first 2 shown]
	v_dual_min_f32 v34, v0, v176 :: v_dual_max_f32 v217, v26, v26
	v_min_f32_e32 v31, v215, v175
	v_dual_min_f32 v30, v172, v175 :: v_dual_max_f32 v219, v22, v22
	v_dual_max_f32 v218, v27, v27 :: v_dual_max_f32 v221, v18, v18
	v_max_f32_e32 v220, v23, v23
	v_dual_max_f32 v19, v19, v19 :: v_dual_max_f32 v222, v14, v14
	v_dual_max_f32 v223, v15, v15 :: v_dual_max_f32 v10, v10, v10
	;; [unrolled: 1-line block ×4, first 2 shown]
	v_max_f32_e32 v225, v3, v3
	v_min_f32_e32 v39, v216, v176
	v_dual_min_f32 v35, v214, v176 :: v_dual_min_f32 v18, v217, v175
	v_min_f32_e32 v183, v19, v176
	v_dual_min_f32 v173, v218, v176 :: v_dual_min_f32 v22, v219, v175
	v_dual_min_f32 v177, v213, v10 :: v_dual_min_f32 v174, v220, v176
	v_min_f32_e32 v23, v221, v175
	v_dual_min_f32 v175, v222, v175 :: v_dual_min_f32 v184, v223, v176
	;; [unrolled: 3-line block ×3, first 2 shown]
	v_dual_min_f32 v187, v214, v11 :: v_dual_min_f32 v180, v217, v10
	v_dual_min_f32 v188, v216, v11 :: v_dual_min_f32 v181, v219, v10
	;; [unrolled: 1-line block ×12, first 2 shown]
	v_min_f32_e32 v210, v19, v7
	v_dual_min_f32 v211, v223, v7 :: v_dual_min_f32 v208, v208, v224
	v_dual_min_f32 v212, v209, v225 :: v_dual_min_f32 v11, v215, v224
	v_min_f32_e32 v209, v213, v224
	v_dual_min_f32 v213, v0, v225 :: v_dual_min_f32 v2, v217, v224
	v_dual_min_f32 v10, v172, v224 :: v_dual_min_f32 v15, v19, v225
	;; [unrolled: 1-line block ×4, first 2 shown]
	v_min_f32_e32 v172, v218, v225
	v_dual_min_f32 v14, v220, v225 :: v_dual_min_f32 v7, v222, v224
	v_dual_min_f32 v19, v223, v225 :: v_dual_mov_b32 v0, 0
	s_or_b32 s4, s3, s4
	s_delay_alu instid0(SALU_CYCLE_1) | instskip(NEXT) | instid1(SALU_CYCLE_1)
	s_xor_b32 s4, s4, -1
	s_and_saveexec_b32 s5, s4
	s_cbranch_execz .LBB37_27
; %bb.39:                               ;   in Loop: Header=BB37_28 Depth=1
	v_add_co_u32 v214, s4, v129, v52
	s_delay_alu instid0(VALU_DEP_1)
	v_add_co_ci_u32_e64 v215, s4, 0, v130, s4
	flat_load_b32 v0, v[214:215] offset:48
	s_branch .LBB37_27
.LBB37_40:
	s_clause 0x2
	s_load_b32 s12, s[0:1], 0x50
	s_load_b32 s9, s[0:1], 0x68
	s_load_b64 s[0:1], s[0:1], 0x70
	v_add_nc_u32_e32 v117, s21, v51
	ds_load_b128 v[32:35], v54 offset:5120
	ds_load_b128 v[28:31], v54 offset:5248
	;; [unrolled: 1-line block ×12, first 2 shown]
	v_add_nc_u32_e32 v48, s20, v50
	v_cmp_gt_i32_e64 s8, s17, v117
	v_cndmask_b32_e64 v100, 0, 1, s19
	s_waitcnt lgkmcnt(0)
	v_mad_i64_i32 v[51:52], null, v117, s12, 0
	v_mad_i64_i32 v[54:55], null, v117, s9, 0
	s_lshl_b64 s[0:1], s[0:1], 2
	s_delay_alu instid0(SALU_CYCLE_1) | instskip(SKIP_1) | instid1(VALU_DEP_2)
	s_add_u32 s13, s6, s0
	s_addc_u32 s14, s7, s1
	v_lshlrev_b64 v[49:50], 2, v[51:52]
	v_cmp_gt_i32_e64 s0, s16, v48
	s_delay_alu instid0(VALU_DEP_3) | instskip(NEXT) | instid1(VALU_DEP_2)
	v_lshlrev_b64 v[51:52], 2, v[54:55]
	s_and_b32 s2, s0, s8
	s_delay_alu instid0(VALU_DEP_3) | instskip(NEXT) | instid1(VALU_DEP_4)
	v_add_co_u32 v124, vcc_lo, s10, v49
	v_add_co_ci_u32_e32 v125, vcc_lo, s11, v50, vcc_lo
	s_delay_alu instid0(VALU_DEP_3) | instskip(NEXT) | instid1(VALU_DEP_4)
	v_add_co_u32 v122, vcc_lo, s13, v51
	v_add_co_ci_u32_e32 v123, vcc_lo, s14, v52, vcc_lo
	v_ashrrev_i32_e32 v49, 31, v48
	s_and_saveexec_b32 s1, s2
	s_cbranch_execz .LBB37_45
; %bb.41:
	s_delay_alu instid0(VALU_DEP_1)
	v_lshlrev_b64 v[50:51], 2, v[48:49]
	s_and_not1_b32 vcc_lo, exec_lo, s19
	s_cbranch_vccnz .LBB37_43
; %bb.42:
	s_delay_alu instid0(VALU_DEP_1) | instskip(NEXT) | instid1(VALU_DEP_2)
	v_add_co_u32 v52, vcc_lo, v124, v50
	v_add_co_ci_u32_e32 v53, vcc_lo, v125, v51, vcc_lo
	flat_load_b32 v52, v[52:53]
	s_waitcnt vmcnt(0) lgkmcnt(0)
	v_mul_f32_e32 v52, s15, v52
	s_branch .LBB37_44
.LBB37_43:
	v_mov_b32_e32 v52, 0
.LBB37_44:
	v_dual_max_f32 v53, v45, v45 :: v_dual_max_f32 v126, v32, v32
	v_dual_max_f32 v54, v33, v33 :: v_dual_max_f32 v55, v44, v44
	;; [unrolled: 1-line block ×3, first 2 shown]
	v_add_co_u32 v50, vcc_lo, v122, v50
	s_delay_alu instid0(VALU_DEP_3) | instskip(SKIP_2) | instid1(VALU_DEP_3)
	v_min_f32_e32 v55, v126, v55
	v_add_co_ci_u32_e32 v51, vcc_lo, v123, v51, vcc_lo
	v_max_f32_e32 v129, v35, v35
	v_add_f32_e32 v55, v120, v55
	v_min_f32_e32 v53, v54, v53
	v_max_f32_e32 v54, v34, v34
	s_delay_alu instid0(VALU_DEP_1) | instskip(NEXT) | instid1(VALU_DEP_1)
	v_min_f32_e32 v54, v54, v127
	v_dual_add_f32 v54, v55, v54 :: v_dual_add_f32 v53, v121, v53
	v_min_f32_e32 v121, v129, v128
	s_delay_alu instid0(VALU_DEP_1) | instskip(NEXT) | instid1(VALU_DEP_1)
	v_add_f32_e32 v53, v53, v121
	v_add_f32_e32 v53, v54, v53
	s_delay_alu instid0(VALU_DEP_1)
	v_add_f32_e32 v52, v53, v52
	global_store_b32 v[50:51], v52, off
.LBB37_45:
	s_or_b32 exec_lo, exec_lo, s1
	v_add_nc_u32_e32 v50, 8, v48
	s_delay_alu instid0(VALU_DEP_1) | instskip(SKIP_1) | instid1(VALU_DEP_2)
	v_cmp_gt_i32_e64 s1, s16, v50
	v_ashrrev_i32_e32 v51, 31, v50
	s_and_b32 s3, s1, s8
	s_delay_alu instid0(SALU_CYCLE_1)
	s_and_saveexec_b32 s2, s3
	s_cbranch_execz .LBB37_50
; %bb.46:
	v_cmp_ne_u32_e32 vcc_lo, 1, v100
	v_lshlrev_b64 v[52:53], 2, v[50:51]
	s_cbranch_vccnz .LBB37_48
; %bb.47:
	s_delay_alu instid0(VALU_DEP_1) | instskip(NEXT) | instid1(VALU_DEP_2)
	v_add_co_u32 v54, vcc_lo, v124, v52
	v_add_co_ci_u32_e32 v55, vcc_lo, v125, v53, vcc_lo
	flat_load_b32 v54, v[54:55]
	s_waitcnt vmcnt(0) lgkmcnt(0)
	v_mul_f32_e32 v54, s15, v54
	s_branch .LBB37_49
.LBB37_48:
	v_mov_b32_e32 v54, 0
.LBB37_49:
	v_dual_max_f32 v55, v45, v45 :: v_dual_max_f32 v126, v28, v28
	v_dual_max_f32 v120, v29, v29 :: v_dual_max_f32 v121, v44, v44
	;; [unrolled: 1-line block ×3, first 2 shown]
	v_max_f32_e32 v129, v31, v31
	s_delay_alu instid0(VALU_DEP_3) | instskip(NEXT) | instid1(VALU_DEP_4)
	v_dual_min_f32 v55, v120, v55 :: v_dual_max_f32 v120, v30, v30
	v_min_f32_e32 v121, v126, v121
	v_add_co_u32 v52, vcc_lo, v122, v52
	s_delay_alu instid0(VALU_DEP_3) | instskip(NEXT) | instid1(VALU_DEP_4)
	v_add_f32_e32 v55, v118, v55
	v_min_f32_e32 v118, v120, v127
	s_delay_alu instid0(VALU_DEP_4) | instskip(SKIP_1) | instid1(VALU_DEP_2)
	v_dual_min_f32 v120, v129, v128 :: v_dual_add_f32 v119, v119, v121
	v_add_co_ci_u32_e32 v53, vcc_lo, v123, v53, vcc_lo
	v_add_f32_e32 v55, v55, v120
	s_delay_alu instid0(VALU_DEP_3) | instskip(NEXT) | instid1(VALU_DEP_1)
	v_add_f32_e32 v118, v119, v118
	v_add_f32_e32 v55, v118, v55
	s_delay_alu instid0(VALU_DEP_1)
	v_add_f32_e32 v54, v55, v54
	global_store_b32 v[52:53], v54, off
.LBB37_50:
	s_or_b32 exec_lo, exec_lo, s2
	v_add_nc_u32_e32 v52, 16, v48
	s_delay_alu instid0(VALU_DEP_1) | instskip(SKIP_1) | instid1(VALU_DEP_2)
	v_cmp_gt_i32_e64 s2, s16, v52
	v_ashrrev_i32_e32 v53, 31, v52
	s_and_b32 s4, s2, s8
	s_delay_alu instid0(SALU_CYCLE_1)
	s_and_saveexec_b32 s3, s4
	s_cbranch_execz .LBB37_55
; %bb.51:
	v_cmp_ne_u32_e32 vcc_lo, 1, v100
	v_lshlrev_b64 v[54:55], 2, v[52:53]
	s_cbranch_vccnz .LBB37_53
; %bb.52:
	s_delay_alu instid0(VALU_DEP_1) | instskip(NEXT) | instid1(VALU_DEP_2)
	v_add_co_u32 v118, vcc_lo, v124, v54
	v_add_co_ci_u32_e32 v119, vcc_lo, v125, v55, vcc_lo
	flat_load_b32 v118, v[118:119]
	s_waitcnt vmcnt(0) lgkmcnt(0)
	v_mul_f32_e32 v118, s15, v118
	s_branch .LBB37_54
.LBB37_53:
	v_mov_b32_e32 v118, 0
.LBB37_54:
	v_dual_max_f32 v119, v45, v45 :: v_dual_max_f32 v126, v24, v24
	v_dual_max_f32 v120, v25, v25 :: v_dual_max_f32 v121, v44, v44
	;; [unrolled: 1-line block ×3, first 2 shown]
	v_add_co_u32 v54, vcc_lo, v122, v54
	s_delay_alu instid0(VALU_DEP_3) | instskip(NEXT) | instid1(VALU_DEP_4)
	v_dual_min_f32 v119, v120, v119 :: v_dual_max_f32 v120, v26, v26
	v_min_f32_e32 v121, v126, v121
	v_add_co_ci_u32_e32 v55, vcc_lo, v123, v55, vcc_lo
	s_delay_alu instid0(VALU_DEP_3) | instskip(SKIP_3) | instid1(VALU_DEP_3)
	v_add_f32_e32 v56, v56, v119
	v_max_f32_e32 v129, v27, v27
	v_min_f32_e32 v119, v120, v127
	v_add_f32_e32 v57, v57, v121
	v_min_f32_e32 v120, v129, v128
	s_delay_alu instid0(VALU_DEP_1) | instskip(NEXT) | instid1(VALU_DEP_1)
	v_dual_add_f32 v57, v57, v119 :: v_dual_add_f32 v56, v56, v120
	v_add_f32_e32 v56, v57, v56
	s_delay_alu instid0(VALU_DEP_1)
	v_add_f32_e32 v56, v56, v118
	global_store_b32 v[54:55], v56, off
.LBB37_55:
	s_or_b32 exec_lo, exec_lo, s3
	v_add_nc_u32_e32 v54, 24, v48
	s_delay_alu instid0(VALU_DEP_1) | instskip(SKIP_1) | instid1(VALU_DEP_2)
	v_cmp_gt_i32_e64 s3, s16, v54
	v_ashrrev_i32_e32 v55, 31, v54
	s_and_b32 s5, s3, s8
	s_delay_alu instid0(SALU_CYCLE_1)
	s_and_saveexec_b32 s4, s5
	s_cbranch_execz .LBB37_60
; %bb.56:
	v_cmp_ne_u32_e32 vcc_lo, 1, v100
	v_lshlrev_b64 v[56:57], 2, v[54:55]
	s_cbranch_vccnz .LBB37_58
; %bb.57:
	s_delay_alu instid0(VALU_DEP_1) | instskip(NEXT) | instid1(VALU_DEP_2)
	v_add_co_u32 v118, vcc_lo, v124, v56
	v_add_co_ci_u32_e32 v119, vcc_lo, v125, v57, vcc_lo
	flat_load_b32 v118, v[118:119]
	s_waitcnt vmcnt(0) lgkmcnt(0)
	v_mul_f32_e32 v118, s15, v118
	s_branch .LBB37_59
.LBB37_58:
	v_mov_b32_e32 v118, 0
.LBB37_59:
	v_dual_max_f32 v119, v45, v45 :: v_dual_max_f32 v126, v20, v20
	v_dual_max_f32 v120, v21, v21 :: v_dual_max_f32 v121, v44, v44
	;; [unrolled: 1-line block ×3, first 2 shown]
	v_add_co_u32 v56, vcc_lo, v122, v56
	s_delay_alu instid0(VALU_DEP_3) | instskip(SKIP_1) | instid1(VALU_DEP_2)
	v_dual_min_f32 v119, v120, v119 :: v_dual_max_f32 v120, v22, v22
	v_add_co_ci_u32_e32 v57, vcc_lo, v123, v57, vcc_lo
	v_add_f32_e32 v58, v58, v119
	v_max_f32_e32 v129, v23, v23
	v_min_f32_e32 v121, v126, v121
	s_delay_alu instid0(VALU_DEP_2) | instskip(NEXT) | instid1(VALU_DEP_1)
	v_dual_min_f32 v119, v120, v127 :: v_dual_min_f32 v120, v129, v128
	v_dual_add_f32 v59, v59, v121 :: v_dual_add_f32 v58, v58, v120
	s_delay_alu instid0(VALU_DEP_1) | instskip(NEXT) | instid1(VALU_DEP_1)
	v_add_f32_e32 v59, v59, v119
	v_add_f32_e32 v58, v59, v58
	s_delay_alu instid0(VALU_DEP_1)
	v_add_f32_e32 v58, v58, v118
	global_store_b32 v[56:57], v58, off
.LBB37_60:
	s_or_b32 exec_lo, exec_lo, s4
	v_add_nc_u32_e32 v56, 32, v48
	s_delay_alu instid0(VALU_DEP_1) | instskip(SKIP_1) | instid1(VALU_DEP_2)
	v_cmp_gt_i32_e64 s4, s16, v56
	v_ashrrev_i32_e32 v57, 31, v56
	s_and_b32 s6, s4, s8
	s_delay_alu instid0(SALU_CYCLE_1)
	s_and_saveexec_b32 s5, s6
	s_cbranch_execz .LBB37_65
; %bb.61:
	v_cmp_ne_u32_e32 vcc_lo, 1, v100
	v_lshlrev_b64 v[58:59], 2, v[56:57]
	s_cbranch_vccnz .LBB37_63
; %bb.62:
	s_delay_alu instid0(VALU_DEP_1) | instskip(NEXT) | instid1(VALU_DEP_2)
	v_add_co_u32 v118, vcc_lo, v124, v58
	v_add_co_ci_u32_e32 v119, vcc_lo, v125, v59, vcc_lo
	flat_load_b32 v118, v[118:119]
	s_waitcnt vmcnt(0) lgkmcnt(0)
	v_mul_f32_e32 v118, s15, v118
	s_branch .LBB37_64
.LBB37_63:
	v_mov_b32_e32 v118, 0
.LBB37_64:
	v_dual_max_f32 v119, v45, v45 :: v_dual_max_f32 v126, v16, v16
	v_dual_max_f32 v120, v17, v17 :: v_dual_max_f32 v121, v44, v44
	;; [unrolled: 1-line block ×3, first 2 shown]
	v_add_co_u32 v58, vcc_lo, v122, v58
	s_delay_alu instid0(VALU_DEP_3) | instskip(NEXT) | instid1(VALU_DEP_4)
	v_dual_min_f32 v119, v120, v119 :: v_dual_max_f32 v120, v18, v18
	v_min_f32_e32 v121, v126, v121
	v_add_co_ci_u32_e32 v59, vcc_lo, v123, v59, vcc_lo
	s_delay_alu instid0(VALU_DEP_3) | instskip(SKIP_3) | instid1(VALU_DEP_3)
	v_add_f32_e32 v60, v60, v119
	v_max_f32_e32 v129, v19, v19
	v_min_f32_e32 v119, v120, v127
	v_add_f32_e32 v61, v61, v121
	v_min_f32_e32 v120, v129, v128
	s_delay_alu instid0(VALU_DEP_1) | instskip(NEXT) | instid1(VALU_DEP_1)
	v_dual_add_f32 v61, v61, v119 :: v_dual_add_f32 v60, v60, v120
	v_add_f32_e32 v60, v61, v60
	s_delay_alu instid0(VALU_DEP_1)
	v_add_f32_e32 v60, v60, v118
	global_store_b32 v[58:59], v60, off
.LBB37_65:
	s_or_b32 exec_lo, exec_lo, s5
	v_add_nc_u32_e32 v58, 40, v48
	s_delay_alu instid0(VALU_DEP_1) | instskip(SKIP_1) | instid1(VALU_DEP_2)
	v_cmp_gt_i32_e64 s5, s16, v58
	v_ashrrev_i32_e32 v59, 31, v58
	s_and_b32 s7, s5, s8
	s_delay_alu instid0(SALU_CYCLE_1)
	s_and_saveexec_b32 s6, s7
	s_cbranch_execz .LBB37_70
; %bb.66:
	v_cmp_ne_u32_e32 vcc_lo, 1, v100
	v_lshlrev_b64 v[60:61], 2, v[58:59]
	s_cbranch_vccnz .LBB37_68
; %bb.67:
	s_delay_alu instid0(VALU_DEP_1) | instskip(NEXT) | instid1(VALU_DEP_2)
	v_add_co_u32 v118, vcc_lo, v124, v60
	v_add_co_ci_u32_e32 v119, vcc_lo, v125, v61, vcc_lo
	flat_load_b32 v118, v[118:119]
	s_waitcnt vmcnt(0) lgkmcnt(0)
	v_mul_f32_e32 v118, s15, v118
	s_branch .LBB37_69
.LBB37_68:
	v_mov_b32_e32 v118, 0
.LBB37_69:
	v_dual_max_f32 v119, v45, v45 :: v_dual_max_f32 v126, v12, v12
	v_dual_max_f32 v120, v13, v13 :: v_dual_max_f32 v121, v44, v44
	;; [unrolled: 1-line block ×3, first 2 shown]
	v_add_co_u32 v60, vcc_lo, v122, v60
	s_delay_alu instid0(VALU_DEP_3) | instskip(NEXT) | instid1(VALU_DEP_4)
	v_dual_min_f32 v119, v120, v119 :: v_dual_max_f32 v120, v14, v14
	v_min_f32_e32 v121, v126, v121
	v_max_f32_e32 v129, v15, v15
	v_add_co_ci_u32_e32 v61, vcc_lo, v123, v61, vcc_lo
	s_delay_alu instid0(VALU_DEP_4) | instskip(NEXT) | instid1(VALU_DEP_4)
	v_add_f32_e32 v63, v63, v119
	v_dual_min_f32 v119, v120, v127 :: v_dual_add_f32 v62, v62, v121
	s_delay_alu instid0(VALU_DEP_4) | instskip(NEXT) | instid1(VALU_DEP_1)
	v_min_f32_e32 v120, v129, v128
	v_dual_add_f32 v62, v62, v119 :: v_dual_add_f32 v63, v63, v120
	s_delay_alu instid0(VALU_DEP_1) | instskip(NEXT) | instid1(VALU_DEP_1)
	v_add_f32_e32 v62, v62, v63
	v_add_f32_e32 v62, v62, v118
	global_store_b32 v[60:61], v62, off
.LBB37_70:
	s_or_b32 exec_lo, exec_lo, s6
	v_add_nc_u32_e32 v60, 48, v48
	s_delay_alu instid0(VALU_DEP_1) | instskip(SKIP_1) | instid1(VALU_DEP_2)
	v_cmp_gt_i32_e64 s6, s16, v60
	v_ashrrev_i32_e32 v61, 31, v60
	s_and_b32 s18, s6, s8
	s_delay_alu instid0(SALU_CYCLE_1)
	s_and_saveexec_b32 s7, s18
	s_cbranch_execz .LBB37_75
; %bb.71:
	v_cmp_ne_u32_e32 vcc_lo, 1, v100
	v_lshlrev_b64 v[62:63], 2, v[60:61]
	s_cbranch_vccnz .LBB37_73
; %bb.72:
	s_delay_alu instid0(VALU_DEP_1) | instskip(NEXT) | instid1(VALU_DEP_2)
	v_add_co_u32 v118, vcc_lo, v124, v62
	v_add_co_ci_u32_e32 v119, vcc_lo, v125, v63, vcc_lo
	flat_load_b32 v118, v[118:119]
	s_waitcnt vmcnt(0) lgkmcnt(0)
	v_mul_f32_e32 v118, s15, v118
	s_branch .LBB37_74
.LBB37_73:
	v_mov_b32_e32 v118, 0
.LBB37_74:
	v_dual_max_f32 v119, v45, v45 :: v_dual_max_f32 v126, v8, v8
	v_dual_max_f32 v120, v9, v9 :: v_dual_max_f32 v121, v44, v44
	;; [unrolled: 1-line block ×3, first 2 shown]
	v_add_co_u32 v62, vcc_lo, v122, v62
	s_delay_alu instid0(VALU_DEP_3) | instskip(NEXT) | instid1(VALU_DEP_4)
	v_dual_min_f32 v119, v120, v119 :: v_dual_max_f32 v120, v10, v10
	v_min_f32_e32 v121, v126, v121
	v_add_co_ci_u32_e32 v63, vcc_lo, v123, v63, vcc_lo
	s_delay_alu instid0(VALU_DEP_3) | instskip(SKIP_3) | instid1(VALU_DEP_3)
	v_add_f32_e32 v64, v64, v119
	v_max_f32_e32 v129, v11, v11
	v_min_f32_e32 v119, v120, v127
	v_add_f32_e32 v65, v65, v121
	v_min_f32_e32 v120, v129, v128
	s_delay_alu instid0(VALU_DEP_1) | instskip(NEXT) | instid1(VALU_DEP_1)
	v_dual_add_f32 v65, v65, v119 :: v_dual_add_f32 v64, v64, v120
	v_add_f32_e32 v64, v65, v64
	s_delay_alu instid0(VALU_DEP_1)
	v_add_f32_e32 v64, v64, v118
	global_store_b32 v[62:63], v64, off
.LBB37_75:
	s_or_b32 exec_lo, exec_lo, s7
	v_add_nc_u32_e32 v62, 56, v48
	s_delay_alu instid0(VALU_DEP_1) | instskip(SKIP_1) | instid1(VALU_DEP_2)
	v_cmp_gt_i32_e64 s7, s16, v62
	v_ashrrev_i32_e32 v63, 31, v62
	s_and_b32 s16, s7, s8
	s_delay_alu instid0(SALU_CYCLE_1)
	s_and_saveexec_b32 s8, s16
	s_cbranch_execz .LBB37_80
; %bb.76:
	v_cmp_ne_u32_e32 vcc_lo, 1, v100
	v_lshlrev_b64 v[64:65], 2, v[62:63]
	s_cbranch_vccnz .LBB37_78
; %bb.77:
	s_delay_alu instid0(VALU_DEP_1) | instskip(NEXT) | instid1(VALU_DEP_2)
	v_add_co_u32 v118, vcc_lo, v124, v64
	v_add_co_ci_u32_e32 v119, vcc_lo, v125, v65, vcc_lo
	flat_load_b32 v118, v[118:119]
	s_waitcnt vmcnt(0) lgkmcnt(0)
	v_mul_f32_e32 v118, s15, v118
	s_branch .LBB37_79
.LBB37_78:
	v_mov_b32_e32 v118, 0
.LBB37_79:
	v_dual_max_f32 v45, v45, v45 :: v_dual_max_f32 v44, v44, v44
	v_dual_max_f32 v119, v1, v1 :: v_dual_max_f32 v120, v0, v0
	s_delay_alu instid0(VALU_DEP_1) | instskip(NEXT) | instid1(VALU_DEP_2)
	v_dual_max_f32 v46, v46, v46 :: v_dual_min_f32 v45, v119, v45
	v_dual_max_f32 v119, v2, v2 :: v_dual_min_f32 v44, v120, v44
	v_max_f32_e32 v47, v47, v47
	s_delay_alu instid0(VALU_DEP_2) | instskip(NEXT) | instid1(VALU_DEP_3)
	v_dual_add_f32 v45, v115, v45 :: v_dual_add_f32 v44, v116, v44
	v_min_f32_e32 v46, v119, v46
	s_delay_alu instid0(VALU_DEP_1) | instskip(NEXT) | instid1(VALU_DEP_1)
	v_dual_max_f32 v121, v3, v3 :: v_dual_add_f32 v44, v44, v46
	v_min_f32_e32 v47, v121, v47
	s_delay_alu instid0(VALU_DEP_1) | instskip(NEXT) | instid1(VALU_DEP_1)
	v_add_f32_e32 v45, v45, v47
	v_add_f32_e32 v44, v44, v45
	s_delay_alu instid0(VALU_DEP_1)
	v_add_f32_e32 v46, v44, v118
	v_add_co_u32 v44, vcc_lo, v122, v64
	v_add_co_ci_u32_e32 v45, vcc_lo, v123, v65, vcc_lo
	global_store_b32 v[44:45], v46, off
.LBB37_80:
	s_or_b32 exec_lo, exec_lo, s8
	v_add_nc_u32_e32 v64, 32, v117
	s_delay_alu instid0(VALU_DEP_1) | instskip(SKIP_2) | instid1(VALU_DEP_3)
	v_mad_i64_i32 v[44:45], null, v64, s12, 0
	v_mad_i64_i32 v[46:47], null, v64, s9, 0
	v_cmp_gt_i32_e64 s8, s17, v64
	v_lshlrev_b64 v[44:45], 2, v[44:45]
	s_delay_alu instid0(VALU_DEP_2) | instskip(NEXT) | instid1(VALU_DEP_3)
	s_and_b32 s18, s0, s8
	v_lshlrev_b64 v[46:47], 2, v[46:47]
	s_delay_alu instid0(VALU_DEP_2) | instskip(NEXT) | instid1(VALU_DEP_3)
	v_add_co_u32 v64, vcc_lo, s10, v44
	v_add_co_ci_u32_e32 v65, vcc_lo, s11, v45, vcc_lo
	s_delay_alu instid0(VALU_DEP_3) | instskip(NEXT) | instid1(VALU_DEP_4)
	v_add_co_u32 v46, vcc_lo, s13, v46
	v_add_co_ci_u32_e32 v47, vcc_lo, s14, v47, vcc_lo
	s_and_saveexec_b32 s16, s18
	s_cbranch_execnz .LBB37_88
; %bb.81:
	s_or_b32 exec_lo, exec_lo, s16
	s_and_b32 s18, s1, s8
	s_delay_alu instid0(SALU_CYCLE_1)
	s_and_saveexec_b32 s16, s18
	s_cbranch_execnz .LBB37_92
.LBB37_82:
	s_or_b32 exec_lo, exec_lo, s16
	s_and_b32 s18, s2, s8
	s_delay_alu instid0(SALU_CYCLE_1)
	s_and_saveexec_b32 s16, s18
	s_cbranch_execnz .LBB37_96
.LBB37_83:
	s_or_b32 exec_lo, exec_lo, s16
	s_and_b32 s18, s3, s8
	s_delay_alu instid0(SALU_CYCLE_1)
	s_and_saveexec_b32 s16, s18
	s_cbranch_execnz .LBB37_100
.LBB37_84:
	s_or_b32 exec_lo, exec_lo, s16
	s_and_b32 s18, s4, s8
	s_delay_alu instid0(SALU_CYCLE_1)
	s_and_saveexec_b32 s16, s18
	s_cbranch_execnz .LBB37_104
.LBB37_85:
	s_or_b32 exec_lo, exec_lo, s16
	s_and_b32 s18, s5, s8
	s_delay_alu instid0(SALU_CYCLE_1)
	s_and_saveexec_b32 s16, s18
	s_cbranch_execnz .LBB37_108
.LBB37_86:
	s_or_b32 exec_lo, exec_lo, s16
	s_and_b32 s18, s6, s8
	s_delay_alu instid0(SALU_CYCLE_1)
	s_and_saveexec_b32 s16, s18
	s_cbranch_execnz .LBB37_112
.LBB37_87:
	s_or_b32 exec_lo, exec_lo, s16
	s_and_b32 s16, s7, s8
	s_delay_alu instid0(SALU_CYCLE_1)
	s_and_saveexec_b32 s8, s16
	s_cbranch_execnz .LBB37_116
	s_branch .LBB37_120
.LBB37_88:
	v_cmp_ne_u32_e32 vcc_lo, 1, v100
	v_lshlrev_b64 v[44:45], 2, v[48:49]
	s_cbranch_vccnz .LBB37_90
; %bb.89:
	s_delay_alu instid0(VALU_DEP_1) | instskip(NEXT) | instid1(VALU_DEP_2)
	v_add_co_u32 v115, vcc_lo, v64, v44
	v_add_co_ci_u32_e32 v116, vcc_lo, v65, v45, vcc_lo
	flat_load_b32 v115, v[115:116]
	s_waitcnt vmcnt(0) lgkmcnt(0)
	v_mul_f32_e32 v115, s15, v115
	s_branch .LBB37_91
.LBB37_90:
	v_mov_b32_e32 v115, 0
.LBB37_91:
	v_dual_max_f32 v116, v41, v41 :: v_dual_max_f32 v119, v40, v40
	v_dual_max_f32 v118, v33, v33 :: v_dual_max_f32 v121, v42, v42
	;; [unrolled: 1-line block ×3, first 2 shown]
	v_add_co_u32 v44, vcc_lo, v46, v44
	s_delay_alu instid0(VALU_DEP_2) | instskip(SKIP_2) | instid1(VALU_DEP_3)
	v_dual_min_f32 v116, v118, v116 :: v_dual_min_f32 v119, v120, v119
	v_max_f32_e32 v118, v34, v34
	v_add_co_ci_u32_e32 v45, vcc_lo, v47, v45, vcc_lo
	v_dual_add_f32 v114, v114, v116 :: v_dual_add_f32 v113, v113, v119
	s_delay_alu instid0(VALU_DEP_3) | instskip(NEXT) | instid1(VALU_DEP_1)
	v_min_f32_e32 v116, v118, v121
	v_dual_max_f32 v122, v43, v43 :: v_dual_add_f32 v113, v113, v116
	s_delay_alu instid0(VALU_DEP_1) | instskip(NEXT) | instid1(VALU_DEP_1)
	v_min_f32_e32 v118, v123, v122
	v_add_f32_e32 v114, v114, v118
	s_delay_alu instid0(VALU_DEP_1) | instskip(NEXT) | instid1(VALU_DEP_1)
	v_add_f32_e32 v113, v113, v114
	v_add_f32_e32 v113, v113, v115
	global_store_b32 v[44:45], v113, off
	s_or_b32 exec_lo, exec_lo, s16
	s_and_b32 s18, s1, s8
	s_delay_alu instid0(SALU_CYCLE_1)
	s_and_saveexec_b32 s16, s18
	s_cbranch_execz .LBB37_82
.LBB37_92:
	v_cmp_ne_u32_e32 vcc_lo, 1, v100
	v_lshlrev_b64 v[44:45], 2, v[50:51]
	s_cbranch_vccnz .LBB37_94
; %bb.93:
	s_delay_alu instid0(VALU_DEP_1) | instskip(NEXT) | instid1(VALU_DEP_2)
	v_add_co_u32 v113, vcc_lo, v64, v44
	v_add_co_ci_u32_e32 v114, vcc_lo, v65, v45, vcc_lo
	flat_load_b32 v113, v[113:114]
	s_waitcnt vmcnt(0) lgkmcnt(0)
	v_mul_f32_e32 v113, s15, v113
	s_branch .LBB37_95
.LBB37_94:
	v_mov_b32_e32 v113, 0
.LBB37_95:
	v_dual_max_f32 v114, v41, v41 :: v_dual_max_f32 v119, v42, v42
	v_dual_max_f32 v115, v29, v29 :: v_dual_max_f32 v116, v40, v40
	v_max_f32_e32 v118, v28, v28
	v_max_f32_e32 v120, v43, v43
	;; [unrolled: 1-line block ×3, first 2 shown]
	s_delay_alu instid0(VALU_DEP_4) | instskip(SKIP_3) | instid1(VALU_DEP_4)
	v_min_f32_e32 v114, v115, v114
	v_max_f32_e32 v115, v30, v30
	v_min_f32_e32 v116, v118, v116
	v_add_co_u32 v44, vcc_lo, v46, v44
	v_add_f32_e32 v111, v111, v114
	s_delay_alu instid0(VALU_DEP_4) | instskip(NEXT) | instid1(VALU_DEP_4)
	v_min_f32_e32 v114, v115, v119
	v_add_f32_e32 v112, v112, v116
	v_min_f32_e32 v115, v121, v120
	v_add_co_ci_u32_e32 v45, vcc_lo, v47, v45, vcc_lo
	s_delay_alu instid0(VALU_DEP_2) | instskip(NEXT) | instid1(VALU_DEP_1)
	v_dual_add_f32 v112, v112, v114 :: v_dual_add_f32 v111, v111, v115
	v_add_f32_e32 v111, v112, v111
	s_delay_alu instid0(VALU_DEP_1) | instskip(SKIP_3) | instid1(SALU_CYCLE_1)
	v_add_f32_e32 v111, v111, v113
	global_store_b32 v[44:45], v111, off
	s_or_b32 exec_lo, exec_lo, s16
	s_and_b32 s18, s2, s8
	s_and_saveexec_b32 s16, s18
	s_cbranch_execz .LBB37_83
.LBB37_96:
	v_cmp_ne_u32_e32 vcc_lo, 1, v100
	v_lshlrev_b64 v[44:45], 2, v[52:53]
	s_cbranch_vccnz .LBB37_98
; %bb.97:
	s_delay_alu instid0(VALU_DEP_1) | instskip(NEXT) | instid1(VALU_DEP_2)
	v_add_co_u32 v111, vcc_lo, v64, v44
	v_add_co_ci_u32_e32 v112, vcc_lo, v65, v45, vcc_lo
	flat_load_b32 v111, v[111:112]
	s_waitcnt vmcnt(0) lgkmcnt(0)
	v_mul_f32_e32 v111, s15, v111
	s_branch .LBB37_99
.LBB37_98:
	v_mov_b32_e32 v111, 0
.LBB37_99:
	v_dual_max_f32 v112, v41, v41 :: v_dual_max_f32 v115, v24, v24
	v_dual_max_f32 v113, v25, v25 :: v_dual_max_f32 v114, v40, v40
	;; [unrolled: 1-line block ×3, first 2 shown]
	v_add_co_u32 v44, vcc_lo, v46, v44
	s_delay_alu instid0(VALU_DEP_3) | instskip(SKIP_1) | instid1(VALU_DEP_2)
	v_dual_min_f32 v112, v113, v112 :: v_dual_max_f32 v113, v26, v26
	v_add_co_ci_u32_e32 v45, vcc_lo, v47, v45, vcc_lo
	v_add_f32_e32 v110, v110, v112
	s_delay_alu instid0(VALU_DEP_3) | instskip(SKIP_1) | instid1(VALU_DEP_1)
	v_min_f32_e32 v112, v113, v116
	v_min_f32_e32 v114, v115, v114
	v_dual_max_f32 v118, v43, v43 :: v_dual_add_f32 v109, v109, v114
	s_delay_alu instid0(VALU_DEP_1) | instskip(NEXT) | instid1(VALU_DEP_1)
	v_min_f32_e32 v113, v119, v118
	v_dual_add_f32 v109, v109, v112 :: v_dual_add_f32 v110, v110, v113
	s_delay_alu instid0(VALU_DEP_1) | instskip(NEXT) | instid1(VALU_DEP_1)
	v_add_f32_e32 v109, v109, v110
	v_add_f32_e32 v109, v109, v111
	global_store_b32 v[44:45], v109, off
	s_or_b32 exec_lo, exec_lo, s16
	s_and_b32 s18, s3, s8
	s_delay_alu instid0(SALU_CYCLE_1)
	s_and_saveexec_b32 s16, s18
	s_cbranch_execz .LBB37_84
.LBB37_100:
	v_cmp_ne_u32_e32 vcc_lo, 1, v100
	v_lshlrev_b64 v[44:45], 2, v[54:55]
	s_cbranch_vccnz .LBB37_102
; %bb.101:
	s_delay_alu instid0(VALU_DEP_1) | instskip(NEXT) | instid1(VALU_DEP_2)
	v_add_co_u32 v109, vcc_lo, v64, v44
	v_add_co_ci_u32_e32 v110, vcc_lo, v65, v45, vcc_lo
	flat_load_b32 v109, v[109:110]
	s_waitcnt vmcnt(0) lgkmcnt(0)
	v_mul_f32_e32 v109, s15, v109
	s_branch .LBB37_103
.LBB37_102:
	v_mov_b32_e32 v109, 0
.LBB37_103:
	v_dual_max_f32 v110, v41, v41 :: v_dual_max_f32 v113, v20, v20
	v_dual_max_f32 v111, v21, v21 :: v_dual_max_f32 v112, v40, v40
	;; [unrolled: 1-line block ×3, first 2 shown]
	v_max_f32_e32 v116, v23, v23
	s_delay_alu instid0(VALU_DEP_3) | instskip(NEXT) | instid1(VALU_DEP_4)
	v_min_f32_e32 v110, v111, v110
	v_dual_max_f32 v111, v22, v22 :: v_dual_min_f32 v112, v113, v112
	v_add_co_u32 v44, vcc_lo, v46, v44
	s_delay_alu instid0(VALU_DEP_3) | instskip(NEXT) | instid1(VALU_DEP_3)
	v_add_f32_e32 v107, v107, v110
	v_dual_min_f32 v110, v111, v114 :: v_dual_min_f32 v111, v116, v115
	s_delay_alu instid0(VALU_DEP_4) | instskip(SKIP_1) | instid1(VALU_DEP_2)
	v_add_f32_e32 v108, v108, v112
	v_add_co_ci_u32_e32 v45, vcc_lo, v47, v45, vcc_lo
	v_dual_add_f32 v107, v107, v111 :: v_dual_add_f32 v108, v108, v110
	s_delay_alu instid0(VALU_DEP_1) | instskip(NEXT) | instid1(VALU_DEP_1)
	v_add_f32_e32 v107, v108, v107
	v_add_f32_e32 v107, v107, v109
	global_store_b32 v[44:45], v107, off
	s_or_b32 exec_lo, exec_lo, s16
	s_and_b32 s18, s4, s8
	s_delay_alu instid0(SALU_CYCLE_1)
	s_and_saveexec_b32 s16, s18
	s_cbranch_execz .LBB37_85
.LBB37_104:
	v_cmp_ne_u32_e32 vcc_lo, 1, v100
	v_lshlrev_b64 v[44:45], 2, v[56:57]
	s_cbranch_vccnz .LBB37_106
; %bb.105:
	s_delay_alu instid0(VALU_DEP_1) | instskip(NEXT) | instid1(VALU_DEP_2)
	v_add_co_u32 v107, vcc_lo, v64, v44
	v_add_co_ci_u32_e32 v108, vcc_lo, v65, v45, vcc_lo
	flat_load_b32 v107, v[107:108]
	s_waitcnt vmcnt(0) lgkmcnt(0)
	v_mul_f32_e32 v107, s15, v107
	s_branch .LBB37_107
.LBB37_106:
	v_mov_b32_e32 v107, 0
.LBB37_107:
	v_dual_max_f32 v108, v41, v41 :: v_dual_max_f32 v111, v16, v16
	v_dual_max_f32 v109, v17, v17 :: v_dual_max_f32 v110, v40, v40
	;; [unrolled: 1-line block ×3, first 2 shown]
	v_add_co_u32 v44, vcc_lo, v46, v44
	s_delay_alu instid0(VALU_DEP_3) | instskip(SKIP_2) | instid1(VALU_DEP_3)
	v_dual_min_f32 v108, v109, v108 :: v_dual_max_f32 v109, v18, v18
	v_max_f32_e32 v114, v19, v19
	v_add_co_ci_u32_e32 v45, vcc_lo, v47, v45, vcc_lo
	v_dual_add_f32 v105, v105, v108 :: v_dual_min_f32 v110, v111, v110
	s_delay_alu instid0(VALU_DEP_3) | instskip(NEXT) | instid1(VALU_DEP_1)
	v_dual_min_f32 v108, v109, v112 :: v_dual_min_f32 v109, v114, v113
	v_dual_add_f32 v106, v106, v110 :: v_dual_add_f32 v105, v105, v109
	s_delay_alu instid0(VALU_DEP_1) | instskip(NEXT) | instid1(VALU_DEP_1)
	v_add_f32_e32 v106, v106, v108
	v_add_f32_e32 v105, v106, v105
	s_delay_alu instid0(VALU_DEP_1) | instskip(SKIP_3) | instid1(SALU_CYCLE_1)
	v_add_f32_e32 v105, v105, v107
	global_store_b32 v[44:45], v105, off
	s_or_b32 exec_lo, exec_lo, s16
	s_and_b32 s18, s5, s8
	s_and_saveexec_b32 s16, s18
	s_cbranch_execz .LBB37_86
.LBB37_108:
	v_cmp_ne_u32_e32 vcc_lo, 1, v100
	v_lshlrev_b64 v[44:45], 2, v[58:59]
	s_cbranch_vccnz .LBB37_110
; %bb.109:
	s_delay_alu instid0(VALU_DEP_1) | instskip(NEXT) | instid1(VALU_DEP_2)
	v_add_co_u32 v105, vcc_lo, v64, v44
	v_add_co_ci_u32_e32 v106, vcc_lo, v65, v45, vcc_lo
	flat_load_b32 v105, v[105:106]
	s_waitcnt vmcnt(0) lgkmcnt(0)
	v_mul_f32_e32 v105, s15, v105
	s_branch .LBB37_111
.LBB37_110:
	v_mov_b32_e32 v105, 0
.LBB37_111:
	v_dual_max_f32 v106, v41, v41 :: v_dual_max_f32 v109, v12, v12
	v_dual_max_f32 v107, v13, v13 :: v_dual_max_f32 v108, v40, v40
	;; [unrolled: 1-line block ×3, first 2 shown]
	v_max_f32_e32 v112, v15, v15
	s_delay_alu instid0(VALU_DEP_3) | instskip(NEXT) | instid1(VALU_DEP_4)
	v_min_f32_e32 v106, v107, v106
	v_dual_max_f32 v107, v14, v14 :: v_dual_min_f32 v108, v109, v108
	v_add_co_u32 v44, vcc_lo, v46, v44
	s_delay_alu instid0(VALU_DEP_3) | instskip(NEXT) | instid1(VALU_DEP_3)
	v_add_f32_e32 v104, v104, v106
	v_min_f32_e32 v106, v107, v110
	s_delay_alu instid0(VALU_DEP_4) | instskip(SKIP_2) | instid1(VALU_DEP_2)
	v_add_f32_e32 v103, v103, v108
	v_min_f32_e32 v107, v112, v111
	v_add_co_ci_u32_e32 v45, vcc_lo, v47, v45, vcc_lo
	v_dual_add_f32 v103, v103, v106 :: v_dual_add_f32 v104, v104, v107
	s_delay_alu instid0(VALU_DEP_1) | instskip(NEXT) | instid1(VALU_DEP_1)
	v_add_f32_e32 v103, v103, v104
	v_add_f32_e32 v103, v103, v105
	global_store_b32 v[44:45], v103, off
	s_or_b32 exec_lo, exec_lo, s16
	s_and_b32 s18, s6, s8
	s_delay_alu instid0(SALU_CYCLE_1)
	s_and_saveexec_b32 s16, s18
	s_cbranch_execz .LBB37_87
.LBB37_112:
	v_cmp_ne_u32_e32 vcc_lo, 1, v100
	v_lshlrev_b64 v[44:45], 2, v[60:61]
	s_cbranch_vccnz .LBB37_114
; %bb.113:
	s_delay_alu instid0(VALU_DEP_1) | instskip(NEXT) | instid1(VALU_DEP_2)
	v_add_co_u32 v103, vcc_lo, v64, v44
	v_add_co_ci_u32_e32 v104, vcc_lo, v65, v45, vcc_lo
	flat_load_b32 v103, v[103:104]
	s_waitcnt vmcnt(0) lgkmcnt(0)
	v_mul_f32_e32 v103, s15, v103
	s_branch .LBB37_115
.LBB37_114:
	v_mov_b32_e32 v103, 0
.LBB37_115:
	v_dual_max_f32 v104, v41, v41 :: v_dual_max_f32 v107, v8, v8
	v_dual_max_f32 v105, v9, v9 :: v_dual_max_f32 v106, v40, v40
	;; [unrolled: 1-line block ×3, first 2 shown]
	v_add_co_u32 v44, vcc_lo, v46, v44
	s_delay_alu instid0(VALU_DEP_3) | instskip(SKIP_2) | instid1(VALU_DEP_3)
	v_dual_min_f32 v104, v105, v104 :: v_dual_max_f32 v105, v10, v10
	v_max_f32_e32 v110, v11, v11
	v_add_co_ci_u32_e32 v45, vcc_lo, v47, v45, vcc_lo
	v_dual_add_f32 v101, v101, v104 :: v_dual_min_f32 v106, v107, v106
	s_delay_alu instid0(VALU_DEP_3) | instskip(NEXT) | instid1(VALU_DEP_1)
	v_dual_min_f32 v104, v105, v108 :: v_dual_min_f32 v105, v110, v109
	v_dual_add_f32 v102, v102, v106 :: v_dual_add_f32 v101, v101, v105
	s_delay_alu instid0(VALU_DEP_1) | instskip(NEXT) | instid1(VALU_DEP_1)
	v_add_f32_e32 v102, v102, v104
	v_add_f32_e32 v101, v102, v101
	s_delay_alu instid0(VALU_DEP_1) | instskip(SKIP_3) | instid1(SALU_CYCLE_1)
	v_add_f32_e32 v101, v101, v103
	global_store_b32 v[44:45], v101, off
	s_or_b32 exec_lo, exec_lo, s16
	s_and_b32 s16, s7, s8
	s_and_saveexec_b32 s8, s16
	s_cbranch_execz .LBB37_120
.LBB37_116:
	v_cmp_ne_u32_e32 vcc_lo, 1, v100
	v_lshlrev_b64 v[44:45], 2, v[62:63]
	s_cbranch_vccnz .LBB37_118
; %bb.117:
	s_delay_alu instid0(VALU_DEP_1) | instskip(NEXT) | instid1(VALU_DEP_2)
	v_add_co_u32 v64, vcc_lo, v64, v44
	v_add_co_ci_u32_e32 v65, vcc_lo, v65, v45, vcc_lo
	flat_load_b32 v64, v[64:65]
	s_waitcnt vmcnt(0) lgkmcnt(0)
	v_mul_f32_e32 v64, s15, v64
	s_branch .LBB37_119
.LBB37_118:
	v_mov_b32_e32 v64, 0
.LBB37_119:
	v_dual_max_f32 v41, v41, v41 :: v_dual_max_f32 v40, v40, v40
	v_dual_max_f32 v65, v1, v1 :: v_dual_max_f32 v42, v42, v42
	;; [unrolled: 1-line block ×3, first 2 shown]
	s_delay_alu instid0(VALU_DEP_1) | instskip(NEXT) | instid1(VALU_DEP_1)
	v_dual_max_f32 v43, v43, v43 :: v_dual_min_f32 v40, v101, v40
	v_dual_min_f32 v41, v65, v41 :: v_dual_add_f32 v40, v98, v40
	s_delay_alu instid0(VALU_DEP_1) | instskip(NEXT) | instid1(VALU_DEP_3)
	v_add_f32_e32 v41, v99, v41
	v_min_f32_e32 v43, v102, v43
	s_delay_alu instid0(VALU_DEP_1) | instskip(SKIP_1) | instid1(VALU_DEP_1)
	v_add_f32_e32 v41, v41, v43
	v_max_f32_e32 v65, v2, v2
	v_min_f32_e32 v42, v65, v42
	s_delay_alu instid0(VALU_DEP_1) | instskip(NEXT) | instid1(VALU_DEP_1)
	v_add_f32_e32 v40, v40, v42
	v_add_f32_e32 v40, v40, v41
	s_delay_alu instid0(VALU_DEP_1)
	v_add_f32_e32 v42, v40, v64
	v_add_co_u32 v40, vcc_lo, v46, v44
	v_add_co_ci_u32_e32 v41, vcc_lo, v47, v45, vcc_lo
	global_store_b32 v[40:41], v42, off
.LBB37_120:
	s_or_b32 exec_lo, exec_lo, s8
	v_add_nc_u32_e32 v44, 64, v117
	s_delay_alu instid0(VALU_DEP_1) | instskip(SKIP_2) | instid1(VALU_DEP_3)
	v_mad_i64_i32 v[40:41], null, v44, s12, 0
	v_mad_i64_i32 v[42:43], null, v44, s9, 0
	v_cmp_gt_i32_e64 s8, s17, v44
	v_lshlrev_b64 v[40:41], 2, v[40:41]
	s_delay_alu instid0(VALU_DEP_2) | instskip(NEXT) | instid1(VALU_DEP_3)
	s_and_b32 s18, s0, s8
	v_lshlrev_b64 v[42:43], 2, v[42:43]
	s_delay_alu instid0(VALU_DEP_2) | instskip(NEXT) | instid1(VALU_DEP_3)
	v_add_co_u32 v44, vcc_lo, s10, v40
	v_add_co_ci_u32_e32 v45, vcc_lo, s11, v41, vcc_lo
	s_delay_alu instid0(VALU_DEP_3) | instskip(NEXT) | instid1(VALU_DEP_4)
	v_add_co_u32 v42, vcc_lo, s13, v42
	v_add_co_ci_u32_e32 v43, vcc_lo, s14, v43, vcc_lo
	s_and_saveexec_b32 s16, s18
	s_cbranch_execnz .LBB37_128
; %bb.121:
	s_or_b32 exec_lo, exec_lo, s16
	s_and_b32 s18, s1, s8
	s_delay_alu instid0(SALU_CYCLE_1)
	s_and_saveexec_b32 s16, s18
	s_cbranch_execnz .LBB37_132
.LBB37_122:
	s_or_b32 exec_lo, exec_lo, s16
	s_and_b32 s18, s2, s8
	s_delay_alu instid0(SALU_CYCLE_1)
	s_and_saveexec_b32 s16, s18
	s_cbranch_execnz .LBB37_136
.LBB37_123:
	s_or_b32 exec_lo, exec_lo, s16
	s_and_b32 s18, s3, s8
	s_delay_alu instid0(SALU_CYCLE_1)
	s_and_saveexec_b32 s16, s18
	s_cbranch_execnz .LBB37_140
.LBB37_124:
	s_or_b32 exec_lo, exec_lo, s16
	s_and_b32 s18, s4, s8
	s_delay_alu instid0(SALU_CYCLE_1)
	s_and_saveexec_b32 s16, s18
	s_cbranch_execnz .LBB37_144
.LBB37_125:
	s_or_b32 exec_lo, exec_lo, s16
	s_and_b32 s18, s5, s8
	s_delay_alu instid0(SALU_CYCLE_1)
	s_and_saveexec_b32 s16, s18
	s_cbranch_execnz .LBB37_148
.LBB37_126:
	s_or_b32 exec_lo, exec_lo, s16
	s_and_b32 s18, s6, s8
	s_delay_alu instid0(SALU_CYCLE_1)
	s_and_saveexec_b32 s16, s18
	s_cbranch_execnz .LBB37_152
.LBB37_127:
	s_or_b32 exec_lo, exec_lo, s16
	s_and_b32 s16, s7, s8
	s_delay_alu instid0(SALU_CYCLE_1)
	s_and_saveexec_b32 s8, s16
	s_cbranch_execnz .LBB37_156
	s_branch .LBB37_160
.LBB37_128:
	v_cmp_ne_u32_e32 vcc_lo, 1, v100
	v_lshlrev_b64 v[40:41], 2, v[48:49]
	s_cbranch_vccnz .LBB37_130
; %bb.129:
	s_delay_alu instid0(VALU_DEP_1) | instskip(NEXT) | instid1(VALU_DEP_2)
	v_add_co_u32 v46, vcc_lo, v44, v40
	v_add_co_ci_u32_e32 v47, vcc_lo, v45, v41, vcc_lo
	flat_load_b32 v46, v[46:47]
	s_waitcnt vmcnt(0) lgkmcnt(0)
	v_mul_f32_e32 v46, s15, v46
	s_branch .LBB37_131
.LBB37_130:
	v_mov_b32_e32 v46, 0
.LBB37_131:
	v_dual_max_f32 v47, v37, v37 :: v_dual_max_f32 v98, v32, v32
	v_dual_max_f32 v64, v33, v33 :: v_dual_max_f32 v65, v36, v36
	;; [unrolled: 1-line block ×3, first 2 shown]
	v_add_co_u32 v40, vcc_lo, v42, v40
	s_delay_alu instid0(VALU_DEP_3) | instskip(NEXT) | instid1(VALU_DEP_4)
	v_dual_min_f32 v47, v64, v47 :: v_dual_max_f32 v64, v34, v34
	v_min_f32_e32 v65, v98, v65
	v_add_co_ci_u32_e32 v41, vcc_lo, v43, v41, vcc_lo
	s_delay_alu instid0(VALU_DEP_3) | instskip(NEXT) | instid1(VALU_DEP_4)
	v_add_f32_e32 v47, v97, v47
	v_min_f32_e32 v64, v64, v99
	s_delay_alu instid0(VALU_DEP_4) | instskip(NEXT) | instid1(VALU_DEP_1)
	v_add_f32_e32 v65, v96, v65
	v_dual_max_f32 v101, v39, v39 :: v_dual_add_f32 v64, v65, v64
	s_delay_alu instid0(VALU_DEP_1) | instskip(NEXT) | instid1(VALU_DEP_1)
	v_min_f32_e32 v97, v102, v101
	v_add_f32_e32 v47, v47, v97
	s_delay_alu instid0(VALU_DEP_1) | instskip(NEXT) | instid1(VALU_DEP_1)
	v_add_f32_e32 v47, v64, v47
	v_add_f32_e32 v46, v47, v46
	global_store_b32 v[40:41], v46, off
	s_or_b32 exec_lo, exec_lo, s16
	s_and_b32 s18, s1, s8
	s_delay_alu instid0(SALU_CYCLE_1)
	s_and_saveexec_b32 s16, s18
	s_cbranch_execz .LBB37_122
.LBB37_132:
	v_cmp_ne_u32_e32 vcc_lo, 1, v100
	v_lshlrev_b64 v[40:41], 2, v[50:51]
	s_cbranch_vccnz .LBB37_134
; %bb.133:
	s_delay_alu instid0(VALU_DEP_1) | instskip(NEXT) | instid1(VALU_DEP_2)
	v_add_co_u32 v46, vcc_lo, v44, v40
	v_add_co_ci_u32_e32 v47, vcc_lo, v45, v41, vcc_lo
	flat_load_b32 v46, v[46:47]
	s_waitcnt vmcnt(0) lgkmcnt(0)
	v_mul_f32_e32 v46, s15, v46
	s_branch .LBB37_135
.LBB37_134:
	v_mov_b32_e32 v46, 0
.LBB37_135:
	v_dual_max_f32 v47, v37, v37 :: v_dual_max_f32 v96, v28, v28
	v_dual_max_f32 v64, v29, v29 :: v_dual_max_f32 v65, v36, v36
	;; [unrolled: 1-line block ×3, first 2 shown]
	v_add_co_u32 v40, vcc_lo, v42, v40
	s_delay_alu instid0(VALU_DEP_3) | instskip(SKIP_2) | instid1(VALU_DEP_3)
	v_dual_min_f32 v47, v64, v47 :: v_dual_max_f32 v64, v30, v30
	v_max_f32_e32 v99, v31, v31
	v_add_co_ci_u32_e32 v41, vcc_lo, v43, v41, vcc_lo
	v_min_f32_e32 v64, v64, v97
	v_min_f32_e32 v65, v96, v65
	s_delay_alu instid0(VALU_DEP_4) | instskip(NEXT) | instid1(VALU_DEP_2)
	v_dual_add_f32 v47, v94, v47 :: v_dual_min_f32 v94, v99, v98
	v_add_f32_e32 v65, v95, v65
	s_delay_alu instid0(VALU_DEP_1) | instskip(NEXT) | instid1(VALU_DEP_1)
	v_dual_add_f32 v64, v65, v64 :: v_dual_add_f32 v47, v47, v94
	v_add_f32_e32 v47, v64, v47
	s_delay_alu instid0(VALU_DEP_1) | instskip(SKIP_3) | instid1(SALU_CYCLE_1)
	v_add_f32_e32 v46, v47, v46
	global_store_b32 v[40:41], v46, off
	s_or_b32 exec_lo, exec_lo, s16
	s_and_b32 s18, s2, s8
	s_and_saveexec_b32 s16, s18
	s_cbranch_execz .LBB37_123
.LBB37_136:
	v_cmp_ne_u32_e32 vcc_lo, 1, v100
	v_lshlrev_b64 v[40:41], 2, v[52:53]
	s_cbranch_vccnz .LBB37_138
; %bb.137:
	s_delay_alu instid0(VALU_DEP_1) | instskip(NEXT) | instid1(VALU_DEP_2)
	v_add_co_u32 v46, vcc_lo, v44, v40
	v_add_co_ci_u32_e32 v47, vcc_lo, v45, v41, vcc_lo
	flat_load_b32 v46, v[46:47]
	s_waitcnt vmcnt(0) lgkmcnt(0)
	v_mul_f32_e32 v46, s15, v46
	s_branch .LBB37_139
.LBB37_138:
	v_mov_b32_e32 v46, 0
.LBB37_139:
	v_dual_max_f32 v47, v37, v37 :: v_dual_max_f32 v94, v24, v24
	v_dual_max_f32 v64, v25, v25 :: v_dual_max_f32 v65, v36, v36
	v_dual_max_f32 v95, v38, v38 :: v_dual_max_f32 v96, v39, v39
	v_add_co_u32 v40, vcc_lo, v42, v40
	s_delay_alu instid0(VALU_DEP_3) | instskip(NEXT) | instid1(VALU_DEP_4)
	v_dual_min_f32 v47, v64, v47 :: v_dual_max_f32 v64, v26, v26
	v_min_f32_e32 v65, v94, v65
	v_add_co_ci_u32_e32 v41, vcc_lo, v43, v41, vcc_lo
	s_delay_alu instid0(VALU_DEP_2) | instskip(NEXT) | instid1(VALU_DEP_1)
	v_dual_min_f32 v64, v64, v95 :: v_dual_add_f32 v65, v93, v65
	v_dual_max_f32 v97, v27, v27 :: v_dual_add_f32 v64, v65, v64
	s_delay_alu instid0(VALU_DEP_1) | instskip(NEXT) | instid1(VALU_DEP_1)
	v_dual_add_f32 v47, v92, v47 :: v_dual_min_f32 v92, v97, v96
	v_add_f32_e32 v47, v47, v92
	s_delay_alu instid0(VALU_DEP_1) | instskip(NEXT) | instid1(VALU_DEP_1)
	v_add_f32_e32 v47, v64, v47
	v_add_f32_e32 v46, v47, v46
	global_store_b32 v[40:41], v46, off
	s_or_b32 exec_lo, exec_lo, s16
	s_and_b32 s18, s3, s8
	s_delay_alu instid0(SALU_CYCLE_1)
	s_and_saveexec_b32 s16, s18
	s_cbranch_execz .LBB37_124
.LBB37_140:
	v_cmp_ne_u32_e32 vcc_lo, 1, v100
	v_lshlrev_b64 v[40:41], 2, v[54:55]
	s_cbranch_vccnz .LBB37_142
; %bb.141:
	s_delay_alu instid0(VALU_DEP_1) | instskip(NEXT) | instid1(VALU_DEP_2)
	v_add_co_u32 v46, vcc_lo, v44, v40
	v_add_co_ci_u32_e32 v47, vcc_lo, v45, v41, vcc_lo
	flat_load_b32 v46, v[46:47]
	s_waitcnt vmcnt(0) lgkmcnt(0)
	v_mul_f32_e32 v46, s15, v46
	s_branch .LBB37_143
.LBB37_142:
	v_mov_b32_e32 v46, 0
.LBB37_143:
	v_dual_max_f32 v47, v37, v37 :: v_dual_max_f32 v92, v20, v20
	v_dual_max_f32 v64, v21, v21 :: v_dual_max_f32 v65, v36, v36
	;; [unrolled: 1-line block ×3, first 2 shown]
	v_add_co_u32 v40, vcc_lo, v42, v40
	s_delay_alu instid0(VALU_DEP_3) | instskip(SKIP_2) | instid1(VALU_DEP_3)
	v_dual_min_f32 v47, v64, v47 :: v_dual_max_f32 v64, v22, v22
	v_max_f32_e32 v95, v23, v23
	v_add_co_ci_u32_e32 v41, vcc_lo, v43, v41, vcc_lo
	v_min_f32_e32 v64, v64, v93
	v_min_f32_e32 v65, v92, v65
	s_delay_alu instid0(VALU_DEP_4) | instskip(NEXT) | instid1(VALU_DEP_2)
	v_dual_add_f32 v47, v90, v47 :: v_dual_min_f32 v90, v95, v94
	v_add_f32_e32 v65, v91, v65
	s_delay_alu instid0(VALU_DEP_1) | instskip(NEXT) | instid1(VALU_DEP_1)
	v_dual_add_f32 v64, v65, v64 :: v_dual_add_f32 v47, v47, v90
	v_add_f32_e32 v47, v64, v47
	s_delay_alu instid0(VALU_DEP_1) | instskip(SKIP_3) | instid1(SALU_CYCLE_1)
	v_add_f32_e32 v46, v47, v46
	global_store_b32 v[40:41], v46, off
	s_or_b32 exec_lo, exec_lo, s16
	s_and_b32 s18, s4, s8
	s_and_saveexec_b32 s16, s18
	s_cbranch_execz .LBB37_125
.LBB37_144:
	v_cmp_ne_u32_e32 vcc_lo, 1, v100
	v_lshlrev_b64 v[40:41], 2, v[56:57]
	s_cbranch_vccnz .LBB37_146
; %bb.145:
	s_delay_alu instid0(VALU_DEP_1) | instskip(NEXT) | instid1(VALU_DEP_2)
	v_add_co_u32 v46, vcc_lo, v44, v40
	v_add_co_ci_u32_e32 v47, vcc_lo, v45, v41, vcc_lo
	flat_load_b32 v46, v[46:47]
	s_waitcnt vmcnt(0) lgkmcnt(0)
	v_mul_f32_e32 v46, s15, v46
	s_branch .LBB37_147
.LBB37_146:
	v_mov_b32_e32 v46, 0
.LBB37_147:
	v_dual_max_f32 v47, v37, v37 :: v_dual_max_f32 v90, v16, v16
	v_dual_max_f32 v64, v17, v17 :: v_dual_max_f32 v65, v36, v36
	;; [unrolled: 1-line block ×3, first 2 shown]
	v_add_co_u32 v40, vcc_lo, v42, v40
	s_delay_alu instid0(VALU_DEP_3) | instskip(NEXT) | instid1(VALU_DEP_4)
	v_dual_min_f32 v47, v64, v47 :: v_dual_max_f32 v64, v18, v18
	v_min_f32_e32 v65, v90, v65
	v_add_co_ci_u32_e32 v41, vcc_lo, v43, v41, vcc_lo
	s_delay_alu instid0(VALU_DEP_3) | instskip(NEXT) | instid1(VALU_DEP_4)
	v_add_f32_e32 v47, v89, v47
	v_min_f32_e32 v64, v64, v91
	s_delay_alu instid0(VALU_DEP_4) | instskip(NEXT) | instid1(VALU_DEP_1)
	v_add_f32_e32 v65, v88, v65
	v_dual_max_f32 v93, v19, v19 :: v_dual_add_f32 v64, v65, v64
	s_delay_alu instid0(VALU_DEP_1) | instskip(NEXT) | instid1(VALU_DEP_1)
	v_min_f32_e32 v89, v93, v92
	v_add_f32_e32 v47, v47, v89
	s_delay_alu instid0(VALU_DEP_1) | instskip(NEXT) | instid1(VALU_DEP_1)
	v_add_f32_e32 v47, v64, v47
	v_add_f32_e32 v46, v47, v46
	global_store_b32 v[40:41], v46, off
	s_or_b32 exec_lo, exec_lo, s16
	s_and_b32 s18, s5, s8
	s_delay_alu instid0(SALU_CYCLE_1)
	s_and_saveexec_b32 s16, s18
	s_cbranch_execz .LBB37_126
.LBB37_148:
	v_cmp_ne_u32_e32 vcc_lo, 1, v100
	v_lshlrev_b64 v[40:41], 2, v[58:59]
	s_cbranch_vccnz .LBB37_150
; %bb.149:
	s_delay_alu instid0(VALU_DEP_1) | instskip(NEXT) | instid1(VALU_DEP_2)
	v_add_co_u32 v46, vcc_lo, v44, v40
	v_add_co_ci_u32_e32 v47, vcc_lo, v45, v41, vcc_lo
	flat_load_b32 v46, v[46:47]
	s_waitcnt vmcnt(0) lgkmcnt(0)
	v_mul_f32_e32 v46, s15, v46
	s_branch .LBB37_151
.LBB37_150:
	v_mov_b32_e32 v46, 0
.LBB37_151:
	v_dual_max_f32 v47, v37, v37 :: v_dual_max_f32 v88, v12, v12
	v_dual_max_f32 v64, v13, v13 :: v_dual_max_f32 v65, v36, v36
	;; [unrolled: 1-line block ×3, first 2 shown]
	v_add_co_u32 v40, vcc_lo, v42, v40
	s_delay_alu instid0(VALU_DEP_3) | instskip(SKIP_3) | instid1(VALU_DEP_4)
	v_dual_min_f32 v47, v64, v47 :: v_dual_max_f32 v64, v14, v14
	v_max_f32_e32 v91, v15, v15
	v_min_f32_e32 v65, v88, v65
	v_add_co_ci_u32_e32 v41, vcc_lo, v43, v41, vcc_lo
	v_min_f32_e32 v64, v64, v89
	s_delay_alu instid0(VALU_DEP_3) | instskip(SKIP_1) | instid1(VALU_DEP_2)
	v_add_f32_e32 v65, v86, v65
	v_add_f32_e32 v47, v87, v47
	v_dual_min_f32 v87, v91, v90 :: v_dual_add_f32 v64, v65, v64
	s_delay_alu instid0(VALU_DEP_1) | instskip(NEXT) | instid1(VALU_DEP_1)
	v_add_f32_e32 v47, v47, v87
	v_add_f32_e32 v47, v64, v47
	s_delay_alu instid0(VALU_DEP_1) | instskip(SKIP_3) | instid1(SALU_CYCLE_1)
	v_add_f32_e32 v46, v47, v46
	global_store_b32 v[40:41], v46, off
	s_or_b32 exec_lo, exec_lo, s16
	s_and_b32 s18, s6, s8
	s_and_saveexec_b32 s16, s18
	s_cbranch_execz .LBB37_127
.LBB37_152:
	v_cmp_ne_u32_e32 vcc_lo, 1, v100
	v_lshlrev_b64 v[40:41], 2, v[60:61]
	s_cbranch_vccnz .LBB37_154
; %bb.153:
	s_delay_alu instid0(VALU_DEP_1) | instskip(NEXT) | instid1(VALU_DEP_2)
	v_add_co_u32 v46, vcc_lo, v44, v40
	v_add_co_ci_u32_e32 v47, vcc_lo, v45, v41, vcc_lo
	flat_load_b32 v46, v[46:47]
	s_waitcnt vmcnt(0) lgkmcnt(0)
	v_mul_f32_e32 v46, s15, v46
	s_branch .LBB37_155
.LBB37_154:
	v_mov_b32_e32 v46, 0
.LBB37_155:
	v_dual_max_f32 v47, v37, v37 :: v_dual_max_f32 v86, v8, v8
	v_dual_max_f32 v64, v9, v9 :: v_dual_max_f32 v65, v36, v36
	;; [unrolled: 1-line block ×3, first 2 shown]
	v_add_co_u32 v40, vcc_lo, v42, v40
	s_delay_alu instid0(VALU_DEP_3) | instskip(NEXT) | instid1(VALU_DEP_4)
	v_dual_min_f32 v47, v64, v47 :: v_dual_max_f32 v64, v10, v10
	v_min_f32_e32 v65, v86, v65
	v_add_co_ci_u32_e32 v41, vcc_lo, v43, v41, vcc_lo
	s_delay_alu instid0(VALU_DEP_2) | instskip(NEXT) | instid1(VALU_DEP_1)
	v_dual_min_f32 v64, v64, v87 :: v_dual_add_f32 v65, v85, v65
	v_dual_max_f32 v89, v11, v11 :: v_dual_add_f32 v64, v65, v64
	s_delay_alu instid0(VALU_DEP_1) | instskip(NEXT) | instid1(VALU_DEP_1)
	v_dual_add_f32 v47, v84, v47 :: v_dual_min_f32 v84, v89, v88
	v_add_f32_e32 v47, v47, v84
	s_delay_alu instid0(VALU_DEP_1) | instskip(NEXT) | instid1(VALU_DEP_1)
	v_add_f32_e32 v47, v64, v47
	v_add_f32_e32 v46, v47, v46
	global_store_b32 v[40:41], v46, off
	s_or_b32 exec_lo, exec_lo, s16
	s_and_b32 s16, s7, s8
	s_delay_alu instid0(SALU_CYCLE_1)
	s_and_saveexec_b32 s8, s16
	s_cbranch_execz .LBB37_160
.LBB37_156:
	v_cmp_ne_u32_e32 vcc_lo, 1, v100
	v_lshlrev_b64 v[40:41], 2, v[62:63]
	s_cbranch_vccnz .LBB37_158
; %bb.157:
	s_delay_alu instid0(VALU_DEP_1) | instskip(NEXT) | instid1(VALU_DEP_2)
	v_add_co_u32 v44, vcc_lo, v44, v40
	v_add_co_ci_u32_e32 v45, vcc_lo, v45, v41, vcc_lo
	flat_load_b32 v44, v[44:45]
	s_waitcnt vmcnt(0) lgkmcnt(0)
	v_mul_f32_e32 v44, s15, v44
	s_branch .LBB37_159
.LBB37_158:
	v_mov_b32_e32 v44, 0
.LBB37_159:
	v_dual_max_f32 v37, v37, v37 :: v_dual_max_f32 v36, v36, v36
	v_dual_max_f32 v45, v1, v1 :: v_dual_max_f32 v46, v0, v0
	;; [unrolled: 1-line block ×3, first 2 shown]
	s_delay_alu instid0(VALU_DEP_2) | instskip(SKIP_1) | instid1(VALU_DEP_2)
	v_dual_min_f32 v37, v45, v37 :: v_dual_min_f32 v36, v46, v36
	v_max_f32_e32 v47, v3, v3
	v_dual_add_f32 v37, v83, v37 :: v_dual_add_f32 v36, v82, v36
	s_delay_alu instid0(VALU_DEP_2) | instskip(NEXT) | instid1(VALU_DEP_1)
	v_min_f32_e32 v39, v47, v39
	v_add_f32_e32 v37, v37, v39
	v_max_f32_e32 v45, v2, v2
	s_delay_alu instid0(VALU_DEP_1) | instskip(NEXT) | instid1(VALU_DEP_1)
	v_min_f32_e32 v38, v45, v38
	v_add_f32_e32 v36, v36, v38
	s_delay_alu instid0(VALU_DEP_1) | instskip(NEXT) | instid1(VALU_DEP_1)
	v_add_f32_e32 v36, v36, v37
	v_add_f32_e32 v38, v36, v44
	v_add_co_u32 v36, vcc_lo, v42, v40
	v_add_co_ci_u32_e32 v37, vcc_lo, v43, v41, vcc_lo
	global_store_b32 v[36:37], v38, off
.LBB37_160:
	s_or_b32 exec_lo, exec_lo, s8
	v_add_nc_u32_e32 v40, 0x60, v117
	s_delay_alu instid0(VALU_DEP_1) | instskip(SKIP_2) | instid1(VALU_DEP_3)
	v_mad_i64_i32 v[36:37], null, v40, s12, 0
	v_mad_i64_i32 v[38:39], null, v40, s9, 0
	v_cmp_gt_i32_e64 s8, s17, v40
	v_lshlrev_b64 v[36:37], 2, v[36:37]
	s_delay_alu instid0(VALU_DEP_2) | instskip(NEXT) | instid1(VALU_DEP_3)
	s_and_b32 s9, s0, s8
	v_lshlrev_b64 v[38:39], 2, v[38:39]
	s_delay_alu instid0(VALU_DEP_2) | instskip(NEXT) | instid1(VALU_DEP_3)
	v_add_co_u32 v40, vcc_lo, s10, v36
	v_add_co_ci_u32_e32 v41, vcc_lo, s11, v37, vcc_lo
	s_delay_alu instid0(VALU_DEP_3) | instskip(NEXT) | instid1(VALU_DEP_4)
	v_add_co_u32 v38, vcc_lo, s13, v38
	v_add_co_ci_u32_e32 v39, vcc_lo, s14, v39, vcc_lo
	s_and_saveexec_b32 s0, s9
	s_cbranch_execnz .LBB37_169
; %bb.161:
	s_or_b32 exec_lo, exec_lo, s0
	s_and_b32 s1, s1, s8
	s_delay_alu instid0(SALU_CYCLE_1)
	s_and_saveexec_b32 s0, s1
	s_cbranch_execnz .LBB37_173
.LBB37_162:
	s_or_b32 exec_lo, exec_lo, s0
	s_and_b32 s1, s2, s8
	s_delay_alu instid0(SALU_CYCLE_1)
	s_and_saveexec_b32 s0, s1
	s_cbranch_execnz .LBB37_177
.LBB37_163:
	s_or_b32 exec_lo, exec_lo, s0
	s_and_b32 s1, s3, s8
	s_delay_alu instid0(SALU_CYCLE_1)
	s_and_saveexec_b32 s0, s1
	s_cbranch_execnz .LBB37_181
.LBB37_164:
	s_or_b32 exec_lo, exec_lo, s0
	s_and_b32 s1, s4, s8
	s_delay_alu instid0(SALU_CYCLE_1)
	s_and_saveexec_b32 s0, s1
	s_cbranch_execnz .LBB37_185
.LBB37_165:
	s_or_b32 exec_lo, exec_lo, s0
	s_and_b32 s1, s5, s8
	s_delay_alu instid0(SALU_CYCLE_1)
	s_and_saveexec_b32 s0, s1
	s_cbranch_execnz .LBB37_189
.LBB37_166:
	s_or_b32 exec_lo, exec_lo, s0
	s_and_b32 s1, s6, s8
	s_delay_alu instid0(SALU_CYCLE_1)
	s_and_saveexec_b32 s0, s1
	s_cbranch_execnz .LBB37_193
.LBB37_167:
	s_or_b32 exec_lo, exec_lo, s0
	s_and_b32 s0, s7, s8
	s_delay_alu instid0(SALU_CYCLE_1)
	s_and_saveexec_b32 s1, s0
	s_cbranch_execnz .LBB37_197
.LBB37_168:
	s_nop 0
	s_sendmsg sendmsg(MSG_DEALLOC_VGPRS)
	s_endpgm
.LBB37_169:
	v_cmp_ne_u32_e32 vcc_lo, 1, v100
	v_lshlrev_b64 v[36:37], 2, v[48:49]
	s_cbranch_vccnz .LBB37_171
; %bb.170:
	s_delay_alu instid0(VALU_DEP_1) | instskip(NEXT) | instid1(VALU_DEP_2)
	v_add_co_u32 v42, vcc_lo, v40, v36
	v_add_co_ci_u32_e32 v43, vcc_lo, v41, v37, vcc_lo
	flat_load_b32 v42, v[42:43]
	s_waitcnt vmcnt(0) lgkmcnt(0)
	v_mul_f32_e32 v42, s15, v42
	s_branch .LBB37_172
.LBB37_171:
	v_mov_b32_e32 v42, 0
.LBB37_172:
	v_dual_max_f32 v43, v5, v5 :: v_dual_max_f32 v44, v4, v4
	v_dual_max_f32 v33, v33, v33 :: v_dual_max_f32 v32, v32, v32
	v_max_f32_e32 v45, v6, v6
	s_delay_alu instid0(VALU_DEP_2) | instskip(NEXT) | instid1(VALU_DEP_3)
	v_dual_max_f32 v34, v34, v34 :: v_dual_min_f32 v33, v33, v43
	v_dual_min_f32 v32, v32, v44 :: v_dual_max_f32 v43, v7, v7
	s_delay_alu instid0(VALU_DEP_2) | instskip(NEXT) | instid1(VALU_DEP_2)
	v_dual_min_f32 v34, v34, v45 :: v_dual_max_f32 v35, v35, v35
	v_dual_add_f32 v33, v80, v33 :: v_dual_add_f32 v32, v81, v32
	s_delay_alu instid0(VALU_DEP_1) | instskip(NEXT) | instid1(VALU_DEP_1)
	v_dual_min_f32 v35, v35, v43 :: v_dual_add_f32 v32, v32, v34
	v_add_f32_e32 v33, v33, v35
	s_delay_alu instid0(VALU_DEP_1) | instskip(NEXT) | instid1(VALU_DEP_1)
	v_add_f32_e32 v32, v32, v33
	v_add_f32_e32 v34, v32, v42
	v_add_co_u32 v32, vcc_lo, v38, v36
	v_add_co_ci_u32_e32 v33, vcc_lo, v39, v37, vcc_lo
	global_store_b32 v[32:33], v34, off
	s_or_b32 exec_lo, exec_lo, s0
	s_and_b32 s1, s1, s8
	s_delay_alu instid0(SALU_CYCLE_1)
	s_and_saveexec_b32 s0, s1
	s_cbranch_execz .LBB37_162
.LBB37_173:
	v_cmp_ne_u32_e32 vcc_lo, 1, v100
	v_lshlrev_b64 v[32:33], 2, v[50:51]
	s_cbranch_vccnz .LBB37_175
; %bb.174:
	s_delay_alu instid0(VALU_DEP_1) | instskip(NEXT) | instid1(VALU_DEP_2)
	v_add_co_u32 v34, vcc_lo, v40, v32
	v_add_co_ci_u32_e32 v35, vcc_lo, v41, v33, vcc_lo
	flat_load_b32 v34, v[34:35]
	s_waitcnt vmcnt(0) lgkmcnt(0)
	v_mul_f32_e32 v34, s15, v34
	s_branch .LBB37_176
.LBB37_175:
	v_mov_b32_e32 v34, 0
.LBB37_176:
	v_dual_max_f32 v35, v5, v5 :: v_dual_max_f32 v36, v4, v4
	v_dual_max_f32 v29, v29, v29 :: v_dual_max_f32 v28, v28, v28
	v_max_f32_e32 v37, v6, v6
	s_delay_alu instid0(VALU_DEP_2) | instskip(NEXT) | instid1(VALU_DEP_3)
	v_dual_max_f32 v30, v30, v30 :: v_dual_min_f32 v29, v29, v35
	v_dual_min_f32 v28, v28, v36 :: v_dual_max_f32 v35, v7, v7
	s_delay_alu instid0(VALU_DEP_2) | instskip(NEXT) | instid1(VALU_DEP_2)
	v_dual_min_f32 v30, v30, v37 :: v_dual_max_f32 v31, v31, v31
	v_dual_add_f32 v28, v78, v28 :: v_dual_add_f32 v29, v79, v29
	s_delay_alu instid0(VALU_DEP_1) | instskip(NEXT) | instid1(VALU_DEP_1)
	v_dual_add_f32 v28, v28, v30 :: v_dual_min_f32 v31, v31, v35
	v_add_f32_e32 v29, v29, v31
	s_delay_alu instid0(VALU_DEP_1) | instskip(NEXT) | instid1(VALU_DEP_1)
	v_add_f32_e32 v28, v28, v29
	v_add_f32_e32 v30, v28, v34
	v_add_co_u32 v28, vcc_lo, v38, v32
	v_add_co_ci_u32_e32 v29, vcc_lo, v39, v33, vcc_lo
	global_store_b32 v[28:29], v30, off
	s_or_b32 exec_lo, exec_lo, s0
	s_and_b32 s1, s2, s8
	s_delay_alu instid0(SALU_CYCLE_1)
	s_and_saveexec_b32 s0, s1
	s_cbranch_execz .LBB37_163
.LBB37_177:
	v_cmp_ne_u32_e32 vcc_lo, 1, v100
	v_lshlrev_b64 v[28:29], 2, v[52:53]
	s_cbranch_vccnz .LBB37_179
; %bb.178:
	s_delay_alu instid0(VALU_DEP_1) | instskip(NEXT) | instid1(VALU_DEP_2)
	v_add_co_u32 v30, vcc_lo, v40, v28
	v_add_co_ci_u32_e32 v31, vcc_lo, v41, v29, vcc_lo
	flat_load_b32 v30, v[30:31]
	s_waitcnt vmcnt(0) lgkmcnt(0)
	v_mul_f32_e32 v30, s15, v30
	s_branch .LBB37_180
.LBB37_179:
	v_mov_b32_e32 v30, 0
.LBB37_180:
	v_dual_max_f32 v31, v5, v5 :: v_dual_max_f32 v32, v4, v4
	v_dual_max_f32 v25, v25, v25 :: v_dual_max_f32 v24, v24, v24
	v_max_f32_e32 v33, v6, v6
	s_delay_alu instid0(VALU_DEP_2) | instskip(NEXT) | instid1(VALU_DEP_3)
	v_dual_max_f32 v26, v26, v26 :: v_dual_min_f32 v25, v25, v31
	v_dual_min_f32 v24, v24, v32 :: v_dual_max_f32 v31, v7, v7
	s_delay_alu instid0(VALU_DEP_2) | instskip(NEXT) | instid1(VALU_DEP_2)
	v_dual_min_f32 v26, v26, v33 :: v_dual_max_f32 v27, v27, v27
	v_dual_add_f32 v25, v76, v25 :: v_dual_add_f32 v24, v77, v24
	s_delay_alu instid0(VALU_DEP_1) | instskip(NEXT) | instid1(VALU_DEP_1)
	v_dual_min_f32 v27, v27, v31 :: v_dual_add_f32 v24, v24, v26
	v_add_f32_e32 v25, v25, v27
	s_delay_alu instid0(VALU_DEP_1) | instskip(NEXT) | instid1(VALU_DEP_1)
	v_add_f32_e32 v24, v24, v25
	v_add_f32_e32 v26, v24, v30
	v_add_co_u32 v24, vcc_lo, v38, v28
	v_add_co_ci_u32_e32 v25, vcc_lo, v39, v29, vcc_lo
	global_store_b32 v[24:25], v26, off
	s_or_b32 exec_lo, exec_lo, s0
	s_and_b32 s1, s3, s8
	s_delay_alu instid0(SALU_CYCLE_1)
	s_and_saveexec_b32 s0, s1
	s_cbranch_execz .LBB37_164
.LBB37_181:
	v_cmp_ne_u32_e32 vcc_lo, 1, v100
	v_lshlrev_b64 v[24:25], 2, v[54:55]
	s_cbranch_vccnz .LBB37_183
; %bb.182:
	s_delay_alu instid0(VALU_DEP_1) | instskip(NEXT) | instid1(VALU_DEP_2)
	v_add_co_u32 v26, vcc_lo, v40, v24
	v_add_co_ci_u32_e32 v27, vcc_lo, v41, v25, vcc_lo
	flat_load_b32 v26, v[26:27]
	s_waitcnt vmcnt(0) lgkmcnt(0)
	v_mul_f32_e32 v26, s15, v26
	s_branch .LBB37_184
.LBB37_183:
	v_mov_b32_e32 v26, 0
.LBB37_184:
	v_dual_max_f32 v27, v5, v5 :: v_dual_max_f32 v28, v4, v4
	v_dual_max_f32 v21, v21, v21 :: v_dual_max_f32 v20, v20, v20
	v_max_f32_e32 v29, v6, v6
	s_delay_alu instid0(VALU_DEP_2) | instskip(NEXT) | instid1(VALU_DEP_3)
	v_dual_max_f32 v22, v22, v22 :: v_dual_min_f32 v21, v21, v27
	v_dual_min_f32 v20, v20, v28 :: v_dual_max_f32 v27, v7, v7
	s_delay_alu instid0(VALU_DEP_2) | instskip(NEXT) | instid1(VALU_DEP_2)
	v_min_f32_e32 v22, v22, v29
	v_dual_add_f32 v21, v74, v21 :: v_dual_add_f32 v20, v75, v20
	s_delay_alu instid0(VALU_DEP_1) | instskip(NEXT) | instid1(VALU_DEP_1)
	v_dual_max_f32 v23, v23, v23 :: v_dual_add_f32 v20, v20, v22
	v_min_f32_e32 v23, v23, v27
	s_delay_alu instid0(VALU_DEP_1) | instskip(NEXT) | instid1(VALU_DEP_1)
	v_add_f32_e32 v21, v21, v23
	v_add_f32_e32 v20, v20, v21
	s_delay_alu instid0(VALU_DEP_1)
	v_add_f32_e32 v22, v20, v26
	v_add_co_u32 v20, vcc_lo, v38, v24
	v_add_co_ci_u32_e32 v21, vcc_lo, v39, v25, vcc_lo
	global_store_b32 v[20:21], v22, off
	s_or_b32 exec_lo, exec_lo, s0
	s_and_b32 s1, s4, s8
	s_delay_alu instid0(SALU_CYCLE_1)
	s_and_saveexec_b32 s0, s1
	s_cbranch_execz .LBB37_165
.LBB37_185:
	v_cmp_ne_u32_e32 vcc_lo, 1, v100
	v_lshlrev_b64 v[20:21], 2, v[56:57]
	s_cbranch_vccnz .LBB37_187
; %bb.186:
	s_delay_alu instid0(VALU_DEP_1) | instskip(NEXT) | instid1(VALU_DEP_2)
	v_add_co_u32 v22, vcc_lo, v40, v20
	v_add_co_ci_u32_e32 v23, vcc_lo, v41, v21, vcc_lo
	flat_load_b32 v22, v[22:23]
	s_waitcnt vmcnt(0) lgkmcnt(0)
	v_mul_f32_e32 v22, s15, v22
	s_branch .LBB37_188
.LBB37_187:
	v_mov_b32_e32 v22, 0
.LBB37_188:
	v_dual_max_f32 v23, v5, v5 :: v_dual_max_f32 v24, v4, v4
	v_dual_max_f32 v17, v17, v17 :: v_dual_max_f32 v16, v16, v16
	v_max_f32_e32 v25, v6, v6
	s_delay_alu instid0(VALU_DEP_2) | instskip(NEXT) | instid1(VALU_DEP_3)
	v_dual_max_f32 v18, v18, v18 :: v_dual_min_f32 v17, v17, v23
	v_dual_min_f32 v16, v16, v24 :: v_dual_max_f32 v23, v7, v7
	s_delay_alu instid0(VALU_DEP_2) | instskip(NEXT) | instid1(VALU_DEP_2)
	v_dual_min_f32 v18, v18, v25 :: v_dual_max_f32 v19, v19, v19
	v_dual_add_f32 v16, v72, v16 :: v_dual_add_f32 v17, v73, v17
	s_delay_alu instid0(VALU_DEP_1) | instskip(NEXT) | instid1(VALU_DEP_1)
	v_dual_add_f32 v16, v16, v18 :: v_dual_min_f32 v19, v19, v23
	v_add_f32_e32 v17, v17, v19
	s_delay_alu instid0(VALU_DEP_1) | instskip(NEXT) | instid1(VALU_DEP_1)
	v_add_f32_e32 v16, v16, v17
	v_add_f32_e32 v18, v16, v22
	v_add_co_u32 v16, vcc_lo, v38, v20
	v_add_co_ci_u32_e32 v17, vcc_lo, v39, v21, vcc_lo
	global_store_b32 v[16:17], v18, off
	s_or_b32 exec_lo, exec_lo, s0
	s_and_b32 s1, s5, s8
	s_delay_alu instid0(SALU_CYCLE_1)
	s_and_saveexec_b32 s0, s1
	s_cbranch_execz .LBB37_166
.LBB37_189:
	v_cmp_ne_u32_e32 vcc_lo, 1, v100
	v_lshlrev_b64 v[16:17], 2, v[58:59]
	s_cbranch_vccnz .LBB37_191
; %bb.190:
	s_delay_alu instid0(VALU_DEP_1) | instskip(NEXT) | instid1(VALU_DEP_2)
	v_add_co_u32 v18, vcc_lo, v40, v16
	v_add_co_ci_u32_e32 v19, vcc_lo, v41, v17, vcc_lo
	flat_load_b32 v18, v[18:19]
	s_waitcnt vmcnt(0) lgkmcnt(0)
	v_mul_f32_e32 v18, s15, v18
	s_branch .LBB37_192
.LBB37_191:
	v_mov_b32_e32 v18, 0
.LBB37_192:
	v_dual_max_f32 v19, v5, v5 :: v_dual_max_f32 v20, v4, v4
	v_dual_max_f32 v13, v13, v13 :: v_dual_max_f32 v12, v12, v12
	v_max_f32_e32 v21, v6, v6
	s_delay_alu instid0(VALU_DEP_2) | instskip(NEXT) | instid1(VALU_DEP_3)
	v_dual_max_f32 v14, v14, v14 :: v_dual_min_f32 v13, v13, v19
	v_dual_min_f32 v12, v12, v20 :: v_dual_max_f32 v19, v7, v7
	s_delay_alu instid0(VALU_DEP_2) | instskip(NEXT) | instid1(VALU_DEP_2)
	v_min_f32_e32 v14, v14, v21
	v_dual_add_f32 v13, v70, v13 :: v_dual_add_f32 v12, v71, v12
	s_delay_alu instid0(VALU_DEP_1) | instskip(NEXT) | instid1(VALU_DEP_1)
	v_dual_max_f32 v15, v15, v15 :: v_dual_add_f32 v12, v12, v14
	v_min_f32_e32 v15, v15, v19
	s_delay_alu instid0(VALU_DEP_1) | instskip(NEXT) | instid1(VALU_DEP_1)
	v_add_f32_e32 v13, v13, v15
	v_add_f32_e32 v12, v12, v13
	s_delay_alu instid0(VALU_DEP_1)
	v_add_f32_e32 v14, v12, v18
	v_add_co_u32 v12, vcc_lo, v38, v16
	v_add_co_ci_u32_e32 v13, vcc_lo, v39, v17, vcc_lo
	global_store_b32 v[12:13], v14, off
	s_or_b32 exec_lo, exec_lo, s0
	s_and_b32 s1, s6, s8
	s_delay_alu instid0(SALU_CYCLE_1)
	s_and_saveexec_b32 s0, s1
	s_cbranch_execz .LBB37_167
.LBB37_193:
	v_cmp_ne_u32_e32 vcc_lo, 1, v100
	v_lshlrev_b64 v[12:13], 2, v[60:61]
	s_cbranch_vccnz .LBB37_195
; %bb.194:
	s_delay_alu instid0(VALU_DEP_1) | instskip(NEXT) | instid1(VALU_DEP_2)
	v_add_co_u32 v14, vcc_lo, v40, v12
	v_add_co_ci_u32_e32 v15, vcc_lo, v41, v13, vcc_lo
	flat_load_b32 v14, v[14:15]
	s_waitcnt vmcnt(0) lgkmcnt(0)
	v_mul_f32_e32 v14, s15, v14
	s_branch .LBB37_196
.LBB37_195:
	v_mov_b32_e32 v14, 0
.LBB37_196:
	v_dual_max_f32 v15, v5, v5 :: v_dual_max_f32 v16, v4, v4
	v_dual_max_f32 v9, v9, v9 :: v_dual_max_f32 v8, v8, v8
	v_max_f32_e32 v17, v6, v6
	s_delay_alu instid0(VALU_DEP_2) | instskip(NEXT) | instid1(VALU_DEP_3)
	v_dual_max_f32 v10, v10, v10 :: v_dual_min_f32 v9, v9, v15
	v_dual_min_f32 v8, v8, v16 :: v_dual_max_f32 v15, v7, v7
	s_delay_alu instid0(VALU_DEP_2) | instskip(NEXT) | instid1(VALU_DEP_2)
	v_dual_min_f32 v10, v10, v17 :: v_dual_max_f32 v11, v11, v11
	v_dual_add_f32 v8, v68, v8 :: v_dual_add_f32 v9, v69, v9
	s_delay_alu instid0(VALU_DEP_1) | instskip(NEXT) | instid1(VALU_DEP_1)
	v_dual_add_f32 v8, v8, v10 :: v_dual_min_f32 v11, v11, v15
	v_add_f32_e32 v9, v9, v11
	s_delay_alu instid0(VALU_DEP_1) | instskip(NEXT) | instid1(VALU_DEP_1)
	v_add_f32_e32 v8, v8, v9
	v_add_f32_e32 v10, v8, v14
	v_add_co_u32 v8, vcc_lo, v38, v12
	v_add_co_ci_u32_e32 v9, vcc_lo, v39, v13, vcc_lo
	global_store_b32 v[8:9], v10, off
	s_or_b32 exec_lo, exec_lo, s0
	s_and_b32 s0, s7, s8
	s_delay_alu instid0(SALU_CYCLE_1)
	s_and_saveexec_b32 s1, s0
	s_cbranch_execz .LBB37_168
.LBB37_197:
	v_cmp_ne_u32_e32 vcc_lo, 1, v100
	v_lshlrev_b64 v[8:9], 2, v[62:63]
	s_cbranch_vccnz .LBB37_199
; %bb.198:
	s_delay_alu instid0(VALU_DEP_1) | instskip(NEXT) | instid1(VALU_DEP_2)
	v_add_co_u32 v10, vcc_lo, v40, v8
	v_add_co_ci_u32_e32 v11, vcc_lo, v41, v9, vcc_lo
	flat_load_b32 v10, v[10:11]
	s_waitcnt vmcnt(0) lgkmcnt(0)
	v_mul_f32_e32 v10, s15, v10
	s_branch .LBB37_200
.LBB37_199:
	v_mov_b32_e32 v10, 0
.LBB37_200:
	v_dual_max_f32 v5, v5, v5 :: v_dual_max_f32 v4, v4, v4
	v_dual_max_f32 v1, v1, v1 :: v_dual_max_f32 v0, v0, v0
	v_max_f32_e32 v6, v6, v6
	v_dual_max_f32 v2, v2, v2 :: v_dual_max_f32 v3, v3, v3
	s_delay_alu instid0(VALU_DEP_3) | instskip(NEXT) | instid1(VALU_DEP_2)
	v_dual_min_f32 v1, v1, v5 :: v_dual_min_f32 v0, v0, v4
	v_dual_max_f32 v5, v7, v7 :: v_dual_min_f32 v2, v2, v6
	s_delay_alu instid0(VALU_DEP_2) | instskip(NEXT) | instid1(VALU_DEP_1)
	v_dual_add_f32 v1, v67, v1 :: v_dual_add_f32 v0, v66, v0
	v_dual_min_f32 v3, v3, v5 :: v_dual_add_f32 v0, v0, v2
	s_delay_alu instid0(VALU_DEP_1) | instskip(NEXT) | instid1(VALU_DEP_1)
	v_add_f32_e32 v1, v1, v3
	v_add_f32_e32 v0, v0, v1
	s_delay_alu instid0(VALU_DEP_1)
	v_add_f32_e32 v2, v0, v10
	v_add_co_u32 v0, vcc_lo, v38, v8
	v_add_co_ci_u32_e32 v1, vcc_lo, v39, v9, vcc_lo
	global_store_b32 v[0:1], v2, off
	s_nop 0
	s_sendmsg sendmsg(MSG_DEALLOC_VGPRS)
	s_endpgm
	.section	.rodata,"a",@progbits
	.p2align	6, 0x0
	.amdhsa_kernel _ZN12_GLOBAL__N_120geam_min_plus_kernelIf15HIP_vector_typeIfLj2EES2_Li8ELi32ELi64ELi128ELi4ELi4ELi64ELi4ELi64ELc84ELc78ELb1ELb1ELb0EfKPKfKPfEEviiiT16_PT17_ilSA_ilS8_SA_ilPT18_ili26rocblas_geam_ex_operation_
		.amdhsa_group_segment_fixed_size 6144
		.amdhsa_private_segment_fixed_size 0
		.amdhsa_kernarg_size 128
		.amdhsa_user_sgpr_count 14
		.amdhsa_user_sgpr_dispatch_ptr 0
		.amdhsa_user_sgpr_queue_ptr 0
		.amdhsa_user_sgpr_kernarg_segment_ptr 1
		.amdhsa_user_sgpr_dispatch_id 0
		.amdhsa_user_sgpr_private_segment_size 0
		.amdhsa_wavefront_size32 1
		.amdhsa_uses_dynamic_stack 0
		.amdhsa_enable_private_segment 0
		.amdhsa_system_sgpr_workgroup_id_x 1
		.amdhsa_system_sgpr_workgroup_id_y 0
		.amdhsa_system_sgpr_workgroup_id_z 1
		.amdhsa_system_sgpr_workgroup_info 0
		.amdhsa_system_vgpr_workitem_id 1
		.amdhsa_next_free_vgpr 226
		.amdhsa_next_free_sgpr 26
		.amdhsa_reserve_vcc 1
		.amdhsa_float_round_mode_32 0
		.amdhsa_float_round_mode_16_64 0
		.amdhsa_float_denorm_mode_32 3
		.amdhsa_float_denorm_mode_16_64 3
		.amdhsa_dx10_clamp 1
		.amdhsa_ieee_mode 1
		.amdhsa_fp16_overflow 0
		.amdhsa_workgroup_processor_mode 1
		.amdhsa_memory_ordered 1
		.amdhsa_forward_progress 0
		.amdhsa_shared_vgpr_count 0
		.amdhsa_exception_fp_ieee_invalid_op 0
		.amdhsa_exception_fp_denorm_src 0
		.amdhsa_exception_fp_ieee_div_zero 0
		.amdhsa_exception_fp_ieee_overflow 0
		.amdhsa_exception_fp_ieee_underflow 0
		.amdhsa_exception_fp_ieee_inexact 0
		.amdhsa_exception_int_div_zero 0
	.end_amdhsa_kernel
	.section	.text._ZN12_GLOBAL__N_120geam_min_plus_kernelIf15HIP_vector_typeIfLj2EES2_Li8ELi32ELi64ELi128ELi4ELi4ELi64ELi4ELi64ELc84ELc78ELb1ELb1ELb0EfKPKfKPfEEviiiT16_PT17_ilSA_ilS8_SA_ilPT18_ili26rocblas_geam_ex_operation_,"axG",@progbits,_ZN12_GLOBAL__N_120geam_min_plus_kernelIf15HIP_vector_typeIfLj2EES2_Li8ELi32ELi64ELi128ELi4ELi4ELi64ELi4ELi64ELc84ELc78ELb1ELb1ELb0EfKPKfKPfEEviiiT16_PT17_ilSA_ilS8_SA_ilPT18_ili26rocblas_geam_ex_operation_,comdat
.Lfunc_end37:
	.size	_ZN12_GLOBAL__N_120geam_min_plus_kernelIf15HIP_vector_typeIfLj2EES2_Li8ELi32ELi64ELi128ELi4ELi4ELi64ELi4ELi64ELc84ELc78ELb1ELb1ELb0EfKPKfKPfEEviiiT16_PT17_ilSA_ilS8_SA_ilPT18_ili26rocblas_geam_ex_operation_, .Lfunc_end37-_ZN12_GLOBAL__N_120geam_min_plus_kernelIf15HIP_vector_typeIfLj2EES2_Li8ELi32ELi64ELi128ELi4ELi4ELi64ELi4ELi64ELc84ELc78ELb1ELb1ELb0EfKPKfKPfEEviiiT16_PT17_ilSA_ilS8_SA_ilPT18_ili26rocblas_geam_ex_operation_
                                        ; -- End function
	.section	.AMDGPU.csdata,"",@progbits
; Kernel info:
; codeLenInByte = 13216
; NumSgprs: 28
; NumVgprs: 226
; ScratchSize: 0
; MemoryBound: 0
; FloatMode: 240
; IeeeMode: 1
; LDSByteSize: 6144 bytes/workgroup (compile time only)
; SGPRBlocks: 3
; VGPRBlocks: 28
; NumSGPRsForWavesPerEU: 28
; NumVGPRsForWavesPerEU: 226
; Occupancy: 6
; WaveLimiterHint : 1
; COMPUTE_PGM_RSRC2:SCRATCH_EN: 0
; COMPUTE_PGM_RSRC2:USER_SGPR: 14
; COMPUTE_PGM_RSRC2:TRAP_HANDLER: 0
; COMPUTE_PGM_RSRC2:TGID_X_EN: 1
; COMPUTE_PGM_RSRC2:TGID_Y_EN: 0
; COMPUTE_PGM_RSRC2:TGID_Z_EN: 1
; COMPUTE_PGM_RSRC2:TIDIG_COMP_CNT: 1
	.section	.text._ZN12_GLOBAL__N_120geam_min_plus_kernelIf15HIP_vector_typeIfLj2EES2_Li8ELi32ELi64ELi128ELi4ELi4ELi64ELi4ELi64ELc84ELc78ELb0ELb1ELb0EfKPKfKPfEEviiiT16_PT17_ilSA_ilS8_SA_ilPT18_ili26rocblas_geam_ex_operation_,"axG",@progbits,_ZN12_GLOBAL__N_120geam_min_plus_kernelIf15HIP_vector_typeIfLj2EES2_Li8ELi32ELi64ELi128ELi4ELi4ELi64ELi4ELi64ELc84ELc78ELb0ELb1ELb0EfKPKfKPfEEviiiT16_PT17_ilSA_ilS8_SA_ilPT18_ili26rocblas_geam_ex_operation_,comdat
	.globl	_ZN12_GLOBAL__N_120geam_min_plus_kernelIf15HIP_vector_typeIfLj2EES2_Li8ELi32ELi64ELi128ELi4ELi4ELi64ELi4ELi64ELc84ELc78ELb0ELb1ELb0EfKPKfKPfEEviiiT16_PT17_ilSA_ilS8_SA_ilPT18_ili26rocblas_geam_ex_operation_ ; -- Begin function _ZN12_GLOBAL__N_120geam_min_plus_kernelIf15HIP_vector_typeIfLj2EES2_Li8ELi32ELi64ELi128ELi4ELi4ELi64ELi4ELi64ELc84ELc78ELb0ELb1ELb0EfKPKfKPfEEviiiT16_PT17_ilSA_ilS8_SA_ilPT18_ili26rocblas_geam_ex_operation_
	.p2align	8
	.type	_ZN12_GLOBAL__N_120geam_min_plus_kernelIf15HIP_vector_typeIfLj2EES2_Li8ELi32ELi64ELi128ELi4ELi4ELi64ELi4ELi64ELc84ELc78ELb0ELb1ELb0EfKPKfKPfEEviiiT16_PT17_ilSA_ilS8_SA_ilPT18_ili26rocblas_geam_ex_operation_,@function
_ZN12_GLOBAL__N_120geam_min_plus_kernelIf15HIP_vector_typeIfLj2EES2_Li8ELi32ELi64ELi128ELi4ELi4ELi64ELi4ELi64ELc84ELc78ELb0ELb1ELb0EfKPKfKPfEEviiiT16_PT17_ilSA_ilS8_SA_ilPT18_ili26rocblas_geam_ex_operation_: ; @_ZN12_GLOBAL__N_120geam_min_plus_kernelIf15HIP_vector_typeIfLj2EES2_Li8ELi32ELi64ELi128ELi4ELi4ELi64ELi4ELi64ELc84ELc78ELb0ELb1ELb0EfKPKfKPfEEviiiT16_PT17_ilSA_ilS8_SA_ilPT18_ili26rocblas_geam_ex_operation_
; %bb.0:
	s_clause 0x1
	s_load_b128 s[16:19], s[0:1], 0x0
	s_load_b128 s[4:7], s[0:1], 0x20
	s_mov_b32 s2, s15
	s_mov_b32 s3, 0
	s_waitcnt lgkmcnt(0)
	v_cmp_eq_f32_e64 s8, s19, 0
	v_cmp_neq_f32_e64 s21, s19, 0
	s_delay_alu instid0(VALU_DEP_2)
	s_and_b32 vcc_lo, exec_lo, s8
	s_cbranch_vccnz .LBB38_3
; %bb.1:
	s_load_b64 s[10:11], s[0:1], 0x10
	s_lshl_b64 s[12:13], s[2:3], 3
	s_waitcnt lgkmcnt(0)
	s_add_u32 s10, s10, s12
	s_addc_u32 s11, s11, s13
	s_lshl_b64 s[4:5], s[4:5], 2
	s_load_b64 s[10:11], s[10:11], 0x0
	s_waitcnt lgkmcnt(0)
	s_add_u32 s12, s10, s4
	s_addc_u32 s13, s11, s5
	s_and_not1_b32 vcc_lo, exec_lo, s8
	s_cbranch_vccnz .LBB38_4
.LBB38_2:
	s_mov_b64 s[8:9], 0
	s_and_not1_b32 vcc_lo, exec_lo, s3
	s_cbranch_vccz .LBB38_5
	s_branch .LBB38_6
.LBB38_3:
	s_mov_b64 s[12:13], 0
	s_and_not1_b32 vcc_lo, exec_lo, s8
	s_cbranch_vccz .LBB38_2
.LBB38_4:
	s_mov_b32 s3, -1
                                        ; implicit-def: $sgpr8_sgpr9
.LBB38_5:
	s_mov_b32 s3, 0
	s_load_b64 s[8:9], s[0:1], 0x38
	s_lshl_b64 s[4:5], s[2:3], 3
	s_delay_alu instid0(SALU_CYCLE_1) | instskip(SKIP_4) | instid1(SALU_CYCLE_1)
	s_add_u32 s4, s6, s4
	s_addc_u32 s5, s7, s5
	s_load_b64 s[4:5], s[4:5], 0x0
	s_waitcnt lgkmcnt(0)
	s_lshl_b64 s[6:7], s[8:9], 2
	s_add_u32 s8, s4, s6
	s_addc_u32 s9, s5, s7
.LBB38_6:
	s_clause 0x1
	s_load_b32 s15, s[0:1], 0x40
	s_load_b128 s[4:7], s[0:1], 0x58
	s_waitcnt lgkmcnt(0)
	v_cmp_eq_f32_e64 s10, s15, 0
	v_cmp_neq_f32_e64 s20, s15, 0
	s_delay_alu instid0(VALU_DEP_2)
	s_and_b32 vcc_lo, exec_lo, s10
	s_cbranch_vccnz .LBB38_8
; %bb.7:
	s_load_b64 s[10:11], s[0:1], 0x48
	s_lshl_b64 s[22:23], s[2:3], 3
	s_waitcnt lgkmcnt(0)
	s_add_u32 s10, s10, s22
	s_addc_u32 s11, s11, s23
	s_lshl_b64 s[4:5], s[4:5], 2
	s_load_b64 s[10:11], s[10:11], 0x0
	s_waitcnt lgkmcnt(0)
	s_add_u32 s10, s10, s4
	s_addc_u32 s11, s11, s5
	s_branch .LBB38_9
.LBB38_8:
	s_mov_b64 s[10:11], 0
.LBB38_9:
	s_lshl_b64 s[2:3], s[2:3], 3
	v_dual_mov_b32 v7, 0 :: v_dual_and_b32 v54, 0x3ff, v0
	s_add_u32 s4, s6, s2
	s_addc_u32 s5, s7, s3
	s_add_i32 s2, s16, -1
	v_bfe_u32 v55, v0, 10, 10
	s_ashr_i32 s3, s2, 31
	s_load_b32 s26, s[0:1], 0x18
	s_lshr_b32 s3, s3, 26
	s_load_b64 s[4:5], s[4:5], 0x0
	s_add_i32 s2, s2, s3
	v_lshl_add_u32 v0, v55, 3, v54
	s_ashr_i32 s2, s2, 6
	v_and_b32_e32 v56, 3, v54
	s_add_i32 s6, s2, 1
	s_not_b32 s2, s2
	v_cvt_f32_u32_e32 v1, s6
	v_mov_b32_e32 v8, 0
	s_delay_alu instid0(VALU_DEP_2) | instskip(SKIP_2) | instid1(VALU_DEP_1)
	v_rcp_iflag_f32_e32 v1, v1
	s_waitcnt_depctr 0xfff
	v_mul_f32_e32 v1, 0x4f7ffffe, v1
	v_cvt_u32_f32_e32 v1, v1
	s_delay_alu instid0(VALU_DEP_1) | instskip(SKIP_2) | instid1(VALU_DEP_3)
	v_readfirstlane_b32 s3, v1
	v_lshrrev_b32_e32 v1, 2, v0
	v_lshlrev_b32_e32 v0, 2, v56
	s_mul_i32 s2, s2, s3
	s_delay_alu instid0(SALU_CYCLE_1) | instskip(NEXT) | instid1(SALU_CYCLE_1)
	s_mul_hi_u32 s2, s3, s2
	s_add_i32 s3, s3, s2
	s_delay_alu instid0(SALU_CYCLE_1) | instskip(NEXT) | instid1(SALU_CYCLE_1)
	s_mul_hi_u32 s2, s14, s3
	s_mul_i32 s3, s2, s6
	s_add_i32 s7, s2, 1
	s_sub_i32 s3, s14, s3
	s_delay_alu instid0(SALU_CYCLE_1)
	s_sub_i32 s22, s3, s6
	s_cmp_ge_u32 s3, s6
	s_cselect_b32 s2, s7, s2
	s_cselect_b32 s3, s22, s3
	s_add_i32 s7, s2, 1
	s_cmp_ge_u32 s3, s6
	s_cselect_b32 s3, s7, s2
	s_delay_alu instid0(SALU_CYCLE_1) | instskip(NEXT) | instid1(SALU_CYCLE_1)
	s_mul_i32 s27, s3, s6
	s_sub_i32 s2, s14, s27
	s_delay_alu instid0(SALU_CYCLE_1) | instskip(SKIP_2) | instid1(VALU_DEP_1)
	s_lshl_b32 s6, s2, 6
	v_cmp_gt_i32_e64 s2, s18, v56
	v_add_nc_u32_e32 v5, s6, v1
	v_cmp_gt_i32_e32 vcc_lo, s16, v5
	s_delay_alu instid0(VALU_DEP_3) | instskip(NEXT) | instid1(SALU_CYCLE_1)
	s_and_b32 s2, s2, vcc_lo
	s_and_b32 s2, s21, s2
	s_delay_alu instid0(SALU_CYCLE_1)
	s_and_saveexec_b32 s7, s2
	s_cbranch_execz .LBB38_11
; %bb.10:
	s_waitcnt lgkmcnt(0)
	v_mad_i64_i32 v[2:3], null, v5, s26, 0
	s_delay_alu instid0(VALU_DEP_1) | instskip(NEXT) | instid1(VALU_DEP_1)
	v_lshlrev_b64 v[2:3], 2, v[2:3]
	v_add_co_u32 v2, s2, s12, v2
	s_delay_alu instid0(VALU_DEP_1) | instskip(NEXT) | instid1(VALU_DEP_2)
	v_add_co_ci_u32_e64 v3, s2, s13, v3, s2
	v_add_co_u32 v2, s2, v2, v0
	s_delay_alu instid0(VALU_DEP_1)
	v_add_co_ci_u32_e64 v3, s2, 0, v3, s2
	flat_load_b32 v2, v[2:3]
	s_waitcnt vmcnt(0) lgkmcnt(0)
	v_mul_f32_e32 v8, s19, v2
.LBB38_11:
	s_or_b32 exec_lo, exec_lo, s7
	s_add_i32 s22, s18, -1
	s_load_b32 s28, s[0:1], 0x30
	v_min_i32_e32 v3, s22, v56
	s_lshl_b32 s7, s3, 7
	s_xor_b32 s24, s21, -1
	v_add_nc_u32_e32 v2, s7, v1
	v_cmp_le_i32_e64 s2, s18, v56
	v_ashrrev_i32_e32 v4, 31, v3
	s_delay_alu instid0(VALU_DEP_3) | instskip(NEXT) | instid1(VALU_DEP_2)
	v_cmp_le_i32_e64 s3, s17, v2
	v_lshlrev_b64 v[3:4], 2, v[3:4]
	s_delay_alu instid0(VALU_DEP_2) | instskip(NEXT) | instid1(VALU_DEP_1)
	s_or_b32 s23, s3, s24
	v_add_co_u32 v6, s3, s8, v3
	s_delay_alu instid0(VALU_DEP_1) | instskip(SKIP_1) | instid1(SALU_CYCLE_1)
	v_add_co_ci_u32_e64 v10, s3, s9, v4, s3
	s_or_b32 s3, s2, s23
	s_xor_b32 s3, s3, -1
	s_delay_alu instid0(SALU_CYCLE_1)
	s_and_saveexec_b32 s25, s3
	s_cbranch_execz .LBB38_13
; %bb.12:
	s_waitcnt lgkmcnt(0)
	v_mad_i64_i32 v[3:4], null, v2, s28, 0
	s_delay_alu instid0(VALU_DEP_1) | instskip(NEXT) | instid1(VALU_DEP_1)
	v_lshlrev_b64 v[3:4], 2, v[3:4]
	v_add_co_u32 v3, s3, v6, v3
	s_delay_alu instid0(VALU_DEP_1)
	v_add_co_ci_u32_e64 v4, s3, v10, v4, s3
	flat_load_b32 v3, v[3:4]
	s_waitcnt vmcnt(0) lgkmcnt(0)
	v_mul_f32_e32 v7, s19, v3
.LBB38_13:
	s_or_b32 exec_lo, exec_lo, s25
	v_dual_mov_b32 v4, 0 :: v_dual_add_nc_u32 v3, 64, v2
	v_mov_b32_e32 v9, 0
	s_delay_alu instid0(VALU_DEP_2) | instskip(NEXT) | instid1(VALU_DEP_1)
	v_cmp_le_i32_e64 s3, s17, v3
	s_or_b32 s24, s3, s24
	s_delay_alu instid0(SALU_CYCLE_1) | instskip(NEXT) | instid1(SALU_CYCLE_1)
	s_or_b32 s2, s2, s24
	s_xor_b32 s2, s2, -1
	s_delay_alu instid0(SALU_CYCLE_1)
	s_and_saveexec_b32 s3, s2
	s_cbranch_execz .LBB38_15
; %bb.14:
	s_waitcnt lgkmcnt(0)
	v_mad_i64_i32 v[11:12], null, v3, s28, 0
	s_delay_alu instid0(VALU_DEP_1) | instskip(NEXT) | instid1(VALU_DEP_1)
	v_lshlrev_b64 v[11:12], 2, v[11:12]
	v_add_co_u32 v9, s2, v6, v11
	s_delay_alu instid0(VALU_DEP_1)
	v_add_co_ci_u32_e64 v10, s2, v10, v12, s2
	flat_load_b32 v6, v[9:10]
	s_waitcnt vmcnt(0) lgkmcnt(0)
	v_mul_f32_e32 v9, s19, v6
.LBB38_15:
	s_or_b32 exec_lo, exec_lo, s3
	v_or_b32_e32 v6, 4, v56
	s_delay_alu instid0(VALU_DEP_1) | instskip(NEXT) | instid1(VALU_DEP_1)
	v_cmp_gt_i32_e64 s2, s18, v6
	s_and_b32 s2, s2, vcc_lo
	s_delay_alu instid0(SALU_CYCLE_1) | instskip(NEXT) | instid1(SALU_CYCLE_1)
	s_and_b32 s2, s21, s2
	s_and_saveexec_b32 s3, s2
	s_cbranch_execz .LBB38_17
; %bb.16:
	s_waitcnt lgkmcnt(0)
	v_mad_i64_i32 v[10:11], null, v5, s26, 0
	s_delay_alu instid0(VALU_DEP_1) | instskip(NEXT) | instid1(VALU_DEP_1)
	v_lshlrev_b64 v[4:5], 2, v[10:11]
	v_add_co_u32 v4, s2, s12, v4
	s_delay_alu instid0(VALU_DEP_1) | instskip(NEXT) | instid1(VALU_DEP_2)
	v_add_co_ci_u32_e64 v5, s2, s13, v5, s2
	v_add_co_u32 v4, s2, v4, v0
	s_delay_alu instid0(VALU_DEP_1)
	v_add_co_ci_u32_e64 v5, s2, 0, v5, s2
	flat_load_b32 v4, v[4:5] offset:16
	s_waitcnt vmcnt(0) lgkmcnt(0)
	v_mul_f32_e32 v4, s19, v4
.LBB38_17:
	s_or_b32 exec_lo, exec_lo, s3
	v_min_i32_e32 v10, s22, v6
	v_cmp_le_i32_e64 s2, s18, v6
	v_dual_mov_b32 v5, 0 :: v_dual_mov_b32 v6, 0
	s_delay_alu instid0(VALU_DEP_3) | instskip(NEXT) | instid1(VALU_DEP_1)
	v_ashrrev_i32_e32 v11, 31, v10
	v_lshlrev_b64 v[10:11], 2, v[10:11]
	s_delay_alu instid0(VALU_DEP_1) | instskip(NEXT) | instid1(VALU_DEP_1)
	v_add_co_u32 v10, s3, s8, v10
	v_add_co_ci_u32_e64 v11, s3, s9, v11, s3
	s_or_b32 s3, s2, s23
	s_delay_alu instid0(SALU_CYCLE_1) | instskip(NEXT) | instid1(SALU_CYCLE_1)
	s_xor_b32 s3, s3, -1
	s_and_saveexec_b32 s25, s3
	s_cbranch_execz .LBB38_19
; %bb.18:
	s_waitcnt lgkmcnt(0)
	v_mad_i64_i32 v[12:13], null, v2, s28, 0
	s_delay_alu instid0(VALU_DEP_1) | instskip(NEXT) | instid1(VALU_DEP_1)
	v_lshlrev_b64 v[12:13], 2, v[12:13]
	v_add_co_u32 v12, s3, v10, v12
	s_delay_alu instid0(VALU_DEP_1)
	v_add_co_ci_u32_e64 v13, s3, v11, v13, s3
	flat_load_b32 v6, v[12:13]
	s_waitcnt vmcnt(0) lgkmcnt(0)
	v_mul_f32_e32 v6, s19, v6
.LBB38_19:
	s_or_b32 exec_lo, exec_lo, s25
	s_or_b32 s2, s2, s24
	s_delay_alu instid0(SALU_CYCLE_1) | instskip(NEXT) | instid1(SALU_CYCLE_1)
	s_xor_b32 s2, s2, -1
	s_and_saveexec_b32 s3, s2
	s_cbranch_execz .LBB38_21
; %bb.20:
	s_waitcnt lgkmcnt(0)
	v_mad_i64_i32 v[12:13], null, v3, s28, 0
	s_delay_alu instid0(VALU_DEP_1) | instskip(NEXT) | instid1(VALU_DEP_1)
	v_lshlrev_b64 v[12:13], 2, v[12:13]
	v_add_co_u32 v10, s2, v10, v12
	s_delay_alu instid0(VALU_DEP_1)
	v_add_co_ci_u32_e64 v11, s2, v11, v13, s2
	flat_load_b32 v5, v[10:11]
	s_waitcnt vmcnt(0) lgkmcnt(0)
	v_mul_f32_e32 v5, s19, v5
.LBB38_21:
	s_or_b32 exec_lo, exec_lo, s3
	v_lshl_or_b32 v59, v1, 4, v0
	v_lshlrev_b32_e32 v57, 4, v55
	v_lshlrev_b32_e32 v58, 4, v54
	s_mov_b32 s25, 0
	s_cmp_lt_i32 s18, 9
	ds_store_b32 v59, v8 offset:4096
	ds_store_2addr_stride64_b32 v59, v7, v9 offset1:4
	s_waitcnt lgkmcnt(0)
	s_barrier
	buffer_gl0_inv
	ds_load_b128 v[7:10], v57
	ds_load_b128 v[11:14], v58 offset:4096
	ds_load_b128 v[15:18], v58 offset:4224
	;; [unrolled: 1-line block ×11, first 2 shown]
	ds_store_b32 v59, v4 offset:5120
	ds_store_2addr_stride64_b32 v59, v6, v5 offset0:8 offset1:12
	s_waitcnt lgkmcnt(0)
	s_barrier
	buffer_gl0_inv
	v_max_f32_e32 v7, v7, v7
	v_dual_max_f32 v11, v11, v11 :: v_dual_max_f32 v12, v12, v12
	v_dual_max_f32 v15, v15, v15 :: v_dual_max_f32 v16, v16, v16
	;; [unrolled: 1-line block ×3, first 2 shown]
	s_delay_alu instid0(VALU_DEP_2) | instskip(SKIP_1) | instid1(VALU_DEP_2)
	v_dual_max_f32 v20, v20, v20 :: v_dual_min_f32 v53, v15, v7
	v_dual_max_f32 v23, v23, v23 :: v_dual_max_f32 v28, v28, v28
	v_dual_max_f32 v27, v27, v27 :: v_dual_min_f32 v66, v20, v8
	v_dual_max_f32 v31, v31, v31 :: v_dual_max_f32 v32, v32, v32
	v_dual_max_f32 v35, v35, v35 :: v_dual_max_f32 v36, v36, v36
	v_max_f32_e32 v39, v39, v39
	v_dual_max_f32 v43, v43, v43 :: v_dual_max_f32 v44, v44, v44
	v_dual_max_f32 v47, v47, v47 :: v_dual_max_f32 v38, v38, v38
	v_dual_min_f32 v51, v11, v7 :: v_dual_min_f32 v64, v16, v8
	v_dual_min_f32 v52, v12, v8 :: v_dual_min_f32 v65, v19, v7
	v_dual_max_f32 v24, v24, v24 :: v_dual_min_f32 v67, v23, v7
	v_dual_min_f32 v69, v27, v7 :: v_dual_min_f32 v70, v28, v8
	v_dual_min_f32 v71, v31, v7 :: v_dual_min_f32 v74, v36, v8
	v_dual_min_f32 v72, v32, v8 :: v_dual_min_f32 v73, v35, v7
	v_dual_max_f32 v40, v40, v40 :: v_dual_min_f32 v7, v39, v7
	v_dual_max_f32 v10, v10, v10 :: v_dual_max_f32 v9, v9, v9
	v_dual_min_f32 v75, v11, v43 :: v_dual_max_f32 v14, v14, v14
	v_dual_max_f32 v13, v13, v13 :: v_dual_min_f32 v76, v12, v44
	v_dual_min_f32 v77, v15, v43 :: v_dual_max_f32 v18, v18, v18
	v_dual_min_f32 v79, v19, v43 :: v_dual_max_f32 v22, v22, v22
	;; [unrolled: 1-line block ×8, first 2 shown]
	v_min_f32_e32 v68, v24, v8
	v_dual_min_f32 v8, v40, v8 :: v_dual_max_f32 v17, v17, v17
	v_dual_min_f32 v78, v16, v44 :: v_dual_max_f32 v21, v21, v21
	;; [unrolled: 1-line block ×4, first 2 shown]
	v_min_f32_e32 v88, v11, v47
	v_dual_min_f32 v89, v15, v47 :: v_dual_max_f32 v50, v50, v50
	v_dual_max_f32 v45, v45, v45 :: v_dual_min_f32 v90, v19, v47
	v_dual_max_f32 v49, v49, v49 :: v_dual_max_f32 v100, v62, v62
	v_dual_max_f32 v61, v61, v61 :: v_dual_min_f32 v126, v27, v47
	v_dual_max_f32 v117, v63, v63 :: v_dual_min_f32 v92, v36, v44
	v_min_f32_e32 v127, v31, v47
	v_dual_min_f32 v128, v35, v47 :: v_dual_min_f32 v93, v12, v48
	v_dual_min_f32 v47, v39, v47 :: v_dual_min_f32 v94, v16, v48
	;; [unrolled: 1-line block ×4, first 2 shown]
	v_min_f32_e32 v19, v19, v60
	v_min_f32_e32 v23, v23, v60
	;; [unrolled: 1-line block ×5, first 2 shown]
	v_dual_min_f32 v39, v39, v60 :: v_dual_min_f32 v62, v13, v9
	v_min_f32_e32 v95, v20, v48
	v_dual_min_f32 v130, v28, v48 :: v_dual_add_f32 v51, 0, v51
	v_add_f32_e32 v52, 0, v52
	v_dual_min_f32 v60, v14, v10 :: v_dual_add_f32 v63, 0, v64
	v_dual_min_f32 v64, v18, v10 :: v_dual_max_f32 v29, v29, v29
	v_dual_min_f32 v84, v28, v44 :: v_dual_max_f32 v33, v33, v33
	v_min_f32_e32 v86, v32, v44
	v_min_f32_e32 v44, v40, v44
	v_dual_min_f32 v129, v24, v48 :: v_dual_add_f32 v124, v51, v62
	v_min_f32_e32 v131, v32, v48
	v_dual_min_f32 v132, v36, v48 :: v_dual_add_f32 v51, 0, v53
	v_dual_min_f32 v48, v40, v48 :: v_dual_add_f32 v53, 0, v66
	v_min_f32_e32 v20, v20, v61
	v_min_f32_e32 v24, v24, v61
	;; [unrolled: 1-line block ×6, first 2 shown]
	v_dual_add_f32 v122, v63, v64 :: v_dual_add_f32 v61, 0, v65
	v_add_f32_e32 v65, 0, v67
	v_dual_add_f32 v125, v52, v60 :: v_dual_min_f32 v60, v22, v10
	v_min_f32_e32 v52, v17, v9
	v_dual_min_f32 v62, v21, v9 :: v_dual_add_f32 v63, 0, v68
	v_min_f32_e32 v64, v26, v10
	v_min_f32_e32 v66, v25, v9
	v_dual_max_f32 v41, v41, v41 :: v_dual_max_f32 v46, v46, v46
	v_add_f32_e32 v123, v51, v52
	v_dual_add_f32 v120, v53, v60 :: v_dual_add_f32 v51, 0, v70
	s_delay_alu instid0(VALU_DEP_4)
	v_add_f32_e32 v119, v65, v66
	v_dual_min_f32 v52, v30, v10 :: v_dual_add_f32 v53, 0, v69
	v_dual_add_f32 v121, v61, v62 :: v_dual_add_f32 v118, v63, v64
	v_dual_min_f32 v61, v29, v9 :: v_dual_add_f32 v62, 0, v72
	v_dual_min_f32 v63, v34, v10 :: v_dual_add_f32 v64, 0, v71
	;; [unrolled: 1-line block ×3, first 2 shown]
	s_delay_alu instid0(VALU_DEP_3) | instskip(SKIP_1) | instid1(VALU_DEP_3)
	v_add_f32_e32 v61, v53, v61
	v_dual_min_f32 v67, v38, v10 :: v_dual_add_f32 v60, v51, v52
	v_dual_add_f32 v63, v62, v63 :: v_dual_add_f32 v62, v64, v65
	s_delay_alu instid0(VALU_DEP_2) | instskip(SKIP_4) | instid1(VALU_DEP_4)
	v_dual_add_f32 v51, 0, v73 :: v_dual_add_f32 v64, v66, v67
	v_dual_min_f32 v52, v37, v9 :: v_dual_add_f32 v7, 0, v7
	v_dual_add_f32 v8, 0, v8 :: v_dual_min_f32 v9, v41, v9
	v_dual_min_f32 v10, v42, v10 :: v_dual_add_f32 v53, 0, v76
	v_dual_min_f32 v66, v14, v46 :: v_dual_add_f32 v67, 0, v75
	;; [unrolled: 1-line block ×3, first 2 shown]
	s_delay_alu instid0(VALU_DEP_3)
	v_dual_add_f32 v115, v8, v10 :: v_dual_add_f32 v116, v7, v9
	v_dual_add_f32 v7, 0, v78 :: v_dual_min_f32 v10, v17, v45
	v_dual_min_f32 v8, v18, v46 :: v_dual_add_f32 v9, 0, v77
	v_dual_add_f32 v51, 0, v80 :: v_dual_min_f32 v52, v22, v46
	v_dual_add_f32 v114, v53, v66 :: v_dual_add_f32 v113, v67, v68
	v_dual_add_f32 v53, 0, v79 :: v_dual_min_f32 v66, v21, v45
	s_delay_alu instid0(VALU_DEP_3)
	v_dual_add_f32 v67, 0, v82 :: v_dual_add_f32 v110, v51, v52
	v_dual_min_f32 v68, v26, v46 :: v_dual_add_f32 v111, v7, v8
	v_dual_add_f32 v112, v9, v10 :: v_dual_add_f32 v7, 0, v81
	v_min_f32_e32 v10, v30, v46
	v_dual_min_f32 v8, v25, v45 :: v_dual_add_f32 v9, 0, v84
	v_dual_add_f32 v51, 0, v83 :: v_dual_min_f32 v52, v29, v45
	s_delay_alu instid0(VALU_DEP_2)
	v_dual_add_f32 v109, v53, v66 :: v_dual_add_f32 v108, v7, v8
	v_add_f32_e32 v107, v67, v68
	v_dual_add_f32 v53, 0, v86 :: v_dual_min_f32 v68, v33, v45
	v_dual_min_f32 v66, v34, v46 :: v_dual_add_f32 v67, 0, v85
	v_dual_add_f32 v105, v9, v10 :: v_dual_add_f32 v106, v51, v52
	v_dual_add_f32 v7, 0, v92 :: v_dual_min_f32 v8, v38, v46
	v_dual_add_f32 v9, 0, v87 :: v_dual_min_f32 v10, v37, v45
	v_dual_add_f32 v44, 0, v44 :: v_dual_add_f32 v43, 0, v43
	v_dual_min_f32 v46, v42, v46 :: v_dual_min_f32 v45, v41, v45
	v_dual_add_f32 v51, 0, v93 :: v_dual_min_f32 v52, v14, v50
	s_delay_alu instid0(VALU_DEP_4) | instskip(NEXT) | instid1(VALU_DEP_3)
	v_dual_add_f32 v101, v7, v8 :: v_dual_add_f32 v102, v9, v10
	v_dual_add_f32 v99, v44, v46 :: v_dual_add_f32 v98, v43, v45
	s_delay_alu instid0(VALU_DEP_3) | instskip(SKIP_3) | instid1(VALU_DEP_3)
	v_dual_add_f32 v96, v51, v52 :: v_dual_add_f32 v9, 0, v94
	v_dual_add_f32 v7, 0, v88 :: v_dual_min_f32 v8, v13, v49
	v_dual_min_f32 v10, v18, v50 :: v_dual_add_f32 v43, 0, v89
	v_dual_min_f32 v44, v17, v49 :: v_dual_add_f32 v45, 0, v95
	;; [unrolled: 1-line block ×3, first 2 shown]
	v_dual_add_f32 v51, 0, v90 :: v_dual_min_f32 v52, v21, v49
	s_delay_alu instid0(VALU_DEP_3) | instskip(NEXT) | instid1(VALU_DEP_3)
	v_dual_add_f32 v94, v9, v10 :: v_dual_add_f32 v95, v43, v44
	v_dual_add_f32 v92, v45, v46 :: v_dual_add_f32 v7, 0, v129
	v_min_f32_e32 v8, v26, v50
	v_dual_add_f32 v43, 0, v130 :: v_dual_min_f32 v46, v29, v49
	v_add_f32_e32 v45, 0, v126
	v_dual_add_f32 v9, 0, v91 :: v_dual_min_f32 v10, v25, v49
	v_min_f32_e32 v44, v30, v50
	v_add_f32_e32 v90, v7, v8
	s_delay_alu instid0(VALU_DEP_4)
	v_dual_add_f32 v88, v45, v46 :: v_dual_add_f32 v7, 0, v127
	v_dual_min_f32 v8, v33, v49 :: v_dual_add_f32 v93, v51, v52
	v_dual_add_f32 v51, 0, v131 :: v_dual_min_f32 v52, v34, v50
	v_add_f32_e32 v89, v43, v44
	v_add_f32_e32 v91, v9, v10
	v_dual_add_f32 v9, 0, v132 :: v_dual_min_f32 v10, v38, v50
	v_dual_add_f32 v43, 0, v128 :: v_dual_min_f32 v44, v37, v49
	;; [unrolled: 1-line block ×3, first 2 shown]
	v_add_f32_e32 v87, v7, v8
	v_dual_add_f32 v7, 0, v11 :: v_dual_add_f32 v8, 0, v12
	v_dual_add_f32 v11, 0, v19 :: v_dual_add_f32 v12, 0, v20
	;; [unrolled: 1-line block ×3, first 2 shown]
	v_dual_add_f32 v27, 0, v35 :: v_dual_min_f32 v14, v14, v117
	v_dual_add_f32 v84, v9, v10 :: v_dual_add_f32 v85, v43, v44
	v_dual_add_f32 v9, 0, v15 :: v_dual_add_f32 v10, 0, v16
	s_delay_alu instid0(VALU_DEP_3)
	v_dual_min_f32 v13, v13, v100 :: v_dual_add_f32 v80, v8, v14
	v_dual_min_f32 v8, v18, v117 :: v_dual_add_f32 v15, 0, v23
	v_dual_add_f32 v16, 0, v24 :: v_dual_add_f32 v23, 0, v31
	v_add_f32_e32 v24, 0, v32
	v_add_f32_e32 v32, 0, v40
	v_dual_min_f32 v14, v17, v100 :: v_dual_add_f32 v81, v7, v13
	v_min_f32_e32 v17, v22, v117
	v_min_f32_e32 v7, v21, v100
	s_delay_alu instid0(VALU_DEP_3) | instskip(SKIP_1) | instid1(VALU_DEP_3)
	v_dual_add_f32 v79, v10, v8 :: v_dual_add_f32 v78, v9, v14
	v_min_f32_e32 v8, v26, v117
	v_dual_add_f32 v76, v12, v17 :: v_dual_add_f32 v77, v11, v7
	v_min_f32_e32 v7, v25, v100
	v_dual_min_f32 v9, v30, v117 :: v_dual_min_f32 v10, v29, v100
	s_delay_alu instid0(VALU_DEP_4)
	v_add_f32_e32 v74, v16, v8
	v_min_f32_e32 v8, v34, v117
	v_dual_min_f32 v46, v42, v50 :: v_dual_add_f32 v47, 0, v47
	v_dual_add_f32 v28, 0, v36 :: v_dual_add_f32 v31, 0, v39
	v_add_f32_e32 v75, v15, v7
	v_dual_add_f32 v73, v20, v9 :: v_dual_add_f32 v72, v19, v10
	v_min_f32_e32 v7, v33, v100
	v_add_f32_e32 v70, v24, v8
	v_dual_min_f32 v8, v38, v117 :: v_dual_min_f32 v9, v37, v100
	v_dual_min_f32 v10, v42, v117 :: v_dual_min_f32 v11, v41, v100
	v_dual_add_f32 v104, v53, v66 :: v_dual_add_f32 v103, v67, v68
	v_dual_add_f32 v86, v51, v52 :: v_dual_add_f32 v83, v45, v46
	v_add_f32_e32 v82, v47, v48
	v_add_f32_e32 v71, v23, v7
	v_dual_add_f32 v69, v28, v8 :: v_dual_add_f32 v68, v27, v9
	v_dual_add_f32 v67, v32, v10 :: v_dual_add_f32 v66, v31, v11
	s_cbranch_scc1 .LBB38_36
; %bb.22:
	v_lshl_add_u32 v1, s14, 6, v1
	s_lshl_b32 s2, s27, 6
	v_mad_i64_i32 v[6:7], null, v2, s28, 0
	v_add_nc_u32_e32 v100, 0x1000, v59
	s_delay_alu instid0(VALU_DEP_3)
	v_subrev_nc_u32_e32 v1, s2, v1
	v_add_nc_u32_e32 v117, 0x1000, v58
	v_add_nc_u32_e32 v126, 0x1400, v59
	;; [unrolled: 1-line block ×3, first 2 shown]
	v_lshl_add_u32 v128, v54, 4, 0x1400
	v_mad_i64_i32 v[4:5], null, s26, v1, 0
	v_lshlrev_b64 v[48:49], 2, v[6:7]
	v_lshl_add_u32 v129, v55, 4, 0x800
	s_delay_alu instid0(VALU_DEP_3) | instskip(SKIP_1) | instid1(VALU_DEP_2)
	v_lshlrev_b64 v[1:2], 2, v[4:5]
	v_mad_i64_i32 v[4:5], null, v3, s28, 0
	v_add_co_u32 v0, s2, v1, v0
	s_delay_alu instid0(VALU_DEP_1) | instskip(NEXT) | instid1(VALU_DEP_3)
	v_add_co_ci_u32_e64 v1, s2, 0, v2, s2
	v_lshlrev_b64 v[50:51], 2, v[4:5]
	s_delay_alu instid0(VALU_DEP_3) | instskip(NEXT) | instid1(VALU_DEP_1)
	v_add_co_u32 v0, s2, v0, s12
	v_add_co_ci_u32_e64 v1, s2, s13, v1, s2
	s_add_i32 s12, s18, -8
	s_delay_alu instid0(VALU_DEP_2) | instskip(NEXT) | instid1(VALU_DEP_1)
	v_add_co_u32 v52, s2, v0, 48
	v_add_co_ci_u32_e64 v53, s2, 0, v1, s2
	s_branch .LBB38_24
.LBB38_23:                              ;   in Loop: Header=BB38_24 Depth=1
	s_or_b32 exec_lo, exec_lo, s3
	v_dual_add_f32 v40, v125, v40 :: v_dual_add_f32 v33, v119, v33
	v_dual_add_f32 v28, v122, v28 :: v_dual_add_f32 v29, v121, v29
	;; [unrolled: 1-line block ×14, first 2 shown]
	v_add_f32_e32 v105, v29, v30
	v_dual_add_f32 v108, v20, v174 :: v_dual_add_f32 v113, v25, v23
	v_dual_add_f32 v111, v21, v22 :: v_dual_add_f32 v112, v8, v184
	;; [unrolled: 1-line block ×3, first 2 shown]
	ds_load_b128 v[20:23], v57
	ds_load_b128 v[28:31], v117
	v_dual_add_f32 v76, v76, v26 :: v_dual_add_f32 v75, v75, v11
	v_dual_add_f32 v77, v77, v10 :: v_dual_add_f32 v74, v74, v27
	ds_load_b128 v[8:11], v117 offset:128
	v_dual_add_f32 v32, v120, v32 :: v_dual_add_f32 v37, v118, v37
	v_dual_add_f32 v4, v101, v4 :: v_dual_add_f32 v5, v98, v5
	;; [unrolled: 1-line block ×12, first 2 shown]
	v_add_f32_e32 v110, v24, v175
	s_delay_alu instid0(VALU_DEP_4)
	v_dual_add_f32 v121, v4, v200 :: v_dual_add_f32 v102, v102, v183
	v_dual_add_f32 v88, v88, v197 :: v_dual_add_f32 v123, v1, v211
	;; [unrolled: 1-line block ×5, first 2 shown]
	s_waitcnt lgkmcnt(2)
	v_dual_add_f32 v124, v46, v19 :: v_dual_max_f32 v21, v21, v21
	ds_load_b128 v[1:4], v117 offset:256
	ds_load_b128 v[12:15], v117 offset:384
	;; [unrolled: 1-line block ×5, first 2 shown]
	v_dual_add_f32 v125, v43, v7 :: v_dual_max_f32 v20, v20, v20
	s_waitcnt lgkmcnt(6)
	v_dual_max_f32 v28, v28, v28 :: v_dual_max_f32 v29, v29, v29
	s_waitcnt lgkmcnt(5)
	v_dual_max_f32 v133, v8, v8 :: v_dual_add_f32 v98, v99, v143
	v_dual_add_f32 v93, v93, v148 :: v_dual_add_f32 v66, v40, v47
	v_add_f32_e32 v99, v41, v42
	v_dual_add_f32 v67, v36, v38 :: v_dual_add_f32 v106, v37, v39
	v_dual_min_f32 v132, v28, v20 :: v_dual_max_f32 v9, v9, v9
	v_min_f32_e32 v134, v29, v21
	v_min_f32_e32 v135, v133, v20
	s_waitcnt lgkmcnt(4)
	v_dual_max_f32 v1, v1, v1 :: v_dual_max_f32 v2, v2, v2
	v_dual_add_f32 v67, v67, v132 :: v_dual_min_f32 v132, v9, v21
	s_delay_alu instid0(VALU_DEP_3)
	v_dual_add_f32 v66, v66, v134 :: v_dual_add_f32 v99, v99, v135
	s_waitcnt lgkmcnt(3)
	v_max_f32_e32 v12, v12, v12
	ds_load_b128 v[36:39], v117 offset:768
	ds_load_b128 v[40:43], v117 offset:896
	v_dual_add_f32 v84, v84, v132 :: v_dual_max_f32 v13, v13, v13
	v_dual_min_f32 v132, v2, v21 :: v_dual_min_f32 v135, v12, v20
	v_min_f32_e32 v134, v1, v20
	s_waitcnt lgkmcnt(4)
	v_dual_max_f32 v16, v16, v16 :: v_dual_max_f32 v17, v17, v17
	s_delay_alu instid0(VALU_DEP_3) | instskip(SKIP_1) | instid1(VALU_DEP_3)
	v_add_f32_e32 v101, v101, v132
	v_add_f32_e32 v107, v107, v135
	v_dual_add_f32 v105, v105, v134 :: v_dual_min_f32 v132, v16, v20
	s_waitcnt lgkmcnt(3)
	v_dual_max_f32 v24, v24, v24 :: v_dual_max_f32 v25, v25, v25
	v_dual_add_f32 v119, v45, v187 :: v_dual_add_f32 v120, v44, v178
	s_delay_alu instid0(VALU_DEP_3) | instskip(NEXT) | instid1(VALU_DEP_3)
	v_add_f32_e32 v109, v109, v132
	v_dual_min_f32 v132, v24, v20 :: v_dual_min_f32 v135, v25, v21
	s_waitcnt lgkmcnt(1)
	v_max_f32_e32 v37, v37, v37
	v_min_f32_e32 v134, v13, v21
	v_max_f32_e32 v36, v36, v36
	v_add_f32_e32 v111, v111, v132
	s_waitcnt lgkmcnt(0)
	v_dual_max_f32 v40, v40, v40 :: v_dual_max_f32 v33, v33, v33
	v_add_f32_e32 v106, v106, v134
	v_min_f32_e32 v134, v17, v21
	v_max_f32_e32 v41, v41, v41
	v_dual_add_f32 v92, v92, v149 :: v_dual_add_f32 v87, v87, v154
	v_add_f32_e32 v122, v5, v192
	s_delay_alu instid0(VALU_DEP_4)
	v_add_f32_e32 v108, v108, v134
	v_min_f32_e32 v134, v36, v20
	ds_load_b128 v[5:8], v57 offset:1024
	ds_load_b128 v[44:47], v57 offset:1536
	v_dual_add_f32 v103, v103, v140 :: v_dual_add_f32 v104, v104, v141
	v_dual_add_f32 v63, v63, v189 :: v_dual_add_f32 v62, v62, v180
	v_min_f32_e32 v132, v37, v21
	v_dual_max_f32 v32, v32, v32 :: v_dual_min_f32 v21, v41, v21
	v_min_f32_e32 v20, v40, v20
	v_dual_add_f32 v104, v104, v191 :: v_dual_add_f32 v103, v103, v182
	v_dual_add_f32 v110, v110, v135 :: v_dual_add_f32 v113, v113, v134
	v_min_f32_e32 v134, v29, v33
	s_delay_alu instid0(VALU_DEP_4) | instskip(SKIP_2) | instid1(VALU_DEP_4)
	v_dual_add_f32 v21, v114, v21 :: v_dual_add_f32 v20, v115, v20
	v_min_f32_e32 v115, v133, v32
	v_dual_add_f32 v61, v61, v188 :: v_dual_add_f32 v60, v60, v179
	v_add_f32_e32 v114, v116, v134
	v_dual_add_f32 v96, v96, v145 :: v_dual_add_f32 v95, v95, v146
	s_delay_alu instid0(VALU_DEP_4) | instskip(SKIP_3) | instid1(VALU_DEP_3)
	v_dual_add_f32 v134, v120, v115 :: v_dual_min_f32 v115, v1, v32
	s_waitcnt lgkmcnt(1)
	v_dual_min_f32 v120, v12, v32 :: v_dual_max_f32 v5, v5, v5
	v_dual_add_f32 v94, v94, v147 :: v_dual_add_f32 v91, v91, v150
	v_add_f32_e32 v136, v60, v115
	s_delay_alu instid0(VALU_DEP_3) | instskip(SKIP_4) | instid1(VALU_DEP_4)
	v_add_f32_e32 v138, v62, v120
	v_min_f32_e32 v62, v24, v32
	v_dual_add_f32 v98, v98, v201 :: v_dual_add_f32 v95, v95, v194
	v_max_f32_e32 v23, v23, v23
	v_dual_add_f32 v94, v94, v203 :: v_dual_add_f32 v91, v91, v196
	v_dual_add_f32 v103, v103, v62 :: v_dual_min_f32 v62, v133, v5
	v_min_f32_e32 v116, v9, v33
	v_dual_add_f32 v65, v65, v190 :: v_dual_add_f32 v64, v64, v181
	v_dual_add_f32 v96, v96, v202 :: v_dual_add_f32 v97, v97, v193
	s_delay_alu instid0(VALU_DEP_4) | instskip(NEXT) | instid1(VALU_DEP_4)
	v_add_f32_e32 v95, v95, v62
	v_dual_add_f32 v135, v119, v116 :: v_dual_min_f32 v116, v13, v33
	v_max_f32_e32 v6, v6, v6
	v_dual_add_f32 v90, v90, v151 :: v_dual_add_f32 v89, v89, v153
	v_dual_add_f32 v86, v86, v155 :: v_dual_add_f32 v85, v85, v156
	s_delay_alu instid0(VALU_DEP_4) | instskip(SKIP_4) | instid1(VALU_DEP_3)
	v_add_f32_e32 v139, v63, v116
	v_add_f32_e32 v112, v112, v132
	v_dual_min_f32 v132, v28, v32 :: v_dual_min_f32 v63, v25, v33
	v_dual_add_f32 v82, v82, v157 :: v_dual_add_f32 v81, v81, v159
	v_dual_add_f32 v92, v92, v204 :: v_dual_add_f32 v93, v93, v195
	v_add_f32_e32 v132, v118, v132
	s_delay_alu instid0(VALU_DEP_4) | instskip(SKIP_4) | instid1(VALU_DEP_3)
	v_add_f32_e32 v104, v104, v63
	v_min_f32_e32 v63, v12, v5
	v_min_f32_e32 v118, v2, v33
	v_dual_add_f32 v90, v90, v205 :: v_dual_add_f32 v89, v89, v206
	v_dual_add_f32 v85, v85, v199 :: v_dual_add_f32 v82, v82, v208
	v_add_f32_e32 v137, v61, v118
	v_dual_min_f32 v61, v17, v33 :: v_dual_min_f32 v62, v2, v6
	v_add_f32_e32 v91, v91, v63
	s_waitcnt lgkmcnt(0)
	v_dual_min_f32 v63, v25, v6 :: v_dual_max_f32 v44, v44, v44
	s_delay_alu instid0(VALU_DEP_3) | instskip(SKIP_4) | instid1(VALU_DEP_4)
	v_add_f32_e32 v141, v65, v61
	v_min_f32_e32 v61, v37, v33
	v_dual_min_f32 v33, v41, v33 :: v_dual_min_f32 v60, v16, v32
	v_add_f32_e32 v87, v87, v198
	v_add_f32_e32 v92, v92, v62
	;; [unrolled: 1-line block ×3, first 2 shown]
	v_min_f32_e32 v61, v29, v6
	v_add_f32_e32 v33, v98, v33
	v_dual_min_f32 v62, v24, v5 :: v_dual_max_f32 v31, v31, v31
	v_dual_add_f32 v80, v80, v160 :: v_dual_add_f32 v79, v79, v162
	s_delay_alu instid0(VALU_DEP_4) | instskip(SKIP_3) | instid1(VALU_DEP_3)
	v_add_f32_e32 v96, v96, v61
	v_dual_min_f32 v61, v1, v5 :: v_dual_add_f32 v140, v64, v60
	v_min_f32_e32 v60, v36, v32
	v_dual_min_f32 v32, v40, v32 :: v_dual_add_f32 v87, v87, v62
	v_add_f32_e32 v93, v93, v61
	s_delay_alu instid0(VALU_DEP_3) | instskip(SKIP_1) | instid1(VALU_DEP_4)
	v_dual_min_f32 v61, v16, v5 :: v_dual_add_f32 v102, v102, v60
	v_dual_min_f32 v60, v28, v5 :: v_dual_min_f32 v1, v1, v44
	v_add_f32_e32 v32, v122, v32
	s_delay_alu instid0(VALU_DEP_3) | instskip(NEXT) | instid1(VALU_DEP_3)
	v_dual_add_f32 v88, v88, v61 :: v_dual_max_f32 v11, v11, v11
	v_add_f32_e32 v97, v97, v60
	v_dual_min_f32 v60, v9, v6 :: v_dual_min_f32 v61, v36, v5
	v_min_f32_e32 v5, v40, v5
	v_max_f32_e32 v45, v45, v45
	v_dual_add_f32 v80, v80, v213 :: v_dual_add_f32 v79, v79, v214
	s_delay_alu instid0(VALU_DEP_4) | instskip(NEXT) | instid1(VALU_DEP_4)
	v_add_f32_e32 v94, v94, v60
	v_dual_min_f32 v60, v13, v6 :: v_dual_add_f32 v5, v82, v5
	s_delay_alu instid0(VALU_DEP_4) | instskip(SKIP_1) | instid1(VALU_DEP_3)
	v_min_f32_e32 v29, v29, v45
	v_dual_min_f32 v13, v13, v45 :: v_dual_min_f32 v28, v28, v44
	v_dual_add_f32 v1, v77, v1 :: v_dual_add_f32 v90, v90, v60
	v_min_f32_e32 v9, v9, v45
	s_delay_alu instid0(VALU_DEP_4) | instskip(SKIP_2) | instid1(VALU_DEP_3)
	v_dual_min_f32 v60, v17, v6 :: v_dual_add_f32 v29, v80, v29
	v_dual_min_f32 v12, v12, v44 :: v_dual_min_f32 v25, v25, v45
	v_min_f32_e32 v16, v16, v44
	v_add_f32_e32 v89, v89, v60
	v_dual_min_f32 v60, v37, v6 :: v_dual_add_f32 v13, v74, v13
	v_dual_min_f32 v24, v24, v44 :: v_dual_max_f32 v19, v19, v19
	v_dual_min_f32 v40, v40, v44 :: v_dual_max_f32 v27, v27, v27
	s_delay_alu instid0(VALU_DEP_3)
	v_dual_add_f32 v143, v123, v60 :: v_dual_max_f32 v22, v22, v22
	v_max_f32_e32 v30, v30, v30
	v_min_f32_e32 v60, v133, v44
	v_dual_max_f32 v10, v10, v10 :: v_dual_max_f32 v39, v39, v39
	v_max_f32_e32 v14, v14, v14
	v_min_f32_e32 v36, v36, v44
	v_min_f32_e32 v44, v31, v23
	v_dual_min_f32 v2, v2, v45 :: v_dual_max_f32 v3, v3, v3
	v_max_f32_e32 v18, v18, v18
	v_add_f32_e32 v40, v125, v40
	s_delay_alu instid0(VALU_DEP_4) | instskip(SKIP_3) | instid1(VALU_DEP_3)
	v_add_f32_e32 v125, v66, v44
	v_dual_min_f32 v44, v10, v22 :: v_dual_max_f32 v43, v43, v43
	v_dual_add_f32 v86, v86, v207 :: v_dual_add_f32 v83, v83, v212
	v_dual_min_f32 v6, v41, v6 :: v_dual_add_f32 v25, v70, v25
	v_add_f32_e32 v123, v99, v44
	v_dual_min_f32 v44, v3, v22 :: v_dual_add_f32 v81, v81, v209
	v_add_f32_e32 v78, v78, v210
	s_delay_alu instid0(VALU_DEP_4) | instskip(SKIP_4) | instid1(VALU_DEP_4)
	v_dual_add_f32 v6, v83, v6 :: v_dual_min_f32 v17, v17, v45
	v_dual_add_f32 v12, v75, v12 :: v_dual_min_f32 v41, v41, v45
	v_dual_min_f32 v37, v37, v45 :: v_dual_max_f32 v4, v4, v4
	v_add_f32_e32 v121, v105, v44
	v_dual_min_f32 v45, v30, v22 :: v_dual_add_f32 v28, v81, v28
	v_dual_add_f32 v41, v124, v41 :: v_dual_add_f32 v24, v71, v24
	v_dual_add_f32 v78, v78, v60 :: v_dual_add_f32 v17, v73, v17
	s_delay_alu instid0(VALU_DEP_3) | instskip(SKIP_3) | instid1(VALU_DEP_4)
	v_dual_add_f32 v124, v67, v45 :: v_dual_min_f32 v45, v4, v23
	v_dual_add_f32 v16, v72, v16 :: v_dual_max_f32 v15, v15, v15
	v_min_f32_e32 v60, v11, v23
	v_dual_max_f32 v34, v34, v34 :: v_dual_max_f32 v7, v7, v7
	v_dual_add_f32 v120, v101, v45 :: v_dual_min_f32 v45, v14, v22
	v_add_f32_e32 v36, v68, v36
	s_delay_alu instid0(VALU_DEP_4) | instskip(SKIP_4) | instid1(VALU_DEP_4)
	v_dual_add_f32 v122, v84, v60 :: v_dual_max_f32 v35, v35, v35
	v_min_f32_e32 v60, v15, v23
	v_min_f32_e32 v44, v19, v23
	v_add_f32_e32 v119, v107, v45
	v_min_f32_e32 v45, v18, v22
	v_dual_add_f32 v85, v85, v61 :: v_dual_add_f32 v118, v106, v60
	s_delay_alu instid0(VALU_DEP_4) | instskip(NEXT) | instid1(VALU_DEP_3)
	v_add_f32_e32 v60, v108, v44
	v_dual_min_f32 v44, v27, v23 :: v_dual_add_f32 v61, v109, v45
	v_min_f32_e32 v45, v39, v23
	v_min_f32_e32 v23, v43, v23
	v_dual_add_f32 v86, v86, v63 :: v_dual_add_f32 v9, v79, v9
	v_max_f32_e32 v8, v8, v8
	s_delay_alu instid0(VALU_DEP_3) | instskip(SKIP_4) | instid1(VALU_DEP_3)
	v_dual_add_f32 v64, v112, v45 :: v_dual_add_f32 v115, v21, v23
	v_dual_min_f32 v21, v11, v35 :: v_dual_max_f32 v26, v26, v26
	v_dual_min_f32 v23, v15, v35 :: v_dual_max_f32 v38, v38, v38
	v_min_f32_e32 v45, v30, v34
	v_dual_add_f32 v2, v76, v2 :: v_dual_add_f32 v37, v69, v37
	v_dual_min_f32 v62, v26, v22 :: v_dual_add_f32 v107, v139, v23
	v_add_co_u32 v52, s2, v52, 32
	s_delay_alu instid0(VALU_DEP_1) | instskip(NEXT) | instid1(VALU_DEP_3)
	v_add_co_ci_u32_e64 v53, s2, 0, v53, s2
	v_add_f32_e32 v62, v111, v62
	v_add_f32_e32 v111, v135, v21
	v_min_f32_e32 v21, v4, v35
	v_min_f32_e32 v23, v26, v34
	v_add_f32_e32 v63, v110, v44
	v_min_f32_e32 v44, v38, v22
	v_max_f32_e32 v42, v42, v42
	v_dual_add_f32 v110, v137, v21 :: v_dual_min_f32 v21, v19, v35
	v_add_f32_e32 v103, v103, v23
	s_delay_alu instid0(VALU_DEP_3) | instskip(SKIP_1) | instid1(VALU_DEP_4)
	v_dual_add_f32 v65, v113, v44 :: v_dual_min_f32 v22, v42, v22
	v_min_f32_e32 v23, v30, v7
	v_add_f32_e32 v105, v141, v21
	v_min_f32_e32 v21, v39, v35
	v_dual_min_f32 v44, v31, v35 :: v_dual_add_f32 v113, v132, v45
	s_delay_alu instid0(VALU_DEP_4) | instskip(SKIP_1) | instid1(VALU_DEP_4)
	v_add_f32_e32 v97, v97, v23
	v_min_f32_e32 v23, v15, v8
	v_add_f32_e32 v101, v142, v21
	v_dual_min_f32 v21, v43, v35 :: v_dual_add_f32 v116, v20, v22
	v_min_f32_e32 v20, v10, v34
	v_add_f32_e32 v114, v114, v44
	s_delay_alu instid0(VALU_DEP_3) | instskip(SKIP_1) | instid1(VALU_DEP_4)
	v_dual_min_f32 v22, v3, v34 :: v_dual_add_f32 v99, v33, v21
	v_min_f32_e32 v21, v11, v8
	v_add_f32_e32 v112, v134, v20
	v_min_f32_e32 v20, v14, v34
	v_add_f32_e32 v90, v90, v23
	v_min_f32_e32 v23, v26, v7
	v_dual_add_f32 v94, v94, v21 :: v_dual_min_f32 v21, v3, v7
	s_delay_alu instid0(VALU_DEP_4) | instskip(NEXT) | instid1(VALU_DEP_3)
	v_add_f32_e32 v108, v138, v20
	v_dual_min_f32 v20, v18, v34 :: v_dual_add_f32 v87, v87, v23
	v_add_f32_e32 v109, v136, v22
	s_delay_alu instid0(VALU_DEP_4) | instskip(SKIP_1) | instid1(VALU_DEP_4)
	v_add_f32_e32 v93, v93, v21
	v_min_f32_e32 v21, v19, v8
	v_add_f32_e32 v106, v140, v20
	v_min_f32_e32 v20, v38, v34
	v_min_f32_e32 v22, v27, v35
	s_add_i32 s25, s25, 8
	v_add_f32_e32 v89, v89, v21
	v_min_f32_e32 v21, v39, v8
	v_add_f32_e32 v102, v102, v20
	v_min_f32_e32 v20, v31, v8
	s_cmp_ge_i32 s25, s12
	ds_store_b32 v126, v130
	ds_store_2addr_stride64_b32 v127, v131, v0 offset1:4
	v_dual_add_f32 v84, v143, v21 :: v_dual_max_f32 v21, v46, v46
	v_add_f32_e32 v96, v96, v20
	v_min_f32_e32 v20, v10, v7
	s_waitcnt lgkmcnt(0)
	s_barrier
	v_min_f32_e32 v3, v3, v21
	buffer_gl0_inv
	v_dual_add_f32 v95, v95, v20 :: v_dual_min_f32 v20, v14, v7
	v_dual_add_f32 v104, v104, v22 :: v_dual_add_f32 v77, v1, v3
	v_min_f32_e32 v1, v14, v21
	s_delay_alu instid0(VALU_DEP_3) | instskip(NEXT) | instid1(VALU_DEP_2)
	v_add_f32_e32 v91, v91, v20
	v_dual_min_f32 v20, v27, v8 :: v_dual_add_f32 v75, v12, v1
	v_min_f32_e32 v1, v26, v21
	s_delay_alu instid0(VALU_DEP_2) | instskip(SKIP_1) | instid1(VALU_DEP_3)
	v_add_f32_e32 v86, v86, v20
	v_min_f32_e32 v20, v38, v7
	v_dual_min_f32 v22, v42, v34 :: v_dual_add_f32 v71, v24, v1
	s_delay_alu instid0(VALU_DEP_1) | instskip(SKIP_2) | instid1(VALU_DEP_2)
	v_dual_add_f32 v85, v85, v20 :: v_dual_add_f32 v98, v32, v22
	v_min_f32_e32 v22, v4, v8
	v_min_f32_e32 v8, v43, v8
	v_add_f32_e32 v92, v92, v22
	v_min_f32_e32 v22, v18, v7
	v_min_f32_e32 v7, v42, v7
	s_delay_alu instid0(VALU_DEP_2) | instskip(SKIP_1) | instid1(VALU_DEP_3)
	v_dual_add_f32 v83, v6, v8 :: v_dual_add_f32 v88, v88, v22
	v_max_f32_e32 v22, v47, v47
	v_dual_add_f32 v82, v5, v7 :: v_dual_min_f32 v5, v30, v21
	s_delay_alu instid0(VALU_DEP_2) | instskip(SKIP_2) | instid1(VALU_DEP_4)
	v_dual_min_f32 v7, v10, v21 :: v_dual_min_f32 v4, v4, v22
	v_min_f32_e32 v23, v31, v22
	v_min_f32_e32 v3, v19, v22
	v_dual_min_f32 v6, v11, v22 :: v_dual_add_f32 v81, v28, v5
	s_delay_alu instid0(VALU_DEP_4) | instskip(SKIP_4) | instid1(VALU_DEP_4)
	v_add_f32_e32 v76, v2, v4
	v_min_f32_e32 v2, v15, v22
	v_min_f32_e32 v4, v18, v21
	v_dual_add_f32 v80, v29, v23 :: v_dual_min_f32 v5, v42, v21
	v_add_f32_e32 v73, v17, v3
	v_add_f32_e32 v74, v13, v2
	v_min_f32_e32 v2, v27, v22
	v_dual_add_f32 v72, v16, v4 :: v_dual_min_f32 v3, v38, v21
	v_min_f32_e32 v4, v43, v22
	v_add_f32_e32 v79, v9, v6
	s_delay_alu instid0(VALU_DEP_4) | instskip(SKIP_3) | instid1(VALU_DEP_3)
	v_add_f32_e32 v70, v25, v2
	v_min_f32_e32 v2, v39, v22
	v_add_f32_e32 v78, v78, v7
	v_dual_add_f32 v68, v36, v3 :: v_dual_add_f32 v67, v41, v4
	v_dual_add_f32 v66, v40, v5 :: v_dual_add_f32 v69, v37, v2
	s_cbranch_scc1 .LBB38_36
.LBB38_24:                              ; =>This Inner Loop Header: Depth=1
	v_dual_mov_b32 v131, 0 :: v_dual_add_nc_u32 v130, s25, v56
	s_delay_alu instid0(VALU_DEP_1) | instskip(NEXT) | instid1(VALU_DEP_1)
	v_add_nc_u32_e32 v0, 8, v130
	v_cmp_gt_i32_e64 s2, s18, v0
	s_delay_alu instid0(VALU_DEP_1) | instskip(NEXT) | instid1(SALU_CYCLE_1)
	s_and_b32 s2, s2, vcc_lo
	s_and_b32 s2, s21, s2
	s_delay_alu instid0(SALU_CYCLE_1)
	s_and_saveexec_b32 s3, s2
	s_cbranch_execz .LBB38_26
; %bb.25:                               ;   in Loop: Header=BB38_24 Depth=1
	v_add_co_u32 v1, s2, -16, v52
	s_delay_alu instid0(VALU_DEP_1)
	v_add_co_ci_u32_e64 v2, s2, -1, v53, s2
	flat_load_b32 v1, v[1:2]
	s_waitcnt vmcnt(0) lgkmcnt(0)
	v_mul_f32_e32 v131, s19, v1
.LBB38_26:                              ;   in Loop: Header=BB38_24 Depth=1
	s_or_b32 exec_lo, exec_lo, s3
	v_min_i32_e32 v1, s22, v0
	v_cmp_le_i32_e64 s2, s18, v0
	v_dual_mov_b32 v132, 0 :: v_dual_mov_b32 v133, 0
	s_delay_alu instid0(VALU_DEP_3) | instskip(NEXT) | instid1(VALU_DEP_1)
	v_ashrrev_i32_e32 v2, 31, v1
	v_lshlrev_b64 v[1:2], 2, v[1:2]
	s_delay_alu instid0(VALU_DEP_1) | instskip(NEXT) | instid1(VALU_DEP_1)
	v_add_co_u32 v0, s3, s8, v1
	v_add_co_ci_u32_e64 v1, s3, s9, v2, s3
	s_or_b32 s3, s23, s2
	s_delay_alu instid0(SALU_CYCLE_1) | instskip(NEXT) | instid1(SALU_CYCLE_1)
	s_xor_b32 s3, s3, -1
	s_and_saveexec_b32 s13, s3
	s_cbranch_execz .LBB38_28
; %bb.27:                               ;   in Loop: Header=BB38_24 Depth=1
	v_add_co_u32 v2, s3, v0, v48
	s_delay_alu instid0(VALU_DEP_1)
	v_add_co_ci_u32_e64 v3, s3, v1, v49, s3
	flat_load_b32 v2, v[2:3]
	s_waitcnt vmcnt(0) lgkmcnt(0)
	v_mul_f32_e32 v133, s19, v2
.LBB38_28:                              ;   in Loop: Header=BB38_24 Depth=1
	s_or_b32 exec_lo, exec_lo, s13
	s_or_b32 s2, s24, s2
	s_delay_alu instid0(SALU_CYCLE_1) | instskip(NEXT) | instid1(SALU_CYCLE_1)
	s_xor_b32 s2, s2, -1
	s_and_saveexec_b32 s3, s2
	s_cbranch_execz .LBB38_30
; %bb.29:                               ;   in Loop: Header=BB38_24 Depth=1
	v_add_co_u32 v0, s2, v0, v50
	s_delay_alu instid0(VALU_DEP_1)
	v_add_co_ci_u32_e64 v1, s2, v1, v51, s2
	flat_load_b32 v0, v[0:1]
	s_waitcnt vmcnt(0) lgkmcnt(0)
	v_mul_f32_e32 v132, s19, v0
.LBB38_30:                              ;   in Loop: Header=BB38_24 Depth=1
	s_or_b32 exec_lo, exec_lo, s3
	ds_load_b128 v[40:43], v128
	ds_load_b128 v[36:39], v128 offset:128
	ds_load_b128 v[32:35], v128 offset:256
	;; [unrolled: 1-line block ×7, first 2 shown]
	ds_load_b128 v[44:47], v129
	ds_load_b128 v[8:11], v129 offset:512
	ds_load_b128 v[4:7], v129 offset:1024
	;; [unrolled: 1-line block ×3, first 2 shown]
	v_add_nc_u32_e32 v134, 12, v130
	ds_store_b32 v100, v131
	v_dual_mov_b32 v131, 0 :: v_dual_mov_b32 v130, 0
	ds_store_2addr_stride64_b32 v59, v133, v132 offset1:4
	v_cmp_gt_i32_e64 s2, s18, v134
	s_waitcnt lgkmcnt(0)
	s_barrier
	buffer_gl0_inv
	s_and_b32 s2, s2, vcc_lo
	s_delay_alu instid0(SALU_CYCLE_1) | instskip(NEXT) | instid1(SALU_CYCLE_1)
	s_and_b32 s3, s21, s2
	s_and_saveexec_b32 s2, s3
	s_cbranch_execz .LBB38_32
; %bb.31:                               ;   in Loop: Header=BB38_24 Depth=1
	flat_load_b32 v130, v[52:53]
	s_waitcnt vmcnt(0) lgkmcnt(0)
	v_mul_f32_e32 v130, s19, v130
.LBB38_32:                              ;   in Loop: Header=BB38_24 Depth=1
	s_or_b32 exec_lo, exec_lo, s2
	v_min_i32_e32 v132, s22, v134
	v_cmp_le_i32_e64 s2, s18, v134
	s_delay_alu instid0(VALU_DEP_2) | instskip(NEXT) | instid1(VALU_DEP_1)
	v_ashrrev_i32_e32 v133, 31, v132
	v_lshlrev_b64 v[132:133], 2, v[132:133]
	s_delay_alu instid0(VALU_DEP_1) | instskip(NEXT) | instid1(VALU_DEP_1)
	v_add_co_u32 v132, s3, s8, v132
	v_add_co_ci_u32_e64 v133, s3, s9, v133, s3
	s_or_b32 s3, s23, s2
	s_delay_alu instid0(SALU_CYCLE_1) | instskip(NEXT) | instid1(SALU_CYCLE_1)
	s_xor_b32 s3, s3, -1
	s_and_saveexec_b32 s13, s3
	s_cbranch_execz .LBB38_34
; %bb.33:                               ;   in Loop: Header=BB38_24 Depth=1
	v_add_co_u32 v134, s3, v132, v48
	s_delay_alu instid0(VALU_DEP_1)
	v_add_co_ci_u32_e64 v135, s3, v133, v49, s3
	flat_load_b32 v131, v[134:135]
	s_waitcnt vmcnt(0) lgkmcnt(0)
	v_mul_f32_e32 v131, s19, v131
.LBB38_34:                              ;   in Loop: Header=BB38_24 Depth=1
	s_or_b32 exec_lo, exec_lo, s13
	v_dual_max_f32 v44, v44, v44 :: v_dual_max_f32 v45, v45, v45
	v_dual_max_f32 v169, v20, v20 :: v_dual_max_f32 v170, v21, v21
	v_max_f32_e32 v171, v16, v16
	v_dual_max_f32 v159, v40, v40 :: v_dual_max_f32 v160, v41, v41
	v_dual_max_f32 v161, v36, v36 :: v_dual_max_f32 v162, v37, v37
	;; [unrolled: 1-line block ×5, first 2 shown]
	v_dual_min_f32 v24, v170, v45 :: v_dual_min_f32 v25, v171, v44
	v_dual_max_f32 v172, v17, v17 :: v_dual_max_f32 v173, v12, v12
	v_dual_max_f32 v174, v13, v13 :: v_dual_max_f32 v143, v8, v8
	;; [unrolled: 1-line block ×3, first 2 shown]
	v_max_f32_e32 v158, v5, v5
	v_dual_max_f32 v0, v0, v0 :: v_dual_max_f32 v175, v1, v1
	v_dual_max_f32 v176, v46, v46 :: v_dual_max_f32 v177, v47, v47
	;; [unrolled: 1-line block ×3, first 2 shown]
	v_dual_min_f32 v36, v159, v44 :: v_dual_min_f32 v37, v166, v45
	v_dual_min_f32 v40, v160, v45 :: v_dual_min_f32 v41, v161, v44
	;; [unrolled: 1-line block ×30, first 2 shown]
	v_dual_max_f32 v209, v42, v42 :: v_dual_max_f32 v210, v43, v43
	v_dual_max_f32 v214, v38, v38 :: v_dual_min_f32 v43, v173, v0
	v_dual_max_f32 v0, v39, v39 :: v_dual_max_f32 v173, v34, v34
	v_dual_min_f32 v31, v216, v176 :: v_dual_max_f32 v218, v26, v26
	v_dual_min_f32 v39, v217, v177 :: v_dual_max_f32 v220, v22, v22
	s_delay_alu instid0(VALU_DEP_4) | instskip(NEXT) | instid1(VALU_DEP_4)
	v_dual_min_f32 v42, v214, v176 :: v_dual_max_f32 v215, v35, v35
	v_dual_min_f32 v34, v0, v177 :: v_dual_max_f32 v219, v27, v27
	;; [unrolled: 1-line block ×3, first 2 shown]
	v_max_f32_e32 v222, v18, v18
	v_dual_min_f32 v18, v218, v176 :: v_dual_max_f32 v19, v19, v19
	v_dual_min_f32 v22, v220, v176 :: v_dual_max_f32 v223, v14, v14
	v_dual_max_f32 v10, v10, v10 :: v_dual_max_f32 v11, v11, v11
	v_max_f32_e32 v224, v15, v15
	v_dual_min_f32 v46, v174, v175 :: v_dual_min_f32 v35, v215, v177
	v_dual_min_f32 v38, v209, v176 :: v_dual_min_f32 v47, v210, v177
	v_min_f32_e32 v175, v221, v177
	v_dual_min_f32 v174, v219, v177 :: v_dual_min_f32 v23, v222, v176
	v_dual_min_f32 v184, v19, v177 :: v_dual_min_f32 v187, v0, v11
	;; [unrolled: 1-line block ×3, first 2 shown]
	v_min_f32_e32 v177, v209, v10
	v_dual_min_f32 v182, v220, v10 :: v_dual_max_f32 v7, v7, v7
	v_dual_max_f32 v6, v6, v6 :: v_dual_min_f32 v201, v224, v11
	v_dual_max_f32 v225, v2, v2 :: v_dual_max_f32 v226, v3, v3
	v_dual_min_f32 v186, v210, v11 :: v_dual_min_f32 v179, v173, v10
	v_dual_min_f32 v178, v214, v10 :: v_dual_min_f32 v189, v217, v11
	;; [unrolled: 1-line block ×22, first 2 shown]
	v_mov_b32_e32 v0, 0
	s_or_b32 s2, s24, s2
	s_delay_alu instid0(SALU_CYCLE_1) | instskip(NEXT) | instid1(SALU_CYCLE_1)
	s_xor_b32 s2, s2, -1
	s_and_saveexec_b32 s3, s2
	s_cbranch_execz .LBB38_23
; %bb.35:                               ;   in Loop: Header=BB38_24 Depth=1
	v_add_co_u32 v132, s2, v132, v50
	s_delay_alu instid0(VALU_DEP_1)
	v_add_co_ci_u32_e64 v133, s2, v133, v51, s2
	flat_load_b32 v0, v[132:133]
	s_waitcnt vmcnt(0) lgkmcnt(0)
	v_mul_f32_e32 v0, s19, v0
	s_branch .LBB38_23
.LBB38_36:
	s_clause 0x2
	s_load_b32 s12, s[0:1], 0x50
	s_load_b32 s9, s[0:1], 0x68
	s_load_b64 s[0:1], s[0:1], 0x70
	v_add_nc_u32_e32 v117, s7, v55
	ds_load_b128 v[32:35], v58 offset:5120
	ds_load_b128 v[28:31], v58 offset:5248
	;; [unrolled: 1-line block ×12, first 2 shown]
	v_add_nc_u32_e32 v48, s6, v54
	v_cmp_gt_i32_e64 s8, s17, v117
	v_cndmask_b32_e64 v100, 0, 1, s20
	s_waitcnt lgkmcnt(0)
	v_mad_i64_i32 v[49:50], null, v117, s12, 0
	v_mad_i64_i32 v[51:52], null, v117, s9, 0
	s_lshl_b64 s[0:1], s[0:1], 2
	s_delay_alu instid0(SALU_CYCLE_1) | instskip(SKIP_1) | instid1(VALU_DEP_2)
	s_add_u32 s13, s4, s0
	s_addc_u32 s14, s5, s1
	v_lshlrev_b64 v[49:50], 2, v[49:50]
	v_cmp_gt_i32_e64 s0, s16, v48
	s_delay_alu instid0(VALU_DEP_3) | instskip(NEXT) | instid1(VALU_DEP_2)
	v_lshlrev_b64 v[51:52], 2, v[51:52]
	s_and_b32 s2, s0, s8
	s_delay_alu instid0(VALU_DEP_3) | instskip(NEXT) | instid1(VALU_DEP_4)
	v_add_co_u32 v128, vcc_lo, s10, v49
	v_add_co_ci_u32_e32 v129, vcc_lo, s11, v50, vcc_lo
	s_delay_alu instid0(VALU_DEP_3) | instskip(NEXT) | instid1(VALU_DEP_4)
	v_add_co_u32 v126, vcc_lo, s13, v51
	v_add_co_ci_u32_e32 v127, vcc_lo, s14, v52, vcc_lo
	v_ashrrev_i32_e32 v49, 31, v48
	s_and_saveexec_b32 s1, s2
	s_cbranch_execz .LBB38_41
; %bb.37:
	s_delay_alu instid0(VALU_DEP_1)
	v_lshlrev_b64 v[50:51], 2, v[48:49]
	s_and_not1_b32 vcc_lo, exec_lo, s20
	s_cbranch_vccnz .LBB38_39
; %bb.38:
	s_delay_alu instid0(VALU_DEP_1) | instskip(NEXT) | instid1(VALU_DEP_2)
	v_add_co_u32 v52, vcc_lo, v128, v50
	v_add_co_ci_u32_e32 v53, vcc_lo, v129, v51, vcc_lo
	flat_load_b32 v52, v[52:53]
	s_waitcnt vmcnt(0) lgkmcnt(0)
	v_mul_f32_e32 v52, s15, v52
	s_branch .LBB38_40
.LBB38_39:
	v_mov_b32_e32 v52, 0
.LBB38_40:
	v_dual_max_f32 v53, v45, v45 :: v_dual_max_f32 v56, v32, v32
	v_dual_max_f32 v54, v33, v33 :: v_dual_max_f32 v55, v44, v44
	;; [unrolled: 1-line block ×3, first 2 shown]
	v_max_f32_e32 v59, v35, v35
	s_delay_alu instid0(VALU_DEP_3) | instskip(NEXT) | instid1(VALU_DEP_4)
	v_min_f32_e32 v53, v54, v53
	v_dual_max_f32 v54, v34, v34 :: v_dual_min_f32 v55, v56, v55
	v_add_co_u32 v50, vcc_lo, v126, v50
	v_add_co_ci_u32_e32 v51, vcc_lo, v127, v51, vcc_lo
	s_delay_alu instid0(VALU_DEP_3) | instskip(NEXT) | instid1(VALU_DEP_4)
	v_min_f32_e32 v54, v54, v57
	v_dual_min_f32 v56, v59, v58 :: v_dual_add_f32 v55, v124, v55
	s_delay_alu instid0(VALU_DEP_1) | instskip(NEXT) | instid1(VALU_DEP_1)
	v_dual_add_f32 v53, v125, v53 :: v_dual_add_f32 v54, v55, v54
	v_add_f32_e32 v53, v53, v56
	s_delay_alu instid0(VALU_DEP_1) | instskip(NEXT) | instid1(VALU_DEP_1)
	v_add_f32_e32 v53, v54, v53
	v_add_f32_e32 v52, v53, v52
	global_store_b32 v[50:51], v52, off
.LBB38_41:
	s_or_b32 exec_lo, exec_lo, s1
	v_add_nc_u32_e32 v50, 8, v48
	s_delay_alu instid0(VALU_DEP_1) | instskip(SKIP_1) | instid1(VALU_DEP_2)
	v_cmp_gt_i32_e64 s1, s16, v50
	v_ashrrev_i32_e32 v51, 31, v50
	s_and_b32 s3, s1, s8
	s_delay_alu instid0(SALU_CYCLE_1)
	s_and_saveexec_b32 s2, s3
	s_cbranch_execz .LBB38_46
; %bb.42:
	v_cmp_ne_u32_e32 vcc_lo, 1, v100
	v_lshlrev_b64 v[52:53], 2, v[50:51]
	s_cbranch_vccnz .LBB38_44
; %bb.43:
	s_delay_alu instid0(VALU_DEP_1) | instskip(NEXT) | instid1(VALU_DEP_2)
	v_add_co_u32 v54, vcc_lo, v128, v52
	v_add_co_ci_u32_e32 v55, vcc_lo, v129, v53, vcc_lo
	flat_load_b32 v54, v[54:55]
	s_waitcnt vmcnt(0) lgkmcnt(0)
	v_mul_f32_e32 v54, s15, v54
	s_branch .LBB38_45
.LBB38_44:
	v_mov_b32_e32 v54, 0
.LBB38_45:
	v_dual_max_f32 v55, v45, v45 :: v_dual_max_f32 v58, v28, v28
	v_dual_max_f32 v56, v29, v29 :: v_dual_max_f32 v57, v44, v44
	;; [unrolled: 1-line block ×3, first 2 shown]
	v_add_co_u32 v52, vcc_lo, v126, v52
	s_delay_alu instid0(VALU_DEP_3) | instskip(NEXT) | instid1(VALU_DEP_4)
	v_dual_min_f32 v55, v56, v55 :: v_dual_max_f32 v56, v30, v30
	v_min_f32_e32 v57, v58, v57
	v_add_co_ci_u32_e32 v53, vcc_lo, v127, v53, vcc_lo
	s_delay_alu instid0(VALU_DEP_2) | instskip(NEXT) | instid1(VALU_DEP_1)
	v_dual_min_f32 v56, v56, v59 :: v_dual_add_f32 v57, v123, v57
	v_dual_max_f32 v125, v31, v31 :: v_dual_add_f32 v56, v57, v56
	s_delay_alu instid0(VALU_DEP_1) | instskip(NEXT) | instid1(VALU_DEP_1)
	v_dual_add_f32 v55, v122, v55 :: v_dual_min_f32 v58, v125, v124
	v_add_f32_e32 v55, v55, v58
	s_delay_alu instid0(VALU_DEP_1) | instskip(NEXT) | instid1(VALU_DEP_1)
	v_add_f32_e32 v55, v56, v55
	v_add_f32_e32 v54, v55, v54
	global_store_b32 v[52:53], v54, off
.LBB38_46:
	s_or_b32 exec_lo, exec_lo, s2
	v_add_nc_u32_e32 v52, 16, v48
	s_delay_alu instid0(VALU_DEP_1) | instskip(SKIP_1) | instid1(VALU_DEP_2)
	v_cmp_gt_i32_e64 s2, s16, v52
	v_ashrrev_i32_e32 v53, 31, v52
	s_and_b32 s4, s2, s8
	s_delay_alu instid0(SALU_CYCLE_1)
	s_and_saveexec_b32 s3, s4
	s_cbranch_execz .LBB38_51
; %bb.47:
	v_cmp_ne_u32_e32 vcc_lo, 1, v100
	v_lshlrev_b64 v[54:55], 2, v[52:53]
	s_cbranch_vccnz .LBB38_49
; %bb.48:
	s_delay_alu instid0(VALU_DEP_1) | instskip(NEXT) | instid1(VALU_DEP_2)
	v_add_co_u32 v56, vcc_lo, v128, v54
	v_add_co_ci_u32_e32 v57, vcc_lo, v129, v55, vcc_lo
	flat_load_b32 v56, v[56:57]
	s_waitcnt vmcnt(0) lgkmcnt(0)
	v_mul_f32_e32 v56, s15, v56
	s_branch .LBB38_50
.LBB38_49:
	v_mov_b32_e32 v56, 0
.LBB38_50:
	v_dual_max_f32 v57, v45, v45 :: v_dual_max_f32 v122, v24, v24
	v_dual_max_f32 v58, v25, v25 :: v_dual_max_f32 v59, v44, v44
	;; [unrolled: 1-line block ×3, first 2 shown]
	v_max_f32_e32 v125, v27, v27
	s_delay_alu instid0(VALU_DEP_3) | instskip(SKIP_3) | instid1(VALU_DEP_4)
	v_min_f32_e32 v57, v58, v57
	v_max_f32_e32 v58, v26, v26
	v_min_f32_e32 v59, v122, v59
	v_add_co_u32 v54, vcc_lo, v126, v54
	v_dual_add_f32 v57, v120, v57 :: v_dual_min_f32 v120, v125, v124
	s_delay_alu instid0(VALU_DEP_4) | instskip(NEXT) | instid1(VALU_DEP_4)
	v_min_f32_e32 v58, v58, v123
	v_add_f32_e32 v59, v121, v59
	v_add_co_ci_u32_e32 v55, vcc_lo, v127, v55, vcc_lo
	s_delay_alu instid0(VALU_DEP_2) | instskip(NEXT) | instid1(VALU_DEP_1)
	v_dual_add_f32 v57, v57, v120 :: v_dual_add_f32 v58, v59, v58
	v_add_f32_e32 v57, v58, v57
	s_delay_alu instid0(VALU_DEP_1)
	v_add_f32_e32 v56, v57, v56
	global_store_b32 v[54:55], v56, off
.LBB38_51:
	s_or_b32 exec_lo, exec_lo, s3
	v_add_nc_u32_e32 v54, 24, v48
	s_delay_alu instid0(VALU_DEP_1) | instskip(SKIP_1) | instid1(VALU_DEP_2)
	v_cmp_gt_i32_e64 s3, s16, v54
	v_ashrrev_i32_e32 v55, 31, v54
	s_and_b32 s5, s3, s8
	s_delay_alu instid0(SALU_CYCLE_1)
	s_and_saveexec_b32 s4, s5
	s_cbranch_execz .LBB38_56
; %bb.52:
	v_cmp_ne_u32_e32 vcc_lo, 1, v100
	v_lshlrev_b64 v[56:57], 2, v[54:55]
	s_cbranch_vccnz .LBB38_54
; %bb.53:
	s_delay_alu instid0(VALU_DEP_1) | instskip(NEXT) | instid1(VALU_DEP_2)
	v_add_co_u32 v58, vcc_lo, v128, v56
	v_add_co_ci_u32_e32 v59, vcc_lo, v129, v57, vcc_lo
	flat_load_b32 v58, v[58:59]
	s_waitcnt vmcnt(0) lgkmcnt(0)
	v_mul_f32_e32 v58, s15, v58
	s_branch .LBB38_55
.LBB38_54:
	v_mov_b32_e32 v58, 0
.LBB38_55:
	v_dual_max_f32 v59, v45, v45 :: v_dual_max_f32 v122, v20, v20
	v_dual_max_f32 v120, v21, v21 :: v_dual_max_f32 v121, v44, v44
	;; [unrolled: 1-line block ×3, first 2 shown]
	v_max_f32_e32 v125, v23, v23
	s_delay_alu instid0(VALU_DEP_3) | instskip(NEXT) | instid1(VALU_DEP_4)
	v_dual_min_f32 v59, v120, v59 :: v_dual_max_f32 v120, v22, v22
	v_min_f32_e32 v121, v122, v121
	v_add_co_u32 v56, vcc_lo, v126, v56
	s_delay_alu instid0(VALU_DEP_3) | instskip(NEXT) | instid1(VALU_DEP_4)
	v_add_f32_e32 v59, v118, v59
	v_min_f32_e32 v118, v120, v123
	s_delay_alu instid0(VALU_DEP_4) | instskip(SKIP_1) | instid1(VALU_DEP_2)
	v_dual_min_f32 v120, v125, v124 :: v_dual_add_f32 v119, v119, v121
	v_add_co_ci_u32_e32 v57, vcc_lo, v127, v57, vcc_lo
	v_add_f32_e32 v59, v59, v120
	s_delay_alu instid0(VALU_DEP_3) | instskip(NEXT) | instid1(VALU_DEP_1)
	v_add_f32_e32 v118, v119, v118
	v_add_f32_e32 v59, v118, v59
	s_delay_alu instid0(VALU_DEP_1)
	v_add_f32_e32 v58, v59, v58
	global_store_b32 v[56:57], v58, off
.LBB38_56:
	s_or_b32 exec_lo, exec_lo, s4
	v_add_nc_u32_e32 v56, 32, v48
	s_delay_alu instid0(VALU_DEP_1) | instskip(SKIP_1) | instid1(VALU_DEP_2)
	v_cmp_gt_i32_e64 s4, s16, v56
	v_ashrrev_i32_e32 v57, 31, v56
	s_and_b32 s6, s4, s8
	s_delay_alu instid0(SALU_CYCLE_1)
	s_and_saveexec_b32 s5, s6
	s_cbranch_execz .LBB38_61
; %bb.57:
	v_cmp_ne_u32_e32 vcc_lo, 1, v100
	v_lshlrev_b64 v[58:59], 2, v[56:57]
	s_cbranch_vccnz .LBB38_59
; %bb.58:
	s_delay_alu instid0(VALU_DEP_1) | instskip(NEXT) | instid1(VALU_DEP_2)
	v_add_co_u32 v118, vcc_lo, v128, v58
	v_add_co_ci_u32_e32 v119, vcc_lo, v129, v59, vcc_lo
	flat_load_b32 v118, v[118:119]
	s_waitcnt vmcnt(0) lgkmcnt(0)
	v_mul_f32_e32 v118, s15, v118
	s_branch .LBB38_60
.LBB38_59:
	v_mov_b32_e32 v118, 0
.LBB38_60:
	v_dual_max_f32 v119, v45, v45 :: v_dual_max_f32 v122, v16, v16
	v_dual_max_f32 v120, v17, v17 :: v_dual_max_f32 v121, v44, v44
	;; [unrolled: 1-line block ×3, first 2 shown]
	v_add_co_u32 v58, vcc_lo, v126, v58
	s_delay_alu instid0(VALU_DEP_3) | instskip(NEXT) | instid1(VALU_DEP_4)
	v_dual_min_f32 v119, v120, v119 :: v_dual_max_f32 v120, v18, v18
	v_min_f32_e32 v121, v122, v121
	v_add_co_ci_u32_e32 v59, vcc_lo, v127, v59, vcc_lo
	s_delay_alu instid0(VALU_DEP_3) | instskip(SKIP_3) | instid1(VALU_DEP_3)
	v_add_f32_e32 v60, v60, v119
	v_max_f32_e32 v125, v19, v19
	v_min_f32_e32 v119, v120, v123
	v_add_f32_e32 v61, v61, v121
	v_min_f32_e32 v120, v125, v124
	s_delay_alu instid0(VALU_DEP_1) | instskip(NEXT) | instid1(VALU_DEP_1)
	v_dual_add_f32 v61, v61, v119 :: v_dual_add_f32 v60, v60, v120
	v_add_f32_e32 v60, v61, v60
	s_delay_alu instid0(VALU_DEP_1)
	v_add_f32_e32 v60, v60, v118
	global_store_b32 v[58:59], v60, off
.LBB38_61:
	s_or_b32 exec_lo, exec_lo, s5
	v_add_nc_u32_e32 v58, 40, v48
	s_delay_alu instid0(VALU_DEP_1) | instskip(SKIP_1) | instid1(VALU_DEP_2)
	v_cmp_gt_i32_e64 s5, s16, v58
	v_ashrrev_i32_e32 v59, 31, v58
	s_and_b32 s7, s5, s8
	s_delay_alu instid0(SALU_CYCLE_1)
	s_and_saveexec_b32 s6, s7
	s_cbranch_execz .LBB38_66
; %bb.62:
	v_cmp_ne_u32_e32 vcc_lo, 1, v100
	v_lshlrev_b64 v[60:61], 2, v[58:59]
	s_cbranch_vccnz .LBB38_64
; %bb.63:
	s_delay_alu instid0(VALU_DEP_1) | instskip(NEXT) | instid1(VALU_DEP_2)
	v_add_co_u32 v118, vcc_lo, v128, v60
	v_add_co_ci_u32_e32 v119, vcc_lo, v129, v61, vcc_lo
	flat_load_b32 v118, v[118:119]
	s_waitcnt vmcnt(0) lgkmcnt(0)
	v_mul_f32_e32 v118, s15, v118
	s_branch .LBB38_65
.LBB38_64:
	v_mov_b32_e32 v118, 0
.LBB38_65:
	v_dual_max_f32 v119, v45, v45 :: v_dual_max_f32 v122, v12, v12
	v_dual_max_f32 v120, v13, v13 :: v_dual_max_f32 v121, v44, v44
	;; [unrolled: 1-line block ×3, first 2 shown]
	v_add_co_u32 v60, vcc_lo, v126, v60
	s_delay_alu instid0(VALU_DEP_3) | instskip(NEXT) | instid1(VALU_DEP_4)
	v_dual_min_f32 v119, v120, v119 :: v_dual_max_f32 v120, v14, v14
	v_min_f32_e32 v121, v122, v121
	v_max_f32_e32 v125, v15, v15
	v_add_co_ci_u32_e32 v61, vcc_lo, v127, v61, vcc_lo
	s_delay_alu instid0(VALU_DEP_4) | instskip(NEXT) | instid1(VALU_DEP_4)
	v_add_f32_e32 v63, v63, v119
	v_dual_min_f32 v119, v120, v123 :: v_dual_add_f32 v62, v62, v121
	s_delay_alu instid0(VALU_DEP_4) | instskip(NEXT) | instid1(VALU_DEP_1)
	v_min_f32_e32 v120, v125, v124
	v_dual_add_f32 v62, v62, v119 :: v_dual_add_f32 v63, v63, v120
	s_delay_alu instid0(VALU_DEP_1) | instskip(NEXT) | instid1(VALU_DEP_1)
	v_add_f32_e32 v62, v62, v63
	v_add_f32_e32 v62, v62, v118
	global_store_b32 v[60:61], v62, off
.LBB38_66:
	s_or_b32 exec_lo, exec_lo, s6
	v_add_nc_u32_e32 v60, 48, v48
	s_delay_alu instid0(VALU_DEP_1) | instskip(SKIP_1) | instid1(VALU_DEP_2)
	v_cmp_gt_i32_e64 s6, s16, v60
	v_ashrrev_i32_e32 v61, 31, v60
	s_and_b32 s18, s6, s8
	s_delay_alu instid0(SALU_CYCLE_1)
	s_and_saveexec_b32 s7, s18
	s_cbranch_execz .LBB38_71
; %bb.67:
	v_cmp_ne_u32_e32 vcc_lo, 1, v100
	v_lshlrev_b64 v[62:63], 2, v[60:61]
	s_cbranch_vccnz .LBB38_69
; %bb.68:
	s_delay_alu instid0(VALU_DEP_1) | instskip(NEXT) | instid1(VALU_DEP_2)
	v_add_co_u32 v118, vcc_lo, v128, v62
	v_add_co_ci_u32_e32 v119, vcc_lo, v129, v63, vcc_lo
	flat_load_b32 v118, v[118:119]
	s_waitcnt vmcnt(0) lgkmcnt(0)
	v_mul_f32_e32 v118, s15, v118
	s_branch .LBB38_70
.LBB38_69:
	v_mov_b32_e32 v118, 0
.LBB38_70:
	v_dual_max_f32 v119, v45, v45 :: v_dual_max_f32 v122, v8, v8
	v_dual_max_f32 v120, v9, v9 :: v_dual_max_f32 v121, v44, v44
	;; [unrolled: 1-line block ×3, first 2 shown]
	v_add_co_u32 v62, vcc_lo, v126, v62
	s_delay_alu instid0(VALU_DEP_3) | instskip(NEXT) | instid1(VALU_DEP_4)
	v_dual_min_f32 v119, v120, v119 :: v_dual_max_f32 v120, v10, v10
	v_min_f32_e32 v121, v122, v121
	v_add_co_ci_u32_e32 v63, vcc_lo, v127, v63, vcc_lo
	s_delay_alu instid0(VALU_DEP_3) | instskip(SKIP_3) | instid1(VALU_DEP_3)
	v_add_f32_e32 v64, v64, v119
	v_max_f32_e32 v125, v11, v11
	v_min_f32_e32 v119, v120, v123
	v_add_f32_e32 v65, v65, v121
	v_min_f32_e32 v120, v125, v124
	s_delay_alu instid0(VALU_DEP_1) | instskip(NEXT) | instid1(VALU_DEP_1)
	v_dual_add_f32 v65, v65, v119 :: v_dual_add_f32 v64, v64, v120
	v_add_f32_e32 v64, v65, v64
	s_delay_alu instid0(VALU_DEP_1)
	v_add_f32_e32 v64, v64, v118
	global_store_b32 v[62:63], v64, off
.LBB38_71:
	s_or_b32 exec_lo, exec_lo, s7
	v_add_nc_u32_e32 v62, 56, v48
	s_delay_alu instid0(VALU_DEP_1) | instskip(SKIP_1) | instid1(VALU_DEP_2)
	v_cmp_gt_i32_e64 s7, s16, v62
	v_ashrrev_i32_e32 v63, 31, v62
	s_and_b32 s16, s7, s8
	s_delay_alu instid0(SALU_CYCLE_1)
	s_and_saveexec_b32 s8, s16
	s_cbranch_execz .LBB38_76
; %bb.72:
	v_cmp_ne_u32_e32 vcc_lo, 1, v100
	v_lshlrev_b64 v[64:65], 2, v[62:63]
	s_cbranch_vccnz .LBB38_74
; %bb.73:
	s_delay_alu instid0(VALU_DEP_1) | instskip(NEXT) | instid1(VALU_DEP_2)
	v_add_co_u32 v118, vcc_lo, v128, v64
	v_add_co_ci_u32_e32 v119, vcc_lo, v129, v65, vcc_lo
	flat_load_b32 v118, v[118:119]
	s_waitcnt vmcnt(0) lgkmcnt(0)
	v_mul_f32_e32 v118, s15, v118
	s_branch .LBB38_75
.LBB38_74:
	v_mov_b32_e32 v118, 0
.LBB38_75:
	v_dual_max_f32 v45, v45, v45 :: v_dual_max_f32 v44, v44, v44
	v_dual_max_f32 v119, v1, v1 :: v_dual_max_f32 v120, v0, v0
	s_delay_alu instid0(VALU_DEP_1) | instskip(NEXT) | instid1(VALU_DEP_2)
	v_dual_max_f32 v46, v46, v46 :: v_dual_min_f32 v45, v119, v45
	v_dual_max_f32 v119, v2, v2 :: v_dual_min_f32 v44, v120, v44
	v_max_f32_e32 v47, v47, v47
	s_delay_alu instid0(VALU_DEP_2) | instskip(NEXT) | instid1(VALU_DEP_3)
	v_dual_add_f32 v45, v115, v45 :: v_dual_add_f32 v44, v116, v44
	v_min_f32_e32 v46, v119, v46
	s_delay_alu instid0(VALU_DEP_1) | instskip(NEXT) | instid1(VALU_DEP_1)
	v_dual_max_f32 v121, v3, v3 :: v_dual_add_f32 v44, v44, v46
	v_min_f32_e32 v47, v121, v47
	s_delay_alu instid0(VALU_DEP_1) | instskip(NEXT) | instid1(VALU_DEP_1)
	v_add_f32_e32 v45, v45, v47
	v_add_f32_e32 v44, v44, v45
	s_delay_alu instid0(VALU_DEP_1)
	v_add_f32_e32 v46, v44, v118
	v_add_co_u32 v44, vcc_lo, v126, v64
	v_add_co_ci_u32_e32 v45, vcc_lo, v127, v65, vcc_lo
	global_store_b32 v[44:45], v46, off
.LBB38_76:
	s_or_b32 exec_lo, exec_lo, s8
	v_add_nc_u32_e32 v64, 32, v117
	s_delay_alu instid0(VALU_DEP_1) | instskip(SKIP_2) | instid1(VALU_DEP_3)
	v_mad_i64_i32 v[44:45], null, v64, s12, 0
	v_mad_i64_i32 v[46:47], null, v64, s9, 0
	v_cmp_gt_i32_e64 s8, s17, v64
	v_lshlrev_b64 v[44:45], 2, v[44:45]
	s_delay_alu instid0(VALU_DEP_2) | instskip(NEXT) | instid1(VALU_DEP_3)
	s_and_b32 s18, s0, s8
	v_lshlrev_b64 v[46:47], 2, v[46:47]
	s_delay_alu instid0(VALU_DEP_2) | instskip(NEXT) | instid1(VALU_DEP_3)
	v_add_co_u32 v64, vcc_lo, s10, v44
	v_add_co_ci_u32_e32 v65, vcc_lo, s11, v45, vcc_lo
	s_delay_alu instid0(VALU_DEP_3) | instskip(NEXT) | instid1(VALU_DEP_4)
	v_add_co_u32 v46, vcc_lo, s13, v46
	v_add_co_ci_u32_e32 v47, vcc_lo, s14, v47, vcc_lo
	s_and_saveexec_b32 s16, s18
	s_cbranch_execnz .LBB38_84
; %bb.77:
	s_or_b32 exec_lo, exec_lo, s16
	s_and_b32 s18, s1, s8
	s_delay_alu instid0(SALU_CYCLE_1)
	s_and_saveexec_b32 s16, s18
	s_cbranch_execnz .LBB38_88
.LBB38_78:
	s_or_b32 exec_lo, exec_lo, s16
	s_and_b32 s18, s2, s8
	s_delay_alu instid0(SALU_CYCLE_1)
	s_and_saveexec_b32 s16, s18
	s_cbranch_execnz .LBB38_92
.LBB38_79:
	s_or_b32 exec_lo, exec_lo, s16
	s_and_b32 s18, s3, s8
	s_delay_alu instid0(SALU_CYCLE_1)
	s_and_saveexec_b32 s16, s18
	s_cbranch_execnz .LBB38_96
.LBB38_80:
	s_or_b32 exec_lo, exec_lo, s16
	s_and_b32 s18, s4, s8
	s_delay_alu instid0(SALU_CYCLE_1)
	s_and_saveexec_b32 s16, s18
	s_cbranch_execnz .LBB38_100
.LBB38_81:
	s_or_b32 exec_lo, exec_lo, s16
	s_and_b32 s18, s5, s8
	s_delay_alu instid0(SALU_CYCLE_1)
	s_and_saveexec_b32 s16, s18
	s_cbranch_execnz .LBB38_104
.LBB38_82:
	s_or_b32 exec_lo, exec_lo, s16
	s_and_b32 s18, s6, s8
	s_delay_alu instid0(SALU_CYCLE_1)
	s_and_saveexec_b32 s16, s18
	s_cbranch_execnz .LBB38_108
.LBB38_83:
	s_or_b32 exec_lo, exec_lo, s16
	s_and_b32 s16, s7, s8
	s_delay_alu instid0(SALU_CYCLE_1)
	s_and_saveexec_b32 s8, s16
	s_cbranch_execnz .LBB38_112
	s_branch .LBB38_116
.LBB38_84:
	v_cmp_ne_u32_e32 vcc_lo, 1, v100
	v_lshlrev_b64 v[44:45], 2, v[48:49]
	s_cbranch_vccnz .LBB38_86
; %bb.85:
	s_delay_alu instid0(VALU_DEP_1) | instskip(NEXT) | instid1(VALU_DEP_2)
	v_add_co_u32 v115, vcc_lo, v64, v44
	v_add_co_ci_u32_e32 v116, vcc_lo, v65, v45, vcc_lo
	flat_load_b32 v115, v[115:116]
	s_waitcnt vmcnt(0) lgkmcnt(0)
	v_mul_f32_e32 v115, s15, v115
	s_branch .LBB38_87
.LBB38_86:
	v_mov_b32_e32 v115, 0
.LBB38_87:
	v_dual_max_f32 v116, v41, v41 :: v_dual_max_f32 v119, v40, v40
	v_dual_max_f32 v118, v33, v33 :: v_dual_max_f32 v121, v42, v42
	;; [unrolled: 1-line block ×3, first 2 shown]
	v_add_co_u32 v44, vcc_lo, v46, v44
	s_delay_alu instid0(VALU_DEP_2) | instskip(SKIP_2) | instid1(VALU_DEP_3)
	v_dual_min_f32 v116, v118, v116 :: v_dual_min_f32 v119, v120, v119
	v_max_f32_e32 v118, v34, v34
	v_add_co_ci_u32_e32 v45, vcc_lo, v47, v45, vcc_lo
	v_dual_add_f32 v114, v114, v116 :: v_dual_add_f32 v113, v113, v119
	s_delay_alu instid0(VALU_DEP_3) | instskip(NEXT) | instid1(VALU_DEP_1)
	v_min_f32_e32 v116, v118, v121
	v_dual_max_f32 v122, v43, v43 :: v_dual_add_f32 v113, v113, v116
	s_delay_alu instid0(VALU_DEP_1) | instskip(NEXT) | instid1(VALU_DEP_1)
	v_min_f32_e32 v118, v123, v122
	v_add_f32_e32 v114, v114, v118
	s_delay_alu instid0(VALU_DEP_1) | instskip(NEXT) | instid1(VALU_DEP_1)
	v_add_f32_e32 v113, v113, v114
	v_add_f32_e32 v113, v113, v115
	global_store_b32 v[44:45], v113, off
	s_or_b32 exec_lo, exec_lo, s16
	s_and_b32 s18, s1, s8
	s_delay_alu instid0(SALU_CYCLE_1)
	s_and_saveexec_b32 s16, s18
	s_cbranch_execz .LBB38_78
.LBB38_88:
	v_cmp_ne_u32_e32 vcc_lo, 1, v100
	v_lshlrev_b64 v[44:45], 2, v[50:51]
	s_cbranch_vccnz .LBB38_90
; %bb.89:
	s_delay_alu instid0(VALU_DEP_1) | instskip(NEXT) | instid1(VALU_DEP_2)
	v_add_co_u32 v113, vcc_lo, v64, v44
	v_add_co_ci_u32_e32 v114, vcc_lo, v65, v45, vcc_lo
	flat_load_b32 v113, v[113:114]
	s_waitcnt vmcnt(0) lgkmcnt(0)
	v_mul_f32_e32 v113, s15, v113
	s_branch .LBB38_91
.LBB38_90:
	v_mov_b32_e32 v113, 0
.LBB38_91:
	v_dual_max_f32 v114, v41, v41 :: v_dual_max_f32 v119, v42, v42
	v_dual_max_f32 v115, v29, v29 :: v_dual_max_f32 v116, v40, v40
	v_max_f32_e32 v118, v28, v28
	v_max_f32_e32 v120, v43, v43
	;; [unrolled: 1-line block ×3, first 2 shown]
	s_delay_alu instid0(VALU_DEP_4) | instskip(SKIP_3) | instid1(VALU_DEP_4)
	v_min_f32_e32 v114, v115, v114
	v_max_f32_e32 v115, v30, v30
	v_min_f32_e32 v116, v118, v116
	v_add_co_u32 v44, vcc_lo, v46, v44
	v_add_f32_e32 v111, v111, v114
	s_delay_alu instid0(VALU_DEP_4) | instskip(NEXT) | instid1(VALU_DEP_4)
	v_min_f32_e32 v114, v115, v119
	v_add_f32_e32 v112, v112, v116
	v_min_f32_e32 v115, v121, v120
	v_add_co_ci_u32_e32 v45, vcc_lo, v47, v45, vcc_lo
	s_delay_alu instid0(VALU_DEP_2) | instskip(NEXT) | instid1(VALU_DEP_1)
	v_dual_add_f32 v112, v112, v114 :: v_dual_add_f32 v111, v111, v115
	v_add_f32_e32 v111, v112, v111
	s_delay_alu instid0(VALU_DEP_1) | instskip(SKIP_3) | instid1(SALU_CYCLE_1)
	v_add_f32_e32 v111, v111, v113
	global_store_b32 v[44:45], v111, off
	s_or_b32 exec_lo, exec_lo, s16
	s_and_b32 s18, s2, s8
	s_and_saveexec_b32 s16, s18
	s_cbranch_execz .LBB38_79
.LBB38_92:
	v_cmp_ne_u32_e32 vcc_lo, 1, v100
	v_lshlrev_b64 v[44:45], 2, v[52:53]
	s_cbranch_vccnz .LBB38_94
; %bb.93:
	s_delay_alu instid0(VALU_DEP_1) | instskip(NEXT) | instid1(VALU_DEP_2)
	v_add_co_u32 v111, vcc_lo, v64, v44
	v_add_co_ci_u32_e32 v112, vcc_lo, v65, v45, vcc_lo
	flat_load_b32 v111, v[111:112]
	s_waitcnt vmcnt(0) lgkmcnt(0)
	v_mul_f32_e32 v111, s15, v111
	s_branch .LBB38_95
.LBB38_94:
	v_mov_b32_e32 v111, 0
.LBB38_95:
	v_dual_max_f32 v112, v41, v41 :: v_dual_max_f32 v115, v24, v24
	v_dual_max_f32 v113, v25, v25 :: v_dual_max_f32 v114, v40, v40
	;; [unrolled: 1-line block ×3, first 2 shown]
	v_add_co_u32 v44, vcc_lo, v46, v44
	s_delay_alu instid0(VALU_DEP_3) | instskip(SKIP_1) | instid1(VALU_DEP_2)
	v_dual_min_f32 v112, v113, v112 :: v_dual_max_f32 v113, v26, v26
	v_add_co_ci_u32_e32 v45, vcc_lo, v47, v45, vcc_lo
	v_add_f32_e32 v110, v110, v112
	s_delay_alu instid0(VALU_DEP_3) | instskip(SKIP_1) | instid1(VALU_DEP_1)
	v_min_f32_e32 v112, v113, v116
	v_min_f32_e32 v114, v115, v114
	v_dual_max_f32 v118, v43, v43 :: v_dual_add_f32 v109, v109, v114
	s_delay_alu instid0(VALU_DEP_1) | instskip(NEXT) | instid1(VALU_DEP_1)
	v_min_f32_e32 v113, v119, v118
	v_dual_add_f32 v109, v109, v112 :: v_dual_add_f32 v110, v110, v113
	s_delay_alu instid0(VALU_DEP_1) | instskip(NEXT) | instid1(VALU_DEP_1)
	v_add_f32_e32 v109, v109, v110
	v_add_f32_e32 v109, v109, v111
	global_store_b32 v[44:45], v109, off
	s_or_b32 exec_lo, exec_lo, s16
	s_and_b32 s18, s3, s8
	s_delay_alu instid0(SALU_CYCLE_1)
	s_and_saveexec_b32 s16, s18
	s_cbranch_execz .LBB38_80
.LBB38_96:
	v_cmp_ne_u32_e32 vcc_lo, 1, v100
	v_lshlrev_b64 v[44:45], 2, v[54:55]
	s_cbranch_vccnz .LBB38_98
; %bb.97:
	s_delay_alu instid0(VALU_DEP_1) | instskip(NEXT) | instid1(VALU_DEP_2)
	v_add_co_u32 v109, vcc_lo, v64, v44
	v_add_co_ci_u32_e32 v110, vcc_lo, v65, v45, vcc_lo
	flat_load_b32 v109, v[109:110]
	s_waitcnt vmcnt(0) lgkmcnt(0)
	v_mul_f32_e32 v109, s15, v109
	s_branch .LBB38_99
.LBB38_98:
	v_mov_b32_e32 v109, 0
.LBB38_99:
	v_dual_max_f32 v110, v41, v41 :: v_dual_max_f32 v113, v20, v20
	v_dual_max_f32 v111, v21, v21 :: v_dual_max_f32 v112, v40, v40
	;; [unrolled: 1-line block ×3, first 2 shown]
	v_max_f32_e32 v116, v23, v23
	s_delay_alu instid0(VALU_DEP_3) | instskip(NEXT) | instid1(VALU_DEP_4)
	v_min_f32_e32 v110, v111, v110
	v_dual_max_f32 v111, v22, v22 :: v_dual_min_f32 v112, v113, v112
	v_add_co_u32 v44, vcc_lo, v46, v44
	s_delay_alu instid0(VALU_DEP_3) | instskip(NEXT) | instid1(VALU_DEP_3)
	v_add_f32_e32 v107, v107, v110
	v_dual_min_f32 v110, v111, v114 :: v_dual_min_f32 v111, v116, v115
	s_delay_alu instid0(VALU_DEP_4) | instskip(SKIP_1) | instid1(VALU_DEP_2)
	v_add_f32_e32 v108, v108, v112
	v_add_co_ci_u32_e32 v45, vcc_lo, v47, v45, vcc_lo
	v_dual_add_f32 v107, v107, v111 :: v_dual_add_f32 v108, v108, v110
	s_delay_alu instid0(VALU_DEP_1) | instskip(NEXT) | instid1(VALU_DEP_1)
	v_add_f32_e32 v107, v108, v107
	v_add_f32_e32 v107, v107, v109
	global_store_b32 v[44:45], v107, off
	s_or_b32 exec_lo, exec_lo, s16
	s_and_b32 s18, s4, s8
	s_delay_alu instid0(SALU_CYCLE_1)
	s_and_saveexec_b32 s16, s18
	s_cbranch_execz .LBB38_81
.LBB38_100:
	v_cmp_ne_u32_e32 vcc_lo, 1, v100
	v_lshlrev_b64 v[44:45], 2, v[56:57]
	s_cbranch_vccnz .LBB38_102
; %bb.101:
	s_delay_alu instid0(VALU_DEP_1) | instskip(NEXT) | instid1(VALU_DEP_2)
	v_add_co_u32 v107, vcc_lo, v64, v44
	v_add_co_ci_u32_e32 v108, vcc_lo, v65, v45, vcc_lo
	flat_load_b32 v107, v[107:108]
	s_waitcnt vmcnt(0) lgkmcnt(0)
	v_mul_f32_e32 v107, s15, v107
	s_branch .LBB38_103
.LBB38_102:
	v_mov_b32_e32 v107, 0
.LBB38_103:
	v_dual_max_f32 v108, v41, v41 :: v_dual_max_f32 v111, v16, v16
	v_dual_max_f32 v109, v17, v17 :: v_dual_max_f32 v110, v40, v40
	;; [unrolled: 1-line block ×3, first 2 shown]
	v_add_co_u32 v44, vcc_lo, v46, v44
	s_delay_alu instid0(VALU_DEP_3) | instskip(SKIP_2) | instid1(VALU_DEP_3)
	v_dual_min_f32 v108, v109, v108 :: v_dual_max_f32 v109, v18, v18
	v_max_f32_e32 v114, v19, v19
	v_add_co_ci_u32_e32 v45, vcc_lo, v47, v45, vcc_lo
	v_dual_add_f32 v105, v105, v108 :: v_dual_min_f32 v110, v111, v110
	s_delay_alu instid0(VALU_DEP_3) | instskip(NEXT) | instid1(VALU_DEP_1)
	v_dual_min_f32 v108, v109, v112 :: v_dual_min_f32 v109, v114, v113
	v_dual_add_f32 v106, v106, v110 :: v_dual_add_f32 v105, v105, v109
	s_delay_alu instid0(VALU_DEP_1) | instskip(NEXT) | instid1(VALU_DEP_1)
	v_add_f32_e32 v106, v106, v108
	v_add_f32_e32 v105, v106, v105
	s_delay_alu instid0(VALU_DEP_1) | instskip(SKIP_3) | instid1(SALU_CYCLE_1)
	v_add_f32_e32 v105, v105, v107
	global_store_b32 v[44:45], v105, off
	s_or_b32 exec_lo, exec_lo, s16
	s_and_b32 s18, s5, s8
	s_and_saveexec_b32 s16, s18
	s_cbranch_execz .LBB38_82
.LBB38_104:
	v_cmp_ne_u32_e32 vcc_lo, 1, v100
	v_lshlrev_b64 v[44:45], 2, v[58:59]
	s_cbranch_vccnz .LBB38_106
; %bb.105:
	s_delay_alu instid0(VALU_DEP_1) | instskip(NEXT) | instid1(VALU_DEP_2)
	v_add_co_u32 v105, vcc_lo, v64, v44
	v_add_co_ci_u32_e32 v106, vcc_lo, v65, v45, vcc_lo
	flat_load_b32 v105, v[105:106]
	s_waitcnt vmcnt(0) lgkmcnt(0)
	v_mul_f32_e32 v105, s15, v105
	s_branch .LBB38_107
.LBB38_106:
	v_mov_b32_e32 v105, 0
.LBB38_107:
	v_dual_max_f32 v106, v41, v41 :: v_dual_max_f32 v109, v12, v12
	v_dual_max_f32 v107, v13, v13 :: v_dual_max_f32 v108, v40, v40
	;; [unrolled: 1-line block ×3, first 2 shown]
	v_max_f32_e32 v112, v15, v15
	s_delay_alu instid0(VALU_DEP_3) | instskip(NEXT) | instid1(VALU_DEP_4)
	v_min_f32_e32 v106, v107, v106
	v_dual_max_f32 v107, v14, v14 :: v_dual_min_f32 v108, v109, v108
	v_add_co_u32 v44, vcc_lo, v46, v44
	s_delay_alu instid0(VALU_DEP_3) | instskip(NEXT) | instid1(VALU_DEP_3)
	v_add_f32_e32 v104, v104, v106
	v_min_f32_e32 v106, v107, v110
	s_delay_alu instid0(VALU_DEP_4) | instskip(SKIP_2) | instid1(VALU_DEP_2)
	v_add_f32_e32 v103, v103, v108
	v_min_f32_e32 v107, v112, v111
	v_add_co_ci_u32_e32 v45, vcc_lo, v47, v45, vcc_lo
	v_dual_add_f32 v103, v103, v106 :: v_dual_add_f32 v104, v104, v107
	s_delay_alu instid0(VALU_DEP_1) | instskip(NEXT) | instid1(VALU_DEP_1)
	v_add_f32_e32 v103, v103, v104
	v_add_f32_e32 v103, v103, v105
	global_store_b32 v[44:45], v103, off
	s_or_b32 exec_lo, exec_lo, s16
	s_and_b32 s18, s6, s8
	s_delay_alu instid0(SALU_CYCLE_1)
	s_and_saveexec_b32 s16, s18
	s_cbranch_execz .LBB38_83
.LBB38_108:
	v_cmp_ne_u32_e32 vcc_lo, 1, v100
	v_lshlrev_b64 v[44:45], 2, v[60:61]
	s_cbranch_vccnz .LBB38_110
; %bb.109:
	s_delay_alu instid0(VALU_DEP_1) | instskip(NEXT) | instid1(VALU_DEP_2)
	v_add_co_u32 v103, vcc_lo, v64, v44
	v_add_co_ci_u32_e32 v104, vcc_lo, v65, v45, vcc_lo
	flat_load_b32 v103, v[103:104]
	s_waitcnt vmcnt(0) lgkmcnt(0)
	v_mul_f32_e32 v103, s15, v103
	s_branch .LBB38_111
.LBB38_110:
	v_mov_b32_e32 v103, 0
.LBB38_111:
	v_dual_max_f32 v104, v41, v41 :: v_dual_max_f32 v107, v8, v8
	v_dual_max_f32 v105, v9, v9 :: v_dual_max_f32 v106, v40, v40
	v_dual_max_f32 v108, v42, v42 :: v_dual_max_f32 v109, v43, v43
	v_add_co_u32 v44, vcc_lo, v46, v44
	s_delay_alu instid0(VALU_DEP_3) | instskip(SKIP_2) | instid1(VALU_DEP_3)
	v_dual_min_f32 v104, v105, v104 :: v_dual_max_f32 v105, v10, v10
	v_max_f32_e32 v110, v11, v11
	v_add_co_ci_u32_e32 v45, vcc_lo, v47, v45, vcc_lo
	v_dual_add_f32 v101, v101, v104 :: v_dual_min_f32 v106, v107, v106
	s_delay_alu instid0(VALU_DEP_3) | instskip(NEXT) | instid1(VALU_DEP_1)
	v_dual_min_f32 v104, v105, v108 :: v_dual_min_f32 v105, v110, v109
	v_dual_add_f32 v102, v102, v106 :: v_dual_add_f32 v101, v101, v105
	s_delay_alu instid0(VALU_DEP_1) | instskip(NEXT) | instid1(VALU_DEP_1)
	v_add_f32_e32 v102, v102, v104
	v_add_f32_e32 v101, v102, v101
	s_delay_alu instid0(VALU_DEP_1) | instskip(SKIP_3) | instid1(SALU_CYCLE_1)
	v_add_f32_e32 v101, v101, v103
	global_store_b32 v[44:45], v101, off
	s_or_b32 exec_lo, exec_lo, s16
	s_and_b32 s16, s7, s8
	s_and_saveexec_b32 s8, s16
	s_cbranch_execz .LBB38_116
.LBB38_112:
	v_cmp_ne_u32_e32 vcc_lo, 1, v100
	v_lshlrev_b64 v[44:45], 2, v[62:63]
	s_cbranch_vccnz .LBB38_114
; %bb.113:
	s_delay_alu instid0(VALU_DEP_1) | instskip(NEXT) | instid1(VALU_DEP_2)
	v_add_co_u32 v64, vcc_lo, v64, v44
	v_add_co_ci_u32_e32 v65, vcc_lo, v65, v45, vcc_lo
	flat_load_b32 v64, v[64:65]
	s_waitcnt vmcnt(0) lgkmcnt(0)
	v_mul_f32_e32 v64, s15, v64
	s_branch .LBB38_115
.LBB38_114:
	v_mov_b32_e32 v64, 0
.LBB38_115:
	v_dual_max_f32 v41, v41, v41 :: v_dual_max_f32 v40, v40, v40
	v_dual_max_f32 v65, v1, v1 :: v_dual_max_f32 v42, v42, v42
	;; [unrolled: 1-line block ×3, first 2 shown]
	s_delay_alu instid0(VALU_DEP_1) | instskip(NEXT) | instid1(VALU_DEP_1)
	v_dual_max_f32 v43, v43, v43 :: v_dual_min_f32 v40, v101, v40
	v_dual_min_f32 v41, v65, v41 :: v_dual_add_f32 v40, v98, v40
	s_delay_alu instid0(VALU_DEP_1) | instskip(NEXT) | instid1(VALU_DEP_3)
	v_add_f32_e32 v41, v99, v41
	v_min_f32_e32 v43, v102, v43
	s_delay_alu instid0(VALU_DEP_1) | instskip(SKIP_1) | instid1(VALU_DEP_1)
	v_add_f32_e32 v41, v41, v43
	v_max_f32_e32 v65, v2, v2
	v_min_f32_e32 v42, v65, v42
	s_delay_alu instid0(VALU_DEP_1) | instskip(NEXT) | instid1(VALU_DEP_1)
	v_add_f32_e32 v40, v40, v42
	v_add_f32_e32 v40, v40, v41
	s_delay_alu instid0(VALU_DEP_1)
	v_add_f32_e32 v42, v40, v64
	v_add_co_u32 v40, vcc_lo, v46, v44
	v_add_co_ci_u32_e32 v41, vcc_lo, v47, v45, vcc_lo
	global_store_b32 v[40:41], v42, off
.LBB38_116:
	s_or_b32 exec_lo, exec_lo, s8
	v_add_nc_u32_e32 v44, 64, v117
	s_delay_alu instid0(VALU_DEP_1) | instskip(SKIP_2) | instid1(VALU_DEP_3)
	v_mad_i64_i32 v[40:41], null, v44, s12, 0
	v_mad_i64_i32 v[42:43], null, v44, s9, 0
	v_cmp_gt_i32_e64 s8, s17, v44
	v_lshlrev_b64 v[40:41], 2, v[40:41]
	s_delay_alu instid0(VALU_DEP_2) | instskip(NEXT) | instid1(VALU_DEP_3)
	s_and_b32 s18, s0, s8
	v_lshlrev_b64 v[42:43], 2, v[42:43]
	s_delay_alu instid0(VALU_DEP_2) | instskip(NEXT) | instid1(VALU_DEP_3)
	v_add_co_u32 v44, vcc_lo, s10, v40
	v_add_co_ci_u32_e32 v45, vcc_lo, s11, v41, vcc_lo
	s_delay_alu instid0(VALU_DEP_3) | instskip(NEXT) | instid1(VALU_DEP_4)
	v_add_co_u32 v42, vcc_lo, s13, v42
	v_add_co_ci_u32_e32 v43, vcc_lo, s14, v43, vcc_lo
	s_and_saveexec_b32 s16, s18
	s_cbranch_execnz .LBB38_124
; %bb.117:
	s_or_b32 exec_lo, exec_lo, s16
	s_and_b32 s18, s1, s8
	s_delay_alu instid0(SALU_CYCLE_1)
	s_and_saveexec_b32 s16, s18
	s_cbranch_execnz .LBB38_128
.LBB38_118:
	s_or_b32 exec_lo, exec_lo, s16
	s_and_b32 s18, s2, s8
	s_delay_alu instid0(SALU_CYCLE_1)
	s_and_saveexec_b32 s16, s18
	s_cbranch_execnz .LBB38_132
.LBB38_119:
	s_or_b32 exec_lo, exec_lo, s16
	s_and_b32 s18, s3, s8
	s_delay_alu instid0(SALU_CYCLE_1)
	s_and_saveexec_b32 s16, s18
	s_cbranch_execnz .LBB38_136
.LBB38_120:
	s_or_b32 exec_lo, exec_lo, s16
	s_and_b32 s18, s4, s8
	s_delay_alu instid0(SALU_CYCLE_1)
	s_and_saveexec_b32 s16, s18
	s_cbranch_execnz .LBB38_140
.LBB38_121:
	s_or_b32 exec_lo, exec_lo, s16
	s_and_b32 s18, s5, s8
	s_delay_alu instid0(SALU_CYCLE_1)
	s_and_saveexec_b32 s16, s18
	s_cbranch_execnz .LBB38_144
.LBB38_122:
	s_or_b32 exec_lo, exec_lo, s16
	s_and_b32 s18, s6, s8
	s_delay_alu instid0(SALU_CYCLE_1)
	s_and_saveexec_b32 s16, s18
	s_cbranch_execnz .LBB38_148
.LBB38_123:
	s_or_b32 exec_lo, exec_lo, s16
	s_and_b32 s16, s7, s8
	s_delay_alu instid0(SALU_CYCLE_1)
	s_and_saveexec_b32 s8, s16
	s_cbranch_execnz .LBB38_152
	s_branch .LBB38_156
.LBB38_124:
	v_cmp_ne_u32_e32 vcc_lo, 1, v100
	v_lshlrev_b64 v[40:41], 2, v[48:49]
	s_cbranch_vccnz .LBB38_126
; %bb.125:
	s_delay_alu instid0(VALU_DEP_1) | instskip(NEXT) | instid1(VALU_DEP_2)
	v_add_co_u32 v46, vcc_lo, v44, v40
	v_add_co_ci_u32_e32 v47, vcc_lo, v45, v41, vcc_lo
	flat_load_b32 v46, v[46:47]
	s_waitcnt vmcnt(0) lgkmcnt(0)
	v_mul_f32_e32 v46, s15, v46
	s_branch .LBB38_127
.LBB38_126:
	v_mov_b32_e32 v46, 0
.LBB38_127:
	v_dual_max_f32 v47, v37, v37 :: v_dual_max_f32 v98, v32, v32
	v_dual_max_f32 v64, v33, v33 :: v_dual_max_f32 v65, v36, v36
	;; [unrolled: 1-line block ×3, first 2 shown]
	v_add_co_u32 v40, vcc_lo, v42, v40
	s_delay_alu instid0(VALU_DEP_3) | instskip(NEXT) | instid1(VALU_DEP_4)
	v_dual_min_f32 v47, v64, v47 :: v_dual_max_f32 v64, v34, v34
	v_min_f32_e32 v65, v98, v65
	v_add_co_ci_u32_e32 v41, vcc_lo, v43, v41, vcc_lo
	s_delay_alu instid0(VALU_DEP_2) | instskip(NEXT) | instid1(VALU_DEP_1)
	v_dual_min_f32 v64, v64, v99 :: v_dual_add_f32 v65, v97, v65
	v_dual_max_f32 v101, v39, v39 :: v_dual_add_f32 v64, v65, v64
	s_delay_alu instid0(VALU_DEP_1) | instskip(NEXT) | instid1(VALU_DEP_1)
	v_dual_add_f32 v47, v96, v47 :: v_dual_min_f32 v96, v102, v101
	v_add_f32_e32 v47, v47, v96
	s_delay_alu instid0(VALU_DEP_1) | instskip(NEXT) | instid1(VALU_DEP_1)
	v_add_f32_e32 v47, v64, v47
	v_add_f32_e32 v46, v47, v46
	global_store_b32 v[40:41], v46, off
	s_or_b32 exec_lo, exec_lo, s16
	s_and_b32 s18, s1, s8
	s_delay_alu instid0(SALU_CYCLE_1)
	s_and_saveexec_b32 s16, s18
	s_cbranch_execz .LBB38_118
.LBB38_128:
	v_cmp_ne_u32_e32 vcc_lo, 1, v100
	v_lshlrev_b64 v[40:41], 2, v[50:51]
	s_cbranch_vccnz .LBB38_130
; %bb.129:
	s_delay_alu instid0(VALU_DEP_1) | instskip(NEXT) | instid1(VALU_DEP_2)
	v_add_co_u32 v46, vcc_lo, v44, v40
	v_add_co_ci_u32_e32 v47, vcc_lo, v45, v41, vcc_lo
	flat_load_b32 v46, v[46:47]
	s_waitcnt vmcnt(0) lgkmcnt(0)
	v_mul_f32_e32 v46, s15, v46
	s_branch .LBB38_131
.LBB38_130:
	v_mov_b32_e32 v46, 0
.LBB38_131:
	v_dual_max_f32 v47, v37, v37 :: v_dual_max_f32 v96, v28, v28
	v_dual_max_f32 v64, v29, v29 :: v_dual_max_f32 v65, v36, v36
	;; [unrolled: 1-line block ×3, first 2 shown]
	v_add_co_u32 v40, vcc_lo, v42, v40
	s_delay_alu instid0(VALU_DEP_3) | instskip(SKIP_2) | instid1(VALU_DEP_3)
	v_dual_min_f32 v47, v64, v47 :: v_dual_max_f32 v64, v30, v30
	v_max_f32_e32 v99, v31, v31
	v_add_co_ci_u32_e32 v41, vcc_lo, v43, v41, vcc_lo
	v_min_f32_e32 v64, v64, v97
	v_min_f32_e32 v65, v96, v65
	s_delay_alu instid0(VALU_DEP_4) | instskip(NEXT) | instid1(VALU_DEP_2)
	v_dual_add_f32 v47, v94, v47 :: v_dual_min_f32 v94, v99, v98
	v_add_f32_e32 v65, v95, v65
	s_delay_alu instid0(VALU_DEP_1) | instskip(NEXT) | instid1(VALU_DEP_1)
	v_dual_add_f32 v64, v65, v64 :: v_dual_add_f32 v47, v47, v94
	v_add_f32_e32 v47, v64, v47
	s_delay_alu instid0(VALU_DEP_1) | instskip(SKIP_3) | instid1(SALU_CYCLE_1)
	v_add_f32_e32 v46, v47, v46
	global_store_b32 v[40:41], v46, off
	s_or_b32 exec_lo, exec_lo, s16
	s_and_b32 s18, s2, s8
	s_and_saveexec_b32 s16, s18
	s_cbranch_execz .LBB38_119
.LBB38_132:
	v_cmp_ne_u32_e32 vcc_lo, 1, v100
	v_lshlrev_b64 v[40:41], 2, v[52:53]
	s_cbranch_vccnz .LBB38_134
; %bb.133:
	s_delay_alu instid0(VALU_DEP_1) | instskip(NEXT) | instid1(VALU_DEP_2)
	v_add_co_u32 v46, vcc_lo, v44, v40
	v_add_co_ci_u32_e32 v47, vcc_lo, v45, v41, vcc_lo
	flat_load_b32 v46, v[46:47]
	s_waitcnt vmcnt(0) lgkmcnt(0)
	v_mul_f32_e32 v46, s15, v46
	s_branch .LBB38_135
.LBB38_134:
	v_mov_b32_e32 v46, 0
.LBB38_135:
	v_dual_max_f32 v47, v37, v37 :: v_dual_max_f32 v94, v24, v24
	v_dual_max_f32 v64, v25, v25 :: v_dual_max_f32 v65, v36, v36
	;; [unrolled: 1-line block ×3, first 2 shown]
	v_add_co_u32 v40, vcc_lo, v42, v40
	s_delay_alu instid0(VALU_DEP_3) | instskip(NEXT) | instid1(VALU_DEP_4)
	v_dual_min_f32 v47, v64, v47 :: v_dual_max_f32 v64, v26, v26
	v_min_f32_e32 v65, v94, v65
	v_add_co_ci_u32_e32 v41, vcc_lo, v43, v41, vcc_lo
	s_delay_alu instid0(VALU_DEP_2) | instskip(NEXT) | instid1(VALU_DEP_1)
	v_dual_min_f32 v64, v64, v95 :: v_dual_add_f32 v65, v93, v65
	v_dual_max_f32 v97, v27, v27 :: v_dual_add_f32 v64, v65, v64
	s_delay_alu instid0(VALU_DEP_1) | instskip(NEXT) | instid1(VALU_DEP_1)
	v_dual_add_f32 v47, v92, v47 :: v_dual_min_f32 v92, v97, v96
	v_add_f32_e32 v47, v47, v92
	s_delay_alu instid0(VALU_DEP_1) | instskip(NEXT) | instid1(VALU_DEP_1)
	v_add_f32_e32 v47, v64, v47
	v_add_f32_e32 v46, v47, v46
	global_store_b32 v[40:41], v46, off
	s_or_b32 exec_lo, exec_lo, s16
	s_and_b32 s18, s3, s8
	s_delay_alu instid0(SALU_CYCLE_1)
	s_and_saveexec_b32 s16, s18
	s_cbranch_execz .LBB38_120
.LBB38_136:
	v_cmp_ne_u32_e32 vcc_lo, 1, v100
	v_lshlrev_b64 v[40:41], 2, v[54:55]
	s_cbranch_vccnz .LBB38_138
; %bb.137:
	s_delay_alu instid0(VALU_DEP_1) | instskip(NEXT) | instid1(VALU_DEP_2)
	v_add_co_u32 v46, vcc_lo, v44, v40
	v_add_co_ci_u32_e32 v47, vcc_lo, v45, v41, vcc_lo
	flat_load_b32 v46, v[46:47]
	s_waitcnt vmcnt(0) lgkmcnt(0)
	v_mul_f32_e32 v46, s15, v46
	s_branch .LBB38_139
.LBB38_138:
	v_mov_b32_e32 v46, 0
.LBB38_139:
	v_dual_max_f32 v47, v37, v37 :: v_dual_max_f32 v92, v20, v20
	v_dual_max_f32 v64, v21, v21 :: v_dual_max_f32 v65, v36, v36
	;; [unrolled: 1-line block ×3, first 2 shown]
	v_add_co_u32 v40, vcc_lo, v42, v40
	s_delay_alu instid0(VALU_DEP_3) | instskip(SKIP_2) | instid1(VALU_DEP_3)
	v_dual_min_f32 v47, v64, v47 :: v_dual_max_f32 v64, v22, v22
	v_max_f32_e32 v95, v23, v23
	v_add_co_ci_u32_e32 v41, vcc_lo, v43, v41, vcc_lo
	v_min_f32_e32 v64, v64, v93
	v_min_f32_e32 v65, v92, v65
	s_delay_alu instid0(VALU_DEP_4) | instskip(NEXT) | instid1(VALU_DEP_2)
	v_dual_add_f32 v47, v90, v47 :: v_dual_min_f32 v90, v95, v94
	v_add_f32_e32 v65, v91, v65
	s_delay_alu instid0(VALU_DEP_1) | instskip(NEXT) | instid1(VALU_DEP_1)
	v_dual_add_f32 v64, v65, v64 :: v_dual_add_f32 v47, v47, v90
	v_add_f32_e32 v47, v64, v47
	s_delay_alu instid0(VALU_DEP_1) | instskip(SKIP_3) | instid1(SALU_CYCLE_1)
	v_add_f32_e32 v46, v47, v46
	global_store_b32 v[40:41], v46, off
	s_or_b32 exec_lo, exec_lo, s16
	s_and_b32 s18, s4, s8
	s_and_saveexec_b32 s16, s18
	s_cbranch_execz .LBB38_121
.LBB38_140:
	v_cmp_ne_u32_e32 vcc_lo, 1, v100
	v_lshlrev_b64 v[40:41], 2, v[56:57]
	s_cbranch_vccnz .LBB38_142
; %bb.141:
	s_delay_alu instid0(VALU_DEP_1) | instskip(NEXT) | instid1(VALU_DEP_2)
	v_add_co_u32 v46, vcc_lo, v44, v40
	v_add_co_ci_u32_e32 v47, vcc_lo, v45, v41, vcc_lo
	flat_load_b32 v46, v[46:47]
	s_waitcnt vmcnt(0) lgkmcnt(0)
	v_mul_f32_e32 v46, s15, v46
	s_branch .LBB38_143
.LBB38_142:
	v_mov_b32_e32 v46, 0
.LBB38_143:
	v_dual_max_f32 v47, v37, v37 :: v_dual_max_f32 v90, v16, v16
	v_dual_max_f32 v64, v17, v17 :: v_dual_max_f32 v65, v36, v36
	;; [unrolled: 1-line block ×3, first 2 shown]
	v_add_co_u32 v40, vcc_lo, v42, v40
	s_delay_alu instid0(VALU_DEP_3) | instskip(NEXT) | instid1(VALU_DEP_4)
	v_dual_min_f32 v47, v64, v47 :: v_dual_max_f32 v64, v18, v18
	v_min_f32_e32 v65, v90, v65
	v_add_co_ci_u32_e32 v41, vcc_lo, v43, v41, vcc_lo
	s_delay_alu instid0(VALU_DEP_3) | instskip(NEXT) | instid1(VALU_DEP_4)
	v_add_f32_e32 v47, v89, v47
	v_min_f32_e32 v64, v64, v91
	s_delay_alu instid0(VALU_DEP_4) | instskip(NEXT) | instid1(VALU_DEP_1)
	v_add_f32_e32 v65, v88, v65
	v_dual_max_f32 v93, v19, v19 :: v_dual_add_f32 v64, v65, v64
	s_delay_alu instid0(VALU_DEP_1) | instskip(NEXT) | instid1(VALU_DEP_1)
	v_min_f32_e32 v89, v93, v92
	v_add_f32_e32 v47, v47, v89
	s_delay_alu instid0(VALU_DEP_1) | instskip(NEXT) | instid1(VALU_DEP_1)
	v_add_f32_e32 v47, v64, v47
	v_add_f32_e32 v46, v47, v46
	global_store_b32 v[40:41], v46, off
	s_or_b32 exec_lo, exec_lo, s16
	s_and_b32 s18, s5, s8
	s_delay_alu instid0(SALU_CYCLE_1)
	s_and_saveexec_b32 s16, s18
	s_cbranch_execz .LBB38_122
.LBB38_144:
	v_cmp_ne_u32_e32 vcc_lo, 1, v100
	v_lshlrev_b64 v[40:41], 2, v[58:59]
	s_cbranch_vccnz .LBB38_146
; %bb.145:
	s_delay_alu instid0(VALU_DEP_1) | instskip(NEXT) | instid1(VALU_DEP_2)
	v_add_co_u32 v46, vcc_lo, v44, v40
	v_add_co_ci_u32_e32 v47, vcc_lo, v45, v41, vcc_lo
	flat_load_b32 v46, v[46:47]
	s_waitcnt vmcnt(0) lgkmcnt(0)
	v_mul_f32_e32 v46, s15, v46
	s_branch .LBB38_147
.LBB38_146:
	v_mov_b32_e32 v46, 0
.LBB38_147:
	v_dual_max_f32 v47, v37, v37 :: v_dual_max_f32 v88, v12, v12
	v_dual_max_f32 v64, v13, v13 :: v_dual_max_f32 v65, v36, v36
	;; [unrolled: 1-line block ×3, first 2 shown]
	v_add_co_u32 v40, vcc_lo, v42, v40
	s_delay_alu instid0(VALU_DEP_3) | instskip(SKIP_2) | instid1(VALU_DEP_3)
	v_dual_min_f32 v47, v64, v47 :: v_dual_max_f32 v64, v14, v14
	v_max_f32_e32 v91, v15, v15
	v_add_co_ci_u32_e32 v41, vcc_lo, v43, v41, vcc_lo
	v_min_f32_e32 v64, v64, v89
	v_min_f32_e32 v65, v88, v65
	s_delay_alu instid0(VALU_DEP_4) | instskip(NEXT) | instid1(VALU_DEP_2)
	v_dual_add_f32 v47, v86, v47 :: v_dual_min_f32 v86, v91, v90
	v_add_f32_e32 v65, v87, v65
	s_delay_alu instid0(VALU_DEP_1) | instskip(NEXT) | instid1(VALU_DEP_1)
	v_dual_add_f32 v64, v65, v64 :: v_dual_add_f32 v47, v47, v86
	v_add_f32_e32 v47, v64, v47
	s_delay_alu instid0(VALU_DEP_1) | instskip(SKIP_3) | instid1(SALU_CYCLE_1)
	v_add_f32_e32 v46, v47, v46
	global_store_b32 v[40:41], v46, off
	s_or_b32 exec_lo, exec_lo, s16
	s_and_b32 s18, s6, s8
	s_and_saveexec_b32 s16, s18
	s_cbranch_execz .LBB38_123
.LBB38_148:
	v_cmp_ne_u32_e32 vcc_lo, 1, v100
	v_lshlrev_b64 v[40:41], 2, v[60:61]
	s_cbranch_vccnz .LBB38_150
; %bb.149:
	s_delay_alu instid0(VALU_DEP_1) | instskip(NEXT) | instid1(VALU_DEP_2)
	v_add_co_u32 v46, vcc_lo, v44, v40
	v_add_co_ci_u32_e32 v47, vcc_lo, v45, v41, vcc_lo
	flat_load_b32 v46, v[46:47]
	s_waitcnt vmcnt(0) lgkmcnt(0)
	v_mul_f32_e32 v46, s15, v46
	s_branch .LBB38_151
.LBB38_150:
	v_mov_b32_e32 v46, 0
.LBB38_151:
	v_dual_max_f32 v47, v37, v37 :: v_dual_max_f32 v86, v8, v8
	v_dual_max_f32 v64, v9, v9 :: v_dual_max_f32 v65, v36, v36
	v_dual_max_f32 v87, v38, v38 :: v_dual_max_f32 v88, v39, v39
	v_add_co_u32 v40, vcc_lo, v42, v40
	s_delay_alu instid0(VALU_DEP_3) | instskip(NEXT) | instid1(VALU_DEP_4)
	v_dual_min_f32 v47, v64, v47 :: v_dual_max_f32 v64, v10, v10
	v_min_f32_e32 v65, v86, v65
	v_add_co_ci_u32_e32 v41, vcc_lo, v43, v41, vcc_lo
	s_delay_alu instid0(VALU_DEP_2) | instskip(NEXT) | instid1(VALU_DEP_1)
	v_dual_min_f32 v64, v64, v87 :: v_dual_add_f32 v65, v85, v65
	v_dual_max_f32 v89, v11, v11 :: v_dual_add_f32 v64, v65, v64
	s_delay_alu instid0(VALU_DEP_1) | instskip(NEXT) | instid1(VALU_DEP_1)
	v_dual_add_f32 v47, v84, v47 :: v_dual_min_f32 v84, v89, v88
	v_add_f32_e32 v47, v47, v84
	s_delay_alu instid0(VALU_DEP_1) | instskip(NEXT) | instid1(VALU_DEP_1)
	v_add_f32_e32 v47, v64, v47
	v_add_f32_e32 v46, v47, v46
	global_store_b32 v[40:41], v46, off
	s_or_b32 exec_lo, exec_lo, s16
	s_and_b32 s16, s7, s8
	s_delay_alu instid0(SALU_CYCLE_1)
	s_and_saveexec_b32 s8, s16
	s_cbranch_execz .LBB38_156
.LBB38_152:
	v_cmp_ne_u32_e32 vcc_lo, 1, v100
	v_lshlrev_b64 v[40:41], 2, v[62:63]
	s_cbranch_vccnz .LBB38_154
; %bb.153:
	s_delay_alu instid0(VALU_DEP_1) | instskip(NEXT) | instid1(VALU_DEP_2)
	v_add_co_u32 v44, vcc_lo, v44, v40
	v_add_co_ci_u32_e32 v45, vcc_lo, v45, v41, vcc_lo
	flat_load_b32 v44, v[44:45]
	s_waitcnt vmcnt(0) lgkmcnt(0)
	v_mul_f32_e32 v44, s15, v44
	s_branch .LBB38_155
.LBB38_154:
	v_mov_b32_e32 v44, 0
.LBB38_155:
	v_dual_max_f32 v37, v37, v37 :: v_dual_max_f32 v36, v36, v36
	v_dual_max_f32 v45, v1, v1 :: v_dual_max_f32 v46, v0, v0
	;; [unrolled: 1-line block ×3, first 2 shown]
	s_delay_alu instid0(VALU_DEP_2) | instskip(SKIP_1) | instid1(VALU_DEP_2)
	v_dual_min_f32 v37, v45, v37 :: v_dual_min_f32 v36, v46, v36
	v_max_f32_e32 v47, v3, v3
	v_dual_add_f32 v37, v83, v37 :: v_dual_add_f32 v36, v82, v36
	s_delay_alu instid0(VALU_DEP_2) | instskip(NEXT) | instid1(VALU_DEP_1)
	v_min_f32_e32 v39, v47, v39
	v_add_f32_e32 v37, v37, v39
	v_max_f32_e32 v45, v2, v2
	s_delay_alu instid0(VALU_DEP_1) | instskip(NEXT) | instid1(VALU_DEP_1)
	v_min_f32_e32 v38, v45, v38
	v_add_f32_e32 v36, v36, v38
	s_delay_alu instid0(VALU_DEP_1) | instskip(NEXT) | instid1(VALU_DEP_1)
	v_add_f32_e32 v36, v36, v37
	v_add_f32_e32 v38, v36, v44
	v_add_co_u32 v36, vcc_lo, v42, v40
	v_add_co_ci_u32_e32 v37, vcc_lo, v43, v41, vcc_lo
	global_store_b32 v[36:37], v38, off
.LBB38_156:
	s_or_b32 exec_lo, exec_lo, s8
	v_add_nc_u32_e32 v40, 0x60, v117
	s_delay_alu instid0(VALU_DEP_1) | instskip(SKIP_2) | instid1(VALU_DEP_3)
	v_mad_i64_i32 v[36:37], null, v40, s12, 0
	v_mad_i64_i32 v[38:39], null, v40, s9, 0
	v_cmp_gt_i32_e64 s8, s17, v40
	v_lshlrev_b64 v[36:37], 2, v[36:37]
	s_delay_alu instid0(VALU_DEP_2) | instskip(NEXT) | instid1(VALU_DEP_3)
	s_and_b32 s9, s0, s8
	v_lshlrev_b64 v[38:39], 2, v[38:39]
	s_delay_alu instid0(VALU_DEP_2) | instskip(NEXT) | instid1(VALU_DEP_3)
	v_add_co_u32 v40, vcc_lo, s10, v36
	v_add_co_ci_u32_e32 v41, vcc_lo, s11, v37, vcc_lo
	s_delay_alu instid0(VALU_DEP_3) | instskip(NEXT) | instid1(VALU_DEP_4)
	v_add_co_u32 v38, vcc_lo, s13, v38
	v_add_co_ci_u32_e32 v39, vcc_lo, s14, v39, vcc_lo
	s_and_saveexec_b32 s0, s9
	s_cbranch_execnz .LBB38_165
; %bb.157:
	s_or_b32 exec_lo, exec_lo, s0
	s_and_b32 s1, s1, s8
	s_delay_alu instid0(SALU_CYCLE_1)
	s_and_saveexec_b32 s0, s1
	s_cbranch_execnz .LBB38_169
.LBB38_158:
	s_or_b32 exec_lo, exec_lo, s0
	s_and_b32 s1, s2, s8
	s_delay_alu instid0(SALU_CYCLE_1)
	s_and_saveexec_b32 s0, s1
	s_cbranch_execnz .LBB38_173
.LBB38_159:
	s_or_b32 exec_lo, exec_lo, s0
	s_and_b32 s1, s3, s8
	s_delay_alu instid0(SALU_CYCLE_1)
	s_and_saveexec_b32 s0, s1
	s_cbranch_execnz .LBB38_177
.LBB38_160:
	s_or_b32 exec_lo, exec_lo, s0
	s_and_b32 s1, s4, s8
	s_delay_alu instid0(SALU_CYCLE_1)
	s_and_saveexec_b32 s0, s1
	s_cbranch_execnz .LBB38_181
.LBB38_161:
	s_or_b32 exec_lo, exec_lo, s0
	s_and_b32 s1, s5, s8
	s_delay_alu instid0(SALU_CYCLE_1)
	s_and_saveexec_b32 s0, s1
	s_cbranch_execnz .LBB38_185
.LBB38_162:
	s_or_b32 exec_lo, exec_lo, s0
	s_and_b32 s1, s6, s8
	s_delay_alu instid0(SALU_CYCLE_1)
	s_and_saveexec_b32 s0, s1
	s_cbranch_execnz .LBB38_189
.LBB38_163:
	s_or_b32 exec_lo, exec_lo, s0
	s_and_b32 s0, s7, s8
	s_delay_alu instid0(SALU_CYCLE_1)
	s_and_saveexec_b32 s1, s0
	s_cbranch_execnz .LBB38_193
.LBB38_164:
	s_nop 0
	s_sendmsg sendmsg(MSG_DEALLOC_VGPRS)
	s_endpgm
.LBB38_165:
	v_cmp_ne_u32_e32 vcc_lo, 1, v100
	v_lshlrev_b64 v[36:37], 2, v[48:49]
	s_cbranch_vccnz .LBB38_167
; %bb.166:
	s_delay_alu instid0(VALU_DEP_1) | instskip(NEXT) | instid1(VALU_DEP_2)
	v_add_co_u32 v42, vcc_lo, v40, v36
	v_add_co_ci_u32_e32 v43, vcc_lo, v41, v37, vcc_lo
	flat_load_b32 v42, v[42:43]
	s_waitcnt vmcnt(0) lgkmcnt(0)
	v_mul_f32_e32 v42, s15, v42
	s_branch .LBB38_168
.LBB38_167:
	v_mov_b32_e32 v42, 0
.LBB38_168:
	v_dual_max_f32 v43, v5, v5 :: v_dual_max_f32 v44, v4, v4
	v_dual_max_f32 v33, v33, v33 :: v_dual_max_f32 v32, v32, v32
	v_max_f32_e32 v45, v6, v6
	s_delay_alu instid0(VALU_DEP_2) | instskip(NEXT) | instid1(VALU_DEP_3)
	v_dual_max_f32 v34, v34, v34 :: v_dual_min_f32 v33, v33, v43
	v_dual_min_f32 v32, v32, v44 :: v_dual_max_f32 v43, v7, v7
	s_delay_alu instid0(VALU_DEP_2) | instskip(NEXT) | instid1(VALU_DEP_2)
	v_dual_min_f32 v34, v34, v45 :: v_dual_max_f32 v35, v35, v35
	v_dual_add_f32 v33, v80, v33 :: v_dual_add_f32 v32, v81, v32
	s_delay_alu instid0(VALU_DEP_1) | instskip(NEXT) | instid1(VALU_DEP_1)
	v_dual_min_f32 v35, v35, v43 :: v_dual_add_f32 v32, v32, v34
	v_add_f32_e32 v33, v33, v35
	s_delay_alu instid0(VALU_DEP_1) | instskip(NEXT) | instid1(VALU_DEP_1)
	v_add_f32_e32 v32, v32, v33
	v_add_f32_e32 v34, v32, v42
	v_add_co_u32 v32, vcc_lo, v38, v36
	v_add_co_ci_u32_e32 v33, vcc_lo, v39, v37, vcc_lo
	global_store_b32 v[32:33], v34, off
	s_or_b32 exec_lo, exec_lo, s0
	s_and_b32 s1, s1, s8
	s_delay_alu instid0(SALU_CYCLE_1)
	s_and_saveexec_b32 s0, s1
	s_cbranch_execz .LBB38_158
.LBB38_169:
	v_cmp_ne_u32_e32 vcc_lo, 1, v100
	v_lshlrev_b64 v[32:33], 2, v[50:51]
	s_cbranch_vccnz .LBB38_171
; %bb.170:
	s_delay_alu instid0(VALU_DEP_1) | instskip(NEXT) | instid1(VALU_DEP_2)
	v_add_co_u32 v34, vcc_lo, v40, v32
	v_add_co_ci_u32_e32 v35, vcc_lo, v41, v33, vcc_lo
	flat_load_b32 v34, v[34:35]
	s_waitcnt vmcnt(0) lgkmcnt(0)
	v_mul_f32_e32 v34, s15, v34
	s_branch .LBB38_172
.LBB38_171:
	v_mov_b32_e32 v34, 0
.LBB38_172:
	v_dual_max_f32 v35, v5, v5 :: v_dual_max_f32 v36, v4, v4
	v_dual_max_f32 v29, v29, v29 :: v_dual_max_f32 v28, v28, v28
	v_max_f32_e32 v37, v6, v6
	s_delay_alu instid0(VALU_DEP_2) | instskip(NEXT) | instid1(VALU_DEP_3)
	v_dual_max_f32 v30, v30, v30 :: v_dual_min_f32 v29, v29, v35
	v_dual_min_f32 v28, v28, v36 :: v_dual_max_f32 v35, v7, v7
	s_delay_alu instid0(VALU_DEP_2) | instskip(NEXT) | instid1(VALU_DEP_2)
	v_dual_min_f32 v30, v30, v37 :: v_dual_max_f32 v31, v31, v31
	v_dual_add_f32 v28, v78, v28 :: v_dual_add_f32 v29, v79, v29
	s_delay_alu instid0(VALU_DEP_1) | instskip(NEXT) | instid1(VALU_DEP_1)
	v_dual_add_f32 v28, v28, v30 :: v_dual_min_f32 v31, v31, v35
	v_add_f32_e32 v29, v29, v31
	s_delay_alu instid0(VALU_DEP_1) | instskip(NEXT) | instid1(VALU_DEP_1)
	v_add_f32_e32 v28, v28, v29
	v_add_f32_e32 v30, v28, v34
	v_add_co_u32 v28, vcc_lo, v38, v32
	v_add_co_ci_u32_e32 v29, vcc_lo, v39, v33, vcc_lo
	global_store_b32 v[28:29], v30, off
	s_or_b32 exec_lo, exec_lo, s0
	s_and_b32 s1, s2, s8
	s_delay_alu instid0(SALU_CYCLE_1)
	s_and_saveexec_b32 s0, s1
	s_cbranch_execz .LBB38_159
.LBB38_173:
	v_cmp_ne_u32_e32 vcc_lo, 1, v100
	v_lshlrev_b64 v[28:29], 2, v[52:53]
	s_cbranch_vccnz .LBB38_175
; %bb.174:
	s_delay_alu instid0(VALU_DEP_1) | instskip(NEXT) | instid1(VALU_DEP_2)
	v_add_co_u32 v30, vcc_lo, v40, v28
	v_add_co_ci_u32_e32 v31, vcc_lo, v41, v29, vcc_lo
	flat_load_b32 v30, v[30:31]
	s_waitcnt vmcnt(0) lgkmcnt(0)
	v_mul_f32_e32 v30, s15, v30
	s_branch .LBB38_176
.LBB38_175:
	v_mov_b32_e32 v30, 0
.LBB38_176:
	v_dual_max_f32 v31, v5, v5 :: v_dual_max_f32 v32, v4, v4
	v_dual_max_f32 v25, v25, v25 :: v_dual_max_f32 v24, v24, v24
	v_max_f32_e32 v33, v6, v6
	s_delay_alu instid0(VALU_DEP_2) | instskip(NEXT) | instid1(VALU_DEP_3)
	v_dual_max_f32 v26, v26, v26 :: v_dual_min_f32 v25, v25, v31
	v_dual_min_f32 v24, v24, v32 :: v_dual_max_f32 v31, v7, v7
	s_delay_alu instid0(VALU_DEP_2) | instskip(NEXT) | instid1(VALU_DEP_2)
	v_dual_min_f32 v26, v26, v33 :: v_dual_max_f32 v27, v27, v27
	v_dual_add_f32 v25, v76, v25 :: v_dual_add_f32 v24, v77, v24
	s_delay_alu instid0(VALU_DEP_1) | instskip(NEXT) | instid1(VALU_DEP_1)
	v_dual_min_f32 v27, v27, v31 :: v_dual_add_f32 v24, v24, v26
	v_add_f32_e32 v25, v25, v27
	s_delay_alu instid0(VALU_DEP_1) | instskip(NEXT) | instid1(VALU_DEP_1)
	v_add_f32_e32 v24, v24, v25
	v_add_f32_e32 v26, v24, v30
	v_add_co_u32 v24, vcc_lo, v38, v28
	v_add_co_ci_u32_e32 v25, vcc_lo, v39, v29, vcc_lo
	global_store_b32 v[24:25], v26, off
	s_or_b32 exec_lo, exec_lo, s0
	s_and_b32 s1, s3, s8
	s_delay_alu instid0(SALU_CYCLE_1)
	s_and_saveexec_b32 s0, s1
	s_cbranch_execz .LBB38_160
.LBB38_177:
	v_cmp_ne_u32_e32 vcc_lo, 1, v100
	v_lshlrev_b64 v[24:25], 2, v[54:55]
	s_cbranch_vccnz .LBB38_179
; %bb.178:
	s_delay_alu instid0(VALU_DEP_1) | instskip(NEXT) | instid1(VALU_DEP_2)
	v_add_co_u32 v26, vcc_lo, v40, v24
	v_add_co_ci_u32_e32 v27, vcc_lo, v41, v25, vcc_lo
	flat_load_b32 v26, v[26:27]
	s_waitcnt vmcnt(0) lgkmcnt(0)
	v_mul_f32_e32 v26, s15, v26
	s_branch .LBB38_180
.LBB38_179:
	v_mov_b32_e32 v26, 0
.LBB38_180:
	v_dual_max_f32 v27, v5, v5 :: v_dual_max_f32 v28, v4, v4
	v_dual_max_f32 v21, v21, v21 :: v_dual_max_f32 v20, v20, v20
	v_max_f32_e32 v29, v6, v6
	s_delay_alu instid0(VALU_DEP_2) | instskip(NEXT) | instid1(VALU_DEP_3)
	v_dual_max_f32 v22, v22, v22 :: v_dual_min_f32 v21, v21, v27
	v_dual_min_f32 v20, v20, v28 :: v_dual_max_f32 v27, v7, v7
	s_delay_alu instid0(VALU_DEP_2) | instskip(NEXT) | instid1(VALU_DEP_2)
	v_min_f32_e32 v22, v22, v29
	v_dual_add_f32 v21, v74, v21 :: v_dual_add_f32 v20, v75, v20
	s_delay_alu instid0(VALU_DEP_1) | instskip(NEXT) | instid1(VALU_DEP_1)
	v_dual_max_f32 v23, v23, v23 :: v_dual_add_f32 v20, v20, v22
	v_min_f32_e32 v23, v23, v27
	s_delay_alu instid0(VALU_DEP_1) | instskip(NEXT) | instid1(VALU_DEP_1)
	v_add_f32_e32 v21, v21, v23
	v_add_f32_e32 v20, v20, v21
	s_delay_alu instid0(VALU_DEP_1)
	v_add_f32_e32 v22, v20, v26
	v_add_co_u32 v20, vcc_lo, v38, v24
	v_add_co_ci_u32_e32 v21, vcc_lo, v39, v25, vcc_lo
	global_store_b32 v[20:21], v22, off
	s_or_b32 exec_lo, exec_lo, s0
	s_and_b32 s1, s4, s8
	s_delay_alu instid0(SALU_CYCLE_1)
	s_and_saveexec_b32 s0, s1
	s_cbranch_execz .LBB38_161
.LBB38_181:
	v_cmp_ne_u32_e32 vcc_lo, 1, v100
	v_lshlrev_b64 v[20:21], 2, v[56:57]
	s_cbranch_vccnz .LBB38_183
; %bb.182:
	s_delay_alu instid0(VALU_DEP_1) | instskip(NEXT) | instid1(VALU_DEP_2)
	v_add_co_u32 v22, vcc_lo, v40, v20
	v_add_co_ci_u32_e32 v23, vcc_lo, v41, v21, vcc_lo
	flat_load_b32 v22, v[22:23]
	s_waitcnt vmcnt(0) lgkmcnt(0)
	v_mul_f32_e32 v22, s15, v22
	s_branch .LBB38_184
.LBB38_183:
	v_mov_b32_e32 v22, 0
.LBB38_184:
	v_dual_max_f32 v23, v5, v5 :: v_dual_max_f32 v24, v4, v4
	v_dual_max_f32 v17, v17, v17 :: v_dual_max_f32 v16, v16, v16
	v_max_f32_e32 v25, v6, v6
	s_delay_alu instid0(VALU_DEP_2) | instskip(NEXT) | instid1(VALU_DEP_3)
	v_dual_max_f32 v18, v18, v18 :: v_dual_min_f32 v17, v17, v23
	v_dual_min_f32 v16, v16, v24 :: v_dual_max_f32 v23, v7, v7
	s_delay_alu instid0(VALU_DEP_2) | instskip(NEXT) | instid1(VALU_DEP_2)
	v_dual_min_f32 v18, v18, v25 :: v_dual_max_f32 v19, v19, v19
	v_dual_add_f32 v16, v72, v16 :: v_dual_add_f32 v17, v73, v17
	s_delay_alu instid0(VALU_DEP_1) | instskip(NEXT) | instid1(VALU_DEP_1)
	v_dual_add_f32 v16, v16, v18 :: v_dual_min_f32 v19, v19, v23
	v_add_f32_e32 v17, v17, v19
	s_delay_alu instid0(VALU_DEP_1) | instskip(NEXT) | instid1(VALU_DEP_1)
	v_add_f32_e32 v16, v16, v17
	v_add_f32_e32 v18, v16, v22
	v_add_co_u32 v16, vcc_lo, v38, v20
	v_add_co_ci_u32_e32 v17, vcc_lo, v39, v21, vcc_lo
	global_store_b32 v[16:17], v18, off
	s_or_b32 exec_lo, exec_lo, s0
	s_and_b32 s1, s5, s8
	s_delay_alu instid0(SALU_CYCLE_1)
	s_and_saveexec_b32 s0, s1
	s_cbranch_execz .LBB38_162
.LBB38_185:
	v_cmp_ne_u32_e32 vcc_lo, 1, v100
	v_lshlrev_b64 v[16:17], 2, v[58:59]
	s_cbranch_vccnz .LBB38_187
; %bb.186:
	s_delay_alu instid0(VALU_DEP_1) | instskip(NEXT) | instid1(VALU_DEP_2)
	v_add_co_u32 v18, vcc_lo, v40, v16
	v_add_co_ci_u32_e32 v19, vcc_lo, v41, v17, vcc_lo
	flat_load_b32 v18, v[18:19]
	s_waitcnt vmcnt(0) lgkmcnt(0)
	v_mul_f32_e32 v18, s15, v18
	s_branch .LBB38_188
.LBB38_187:
	v_mov_b32_e32 v18, 0
.LBB38_188:
	v_dual_max_f32 v19, v5, v5 :: v_dual_max_f32 v20, v4, v4
	v_dual_max_f32 v13, v13, v13 :: v_dual_max_f32 v12, v12, v12
	v_max_f32_e32 v21, v6, v6
	s_delay_alu instid0(VALU_DEP_2) | instskip(NEXT) | instid1(VALU_DEP_3)
	v_dual_max_f32 v14, v14, v14 :: v_dual_min_f32 v13, v13, v19
	v_dual_min_f32 v12, v12, v20 :: v_dual_max_f32 v19, v7, v7
	s_delay_alu instid0(VALU_DEP_2) | instskip(NEXT) | instid1(VALU_DEP_2)
	v_min_f32_e32 v14, v14, v21
	v_dual_add_f32 v13, v70, v13 :: v_dual_add_f32 v12, v71, v12
	s_delay_alu instid0(VALU_DEP_1) | instskip(NEXT) | instid1(VALU_DEP_1)
	v_dual_max_f32 v15, v15, v15 :: v_dual_add_f32 v12, v12, v14
	v_min_f32_e32 v15, v15, v19
	s_delay_alu instid0(VALU_DEP_1) | instskip(NEXT) | instid1(VALU_DEP_1)
	v_add_f32_e32 v13, v13, v15
	v_add_f32_e32 v12, v12, v13
	s_delay_alu instid0(VALU_DEP_1)
	v_add_f32_e32 v14, v12, v18
	v_add_co_u32 v12, vcc_lo, v38, v16
	v_add_co_ci_u32_e32 v13, vcc_lo, v39, v17, vcc_lo
	global_store_b32 v[12:13], v14, off
	s_or_b32 exec_lo, exec_lo, s0
	s_and_b32 s1, s6, s8
	s_delay_alu instid0(SALU_CYCLE_1)
	s_and_saveexec_b32 s0, s1
	s_cbranch_execz .LBB38_163
.LBB38_189:
	v_cmp_ne_u32_e32 vcc_lo, 1, v100
	v_lshlrev_b64 v[12:13], 2, v[60:61]
	s_cbranch_vccnz .LBB38_191
; %bb.190:
	s_delay_alu instid0(VALU_DEP_1) | instskip(NEXT) | instid1(VALU_DEP_2)
	v_add_co_u32 v14, vcc_lo, v40, v12
	v_add_co_ci_u32_e32 v15, vcc_lo, v41, v13, vcc_lo
	flat_load_b32 v14, v[14:15]
	s_waitcnt vmcnt(0) lgkmcnt(0)
	v_mul_f32_e32 v14, s15, v14
	s_branch .LBB38_192
.LBB38_191:
	v_mov_b32_e32 v14, 0
.LBB38_192:
	v_dual_max_f32 v15, v5, v5 :: v_dual_max_f32 v16, v4, v4
	v_dual_max_f32 v9, v9, v9 :: v_dual_max_f32 v8, v8, v8
	v_max_f32_e32 v17, v6, v6
	s_delay_alu instid0(VALU_DEP_2) | instskip(NEXT) | instid1(VALU_DEP_3)
	v_dual_max_f32 v10, v10, v10 :: v_dual_min_f32 v9, v9, v15
	v_dual_min_f32 v8, v8, v16 :: v_dual_max_f32 v15, v7, v7
	s_delay_alu instid0(VALU_DEP_2) | instskip(NEXT) | instid1(VALU_DEP_2)
	v_dual_min_f32 v10, v10, v17 :: v_dual_max_f32 v11, v11, v11
	v_dual_add_f32 v8, v68, v8 :: v_dual_add_f32 v9, v69, v9
	s_delay_alu instid0(VALU_DEP_1) | instskip(NEXT) | instid1(VALU_DEP_1)
	v_dual_add_f32 v8, v8, v10 :: v_dual_min_f32 v11, v11, v15
	v_add_f32_e32 v9, v9, v11
	s_delay_alu instid0(VALU_DEP_1) | instskip(NEXT) | instid1(VALU_DEP_1)
	v_add_f32_e32 v8, v8, v9
	v_add_f32_e32 v10, v8, v14
	v_add_co_u32 v8, vcc_lo, v38, v12
	v_add_co_ci_u32_e32 v9, vcc_lo, v39, v13, vcc_lo
	global_store_b32 v[8:9], v10, off
	s_or_b32 exec_lo, exec_lo, s0
	s_and_b32 s0, s7, s8
	s_delay_alu instid0(SALU_CYCLE_1)
	s_and_saveexec_b32 s1, s0
	s_cbranch_execz .LBB38_164
.LBB38_193:
	v_cmp_ne_u32_e32 vcc_lo, 1, v100
	v_lshlrev_b64 v[8:9], 2, v[62:63]
	s_cbranch_vccnz .LBB38_195
; %bb.194:
	s_delay_alu instid0(VALU_DEP_1) | instskip(NEXT) | instid1(VALU_DEP_2)
	v_add_co_u32 v10, vcc_lo, v40, v8
	v_add_co_ci_u32_e32 v11, vcc_lo, v41, v9, vcc_lo
	flat_load_b32 v10, v[10:11]
	s_waitcnt vmcnt(0) lgkmcnt(0)
	v_mul_f32_e32 v10, s15, v10
	s_branch .LBB38_196
.LBB38_195:
	v_mov_b32_e32 v10, 0
.LBB38_196:
	v_dual_max_f32 v5, v5, v5 :: v_dual_max_f32 v4, v4, v4
	v_dual_max_f32 v1, v1, v1 :: v_dual_max_f32 v0, v0, v0
	v_max_f32_e32 v6, v6, v6
	v_dual_max_f32 v2, v2, v2 :: v_dual_max_f32 v3, v3, v3
	s_delay_alu instid0(VALU_DEP_3) | instskip(NEXT) | instid1(VALU_DEP_2)
	v_dual_min_f32 v1, v1, v5 :: v_dual_min_f32 v0, v0, v4
	v_dual_max_f32 v5, v7, v7 :: v_dual_min_f32 v2, v2, v6
	s_delay_alu instid0(VALU_DEP_2) | instskip(NEXT) | instid1(VALU_DEP_1)
	v_dual_add_f32 v1, v67, v1 :: v_dual_add_f32 v0, v66, v0
	v_dual_min_f32 v3, v3, v5 :: v_dual_add_f32 v0, v0, v2
	s_delay_alu instid0(VALU_DEP_1) | instskip(NEXT) | instid1(VALU_DEP_1)
	v_add_f32_e32 v1, v1, v3
	v_add_f32_e32 v0, v0, v1
	s_delay_alu instid0(VALU_DEP_1)
	v_add_f32_e32 v2, v0, v10
	v_add_co_u32 v0, vcc_lo, v38, v8
	v_add_co_ci_u32_e32 v1, vcc_lo, v39, v9, vcc_lo
	global_store_b32 v[0:1], v2, off
	s_nop 0
	s_sendmsg sendmsg(MSG_DEALLOC_VGPRS)
	s_endpgm
	.section	.rodata,"a",@progbits
	.p2align	6, 0x0
	.amdhsa_kernel _ZN12_GLOBAL__N_120geam_min_plus_kernelIf15HIP_vector_typeIfLj2EES2_Li8ELi32ELi64ELi128ELi4ELi4ELi64ELi4ELi64ELc84ELc78ELb0ELb1ELb0EfKPKfKPfEEviiiT16_PT17_ilSA_ilS8_SA_ilPT18_ili26rocblas_geam_ex_operation_
		.amdhsa_group_segment_fixed_size 6144
		.amdhsa_private_segment_fixed_size 0
		.amdhsa_kernarg_size 128
		.amdhsa_user_sgpr_count 14
		.amdhsa_user_sgpr_dispatch_ptr 0
		.amdhsa_user_sgpr_queue_ptr 0
		.amdhsa_user_sgpr_kernarg_segment_ptr 1
		.amdhsa_user_sgpr_dispatch_id 0
		.amdhsa_user_sgpr_private_segment_size 0
		.amdhsa_wavefront_size32 1
		.amdhsa_uses_dynamic_stack 0
		.amdhsa_enable_private_segment 0
		.amdhsa_system_sgpr_workgroup_id_x 1
		.amdhsa_system_sgpr_workgroup_id_y 0
		.amdhsa_system_sgpr_workgroup_id_z 1
		.amdhsa_system_sgpr_workgroup_info 0
		.amdhsa_system_vgpr_workitem_id 1
		.amdhsa_next_free_vgpr 227
		.amdhsa_next_free_sgpr 29
		.amdhsa_reserve_vcc 1
		.amdhsa_float_round_mode_32 0
		.amdhsa_float_round_mode_16_64 0
		.amdhsa_float_denorm_mode_32 3
		.amdhsa_float_denorm_mode_16_64 3
		.amdhsa_dx10_clamp 1
		.amdhsa_ieee_mode 1
		.amdhsa_fp16_overflow 0
		.amdhsa_workgroup_processor_mode 1
		.amdhsa_memory_ordered 1
		.amdhsa_forward_progress 0
		.amdhsa_shared_vgpr_count 0
		.amdhsa_exception_fp_ieee_invalid_op 0
		.amdhsa_exception_fp_denorm_src 0
		.amdhsa_exception_fp_ieee_div_zero 0
		.amdhsa_exception_fp_ieee_overflow 0
		.amdhsa_exception_fp_ieee_underflow 0
		.amdhsa_exception_fp_ieee_inexact 0
		.amdhsa_exception_int_div_zero 0
	.end_amdhsa_kernel
	.section	.text._ZN12_GLOBAL__N_120geam_min_plus_kernelIf15HIP_vector_typeIfLj2EES2_Li8ELi32ELi64ELi128ELi4ELi4ELi64ELi4ELi64ELc84ELc78ELb0ELb1ELb0EfKPKfKPfEEviiiT16_PT17_ilSA_ilS8_SA_ilPT18_ili26rocblas_geam_ex_operation_,"axG",@progbits,_ZN12_GLOBAL__N_120geam_min_plus_kernelIf15HIP_vector_typeIfLj2EES2_Li8ELi32ELi64ELi128ELi4ELi4ELi64ELi4ELi64ELc84ELc78ELb0ELb1ELb0EfKPKfKPfEEviiiT16_PT17_ilSA_ilS8_SA_ilPT18_ili26rocblas_geam_ex_operation_,comdat
.Lfunc_end38:
	.size	_ZN12_GLOBAL__N_120geam_min_plus_kernelIf15HIP_vector_typeIfLj2EES2_Li8ELi32ELi64ELi128ELi4ELi4ELi64ELi4ELi64ELc84ELc78ELb0ELb1ELb0EfKPKfKPfEEviiiT16_PT17_ilSA_ilS8_SA_ilPT18_ili26rocblas_geam_ex_operation_, .Lfunc_end38-_ZN12_GLOBAL__N_120geam_min_plus_kernelIf15HIP_vector_typeIfLj2EES2_Li8ELi32ELi64ELi128ELi4ELi4ELi64ELi4ELi64ELc84ELc78ELb0ELb1ELb0EfKPKfKPfEEviiiT16_PT17_ilSA_ilS8_SA_ilPT18_ili26rocblas_geam_ex_operation_
                                        ; -- End function
	.section	.AMDGPU.csdata,"",@progbits
; Kernel info:
; codeLenInByte = 13328
; NumSgprs: 31
; NumVgprs: 227
; ScratchSize: 0
; MemoryBound: 0
; FloatMode: 240
; IeeeMode: 1
; LDSByteSize: 6144 bytes/workgroup (compile time only)
; SGPRBlocks: 3
; VGPRBlocks: 28
; NumSGPRsForWavesPerEU: 31
; NumVGPRsForWavesPerEU: 227
; Occupancy: 6
; WaveLimiterHint : 1
; COMPUTE_PGM_RSRC2:SCRATCH_EN: 0
; COMPUTE_PGM_RSRC2:USER_SGPR: 14
; COMPUTE_PGM_RSRC2:TRAP_HANDLER: 0
; COMPUTE_PGM_RSRC2:TGID_X_EN: 1
; COMPUTE_PGM_RSRC2:TGID_Y_EN: 0
; COMPUTE_PGM_RSRC2:TGID_Z_EN: 1
; COMPUTE_PGM_RSRC2:TIDIG_COMP_CNT: 1
	.section	.text._ZN12_GLOBAL__N_120geam_min_plus_kernelIf15HIP_vector_typeIfLj2EES2_Li8ELi32ELi64ELi128ELi4ELi64ELi4ELi64ELi4ELc78ELc84ELb0ELb0ELb0EPKfKS4_KPfEEviiiT16_PT17_ilSA_ilS8_SA_ilPT18_ili26rocblas_geam_ex_operation_,"axG",@progbits,_ZN12_GLOBAL__N_120geam_min_plus_kernelIf15HIP_vector_typeIfLj2EES2_Li8ELi32ELi64ELi128ELi4ELi64ELi4ELi64ELi4ELc78ELc84ELb0ELb0ELb0EPKfKS4_KPfEEviiiT16_PT17_ilSA_ilS8_SA_ilPT18_ili26rocblas_geam_ex_operation_,comdat
	.globl	_ZN12_GLOBAL__N_120geam_min_plus_kernelIf15HIP_vector_typeIfLj2EES2_Li8ELi32ELi64ELi128ELi4ELi64ELi4ELi64ELi4ELc78ELc84ELb0ELb0ELb0EPKfKS4_KPfEEviiiT16_PT17_ilSA_ilS8_SA_ilPT18_ili26rocblas_geam_ex_operation_ ; -- Begin function _ZN12_GLOBAL__N_120geam_min_plus_kernelIf15HIP_vector_typeIfLj2EES2_Li8ELi32ELi64ELi128ELi4ELi64ELi4ELi64ELi4ELc78ELc84ELb0ELb0ELb0EPKfKS4_KPfEEviiiT16_PT17_ilSA_ilS8_SA_ilPT18_ili26rocblas_geam_ex_operation_
	.p2align	8
	.type	_ZN12_GLOBAL__N_120geam_min_plus_kernelIf15HIP_vector_typeIfLj2EES2_Li8ELi32ELi64ELi128ELi4ELi64ELi4ELi64ELi4ELc78ELc84ELb0ELb0ELb0EPKfKS4_KPfEEviiiT16_PT17_ilSA_ilS8_SA_ilPT18_ili26rocblas_geam_ex_operation_,@function
_ZN12_GLOBAL__N_120geam_min_plus_kernelIf15HIP_vector_typeIfLj2EES2_Li8ELi32ELi64ELi128ELi4ELi64ELi4ELi64ELi4ELc78ELc84ELb0ELb0ELb0EPKfKS4_KPfEEviiiT16_PT17_ilSA_ilS8_SA_ilPT18_ili26rocblas_geam_ex_operation_: ; @_ZN12_GLOBAL__N_120geam_min_plus_kernelIf15HIP_vector_typeIfLj2EES2_Li8ELi32ELi64ELi128ELi4ELi64ELi4ELi64ELi4ELc78ELc84ELb0ELb0ELb0EPKfKS4_KPfEEviiiT16_PT17_ilSA_ilS8_SA_ilPT18_ili26rocblas_geam_ex_operation_
; %bb.0:
	s_clause 0x1
	s_load_b128 s[16:19], s[0:1], 0x10
	s_load_b128 s[4:7], s[0:1], 0x28
	s_mov_b32 s20, s15
	s_mov_b32 s21, 0
	s_mov_b64 s[12:13], 0
	s_lshl_b64 s[2:3], s[20:21], 2
	s_waitcnt lgkmcnt(0)
	s_add_u32 s8, s16, s2
	s_addc_u32 s9, s17, s3
	s_load_b32 s22, s[8:9], 0x0
	s_clause 0x1
	s_load_b128 s[8:11], s[0:1], 0x40
	s_load_b64 s[16:17], s[0:1], 0x50
	s_waitcnt lgkmcnt(0)
	v_cmp_eq_f32_e64 s15, s22, 0
	v_cmp_neq_f32_e64 s23, s22, 0
	s_add_u32 s2, s10, s2
	s_addc_u32 s3, s11, s3
	s_mov_b64 s[10:11], 0
	s_and_b32 vcc_lo, exec_lo, s15
	s_cbranch_vccnz .LBB39_2
; %bb.1:
	s_lshl_b64 s[10:11], s[20:21], 3
	s_delay_alu instid0(SALU_CYCLE_1)
	s_add_u32 s10, s18, s10
	s_addc_u32 s11, s19, s11
	s_lshl_b64 s[4:5], s[4:5], 2
	s_load_b64 s[10:11], s[10:11], 0x0
	s_waitcnt lgkmcnt(0)
	s_add_u32 s10, s10, s4
	s_addc_u32 s11, s11, s5
.LBB39_2:
	s_load_b32 s15, s[2:3], 0x0
	v_cndmask_b32_e64 v1, 0, 1, s23
	s_and_not1_b32 vcc_lo, exec_lo, s23
	s_delay_alu instid0(VALU_DEP_1)
	v_cmp_ne_u32_e64 s3, 1, v1
	s_cbranch_vccnz .LBB39_4
; %bb.3:
	s_lshl_b64 s[4:5], s[20:21], 3
	s_delay_alu instid0(SALU_CYCLE_1)
	s_add_u32 s4, s6, s4
	s_addc_u32 s5, s7, s5
	s_lshl_b64 s[6:7], s[8:9], 2
	s_load_b64 s[4:5], s[4:5], 0x0
	s_waitcnt lgkmcnt(0)
	s_add_u32 s12, s4, s6
	s_addc_u32 s13, s5, s7
.LBB39_4:
	s_load_b128 s[4:7], s[0:1], 0x60
	s_waitcnt lgkmcnt(0)
	v_cmp_eq_f32_e64 s2, s15, 0
	s_delay_alu instid0(VALU_DEP_1) | instskip(NEXT) | instid1(SALU_CYCLE_1)
	s_and_b32 s2, exec_lo, s2
	s_mov_b32 vcc_lo, s2
	s_cbranch_vccnz .LBB39_6
; %bb.5:
	s_lshl_b64 s[8:9], s[20:21], 3
	s_delay_alu instid0(SALU_CYCLE_1)
	s_add_u32 s8, s16, s8
	s_addc_u32 s9, s17, s9
	s_lshl_b64 s[4:5], s[4:5], 2
	s_load_b64 s[8:9], s[8:9], 0x0
	s_waitcnt lgkmcnt(0)
	s_add_u32 s4, s8, s4
	s_addc_u32 s5, s9, s5
	s_branch .LBB39_7
.LBB39_6:
	s_mov_b64 s[4:5], 0
.LBB39_7:
	s_clause 0x1
	s_load_b32 s16, s[0:1], 0x20
	s_load_b32 s18, s[0:1], 0x0
	s_lshl_b64 s[8:9], s[20:21], 3
	v_and_b32_e32 v56, 0x3ff, v0
	v_bfe_u32 v57, v0, 10, 10
	s_waitcnt lgkmcnt(0)
	s_ashr_i32 s17, s16, 31
	s_add_u32 s6, s6, s8
	s_addc_u32 s7, s7, s9
	s_add_i32 s8, s18, -1
	s_delay_alu instid0(SALU_CYCLE_1) | instskip(NEXT) | instid1(SALU_CYCLE_1)
	s_ashr_i32 s9, s8, 31
	s_lshr_b32 s9, s9, 26
	s_delay_alu instid0(SALU_CYCLE_1) | instskip(NEXT) | instid1(SALU_CYCLE_1)
	s_add_i32 s8, s8, s9
	s_ashr_i32 s8, s8, 6
	s_delay_alu instid0(SALU_CYCLE_1) | instskip(SKIP_2) | instid1(VALU_DEP_1)
	s_add_i32 s18, s8, 1
	s_not_b32 s8, s8
	v_cvt_f32_u32_e32 v1, s18
	v_rcp_iflag_f32_e32 v1, v1
	s_waitcnt_depctr 0xfff
	v_mul_f32_e32 v1, 0x4f7ffffe, v1
	s_delay_alu instid0(VALU_DEP_1) | instskip(NEXT) | instid1(VALU_DEP_1)
	v_cvt_u32_f32_e32 v1, v1
	v_readfirstlane_b32 s9, v1
	v_lshl_add_u32 v1, v57, 3, v56
	s_delay_alu instid0(VALU_DEP_2) | instskip(NEXT) | instid1(VALU_DEP_1)
	s_mul_i32 s8, s8, s9
	v_and_b32_e32 v5, 63, v1
	s_mul_hi_u32 s8, s9, s8
	v_lshrrev_b32_e32 v4, 6, v1
	s_add_i32 s9, s9, s8
	s_delay_alu instid0(SALU_CYCLE_1) | instskip(NEXT) | instid1(SALU_CYCLE_1)
	s_mul_hi_u32 s8, s14, s9
	s_mul_i32 s9, s8, s18
	s_add_i32 s19, s8, 1
	s_sub_i32 s9, s14, s9
	s_delay_alu instid0(SALU_CYCLE_1)
	s_sub_i32 s20, s9, s18
	s_cmp_ge_u32 s9, s18
	s_cselect_b32 s8, s19, s8
	s_cselect_b32 s9, s20, s9
	s_add_i32 s19, s8, 1
	s_cmp_ge_u32 s9, s18
	s_cselect_b32 s9, s19, s8
	s_and_b32 vcc_lo, exec_lo, s3
	s_mul_i32 s21, s9, s18
	s_delay_alu instid0(SALU_CYCLE_1) | instskip(NEXT) | instid1(SALU_CYCLE_1)
	s_sub_i32 s8, s14, s21
	s_lshl_b32 s18, s8, 6
	s_delay_alu instid0(SALU_CYCLE_1) | instskip(NEXT) | instid1(VALU_DEP_1)
	v_or_b32_e32 v0, s18, v5
	v_ashrrev_i32_e32 v1, 31, v0
	s_cbranch_vccnz .LBB39_9
; %bb.8:
	v_mad_i64_i32 v[2:3], null, s16, v4, 0
	s_delay_alu instid0(VALU_DEP_2) | instskip(NEXT) | instid1(VALU_DEP_2)
	v_lshlrev_b64 v[6:7], 2, v[0:1]
	v_lshlrev_b64 v[2:3], 2, v[2:3]
	s_delay_alu instid0(VALU_DEP_1) | instskip(NEXT) | instid1(VALU_DEP_2)
	v_add_co_u32 v2, vcc_lo, s10, v2
	v_add_co_ci_u32_e32 v3, vcc_lo, s11, v3, vcc_lo
	s_delay_alu instid0(VALU_DEP_2) | instskip(NEXT) | instid1(VALU_DEP_2)
	v_add_co_u32 v2, vcc_lo, v2, v6
	v_add_co_ci_u32_e32 v3, vcc_lo, v3, v7, vcc_lo
	flat_load_b32 v2, v[2:3]
	s_waitcnt vmcnt(0) lgkmcnt(0)
	v_mul_f32_e32 v6, s22, v2
	s_branch .LBB39_10
.LBB39_9:
	v_mov_b32_e32 v6, 0
.LBB39_10:
	s_load_b32 s8, s[0:1], 0x38
	s_lshl_b32 s19, s9, 7
	s_and_b32 vcc_lo, exec_lo, s3
	v_or_b32_e32 v2, s19, v5
	s_delay_alu instid0(VALU_DEP_1)
	v_ashrrev_i32_e32 v3, 31, v2
	s_waitcnt lgkmcnt(0)
	s_ashr_i32 s9, s8, 31
	s_cbranch_vccnz .LBB39_14
; %bb.11:
	v_mad_i64_i32 v[7:8], null, s8, v4, 0
	v_lshlrev_b64 v[9:10], 2, v[2:3]
	s_delay_alu instid0(VALU_DEP_2) | instskip(NEXT) | instid1(VALU_DEP_1)
	v_lshlrev_b64 v[7:8], 2, v[7:8]
	v_add_co_u32 v7, vcc_lo, s12, v7
	s_delay_alu instid0(VALU_DEP_2) | instskip(NEXT) | instid1(VALU_DEP_2)
	v_add_co_ci_u32_e32 v8, vcc_lo, s13, v8, vcc_lo
	v_add_co_u32 v7, vcc_lo, v7, v9
	s_delay_alu instid0(VALU_DEP_2)
	v_add_co_ci_u32_e32 v8, vcc_lo, v8, v10, vcc_lo
	s_clause 0x1
	flat_load_b32 v9, v[7:8]
	flat_load_b32 v8, v[7:8] offset:256
	s_waitcnt vmcnt(0) lgkmcnt(0)
	v_dual_mul_f32 v7, s22, v9 :: v_dual_mul_f32 v8, s22, v8
	v_add_nc_u32_e32 v9, 4, v4
	s_and_b32 vcc_lo, exec_lo, s3
	s_cbranch_vccnz .LBB39_15
.LBB39_12:
	s_delay_alu instid0(VALU_DEP_1) | instskip(SKIP_1) | instid1(VALU_DEP_2)
	v_mad_i64_i32 v[10:11], null, s16, v9, 0
	v_lshlrev_b64 v[0:1], 2, v[0:1]
	v_lshlrev_b64 v[10:11], 2, v[10:11]
	s_delay_alu instid0(VALU_DEP_1) | instskip(NEXT) | instid1(VALU_DEP_2)
	v_add_co_u32 v10, vcc_lo, s10, v10
	v_add_co_ci_u32_e32 v11, vcc_lo, s11, v11, vcc_lo
	s_delay_alu instid0(VALU_DEP_2) | instskip(NEXT) | instid1(VALU_DEP_2)
	v_add_co_u32 v0, vcc_lo, v10, v0
	v_add_co_ci_u32_e32 v1, vcc_lo, v11, v1, vcc_lo
	flat_load_b32 v0, v[0:1]
	s_waitcnt vmcnt(0) lgkmcnt(0)
	v_mul_f32_e32 v0, s22, v0
	s_and_b32 vcc_lo, exec_lo, s3
	s_cbranch_vccnz .LBB39_16
.LBB39_13:
	v_mad_i64_i32 v[10:11], null, s8, v9, 0
	v_lshlrev_b64 v[1:2], 2, v[2:3]
	s_delay_alu instid0(VALU_DEP_2) | instskip(NEXT) | instid1(VALU_DEP_1)
	v_lshlrev_b64 v[9:10], 2, v[10:11]
	v_add_co_u32 v3, vcc_lo, s12, v9
	s_delay_alu instid0(VALU_DEP_2) | instskip(NEXT) | instid1(VALU_DEP_2)
	v_add_co_ci_u32_e32 v9, vcc_lo, s13, v10, vcc_lo
	v_add_co_u32 v1, vcc_lo, v3, v1
	s_delay_alu instid0(VALU_DEP_2)
	v_add_co_ci_u32_e32 v2, vcc_lo, v9, v2, vcc_lo
	s_clause 0x1
	flat_load_b32 v3, v[1:2]
	flat_load_b32 v2, v[1:2] offset:256
	s_waitcnt vmcnt(0) lgkmcnt(0)
	v_dual_mul_f32 v1, s22, v3 :: v_dual_mul_f32 v2, s22, v2
	s_branch .LBB39_17
.LBB39_14:
	v_dual_mov_b32 v7, 0 :: v_dual_mov_b32 v8, 0
	v_add_nc_u32_e32 v9, 4, v4
	s_and_b32 vcc_lo, exec_lo, s3
	s_cbranch_vccz .LBB39_12
.LBB39_15:
	v_mov_b32_e32 v0, 0
	s_and_b32 vcc_lo, exec_lo, s3
	s_cbranch_vccz .LBB39_13
.LBB39_16:
	v_dual_mov_b32 v1, 0 :: v_dual_mov_b32 v2, 0
.LBB39_17:
	v_lshlrev_b32_e32 v3, 2, v4
	v_lshlrev_b32_e32 v58, 4, v57
	v_lshlrev_b32_e32 v59, 4, v56
	s_load_b64 s[6:7], s[6:7], 0x0
	s_load_b32 s20, s[0:1], 0x8
	v_lshl_add_u32 v72, v5, 4, v3
	ds_store_b32 v72, v6 offset:4096
	ds_store_2addr_stride64_b32 v72, v7, v8 offset1:4
	s_waitcnt lgkmcnt(0)
	s_barrier
	buffer_gl0_inv
	ds_load_b128 v[6:9], v58
	ds_load_b128 v[10:13], v59 offset:4096
	ds_load_b128 v[14:17], v59 offset:4224
	;; [unrolled: 1-line block ×11, first 2 shown]
	ds_store_b32 v72, v0 offset:5120
	ds_store_2addr_stride64_b32 v72, v1, v2 offset0:8 offset1:12
	s_waitcnt lgkmcnt(0)
	s_barrier
	buffer_gl0_inv
	v_max_f32_e32 v3, v6, v6
	v_max_f32_e32 v6, v10, v10
	;; [unrolled: 1-line block ×4, first 2 shown]
	v_dual_max_f32 v11, v14, v14 :: v_dual_max_f32 v14, v15, v15
	v_dual_max_f32 v15, v18, v18 :: v_dual_max_f32 v18, v19, v19
	;; [unrolled: 1-line block ×3, first 2 shown]
	v_max_f32_e32 v26, v26, v26
	v_max_f32_e32 v19, v22, v22
	v_dual_max_f32 v27, v27, v27 :: v_dual_max_f32 v42, v42, v42
	v_max_f32_e32 v43, v43, v43
	v_dual_min_f32 v22, v6, v3 :: v_dual_max_f32 v9, v9, v9
	v_dual_min_f32 v54, v10, v7 :: v_dual_max_f32 v13, v13, v13
	;; [unrolled: 1-line block ×5, first 2 shown]
	v_min_f32_e32 v64, v23, v7
	v_dual_min_f32 v63, v19, v3 :: v_dual_max_f32 v8, v8, v8
	v_dual_min_f32 v65, v26, v3 :: v_dual_max_f32 v12, v12, v12
	v_dual_max_f32 v31, v31, v31 :: v_dual_max_f32 v16, v16, v16
	v_dual_max_f32 v35, v35, v35 :: v_dual_max_f32 v20, v20, v20
	v_dual_min_f32 v80, v26, v42 :: v_dual_min_f32 v81, v27, v43
	v_dual_max_f32 v46, v46, v46 :: v_dual_max_f32 v47, v47, v47
	v_dual_max_f32 v50, v50, v50 :: v_dual_max_f32 v51, v51, v51
	v_dual_min_f32 v62, v18, v7 :: v_dual_max_f32 v21, v21, v21
	v_dual_min_f32 v66, v27, v7 :: v_dual_min_f32 v71, v6, v42
	v_dual_min_f32 v67, v30, v3 :: v_dual_min_f32 v74, v11, v42
	v_dual_min_f32 v68, v31, v7 :: v_dual_max_f32 v25, v25, v25
	v_dual_max_f32 v39, v39, v39 :: v_dual_max_f32 v24, v24, v24
	v_dual_min_f32 v79, v23, v43 :: v_dual_min_f32 v82, v30, v42
	v_min_f32_e32 v83, v31, v43
	v_min_f32_e32 v127, v30, v46
	;; [unrolled: 1-line block ×3, first 2 shown]
	v_dual_min_f32 v30, v30, v50 :: v_dual_min_f32 v131, v31, v47
	v_dual_min_f32 v89, v14, v47 :: v_dual_add_f32 v54, 0, v54
	v_dual_min_f32 v130, v27, v47 :: v_dual_min_f32 v91, v13, v9
	v_dual_min_f32 v132, v35, v47 :: v_dual_min_f32 v93, v17, v9
	v_dual_min_f32 v27, v27, v51 :: v_dual_add_f32 v22, 0, v22
	v_dual_min_f32 v31, v31, v51 :: v_dual_min_f32 v92, v12, v8
	v_dual_add_f32 v60, 0, v60 :: v_dual_min_f32 v69, v34, v3
	v_min_f32_e32 v76, v15, v42
	v_dual_min_f32 v70, v35, v7 :: v_dual_max_f32 v29, v29, v29
	v_dual_min_f32 v3, v38, v3 :: v_dual_min_f32 v78, v19, v42
	v_dual_min_f32 v7, v39, v7 :: v_dual_max_f32 v28, v28, v28
	v_dual_min_f32 v73, v10, v43 :: v_dual_max_f32 v32, v32, v32
	;; [unrolled: 1-line block ×4, first 2 shown]
	v_dual_max_f32 v33, v33, v33 :: v_dual_min_f32 v84, v34, v42
	v_dual_max_f32 v37, v37, v37 :: v_dual_min_f32 v86, v11, v46
	v_min_f32_e32 v42, v38, v42
	v_dual_min_f32 v85, v6, v46 :: v_dual_max_f32 v44, v44, v44
	v_dual_min_f32 v87, v15, v46 :: v_dual_min_f32 v88, v10, v47
	v_dual_min_f32 v125, v19, v46 :: v_dual_min_f32 v90, v18, v47
	v_dual_max_f32 v49, v49, v49 :: v_dual_min_f32 v126, v26, v46
	v_dual_max_f32 v53, v53, v53 :: v_dual_min_f32 v46, v38, v46
	v_min_f32_e32 v6, v6, v50
	v_dual_min_f32 v11, v11, v50 :: v_dual_min_f32 v10, v10, v51
	v_dual_min_f32 v15, v15, v50 :: v_dual_min_f32 v14, v14, v51
	;; [unrolled: 1-line block ×6, first 2 shown]
	v_min_f32_e32 v50, v35, v43
	v_min_f32_e32 v43, v39, v43
	v_min_f32_e32 v35, v35, v51
	v_dual_min_f32 v39, v39, v51 :: v_dual_add_f32 v124, v92, v22
	v_dual_add_f32 v123, v91, v54 :: v_dual_add_f32 v22, 0, v55
	v_dual_add_f32 v121, v93, v60 :: v_dual_add_f32 v54, 0, v62
	v_dual_min_f32 v51, v16, v8 :: v_dual_add_f32 v60, 0, v61
	v_dual_min_f32 v55, v21, v9 :: v_dual_add_f32 v62, 0, v64
	v_dual_min_f32 v61, v20, v8 :: v_dual_min_f32 v64, v25, v9
	s_delay_alu instid0(VALU_DEP_3) | instskip(SKIP_1) | instid1(VALU_DEP_3)
	v_dual_add_f32 v63, 0, v63 :: v_dual_add_f32 v122, v51, v22
	v_dual_min_f32 v91, v24, v8 :: v_dual_add_f32 v22, 0, v66
	v_dual_add_f32 v119, v55, v54 :: v_dual_add_f32 v120, v61, v60
	v_dual_min_f32 v51, v29, v9 :: v_dual_add_f32 v60, 0, v68
	v_min_f32_e32 v61, v33, v9
	v_dual_max_f32 v45, v45, v45 :: v_dual_max_f32 v52, v52, v52
	v_dual_add_f32 v117, v64, v62 :: v_dual_add_f32 v118, v91, v63
	v_dual_add_f32 v54, 0, v65 :: v_dual_min_f32 v55, v28, v8
	v_dual_add_f32 v62, 0, v67 :: v_dual_min_f32 v63, v32, v8
	;; [unrolled: 1-line block ×3, first 2 shown]
	s_delay_alu instid0(VALU_DEP_3) | instskip(SKIP_1) | instid1(VALU_DEP_4)
	v_add_f32_e32 v116, v55, v54
	v_dual_add_f32 v115, v51, v22 :: v_dual_add_f32 v22, 0, v69
	v_dual_add_f32 v113, v61, v60 :: v_dual_add_f32 v114, v63, v62
	v_dual_min_f32 v51, v36, v8 :: v_dual_add_f32 v60, 0, v71
	v_min_f32_e32 v61, v12, v44
	v_dual_max_f32 v41, v41, v41 :: v_dual_max_f32 v48, v48, v48
	v_dual_add_f32 v111, v65, v64 :: v_dual_add_f32 v54, 0, v73
	v_dual_add_f32 v7, 0, v7 :: v_dual_min_f32 v8, v40, v8
	s_delay_alu instid0(VALU_DEP_4) | instskip(SKIP_2) | instid1(VALU_DEP_3)
	v_dual_add_f32 v3, 0, v3 :: v_dual_add_f32 v108, v61, v60
	v_min_f32_e32 v55, v13, v45
	v_dual_min_f32 v9, v41, v9 :: v_dual_add_f32 v112, v51, v22
	v_add_f32_e32 v110, v8, v3
	v_add_f32_e32 v8, 0, v74
	s_delay_alu instid0(VALU_DEP_4) | instskip(SKIP_3) | instid1(VALU_DEP_3)
	v_dual_add_f32 v107, v55, v54 :: v_dual_add_f32 v54, 0, v76
	v_min_f32_e32 v55, v20, v44
	v_dual_add_f32 v109, v9, v7 :: v_dual_add_f32 v22, 0, v77
	v_dual_min_f32 v7, v17, v45 :: v_dual_add_f32 v60, 0, v79
	v_dual_min_f32 v9, v16, v44 :: v_dual_add_f32 v104, v55, v54
	v_add_f32_e32 v3, 0, v75
	v_dual_min_f32 v61, v25, v45 :: v_dual_add_f32 v54, 0, v83
	v_min_f32_e32 v51, v21, v45
	s_delay_alu instid0(VALU_DEP_3) | instskip(NEXT) | instid1(VALU_DEP_3)
	v_dual_add_f32 v106, v9, v8 :: v_dual_add_f32 v105, v7, v3
	v_dual_add_f32 v100, v61, v60 :: v_dual_add_f32 v3, 0, v78
	v_dual_min_f32 v7, v24, v44 :: v_dual_add_f32 v60, 0, v82
	v_add_f32_e32 v8, 0, v81
	v_min_f32_e32 v9, v29, v45
	v_dual_min_f32 v55, v33, v45 :: v_dual_add_f32 v42, 0, v42
	v_min_f32_e32 v61, v32, v44
	s_cmp_lt_i32 s20, 9
	s_delay_alu instid0(VALU_DEP_3)
	v_add_f32_e32 v99, v9, v8
	v_add_f32_e32 v8, 0, v84
	v_dual_add_f32 v102, v7, v3 :: v_dual_add_f32 v3, 0, v50
	v_dual_min_f32 v50, v13, v49 :: v_dual_add_f32 v103, v51, v22
	v_add_f32_e32 v98, v61, v60
	v_add_f32_e32 v22, 0, v80
	v_min_f32_e32 v51, v28, v44
	v_min_f32_e32 v9, v36, v44
	v_dual_min_f32 v44, v40, v44 :: v_dual_min_f32 v7, v37, v45
	v_min_f32_e32 v13, v13, v53
	s_delay_alu instid0(VALU_DEP_4) | instskip(NEXT) | instid1(VALU_DEP_3)
	v_dual_add_f32 v101, v51, v22 :: v_dual_add_f32 v22, 0, v43
	v_dual_min_f32 v43, v41, v45 :: v_dual_add_f32 v94, v44, v42
	v_min_f32_e32 v42, v16, v48
	v_dual_min_f32 v44, v21, v49 :: v_dual_add_f32 v97, v55, v54
	s_delay_alu instid0(VALU_DEP_3)
	v_dual_add_f32 v96, v9, v8 :: v_dual_add_f32 v93, v43, v22
	v_add_f32_e32 v8, 0, v89
	v_dual_min_f32 v9, v17, v49 :: v_dual_add_f32 v22, 0, v86
	v_add_f32_e32 v95, v7, v3
	v_add_f32_e32 v3, 0, v85
	v_min_f32_e32 v7, v12, v48
	v_add_f32_e32 v43, 0, v90
	v_dual_add_f32 v89, v9, v8 :: v_dual_add_f32 v90, v42, v22
	v_dual_add_f32 v8, 0, v125 :: v_dual_add_f32 v45, 0, v88
	s_delay_alu instid0(VALU_DEP_4)
	v_add_f32_e32 v92, v7, v3
	v_add_f32_e32 v22, 0, v130
	v_min_f32_e32 v42, v29, v49
	v_add_f32_e32 v3, 0, v129
	v_add_f32_e32 v91, v50, v45
	v_dual_add_f32 v45, 0, v87 :: v_dual_min_f32 v50, v20, v48
	v_min_f32_e32 v7, v25, v49
	v_dual_add_f32 v83, v42, v22 :: v_dual_min_f32 v42, v36, v48
	v_add_f32_e32 v22, 0, v128
	s_delay_alu instid0(VALU_DEP_4) | instskip(SKIP_1) | instid1(VALU_DEP_3)
	v_dual_add_f32 v88, v50, v45 :: v_dual_add_f32 v45, 0, v131
	v_dual_min_f32 v50, v33, v49 :: v_dual_min_f32 v9, v24, v48
	v_dual_add_f32 v81, v42, v22 :: v_dual_min_f32 v12, v12, v52
	v_add_f32_e32 v22, 0, v31
	s_delay_alu instid0(VALU_DEP_3) | instskip(NEXT) | instid1(VALU_DEP_4)
	v_dual_add_f32 v80, v50, v45 :: v_dual_add_f32 v87, v44, v43
	v_dual_add_f32 v86, v9, v8 :: v_dual_add_f32 v43, 0, v126
	v_min_f32_e32 v44, v28, v48
	v_dual_add_f32 v8, 0, v132 :: v_dual_add_f32 v85, v7, v3
	v_min_f32_e32 v7, v32, v48
	s_delay_alu instid0(VALU_DEP_3) | instskip(SKIP_2) | instid1(VALU_DEP_1)
	v_dual_add_f32 v45, 0, v46 :: v_dual_add_f32 v84, v44, v43
	v_dual_add_f32 v43, 0, v47 :: v_dual_min_f32 v44, v41, v49
	v_dual_min_f32 v9, v37, v49 :: v_dual_min_f32 v46, v40, v48
	v_dual_add_f32 v76, v44, v43 :: v_dual_add_f32 v79, v9, v8
	v_add_f32_e32 v8, 0, v14
	v_add_f32_e32 v14, 0, v23
	s_delay_alu instid0(VALU_DEP_4) | instskip(SKIP_2) | instid1(VALU_DEP_3)
	v_dual_add_f32 v3, 0, v127 :: v_dual_add_f32 v78, v46, v45
	v_add_f32_e32 v9, 0, v15
	v_dual_add_f32 v15, 0, v26 :: v_dual_add_f32 v26, 0, v35
	v_dual_add_f32 v82, v7, v3 :: v_dual_add_f32 v3, 0, v6
	;; [unrolled: 1-line block ×4, first 2 shown]
	s_delay_alu instid0(VALU_DEP_2) | instskip(SKIP_3) | instid1(VALU_DEP_3)
	v_dual_add_f32 v18, 0, v27 :: v_dual_add_f32 v75, v13, v6
	v_dual_min_f32 v6, v17, v53 :: v_dual_add_f32 v27, 0, v38
	v_dual_add_f32 v19, 0, v30 :: v_dual_add_f32 v30, 0, v39
	v_add_f32_e32 v77, v12, v3
	v_dual_add_f32 v73, v6, v8 :: v_dual_min_f32 v6, v25, v53
	v_dual_min_f32 v13, v16, v52 :: v_dual_min_f32 v16, v21, v53
	v_min_f32_e32 v8, v28, v52
	s_delay_alu instid0(VALU_DEP_3) | instskip(NEXT) | instid1(VALU_DEP_3)
	v_add_f32_e32 v68, v6, v14
	v_dual_add_f32 v23, 0, v34 :: v_dual_add_f32 v74, v13, v7
	s_delay_alu instid0(VALU_DEP_4) | instskip(NEXT) | instid1(VALU_DEP_4)
	v_add_f32_e32 v69, v16, v10
	v_dual_add_f32 v67, v8, v15 :: v_dual_min_f32 v8, v41, v53
	v_min_f32_e32 v7, v29, v53
	v_min_f32_e32 v6, v33, v53
	s_delay_alu instid0(VALU_DEP_3) | instskip(NEXT) | instid1(VALU_DEP_3)
	v_add_f32_e32 v60, v8, v30
	v_dual_min_f32 v3, v20, v52 :: v_dual_add_f32 v66, v7, v18
	s_delay_alu instid0(VALU_DEP_3) | instskip(SKIP_1) | instid1(VALU_DEP_3)
	v_add_f32_e32 v62, v6, v22
	v_dual_min_f32 v6, v37, v53 :: v_dual_min_f32 v7, v36, v52
	v_add_f32_e32 v71, v3, v9
	v_min_f32_e32 v3, v24, v52
	s_delay_alu instid0(VALU_DEP_3) | instskip(NEXT) | instid1(VALU_DEP_4)
	v_dual_min_f32 v9, v40, v52 :: v_dual_add_f32 v64, v6, v26
	v_add_f32_e32 v63, v7, v23
	s_delay_alu instid0(VALU_DEP_3) | instskip(NEXT) | instid1(VALU_DEP_3)
	v_dual_add_f32 v70, v3, v11 :: v_dual_min_f32 v3, v32, v52
	v_add_f32_e32 v61, v9, v27
	s_delay_alu instid0(VALU_DEP_2)
	v_add_f32_e32 v65, v3, v19
	s_cbranch_scc1 .LBB39_31
; %bb.18:
	v_add_nc_u32_e32 v6, 12, v4
	v_add_nc_u32_e32 v2, s19, v5
	v_lshl_or_b32 v5, s14, 6, v5
	s_lshl_b32 s14, s21, 6
	v_add_nc_u32_e32 v10, 8, v4
	v_mad_i64_i32 v[0:1], null, v6, s8, 0
	v_ashrrev_i32_e32 v3, 31, v2
	v_or_b32_e32 v125, 0x1000, v72
	s_delay_alu instid0(VALU_DEP_4) | instskip(SKIP_1) | instid1(VALU_DEP_4)
	v_mad_i64_i32 v[8:9], null, v10, s16, 0
	v_add_nc_u32_e32 v126, 0x1000, v59
	v_lshlrev_b64 v[2:3], 2, v[2:3]
	v_lshlrev_b64 v[48:49], 2, v[0:1]
	v_subrev_nc_u32_e32 v0, s14, v5
	v_mad_i64_i32 v[4:5], null, v6, s16, 0
	v_mad_i64_i32 v[6:7], null, v10, s8, 0
	s_delay_alu instid0(VALU_DEP_3) | instskip(SKIP_2) | instid1(VALU_DEP_3)
	v_ashrrev_i32_e32 v1, 31, v0
	v_add_co_u32 v131, vcc_lo, s12, v2
	v_add_co_ci_u32_e32 v132, vcc_lo, s13, v3, vcc_lo
	v_lshlrev_b64 v[0:1], 2, v[0:1]
	v_lshlrev_b64 v[50:51], 2, v[4:5]
	;; [unrolled: 1-line block ×4, first 2 shown]
	v_add_nc_u32_e32 v127, 0x1400, v72
	v_or_b32_e32 v128, 0x800, v72
	v_add_co_u32 v133, vcc_lo, s10, v0
	v_lshl_add_u32 v129, v56, 4, 0x1400
	v_lshl_add_u32 v130, v57, 4, 0x800
	v_add_co_ci_u32_e32 v134, vcc_lo, s11, v1, vcc_lo
	s_add_i32 s20, s20, -8
	s_lshl_b64 s[8:9], s[8:9], 5
	s_lshl_b64 s[10:11], s[16:17], 5
	s_mov_b32 s12, 0
	s_branch .LBB39_21
.LBB39_19:                              ;   in Loop: Header=BB39_21 Depth=1
	v_add_co_u32 v0, vcc_lo, v131, v48
	v_add_co_ci_u32_e32 v1, vcc_lo, v132, v49, vcc_lo
	s_clause 0x1
	flat_load_b32 v218, v[0:1]
	flat_load_b32 v1, v[0:1] offset:256
	s_waitcnt vmcnt(0) lgkmcnt(0)
	v_dual_mul_f32 v0, s22, v218 :: v_dual_mul_f32 v1, s22, v1
.LBB39_20:                              ;   in Loop: Header=BB39_21 Depth=1
	v_dual_add_f32 v36, v36, v124 :: v_dual_add_f32 v41, v41, v122
	v_dual_add_f32 v40, v40, v123 :: v_dual_add_f32 v29, v29, v120
	;; [unrolled: 1-line block ×13, first 2 shown]
	ds_load_b128 v[20:23], v58
	ds_load_b128 v[28:31], v126
	v_dual_add_f32 v32, v32, v119 :: v_dual_add_f32 v37, v37, v117
	v_dual_add_f32 v12, v12, v109 :: v_dual_add_f32 v17, v17, v107
	;; [unrolled: 1-line block ×26, first 2 shown]
	ds_load_b128 v[8:11], v126 offset:128
	v_dual_add_f32 v136, v14, v62 :: v_dual_add_f32 v65, v3, v65
	s_waitcnt lgkmcnt(2)
	v_dual_add_f32 v64, v15, v64 :: v_dual_max_f32 v21, v21, v21
	v_dual_add_f32 v6, v6, v63 :: v_dual_add_f32 v137, v19, v46
	ds_load_b128 v[2:5], v126 offset:256
	ds_load_b128 v[12:15], v126 offset:384
	;; [unrolled: 1-line block ×5, first 2 shown]
	v_dual_add_f32 v7, v7, v43 :: v_dual_max_f32 v20, v20, v20
	s_waitcnt lgkmcnt(6)
	v_dual_max_f32 v28, v28, v28 :: v_dual_max_f32 v29, v29, v29
	v_dual_add_f32 v100, v139, v100 :: v_dual_add_f32 v99, v141, v99
	ds_load_b128 v[36:39], v126 offset:768
	ds_load_b128 v[40:43], v126 offset:896
	v_dual_min_f32 v138, v28, v20 :: v_dual_min_f32 v139, v29, v21
	v_dual_add_f32 v121, v190, v45 :: v_dual_add_f32 v122, v181, v44
	ds_load_b128 v[44:47], v58 offset:1024
	ds_load_b128 v[60:63], v58 offset:1536
	s_waitcnt lgkmcnt(9)
	v_dual_max_f32 v8, v8, v8 :: v_dual_max_f32 v9, v9, v9
	v_add_f32_e32 v95, v138, v95
	s_waitcnt lgkmcnt(8)
	v_dual_max_f32 v2, v2, v2 :: v_dual_max_f32 v3, v3, v3
	v_add_f32_e32 v94, v139, v94
	s_waitcnt lgkmcnt(7)
	v_dual_max_f32 v12, v12, v12 :: v_dual_max_f32 v13, v13, v13
	s_delay_alu instid0(VALU_DEP_3)
	v_min_f32_e32 v139, v2, v20
	s_waitcnt lgkmcnt(6)
	v_dual_max_f32 v16, v16, v16 :: v_dual_max_f32 v17, v17, v17
	v_min_f32_e32 v140, v8, v20
	s_waitcnt lgkmcnt(5)
	v_max_f32_e32 v24, v24, v24
	v_dual_add_f32 v108, v139, v108 :: v_dual_min_f32 v139, v13, v21
	s_waitcnt lgkmcnt(2)
	v_dual_max_f32 v36, v36, v36 :: v_dual_max_f32 v41, v41, v41
	v_max_f32_e32 v25, v25, v25
	v_max_f32_e32 v37, v37, v37
	v_add_f32_e32 v109, v139, v109
	v_min_f32_e32 v139, v17, v21
	v_min_f32_e32 v138, v9, v21
	v_max_f32_e32 v40, v40, v40
	v_dual_max_f32 v32, v32, v32 :: v_dual_max_f32 v33, v33, v33
	s_delay_alu instid0(VALU_DEP_4) | instskip(NEXT) | instid1(VALU_DEP_4)
	v_dual_add_f32 v111, v139, v111 :: v_dual_add_f32 v106, v140, v106
	v_add_f32_e32 v105, v138, v105
	v_dual_min_f32 v138, v3, v21 :: v_dual_min_f32 v139, v36, v20
	v_min_f32_e32 v140, v12, v20
	v_dual_add_f32 v98, v142, v98 :: v_dual_add_f32 v97, v143, v97
	s_delay_alu instid0(VALU_DEP_3) | instskip(NEXT) | instid1(VALU_DEP_3)
	v_dual_add_f32 v107, v138, v107 :: v_dual_min_f32 v138, v16, v20
	v_add_f32_e32 v110, v140, v110
	v_dual_min_f32 v140, v25, v21 :: v_dual_add_f32 v139, v139, v116
	s_delay_alu instid0(VALU_DEP_4) | instskip(NEXT) | instid1(VALU_DEP_4)
	v_dual_add_f32 v100, v192, v100 :: v_dual_add_f32 v97, v194, v97
	v_add_f32_e32 v112, v138, v112
	v_min_f32_e32 v138, v24, v20
	s_delay_alu instid0(VALU_DEP_4) | instskip(SKIP_2) | instid1(VALU_DEP_4)
	v_dual_add_f32 v113, v140, v113 :: v_dual_add_f32 v104, v182, v104
	v_add_f32_e32 v99, v193, v99
	v_dual_add_f32 v101, v184, v101 :: v_dual_add_f32 v98, v185, v98
	v_add_f32_e32 v114, v138, v114
	v_min_f32_e32 v138, v37, v21
	v_dual_min_f32 v21, v41, v21 :: v_dual_min_f32 v20, v40, v20
	s_waitcnt lgkmcnt(1)
	v_max_f32_e32 v44, v44, v44
	v_dual_add_f32 v96, v186, v96 :: v_dual_add_f32 v93, v204, v93
	s_delay_alu instid0(VALU_DEP_3) | instskip(SKIP_4) | instid1(VALU_DEP_4)
	v_dual_add_f32 v138, v138, v115 :: v_dual_add_f32 v21, v21, v117
	v_min_f32_e32 v117, v3, v33
	v_dual_min_f32 v115, v28, v32 :: v_dual_min_f32 v116, v29, v33
	v_dual_max_f32 v45, v45, v45 :: v_dual_add_f32 v88, v150, v88
	v_add_f32_e32 v87, v151, v87
	v_add_f32_e32 v103, v117, v103
	v_min_f32_e32 v117, v24, v32
	v_dual_add_f32 v140, v115, v120 :: v_dual_add_f32 v141, v116, v119
	v_dual_min_f32 v115, v9, v33 :: v_dual_add_f32 v20, v20, v118
	v_min_f32_e32 v118, v8, v32
	v_dual_add_f32 v86, v152, v86 :: v_dual_add_f32 v85, v153, v85
	s_delay_alu instid0(VALU_DEP_3) | instskip(NEXT) | instid1(VALU_DEP_3)
	v_add_f32_e32 v143, v115, v121
	v_dual_min_f32 v115, v13, v33 :: v_dual_add_f32 v142, v118, v122
	v_min_f32_e32 v118, v12, v32
	v_dual_add_f32 v92, v196, v92 :: v_dual_add_f32 v89, v206, v89
	s_delay_alu instid0(VALU_DEP_3) | instskip(SKIP_3) | instid1(VALU_DEP_4)
	v_dual_add_f32 v100, v115, v100 :: v_dual_min_f32 v115, v17, v33
	v_min_f32_e32 v116, v2, v32
	v_dual_add_f32 v84, v154, v84 :: v_dual_add_f32 v83, v155, v83
	v_dual_add_f32 v87, v207, v87 :: v_dual_add_f32 v88, v198, v88
	v_add_f32_e32 v99, v115, v99
	v_dual_min_f32 v115, v37, v33 :: v_dual_add_f32 v102, v118, v102
	v_min_f32_e32 v118, v25, v33
	v_min_f32_e32 v33, v41, v33
	v_dual_add_f32 v85, v208, v85 :: v_dual_add_f32 v86, v199, v86
	s_delay_alu instid0(VALU_DEP_4) | instskip(NEXT) | instid1(VALU_DEP_4)
	v_dual_add_f32 v144, v115, v123 :: v_dual_min_f32 v115, v28, v44
	v_dual_add_f32 v104, v116, v104 :: v_dual_add_f32 v97, v118, v97
	s_delay_alu instid0(VALU_DEP_4) | instskip(SKIP_2) | instid1(VALU_DEP_3)
	v_dual_min_f32 v116, v16, v32 :: v_dual_add_f32 v33, v33, v93
	v_min_f32_e32 v93, v9, v45
	v_dual_add_f32 v98, v117, v98 :: v_dual_min_f32 v117, v8, v44
	v_add_f32_e32 v101, v116, v101
	v_min_f32_e32 v116, v36, v32
	s_delay_alu instid0(VALU_DEP_4) | instskip(NEXT) | instid1(VALU_DEP_4)
	v_dual_min_f32 v32, v40, v32 :: v_dual_add_f32 v89, v93, v89
	v_dual_add_f32 v90, v117, v90 :: v_dual_min_f32 v117, v12, v44
	s_delay_alu instid0(VALU_DEP_3) | instskip(SKIP_1) | instid1(VALU_DEP_4)
	v_add_f32_e32 v96, v116, v96
	v_min_f32_e32 v116, v29, v45
	v_dual_add_f32 v32, v32, v124 :: v_dual_min_f32 v93, v13, v45
	v_add_f32_e32 v92, v115, v92
	v_min_f32_e32 v115, v2, v44
	s_delay_alu instid0(VALU_DEP_4)
	v_add_f32_e32 v91, v116, v91
	v_dual_add_f32 v82, v156, v82 :: v_dual_add_f32 v81, v158, v81
	v_dual_add_f32 v80, v157, v80 :: v_dual_add_f32 v79, v159, v79
	;; [unrolled: 1-line block ×3, first 2 shown]
	v_min_f32_e32 v116, v3, v45
	v_dual_add_f32 v88, v115, v88 :: v_dual_add_f32 v85, v93, v85
	v_min_f32_e32 v115, v16, v44
	s_waitcnt lgkmcnt(0)
	v_dual_min_f32 v93, v17, v45 :: v_dual_max_f32 v60, v60, v60
	v_max_f32_e32 v61, v61, v61
	v_dual_add_f32 v82, v201, v82 :: v_dual_add_f32 v79, v214, v79
	v_dual_add_f32 v87, v116, v87 :: v_dual_add_f32 v86, v117, v86
	v_dual_min_f32 v116, v24, v44 :: v_dual_min_f32 v117, v25, v45
	v_add_f32_e32 v84, v115, v84
	v_min_f32_e32 v115, v36, v44
	s_delay_alu instid0(VALU_DEP_3) | instskip(SKIP_4) | instid1(VALU_DEP_3)
	v_dual_add_f32 v83, v93, v83 :: v_dual_add_f32 v82, v116, v82
	v_dual_min_f32 v93, v37, v45 :: v_dual_min_f32 v44, v40, v44
	v_dual_min_f32 v25, v25, v61 :: v_dual_min_f32 v36, v36, v60
	v_min_f32_e32 v37, v37, v61
	v_dual_add_f32 v76, v161, v76 :: v_dual_add_f32 v75, v163, v75
	v_dual_add_f32 v25, v25, v136 :: v_dual_max_f32 v22, v22, v22
	s_delay_alu instid0(VALU_DEP_4) | instskip(NEXT) | instid1(VALU_DEP_4)
	v_add_f32_e32 v6, v36, v6
	v_dual_add_f32 v36, v37, v64 :: v_dual_max_f32 v23, v23, v23
	v_dual_min_f32 v37, v40, v60 :: v_dual_max_f32 v30, v30, v30
	v_dual_add_f32 v80, v210, v80 :: v_dual_add_f32 v75, v216, v75
	v_dual_min_f32 v45, v41, v45 :: v_dual_min_f32 v28, v28, v60
	v_dual_min_f32 v29, v29, v61 :: v_dual_min_f32 v8, v8, v60
	v_min_f32_e32 v9, v9, v61
	v_dual_max_f32 v31, v31, v31 :: v_dual_min_f32 v40, v41, v61
	v_dual_max_f32 v11, v11, v11 :: v_dual_max_f32 v10, v10, v10
	v_min_f32_e32 v41, v30, v22
	v_dual_max_f32 v5, v5, v5 :: v_dual_max_f32 v14, v14, v14
	v_dual_add_f32 v29, v29, v75 :: v_dual_min_f32 v2, v2, v60
	v_dual_add_f32 v8, v8, v74 :: v_dual_add_f32 v9, v9, v73
	v_dual_min_f32 v12, v12, v60 :: v_dual_min_f32 v13, v13, v61
	v_dual_min_f32 v16, v16, v60 :: v_dual_min_f32 v17, v17, v61
	v_dual_min_f32 v24, v24, v60 :: v_dual_add_f32 v7, v37, v7
	v_dual_add_f32 v40, v40, v137 :: v_dual_min_f32 v37, v31, v23
	v_max_f32_e32 v4, v4, v4
	v_min_f32_e32 v60, v11, v23
	v_add_f32_e32 v124, v41, v95
	v_dual_min_f32 v41, v5, v23 :: v_dual_max_f32 v18, v18, v18
	v_max_f32_e32 v15, v15, v15
	v_add_f32_e32 v123, v37, v94
	v_min_f32_e32 v37, v10, v22
	s_delay_alu instid0(VALU_DEP_4) | instskip(SKIP_1) | instid1(VALU_DEP_3)
	v_dual_add_f32 v119, v41, v107 :: v_dual_max_f32 v26, v26, v26
	v_min_f32_e32 v41, v14, v22
	v_dual_add_f32 v121, v60, v105 :: v_dual_add_f32 v122, v37, v106
	v_max_f32_e32 v19, v19, v19
	v_dual_add_f32 v81, v202, v81 :: v_dual_add_f32 v76, v215, v76
	s_delay_alu instid0(VALU_DEP_4) | instskip(SKIP_2) | instid1(VALU_DEP_4)
	v_add_f32_e32 v118, v41, v110
	v_min_f32_e32 v41, v18, v22
	v_dual_min_f32 v37, v4, v22 :: v_dual_add_f32 v80, v117, v80
	v_dual_add_f32 v81, v115, v81 :: v_dual_max_f32 v38, v38, v38
	s_delay_alu instid0(VALU_DEP_3) | instskip(NEXT) | instid1(VALU_DEP_3)
	v_add_f32_e32 v116, v41, v112
	v_dual_add_f32 v120, v37, v108 :: v_dual_min_f32 v37, v19, v23
	v_min_f32_e32 v60, v15, v23
	v_dual_max_f32 v34, v34, v34 :: v_dual_max_f32 v35, v35, v35
	v_max_f32_e32 v43, v43, v43
	s_delay_alu instid0(VALU_DEP_4) | instskip(SKIP_4) | instid1(VALU_DEP_3)
	v_add_f32_e32 v115, v37, v111
	v_max_f32_e32 v37, v39, v39
	v_dual_add_f32 v117, v60, v109 :: v_dual_min_f32 v60, v26, v22
	v_dual_max_f32 v27, v27, v27 :: v_dual_add_f32 v78, v160, v78
	v_add_f32_e32 v77, v162, v77
	v_dual_min_f32 v41, v37, v23 :: v_dual_add_f32 v114, v60, v114
	s_delay_alu instid0(VALU_DEP_3) | instskip(NEXT) | instid1(VALU_DEP_3)
	v_min_f32_e32 v39, v27, v23
	v_dual_add_f32 v78, v211, v78 :: v_dual_add_f32 v77, v212, v77
	s_delay_alu instid0(VALU_DEP_3) | instskip(SKIP_1) | instid1(VALU_DEP_4)
	v_add_f32_e32 v111, v41, v138
	v_max_f32_e32 v41, v42, v42
	v_dual_min_f32 v42, v30, v34 :: v_dual_add_f32 v113, v39, v113
	v_min_f32_e32 v39, v38, v22
	v_dual_add_f32 v79, v93, v79 :: v_dual_add_f32 v44, v44, v78
	s_delay_alu instid0(VALU_DEP_4) | instskip(SKIP_2) | instid1(VALU_DEP_3)
	v_min_f32_e32 v22, v41, v22
	v_dual_add_f32 v45, v45, v76 :: v_dual_add_f32 v28, v28, v77
	v_dual_min_f32 v3, v3, v61 :: v_dual_add_f32 v2, v2, v71
	v_add_f32_e32 v110, v22, v20
	v_min_f32_e32 v20, v10, v34
	v_dual_min_f32 v22, v4, v34 :: v_dual_min_f32 v23, v43, v23
	s_delay_alu instid0(VALU_DEP_4) | instskip(NEXT) | instid1(VALU_DEP_3)
	v_dual_add_f32 v3, v3, v69 :: v_dual_add_f32 v12, v12, v70
	v_add_f32_e32 v106, v20, v142
	v_min_f32_e32 v20, v14, v34
	s_delay_alu instid0(VALU_DEP_4)
	v_add_f32_e32 v104, v22, v104
	v_min_f32_e32 v22, v27, v35
	v_add_f32_e32 v112, v39, v139
	v_min_f32_e32 v39, v31, v35
	v_dual_add_f32 v109, v23, v21 :: v_dual_add_f32 v102, v20, v102
	v_dual_min_f32 v21, v11, v35 :: v_dual_min_f32 v20, v18, v34
	s_delay_alu instid0(VALU_DEP_3)
	v_add_f32_e32 v107, v39, v141
	v_add_f32_e32 v97, v22, v97
	v_dual_max_f32 v22, v46, v46 :: v_dual_add_f32 v13, v13, v68
	v_add_f32_e32 v16, v16, v67
	v_dual_add_f32 v101, v20, v101 :: v_dual_min_f32 v20, v38, v34
	v_dual_add_f32 v17, v17, v66 :: v_dual_add_f32 v24, v24, v65
	v_add_co_u32 v131, vcc_lo, v131, s8
	s_delay_alu instid0(VALU_DEP_3) | instskip(SKIP_2) | instid1(VALU_DEP_3)
	v_dual_add_f32 v96, v20, v96 :: v_dual_min_f32 v23, v15, v35
	v_add_co_ci_u32_e32 v132, vcc_lo, s9, v132, vcc_lo
	v_add_co_u32 v133, vcc_lo, v133, s10
	v_dual_add_f32 v100, v23, v100 :: v_dual_min_f32 v23, v26, v34
	v_add_f32_e32 v105, v21, v143
	v_min_f32_e32 v21, v5, v35
	v_min_f32_e32 v34, v41, v34
	v_add_f32_e32 v108, v42, v140
	v_add_f32_e32 v98, v23, v98
	v_add_co_ci_u32_e32 v134, vcc_lo, s11, v134, vcc_lo
	v_add_f32_e32 v103, v21, v103
	v_dual_min_f32 v21, v19, v35 :: v_dual_add_f32 v94, v34, v32
	s_add_i32 s12, s12, 8
	ds_store_b32 v127, v135
	ds_store_2addr_stride64_b32 v128, v0, v1 offset1:4
	s_cmp_ge_i32 s12, s20
	v_add_f32_e32 v99, v21, v99
	v_min_f32_e32 v21, v37, v35
	s_waitcnt lgkmcnt(0)
	s_barrier
	buffer_gl0_inv
	v_add_f32_e32 v95, v21, v144
	v_max_f32_e32 v21, v47, v47
	s_delay_alu instid0(VALU_DEP_1) | instskip(NEXT) | instid1(VALU_DEP_1)
	v_min_f32_e32 v20, v31, v21
	v_dual_add_f32 v91, v20, v91 :: v_dual_min_f32 v20, v10, v22
	s_delay_alu instid0(VALU_DEP_1) | instskip(SKIP_1) | instid1(VALU_DEP_1)
	v_add_f32_e32 v90, v20, v90
	v_min_f32_e32 v20, v14, v22
	v_dual_add_f32 v86, v20, v86 :: v_dual_min_f32 v23, v43, v35
	v_dual_min_f32 v32, v5, v21 :: v_dual_min_f32 v35, v30, v22
	s_delay_alu instid0(VALU_DEP_1) | instskip(NEXT) | instid1(VALU_DEP_3)
	v_dual_min_f32 v20, v27, v21 :: v_dual_add_f32 v87, v32, v87
	v_dual_min_f32 v32, v18, v22 :: v_dual_add_f32 v93, v23, v33
	s_delay_alu instid0(VALU_DEP_2) | instskip(NEXT) | instid1(VALU_DEP_2)
	v_dual_min_f32 v23, v11, v21 :: v_dual_add_f32 v80, v20, v80
	v_dual_min_f32 v33, v15, v21 :: v_dual_add_f32 v84, v32, v84
	v_max_f32_e32 v32, v63, v63
	s_delay_alu instid0(VALU_DEP_3) | instskip(SKIP_1) | instid1(VALU_DEP_4)
	v_dual_add_f32 v89, v23, v89 :: v_dual_min_f32 v20, v38, v22
	v_min_f32_e32 v23, v4, v22
	v_add_f32_e32 v85, v33, v85
	s_delay_alu instid0(VALU_DEP_4) | instskip(SKIP_1) | instid1(VALU_DEP_4)
	v_min_f32_e32 v5, v5, v32
	v_add_f32_e32 v92, v35, v92
	v_add_f32_e32 v88, v23, v88
	v_min_f32_e32 v23, v19, v21
	s_delay_alu instid0(VALU_DEP_4) | instskip(SKIP_1) | instid1(VALU_DEP_3)
	v_add_f32_e32 v69, v5, v3
	v_min_f32_e32 v3, v15, v32
	v_add_f32_e32 v83, v23, v83
	v_min_f32_e32 v23, v37, v21
	s_delay_alu instid0(VALU_DEP_3) | instskip(SKIP_1) | instid1(VALU_DEP_3)
	v_add_f32_e32 v68, v3, v13
	v_min_f32_e32 v3, v27, v32
	v_add_f32_e32 v79, v23, v79
	v_max_f32_e32 v23, v62, v62
	v_min_f32_e32 v33, v26, v22
	v_min_f32_e32 v21, v43, v21
	;; [unrolled: 1-line block ×3, first 2 shown]
	v_add_f32_e32 v81, v20, v81
	v_min_f32_e32 v4, v4, v23
	v_min_f32_e32 v20, v30, v23
	;; [unrolled: 1-line block ×3, first 2 shown]
	v_dual_min_f32 v5, v18, v23 :: v_dual_min_f32 v22, v41, v22
	s_delay_alu instid0(VALU_DEP_4)
	v_dual_add_f32 v71, v4, v2 :: v_dual_min_f32 v2, v14, v23
	v_min_f32_e32 v4, v19, v32
	v_add_f32_e32 v75, v31, v29
	v_min_f32_e32 v11, v11, v32
	v_add_f32_e32 v77, v20, v28
	v_add_f32_e32 v74, v10, v8
	v_min_f32_e32 v8, v41, v23
	v_add_f32_e32 v70, v2, v12
	v_dual_add_f32 v66, v4, v17 :: v_dual_add_f32 v67, v5, v16
	v_min_f32_e32 v2, v26, v23
	v_dual_add_f32 v62, v3, v25 :: v_dual_min_f32 v3, v37, v32
	v_dual_min_f32 v4, v38, v23 :: v_dual_min_f32 v5, v43, v32
	v_add_f32_e32 v82, v33, v82
	v_add_f32_e32 v76, v21, v45
	v_dual_add_f32 v78, v22, v44 :: v_dual_add_f32 v73, v11, v9
	s_delay_alu instid0(VALU_DEP_4)
	v_add_f32_e32 v60, v5, v40
	v_add_f32_e32 v65, v2, v24
	v_dual_add_f32 v64, v3, v36 :: v_dual_add_f32 v63, v4, v6
	v_add_f32_e32 v61, v8, v7
	s_cbranch_scc1 .LBB39_31
.LBB39_21:                              ; =>This Inner Loop Header: Depth=1
	s_and_b32 vcc_lo, exec_lo, s3
	s_cbranch_vccnz .LBB39_24
; %bb.22:                               ;   in Loop: Header=BB39_21 Depth=1
	v_add_co_u32 v0, vcc_lo, v133, v54
	v_add_co_ci_u32_e32 v1, vcc_lo, v134, v55, vcc_lo
	flat_load_b32 v0, v[0:1]
	s_waitcnt vmcnt(0) lgkmcnt(0)
	v_mul_f32_e32 v135, s22, v0
	s_and_b32 vcc_lo, exec_lo, s3
	s_cbranch_vccnz .LBB39_25
.LBB39_23:                              ;   in Loop: Header=BB39_21 Depth=1
	v_add_co_u32 v0, vcc_lo, v131, v52
	v_add_co_ci_u32_e32 v1, vcc_lo, v132, v53, vcc_lo
	s_clause 0x1
	flat_load_b32 v2, v[0:1]
	flat_load_b32 v0, v[0:1] offset:256
	s_waitcnt vmcnt(0) lgkmcnt(0)
	v_dual_mul_f32 v136, s22, v2 :: v_dual_mul_f32 v137, s22, v0
	s_branch .LBB39_26
.LBB39_24:                              ;   in Loop: Header=BB39_21 Depth=1
	v_mov_b32_e32 v135, 0
	s_and_b32 vcc_lo, exec_lo, s3
	s_cbranch_vccz .LBB39_23
.LBB39_25:                              ;   in Loop: Header=BB39_21 Depth=1
	v_dual_mov_b32 v136, 0 :: v_dual_mov_b32 v137, 0
.LBB39_26:                              ;   in Loop: Header=BB39_21 Depth=1
	ds_load_b128 v[40:43], v129
	ds_load_b128 v[36:39], v129 offset:128
	ds_load_b128 v[32:35], v129 offset:256
	;; [unrolled: 1-line block ×7, first 2 shown]
	ds_load_b128 v[44:47], v130
	ds_load_b128 v[8:11], v130 offset:512
	ds_load_b128 v[4:7], v130 offset:1024
	;; [unrolled: 1-line block ×3, first 2 shown]
	s_and_b32 vcc_lo, exec_lo, s3
	ds_store_b32 v125, v135
	ds_store_2addr_stride64_b32 v72, v136, v137 offset1:4
	s_waitcnt lgkmcnt(0)
	s_barrier
	buffer_gl0_inv
	s_cbranch_vccnz .LBB39_28
; %bb.27:                               ;   in Loop: Header=BB39_21 Depth=1
	v_add_co_u32 v135, vcc_lo, v133, v50
	v_add_co_ci_u32_e32 v136, vcc_lo, v134, v51, vcc_lo
	flat_load_b32 v135, v[135:136]
	s_waitcnt vmcnt(0) lgkmcnt(0)
	v_mul_f32_e32 v135, s22, v135
	s_branch .LBB39_29
.LBB39_28:                              ;   in Loop: Header=BB39_21 Depth=1
	v_mov_b32_e32 v135, 0
.LBB39_29:                              ;   in Loop: Header=BB39_21 Depth=1
	v_dual_max_f32 v44, v44, v44 :: v_dual_max_f32 v45, v45, v45
	v_dual_max_f32 v162, v40, v40 :: v_dual_max_f32 v163, v41, v41
	;; [unrolled: 1-line block ×6, first 2 shown]
	v_dual_min_f32 v36, v162, v44 :: v_dual_max_f32 v167, v33, v33
	v_dual_max_f32 v166, v32, v32 :: v_dual_max_f32 v169, v29, v29
	v_max_f32_e32 v168, v28, v28
	v_dual_max_f32 v172, v20, v20 :: v_dual_max_f32 v173, v21, v21
	v_dual_min_f32 v16, v170, v44 :: v_dual_max_f32 v177, v13, v13
	v_dual_max_f32 v145, v8, v8 :: v_dual_max_f32 v146, v9, v9
	v_max_f32_e32 v176, v12, v12
	v_dual_min_f32 v158, v174, v160 :: v_dual_max_f32 v1, v1, v1
	v_dual_max_f32 v0, v0, v0 :: v_dual_min_f32 v159, v175, v161
	v_dual_max_f32 v179, v46, v46 :: v_dual_max_f32 v180, v47, v47
	v_dual_max_f32 v218, v30, v30 :: v_dual_max_f32 v219, v31, v31
	v_dual_min_f32 v40, v163, v45 :: v_dual_min_f32 v41, v164, v44
	v_dual_min_f32 v28, v165, v45 :: v_dual_min_f32 v29, v166, v44
	v_min_f32_e32 v37, v169, v45
	v_dual_min_f32 v32, v167, v45 :: v_dual_min_f32 v33, v168, v44
	v_dual_min_f32 v20, v171, v45 :: v_dual_min_f32 v21, v172, v44
	;; [unrolled: 1-line block ×4, first 2 shown]
	v_min_f32_e32 v13, v162, v145
	v_dual_min_f32 v8, v175, v45 :: v_dual_min_f32 v9, v176, v44
	v_dual_min_f32 v44, v164, v145 :: v_dual_min_f32 v45, v165, v146
	;; [unrolled: 1-line block ×6, first 2 shown]
	v_min_f32_e32 v144, v174, v145
	v_dual_min_f32 v4, v175, v146 :: v_dual_min_f32 v5, v176, v145
	v_dual_min_f32 v145, v177, v146 :: v_dual_min_f32 v146, v162, v160
	;; [unrolled: 1-line block ×14, first 2 shown]
	v_dual_min_f32 v175, v175, v1 :: v_dual_max_f32 v212, v42, v42
	v_max_f32_e32 v213, v43, v43
	v_dual_max_f32 v217, v38, v38 :: v_dual_min_f32 v46, v177, v1
	v_dual_min_f32 v43, v176, v0 :: v_dual_max_f32 v0, v39, v39
	v_max_f32_e32 v1, v34, v34
	v_dual_min_f32 v39, v219, v180 :: v_dual_max_f32 v220, v26, v26
	v_dual_max_f32 v223, v23, v23 :: v_dual_max_f32 v224, v18, v18
	v_dual_max_f32 v19, v19, v19 :: v_dual_max_f32 v10, v10, v10
	;; [unrolled: 1-line block ×3, first 2 shown]
	v_dual_min_f32 v160, v176, v160 :: v_dual_min_f32 v161, v177, v161
	v_dual_max_f32 v221, v27, v27 :: v_dual_max_f32 v222, v22, v22
	v_max_f32_e32 v176, v35, v35
	v_dual_min_f32 v18, v220, v179 :: v_dual_max_f32 v225, v14, v14
	v_dual_max_f32 v226, v15, v15 :: v_dual_min_f32 v181, v217, v10
	v_max_f32_e32 v11, v11, v11
	v_dual_min_f32 v210, v223, v7 :: v_dual_max_f32 v227, v2, v2
	s_delay_alu instid0(VALU_DEP_4)
	v_dual_max_f32 v228, v3, v3 :: v_dual_min_f32 v211, v225, v6
	v_dual_min_f32 v38, v212, v179 :: v_dual_min_f32 v47, v213, v180
	v_min_f32_e32 v42, v217, v179
	v_dual_min_f32 v34, v0, v180 :: v_dual_min_f32 v31, v218, v179
	v_min_f32_e32 v177, v221, v180
	v_dual_min_f32 v30, v1, v179 :: v_dual_min_f32 v35, v176, v180
	v_dual_min_f32 v22, v222, v179 :: v_dual_min_f32 v187, v19, v180
	;; [unrolled: 1-line block ×5, first 2 shown]
	v_min_f32_e32 v184, v220, v10
	v_dual_min_f32 v190, v0, v11 :: v_dual_min_f32 v183, v218, v10
	v_dual_min_f32 v182, v1, v10 :: v_dual_min_f32 v191, v176, v11
	;; [unrolled: 1-line block ×12, first 2 shown]
	v_min_f32_e32 v214, v19, v7
	v_dual_min_f32 v215, v226, v7 :: v_dual_min_f32 v216, v213, v228
	v_dual_min_f32 v212, v212, v227 :: v_dual_min_f32 v27, v219, v228
	;; [unrolled: 1-line block ×4, first 2 shown]
	v_min_f32_e32 v15, v19, v228
	v_dual_min_f32 v11, v218, v227 :: v_dual_min_f32 v176, v221, v228
	v_dual_min_f32 v2, v220, v227 :: v_dual_min_f32 v19, v226, v228
	;; [unrolled: 1-line block ×3, first 2 shown]
	v_min_f32_e32 v6, v224, v227
	v_min_f32_e32 v7, v225, v227
	s_and_b32 vcc_lo, exec_lo, s3
	s_cbranch_vccz .LBB39_19
; %bb.30:                               ;   in Loop: Header=BB39_21 Depth=1
	v_dual_mov_b32 v0, 0 :: v_dual_mov_b32 v1, 0
	s_branch .LBB39_20
.LBB39_31:
	s_load_b32 s8, s[0:1], 0x58
	v_add_nc_u32_e32 v48, s19, v57
	ds_load_b128 v[0:3], v59 offset:5120
	ds_load_b128 v[40:43], v58 offset:2048
	v_add_nc_u32_e32 v46, s18, v56
	v_cmp_neq_f32_e64 s9, s15, 0
	v_mov_b32_e32 v52, 0
	v_mov_b32_e32 v50, 0
	s_delay_alu instid0(VALU_DEP_4) | instskip(NEXT) | instid1(VALU_DEP_4)
	v_ashrrev_i32_e32 v47, 31, v46
	s_and_b32 vcc_lo, exec_lo, s9
	s_delay_alu instid0(VALU_DEP_1) | instskip(SKIP_2) | instid1(VALU_DEP_1)
	v_lshlrev_b64 v[44:45], 2, v[46:47]
	s_waitcnt lgkmcnt(0)
	v_mad_i64_i32 v[4:5], null, v48, s8, 0
	v_lshlrev_b64 v[4:5], 2, v[4:5]
	s_delay_alu instid0(VALU_DEP_1) | instskip(NEXT) | instid1(VALU_DEP_1)
	v_add_co_u32 v125, s3, s4, v4
	v_add_co_ci_u32_e64 v126, s3, s5, v5, s3
	s_cbranch_vccz .LBB39_33
; %bb.32:
	s_delay_alu instid0(VALU_DEP_2) | instskip(NEXT) | instid1(VALU_DEP_2)
	v_add_co_u32 v4, vcc_lo, v125, v44
	v_add_co_ci_u32_e32 v5, vcc_lo, v126, v45, vcc_lo
	flat_load_b32 v4, v[4:5]
	s_waitcnt vmcnt(0) lgkmcnt(0)
	v_mul_f32_e32 v50, s15, v4
.LBB39_33:
	ds_load_b128 v[36:39], v59 offset:5248
	ds_load_b128 v[32:35], v59 offset:5376
	;; [unrolled: 1-line block ×4, first 2 shown]
	s_clause 0x1
	s_load_b32 s3, s[0:1], 0x70
	s_load_b64 s[0:1], s[0:1], 0x78
	v_dual_max_f32 v127, v40, v40 :: v_dual_max_f32 v128, v41, v41
	v_max_f32_e32 v47, v0, v0
	v_max_f32_e32 v49, v1, v1
	ds_load_b128 v[20:23], v59 offset:5760
	ds_load_b128 v[16:19], v59 offset:5888
	;; [unrolled: 1-line block ×5, first 2 shown]
	v_dual_min_f32 v0, v47, v127 :: v_dual_min_f32 v1, v49, v128
	s_delay_alu instid0(VALU_DEP_1) | instskip(NEXT) | instid1(VALU_DEP_2)
	v_dual_add_f32 v51, v0, v124 :: v_dual_max_f32 v124, v42, v42
	v_dual_max_f32 v42, v2, v2 :: v_dual_add_f32 v53, v1, v123
	v_max_f32_e32 v129, v43, v43
	v_max_f32_e32 v43, v3, v3
	s_waitcnt lgkmcnt(0)
	v_mad_i64_i32 v[40:41], null, v48, s3, 0
	v_min_f32_e32 v55, v42, v124
	ds_load_b128 v[0:3], v58 offset:3584
	v_min_f32_e32 v54, v43, v129
	s_lshl_b64 s[10:11], s[0:1], 2
	v_add_f32_e32 v51, v55, v51
	v_lshlrev_b64 v[40:41], 2, v[40:41]
	s_delay_alu instid0(VALU_DEP_3) | instskip(SKIP_3) | instid1(VALU_DEP_2)
	v_dual_add_f32 v56, v54, v53 :: v_dual_add_nc_u32 v53, 8, v46
	s_add_u32 s1, s6, s10
	s_addc_u32 s6, s7, s11
	v_cndmask_b32_e64 v55, 0, 1, s9
	v_add_f32_e32 v51, v51, v56
	v_add_co_u32 v123, vcc_lo, s1, v40
	v_ashrrev_i32_e32 v54, 31, v53
	v_add_co_ci_u32_e32 v130, vcc_lo, s6, v41, vcc_lo
	s_delay_alu instid0(VALU_DEP_4) | instskip(NEXT) | instid1(VALU_DEP_4)
	v_add_f32_e32 v56, v51, v50
	v_add_co_u32 v50, vcc_lo, v123, v44
	s_delay_alu instid0(VALU_DEP_4)
	v_lshlrev_b64 v[40:41], 2, v[53:54]
	v_cmp_ne_u32_e64 s0, 1, v55
	v_add_co_ci_u32_e32 v51, vcc_lo, v130, v45, vcc_lo
	s_and_not1_b32 vcc_lo, exec_lo, s9
	global_store_b32 v[50:51], v56, off
	s_cbranch_vccnz .LBB39_35
; %bb.34:
	v_add_co_u32 v50, vcc_lo, v125, v40
	v_add_co_ci_u32_e32 v51, vcc_lo, v126, v41, vcc_lo
	flat_load_b32 v50, v[50:51]
	s_waitcnt vmcnt(0) lgkmcnt(0)
	v_mul_f32_e32 v52, s15, v50
.LBB39_35:
	v_dual_max_f32 v51, v37, v37 :: v_dual_max_f32 v50, v36, v36
	v_dual_max_f32 v38, v38, v38 :: v_dual_max_f32 v39, v39, v39
	v_add_co_u32 v57, vcc_lo, v123, v40
	s_delay_alu instid0(VALU_DEP_3) | instskip(NEXT) | instid1(VALU_DEP_3)
	v_dual_min_f32 v36, v51, v128 :: v_dual_min_f32 v37, v50, v127
	v_dual_min_f32 v53, v38, v124 :: v_dual_min_f32 v54, v39, v129
	v_add_co_ci_u32_e32 v58, vcc_lo, v130, v41, vcc_lo
	s_delay_alu instid0(VALU_DEP_3) | instskip(NEXT) | instid1(VALU_DEP_4)
	v_dual_add_f32 v55, v36, v121 :: v_dual_add_nc_u32 v36, 16, v46
	v_dual_add_f32 v37, v37, v122 :: v_dual_mov_b32 v56, 0
	s_and_b32 vcc_lo, exec_lo, s0
	s_delay_alu instid0(VALU_DEP_1) | instskip(NEXT) | instid1(VALU_DEP_3)
	v_dual_add_f32 v54, v54, v55 :: v_dual_add_f32 v53, v53, v37
	v_ashrrev_i32_e32 v37, 31, v36
	s_delay_alu instid0(VALU_DEP_2) | instskip(NEXT) | instid1(VALU_DEP_2)
	v_dual_add_f32 v53, v53, v54 :: v_dual_mov_b32 v54, 0
	v_lshlrev_b64 v[36:37], 2, v[36:37]
	s_delay_alu instid0(VALU_DEP_2)
	v_add_f32_e32 v52, v53, v52
	global_store_b32 v[57:58], v52, off
	s_cbranch_vccnz .LBB39_37
; %bb.36:
	v_add_co_u32 v52, vcc_lo, v125, v36
	v_add_co_ci_u32_e32 v53, vcc_lo, v126, v37, vcc_lo
	flat_load_b32 v52, v[52:53]
	s_waitcnt vmcnt(0) lgkmcnt(0)
	v_mul_f32_e32 v54, s15, v52
.LBB39_37:
	v_dual_max_f32 v53, v33, v33 :: v_dual_max_f32 v52, v32, v32
	v_dual_max_f32 v34, v34, v34 :: v_dual_max_f32 v35, v35, v35
	s_delay_alu instid0(VALU_DEP_2) | instskip(NEXT) | instid1(VALU_DEP_2)
	v_dual_min_f32 v32, v53, v128 :: v_dual_min_f32 v33, v52, v127
	v_min_f32_e32 v55, v34, v124
	s_delay_alu instid0(VALU_DEP_2) | instskip(NEXT) | instid1(VALU_DEP_3)
	v_dual_min_f32 v57, v35, v129 :: v_dual_add_f32 v58, v32, v119
	v_dual_add_f32 v33, v33, v120 :: v_dual_add_nc_u32 v32, 24, v46
	s_delay_alu instid0(VALU_DEP_2) | instskip(NEXT) | instid1(VALU_DEP_2)
	v_add_f32_e32 v57, v57, v58
	v_add_f32_e32 v55, v55, v33
	s_delay_alu instid0(VALU_DEP_3) | instskip(NEXT) | instid1(VALU_DEP_2)
	v_ashrrev_i32_e32 v33, 31, v32
	v_add_f32_e32 v55, v55, v57
	v_add_co_u32 v57, vcc_lo, v123, v36
	s_delay_alu instid0(VALU_DEP_3) | instskip(SKIP_1) | instid1(VALU_DEP_4)
	v_lshlrev_b64 v[32:33], 2, v[32:33]
	v_add_co_ci_u32_e32 v58, vcc_lo, v130, v37, vcc_lo
	v_add_f32_e32 v54, v55, v54
	s_and_b32 vcc_lo, exec_lo, s0
	global_store_b32 v[57:58], v54, off
	s_cbranch_vccnz .LBB39_39
; %bb.38:
	v_add_co_u32 v54, vcc_lo, v125, v32
	v_add_co_ci_u32_e32 v55, vcc_lo, v126, v33, vcc_lo
	flat_load_b32 v54, v[54:55]
	s_waitcnt vmcnt(0) lgkmcnt(0)
	v_mul_f32_e32 v56, s15, v54
.LBB39_39:
	v_dual_max_f32 v55, v29, v29 :: v_dual_max_f32 v54, v28, v28
	v_dual_max_f32 v30, v30, v30 :: v_dual_max_f32 v31, v31, v31
	v_mov_b32_e32 v72, 0
	s_delay_alu instid0(VALU_DEP_3) | instskip(NEXT) | instid1(VALU_DEP_3)
	v_dual_min_f32 v28, v55, v128 :: v_dual_min_f32 v29, v54, v127
	v_dual_min_f32 v57, v30, v124 :: v_dual_min_f32 v58, v31, v129
	s_delay_alu instid0(VALU_DEP_2) | instskip(NEXT) | instid1(VALU_DEP_3)
	v_dual_add_f32 v59, v28, v117 :: v_dual_add_nc_u32 v28, 32, v46
	v_add_f32_e32 v29, v29, v118
	v_add_co_u32 v117, vcc_lo, v123, v32
	s_delay_alu instid0(VALU_DEP_3) | instskip(SKIP_1) | instid1(VALU_DEP_4)
	v_add_f32_e32 v58, v58, v59
	v_add_co_ci_u32_e32 v118, vcc_lo, v130, v33, vcc_lo
	v_add_f32_e32 v57, v57, v29
	v_ashrrev_i32_e32 v29, 31, v28
	s_and_b32 vcc_lo, exec_lo, s0
	s_delay_alu instid0(VALU_DEP_2) | instskip(NEXT) | instid1(VALU_DEP_2)
	v_dual_add_f32 v57, v57, v58 :: v_dual_mov_b32 v58, 0
	v_lshlrev_b64 v[28:29], 2, v[28:29]
	s_delay_alu instid0(VALU_DEP_2)
	v_add_f32_e32 v56, v57, v56
	global_store_b32 v[117:118], v56, off
	s_cbranch_vccnz .LBB39_41
; %bb.40:
	v_add_co_u32 v56, vcc_lo, v125, v28
	v_add_co_ci_u32_e32 v57, vcc_lo, v126, v29, vcc_lo
	flat_load_b32 v56, v[56:57]
	s_waitcnt vmcnt(0) lgkmcnt(0)
	v_mul_f32_e32 v58, s15, v56
.LBB39_41:
	v_dual_max_f32 v57, v25, v25 :: v_dual_max_f32 v56, v24, v24
	v_dual_max_f32 v26, v26, v26 :: v_dual_max_f32 v27, v27, v27
	s_delay_alu instid0(VALU_DEP_2) | instskip(NEXT) | instid1(VALU_DEP_2)
	v_dual_min_f32 v24, v57, v128 :: v_dual_min_f32 v25, v56, v127
	v_min_f32_e32 v59, v26, v124
	s_delay_alu instid0(VALU_DEP_3) | instskip(NEXT) | instid1(VALU_DEP_3)
	v_min_f32_e32 v117, v27, v129
	v_add_f32_e32 v115, v24, v115
	s_delay_alu instid0(VALU_DEP_4) | instskip(NEXT) | instid1(VALU_DEP_2)
	v_dual_add_f32 v25, v25, v116 :: v_dual_add_nc_u32 v24, 40, v46
	v_add_f32_e32 v115, v117, v115
	s_delay_alu instid0(VALU_DEP_2) | instskip(NEXT) | instid1(VALU_DEP_3)
	v_add_f32_e32 v59, v59, v25
	v_ashrrev_i32_e32 v25, 31, v24
	s_delay_alu instid0(VALU_DEP_2) | instskip(SKIP_1) | instid1(VALU_DEP_3)
	v_add_f32_e32 v59, v59, v115
	v_add_co_u32 v115, vcc_lo, v123, v28
	v_lshlrev_b64 v[24:25], 2, v[24:25]
	v_add_co_ci_u32_e32 v116, vcc_lo, v130, v29, vcc_lo
	s_delay_alu instid0(VALU_DEP_4)
	v_add_f32_e32 v58, v59, v58
	s_and_b32 vcc_lo, exec_lo, s0
	global_store_b32 v[115:116], v58, off
	s_cbranch_vccnz .LBB39_43
; %bb.42:
	v_add_co_u32 v58, vcc_lo, v125, v24
	v_add_co_ci_u32_e32 v59, vcc_lo, v126, v25, vcc_lo
	flat_load_b32 v58, v[58:59]
	s_waitcnt vmcnt(0) lgkmcnt(0)
	v_mul_f32_e32 v72, s15, v58
.LBB39_43:
	v_dual_max_f32 v59, v21, v21 :: v_dual_max_f32 v58, v20, v20
	v_dual_max_f32 v22, v22, v22 :: v_dual_max_f32 v23, v23, v23
	s_delay_alu instid0(VALU_DEP_2) | instskip(NEXT) | instid1(VALU_DEP_2)
	v_dual_min_f32 v20, v59, v128 :: v_dual_min_f32 v21, v58, v127
	v_dual_min_f32 v115, v22, v124 :: v_dual_min_f32 v116, v23, v129
	s_delay_alu instid0(VALU_DEP_2) | instskip(NEXT) | instid1(VALU_DEP_3)
	v_dual_add_f32 v113, v20, v113 :: v_dual_add_nc_u32 v20, 48, v46
	v_add_f32_e32 v21, v21, v114
	s_delay_alu instid0(VALU_DEP_2) | instskip(SKIP_1) | instid1(VALU_DEP_3)
	v_add_f32_e32 v113, v116, v113
	v_add_co_u32 v116, vcc_lo, v123, v24
	v_dual_add_f32 v114, v115, v21 :: v_dual_mov_b32 v115, 0
	v_ashrrev_i32_e32 v21, 31, v20
	v_add_co_ci_u32_e32 v117, vcc_lo, v130, v25, vcc_lo
	s_delay_alu instid0(VALU_DEP_3) | instskip(NEXT) | instid1(VALU_DEP_3)
	v_dual_add_f32 v113, v114, v113 :: v_dual_mov_b32 v114, 0
	v_lshlrev_b64 v[20:21], 2, v[20:21]
	s_and_b32 vcc_lo, exec_lo, s0
	s_delay_alu instid0(VALU_DEP_2)
	v_add_f32_e32 v72, v113, v72
	global_store_b32 v[116:117], v72, off
	s_cbranch_vccnz .LBB39_45
; %bb.44:
	v_add_co_u32 v115, vcc_lo, v125, v20
	v_add_co_ci_u32_e32 v116, vcc_lo, v126, v21, vcc_lo
	flat_load_b32 v72, v[115:116]
	s_waitcnt vmcnt(0) lgkmcnt(0)
	v_mul_f32_e32 v115, s15, v72
.LBB39_45:
	v_dual_max_f32 v113, v17, v17 :: v_dual_max_f32 v72, v16, v16
	v_dual_max_f32 v18, v18, v18 :: v_dual_max_f32 v19, v19, v19
	s_delay_alu instid0(VALU_DEP_2) | instskip(NEXT) | instid1(VALU_DEP_2)
	v_dual_min_f32 v16, v113, v128 :: v_dual_min_f32 v17, v72, v127
	v_dual_min_f32 v116, v18, v124 :: v_dual_min_f32 v117, v19, v129
	s_delay_alu instid0(VALU_DEP_2) | instskip(NEXT) | instid1(VALU_DEP_1)
	v_dual_add_f32 v111, v16, v111 :: v_dual_add_nc_u32 v16, 56, v46
	v_add_f32_e32 v46, v117, v111
	s_delay_alu instid0(VALU_DEP_4) | instskip(NEXT) | instid1(VALU_DEP_1)
	v_add_f32_e32 v17, v17, v112
	v_add_f32_e32 v111, v116, v17
	s_delay_alu instid0(VALU_DEP_4) | instskip(NEXT) | instid1(VALU_DEP_2)
	v_ashrrev_i32_e32 v17, 31, v16
	v_add_f32_e32 v46, v111, v46
	v_add_co_u32 v111, vcc_lo, v123, v20
	s_delay_alu instid0(VALU_DEP_3) | instskip(SKIP_1) | instid1(VALU_DEP_4)
	v_lshlrev_b64 v[16:17], 2, v[16:17]
	v_add_co_ci_u32_e32 v112, vcc_lo, v130, v21, vcc_lo
	v_add_f32_e32 v46, v46, v115
	s_and_b32 vcc_lo, exec_lo, s0
	global_store_b32 v[111:112], v46, off
	s_cbranch_vccnz .LBB39_47
; %bb.46:
	v_add_co_u32 v111, vcc_lo, v125, v16
	v_add_co_ci_u32_e32 v112, vcc_lo, v126, v17, vcc_lo
	flat_load_b32 v46, v[111:112]
	s_waitcnt vmcnt(0) lgkmcnt(0)
	v_mul_f32_e32 v114, s15, v46
.LBB39_47:
	v_dual_max_f32 v12, v12, v12 :: v_dual_max_f32 v13, v13, v13
	v_dual_max_f32 v14, v14, v14 :: v_dual_add_nc_u32 v115, 32, v48
	v_max_f32_e32 v15, v15, v15
	s_delay_alu instid0(VALU_DEP_3) | instskip(NEXT) | instid1(VALU_DEP_4)
	v_min_f32_e32 v46, v12, v127
	v_min_f32_e32 v116, v13, v128
	s_delay_alu instid0(VALU_DEP_4) | instskip(SKIP_2) | instid1(VALU_DEP_4)
	v_min_f32_e32 v117, v14, v124
	v_mad_i64_i32 v[111:112], null, v115, s8, 0
	v_min_f32_e32 v118, v15, v129
	v_add_f32_e32 v116, v116, v109
	v_add_f32_e32 v46, v46, v110
	s_delay_alu instid0(VALU_DEP_4) | instskip(NEXT) | instid1(VALU_DEP_3)
	v_lshlrev_b64 v[109:110], 2, v[111:112]
	v_add_f32_e32 v116, v118, v116
	s_delay_alu instid0(VALU_DEP_3) | instskip(SKIP_2) | instid1(VALU_DEP_3)
	v_add_f32_e32 v46, v117, v46
	v_add_co_u32 v111, vcc_lo, v123, v16
	v_add_co_ci_u32_e32 v112, vcc_lo, v130, v17, vcc_lo
	v_add_f32_e32 v116, v46, v116
	v_add_co_u32 v46, vcc_lo, s4, v109
	v_add_co_ci_u32_e32 v109, vcc_lo, s5, v110, vcc_lo
	s_delay_alu instid0(VALU_DEP_3)
	v_add_f32_e32 v110, v116, v114
	v_mov_b32_e32 v114, 0
	v_mov_b32_e32 v116, 0
	s_and_b32 vcc_lo, exec_lo, s0
	global_store_b32 v[111:112], v110, off
	s_cbranch_vccnz .LBB39_49
; %bb.48:
	v_add_co_u32 v110, vcc_lo, v46, v44
	v_add_co_ci_u32_e32 v111, vcc_lo, v109, v45, vcc_lo
	flat_load_b32 v110, v[110:111]
	s_waitcnt vmcnt(0) lgkmcnt(0)
	v_mul_f32_e32 v116, s15, v110
.LBB39_49:
	v_dual_max_f32 v110, v8, v8 :: v_dual_max_f32 v111, v9, v9
	v_max_f32_e32 v112, v10, v10
	v_mad_i64_i32 v[9:10], null, v115, s3, 0
	s_delay_alu instid0(VALU_DEP_3) | instskip(NEXT) | instid1(VALU_DEP_3)
	v_min_f32_e32 v117, v49, v111
	v_dual_max_f32 v8, v11, v11 :: v_dual_min_f32 v115, v42, v112
	v_min_f32_e32 v11, v47, v110
	s_delay_alu instid0(VALU_DEP_2) | instskip(SKIP_1) | instid1(VALU_DEP_3)
	v_dual_add_f32 v107, v117, v107 :: v_dual_min_f32 v118, v43, v8
	v_lshlrev_b64 v[9:10], 2, v[9:10]
	v_add_f32_e32 v11, v11, v108
	s_delay_alu instid0(VALU_DEP_3) | instskip(NEXT) | instid1(VALU_DEP_2)
	v_add_f32_e32 v107, v118, v107
	v_add_f32_e32 v11, v115, v11
	s_delay_alu instid0(VALU_DEP_4) | instskip(SKIP_1) | instid1(VALU_DEP_3)
	v_add_co_u32 v9, vcc_lo, s1, v9
	v_add_co_ci_u32_e32 v10, vcc_lo, s6, v10, vcc_lo
	v_add_f32_e32 v11, v11, v107
	s_delay_alu instid0(VALU_DEP_3) | instskip(NEXT) | instid1(VALU_DEP_3)
	v_add_co_u32 v107, vcc_lo, v9, v44
	v_add_co_ci_u32_e32 v108, vcc_lo, v10, v45, vcc_lo
	s_delay_alu instid0(VALU_DEP_3)
	v_add_f32_e32 v11, v11, v116
	s_and_b32 vcc_lo, exec_lo, s0
	global_store_b32 v[107:108], v11, off
	s_cbranch_vccnz .LBB39_51
; %bb.50:
	v_add_co_u32 v107, vcc_lo, v46, v40
	v_add_co_ci_u32_e32 v108, vcc_lo, v109, v41, vcc_lo
	flat_load_b32 v11, v[107:108]
	s_waitcnt vmcnt(0) lgkmcnt(0)
	v_mul_f32_e32 v114, s15, v11
.LBB39_51:
	v_dual_min_f32 v11, v51, v111 :: v_dual_min_f32 v108, v38, v112
	v_min_f32_e32 v107, v50, v110
	v_min_f32_e32 v115, v39, v8
	s_delay_alu instid0(VALU_DEP_3) | instskip(NEXT) | instid1(VALU_DEP_3)
	v_add_f32_e32 v11, v11, v105
	v_add_f32_e32 v105, v107, v106
	v_add_co_u32 v106, vcc_lo, v9, v40
	s_delay_alu instid0(VALU_DEP_3) | instskip(SKIP_1) | instid1(VALU_DEP_4)
	v_add_f32_e32 v11, v115, v11
	v_add_co_ci_u32_e32 v107, vcc_lo, v10, v41, vcc_lo
	v_add_f32_e32 v105, v108, v105
	s_and_b32 vcc_lo, exec_lo, s0
	s_delay_alu instid0(VALU_DEP_1) | instskip(NEXT) | instid1(VALU_DEP_1)
	v_add_f32_e32 v11, v105, v11
	v_dual_mov_b32 v105, 0 :: v_dual_add_f32 v108, v11, v114
	v_mov_b32_e32 v11, 0
	global_store_b32 v[106:107], v108, off
	s_cbranch_vccnz .LBB39_53
; %bb.52:
	v_add_co_u32 v105, vcc_lo, v46, v36
	v_add_co_ci_u32_e32 v106, vcc_lo, v109, v37, vcc_lo
	flat_load_b32 v105, v[105:106]
	s_waitcnt vmcnt(0) lgkmcnt(0)
	v_mul_f32_e32 v105, s15, v105
.LBB39_53:
	v_dual_min_f32 v106, v53, v111 :: v_dual_min_f32 v107, v52, v110
	s_delay_alu instid0(VALU_DEP_1) | instskip(NEXT) | instid1(VALU_DEP_1)
	v_dual_min_f32 v114, v35, v8 :: v_dual_add_f32 v103, v106, v103
	v_dual_add_f32 v104, v107, v104 :: v_dual_add_f32 v103, v114, v103
	v_min_f32_e32 v108, v34, v112
	s_delay_alu instid0(VALU_DEP_1) | instskip(NEXT) | instid1(VALU_DEP_1)
	v_add_f32_e32 v104, v108, v104
	v_add_f32_e32 v103, v104, v103
	s_delay_alu instid0(VALU_DEP_1)
	v_add_f32_e32 v105, v103, v105
	v_add_co_u32 v103, vcc_lo, v9, v36
	v_add_co_ci_u32_e32 v104, vcc_lo, v10, v37, vcc_lo
	s_and_b32 vcc_lo, exec_lo, s0
	global_store_b32 v[103:104], v105, off
	s_cbranch_vccnz .LBB39_55
; %bb.54:
	v_add_co_u32 v103, vcc_lo, v46, v32
	v_add_co_ci_u32_e32 v104, vcc_lo, v109, v33, vcc_lo
	flat_load_b32 v11, v[103:104]
	s_waitcnt vmcnt(0) lgkmcnt(0)
	v_mul_f32_e32 v11, s15, v11
.LBB39_55:
	v_dual_min_f32 v103, v55, v111 :: v_dual_min_f32 v104, v54, v110
	v_min_f32_e32 v105, v30, v112
	v_min_f32_e32 v106, v31, v8
	s_delay_alu instid0(VALU_DEP_3) | instskip(NEXT) | instid1(VALU_DEP_4)
	v_add_f32_e32 v100, v103, v100
	v_add_f32_e32 v102, v104, v102
	s_delay_alu instid0(VALU_DEP_2) | instskip(NEXT) | instid1(VALU_DEP_2)
	v_add_f32_e32 v100, v106, v100
	v_add_f32_e32 v102, v105, v102
	s_delay_alu instid0(VALU_DEP_1) | instskip(SKIP_2) | instid1(VALU_DEP_3)
	v_add_f32_e32 v100, v102, v100
	v_add_co_u32 v102, vcc_lo, v9, v32
	v_add_co_ci_u32_e32 v103, vcc_lo, v10, v33, vcc_lo
	v_dual_add_f32 v104, v100, v11 :: v_dual_mov_b32 v11, 0
	v_mov_b32_e32 v100, 0
	s_and_b32 vcc_lo, exec_lo, s0
	global_store_b32 v[102:103], v104, off
	s_cbranch_vccnz .LBB39_57
; %bb.56:
	v_add_co_u32 v102, vcc_lo, v46, v28
	v_add_co_ci_u32_e32 v103, vcc_lo, v109, v29, vcc_lo
	flat_load_b32 v100, v[102:103]
	s_waitcnt vmcnt(0) lgkmcnt(0)
	v_mul_f32_e32 v100, s15, v100
.LBB39_57:
	v_dual_min_f32 v102, v57, v111 :: v_dual_min_f32 v103, v56, v110
	v_min_f32_e32 v104, v26, v112
	v_min_f32_e32 v105, v27, v8
	s_delay_alu instid0(VALU_DEP_3) | instskip(NEXT) | instid1(VALU_DEP_4)
	v_add_f32_e32 v99, v102, v99
	v_add_f32_e32 v101, v103, v101
	s_delay_alu instid0(VALU_DEP_2) | instskip(NEXT) | instid1(VALU_DEP_2)
	v_add_f32_e32 v99, v105, v99
	v_add_f32_e32 v101, v104, v101
	s_delay_alu instid0(VALU_DEP_1) | instskip(NEXT) | instid1(VALU_DEP_1)
	v_add_f32_e32 v99, v101, v99
	v_add_f32_e32 v101, v99, v100
	v_add_co_u32 v99, vcc_lo, v9, v28
	v_add_co_ci_u32_e32 v100, vcc_lo, v10, v29, vcc_lo
	s_and_b32 vcc_lo, exec_lo, s0
	global_store_b32 v[99:100], v101, off
	s_cbranch_vccnz .LBB39_59
; %bb.58:
	v_add_co_u32 v99, vcc_lo, v46, v24
	v_add_co_ci_u32_e32 v100, vcc_lo, v109, v25, vcc_lo
	flat_load_b32 v11, v[99:100]
	s_waitcnt vmcnt(0) lgkmcnt(0)
	v_mul_f32_e32 v11, s15, v11
.LBB39_59:
	v_dual_min_f32 v99, v59, v111 :: v_dual_min_f32 v100, v58, v110
	s_delay_alu instid0(VALU_DEP_1) | instskip(NEXT) | instid1(VALU_DEP_1)
	v_dual_min_f32 v101, v22, v112 :: v_dual_add_f32 v98, v100, v98
	v_dual_add_f32 v97, v99, v97 :: v_dual_add_f32 v98, v101, v98
	v_min_f32_e32 v102, v23, v8
	s_delay_alu instid0(VALU_DEP_1) | instskip(NEXT) | instid1(VALU_DEP_1)
	v_add_f32_e32 v97, v102, v97
	v_add_f32_e32 v97, v98, v97
	v_add_co_u32 v98, vcc_lo, v9, v24
	v_add_co_ci_u32_e32 v99, vcc_lo, v10, v25, vcc_lo
	s_delay_alu instid0(VALU_DEP_3)
	v_dual_add_f32 v100, v97, v11 :: v_dual_mov_b32 v11, 0
	v_mov_b32_e32 v97, 0
	s_and_b32 vcc_lo, exec_lo, s0
	global_store_b32 v[98:99], v100, off
	s_cbranch_vccnz .LBB39_61
; %bb.60:
	v_add_co_u32 v97, vcc_lo, v46, v20
	v_add_co_ci_u32_e32 v98, vcc_lo, v109, v21, vcc_lo
	flat_load_b32 v97, v[97:98]
	s_waitcnt vmcnt(0) lgkmcnt(0)
	v_mul_f32_e32 v97, s15, v97
.LBB39_61:
	v_dual_min_f32 v98, v113, v111 :: v_dual_min_f32 v99, v72, v110
	v_min_f32_e32 v101, v19, v8
	s_delay_alu instid0(VALU_DEP_2) | instskip(NEXT) | instid1(VALU_DEP_1)
	v_dual_add_f32 v95, v98, v95 :: v_dual_add_f32 v96, v99, v96
	v_dual_min_f32 v100, v18, v112 :: v_dual_add_f32 v95, v101, v95
	s_delay_alu instid0(VALU_DEP_1) | instskip(NEXT) | instid1(VALU_DEP_1)
	v_add_f32_e32 v96, v100, v96
	v_add_f32_e32 v95, v96, v95
	s_delay_alu instid0(VALU_DEP_1)
	v_add_f32_e32 v97, v95, v97
	v_add_co_u32 v95, vcc_lo, v9, v20
	v_add_co_ci_u32_e32 v96, vcc_lo, v10, v21, vcc_lo
	s_and_b32 vcc_lo, exec_lo, s0
	global_store_b32 v[95:96], v97, off
	s_cbranch_vccnz .LBB39_63
; %bb.62:
	v_add_co_u32 v95, vcc_lo, v46, v16
	v_add_co_ci_u32_e32 v96, vcc_lo, v109, v17, vcc_lo
	flat_load_b32 v11, v[95:96]
	s_waitcnt vmcnt(0) lgkmcnt(0)
	v_mul_f32_e32 v11, s15, v11
.LBB39_63:
	v_dual_min_f32 v46, v12, v110 :: v_dual_min_f32 v97, v14, v112
	v_dual_min_f32 v96, v13, v111 :: v_dual_add_nc_u32 v95, 64, v48
	v_min_f32_e32 v8, v15, v8
	s_delay_alu instid0(VALU_DEP_3) | instskip(NEXT) | instid1(VALU_DEP_3)
	v_add_f32_e32 v46, v46, v94
	v_add_f32_e32 v96, v96, v93
	s_delay_alu instid0(VALU_DEP_4) | instskip(NEXT) | instid1(VALU_DEP_3)
	v_mad_i64_i32 v[93:94], null, v95, s8, 0
	v_add_f32_e32 v46, v97, v46
	s_delay_alu instid0(VALU_DEP_3) | instskip(SKIP_3) | instid1(VALU_DEP_4)
	v_add_f32_e32 v8, v8, v96
	v_add_co_u32 v96, vcc_lo, v9, v16
	v_add_co_ci_u32_e32 v97, vcc_lo, v10, v17, vcc_lo
	v_lshlrev_b64 v[93:94], 2, v[93:94]
	v_add_f32_e32 v8, v46, v8
	s_delay_alu instid0(VALU_DEP_1) | instskip(NEXT) | instid1(VALU_DEP_3)
	v_add_f32_e32 v10, v8, v11
	v_add_co_u32 v8, vcc_lo, s4, v93
	v_mov_b32_e32 v93, 0
	v_add_co_ci_u32_e32 v9, vcc_lo, s5, v94, vcc_lo
	v_mov_b32_e32 v94, 0
	s_and_b32 vcc_lo, exec_lo, s0
	global_store_b32 v[96:97], v10, off
	s_cbranch_vccnz .LBB39_65
; %bb.64:
	v_add_co_u32 v10, vcc_lo, v8, v44
	v_add_co_ci_u32_e32 v11, vcc_lo, v9, v45, vcc_lo
	flat_load_b32 v10, v[10:11]
	s_waitcnt vmcnt(0) lgkmcnt(0)
	v_mul_f32_e32 v94, s15, v10
.LBB39_65:
	v_dual_max_f32 v10, v4, v4 :: v_dual_max_f32 v11, v5, v5
	v_max_f32_e32 v4, v7, v7
	v_max_f32_e32 v46, v6, v6
	v_mad_i64_i32 v[5:6], null, v95, s3, 0
	s_delay_alu instid0(VALU_DEP_4) | instskip(NEXT) | instid1(VALU_DEP_4)
	v_dual_min_f32 v7, v47, v10 :: v_dual_min_f32 v96, v49, v11
	v_min_f32_e32 v97, v43, v4
	s_delay_alu instid0(VALU_DEP_4) | instskip(NEXT) | instid1(VALU_DEP_3)
	v_min_f32_e32 v95, v42, v46
	v_add_f32_e32 v7, v7, v92
	s_delay_alu instid0(VALU_DEP_4) | instskip(SKIP_1) | instid1(VALU_DEP_3)
	v_add_f32_e32 v91, v96, v91
	v_lshlrev_b64 v[5:6], 2, v[5:6]
	v_add_f32_e32 v7, v95, v7
	s_delay_alu instid0(VALU_DEP_3) | instskip(NEXT) | instid1(VALU_DEP_3)
	v_add_f32_e32 v91, v97, v91
	v_add_co_u32 v5, vcc_lo, s1, v5
	s_delay_alu instid0(VALU_DEP_4) | instskip(NEXT) | instid1(VALU_DEP_3)
	v_add_co_ci_u32_e32 v6, vcc_lo, s6, v6, vcc_lo
	v_add_f32_e32 v7, v7, v91
	s_delay_alu instid0(VALU_DEP_3) | instskip(NEXT) | instid1(VALU_DEP_3)
	v_add_co_u32 v91, vcc_lo, v5, v44
	v_add_co_ci_u32_e32 v92, vcc_lo, v6, v45, vcc_lo
	s_delay_alu instid0(VALU_DEP_3)
	v_add_f32_e32 v7, v7, v94
	s_and_b32 vcc_lo, exec_lo, s0
	global_store_b32 v[91:92], v7, off
	s_cbranch_vccnz .LBB39_67
; %bb.66:
	v_add_co_u32 v91, vcc_lo, v8, v40
	v_add_co_ci_u32_e32 v92, vcc_lo, v9, v41, vcc_lo
	flat_load_b32 v7, v[91:92]
	s_waitcnt vmcnt(0) lgkmcnt(0)
	v_mul_f32_e32 v93, s15, v7
.LBB39_67:
	v_dual_min_f32 v7, v51, v11 :: v_dual_min_f32 v92, v38, v46
	v_dual_min_f32 v91, v50, v10 :: v_dual_min_f32 v94, v39, v4
	s_delay_alu instid0(VALU_DEP_2) | instskip(NEXT) | instid1(VALU_DEP_2)
	v_add_f32_e32 v7, v7, v89
	v_add_f32_e32 v89, v91, v90
	v_add_co_u32 v90, vcc_lo, v5, v40
	s_delay_alu instid0(VALU_DEP_3) | instskip(SKIP_1) | instid1(VALU_DEP_4)
	v_add_f32_e32 v7, v94, v7
	v_add_co_ci_u32_e32 v91, vcc_lo, v6, v41, vcc_lo
	v_add_f32_e32 v89, v92, v89
	s_and_b32 vcc_lo, exec_lo, s0
	s_delay_alu instid0(VALU_DEP_1) | instskip(NEXT) | instid1(VALU_DEP_1)
	v_add_f32_e32 v7, v89, v7
	v_dual_mov_b32 v89, 0 :: v_dual_add_f32 v92, v7, v93
	v_mov_b32_e32 v7, 0
	global_store_b32 v[90:91], v92, off
	s_cbranch_vccnz .LBB39_69
; %bb.68:
	v_add_co_u32 v89, vcc_lo, v8, v36
	v_add_co_ci_u32_e32 v90, vcc_lo, v9, v37, vcc_lo
	flat_load_b32 v89, v[89:90]
	s_waitcnt vmcnt(0) lgkmcnt(0)
	v_mul_f32_e32 v89, s15, v89
.LBB39_69:
	v_dual_min_f32 v90, v53, v11 :: v_dual_min_f32 v91, v52, v10
	v_dual_min_f32 v92, v34, v46 :: v_dual_min_f32 v93, v35, v4
	s_delay_alu instid0(VALU_DEP_2) | instskip(NEXT) | instid1(VALU_DEP_1)
	v_dual_add_f32 v87, v90, v87 :: v_dual_add_f32 v88, v91, v88
	v_dual_add_f32 v87, v93, v87 :: v_dual_add_f32 v88, v92, v88
	s_delay_alu instid0(VALU_DEP_1) | instskip(NEXT) | instid1(VALU_DEP_1)
	v_add_f32_e32 v87, v88, v87
	v_add_f32_e32 v89, v87, v89
	v_add_co_u32 v87, vcc_lo, v5, v36
	v_add_co_ci_u32_e32 v88, vcc_lo, v6, v37, vcc_lo
	s_and_b32 vcc_lo, exec_lo, s0
	global_store_b32 v[87:88], v89, off
	s_cbranch_vccnz .LBB39_71
; %bb.70:
	v_add_co_u32 v87, vcc_lo, v8, v32
	v_add_co_ci_u32_e32 v88, vcc_lo, v9, v33, vcc_lo
	flat_load_b32 v7, v[87:88]
	s_waitcnt vmcnt(0) lgkmcnt(0)
	v_mul_f32_e32 v7, s15, v7
.LBB39_71:
	v_dual_min_f32 v87, v55, v11 :: v_dual_min_f32 v88, v54, v10
	v_dual_min_f32 v89, v30, v46 :: v_dual_min_f32 v90, v31, v4
	s_delay_alu instid0(VALU_DEP_2) | instskip(NEXT) | instid1(VALU_DEP_1)
	v_dual_add_f32 v85, v87, v85 :: v_dual_add_f32 v86, v88, v86
	v_dual_add_f32 v85, v90, v85 :: v_dual_add_f32 v86, v89, v86
	s_delay_alu instid0(VALU_DEP_1) | instskip(SKIP_2) | instid1(VALU_DEP_3)
	v_add_f32_e32 v85, v86, v85
	v_add_co_u32 v86, vcc_lo, v5, v32
	v_add_co_ci_u32_e32 v87, vcc_lo, v6, v33, vcc_lo
	v_dual_add_f32 v88, v85, v7 :: v_dual_mov_b32 v7, 0
	v_mov_b32_e32 v85, 0
	s_and_b32 vcc_lo, exec_lo, s0
	global_store_b32 v[86:87], v88, off
	s_cbranch_vccnz .LBB39_73
; %bb.72:
	v_add_co_u32 v85, vcc_lo, v8, v28
	v_add_co_ci_u32_e32 v86, vcc_lo, v9, v29, vcc_lo
	flat_load_b32 v85, v[85:86]
	s_waitcnt vmcnt(0) lgkmcnt(0)
	v_mul_f32_e32 v85, s15, v85
.LBB39_73:
	v_dual_min_f32 v86, v57, v11 :: v_dual_min_f32 v87, v56, v10
	v_dual_min_f32 v88, v26, v46 :: v_dual_min_f32 v89, v27, v4
	s_delay_alu instid0(VALU_DEP_2) | instskip(NEXT) | instid1(VALU_DEP_1)
	v_dual_add_f32 v83, v86, v83 :: v_dual_add_f32 v84, v87, v84
	v_dual_add_f32 v83, v89, v83 :: v_dual_add_f32 v84, v88, v84
	s_delay_alu instid0(VALU_DEP_1) | instskip(NEXT) | instid1(VALU_DEP_1)
	v_add_f32_e32 v83, v84, v83
	v_add_f32_e32 v85, v83, v85
	v_add_co_u32 v83, vcc_lo, v5, v28
	v_add_co_ci_u32_e32 v84, vcc_lo, v6, v29, vcc_lo
	s_and_b32 vcc_lo, exec_lo, s0
	global_store_b32 v[83:84], v85, off
	s_cbranch_vccnz .LBB39_75
; %bb.74:
	v_add_co_u32 v83, vcc_lo, v8, v24
	v_add_co_ci_u32_e32 v84, vcc_lo, v9, v25, vcc_lo
	flat_load_b32 v7, v[83:84]
	s_waitcnt vmcnt(0) lgkmcnt(0)
	v_mul_f32_e32 v7, s15, v7
.LBB39_75:
	v_dual_min_f32 v83, v59, v11 :: v_dual_min_f32 v84, v58, v10
	v_dual_min_f32 v85, v22, v46 :: v_dual_min_f32 v86, v23, v4
	s_delay_alu instid0(VALU_DEP_2) | instskip(NEXT) | instid1(VALU_DEP_3)
	v_add_f32_e32 v80, v83, v80
	v_add_f32_e32 v82, v84, v82
	s_delay_alu instid0(VALU_DEP_2) | instskip(NEXT) | instid1(VALU_DEP_2)
	v_add_f32_e32 v80, v86, v80
	v_add_f32_e32 v82, v85, v82
	s_delay_alu instid0(VALU_DEP_1) | instskip(SKIP_2) | instid1(VALU_DEP_3)
	v_add_f32_e32 v80, v82, v80
	v_add_co_u32 v82, vcc_lo, v5, v24
	v_add_co_ci_u32_e32 v83, vcc_lo, v6, v25, vcc_lo
	v_dual_add_f32 v84, v80, v7 :: v_dual_mov_b32 v7, 0
	v_mov_b32_e32 v80, 0
	s_and_b32 vcc_lo, exec_lo, s0
	global_store_b32 v[82:83], v84, off
	s_cbranch_vccnz .LBB39_77
; %bb.76:
	v_add_co_u32 v82, vcc_lo, v8, v20
	v_add_co_ci_u32_e32 v83, vcc_lo, v9, v21, vcc_lo
	flat_load_b32 v80, v[82:83]
	s_waitcnt vmcnt(0) lgkmcnt(0)
	v_mul_f32_e32 v80, s15, v80
.LBB39_77:
	v_dual_min_f32 v82, v113, v11 :: v_dual_min_f32 v83, v72, v10
	v_dual_min_f32 v84, v18, v46 :: v_dual_min_f32 v85, v19, v4
	s_delay_alu instid0(VALU_DEP_2) | instskip(NEXT) | instid1(VALU_DEP_3)
	v_add_f32_e32 v79, v82, v79
	v_add_f32_e32 v81, v83, v81
	s_delay_alu instid0(VALU_DEP_2) | instskip(NEXT) | instid1(VALU_DEP_2)
	v_add_f32_e32 v79, v85, v79
	v_add_f32_e32 v81, v84, v81
	s_delay_alu instid0(VALU_DEP_1) | instskip(NEXT) | instid1(VALU_DEP_1)
	v_add_f32_e32 v79, v81, v79
	v_add_f32_e32 v81, v79, v80
	v_add_co_u32 v79, vcc_lo, v5, v20
	v_add_co_ci_u32_e32 v80, vcc_lo, v6, v21, vcc_lo
	s_and_b32 vcc_lo, exec_lo, s0
	global_store_b32 v[79:80], v81, off
	s_cbranch_vccnz .LBB39_79
; %bb.78:
	v_add_co_u32 v7, vcc_lo, v8, v16
	v_add_co_ci_u32_e32 v8, vcc_lo, v9, v17, vcc_lo
	flat_load_b32 v7, v[7:8]
	s_waitcnt vmcnt(0) lgkmcnt(0)
	v_mul_f32_e32 v7, s15, v7
.LBB39_79:
	v_dual_min_f32 v8, v12, v10 :: v_dual_add_nc_u32 v9, 0x60, v48
	v_min_f32_e32 v10, v13, v11
	v_min_f32_e32 v46, v14, v46
	;; [unrolled: 1-line block ×3, first 2 shown]
	s_delay_alu instid0(VALU_DEP_4) | instskip(SKIP_3) | instid1(VALU_DEP_4)
	v_add_f32_e32 v8, v8, v78
	v_add_co_u32 v78, vcc_lo, v5, v16
	v_add_f32_e32 v48, v10, v76
	v_mad_i64_i32 v[10:11], null, v9, s8, 0
	v_add_f32_e32 v8, v46, v8
	v_add_co_ci_u32_e32 v79, vcc_lo, v6, v17, vcc_lo
	s_delay_alu instid0(VALU_DEP_4) | instskip(NEXT) | instid1(VALU_DEP_4)
	v_add_f32_e32 v4, v4, v48
	v_lshlrev_b64 v[10:11], 2, v[10:11]
	s_delay_alu instid0(VALU_DEP_2) | instskip(SKIP_1) | instid1(VALU_DEP_2)
	v_add_f32_e32 v4, v8, v4
	v_mov_b32_e32 v8, 0
	v_add_f32_e32 v6, v4, v7
	s_delay_alu instid0(VALU_DEP_4)
	v_add_co_u32 v4, vcc_lo, s4, v10
	v_add_co_ci_u32_e32 v5, vcc_lo, s5, v11, vcc_lo
	v_mov_b32_e32 v10, 0
	s_and_b32 vcc_lo, exec_lo, s0
	global_store_b32 v[78:79], v6, off
	s_cbranch_vccnz .LBB39_81
; %bb.80:
	v_add_co_u32 v6, vcc_lo, v4, v44
	v_add_co_ci_u32_e32 v7, vcc_lo, v5, v45, vcc_lo
	flat_load_b32 v6, v[6:7]
	s_waitcnt vmcnt(0) lgkmcnt(0)
	v_mul_f32_e32 v10, s15, v6
.LBB39_81:
	s_waitcnt lgkmcnt(0)
	v_dual_max_f32 v0, v0, v0 :: v_dual_max_f32 v1, v1, v1
	v_dual_max_f32 v2, v2, v2 :: v_dual_max_f32 v3, v3, v3
	v_mad_i64_i32 v[6:7], null, v9, s3, 0
	s_delay_alu instid0(VALU_DEP_3) | instskip(NEXT) | instid1(VALU_DEP_3)
	v_dual_min_f32 v11, v47, v0 :: v_dual_min_f32 v46, v49, v1
	v_dual_min_f32 v9, v42, v2 :: v_dual_min_f32 v42, v43, v3
	s_delay_alu instid0(VALU_DEP_2) | instskip(NEXT) | instid1(VALU_DEP_3)
	v_add_f32_e32 v43, v46, v75
	v_add_f32_e32 v11, v11, v77
	v_lshlrev_b64 v[6:7], 2, v[6:7]
	s_delay_alu instid0(VALU_DEP_3) | instskip(NEXT) | instid1(VALU_DEP_3)
	v_add_f32_e32 v42, v42, v43
	v_add_f32_e32 v9, v9, v11
	s_delay_alu instid0(VALU_DEP_3) | instskip(NEXT) | instid1(VALU_DEP_4)
	v_add_co_u32 v6, vcc_lo, s1, v6
	v_add_co_ci_u32_e32 v7, vcc_lo, s6, v7, vcc_lo
	s_delay_alu instid0(VALU_DEP_3) | instskip(NEXT) | instid1(VALU_DEP_1)
	v_add_f32_e32 v9, v9, v42
	v_add_f32_e32 v11, v9, v10
	s_delay_alu instid0(VALU_DEP_4) | instskip(NEXT) | instid1(VALU_DEP_4)
	v_add_co_u32 v9, vcc_lo, v6, v44
	v_add_co_ci_u32_e32 v10, vcc_lo, v7, v45, vcc_lo
	s_and_b32 vcc_lo, exec_lo, s0
	global_store_b32 v[9:10], v11, off
	s_cbranch_vccnz .LBB39_83
; %bb.82:
	v_add_co_u32 v8, vcc_lo, v4, v40
	v_add_co_ci_u32_e32 v9, vcc_lo, v5, v41, vcc_lo
	flat_load_b32 v8, v[8:9]
	s_waitcnt vmcnt(0) lgkmcnt(0)
	v_mul_f32_e32 v8, s15, v8
.LBB39_83:
	v_dual_min_f32 v9, v51, v1 :: v_dual_min_f32 v10, v50, v0
	v_dual_min_f32 v11, v38, v2 :: v_dual_min_f32 v38, v39, v3
	s_delay_alu instid0(VALU_DEP_2) | instskip(NEXT) | instid1(VALU_DEP_1)
	v_dual_add_f32 v9, v9, v73 :: v_dual_add_f32 v10, v10, v74
	v_dual_add_f32 v9, v38, v9 :: v_dual_add_f32 v10, v11, v10
	s_delay_alu instid0(VALU_DEP_1) | instskip(SKIP_2) | instid1(VALU_DEP_3)
	v_add_f32_e32 v9, v10, v9
	v_add_co_u32 v10, vcc_lo, v6, v40
	v_add_co_ci_u32_e32 v11, vcc_lo, v7, v41, vcc_lo
	v_dual_add_f32 v38, v9, v8 :: v_dual_mov_b32 v9, 0
	v_mov_b32_e32 v8, 0
	s_and_b32 vcc_lo, exec_lo, s0
	global_store_b32 v[10:11], v38, off
	s_cbranch_vccnz .LBB39_85
; %bb.84:
	v_add_co_u32 v9, vcc_lo, v4, v36
	v_add_co_ci_u32_e32 v10, vcc_lo, v5, v37, vcc_lo
	flat_load_b32 v9, v[9:10]
	s_waitcnt vmcnt(0) lgkmcnt(0)
	v_mul_f32_e32 v9, s15, v9
.LBB39_85:
	v_dual_min_f32 v10, v53, v1 :: v_dual_min_f32 v11, v52, v0
	v_dual_min_f32 v34, v34, v2 :: v_dual_min_f32 v35, v35, v3
	s_delay_alu instid0(VALU_DEP_2) | instskip(NEXT) | instid1(VALU_DEP_1)
	v_dual_add_f32 v10, v10, v69 :: v_dual_add_f32 v11, v11, v71
	v_dual_add_f32 v10, v35, v10 :: v_dual_add_f32 v11, v34, v11
	s_delay_alu instid0(VALU_DEP_1) | instskip(NEXT) | instid1(VALU_DEP_1)
	v_add_f32_e32 v10, v11, v10
	v_add_f32_e32 v11, v10, v9
	v_add_co_u32 v9, vcc_lo, v6, v36
	v_add_co_ci_u32_e32 v10, vcc_lo, v7, v37, vcc_lo
	s_and_b32 vcc_lo, exec_lo, s0
	global_store_b32 v[9:10], v11, off
	s_cbranch_vccnz .LBB39_87
; %bb.86:
	v_add_co_u32 v8, vcc_lo, v4, v32
	v_add_co_ci_u32_e32 v9, vcc_lo, v5, v33, vcc_lo
	flat_load_b32 v8, v[8:9]
	s_waitcnt vmcnt(0) lgkmcnt(0)
	v_mul_f32_e32 v8, s15, v8
.LBB39_87:
	v_dual_min_f32 v9, v55, v1 :: v_dual_min_f32 v10, v54, v0
	v_dual_min_f32 v11, v30, v2 :: v_dual_min_f32 v30, v31, v3
	s_delay_alu instid0(VALU_DEP_2) | instskip(NEXT) | instid1(VALU_DEP_1)
	v_dual_add_f32 v9, v9, v68 :: v_dual_add_f32 v10, v10, v70
	v_dual_add_f32 v9, v30, v9 :: v_dual_add_f32 v10, v11, v10
	s_delay_alu instid0(VALU_DEP_1) | instskip(SKIP_2) | instid1(VALU_DEP_3)
	v_add_f32_e32 v9, v10, v9
	v_add_co_u32 v10, vcc_lo, v6, v32
	v_add_co_ci_u32_e32 v11, vcc_lo, v7, v33, vcc_lo
	v_dual_add_f32 v30, v9, v8 :: v_dual_mov_b32 v9, 0
	v_mov_b32_e32 v8, 0
	s_and_b32 vcc_lo, exec_lo, s0
	global_store_b32 v[10:11], v30, off
	s_cbranch_vccnz .LBB39_89
; %bb.88:
	v_add_co_u32 v9, vcc_lo, v4, v28
	v_add_co_ci_u32_e32 v10, vcc_lo, v5, v29, vcc_lo
	flat_load_b32 v9, v[9:10]
	s_waitcnt vmcnt(0) lgkmcnt(0)
	v_mul_f32_e32 v9, s15, v9
.LBB39_89:
	v_dual_min_f32 v10, v57, v1 :: v_dual_min_f32 v11, v56, v0
	v_dual_min_f32 v26, v26, v2 :: v_dual_min_f32 v27, v27, v3
	s_delay_alu instid0(VALU_DEP_2) | instskip(NEXT) | instid1(VALU_DEP_1)
	v_dual_add_f32 v10, v10, v66 :: v_dual_add_f32 v11, v11, v67
	v_dual_add_f32 v10, v27, v10 :: v_dual_add_f32 v11, v26, v11
	s_delay_alu instid0(VALU_DEP_1) | instskip(NEXT) | instid1(VALU_DEP_1)
	v_add_f32_e32 v10, v11, v10
	v_add_f32_e32 v11, v10, v9
	v_add_co_u32 v9, vcc_lo, v6, v28
	v_add_co_ci_u32_e32 v10, vcc_lo, v7, v29, vcc_lo
	s_and_b32 vcc_lo, exec_lo, s0
	global_store_b32 v[9:10], v11, off
	s_cbranch_vccnz .LBB39_91
; %bb.90:
	v_add_co_u32 v8, vcc_lo, v4, v24
	v_add_co_ci_u32_e32 v9, vcc_lo, v5, v25, vcc_lo
	flat_load_b32 v8, v[8:9]
	s_waitcnt vmcnt(0) lgkmcnt(0)
	v_mul_f32_e32 v8, s15, v8
.LBB39_91:
	v_dual_min_f32 v9, v59, v1 :: v_dual_min_f32 v10, v58, v0
	v_dual_min_f32 v11, v22, v2 :: v_dual_min_f32 v22, v23, v3
	;; [unrolled: 1-line block ×3, first 2 shown]
	s_delay_alu instid0(VALU_DEP_3) | instskip(NEXT) | instid1(VALU_DEP_2)
	v_dual_add_f32 v9, v9, v62 :: v_dual_add_f32 v10, v10, v65
	v_dual_min_f32 v18, v18, v2 :: v_dual_add_f32 v23, v23, v64
	s_delay_alu instid0(VALU_DEP_2) | instskip(SKIP_2) | instid1(VALU_DEP_2)
	v_dual_add_f32 v9, v22, v9 :: v_dual_add_f32 v10, v11, v10
	v_min_f32_e32 v11, v19, v3
	v_add_f32_e32 v19, v26, v63
	v_dual_add_f32 v22, v10, v9 :: v_dual_add_f32 v11, v11, v23
	s_delay_alu instid0(VALU_DEP_2) | instskip(SKIP_2) | instid1(VALU_DEP_4)
	v_add_f32_e32 v18, v18, v19
	v_add_co_u32 v9, vcc_lo, v6, v24
	v_add_co_ci_u32_e32 v10, vcc_lo, v7, v25, vcc_lo
	v_add_f32_e32 v19, v22, v8
	s_delay_alu instid0(VALU_DEP_4)
	v_add_f32_e32 v8, v18, v11
	s_mov_b32 vcc_lo, s2
	global_store_b32 v[9:10], v19, off
	s_cbranch_vccz .LBB39_94
; %bb.92:
	v_add_co_u32 v9, vcc_lo, v6, v20
	v_add_f32_e32 v11, 0, v8
	v_add_co_ci_u32_e32 v10, vcc_lo, v7, v21, vcc_lo
	s_mov_b32 s0, 0
	global_store_b32 v[9:10], v11, off
	s_cbranch_execz .LBB39_95
; %bb.93:
	v_mov_b32_e32 v4, s0
	s_branch .LBB39_96
.LBB39_94:
	s_mov_b32 s0, -1
.LBB39_95:
	v_add_co_u32 v9, vcc_lo, v4, v20
	v_add_co_ci_u32_e32 v10, vcc_lo, v5, v21, vcc_lo
	flat_load_b32 v11, v[9:10]
	v_add_co_u32 v9, vcc_lo, v6, v20
	v_add_co_ci_u32_e32 v10, vcc_lo, v7, v21, vcc_lo
	v_add_co_u32 v4, vcc_lo, v4, v16
	v_add_co_ci_u32_e32 v5, vcc_lo, v5, v17, vcc_lo
	s_waitcnt vmcnt(0) lgkmcnt(0)
	v_fmac_f32_e32 v8, s15, v11
	global_store_b32 v[9:10], v8, off
	flat_load_b32 v4, v[4:5]
	s_waitcnt vmcnt(0) lgkmcnt(0)
	v_mul_f32_e32 v4, s15, v4
.LBB39_96:
	v_dual_min_f32 v1, v13, v1 :: v_dual_min_f32 v0, v12, v0
	v_dual_min_f32 v2, v14, v2 :: v_dual_min_f32 v3, v15, v3
	s_delay_alu instid0(VALU_DEP_2) | instskip(NEXT) | instid1(VALU_DEP_1)
	v_dual_add_f32 v1, v1, v60 :: v_dual_add_f32 v0, v0, v61
	v_dual_add_f32 v1, v3, v1 :: v_dual_add_f32 v0, v2, v0
	s_delay_alu instid0(VALU_DEP_1) | instskip(NEXT) | instid1(VALU_DEP_1)
	v_add_f32_e32 v0, v0, v1
	v_add_f32_e32 v2, v0, v4
	v_add_co_u32 v0, vcc_lo, v6, v16
	v_add_co_ci_u32_e32 v1, vcc_lo, v7, v17, vcc_lo
	global_store_b32 v[0:1], v2, off
	s_nop 0
	s_sendmsg sendmsg(MSG_DEALLOC_VGPRS)
	s_endpgm
	.section	.rodata,"a",@progbits
	.p2align	6, 0x0
	.amdhsa_kernel _ZN12_GLOBAL__N_120geam_min_plus_kernelIf15HIP_vector_typeIfLj2EES2_Li8ELi32ELi64ELi128ELi4ELi64ELi4ELi64ELi4ELc78ELc84ELb0ELb0ELb0EPKfKS4_KPfEEviiiT16_PT17_ilSA_ilS8_SA_ilPT18_ili26rocblas_geam_ex_operation_
		.amdhsa_group_segment_fixed_size 6144
		.amdhsa_private_segment_fixed_size 0
		.amdhsa_kernarg_size 136
		.amdhsa_user_sgpr_count 14
		.amdhsa_user_sgpr_dispatch_ptr 0
		.amdhsa_user_sgpr_queue_ptr 0
		.amdhsa_user_sgpr_kernarg_segment_ptr 1
		.amdhsa_user_sgpr_dispatch_id 0
		.amdhsa_user_sgpr_private_segment_size 0
		.amdhsa_wavefront_size32 1
		.amdhsa_uses_dynamic_stack 0
		.amdhsa_enable_private_segment 0
		.amdhsa_system_sgpr_workgroup_id_x 1
		.amdhsa_system_sgpr_workgroup_id_y 0
		.amdhsa_system_sgpr_workgroup_id_z 1
		.amdhsa_system_sgpr_workgroup_info 0
		.amdhsa_system_vgpr_workitem_id 1
		.amdhsa_next_free_vgpr 229
		.amdhsa_next_free_sgpr 24
		.amdhsa_reserve_vcc 1
		.amdhsa_float_round_mode_32 0
		.amdhsa_float_round_mode_16_64 0
		.amdhsa_float_denorm_mode_32 3
		.amdhsa_float_denorm_mode_16_64 3
		.amdhsa_dx10_clamp 1
		.amdhsa_ieee_mode 1
		.amdhsa_fp16_overflow 0
		.amdhsa_workgroup_processor_mode 1
		.amdhsa_memory_ordered 1
		.amdhsa_forward_progress 0
		.amdhsa_shared_vgpr_count 0
		.amdhsa_exception_fp_ieee_invalid_op 0
		.amdhsa_exception_fp_denorm_src 0
		.amdhsa_exception_fp_ieee_div_zero 0
		.amdhsa_exception_fp_ieee_overflow 0
		.amdhsa_exception_fp_ieee_underflow 0
		.amdhsa_exception_fp_ieee_inexact 0
		.amdhsa_exception_int_div_zero 0
	.end_amdhsa_kernel
	.section	.text._ZN12_GLOBAL__N_120geam_min_plus_kernelIf15HIP_vector_typeIfLj2EES2_Li8ELi32ELi64ELi128ELi4ELi64ELi4ELi64ELi4ELc78ELc84ELb0ELb0ELb0EPKfKS4_KPfEEviiiT16_PT17_ilSA_ilS8_SA_ilPT18_ili26rocblas_geam_ex_operation_,"axG",@progbits,_ZN12_GLOBAL__N_120geam_min_plus_kernelIf15HIP_vector_typeIfLj2EES2_Li8ELi32ELi64ELi128ELi4ELi64ELi4ELi64ELi4ELc78ELc84ELb0ELb0ELb0EPKfKS4_KPfEEviiiT16_PT17_ilSA_ilS8_SA_ilPT18_ili26rocblas_geam_ex_operation_,comdat
.Lfunc_end39:
	.size	_ZN12_GLOBAL__N_120geam_min_plus_kernelIf15HIP_vector_typeIfLj2EES2_Li8ELi32ELi64ELi128ELi4ELi64ELi4ELi64ELi4ELc78ELc84ELb0ELb0ELb0EPKfKS4_KPfEEviiiT16_PT17_ilSA_ilS8_SA_ilPT18_ili26rocblas_geam_ex_operation_, .Lfunc_end39-_ZN12_GLOBAL__N_120geam_min_plus_kernelIf15HIP_vector_typeIfLj2EES2_Li8ELi32ELi64ELi128ELi4ELi64ELi4ELi64ELi4ELc78ELc84ELb0ELb0ELb0EPKfKS4_KPfEEviiiT16_PT17_ilSA_ilS8_SA_ilPT18_ili26rocblas_geam_ex_operation_
                                        ; -- End function
	.section	.AMDGPU.csdata,"",@progbits
; Kernel info:
; codeLenInByte = 10320
; NumSgprs: 26
; NumVgprs: 229
; ScratchSize: 0
; MemoryBound: 0
; FloatMode: 240
; IeeeMode: 1
; LDSByteSize: 6144 bytes/workgroup (compile time only)
; SGPRBlocks: 3
; VGPRBlocks: 28
; NumSGPRsForWavesPerEU: 26
; NumVGPRsForWavesPerEU: 229
; Occupancy: 6
; WaveLimiterHint : 1
; COMPUTE_PGM_RSRC2:SCRATCH_EN: 0
; COMPUTE_PGM_RSRC2:USER_SGPR: 14
; COMPUTE_PGM_RSRC2:TRAP_HANDLER: 0
; COMPUTE_PGM_RSRC2:TGID_X_EN: 1
; COMPUTE_PGM_RSRC2:TGID_Y_EN: 0
; COMPUTE_PGM_RSRC2:TGID_Z_EN: 1
; COMPUTE_PGM_RSRC2:TIDIG_COMP_CNT: 1
	.section	.text._ZN12_GLOBAL__N_120geam_min_plus_kernelIf15HIP_vector_typeIfLj2EES2_Li8ELi32ELi64ELi128ELi4ELi64ELi4ELi64ELi4ELc78ELc84ELb1ELb0ELb0EfKPKfKPfEEviiiT16_PT17_ilSA_ilS8_SA_ilPT18_ili26rocblas_geam_ex_operation_,"axG",@progbits,_ZN12_GLOBAL__N_120geam_min_plus_kernelIf15HIP_vector_typeIfLj2EES2_Li8ELi32ELi64ELi128ELi4ELi64ELi4ELi64ELi4ELc78ELc84ELb1ELb0ELb0EfKPKfKPfEEviiiT16_PT17_ilSA_ilS8_SA_ilPT18_ili26rocblas_geam_ex_operation_,comdat
	.globl	_ZN12_GLOBAL__N_120geam_min_plus_kernelIf15HIP_vector_typeIfLj2EES2_Li8ELi32ELi64ELi128ELi4ELi64ELi4ELi64ELi4ELc78ELc84ELb1ELb0ELb0EfKPKfKPfEEviiiT16_PT17_ilSA_ilS8_SA_ilPT18_ili26rocblas_geam_ex_operation_ ; -- Begin function _ZN12_GLOBAL__N_120geam_min_plus_kernelIf15HIP_vector_typeIfLj2EES2_Li8ELi32ELi64ELi128ELi4ELi64ELi4ELi64ELi4ELc78ELc84ELb1ELb0ELb0EfKPKfKPfEEviiiT16_PT17_ilSA_ilS8_SA_ilPT18_ili26rocblas_geam_ex_operation_
	.p2align	8
	.type	_ZN12_GLOBAL__N_120geam_min_plus_kernelIf15HIP_vector_typeIfLj2EES2_Li8ELi32ELi64ELi128ELi4ELi64ELi4ELi64ELi4ELc78ELc84ELb1ELb0ELb0EfKPKfKPfEEviiiT16_PT17_ilSA_ilS8_SA_ilPT18_ili26rocblas_geam_ex_operation_,@function
_ZN12_GLOBAL__N_120geam_min_plus_kernelIf15HIP_vector_typeIfLj2EES2_Li8ELi32ELi64ELi128ELi4ELi64ELi4ELi64ELi4ELc78ELc84ELb1ELb0ELb0EfKPKfKPfEEviiiT16_PT17_ilSA_ilS8_SA_ilPT18_ili26rocblas_geam_ex_operation_: ; @_ZN12_GLOBAL__N_120geam_min_plus_kernelIf15HIP_vector_typeIfLj2EES2_Li8ELi32ELi64ELi128ELi4ELi64ELi4ELi64ELi4ELc78ELc84ELb1ELb0ELb0EfKPKfKPfEEviiiT16_PT17_ilSA_ilS8_SA_ilPT18_ili26rocblas_geam_ex_operation_
; %bb.0:
	s_clause 0x1
	s_load_b64 s[8:9], s[0:1], 0x8
	s_load_b128 s[4:7], s[0:1], 0x20
	s_mov_b32 s16, s15
	s_mov_b32 s17, 0
	s_waitcnt lgkmcnt(0)
	v_cmp_eq_f32_e64 s2, s9, 0
	s_delay_alu instid0(VALU_DEP_1)
	s_and_b32 vcc_lo, exec_lo, s2
	s_cbranch_vccnz .LBB40_3
; %bb.1:
	s_load_b64 s[10:11], s[0:1], 0x10
	s_lshl_b64 s[12:13], s[16:17], 3
	s_waitcnt lgkmcnt(0)
	s_add_u32 s10, s10, s12
	s_addc_u32 s11, s11, s13
	s_lshl_b64 s[4:5], s[4:5], 2
	s_load_b64 s[10:11], s[10:11], 0x0
	s_waitcnt lgkmcnt(0)
	s_add_u32 s10, s10, s4
	s_addc_u32 s11, s11, s5
	s_and_not1_b32 vcc_lo, exec_lo, s2
	s_cbranch_vccnz .LBB40_4
.LBB40_2:
	s_mov_b64 s[12:13], 0
	s_and_not1_b32 vcc_lo, exec_lo, s17
	s_cbranch_vccz .LBB40_5
	s_branch .LBB40_6
.LBB40_3:
	s_mov_b64 s[10:11], 0
	s_and_not1_b32 vcc_lo, exec_lo, s2
	s_cbranch_vccz .LBB40_2
.LBB40_4:
	s_mov_b32 s17, -1
                                        ; implicit-def: $sgpr12_sgpr13
.LBB40_5:
	s_mov_b32 s17, 0
	s_load_b64 s[4:5], s[0:1], 0x38
	s_lshl_b64 s[2:3], s[16:17], 3
	s_delay_alu instid0(SALU_CYCLE_1) | instskip(SKIP_4) | instid1(SALU_CYCLE_1)
	s_add_u32 s2, s6, s2
	s_addc_u32 s3, s7, s3
	s_load_b64 s[2:3], s[2:3], 0x0
	s_waitcnt lgkmcnt(0)
	s_lshl_b64 s[4:5], s[4:5], 2
	s_add_u32 s12, s2, s4
	s_addc_u32 s13, s3, s5
.LBB40_6:
	s_clause 0x1
	s_load_b32 s15, s[0:1], 0x40
	s_load_b128 s[4:7], s[0:1], 0x58
	s_waitcnt lgkmcnt(0)
	v_cmp_eq_f32_e64 s2, s15, 0
	s_delay_alu instid0(VALU_DEP_1) | instskip(NEXT) | instid1(SALU_CYCLE_1)
	s_and_b32 s2, exec_lo, s2
	s_mov_b32 vcc_lo, s2
	s_cbranch_vccnz .LBB40_8
; %bb.7:
	s_load_b64 s[18:19], s[0:1], 0x48
	s_lshl_b64 s[20:21], s[16:17], 3
	s_waitcnt lgkmcnt(0)
	s_add_u32 s18, s18, s20
	s_addc_u32 s19, s19, s21
	s_lshl_b64 s[4:5], s[4:5], 2
	s_load_b64 s[18:19], s[18:19], 0x0
	s_waitcnt lgkmcnt(0)
	s_add_u32 s4, s18, s4
	s_addc_u32 s5, s19, s5
	s_branch .LBB40_9
.LBB40_8:
	s_mov_b64 s[4:5], 0
.LBB40_9:
	s_load_b32 s3, s[0:1], 0x0
	s_lshl_b64 s[20:21], s[16:17], 3
	v_and_b32_e32 v72, 0x3ff, v0
	s_add_u32 s6, s6, s20
	s_addc_u32 s7, s7, s21
	v_bfe_u32 v73, v0, 10, 10
	s_clause 0x1
	s_load_b32 s16, s[0:1], 0x18
	s_load_b32 s18, s[0:1], 0x30
	v_lshlrev_b32_e32 v79, 4, v72
	v_lshl_add_u32 v0, v73, 3, v72
	v_lshlrev_b32_e32 v76, 4, v73
	s_delay_alu instid0(VALU_DEP_2) | instskip(SKIP_3) | instid1(VALU_DEP_2)
	v_lshrrev_b32_e32 v4, 6, v0
	v_and_b32_e32 v11, 63, v0
	s_waitcnt lgkmcnt(0)
	s_add_i32 s3, s3, -1
	v_add_nc_u32_e32 v12, 4, v4
	s_ashr_i32 s9, s3, 31
	s_delay_alu instid0(SALU_CYCLE_1) | instskip(NEXT) | instid1(SALU_CYCLE_1)
	s_lshr_b32 s9, s9, 26
	s_add_i32 s3, s3, s9
	v_mad_i64_i32 v[2:3], null, s18, v4, 0
	s_ashr_i32 s3, s3, 6
	s_delay_alu instid0(SALU_CYCLE_1) | instskip(SKIP_2) | instid1(VALU_DEP_2)
	s_add_i32 s9, s3, 1
	s_not_b32 s3, s3
	v_cvt_f32_u32_e32 v1, s9
	v_lshlrev_b64 v[2:3], 2, v[2:3]
	s_delay_alu instid0(VALU_DEP_2) | instskip(SKIP_2) | instid1(VALU_DEP_1)
	v_rcp_iflag_f32_e32 v1, v1
	s_waitcnt_depctr 0xfff
	v_mul_f32_e32 v1, 0x4f7ffffe, v1
	v_cvt_u32_f32_e32 v1, v1
	s_delay_alu instid0(VALU_DEP_1) | instskip(SKIP_1) | instid1(VALU_DEP_2)
	v_readfirstlane_b32 s17, v1
	v_mad_i64_i32 v[0:1], null, s16, v4, 0
	s_mul_i32 s3, s3, s17
	s_delay_alu instid0(SALU_CYCLE_1) | instskip(NEXT) | instid1(SALU_CYCLE_1)
	s_mul_hi_u32 s3, s17, s3
	s_add_i32 s17, s17, s3
	s_delay_alu instid0(VALU_DEP_1) | instskip(SKIP_1) | instid1(SALU_CYCLE_1)
	v_lshlrev_b64 v[0:1], 2, v[0:1]
	s_mul_hi_u32 s3, s14, s17
	s_mul_i32 s17, s3, s9
	s_add_i32 s19, s3, 1
	s_sub_i32 s17, s14, s17
	s_delay_alu instid0(VALU_DEP_1)
	v_add_co_u32 v9, vcc_lo, s10, v0
	s_sub_i32 s20, s17, s9
	s_cmp_ge_u32 s17, s9
	v_add_co_ci_u32_e32 v10, vcc_lo, s11, v1, vcc_lo
	s_cselect_b32 s3, s19, s3
	s_cselect_b32 s17, s20, s17
	s_add_i32 s19, s3, 1
	s_cmp_ge_u32 s17, s9
	s_cselect_b32 s3, s19, s3
	s_delay_alu instid0(SALU_CYCLE_1)
	s_mul_i32 s9, s3, s9
	s_lshl_b32 s20, s3, 7
	s_sub_i32 s3, s14, s9
	v_or_b32_e32 v5, s20, v11
	s_lshl_b32 s14, s3, 6
	s_cmp_lt_i32 s8, 9
	v_or_b32_e32 v7, s14, v11
	s_delay_alu instid0(VALU_DEP_2) | instskip(NEXT) | instid1(VALU_DEP_2)
	v_ashrrev_i32_e32 v6, 31, v5
	v_ashrrev_i32_e32 v8, 31, v7
	s_delay_alu instid0(VALU_DEP_2) | instskip(SKIP_2) | instid1(VALU_DEP_4)
	v_lshlrev_b64 v[0:1], 2, v[5:6]
	v_add_co_u32 v5, vcc_lo, s12, v2
	v_add_co_ci_u32_e32 v6, vcc_lo, s13, v3, vcc_lo
	v_lshlrev_b64 v[2:3], 2, v[7:8]
	s_delay_alu instid0(VALU_DEP_3) | instskip(NEXT) | instid1(VALU_DEP_3)
	v_add_co_u32 v5, vcc_lo, v5, v0
	v_add_co_ci_u32_e32 v6, vcc_lo, v6, v1, vcc_lo
	s_delay_alu instid0(VALU_DEP_3) | instskip(NEXT) | instid1(VALU_DEP_4)
	v_add_co_u32 v7, vcc_lo, v9, v2
	v_add_co_ci_u32_e32 v8, vcc_lo, v10, v3, vcc_lo
	v_mad_i64_i32 v[9:10], null, s16, v12, 0
	s_clause 0x1
	flat_load_b32 v13, v[5:6]
	flat_load_b32 v14, v[5:6] offset:256
	flat_load_b32 v8, v[7:8]
	s_load_b64 s[6:7], s[6:7], 0x0
	v_lshlrev_b64 v[5:6], 2, v[9:10]
	v_lshlrev_b32_e32 v9, 2, v4
	s_delay_alu instid0(VALU_DEP_2) | instskip(NEXT) | instid1(VALU_DEP_3)
	v_add_co_u32 v5, vcc_lo, s10, v5
	v_add_co_ci_u32_e32 v6, vcc_lo, s11, v6, vcc_lo
	s_delay_alu instid0(VALU_DEP_3) | instskip(NEXT) | instid1(VALU_DEP_3)
	v_lshl_add_u32 v88, v11, 4, v9
	v_add_co_u32 v5, vcc_lo, v5, v2
	s_delay_alu instid0(VALU_DEP_3) | instskip(SKIP_2) | instid1(VALU_DEP_1)
	v_add_co_ci_u32_e32 v6, vcc_lo, v6, v3, vcc_lo
	flat_load_b32 v55, v[5:6]
	v_mad_i64_i32 v[5:6], null, s18, v12, 0
	v_lshlrev_b64 v[5:6], 2, v[5:6]
	s_delay_alu instid0(VALU_DEP_1) | instskip(NEXT) | instid1(VALU_DEP_2)
	v_add_co_u32 v5, vcc_lo, s12, v5
	v_add_co_ci_u32_e32 v7, vcc_lo, s13, v6, vcc_lo
	s_delay_alu instid0(VALU_DEP_2) | instskip(NEXT) | instid1(VALU_DEP_2)
	v_add_co_u32 v6, vcc_lo, v5, v0
	v_add_co_ci_u32_e32 v7, vcc_lo, v7, v1, vcc_lo
	s_clause 0x1
	flat_load_b32 v5, v[6:7]
	flat_load_b32 v6, v[6:7] offset:256
	s_waitcnt vmcnt(4) lgkmcnt(0)
	ds_store_2addr_stride64_b32 v88, v13, v14 offset1:4
	s_waitcnt vmcnt(3)
	ds_store_b32 v88, v8 offset:4096
	s_waitcnt vmcnt(0) lgkmcnt(0)
	s_barrier
	buffer_gl0_inv
	ds_load_b128 v[7:10], v76
	ds_load_b128 v[11:14], v79 offset:4096
	ds_load_b128 v[15:18], v79 offset:4224
	;; [unrolled: 1-line block ×11, first 2 shown]
	s_waitcnt lgkmcnt(10)
	v_dual_max_f32 v7, v7, v7 :: v_dual_max_f32 v14, v14, v14
	v_dual_max_f32 v11, v11, v11 :: v_dual_max_f32 v8, v8, v8
	s_waitcnt lgkmcnt(9)
	v_dual_max_f32 v15, v15, v15 :: v_dual_max_f32 v12, v12, v12
	s_waitcnt lgkmcnt(8)
	;; [unrolled: 2-line block ×10, first 2 shown]
	v_dual_max_f32 v51, v51, v51 :: v_dual_max_f32 v48, v48, v48
	v_dual_max_f32 v9, v9, v9 :: v_dual_max_f32 v52, v52, v52
	v_max_f32_e32 v13, v13, v13
	ds_store_b32 v88, v55 offset:5120
	v_dual_max_f32 v10, v10, v10 :: v_dual_max_f32 v17, v17, v17
	v_max_f32_e32 v22, v22, v22
	v_dual_max_f32 v18, v18, v18 :: v_dual_max_f32 v21, v21, v21
	v_dual_max_f32 v26, v26, v26 :: v_dual_max_f32 v25, v25, v25
	;; [unrolled: 1-line block ×9, first 2 shown]
	v_dual_min_f32 v56, v12, v8 :: v_dual_min_f32 v55, v11, v7
	v_dual_min_f32 v58, v16, v8 :: v_dual_min_f32 v57, v15, v7
	;; [unrolled: 1-line block ×11, first 2 shown]
	v_min_f32_e32 v92, v32, v44
	v_dual_min_f32 v77, v20, v44 :: v_dual_min_f32 v78, v23, v43
	v_min_f32_e32 v81, v27, v43
	v_min_f32_e32 v82, v31, v43
	v_dual_min_f32 v83, v35, v43 :: v_dual_min_f32 v94, v12, v48
	v_dual_min_f32 v43, v39, v43 :: v_dual_min_f32 v96, v20, v48
	;; [unrolled: 1-line block ×6, first 2 shown]
	v_min_f32_e32 v89, v27, v47
	v_dual_min_f32 v90, v31, v47 :: v_dual_min_f32 v97, v24, v48
	v_dual_min_f32 v91, v35, v47 :: v_dual_min_f32 v12, v12, v52
	;; [unrolled: 1-line block ×5, first 2 shown]
	v_min_f32_e32 v19, v19, v51
	v_min_f32_e32 v23, v23, v51
	v_dual_min_f32 v27, v27, v51 :: v_dual_min_f32 v36, v36, v52
	v_min_f32_e32 v31, v31, v51
	v_min_f32_e32 v35, v35, v51
	v_dual_min_f32 v39, v39, v51 :: v_dual_min_f32 v102, v21, v9
	;; [unrolled: 3-line block ×3, first 2 shown]
	v_min_f32_e32 v48, v40, v48
	v_min_f32_e32 v28, v28, v52
	;; [unrolled: 1-line block ×5, first 2 shown]
	v_dual_min_f32 v101, v17, v9 :: v_dual_min_f32 v112, v22, v10
	v_dual_min_f32 v103, v25, v9 :: v_dual_min_f32 v114, v30, v10
	;; [unrolled: 1-line block ×3, first 2 shown]
	v_min_f32_e32 v106, v37, v9
	v_min_f32_e32 v9, v41, v9
	v_dual_min_f32 v107, v13, v45 :: v_dual_min_f32 v144, v18, v46
	v_dual_min_f32 v108, v17, v45 :: v_dual_min_f32 v111, v18, v10
	;; [unrolled: 1-line block ×6, first 2 shown]
	v_min_f32_e32 v129, v37, v45
	v_dual_min_f32 v45, v41, v45 :: v_dual_min_f32 v150, v14, v50
	v_dual_min_f32 v131, v13, v49 :: v_dual_min_f32 v152, v22, v50
	;; [unrolled: 1-line block ×6, first 2 shown]
	v_min_f32_e32 v137, v33, v49
	v_dual_min_f32 v138, v37, v49 :: v_dual_min_f32 v147, v30, v46
	v_min_f32_e32 v49, v41, v49
	v_min_f32_e32 v13, v13, v53
	v_dual_min_f32 v17, v17, v53 :: v_dual_min_f32 v22, v22, v54
	v_min_f32_e32 v21, v21, v53
	v_dual_min_f32 v25, v25, v53 :: v_dual_min_f32 v30, v30, v54
	v_min_f32_e32 v29, v29, v53
	v_min_f32_e32 v33, v33, v53
	;; [unrolled: 1-line block ×10, first 2 shown]
	v_dual_min_f32 v155, v34, v50 :: v_dual_add_f32 v8, 0, v8
	v_min_f32_e32 v50, v42, v50
	v_min_f32_e32 v14, v14, v54
	;; [unrolled: 1-line block ×7, first 2 shown]
	v_dual_add_f32 v54, 0, v56 :: v_dual_add_f32 v55, 0, v55
	v_dual_add_f32 v56, 0, v58 :: v_dual_add_f32 v57, 0, v57
	v_add_f32_e32 v58, 0, v60
	v_dual_add_f32 v60, 0, v62 :: v_dual_add_f32 v59, 0, v59
	v_dual_add_f32 v61, 0, v61 :: v_dual_add_f32 v62, 0, v64
	;; [unrolled: 1-line block ×9, first 2 shown]
	v_add_f32_e32 v44, 0, v44
	v_add_f32_e32 v77, 0, v80
	v_dual_add_f32 v51, 0, v51 :: v_dual_add_f32 v84, 0, v84
	v_dual_add_f32 v80, 0, v81 :: v_dual_add_f32 v81, 0, v92
	v_add_f32_e32 v86, 0, v86
	v_dual_add_f32 v92, 0, v93 :: v_dual_add_f32 v83, 0, v83
	v_dual_add_f32 v158, 0, v98 :: v_dual_add_f32 v43, 0, v43
	;; [unrolled: 3-line block ×4, first 2 shown]
	v_dual_add_f32 v87, 0, v87 :: v_dual_add_f32 v16, 0, v16
	v_dual_add_f32 v89, 0, v89 :: v_dual_add_f32 v20, 0, v20
	;; [unrolled: 1-line block ×11, first 2 shown]
	v_add_f32_e32 v35, 0, v35
	v_dual_add_f32 v39, 0, v39 :: v_dual_add_f32 v110, v110, v78
	v_dual_add_f32 v141, v53, v54 :: v_dual_add_f32 v132, v102, v59
	;; [unrolled: 1-line block ×12, first 2 shown]
	v_add_f32_e32 v102, v45, v43
	v_dual_add_f32 v107, v147, v51 :: v_dual_add_f32 v98, v133, v85
	v_dual_add_f32 v105, v148, v81 :: v_dual_add_f32 v96, v134, v86
	v_add_f32_e32 v103, v149, v92
	v_dual_add_f32 v101, v46, v44 :: v_dual_add_f32 v92, v136, v89
	v_dual_add_f32 v99, v150, v93 :: v_dual_add_f32 v90, v137, v90
	;; [unrolled: 1-line block ×6, first 2 shown]
	v_add_f32_e32 v78, v21, v19
	v_dual_add_f32 v89, v155, v159 :: v_dual_add_f32 v80, v18, v16
	v_dual_add_f32 v87, v138, v161 :: v_dual_add_f32 v66, v37, v35
	;; [unrolled: 1-line block ×5, first 2 shown]
	v_add_f32_e32 v77, v22, v20
	v_dual_add_f32 v75, v25, v23 :: v_dual_add_f32 v64, v42, v40
	v_add_f32_e32 v71, v29, v27
	v_add_f32_e32 v69, v33, v31
	;; [unrolled: 1-line block ×4, first 2 shown]
	ds_store_2addr_stride64_b32 v88, v5, v6 offset0:8 offset1:12
	s_waitcnt lgkmcnt(0)
	s_barrier
	buffer_gl0_inv
	s_cbranch_scc1 .LBB40_12
; %bb.10:
	v_add_nc_u32_e32 v10, 8, v4
	v_add_nc_u32_e32 v12, 12, v4
	v_add_co_u32 v133, vcc_lo, s10, v2
	v_add_co_ci_u32_e32 v134, vcc_lo, s11, v3, vcc_lo
	s_delay_alu instid0(VALU_DEP_4) | instskip(NEXT) | instid1(VALU_DEP_4)
	v_mad_i64_i32 v[4:5], null, v10, s18, 0
	v_mad_i64_i32 v[6:7], null, v12, s16, 0
	;; [unrolled: 1-line block ×4, first 2 shown]
	v_add_co_u32 v137, vcc_lo, s12, v0
	v_lshlrev_b64 v[48:49], 2, v[4:5]
	v_lshlrev_b64 v[50:51], 2, v[6:7]
	;; [unrolled: 1-line block ×3, first 2 shown]
	v_or_b32_e32 v127, 0x1000, v88
	v_lshlrev_b64 v[54:55], 2, v[10:11]
	v_add_nc_u32_e32 v128, 0x1000, v79
	v_add_nc_u32_e32 v129, 0x1400, v88
	v_or_b32_e32 v131, 0x800, v88
	v_lshl_add_u32 v135, v72, 4, 0x1400
	v_lshl_add_u32 v136, v73, 4, 0x800
	v_add_co_ci_u32_e32 v138, vcc_lo, s13, v1, vcc_lo
	s_ashr_i32 s17, s16, 31
	s_ashr_i32 s19, s18, 31
	s_add_i32 s21, s8, -8
	s_lshl_b64 s[8:9], s[18:19], 5
	s_lshl_b64 s[10:11], s[16:17], 5
	s_mov_b32 s12, 0
.LBB40_11:                              ; =>This Inner Loop Header: Depth=1
	v_add_co_u32 v56, vcc_lo, v133, v52
	v_add_co_ci_u32_e32 v57, vcc_lo, v134, v53, vcc_lo
	v_add_co_u32 v58, vcc_lo, v137, v48
	v_add_co_ci_u32_e32 v59, vcc_lo, v138, v49, vcc_lo
	ds_load_b128 v[40:43], v135
	ds_load_b128 v[36:39], v135 offset:128
	ds_load_b128 v[32:35], v135 offset:256
	;; [unrolled: 1-line block ×7, first 2 shown]
	ds_load_b128 v[44:47], v136
	ds_load_b128 v[8:11], v136 offset:512
	ds_load_b128 v[4:7], v136 offset:1024
	;; [unrolled: 1-line block ×3, first 2 shown]
	flat_load_b32 v56, v[56:57]
	s_clause 0x1
	flat_load_b32 v57, v[58:59]
	flat_load_b32 v58, v[58:59] offset:256
	v_add_co_u32 v60, vcc_lo, v133, v50
	v_add_co_ci_u32_e32 v61, vcc_lo, v134, v51, vcc_lo
	v_add_co_u32 v62, vcc_lo, v137, v54
	s_waitcnt lgkmcnt(14)
	v_dual_max_f32 v40, v40, v40 :: v_dual_max_f32 v41, v41, v41
	s_waitcnt lgkmcnt(13)
	v_dual_max_f32 v36, v36, v36 :: v_dual_max_f32 v37, v37, v37
	;; [unrolled: 2-line block ×5, first 2 shown]
	v_dual_max_f32 v24, v24, v24 :: v_dual_max_f32 v25, v25, v25
	v_dual_max_f32 v20, v20, v20 :: v_dual_max_f32 v21, v21, v21
	;; [unrolled: 1-line block ×4, first 2 shown]
	s_waitcnt lgkmcnt(5)
	v_dual_max_f32 v8, v8, v8 :: v_dual_max_f32 v9, v9, v9
	s_waitcnt lgkmcnt(4)
	v_dual_max_f32 v4, v4, v4 :: v_dual_max_f32 v5, v5, v5
	s_waitcnt lgkmcnt(3)
	v_dual_max_f32 v0, v0, v0 :: v_dual_max_f32 v1, v1, v1
	v_dual_max_f32 v46, v46, v46 :: v_dual_max_f32 v47, v47, v47
	v_dual_max_f32 v42, v42, v42 :: v_dual_max_f32 v43, v43, v43
	;; [unrolled: 1-line block ×12, first 2 shown]
	v_min_f32_e32 v59, v40, v44
	v_dual_min_f32 v143, v36, v44 :: v_dual_min_f32 v164, v33, v45
	v_dual_min_f32 v144, v32, v44 :: v_dual_min_f32 v163, v37, v45
	;; [unrolled: 1-line block ×6, first 2 shown]
	v_min_f32_e32 v44, v12, v44
	v_dual_min_f32 v149, v40, v8 :: v_dual_min_f32 v170, v37, v9
	v_dual_min_f32 v150, v36, v8 :: v_dual_min_f32 v169, v41, v9
	;; [unrolled: 1-line block ×16, first 2 shown]
	v_min_f32_e32 v40, v40, v0
	v_dual_min_f32 v36, v36, v0 :: v_dual_min_f32 v37, v37, v1
	v_dual_min_f32 v32, v32, v0 :: v_dual_min_f32 v33, v33, v1
	;; [unrolled: 1-line block ×6, first 2 shown]
	v_min_f32_e32 v0, v12, v0
	v_min_f32_e32 v12, v41, v45
	;; [unrolled: 1-line block ×6, first 2 shown]
	v_dual_min_f32 v183, v38, v46 :: v_dual_min_f32 v204, v35, v47
	v_dual_min_f32 v184, v34, v46 :: v_dual_min_f32 v203, v39, v47
	;; [unrolled: 1-line block ×6, first 2 shown]
	v_min_f32_e32 v46, v14, v46
	v_dual_min_f32 v189, v42, v10 :: v_dual_min_f32 v210, v39, v11
	v_dual_min_f32 v190, v38, v10 :: v_dual_min_f32 v209, v43, v11
	;; [unrolled: 1-line block ×16, first 2 shown]
	v_min_f32_e32 v42, v42, v2
	v_dual_min_f32 v38, v38, v2 :: v_dual_min_f32 v39, v39, v3
	v_dual_min_f32 v34, v34, v2 :: v_dual_min_f32 v35, v35, v3
	;; [unrolled: 1-line block ×6, first 2 shown]
	v_min_f32_e32 v2, v14, v2
	v_min_f32_e32 v14, v43, v47
	;; [unrolled: 1-line block ×4, first 2 shown]
	v_dual_add_f32 v115, v169, v115 :: v_dual_add_f32 v114, v150, v114
	v_dual_add_f32 v87, v162, v87 :: v_dual_add_f32 v4, v4, v85
	;; [unrolled: 1-line block ×4, first 2 shown]
	v_add_co_ci_u32_e32 v63, vcc_lo, v138, v55, vcc_lo
	v_min_f32_e32 v47, v15, v47
	v_dual_add_f32 v15, v59, v142 :: v_dual_add_f32 v12, v12, v141
	v_dual_add_f32 v59, v143, v140 :: v_dual_add_f32 v130, v164, v130
	;; [unrolled: 1-line block ×5, first 2 shown]
	s_delay_alu instid0(VALU_DEP_3)
	v_dual_add_f32 v83, v209, v115 :: v_dual_add_f32 v110, v192, v110
	v_add_f32_e32 v101, v190, v114
	v_dual_add_f32 v87, v202, v87 :: v_dual_add_f32 v114, v7, v5
	v_dual_add_f32 v115, v6, v4 :: v_dual_add_f32 v140, v3, v1
	v_add_f32_e32 v141, v2, v0
	v_dual_add_f32 v139, v163, v139 :: v_dual_add_f32 v132, v144, v132
	v_dual_add_f32 v126, v145, v126 :: v_dual_add_f32 v123, v166, v123
	;; [unrolled: 1-line block ×26, first 2 shown]
	v_add_f32_e32 v102, v211, v111
	v_dual_add_f32 v111, v191, v112 :: v_dual_add_f32 v106, v194, v106
	v_dual_add_f32 v112, v11, v9 :: v_dual_add_f32 v113, v10, v8
	;; [unrolled: 1-line block ×8, first 2 shown]
	v_add_f32_e32 v126, v23, v21
	v_dual_add_f32 v132, v19, v17 :: v_dual_add_f32 v139, v18, v16
	v_dual_add_f32 v108, v153, v108 :: v_dual_add_f32 v105, v174, v105
	;; [unrolled: 1-line block ×16, first 2 shown]
	v_add_co_u32 v133, vcc_lo, v133, s10
	v_add_co_u32 v137, s3, v137, s8
	s_delay_alu instid0(VALU_DEP_1)
	v_add_co_ci_u32_e64 v138, s3, s9, v138, s3
	s_waitcnt vmcnt(2) lgkmcnt(2)
	ds_store_b32 v127, v56
	s_waitcnt vmcnt(0) lgkmcnt(1)
	ds_store_2addr_stride64_b32 v88, v57, v58 offset1:4
	s_waitcnt lgkmcnt(0)
	s_barrier
	buffer_gl0_inv
	ds_load_b128 v[0:3], v76
	ds_load_b128 v[4:7], v128
	flat_load_b32 v56, v[60:61]
	s_clause 0x1
	flat_load_b32 v57, v[62:63]
	flat_load_b32 v58, v[62:63] offset:256
	ds_load_b128 v[8:11], v128 offset:128
	ds_load_b128 v[12:15], v128 offset:256
	;; [unrolled: 1-line block ×10, first 2 shown]
	v_add_co_ci_u32_e32 v134, vcc_lo, s11, v134, vcc_lo
	s_add_i32 s12, s12, 8
	s_waitcnt vmcnt(2) lgkmcnt(12)
	ds_store_b32 v129, v56
	s_waitcnt vmcnt(0) lgkmcnt(11)
	ds_store_2addr_stride64_b32 v131, v57, v58 offset1:4
	v_dual_max_f32 v0, v0, v0 :: v_dual_max_f32 v1, v1, v1
	v_dual_max_f32 v4, v4, v4 :: v_dual_max_f32 v5, v5, v5
	s_waitcnt lgkmcnt(11)
	v_dual_max_f32 v8, v8, v8 :: v_dual_max_f32 v9, v9, v9
	s_waitcnt lgkmcnt(10)
	;; [unrolled: 2-line block ×10, first 2 shown]
	v_dual_max_f32 v44, v44, v44 :: v_dual_max_f32 v45, v45, v45
	v_dual_max_f32 v2, v2, v2 :: v_dual_max_f32 v3, v3, v3
	;; [unrolled: 1-line block ×13, first 2 shown]
	v_dual_min_f32 v60, v4, v0 :: v_dual_min_f32 v159, v9, v1
	v_min_f32_e32 v61, v8, v0
	v_dual_min_f32 v62, v12, v0 :: v_dual_min_f32 v161, v17, v1
	v_dual_min_f32 v63, v16, v0 :: v_dual_min_f32 v160, v13, v1
	;; [unrolled: 1-line block ×4, first 2 shown]
	v_min_f32_e32 v144, v28, v0
	v_dual_min_f32 v0, v32, v0 :: v_dual_min_f32 v165, v5, v37
	v_dual_min_f32 v145, v4, v36 :: v_dual_min_f32 v164, v29, v1
	;; [unrolled: 1-line block ×15, first 2 shown]
	v_min_f32_e32 v158, v28, v40
	v_min_f32_e32 v40, v32, v40
	v_dual_min_f32 v4, v4, v44 :: v_dual_min_f32 v9, v9, v45
	v_dual_min_f32 v8, v8, v44 :: v_dual_min_f32 v13, v13, v45
	;; [unrolled: 1-line block ×5, first 2 shown]
	v_min_f32_e32 v24, v24, v44
	v_min_f32_e32 v28, v28, v44
	;; [unrolled: 1-line block ×5, first 2 shown]
	v_dual_min_f32 v178, v29, v41 :: v_dual_min_f32 v179, v10, v2
	v_min_f32_e32 v41, v33, v41
	v_min_f32_e32 v5, v5, v45
	;; [unrolled: 1-line block ×5, first 2 shown]
	v_dual_min_f32 v180, v14, v2 :: v_dual_min_f32 v199, v11, v3
	v_min_f32_e32 v181, v18, v2
	v_dual_min_f32 v182, v22, v2 :: v_dual_min_f32 v201, v19, v3
	v_dual_min_f32 v183, v26, v2 :: v_dual_min_f32 v200, v15, v3
	;; [unrolled: 1-line block ×3, first 2 shown]
	v_min_f32_e32 v2, v34, v2
	v_dual_min_f32 v185, v6, v38 :: v_dual_min_f32 v202, v23, v3
	v_dual_min_f32 v186, v10, v38 :: v_dual_min_f32 v205, v7, v39
	;; [unrolled: 1-line block ×8, first 2 shown]
	v_min_f32_e32 v192, v6, v42
	v_dual_min_f32 v193, v10, v42 :: v_dual_min_f32 v210, v27, v39
	v_dual_min_f32 v194, v14, v42 :: v_dual_min_f32 v213, v11, v43
	v_dual_min_f32 v195, v18, v42 :: v_dual_min_f32 v212, v7, v43
	v_dual_min_f32 v196, v22, v42 :: v_dual_min_f32 v215, v19, v43
	v_dual_min_f32 v197, v26, v42 :: v_dual_min_f32 v214, v15, v43
	v_dual_min_f32 v198, v30, v42 :: v_dual_min_f32 v217, v27, v43
	v_min_f32_e32 v42, v34, v42
	v_min_f32_e32 v6, v6, v46
	v_dual_min_f32 v10, v10, v46 :: v_dual_min_f32 v11, v11, v47
	v_dual_min_f32 v14, v14, v46 :: v_dual_min_f32 v15, v15, v47
	;; [unrolled: 1-line block ×3, first 2 shown]
	v_min_f32_e32 v22, v22, v46
	v_dual_min_f32 v26, v26, v46 :: v_dual_min_f32 v27, v27, v47
	v_min_f32_e32 v30, v30, v46
	v_min_f32_e32 v34, v34, v46
	;; [unrolled: 1-line block ×12, first 2 shown]
	v_add_f32_e32 v47, v60, v65
	v_dual_add_f32 v44, v44, v64 :: v_dual_add_f32 v59, v61, v59
	v_dual_add_f32 v60, v159, v66 :: v_dual_add_f32 v61, v62, v68
	;; [unrolled: 1-line block ×6, first 2 shown]
	v_add_f32_e32 v69, v144, v80
	v_dual_add_f32 v70, v164, v78 :: v_dual_add_f32 v71, v145, v84
	v_dual_add_f32 v0, v0, v82 :: v_dual_add_f32 v75, v146, v101
	;; [unrolled: 1-line block ×56, first 2 shown]
	v_add_f32_e32 v66, v30, v28
	v_add_f32_e32 v64, v35, v33
	s_cmp_ge_i32 s12, s21
	s_waitcnt lgkmcnt(0)
	s_barrier
	buffer_gl0_inv
	s_cbranch_scc0 .LBB40_11
.LBB40_12:
	s_load_b32 s8, s[0:1], 0x50
	v_add_nc_u32_e32 v48, s20, v73
	ds_load_b128 v[0:3], v79 offset:5120
	ds_load_b128 v[40:43], v76 offset:2048
	v_add_nc_u32_e32 v46, s14, v72
	v_cmp_neq_f32_e64 s9, s15, 0
	v_mov_b32_e32 v52, 0
	v_mov_b32_e32 v50, 0
	s_delay_alu instid0(VALU_DEP_4) | instskip(NEXT) | instid1(VALU_DEP_4)
	v_ashrrev_i32_e32 v47, 31, v46
	s_and_b32 vcc_lo, exec_lo, s9
	s_delay_alu instid0(VALU_DEP_1) | instskip(SKIP_2) | instid1(VALU_DEP_1)
	v_lshlrev_b64 v[44:45], 2, v[46:47]
	s_waitcnt lgkmcnt(0)
	v_mad_i64_i32 v[4:5], null, v48, s8, 0
	v_lshlrev_b64 v[4:5], 2, v[4:5]
	s_delay_alu instid0(VALU_DEP_1) | instskip(NEXT) | instid1(VALU_DEP_1)
	v_add_co_u32 v62, s3, s4, v4
	v_add_co_ci_u32_e64 v63, s3, s5, v5, s3
	s_cbranch_vccz .LBB40_14
; %bb.13:
	s_delay_alu instid0(VALU_DEP_2) | instskip(NEXT) | instid1(VALU_DEP_2)
	v_add_co_u32 v4, vcc_lo, v62, v44
	v_add_co_ci_u32_e32 v5, vcc_lo, v63, v45, vcc_lo
	flat_load_b32 v4, v[4:5]
	s_waitcnt vmcnt(0) lgkmcnt(0)
	v_mul_f32_e32 v50, s15, v4
.LBB40_14:
	ds_load_b128 v[36:39], v79 offset:5248
	ds_load_b128 v[32:35], v79 offset:5376
	;; [unrolled: 1-line block ×4, first 2 shown]
	s_clause 0x1
	s_load_b32 s3, s[0:1], 0x68
	s_load_b64 s[0:1], s[0:1], 0x70
	v_dual_max_f32 v72, v40, v40 :: v_dual_max_f32 v73, v41, v41
	v_dual_max_f32 v47, v0, v0 :: v_dual_max_f32 v88, v42, v42
	v_max_f32_e32 v49, v1, v1
	ds_load_b128 v[20:23], v79 offset:5760
	ds_load_b128 v[16:19], v79 offset:5888
	;; [unrolled: 1-line block ×3, first 2 shown]
	v_min_f32_e32 v0, v47, v72
	v_dual_max_f32 v42, v2, v2 :: v_dual_min_f32 v1, v49, v73
	ds_load_b128 v[8:11], v76 offset:2560
	ds_load_b128 v[4:7], v76 offset:3072
	v_min_f32_e32 v55, v42, v88
	v_add_f32_e32 v53, v1, v141
	v_max_f32_e32 v79, v43, v43
	v_max_f32_e32 v43, v3, v3
	v_add_f32_e32 v51, v0, v142
	s_waitcnt lgkmcnt(0)
	v_mad_i64_i32 v[40:41], null, v48, s3, 0
	ds_load_b128 v[0:3], v76 offset:3584
	v_min_f32_e32 v54, v43, v79
	v_add_f32_e32 v51, v55, v51
	s_lshl_b64 s[10:11], s[0:1], 2
	v_cndmask_b32_e64 v55, 0, 1, s9
	s_add_u32 s1, s6, s10
	v_lshlrev_b64 v[40:41], 2, v[40:41]
	v_dual_add_f32 v56, v54, v53 :: v_dual_add_nc_u32 v53, 8, v46
	s_addc_u32 s6, s7, s11
	v_cmp_ne_u32_e64 s0, 1, v55
	s_delay_alu instid0(VALU_DEP_2) | instskip(NEXT) | instid1(VALU_DEP_4)
	v_add_f32_e32 v51, v51, v56
	v_add_co_u32 v76, vcc_lo, s1, v40
	v_ashrrev_i32_e32 v54, 31, v53
	v_add_co_ci_u32_e32 v127, vcc_lo, s6, v41, vcc_lo
	s_delay_alu instid0(VALU_DEP_4) | instskip(NEXT) | instid1(VALU_DEP_4)
	v_add_f32_e32 v56, v51, v50
	v_add_co_u32 v50, vcc_lo, v76, v44
	s_delay_alu instid0(VALU_DEP_4) | instskip(NEXT) | instid1(VALU_DEP_4)
	v_lshlrev_b64 v[40:41], 2, v[53:54]
	v_add_co_ci_u32_e32 v51, vcc_lo, v127, v45, vcc_lo
	s_and_not1_b32 vcc_lo, exec_lo, s9
	global_store_b32 v[50:51], v56, off
	s_cbranch_vccnz .LBB40_16
; %bb.15:
	v_add_co_u32 v50, vcc_lo, v62, v40
	v_add_co_ci_u32_e32 v51, vcc_lo, v63, v41, vcc_lo
	flat_load_b32 v50, v[50:51]
	s_waitcnt vmcnt(0) lgkmcnt(0)
	v_mul_f32_e32 v52, s15, v50
.LBB40_16:
	v_dual_max_f32 v51, v37, v37 :: v_dual_max_f32 v50, v36, v36
	v_dual_max_f32 v38, v38, v38 :: v_dual_max_f32 v39, v39, v39
	v_add_co_u32 v57, vcc_lo, v76, v40
	s_delay_alu instid0(VALU_DEP_3) | instskip(NEXT) | instid1(VALU_DEP_3)
	v_dual_min_f32 v36, v51, v73 :: v_dual_min_f32 v37, v50, v72
	v_dual_min_f32 v53, v38, v88 :: v_dual_min_f32 v54, v39, v79
	v_add_co_ci_u32_e32 v58, vcc_lo, v127, v41, vcc_lo
	s_delay_alu instid0(VALU_DEP_3) | instskip(NEXT) | instid1(VALU_DEP_4)
	v_dual_add_f32 v55, v36, v139 :: v_dual_add_nc_u32 v36, 16, v46
	v_dual_add_f32 v37, v37, v140 :: v_dual_mov_b32 v56, 0
	s_and_b32 vcc_lo, exec_lo, s0
	s_delay_alu instid0(VALU_DEP_1) | instskip(NEXT) | instid1(VALU_DEP_3)
	v_dual_add_f32 v54, v54, v55 :: v_dual_add_f32 v53, v53, v37
	v_ashrrev_i32_e32 v37, 31, v36
	s_delay_alu instid0(VALU_DEP_2) | instskip(NEXT) | instid1(VALU_DEP_2)
	v_dual_add_f32 v53, v53, v54 :: v_dual_mov_b32 v54, 0
	v_lshlrev_b64 v[36:37], 2, v[36:37]
	s_delay_alu instid0(VALU_DEP_2)
	v_add_f32_e32 v52, v53, v52
	global_store_b32 v[57:58], v52, off
	s_cbranch_vccnz .LBB40_18
; %bb.17:
	v_add_co_u32 v52, vcc_lo, v62, v36
	v_add_co_ci_u32_e32 v53, vcc_lo, v63, v37, vcc_lo
	flat_load_b32 v52, v[52:53]
	s_waitcnt vmcnt(0) lgkmcnt(0)
	v_mul_f32_e32 v54, s15, v52
.LBB40_18:
	v_dual_max_f32 v53, v33, v33 :: v_dual_max_f32 v52, v32, v32
	v_dual_max_f32 v34, v34, v34 :: v_dual_max_f32 v35, v35, v35
	s_delay_alu instid0(VALU_DEP_2) | instskip(NEXT) | instid1(VALU_DEP_2)
	v_dual_min_f32 v32, v53, v73 :: v_dual_min_f32 v33, v52, v72
	v_min_f32_e32 v55, v34, v88
	s_delay_alu instid0(VALU_DEP_2) | instskip(NEXT) | instid1(VALU_DEP_3)
	v_dual_min_f32 v57, v35, v79 :: v_dual_add_f32 v58, v32, v130
	v_dual_add_f32 v33, v33, v132 :: v_dual_add_nc_u32 v32, 24, v46
	s_delay_alu instid0(VALU_DEP_2) | instskip(NEXT) | instid1(VALU_DEP_2)
	v_add_f32_e32 v57, v57, v58
	v_add_f32_e32 v55, v55, v33
	s_delay_alu instid0(VALU_DEP_3) | instskip(NEXT) | instid1(VALU_DEP_2)
	v_ashrrev_i32_e32 v33, 31, v32
	v_add_f32_e32 v55, v55, v57
	v_add_co_u32 v57, vcc_lo, v76, v36
	s_delay_alu instid0(VALU_DEP_3) | instskip(SKIP_1) | instid1(VALU_DEP_4)
	v_lshlrev_b64 v[32:33], 2, v[32:33]
	v_add_co_ci_u32_e32 v58, vcc_lo, v127, v37, vcc_lo
	v_add_f32_e32 v54, v55, v54
	s_and_b32 vcc_lo, exec_lo, s0
	global_store_b32 v[57:58], v54, off
	s_cbranch_vccnz .LBB40_20
; %bb.19:
	v_add_co_u32 v54, vcc_lo, v62, v32
	v_add_co_ci_u32_e32 v55, vcc_lo, v63, v33, vcc_lo
	flat_load_b32 v54, v[54:55]
	s_waitcnt vmcnt(0) lgkmcnt(0)
	v_mul_f32_e32 v56, s15, v54
.LBB40_20:
	v_dual_max_f32 v55, v29, v29 :: v_dual_max_f32 v54, v28, v28
	v_dual_max_f32 v30, v30, v30 :: v_dual_max_f32 v31, v31, v31
	v_mov_b32_e32 v60, 0
	s_delay_alu instid0(VALU_DEP_3) | instskip(NEXT) | instid1(VALU_DEP_3)
	v_dual_min_f32 v28, v55, v73 :: v_dual_min_f32 v29, v54, v72
	v_dual_min_f32 v57, v30, v88 :: v_dual_min_f32 v58, v31, v79
	s_delay_alu instid0(VALU_DEP_2) | instskip(NEXT) | instid1(VALU_DEP_3)
	v_dual_add_f32 v59, v28, v125 :: v_dual_add_nc_u32 v28, 32, v46
	v_add_f32_e32 v29, v29, v126
	v_add_co_u32 v125, vcc_lo, v76, v32
	s_delay_alu instid0(VALU_DEP_3) | instskip(SKIP_1) | instid1(VALU_DEP_4)
	v_add_f32_e32 v58, v58, v59
	v_add_co_ci_u32_e32 v126, vcc_lo, v127, v33, vcc_lo
	v_add_f32_e32 v57, v57, v29
	v_ashrrev_i32_e32 v29, 31, v28
	s_and_b32 vcc_lo, exec_lo, s0
	s_delay_alu instid0(VALU_DEP_2) | instskip(NEXT) | instid1(VALU_DEP_2)
	v_dual_add_f32 v57, v57, v58 :: v_dual_mov_b32 v58, 0
	v_lshlrev_b64 v[28:29], 2, v[28:29]
	s_delay_alu instid0(VALU_DEP_2)
	v_add_f32_e32 v56, v57, v56
	global_store_b32 v[125:126], v56, off
	s_cbranch_vccnz .LBB40_22
; %bb.21:
	v_add_co_u32 v56, vcc_lo, v62, v28
	v_add_co_ci_u32_e32 v57, vcc_lo, v63, v29, vcc_lo
	flat_load_b32 v56, v[56:57]
	s_waitcnt vmcnt(0) lgkmcnt(0)
	v_mul_f32_e32 v58, s15, v56
.LBB40_22:
	v_dual_max_f32 v57, v25, v25 :: v_dual_max_f32 v56, v24, v24
	v_dual_max_f32 v26, v26, v26 :: v_dual_max_f32 v27, v27, v27
	s_delay_alu instid0(VALU_DEP_2) | instskip(NEXT) | instid1(VALU_DEP_2)
	v_dual_min_f32 v24, v57, v73 :: v_dual_min_f32 v25, v56, v72
	v_min_f32_e32 v59, v26, v88
	s_delay_alu instid0(VALU_DEP_3) | instskip(NEXT) | instid1(VALU_DEP_3)
	v_min_f32_e32 v61, v27, v79
	v_add_f32_e32 v123, v24, v123
	s_delay_alu instid0(VALU_DEP_4) | instskip(NEXT) | instid1(VALU_DEP_2)
	v_dual_add_f32 v25, v25, v124 :: v_dual_add_nc_u32 v24, 40, v46
	v_add_f32_e32 v61, v61, v123
	s_delay_alu instid0(VALU_DEP_2) | instskip(NEXT) | instid1(VALU_DEP_3)
	v_add_f32_e32 v59, v59, v25
	v_ashrrev_i32_e32 v25, 31, v24
	v_add_co_u32 v123, vcc_lo, v76, v28
	v_add_co_ci_u32_e32 v124, vcc_lo, v127, v29, vcc_lo
	s_delay_alu instid0(VALU_DEP_4) | instskip(NEXT) | instid1(VALU_DEP_4)
	v_add_f32_e32 v59, v59, v61
	v_lshlrev_b64 v[24:25], 2, v[24:25]
	s_and_b32 vcc_lo, exec_lo, s0
	s_delay_alu instid0(VALU_DEP_2)
	v_add_f32_e32 v58, v59, v58
	global_store_b32 v[123:124], v58, off
	s_cbranch_vccnz .LBB40_24
; %bb.23:
	v_add_co_u32 v58, vcc_lo, v62, v24
	v_add_co_ci_u32_e32 v59, vcc_lo, v63, v25, vcc_lo
	flat_load_b32 v58, v[58:59]
	s_waitcnt vmcnt(0) lgkmcnt(0)
	v_mul_f32_e32 v60, s15, v58
.LBB40_24:
	v_dual_max_f32 v59, v21, v21 :: v_dual_max_f32 v58, v20, v20
	v_dual_max_f32 v22, v22, v22 :: v_dual_max_f32 v23, v23, v23
	s_delay_alu instid0(VALU_DEP_2) | instskip(NEXT) | instid1(VALU_DEP_2)
	v_dual_min_f32 v20, v59, v73 :: v_dual_min_f32 v21, v58, v72
	v_min_f32_e32 v61, v22, v88
	s_delay_alu instid0(VALU_DEP_3) | instskip(NEXT) | instid1(VALU_DEP_3)
	v_min_f32_e32 v123, v23, v79
	v_add_f32_e32 v121, v20, v121
	s_delay_alu instid0(VALU_DEP_4) | instskip(NEXT) | instid1(VALU_DEP_2)
	v_dual_add_f32 v21, v21, v122 :: v_dual_mov_b32 v122, 0
	v_dual_add_f32 v121, v123, v121 :: v_dual_add_nc_u32 v20, 48, v46
	s_delay_alu instid0(VALU_DEP_2) | instskip(SKIP_1) | instid1(VALU_DEP_3)
	v_add_f32_e32 v61, v61, v21
	v_add_co_u32 v123, vcc_lo, v76, v24
	v_ashrrev_i32_e32 v21, 31, v20
	v_add_co_ci_u32_e32 v124, vcc_lo, v127, v25, vcc_lo
	s_delay_alu instid0(VALU_DEP_4) | instskip(SKIP_1) | instid1(VALU_DEP_4)
	v_add_f32_e32 v61, v61, v121
	v_mov_b32_e32 v121, 0
	v_lshlrev_b64 v[20:21], 2, v[20:21]
	s_and_b32 vcc_lo, exec_lo, s0
	s_delay_alu instid0(VALU_DEP_3)
	v_add_f32_e32 v60, v61, v60
	global_store_b32 v[123:124], v60, off
	s_cbranch_vccnz .LBB40_26
; %bb.25:
	v_add_co_u32 v60, vcc_lo, v62, v20
	v_add_co_ci_u32_e32 v61, vcc_lo, v63, v21, vcc_lo
	flat_load_b32 v60, v[60:61]
	s_waitcnt vmcnt(0) lgkmcnt(0)
	v_mul_f32_e32 v122, s15, v60
.LBB40_26:
	v_dual_max_f32 v61, v17, v17 :: v_dual_max_f32 v60, v16, v16
	v_dual_max_f32 v18, v18, v18 :: v_dual_max_f32 v19, v19, v19
	s_delay_alu instid0(VALU_DEP_2) | instskip(NEXT) | instid1(VALU_DEP_2)
	v_dual_min_f32 v16, v61, v73 :: v_dual_min_f32 v17, v60, v72
	v_dual_min_f32 v123, v18, v88 :: v_dual_min_f32 v124, v19, v79
	s_delay_alu instid0(VALU_DEP_2) | instskip(NEXT) | instid1(VALU_DEP_1)
	v_dual_add_f32 v119, v16, v119 :: v_dual_add_nc_u32 v16, 56, v46
	v_dual_add_f32 v17, v17, v120 :: v_dual_add_f32 v46, v124, v119
	s_delay_alu instid0(VALU_DEP_1) | instskip(NEXT) | instid1(VALU_DEP_3)
	v_add_f32_e32 v119, v123, v17
	v_ashrrev_i32_e32 v17, 31, v16
	s_delay_alu instid0(VALU_DEP_2) | instskip(SKIP_1) | instid1(VALU_DEP_3)
	v_add_f32_e32 v46, v119, v46
	v_add_co_u32 v119, vcc_lo, v76, v20
	v_lshlrev_b64 v[16:17], 2, v[16:17]
	v_add_co_ci_u32_e32 v120, vcc_lo, v127, v21, vcc_lo
	s_delay_alu instid0(VALU_DEP_4)
	v_add_f32_e32 v46, v46, v122
	s_and_b32 vcc_lo, exec_lo, s0
	global_store_b32 v[119:120], v46, off
	s_cbranch_vccnz .LBB40_28
; %bb.27:
	v_add_co_u32 v62, vcc_lo, v62, v16
	v_add_co_ci_u32_e32 v63, vcc_lo, v63, v17, vcc_lo
	flat_load_b32 v46, v[62:63]
	s_waitcnt vmcnt(0) lgkmcnt(0)
	v_mul_f32_e32 v121, s15, v46
.LBB40_28:
	v_dual_max_f32 v12, v12, v12 :: v_dual_max_f32 v13, v13, v13
	v_dual_max_f32 v14, v14, v14 :: v_dual_add_nc_u32 v119, 32, v48
	s_delay_alu instid0(VALU_DEP_2) | instskip(NEXT) | instid1(VALU_DEP_2)
	v_dual_max_f32 v15, v15, v15 :: v_dual_min_f32 v46, v12, v72
	v_dual_min_f32 v72, v13, v73 :: v_dual_min_f32 v73, v14, v88
	s_delay_alu instid0(VALU_DEP_3) | instskip(NEXT) | instid1(VALU_DEP_2)
	v_mad_i64_i32 v[62:63], null, v119, s8, 0
	v_dual_min_f32 v79, v15, v79 :: v_dual_add_f32 v72, v72, v117
	s_delay_alu instid0(VALU_DEP_1) | instskip(NEXT) | instid1(VALU_DEP_1)
	v_dual_add_f32 v46, v46, v118 :: v_dual_add_f32 v79, v79, v72
	v_add_f32_e32 v46, v73, v46
	s_delay_alu instid0(VALU_DEP_4) | instskip(SKIP_2) | instid1(VALU_DEP_4)
	v_lshlrev_b64 v[62:63], 2, v[62:63]
	v_add_co_u32 v72, vcc_lo, v76, v16
	v_add_co_ci_u32_e32 v73, vcc_lo, v127, v17, vcc_lo
	v_dual_add_f32 v76, v46, v79 :: v_dual_mov_b32 v79, 0
	s_delay_alu instid0(VALU_DEP_4) | instskip(SKIP_1) | instid1(VALU_DEP_3)
	v_add_co_u32 v46, vcc_lo, s4, v62
	v_add_co_ci_u32_e32 v62, vcc_lo, s5, v63, vcc_lo
	v_dual_add_f32 v63, v76, v121 :: v_dual_mov_b32 v76, 0
	s_and_b32 vcc_lo, exec_lo, s0
	global_store_b32 v[72:73], v63, off
	s_cbranch_vccnz .LBB40_30
; %bb.29:
	v_add_co_u32 v72, vcc_lo, v46, v44
	v_add_co_ci_u32_e32 v73, vcc_lo, v62, v45, vcc_lo
	flat_load_b32 v63, v[72:73]
	s_waitcnt vmcnt(0) lgkmcnt(0)
	v_mul_f32_e32 v79, s15, v63
.LBB40_30:
	v_dual_max_f32 v63, v8, v8 :: v_dual_max_f32 v72, v9, v9
	v_dual_max_f32 v73, v10, v10 :: v_dual_max_f32 v8, v11, v11
	v_mad_i64_i32 v[9:10], null, v119, s3, 0
	s_delay_alu instid0(VALU_DEP_3) | instskip(NEXT) | instid1(VALU_DEP_3)
	v_dual_min_f32 v11, v47, v63 :: v_dual_min_f32 v88, v49, v72
	v_dual_min_f32 v117, v42, v73 :: v_dual_min_f32 v118, v43, v8
	s_delay_alu instid0(VALU_DEP_2) | instskip(NEXT) | instid1(VALU_DEP_4)
	v_dual_add_f32 v11, v11, v116 :: v_dual_add_f32 v88, v88, v115
	v_lshlrev_b64 v[9:10], 2, v[9:10]
	s_delay_alu instid0(VALU_DEP_2) | instskip(NEXT) | instid1(VALU_DEP_2)
	v_dual_add_f32 v11, v117, v11 :: v_dual_add_f32 v88, v118, v88
	v_add_co_u32 v9, vcc_lo, s1, v9
	s_delay_alu instid0(VALU_DEP_3) | instskip(NEXT) | instid1(VALU_DEP_3)
	v_add_co_ci_u32_e32 v10, vcc_lo, s6, v10, vcc_lo
	v_add_f32_e32 v11, v11, v88
	s_delay_alu instid0(VALU_DEP_3) | instskip(NEXT) | instid1(VALU_DEP_3)
	v_add_co_u32 v115, vcc_lo, v9, v44
	v_add_co_ci_u32_e32 v116, vcc_lo, v10, v45, vcc_lo
	s_delay_alu instid0(VALU_DEP_3)
	v_add_f32_e32 v11, v11, v79
	s_and_b32 vcc_lo, exec_lo, s0
	global_store_b32 v[115:116], v11, off
	s_cbranch_vccnz .LBB40_32
; %bb.31:
	v_add_co_u32 v115, vcc_lo, v46, v40
	v_add_co_ci_u32_e32 v116, vcc_lo, v62, v41, vcc_lo
	flat_load_b32 v11, v[115:116]
	s_waitcnt vmcnt(0) lgkmcnt(0)
	v_mul_f32_e32 v76, s15, v11
.LBB40_32:
	v_dual_min_f32 v11, v51, v72 :: v_dual_min_f32 v88, v38, v73
	v_min_f32_e32 v79, v50, v63
	v_min_f32_e32 v115, v39, v8
	s_delay_alu instid0(VALU_DEP_3) | instskip(SKIP_1) | instid1(VALU_DEP_4)
	v_add_f32_e32 v11, v11, v113
	v_add_co_u32 v113, vcc_lo, v9, v40
	v_add_f32_e32 v79, v79, v114
	v_add_co_ci_u32_e32 v114, vcc_lo, v10, v41, vcc_lo
	s_delay_alu instid0(VALU_DEP_4) | instskip(SKIP_1) | instid1(VALU_DEP_3)
	v_add_f32_e32 v11, v115, v11
	s_and_b32 vcc_lo, exec_lo, s0
	v_add_f32_e32 v79, v88, v79
	s_delay_alu instid0(VALU_DEP_1) | instskip(NEXT) | instid1(VALU_DEP_1)
	v_add_f32_e32 v11, v79, v11
	v_dual_add_f32 v79, v11, v76 :: v_dual_mov_b32 v76, 0
	v_mov_b32_e32 v11, 0
	global_store_b32 v[113:114], v79, off
	s_cbranch_vccnz .LBB40_34
; %bb.33:
	v_add_co_u32 v113, vcc_lo, v46, v36
	v_add_co_ci_u32_e32 v114, vcc_lo, v62, v37, vcc_lo
	flat_load_b32 v76, v[113:114]
	s_waitcnt vmcnt(0) lgkmcnt(0)
	v_mul_f32_e32 v76, s15, v76
.LBB40_34:
	v_dual_min_f32 v79, v53, v72 :: v_dual_min_f32 v88, v52, v63
	v_dual_min_f32 v113, v34, v73 :: v_dual_min_f32 v114, v35, v8
	s_delay_alu instid0(VALU_DEP_2) | instskip(SKIP_2) | instid1(VALU_DEP_3)
	v_dual_add_f32 v79, v79, v111 :: v_dual_add_f32 v88, v88, v112
	v_add_co_u32 v111, vcc_lo, v9, v36
	v_add_co_ci_u32_e32 v112, vcc_lo, v10, v37, vcc_lo
	v_dual_add_f32 v79, v114, v79 :: v_dual_add_f32 v88, v113, v88
	s_and_b32 vcc_lo, exec_lo, s0
	s_delay_alu instid0(VALU_DEP_1) | instskip(NEXT) | instid1(VALU_DEP_1)
	v_add_f32_e32 v79, v88, v79
	v_add_f32_e32 v76, v79, v76
	global_store_b32 v[111:112], v76, off
	s_cbranch_vccnz .LBB40_36
; %bb.35:
	v_add_co_u32 v111, vcc_lo, v46, v32
	v_add_co_ci_u32_e32 v112, vcc_lo, v62, v33, vcc_lo
	flat_load_b32 v11, v[111:112]
	s_waitcnt vmcnt(0) lgkmcnt(0)
	v_mul_f32_e32 v11, s15, v11
.LBB40_36:
	v_dual_min_f32 v76, v55, v72 :: v_dual_min_f32 v79, v54, v63
	v_dual_min_f32 v88, v30, v73 :: v_dual_min_f32 v111, v31, v8
	s_delay_alu instid0(VALU_DEP_2) | instskip(SKIP_2) | instid1(VALU_DEP_3)
	v_dual_add_f32 v76, v76, v109 :: v_dual_add_f32 v79, v79, v110
	v_add_co_u32 v109, vcc_lo, v9, v32
	v_add_co_ci_u32_e32 v110, vcc_lo, v10, v33, vcc_lo
	v_dual_add_f32 v76, v111, v76 :: v_dual_add_f32 v79, v88, v79
	s_and_b32 vcc_lo, exec_lo, s0
	s_delay_alu instid0(VALU_DEP_1) | instskip(NEXT) | instid1(VALU_DEP_1)
	v_add_f32_e32 v76, v79, v76
	v_dual_add_f32 v79, v76, v11 :: v_dual_mov_b32 v76, 0
	v_mov_b32_e32 v11, 0
	global_store_b32 v[109:110], v79, off
	s_cbranch_vccnz .LBB40_38
; %bb.37:
	v_add_co_u32 v109, vcc_lo, v46, v28
	v_add_co_ci_u32_e32 v110, vcc_lo, v62, v29, vcc_lo
	flat_load_b32 v76, v[109:110]
	s_waitcnt vmcnt(0) lgkmcnt(0)
	v_mul_f32_e32 v76, s15, v76
.LBB40_38:
	v_dual_min_f32 v79, v57, v72 :: v_dual_min_f32 v88, v56, v63
	v_dual_min_f32 v109, v26, v73 :: v_dual_min_f32 v110, v27, v8
	s_delay_alu instid0(VALU_DEP_2) | instskip(SKIP_2) | instid1(VALU_DEP_3)
	v_dual_add_f32 v79, v79, v107 :: v_dual_add_f32 v88, v88, v108
	v_add_co_u32 v107, vcc_lo, v9, v28
	v_add_co_ci_u32_e32 v108, vcc_lo, v10, v29, vcc_lo
	v_dual_add_f32 v79, v110, v79 :: v_dual_add_f32 v88, v109, v88
	s_and_b32 vcc_lo, exec_lo, s0
	s_delay_alu instid0(VALU_DEP_1) | instskip(NEXT) | instid1(VALU_DEP_1)
	v_add_f32_e32 v79, v88, v79
	v_add_f32_e32 v76, v79, v76
	global_store_b32 v[107:108], v76, off
	s_cbranch_vccnz .LBB40_40
; %bb.39:
	v_add_co_u32 v107, vcc_lo, v46, v24
	v_add_co_ci_u32_e32 v108, vcc_lo, v62, v25, vcc_lo
	flat_load_b32 v11, v[107:108]
	s_waitcnt vmcnt(0) lgkmcnt(0)
	v_mul_f32_e32 v11, s15, v11
.LBB40_40:
	v_dual_min_f32 v76, v59, v72 :: v_dual_min_f32 v79, v58, v63
	v_dual_min_f32 v88, v22, v73 :: v_dual_min_f32 v107, v23, v8
	s_delay_alu instid0(VALU_DEP_2) | instskip(SKIP_2) | instid1(VALU_DEP_3)
	v_dual_add_f32 v76, v76, v105 :: v_dual_add_f32 v79, v79, v106
	v_add_co_u32 v105, vcc_lo, v9, v24
	v_add_co_ci_u32_e32 v106, vcc_lo, v10, v25, vcc_lo
	v_dual_add_f32 v76, v107, v76 :: v_dual_add_f32 v79, v88, v79
	s_and_b32 vcc_lo, exec_lo, s0
	s_delay_alu instid0(VALU_DEP_1) | instskip(NEXT) | instid1(VALU_DEP_1)
	v_add_f32_e32 v76, v79, v76
	v_dual_add_f32 v79, v76, v11 :: v_dual_mov_b32 v76, 0
	v_mov_b32_e32 v11, 0
	global_store_b32 v[105:106], v79, off
	s_cbranch_vccnz .LBB40_42
; %bb.41:
	v_add_co_u32 v105, vcc_lo, v46, v20
	v_add_co_ci_u32_e32 v106, vcc_lo, v62, v21, vcc_lo
	flat_load_b32 v76, v[105:106]
	s_waitcnt vmcnt(0) lgkmcnt(0)
	v_mul_f32_e32 v76, s15, v76
.LBB40_42:
	v_dual_min_f32 v79, v61, v72 :: v_dual_min_f32 v88, v60, v63
	v_dual_min_f32 v105, v18, v73 :: v_dual_min_f32 v106, v19, v8
	s_delay_alu instid0(VALU_DEP_2) | instskip(SKIP_2) | instid1(VALU_DEP_3)
	v_dual_add_f32 v79, v79, v103 :: v_dual_add_f32 v88, v88, v104
	v_add_co_u32 v103, vcc_lo, v9, v20
	v_add_co_ci_u32_e32 v104, vcc_lo, v10, v21, vcc_lo
	v_dual_add_f32 v79, v106, v79 :: v_dual_add_f32 v88, v105, v88
	s_and_b32 vcc_lo, exec_lo, s0
	s_delay_alu instid0(VALU_DEP_1) | instskip(NEXT) | instid1(VALU_DEP_1)
	v_add_f32_e32 v79, v88, v79
	v_add_f32_e32 v76, v79, v76
	global_store_b32 v[103:104], v76, off
	s_cbranch_vccnz .LBB40_44
; %bb.43:
	v_add_co_u32 v103, vcc_lo, v46, v16
	v_add_co_ci_u32_e32 v104, vcc_lo, v62, v17, vcc_lo
	flat_load_b32 v11, v[103:104]
	s_waitcnt vmcnt(0) lgkmcnt(0)
	v_mul_f32_e32 v11, s15, v11
.LBB40_44:
	v_dual_min_f32 v46, v12, v63 :: v_dual_add_nc_u32 v63, 64, v48
	v_min_f32_e32 v62, v13, v72
	v_min_f32_e32 v76, v14, v73
	;; [unrolled: 1-line block ×3, first 2 shown]
	s_delay_alu instid0(VALU_DEP_4) | instskip(SKIP_3) | instid1(VALU_DEP_4)
	v_add_f32_e32 v46, v46, v102
	v_mad_i64_i32 v[72:73], null, v63, s8, 0
	v_add_f32_e32 v62, v62, v101
	v_add_co_u32 v101, vcc_lo, v9, v16
	v_add_f32_e32 v46, v76, v46
	v_add_co_ci_u32_e32 v102, vcc_lo, v10, v17, vcc_lo
	s_delay_alu instid0(VALU_DEP_4) | instskip(SKIP_2) | instid1(VALU_DEP_3)
	v_add_f32_e32 v8, v8, v62
	v_lshlrev_b64 v[72:73], 2, v[72:73]
	v_mov_b32_e32 v62, 0
	v_add_f32_e32 v8, v46, v8
	s_delay_alu instid0(VALU_DEP_1) | instskip(NEXT) | instid1(VALU_DEP_4)
	v_add_f32_e32 v10, v8, v11
	v_add_co_u32 v8, vcc_lo, s4, v72
	v_add_co_ci_u32_e32 v9, vcc_lo, s5, v73, vcc_lo
	v_mov_b32_e32 v72, 0
	s_and_b32 vcc_lo, exec_lo, s0
	global_store_b32 v[101:102], v10, off
	s_cbranch_vccnz .LBB40_46
; %bb.45:
	v_add_co_u32 v10, vcc_lo, v8, v44
	v_add_co_ci_u32_e32 v11, vcc_lo, v9, v45, vcc_lo
	flat_load_b32 v10, v[10:11]
	s_waitcnt vmcnt(0) lgkmcnt(0)
	v_mul_f32_e32 v72, s15, v10
.LBB40_46:
	v_dual_max_f32 v10, v4, v4 :: v_dual_max_f32 v11, v5, v5
	v_max_f32_e32 v46, v6, v6
	v_mad_i64_i32 v[5:6], null, v63, s3, 0
	s_delay_alu instid0(VALU_DEP_3) | instskip(NEXT) | instid1(VALU_DEP_3)
	v_min_f32_e32 v73, v49, v11
	v_dual_max_f32 v4, v7, v7 :: v_dual_min_f32 v63, v42, v46
	v_min_f32_e32 v7, v47, v10
	s_delay_alu instid0(VALU_DEP_2) | instskip(SKIP_1) | instid1(VALU_DEP_3)
	v_dual_add_f32 v73, v73, v99 :: v_dual_min_f32 v76, v43, v4
	v_lshlrev_b64 v[5:6], 2, v[5:6]
	v_add_f32_e32 v7, v7, v100
	s_delay_alu instid0(VALU_DEP_3) | instskip(NEXT) | instid1(VALU_DEP_2)
	v_add_f32_e32 v73, v76, v73
	v_add_f32_e32 v7, v63, v7
	s_delay_alu instid0(VALU_DEP_4) | instskip(SKIP_1) | instid1(VALU_DEP_3)
	v_add_co_u32 v5, vcc_lo, s1, v5
	v_add_co_ci_u32_e32 v6, vcc_lo, s6, v6, vcc_lo
	v_add_f32_e32 v7, v7, v73
	s_delay_alu instid0(VALU_DEP_1) | instskip(NEXT) | instid1(VALU_DEP_4)
	v_add_f32_e32 v7, v7, v72
	v_add_co_u32 v72, vcc_lo, v5, v44
	s_delay_alu instid0(VALU_DEP_4)
	v_add_co_ci_u32_e32 v73, vcc_lo, v6, v45, vcc_lo
	s_and_b32 vcc_lo, exec_lo, s0
	global_store_b32 v[72:73], v7, off
	s_cbranch_vccnz .LBB40_48
; %bb.47:
	v_add_co_u32 v62, vcc_lo, v8, v40
	v_add_co_ci_u32_e32 v63, vcc_lo, v9, v41, vcc_lo
	flat_load_b32 v7, v[62:63]
	s_waitcnt vmcnt(0) lgkmcnt(0)
	v_mul_f32_e32 v62, s15, v7
.LBB40_48:
	v_dual_min_f32 v7, v51, v11 :: v_dual_min_f32 v72, v38, v46
	v_min_f32_e32 v63, v50, v10
	v_min_f32_e32 v73, v39, v4
	s_delay_alu instid0(VALU_DEP_3) | instskip(NEXT) | instid1(VALU_DEP_3)
	v_add_f32_e32 v7, v7, v97
	v_add_f32_e32 v63, v63, v98
	s_delay_alu instid0(VALU_DEP_2) | instskip(NEXT) | instid1(VALU_DEP_2)
	v_add_f32_e32 v7, v73, v7
	v_add_f32_e32 v63, v72, v63
	v_add_co_u32 v72, vcc_lo, v5, v40
	v_add_co_ci_u32_e32 v73, vcc_lo, v6, v41, vcc_lo
	s_delay_alu instid0(VALU_DEP_3) | instskip(SKIP_1) | instid1(VALU_DEP_1)
	v_add_f32_e32 v7, v63, v7
	s_and_b32 vcc_lo, exec_lo, s0
	v_dual_add_f32 v63, v7, v62 :: v_dual_mov_b32 v62, 0
	v_mov_b32_e32 v7, 0
	global_store_b32 v[72:73], v63, off
	s_cbranch_vccnz .LBB40_50
; %bb.49:
	v_add_co_u32 v62, vcc_lo, v8, v36
	v_add_co_ci_u32_e32 v63, vcc_lo, v9, v37, vcc_lo
	flat_load_b32 v62, v[62:63]
	s_waitcnt vmcnt(0) lgkmcnt(0)
	v_mul_f32_e32 v62, s15, v62
.LBB40_50:
	v_dual_min_f32 v63, v53, v11 :: v_dual_min_f32 v72, v52, v10
	v_dual_min_f32 v73, v34, v46 :: v_dual_min_f32 v76, v35, v4
	s_delay_alu instid0(VALU_DEP_2) | instskip(NEXT) | instid1(VALU_DEP_1)
	v_dual_add_f32 v63, v63, v95 :: v_dual_add_f32 v72, v72, v96
	v_dual_add_f32 v63, v76, v63 :: v_dual_add_f32 v72, v73, v72
	s_delay_alu instid0(VALU_DEP_1) | instskip(NEXT) | instid1(VALU_DEP_1)
	v_add_f32_e32 v63, v72, v63
	v_add_f32_e32 v72, v63, v62
	v_add_co_u32 v62, vcc_lo, v5, v36
	v_add_co_ci_u32_e32 v63, vcc_lo, v6, v37, vcc_lo
	s_and_b32 vcc_lo, exec_lo, s0
	global_store_b32 v[62:63], v72, off
	s_cbranch_vccnz .LBB40_52
; %bb.51:
	v_add_co_u32 v62, vcc_lo, v8, v32
	v_add_co_ci_u32_e32 v63, vcc_lo, v9, v33, vcc_lo
	flat_load_b32 v7, v[62:63]
	s_waitcnt vmcnt(0) lgkmcnt(0)
	v_mul_f32_e32 v7, s15, v7
.LBB40_52:
	v_dual_min_f32 v62, v55, v11 :: v_dual_min_f32 v63, v54, v10
	v_dual_min_f32 v72, v30, v46 :: v_dual_min_f32 v73, v31, v4
	s_delay_alu instid0(VALU_DEP_2) | instskip(NEXT) | instid1(VALU_DEP_1)
	v_dual_add_f32 v62, v62, v93 :: v_dual_add_f32 v63, v63, v94
	v_dual_add_f32 v62, v73, v62 :: v_dual_add_f32 v63, v72, v63
	v_add_co_u32 v72, vcc_lo, v5, v32
	v_add_co_ci_u32_e32 v73, vcc_lo, v6, v33, vcc_lo
	s_delay_alu instid0(VALU_DEP_3) | instskip(SKIP_1) | instid1(VALU_DEP_1)
	v_add_f32_e32 v62, v63, v62
	s_and_b32 vcc_lo, exec_lo, s0
	v_dual_add_f32 v63, v62, v7 :: v_dual_mov_b32 v62, 0
	v_mov_b32_e32 v7, 0
	global_store_b32 v[72:73], v63, off
	s_cbranch_vccnz .LBB40_54
; %bb.53:
	v_add_co_u32 v62, vcc_lo, v8, v28
	v_add_co_ci_u32_e32 v63, vcc_lo, v9, v29, vcc_lo
	flat_load_b32 v62, v[62:63]
	s_waitcnt vmcnt(0) lgkmcnt(0)
	v_mul_f32_e32 v62, s15, v62
.LBB40_54:
	v_dual_min_f32 v63, v57, v11 :: v_dual_min_f32 v72, v56, v10
	v_dual_min_f32 v73, v26, v46 :: v_dual_min_f32 v76, v27, v4
	s_delay_alu instid0(VALU_DEP_2) | instskip(NEXT) | instid1(VALU_DEP_1)
	v_dual_add_f32 v63, v63, v91 :: v_dual_add_f32 v72, v72, v92
	v_dual_add_f32 v63, v76, v63 :: v_dual_add_f32 v72, v73, v72
	s_delay_alu instid0(VALU_DEP_1) | instskip(NEXT) | instid1(VALU_DEP_1)
	v_add_f32_e32 v63, v72, v63
	v_add_f32_e32 v72, v63, v62
	v_add_co_u32 v62, vcc_lo, v5, v28
	v_add_co_ci_u32_e32 v63, vcc_lo, v6, v29, vcc_lo
	s_and_b32 vcc_lo, exec_lo, s0
	global_store_b32 v[62:63], v72, off
	s_cbranch_vccnz .LBB40_56
; %bb.55:
	v_add_co_u32 v62, vcc_lo, v8, v24
	v_add_co_ci_u32_e32 v63, vcc_lo, v9, v25, vcc_lo
	flat_load_b32 v7, v[62:63]
	s_waitcnt vmcnt(0) lgkmcnt(0)
	v_mul_f32_e32 v7, s15, v7
.LBB40_56:
	v_dual_min_f32 v62, v59, v11 :: v_dual_min_f32 v63, v58, v10
	v_dual_min_f32 v72, v22, v46 :: v_dual_min_f32 v73, v23, v4
	s_delay_alu instid0(VALU_DEP_2) | instskip(NEXT) | instid1(VALU_DEP_1)
	v_dual_add_f32 v62, v62, v89 :: v_dual_add_f32 v63, v63, v90
	v_dual_add_f32 v62, v73, v62 :: v_dual_add_f32 v63, v72, v63
	v_add_co_u32 v72, vcc_lo, v5, v24
	v_add_co_ci_u32_e32 v73, vcc_lo, v6, v25, vcc_lo
	s_delay_alu instid0(VALU_DEP_3) | instskip(SKIP_1) | instid1(VALU_DEP_1)
	v_add_f32_e32 v62, v63, v62
	s_and_b32 vcc_lo, exec_lo, s0
	v_dual_add_f32 v63, v62, v7 :: v_dual_mov_b32 v62, 0
	v_mov_b32_e32 v7, 0
	global_store_b32 v[72:73], v63, off
	s_cbranch_vccnz .LBB40_58
; %bb.57:
	v_add_co_u32 v62, vcc_lo, v8, v20
	v_add_co_ci_u32_e32 v63, vcc_lo, v9, v21, vcc_lo
	flat_load_b32 v62, v[62:63]
	s_waitcnt vmcnt(0) lgkmcnt(0)
	v_mul_f32_e32 v62, s15, v62
.LBB40_58:
	v_dual_min_f32 v63, v61, v11 :: v_dual_min_f32 v72, v60, v10
	v_dual_min_f32 v73, v18, v46 :: v_dual_min_f32 v76, v19, v4
	s_delay_alu instid0(VALU_DEP_2) | instskip(NEXT) | instid1(VALU_DEP_1)
	v_dual_add_f32 v63, v63, v86 :: v_dual_add_f32 v72, v72, v87
	v_dual_add_f32 v63, v76, v63 :: v_dual_add_f32 v72, v73, v72
	s_delay_alu instid0(VALU_DEP_1) | instskip(NEXT) | instid1(VALU_DEP_1)
	v_add_f32_e32 v63, v72, v63
	v_add_f32_e32 v72, v63, v62
	v_add_co_u32 v62, vcc_lo, v5, v20
	v_add_co_ci_u32_e32 v63, vcc_lo, v6, v21, vcc_lo
	s_and_b32 vcc_lo, exec_lo, s0
	global_store_b32 v[62:63], v72, off
	s_cbranch_vccnz .LBB40_60
; %bb.59:
	v_add_co_u32 v7, vcc_lo, v8, v16
	v_add_co_ci_u32_e32 v8, vcc_lo, v9, v17, vcc_lo
	flat_load_b32 v7, v[7:8]
	s_waitcnt vmcnt(0) lgkmcnt(0)
	v_mul_f32_e32 v7, s15, v7
.LBB40_60:
	v_dual_min_f32 v8, v12, v10 :: v_dual_add_nc_u32 v9, 0x60, v48
	v_min_f32_e32 v10, v13, v11
	v_min_f32_e32 v46, v14, v46
	;; [unrolled: 1-line block ×3, first 2 shown]
	s_delay_alu instid0(VALU_DEP_4) | instskip(SKIP_3) | instid1(VALU_DEP_4)
	v_add_f32_e32 v8, v8, v85
	v_add_co_u32 v62, vcc_lo, v5, v16
	v_add_f32_e32 v48, v10, v84
	v_mad_i64_i32 v[10:11], null, v9, s8, 0
	v_add_f32_e32 v8, v46, v8
	v_add_co_ci_u32_e32 v63, vcc_lo, v6, v17, vcc_lo
	s_delay_alu instid0(VALU_DEP_4) | instskip(NEXT) | instid1(VALU_DEP_4)
	v_add_f32_e32 v4, v4, v48
	v_lshlrev_b64 v[10:11], 2, v[10:11]
	s_delay_alu instid0(VALU_DEP_2) | instskip(SKIP_1) | instid1(VALU_DEP_2)
	v_add_f32_e32 v4, v8, v4
	v_mov_b32_e32 v8, 0
	v_add_f32_e32 v6, v4, v7
	s_delay_alu instid0(VALU_DEP_4)
	v_add_co_u32 v4, vcc_lo, s4, v10
	v_add_co_ci_u32_e32 v5, vcc_lo, s5, v11, vcc_lo
	v_mov_b32_e32 v10, 0
	s_and_b32 vcc_lo, exec_lo, s0
	global_store_b32 v[62:63], v6, off
	s_cbranch_vccnz .LBB40_62
; %bb.61:
	v_add_co_u32 v6, vcc_lo, v4, v44
	v_add_co_ci_u32_e32 v7, vcc_lo, v5, v45, vcc_lo
	flat_load_b32 v6, v[6:7]
	s_waitcnt vmcnt(0) lgkmcnt(0)
	v_mul_f32_e32 v10, s15, v6
.LBB40_62:
	s_waitcnt lgkmcnt(0)
	v_dual_max_f32 v0, v0, v0 :: v_dual_max_f32 v1, v1, v1
	v_dual_max_f32 v2, v2, v2 :: v_dual_max_f32 v3, v3, v3
	v_mad_i64_i32 v[6:7], null, v9, s3, 0
	s_delay_alu instid0(VALU_DEP_3) | instskip(NEXT) | instid1(VALU_DEP_3)
	v_dual_min_f32 v11, v47, v0 :: v_dual_min_f32 v46, v49, v1
	v_dual_min_f32 v9, v42, v2 :: v_dual_min_f32 v42, v43, v3
	s_delay_alu instid0(VALU_DEP_2) | instskip(NEXT) | instid1(VALU_DEP_3)
	v_add_f32_e32 v11, v11, v83
	v_add_f32_e32 v43, v46, v82
	v_lshlrev_b64 v[6:7], 2, v[6:7]
	s_delay_alu instid0(VALU_DEP_3) | instskip(NEXT) | instid1(VALU_DEP_3)
	v_add_f32_e32 v9, v9, v11
	v_add_f32_e32 v42, v42, v43
	s_delay_alu instid0(VALU_DEP_3) | instskip(NEXT) | instid1(VALU_DEP_4)
	v_add_co_u32 v6, vcc_lo, s1, v6
	v_add_co_ci_u32_e32 v7, vcc_lo, s6, v7, vcc_lo
	s_delay_alu instid0(VALU_DEP_3) | instskip(NEXT) | instid1(VALU_DEP_1)
	v_add_f32_e32 v9, v9, v42
	v_add_f32_e32 v11, v9, v10
	s_delay_alu instid0(VALU_DEP_4) | instskip(NEXT) | instid1(VALU_DEP_4)
	v_add_co_u32 v9, vcc_lo, v6, v44
	v_add_co_ci_u32_e32 v10, vcc_lo, v7, v45, vcc_lo
	s_and_b32 vcc_lo, exec_lo, s0
	global_store_b32 v[9:10], v11, off
	s_cbranch_vccnz .LBB40_64
; %bb.63:
	v_add_co_u32 v8, vcc_lo, v4, v40
	v_add_co_ci_u32_e32 v9, vcc_lo, v5, v41, vcc_lo
	flat_load_b32 v8, v[8:9]
	s_waitcnt vmcnt(0) lgkmcnt(0)
	v_mul_f32_e32 v8, s15, v8
.LBB40_64:
	v_dual_min_f32 v9, v51, v1 :: v_dual_min_f32 v10, v50, v0
	v_dual_min_f32 v11, v38, v2 :: v_dual_min_f32 v38, v39, v3
	s_delay_alu instid0(VALU_DEP_2) | instskip(NEXT) | instid1(VALU_DEP_1)
	v_dual_add_f32 v9, v9, v80 :: v_dual_add_f32 v10, v10, v81
	v_dual_add_f32 v9, v38, v9 :: v_dual_add_f32 v10, v11, v10
	s_delay_alu instid0(VALU_DEP_1) | instskip(SKIP_2) | instid1(VALU_DEP_3)
	v_add_f32_e32 v9, v10, v9
	v_add_co_u32 v10, vcc_lo, v6, v40
	v_add_co_ci_u32_e32 v11, vcc_lo, v7, v41, vcc_lo
	v_dual_add_f32 v38, v9, v8 :: v_dual_mov_b32 v9, 0
	v_mov_b32_e32 v8, 0
	s_and_b32 vcc_lo, exec_lo, s0
	global_store_b32 v[10:11], v38, off
	s_cbranch_vccnz .LBB40_66
; %bb.65:
	v_add_co_u32 v9, vcc_lo, v4, v36
	v_add_co_ci_u32_e32 v10, vcc_lo, v5, v37, vcc_lo
	flat_load_b32 v9, v[9:10]
	s_waitcnt vmcnt(0) lgkmcnt(0)
	v_mul_f32_e32 v9, s15, v9
.LBB40_66:
	v_dual_min_f32 v10, v53, v1 :: v_dual_min_f32 v11, v52, v0
	v_dual_min_f32 v34, v34, v2 :: v_dual_min_f32 v35, v35, v3
	s_delay_alu instid0(VALU_DEP_2) | instskip(NEXT) | instid1(VALU_DEP_1)
	v_dual_add_f32 v10, v10, v77 :: v_dual_add_f32 v11, v11, v78
	v_dual_add_f32 v10, v35, v10 :: v_dual_add_f32 v11, v34, v11
	s_delay_alu instid0(VALU_DEP_1) | instskip(NEXT) | instid1(VALU_DEP_1)
	v_add_f32_e32 v10, v11, v10
	v_add_f32_e32 v11, v10, v9
	v_add_co_u32 v9, vcc_lo, v6, v36
	v_add_co_ci_u32_e32 v10, vcc_lo, v7, v37, vcc_lo
	s_and_b32 vcc_lo, exec_lo, s0
	global_store_b32 v[9:10], v11, off
	s_cbranch_vccnz .LBB40_68
; %bb.67:
	v_add_co_u32 v8, vcc_lo, v4, v32
	v_add_co_ci_u32_e32 v9, vcc_lo, v5, v33, vcc_lo
	flat_load_b32 v8, v[8:9]
	s_waitcnt vmcnt(0) lgkmcnt(0)
	v_mul_f32_e32 v8, s15, v8
.LBB40_68:
	v_dual_min_f32 v9, v55, v1 :: v_dual_min_f32 v10, v54, v0
	v_dual_min_f32 v11, v30, v2 :: v_dual_min_f32 v30, v31, v3
	s_delay_alu instid0(VALU_DEP_2) | instskip(NEXT) | instid1(VALU_DEP_1)
	v_dual_add_f32 v9, v9, v74 :: v_dual_add_f32 v10, v10, v75
	v_dual_add_f32 v9, v30, v9 :: v_dual_add_f32 v10, v11, v10
	s_delay_alu instid0(VALU_DEP_1) | instskip(SKIP_2) | instid1(VALU_DEP_3)
	v_add_f32_e32 v9, v10, v9
	v_add_co_u32 v10, vcc_lo, v6, v32
	v_add_co_ci_u32_e32 v11, vcc_lo, v7, v33, vcc_lo
	v_dual_add_f32 v30, v9, v8 :: v_dual_mov_b32 v9, 0
	v_mov_b32_e32 v8, 0
	s_and_b32 vcc_lo, exec_lo, s0
	global_store_b32 v[10:11], v30, off
	s_cbranch_vccnz .LBB40_70
; %bb.69:
	v_add_co_u32 v9, vcc_lo, v4, v28
	v_add_co_ci_u32_e32 v10, vcc_lo, v5, v29, vcc_lo
	flat_load_b32 v9, v[9:10]
	s_waitcnt vmcnt(0) lgkmcnt(0)
	v_mul_f32_e32 v9, s15, v9
.LBB40_70:
	v_dual_min_f32 v10, v57, v1 :: v_dual_min_f32 v11, v56, v0
	v_dual_min_f32 v26, v26, v2 :: v_dual_min_f32 v27, v27, v3
	s_delay_alu instid0(VALU_DEP_2) | instskip(NEXT) | instid1(VALU_DEP_1)
	v_dual_add_f32 v10, v10, v70 :: v_dual_add_f32 v11, v11, v71
	v_dual_add_f32 v10, v27, v10 :: v_dual_add_f32 v11, v26, v11
	s_delay_alu instid0(VALU_DEP_1) | instskip(NEXT) | instid1(VALU_DEP_1)
	v_add_f32_e32 v10, v11, v10
	v_add_f32_e32 v11, v10, v9
	v_add_co_u32 v9, vcc_lo, v6, v28
	v_add_co_ci_u32_e32 v10, vcc_lo, v7, v29, vcc_lo
	s_and_b32 vcc_lo, exec_lo, s0
	global_store_b32 v[9:10], v11, off
	s_cbranch_vccnz .LBB40_72
; %bb.71:
	v_add_co_u32 v8, vcc_lo, v4, v24
	v_add_co_ci_u32_e32 v9, vcc_lo, v5, v25, vcc_lo
	flat_load_b32 v8, v[8:9]
	s_waitcnt vmcnt(0) lgkmcnt(0)
	v_mul_f32_e32 v8, s15, v8
.LBB40_72:
	v_dual_min_f32 v9, v59, v1 :: v_dual_min_f32 v10, v58, v0
	v_dual_min_f32 v11, v22, v2 :: v_dual_min_f32 v22, v23, v3
	;; [unrolled: 1-line block ×3, first 2 shown]
	s_delay_alu instid0(VALU_DEP_3) | instskip(NEXT) | instid1(VALU_DEP_2)
	v_dual_add_f32 v9, v9, v68 :: v_dual_add_f32 v10, v10, v69
	v_dual_min_f32 v18, v18, v2 :: v_dual_add_f32 v23, v23, v67
	s_delay_alu instid0(VALU_DEP_2) | instskip(SKIP_2) | instid1(VALU_DEP_2)
	v_dual_add_f32 v9, v22, v9 :: v_dual_add_f32 v10, v11, v10
	v_min_f32_e32 v11, v19, v3
	v_add_f32_e32 v19, v26, v66
	v_dual_add_f32 v22, v10, v9 :: v_dual_add_f32 v11, v11, v23
	s_delay_alu instid0(VALU_DEP_2) | instskip(SKIP_2) | instid1(VALU_DEP_4)
	v_add_f32_e32 v18, v18, v19
	v_add_co_u32 v9, vcc_lo, v6, v24
	v_add_co_ci_u32_e32 v10, vcc_lo, v7, v25, vcc_lo
	v_add_f32_e32 v19, v22, v8
	s_delay_alu instid0(VALU_DEP_4)
	v_add_f32_e32 v8, v18, v11
	s_mov_b32 vcc_lo, s2
	global_store_b32 v[9:10], v19, off
	s_cbranch_vccz .LBB40_75
; %bb.73:
	v_add_co_u32 v9, vcc_lo, v6, v20
	v_add_f32_e32 v11, 0, v8
	v_add_co_ci_u32_e32 v10, vcc_lo, v7, v21, vcc_lo
	s_mov_b32 s0, 0
	global_store_b32 v[9:10], v11, off
	s_cbranch_execz .LBB40_76
; %bb.74:
	v_mov_b32_e32 v4, s0
	s_branch .LBB40_77
.LBB40_75:
	s_mov_b32 s0, -1
.LBB40_76:
	v_add_co_u32 v9, vcc_lo, v4, v20
	v_add_co_ci_u32_e32 v10, vcc_lo, v5, v21, vcc_lo
	flat_load_b32 v11, v[9:10]
	v_add_co_u32 v9, vcc_lo, v6, v20
	v_add_co_ci_u32_e32 v10, vcc_lo, v7, v21, vcc_lo
	v_add_co_u32 v4, vcc_lo, v4, v16
	v_add_co_ci_u32_e32 v5, vcc_lo, v5, v17, vcc_lo
	s_waitcnt vmcnt(0) lgkmcnt(0)
	v_fmac_f32_e32 v8, s15, v11
	global_store_b32 v[9:10], v8, off
	flat_load_b32 v4, v[4:5]
	s_waitcnt vmcnt(0) lgkmcnt(0)
	v_mul_f32_e32 v4, s15, v4
.LBB40_77:
	v_dual_min_f32 v1, v13, v1 :: v_dual_min_f32 v0, v12, v0
	v_dual_min_f32 v2, v14, v2 :: v_dual_min_f32 v3, v15, v3
	s_delay_alu instid0(VALU_DEP_2) | instskip(NEXT) | instid1(VALU_DEP_1)
	v_dual_add_f32 v1, v1, v64 :: v_dual_add_f32 v0, v0, v65
	v_dual_add_f32 v1, v3, v1 :: v_dual_add_f32 v0, v2, v0
	s_delay_alu instid0(VALU_DEP_1) | instskip(NEXT) | instid1(VALU_DEP_1)
	v_add_f32_e32 v0, v0, v1
	v_add_f32_e32 v2, v0, v4
	v_add_co_u32 v0, vcc_lo, v6, v16
	v_add_co_ci_u32_e32 v1, vcc_lo, v7, v17, vcc_lo
	global_store_b32 v[0:1], v2, off
	s_nop 0
	s_sendmsg sendmsg(MSG_DEALLOC_VGPRS)
	s_endpgm
	.section	.rodata,"a",@progbits
	.p2align	6, 0x0
	.amdhsa_kernel _ZN12_GLOBAL__N_120geam_min_plus_kernelIf15HIP_vector_typeIfLj2EES2_Li8ELi32ELi64ELi128ELi4ELi64ELi4ELi64ELi4ELc78ELc84ELb1ELb0ELb0EfKPKfKPfEEviiiT16_PT17_ilSA_ilS8_SA_ilPT18_ili26rocblas_geam_ex_operation_
		.amdhsa_group_segment_fixed_size 6144
		.amdhsa_private_segment_fixed_size 0
		.amdhsa_kernarg_size 128
		.amdhsa_user_sgpr_count 14
		.amdhsa_user_sgpr_dispatch_ptr 0
		.amdhsa_user_sgpr_queue_ptr 0
		.amdhsa_user_sgpr_kernarg_segment_ptr 1
		.amdhsa_user_sgpr_dispatch_id 0
		.amdhsa_user_sgpr_private_segment_size 0
		.amdhsa_wavefront_size32 1
		.amdhsa_uses_dynamic_stack 0
		.amdhsa_enable_private_segment 0
		.amdhsa_system_sgpr_workgroup_id_x 1
		.amdhsa_system_sgpr_workgroup_id_y 0
		.amdhsa_system_sgpr_workgroup_id_z 1
		.amdhsa_system_sgpr_workgroup_info 0
		.amdhsa_system_vgpr_workitem_id 1
		.amdhsa_next_free_vgpr 223
		.amdhsa_next_free_sgpr 22
		.amdhsa_reserve_vcc 1
		.amdhsa_float_round_mode_32 0
		.amdhsa_float_round_mode_16_64 0
		.amdhsa_float_denorm_mode_32 3
		.amdhsa_float_denorm_mode_16_64 3
		.amdhsa_dx10_clamp 1
		.amdhsa_ieee_mode 1
		.amdhsa_fp16_overflow 0
		.amdhsa_workgroup_processor_mode 1
		.amdhsa_memory_ordered 1
		.amdhsa_forward_progress 0
		.amdhsa_shared_vgpr_count 0
		.amdhsa_exception_fp_ieee_invalid_op 0
		.amdhsa_exception_fp_denorm_src 0
		.amdhsa_exception_fp_ieee_div_zero 0
		.amdhsa_exception_fp_ieee_overflow 0
		.amdhsa_exception_fp_ieee_underflow 0
		.amdhsa_exception_fp_ieee_inexact 0
		.amdhsa_exception_int_div_zero 0
	.end_amdhsa_kernel
	.section	.text._ZN12_GLOBAL__N_120geam_min_plus_kernelIf15HIP_vector_typeIfLj2EES2_Li8ELi32ELi64ELi128ELi4ELi64ELi4ELi64ELi4ELc78ELc84ELb1ELb0ELb0EfKPKfKPfEEviiiT16_PT17_ilSA_ilS8_SA_ilPT18_ili26rocblas_geam_ex_operation_,"axG",@progbits,_ZN12_GLOBAL__N_120geam_min_plus_kernelIf15HIP_vector_typeIfLj2EES2_Li8ELi32ELi64ELi128ELi4ELi64ELi4ELi64ELi4ELc78ELc84ELb1ELb0ELb0EfKPKfKPfEEviiiT16_PT17_ilSA_ilS8_SA_ilPT18_ili26rocblas_geam_ex_operation_,comdat
.Lfunc_end40:
	.size	_ZN12_GLOBAL__N_120geam_min_plus_kernelIf15HIP_vector_typeIfLj2EES2_Li8ELi32ELi64ELi128ELi4ELi64ELi4ELi64ELi4ELc78ELc84ELb1ELb0ELb0EfKPKfKPfEEviiiT16_PT17_ilSA_ilS8_SA_ilPT18_ili26rocblas_geam_ex_operation_, .Lfunc_end40-_ZN12_GLOBAL__N_120geam_min_plus_kernelIf15HIP_vector_typeIfLj2EES2_Li8ELi32ELi64ELi128ELi4ELi64ELi4ELi64ELi4ELc78ELc84ELb1ELb0ELb0EfKPKfKPfEEviiiT16_PT17_ilSA_ilS8_SA_ilPT18_ili26rocblas_geam_ex_operation_
                                        ; -- End function
	.section	.AMDGPU.csdata,"",@progbits
; Kernel info:
; codeLenInByte = 9808
; NumSgprs: 24
; NumVgprs: 223
; ScratchSize: 0
; MemoryBound: 0
; FloatMode: 240
; IeeeMode: 1
; LDSByteSize: 6144 bytes/workgroup (compile time only)
; SGPRBlocks: 2
; VGPRBlocks: 27
; NumSGPRsForWavesPerEU: 24
; NumVGPRsForWavesPerEU: 223
; Occupancy: 6
; WaveLimiterHint : 1
; COMPUTE_PGM_RSRC2:SCRATCH_EN: 0
; COMPUTE_PGM_RSRC2:USER_SGPR: 14
; COMPUTE_PGM_RSRC2:TRAP_HANDLER: 0
; COMPUTE_PGM_RSRC2:TGID_X_EN: 1
; COMPUTE_PGM_RSRC2:TGID_Y_EN: 0
; COMPUTE_PGM_RSRC2:TGID_Z_EN: 1
; COMPUTE_PGM_RSRC2:TIDIG_COMP_CNT: 1
	.section	.text._ZN12_GLOBAL__N_120geam_min_plus_kernelIf15HIP_vector_typeIfLj2EES2_Li8ELi32ELi64ELi128ELi4ELi64ELi4ELi64ELi4ELc78ELc84ELb0ELb0ELb0EfKPKfKPfEEviiiT16_PT17_ilSA_ilS8_SA_ilPT18_ili26rocblas_geam_ex_operation_,"axG",@progbits,_ZN12_GLOBAL__N_120geam_min_plus_kernelIf15HIP_vector_typeIfLj2EES2_Li8ELi32ELi64ELi128ELi4ELi64ELi4ELi64ELi4ELc78ELc84ELb0ELb0ELb0EfKPKfKPfEEviiiT16_PT17_ilSA_ilS8_SA_ilPT18_ili26rocblas_geam_ex_operation_,comdat
	.globl	_ZN12_GLOBAL__N_120geam_min_plus_kernelIf15HIP_vector_typeIfLj2EES2_Li8ELi32ELi64ELi128ELi4ELi64ELi4ELi64ELi4ELc78ELc84ELb0ELb0ELb0EfKPKfKPfEEviiiT16_PT17_ilSA_ilS8_SA_ilPT18_ili26rocblas_geam_ex_operation_ ; -- Begin function _ZN12_GLOBAL__N_120geam_min_plus_kernelIf15HIP_vector_typeIfLj2EES2_Li8ELi32ELi64ELi128ELi4ELi64ELi4ELi64ELi4ELc78ELc84ELb0ELb0ELb0EfKPKfKPfEEviiiT16_PT17_ilSA_ilS8_SA_ilPT18_ili26rocblas_geam_ex_operation_
	.p2align	8
	.type	_ZN12_GLOBAL__N_120geam_min_plus_kernelIf15HIP_vector_typeIfLj2EES2_Li8ELi32ELi64ELi128ELi4ELi64ELi4ELi64ELi4ELc78ELc84ELb0ELb0ELb0EfKPKfKPfEEviiiT16_PT17_ilSA_ilS8_SA_ilPT18_ili26rocblas_geam_ex_operation_,@function
_ZN12_GLOBAL__N_120geam_min_plus_kernelIf15HIP_vector_typeIfLj2EES2_Li8ELi32ELi64ELi128ELi4ELi64ELi4ELi64ELi4ELc78ELc84ELb0ELb0ELb0EfKPKfKPfEEviiiT16_PT17_ilSA_ilS8_SA_ilPT18_ili26rocblas_geam_ex_operation_: ; @_ZN12_GLOBAL__N_120geam_min_plus_kernelIf15HIP_vector_typeIfLj2EES2_Li8ELi32ELi64ELi128ELi4ELi64ELi4ELi64ELi4ELc78ELc84ELb0ELb0ELb0EfKPKfKPfEEviiiT16_PT17_ilSA_ilS8_SA_ilPT18_ili26rocblas_geam_ex_operation_
; %bb.0:
	s_clause 0x1
	s_load_b64 s[8:9], s[0:1], 0x8
	s_load_b128 s[4:7], s[0:1], 0x20
	s_mov_b32 s18, s15
	s_mov_b32 s19, 0
	s_waitcnt lgkmcnt(0)
	v_cmp_eq_f32_e64 s2, s9, 0
	s_delay_alu instid0(VALU_DEP_1)
	s_and_b32 vcc_lo, exec_lo, s2
	s_cbranch_vccnz .LBB41_3
; %bb.1:
	s_load_b64 s[10:11], s[0:1], 0x10
	s_lshl_b64 s[12:13], s[18:19], 3
	s_waitcnt lgkmcnt(0)
	s_add_u32 s10, s10, s12
	s_addc_u32 s11, s11, s13
	s_lshl_b64 s[4:5], s[4:5], 2
	s_load_b64 s[10:11], s[10:11], 0x0
	s_waitcnt lgkmcnt(0)
	s_add_u32 s10, s10, s4
	s_addc_u32 s11, s11, s5
	s_and_not1_b32 vcc_lo, exec_lo, s2
	s_cbranch_vccnz .LBB41_4
.LBB41_2:
	s_mov_b64 s[12:13], 0
	s_and_not1_b32 vcc_lo, exec_lo, s19
	s_cbranch_vccz .LBB41_5
	s_branch .LBB41_6
.LBB41_3:
	s_mov_b64 s[10:11], 0
	s_and_not1_b32 vcc_lo, exec_lo, s2
	s_cbranch_vccz .LBB41_2
.LBB41_4:
	s_mov_b32 s19, -1
                                        ; implicit-def: $sgpr12_sgpr13
.LBB41_5:
	s_mov_b32 s19, 0
	s_load_b64 s[4:5], s[0:1], 0x38
	s_lshl_b64 s[2:3], s[18:19], 3
	s_delay_alu instid0(SALU_CYCLE_1) | instskip(SKIP_4) | instid1(SALU_CYCLE_1)
	s_add_u32 s2, s6, s2
	s_addc_u32 s3, s7, s3
	s_load_b64 s[2:3], s[2:3], 0x0
	s_waitcnt lgkmcnt(0)
	s_lshl_b64 s[4:5], s[4:5], 2
	s_add_u32 s12, s2, s4
	s_addc_u32 s13, s3, s5
.LBB41_6:
	s_clause 0x1
	s_load_b32 s15, s[0:1], 0x40
	s_load_b128 s[4:7], s[0:1], 0x58
	v_cmp_neq_f32_e64 s21, s9, 0
	s_waitcnt lgkmcnt(0)
	v_cmp_eq_f32_e64 s2, s15, 0
	s_delay_alu instid0(VALU_DEP_1) | instskip(NEXT) | instid1(SALU_CYCLE_1)
	s_and_b32 s2, exec_lo, s2
	s_mov_b32 vcc_lo, s2
	s_cbranch_vccnz .LBB41_8
; %bb.7:
	s_load_b64 s[16:17], s[0:1], 0x48
	s_lshl_b64 s[22:23], s[18:19], 3
	s_waitcnt lgkmcnt(0)
	s_add_u32 s16, s16, s22
	s_addc_u32 s17, s17, s23
	s_lshl_b64 s[4:5], s[4:5], 2
	s_load_b64 s[16:17], s[16:17], 0x0
	s_waitcnt lgkmcnt(0)
	s_add_u32 s4, s16, s4
	s_addc_u32 s5, s17, s5
	s_branch .LBB41_9
.LBB41_8:
	s_mov_b64 s[4:5], 0
.LBB41_9:
	s_clause 0x1
	s_load_b32 s16, s[0:1], 0x18
	s_load_b32 s3, s[0:1], 0x0
	s_lshl_b64 s[18:19], s[18:19], 3
	v_and_b32_e32 v56, 0x3ff, v0
	v_bfe_u32 v57, v0, 10, 10
	v_cndmask_b32_e64 v2, 0, 1, s21
	s_waitcnt lgkmcnt(0)
	s_ashr_i32 s17, s16, 31
	s_add_u32 s6, s6, s18
	s_addc_u32 s7, s7, s19
	s_add_i32 s3, s3, -1
	s_delay_alu instid0(SALU_CYCLE_1) | instskip(NEXT) | instid1(SALU_CYCLE_1)
	s_ashr_i32 s18, s3, 31
	s_lshr_b32 s18, s18, 26
	s_delay_alu instid0(SALU_CYCLE_1) | instskip(NEXT) | instid1(SALU_CYCLE_1)
	s_add_i32 s3, s3, s18
	s_ashr_i32 s3, s3, 6
	s_delay_alu instid0(SALU_CYCLE_1) | instskip(SKIP_2) | instid1(VALU_DEP_1)
	s_add_i32 s18, s3, 1
	s_not_b32 s3, s3
	v_cvt_f32_u32_e32 v1, s18
	v_rcp_iflag_f32_e32 v1, v1
	s_waitcnt_depctr 0xfff
	v_mul_f32_e32 v1, 0x4f7ffffe, v1
	s_delay_alu instid0(VALU_DEP_1) | instskip(NEXT) | instid1(VALU_DEP_1)
	v_cvt_u32_f32_e32 v1, v1
	v_readfirstlane_b32 s19, v1
	v_lshl_add_u32 v1, v57, 3, v56
	s_delay_alu instid0(VALU_DEP_2) | instskip(NEXT) | instid1(VALU_DEP_1)
	s_mul_i32 s3, s3, s19
	v_and_b32_e32 v5, 63, v1
	s_mul_hi_u32 s3, s19, s3
	v_lshrrev_b32_e32 v4, 6, v1
	s_add_i32 s19, s19, s3
	s_delay_alu instid0(SALU_CYCLE_1) | instskip(NEXT) | instid1(SALU_CYCLE_1)
	s_mul_hi_u32 s3, s14, s19
	s_mul_i32 s19, s3, s18
	s_add_i32 s20, s3, 1
	s_sub_i32 s19, s14, s19
	s_delay_alu instid0(SALU_CYCLE_1)
	s_sub_i32 s22, s19, s18
	s_cmp_ge_u32 s19, s18
	s_cselect_b32 s3, s20, s3
	s_cselect_b32 s19, s22, s19
	s_add_i32 s20, s3, 1
	s_cmp_ge_u32 s19, s18
	s_cselect_b32 s19, s20, s3
	s_and_not1_b32 vcc_lo, exec_lo, s21
	s_mul_i32 s22, s19, s18
	s_delay_alu instid0(SALU_CYCLE_1) | instskip(NEXT) | instid1(SALU_CYCLE_1)
	s_sub_i32 s3, s14, s22
	s_lshl_b32 s20, s3, 6
	v_cmp_ne_u32_e64 s3, 1, v2
	v_or_b32_e32 v0, s20, v5
	s_delay_alu instid0(VALU_DEP_1)
	v_ashrrev_i32_e32 v1, 31, v0
	s_cbranch_vccnz .LBB41_11
; %bb.10:
	v_mad_i64_i32 v[2:3], null, s16, v4, 0
	s_delay_alu instid0(VALU_DEP_2) | instskip(NEXT) | instid1(VALU_DEP_2)
	v_lshlrev_b64 v[6:7], 2, v[0:1]
	v_lshlrev_b64 v[2:3], 2, v[2:3]
	s_delay_alu instid0(VALU_DEP_1) | instskip(NEXT) | instid1(VALU_DEP_2)
	v_add_co_u32 v2, vcc_lo, s10, v2
	v_add_co_ci_u32_e32 v3, vcc_lo, s11, v3, vcc_lo
	s_delay_alu instid0(VALU_DEP_2) | instskip(NEXT) | instid1(VALU_DEP_2)
	v_add_co_u32 v2, vcc_lo, v2, v6
	v_add_co_ci_u32_e32 v3, vcc_lo, v3, v7, vcc_lo
	flat_load_b32 v2, v[2:3]
	s_waitcnt vmcnt(0) lgkmcnt(0)
	v_mul_f32_e32 v6, s9, v2
	s_branch .LBB41_12
.LBB41_11:
	v_mov_b32_e32 v6, 0
.LBB41_12:
	s_load_b32 s18, s[0:1], 0x30
	s_lshl_b32 s21, s19, 7
	s_and_b32 vcc_lo, exec_lo, s3
	v_or_b32_e32 v2, s21, v5
	s_delay_alu instid0(VALU_DEP_1)
	v_ashrrev_i32_e32 v3, 31, v2
	s_waitcnt lgkmcnt(0)
	s_ashr_i32 s19, s18, 31
	s_cbranch_vccnz .LBB41_16
; %bb.13:
	v_mad_i64_i32 v[7:8], null, s18, v4, 0
	v_lshlrev_b64 v[9:10], 2, v[2:3]
	s_delay_alu instid0(VALU_DEP_2) | instskip(NEXT) | instid1(VALU_DEP_1)
	v_lshlrev_b64 v[7:8], 2, v[7:8]
	v_add_co_u32 v7, vcc_lo, s12, v7
	s_delay_alu instid0(VALU_DEP_2) | instskip(NEXT) | instid1(VALU_DEP_2)
	v_add_co_ci_u32_e32 v8, vcc_lo, s13, v8, vcc_lo
	v_add_co_u32 v7, vcc_lo, v7, v9
	s_delay_alu instid0(VALU_DEP_2)
	v_add_co_ci_u32_e32 v8, vcc_lo, v8, v10, vcc_lo
	s_clause 0x1
	flat_load_b32 v9, v[7:8]
	flat_load_b32 v8, v[7:8] offset:256
	s_waitcnt vmcnt(0) lgkmcnt(0)
	v_dual_mul_f32 v7, s9, v9 :: v_dual_mul_f32 v8, s9, v8
	v_add_nc_u32_e32 v9, 4, v4
	s_and_b32 vcc_lo, exec_lo, s3
	s_cbranch_vccnz .LBB41_17
.LBB41_14:
	s_delay_alu instid0(VALU_DEP_1) | instskip(SKIP_1) | instid1(VALU_DEP_2)
	v_mad_i64_i32 v[10:11], null, s16, v9, 0
	v_lshlrev_b64 v[0:1], 2, v[0:1]
	v_lshlrev_b64 v[10:11], 2, v[10:11]
	s_delay_alu instid0(VALU_DEP_1) | instskip(NEXT) | instid1(VALU_DEP_2)
	v_add_co_u32 v10, vcc_lo, s10, v10
	v_add_co_ci_u32_e32 v11, vcc_lo, s11, v11, vcc_lo
	s_delay_alu instid0(VALU_DEP_2) | instskip(NEXT) | instid1(VALU_DEP_2)
	v_add_co_u32 v0, vcc_lo, v10, v0
	v_add_co_ci_u32_e32 v1, vcc_lo, v11, v1, vcc_lo
	flat_load_b32 v0, v[0:1]
	s_waitcnt vmcnt(0) lgkmcnt(0)
	v_mul_f32_e32 v0, s9, v0
	s_and_b32 vcc_lo, exec_lo, s3
	s_cbranch_vccnz .LBB41_18
.LBB41_15:
	v_mad_i64_i32 v[10:11], null, s18, v9, 0
	v_lshlrev_b64 v[1:2], 2, v[2:3]
	s_delay_alu instid0(VALU_DEP_2) | instskip(NEXT) | instid1(VALU_DEP_1)
	v_lshlrev_b64 v[9:10], 2, v[10:11]
	v_add_co_u32 v3, vcc_lo, s12, v9
	s_delay_alu instid0(VALU_DEP_2) | instskip(NEXT) | instid1(VALU_DEP_2)
	v_add_co_ci_u32_e32 v9, vcc_lo, s13, v10, vcc_lo
	v_add_co_u32 v1, vcc_lo, v3, v1
	s_delay_alu instid0(VALU_DEP_2)
	v_add_co_ci_u32_e32 v2, vcc_lo, v9, v2, vcc_lo
	s_clause 0x1
	flat_load_b32 v3, v[1:2]
	flat_load_b32 v2, v[1:2] offset:256
	s_waitcnt vmcnt(0) lgkmcnt(0)
	v_dual_mul_f32 v1, s9, v3 :: v_dual_mul_f32 v2, s9, v2
	s_branch .LBB41_19
.LBB41_16:
	v_dual_mov_b32 v7, 0 :: v_dual_mov_b32 v8, 0
	v_add_nc_u32_e32 v9, 4, v4
	s_and_b32 vcc_lo, exec_lo, s3
	s_cbranch_vccz .LBB41_14
.LBB41_17:
	v_mov_b32_e32 v0, 0
	s_and_b32 vcc_lo, exec_lo, s3
	s_cbranch_vccz .LBB41_15
.LBB41_18:
	v_dual_mov_b32 v1, 0 :: v_dual_mov_b32 v2, 0
.LBB41_19:
	v_lshlrev_b32_e32 v3, 2, v4
	v_lshlrev_b32_e32 v58, 4, v57
	;; [unrolled: 1-line block ×3, first 2 shown]
	s_load_b64 s[6:7], s[6:7], 0x0
	s_cmp_lt_i32 s8, 9
	v_lshl_add_u32 v72, v5, 4, v3
	ds_store_b32 v72, v6 offset:4096
	ds_store_2addr_stride64_b32 v72, v7, v8 offset1:4
	s_waitcnt lgkmcnt(0)
	s_barrier
	buffer_gl0_inv
	ds_load_b128 v[6:9], v58
	ds_load_b128 v[10:13], v59 offset:4096
	ds_load_b128 v[14:17], v59 offset:4224
	;; [unrolled: 1-line block ×11, first 2 shown]
	ds_store_b32 v72, v0 offset:5120
	ds_store_2addr_stride64_b32 v72, v1, v2 offset0:8 offset1:12
	s_waitcnt lgkmcnt(0)
	s_barrier
	buffer_gl0_inv
	v_max_f32_e32 v3, v6, v6
	v_max_f32_e32 v6, v10, v10
	;; [unrolled: 1-line block ×4, first 2 shown]
	v_dual_max_f32 v11, v14, v14 :: v_dual_max_f32 v14, v15, v15
	v_dual_max_f32 v15, v18, v18 :: v_dual_max_f32 v18, v19, v19
	;; [unrolled: 1-line block ×3, first 2 shown]
	v_max_f32_e32 v26, v26, v26
	v_max_f32_e32 v19, v22, v22
	v_dual_max_f32 v27, v27, v27 :: v_dual_max_f32 v42, v42, v42
	v_max_f32_e32 v43, v43, v43
	v_dual_min_f32 v22, v6, v3 :: v_dual_max_f32 v9, v9, v9
	v_dual_min_f32 v54, v10, v7 :: v_dual_max_f32 v13, v13, v13
	;; [unrolled: 1-line block ×5, first 2 shown]
	v_min_f32_e32 v64, v23, v7
	v_dual_min_f32 v63, v19, v3 :: v_dual_max_f32 v8, v8, v8
	v_dual_min_f32 v65, v26, v3 :: v_dual_max_f32 v12, v12, v12
	v_dual_max_f32 v31, v31, v31 :: v_dual_max_f32 v16, v16, v16
	v_dual_max_f32 v35, v35, v35 :: v_dual_max_f32 v20, v20, v20
	v_dual_min_f32 v80, v26, v42 :: v_dual_min_f32 v81, v27, v43
	v_dual_max_f32 v46, v46, v46 :: v_dual_max_f32 v47, v47, v47
	v_dual_max_f32 v50, v50, v50 :: v_dual_max_f32 v51, v51, v51
	v_dual_min_f32 v62, v18, v7 :: v_dual_max_f32 v21, v21, v21
	v_dual_min_f32 v66, v27, v7 :: v_dual_min_f32 v71, v6, v42
	v_dual_min_f32 v67, v30, v3 :: v_dual_min_f32 v74, v11, v42
	v_dual_min_f32 v68, v31, v7 :: v_dual_max_f32 v25, v25, v25
	v_dual_max_f32 v39, v39, v39 :: v_dual_max_f32 v24, v24, v24
	v_dual_min_f32 v79, v23, v43 :: v_dual_min_f32 v82, v30, v42
	v_min_f32_e32 v83, v31, v43
	v_min_f32_e32 v127, v30, v46
	;; [unrolled: 1-line block ×3, first 2 shown]
	v_dual_min_f32 v30, v30, v50 :: v_dual_min_f32 v131, v31, v47
	v_dual_min_f32 v89, v14, v47 :: v_dual_add_f32 v54, 0, v54
	v_dual_min_f32 v130, v27, v47 :: v_dual_min_f32 v91, v13, v9
	v_dual_min_f32 v132, v35, v47 :: v_dual_min_f32 v93, v17, v9
	v_dual_min_f32 v27, v27, v51 :: v_dual_add_f32 v22, 0, v22
	v_dual_min_f32 v31, v31, v51 :: v_dual_min_f32 v92, v12, v8
	v_dual_add_f32 v60, 0, v60 :: v_dual_min_f32 v69, v34, v3
	v_min_f32_e32 v76, v15, v42
	v_dual_min_f32 v70, v35, v7 :: v_dual_max_f32 v29, v29, v29
	v_dual_min_f32 v3, v38, v3 :: v_dual_min_f32 v78, v19, v42
	v_dual_min_f32 v7, v39, v7 :: v_dual_max_f32 v28, v28, v28
	v_dual_min_f32 v73, v10, v43 :: v_dual_max_f32 v32, v32, v32
	;; [unrolled: 1-line block ×4, first 2 shown]
	v_dual_max_f32 v33, v33, v33 :: v_dual_min_f32 v84, v34, v42
	v_dual_max_f32 v37, v37, v37 :: v_dual_min_f32 v86, v11, v46
	v_min_f32_e32 v42, v38, v42
	v_dual_min_f32 v85, v6, v46 :: v_dual_max_f32 v44, v44, v44
	v_dual_min_f32 v87, v15, v46 :: v_dual_min_f32 v88, v10, v47
	v_dual_min_f32 v125, v19, v46 :: v_dual_min_f32 v90, v18, v47
	v_dual_max_f32 v49, v49, v49 :: v_dual_min_f32 v126, v26, v46
	v_dual_max_f32 v53, v53, v53 :: v_dual_min_f32 v46, v38, v46
	v_min_f32_e32 v6, v6, v50
	v_dual_min_f32 v11, v11, v50 :: v_dual_min_f32 v10, v10, v51
	v_dual_min_f32 v15, v15, v50 :: v_dual_min_f32 v14, v14, v51
	;; [unrolled: 1-line block ×6, first 2 shown]
	v_min_f32_e32 v50, v35, v43
	v_min_f32_e32 v43, v39, v43
	;; [unrolled: 1-line block ×3, first 2 shown]
	v_dual_min_f32 v39, v39, v51 :: v_dual_add_f32 v124, v92, v22
	v_dual_add_f32 v123, v91, v54 :: v_dual_add_f32 v22, 0, v55
	v_dual_add_f32 v121, v93, v60 :: v_dual_add_f32 v54, 0, v62
	v_dual_min_f32 v51, v16, v8 :: v_dual_add_f32 v60, 0, v61
	v_dual_min_f32 v55, v21, v9 :: v_dual_add_f32 v62, 0, v64
	v_dual_min_f32 v61, v20, v8 :: v_dual_min_f32 v64, v25, v9
	s_delay_alu instid0(VALU_DEP_3) | instskip(SKIP_1) | instid1(VALU_DEP_3)
	v_dual_add_f32 v63, 0, v63 :: v_dual_add_f32 v122, v51, v22
	v_dual_min_f32 v91, v24, v8 :: v_dual_add_f32 v22, 0, v66
	v_dual_add_f32 v119, v55, v54 :: v_dual_add_f32 v120, v61, v60
	v_dual_min_f32 v51, v29, v9 :: v_dual_add_f32 v60, 0, v68
	v_min_f32_e32 v61, v33, v9
	v_dual_max_f32 v45, v45, v45 :: v_dual_max_f32 v52, v52, v52
	v_dual_add_f32 v117, v64, v62 :: v_dual_add_f32 v118, v91, v63
	v_dual_add_f32 v54, 0, v65 :: v_dual_min_f32 v55, v28, v8
	v_dual_add_f32 v62, 0, v67 :: v_dual_min_f32 v63, v32, v8
	;; [unrolled: 1-line block ×3, first 2 shown]
	s_delay_alu instid0(VALU_DEP_3) | instskip(SKIP_1) | instid1(VALU_DEP_4)
	v_add_f32_e32 v116, v55, v54
	v_dual_add_f32 v115, v51, v22 :: v_dual_add_f32 v22, 0, v69
	v_dual_add_f32 v113, v61, v60 :: v_dual_add_f32 v114, v63, v62
	v_dual_min_f32 v51, v36, v8 :: v_dual_add_f32 v60, 0, v71
	v_min_f32_e32 v61, v12, v44
	v_dual_max_f32 v41, v41, v41 :: v_dual_max_f32 v48, v48, v48
	v_dual_add_f32 v111, v65, v64 :: v_dual_add_f32 v54, 0, v73
	v_dual_add_f32 v7, 0, v7 :: v_dual_min_f32 v8, v40, v8
	s_delay_alu instid0(VALU_DEP_4) | instskip(SKIP_2) | instid1(VALU_DEP_3)
	v_dual_add_f32 v3, 0, v3 :: v_dual_add_f32 v108, v61, v60
	v_min_f32_e32 v55, v13, v45
	v_dual_min_f32 v9, v41, v9 :: v_dual_add_f32 v112, v51, v22
	v_add_f32_e32 v110, v8, v3
	v_add_f32_e32 v8, 0, v74
	s_delay_alu instid0(VALU_DEP_4) | instskip(SKIP_3) | instid1(VALU_DEP_3)
	v_dual_add_f32 v107, v55, v54 :: v_dual_add_f32 v54, 0, v76
	v_min_f32_e32 v55, v20, v44
	v_dual_add_f32 v109, v9, v7 :: v_dual_add_f32 v22, 0, v77
	v_dual_min_f32 v7, v17, v45 :: v_dual_add_f32 v60, 0, v79
	v_dual_min_f32 v9, v16, v44 :: v_dual_add_f32 v104, v55, v54
	v_add_f32_e32 v3, 0, v75
	v_dual_min_f32 v61, v25, v45 :: v_dual_add_f32 v54, 0, v83
	v_min_f32_e32 v51, v21, v45
	s_delay_alu instid0(VALU_DEP_3) | instskip(NEXT) | instid1(VALU_DEP_3)
	v_dual_add_f32 v106, v9, v8 :: v_dual_add_f32 v105, v7, v3
	v_dual_add_f32 v100, v61, v60 :: v_dual_add_f32 v3, 0, v78
	v_dual_min_f32 v7, v24, v44 :: v_dual_add_f32 v60, 0, v82
	v_add_f32_e32 v8, 0, v81
	v_min_f32_e32 v9, v29, v45
	v_dual_min_f32 v55, v33, v45 :: v_dual_add_f32 v42, 0, v42
	v_min_f32_e32 v61, v32, v44
	s_delay_alu instid0(VALU_DEP_3)
	v_add_f32_e32 v99, v9, v8
	v_add_f32_e32 v8, 0, v84
	v_dual_add_f32 v102, v7, v3 :: v_dual_add_f32 v3, 0, v50
	v_dual_min_f32 v50, v13, v49 :: v_dual_add_f32 v103, v51, v22
	v_add_f32_e32 v98, v61, v60
	v_add_f32_e32 v22, 0, v80
	v_min_f32_e32 v51, v28, v44
	v_min_f32_e32 v9, v36, v44
	v_dual_min_f32 v44, v40, v44 :: v_dual_min_f32 v7, v37, v45
	v_min_f32_e32 v13, v13, v53
	s_delay_alu instid0(VALU_DEP_4) | instskip(NEXT) | instid1(VALU_DEP_3)
	v_dual_add_f32 v101, v51, v22 :: v_dual_add_f32 v22, 0, v43
	v_dual_min_f32 v43, v41, v45 :: v_dual_add_f32 v94, v44, v42
	v_min_f32_e32 v42, v16, v48
	v_dual_min_f32 v44, v21, v49 :: v_dual_add_f32 v97, v55, v54
	s_delay_alu instid0(VALU_DEP_3)
	v_dual_add_f32 v96, v9, v8 :: v_dual_add_f32 v93, v43, v22
	v_add_f32_e32 v8, 0, v89
	v_dual_min_f32 v9, v17, v49 :: v_dual_add_f32 v22, 0, v86
	v_add_f32_e32 v95, v7, v3
	v_add_f32_e32 v3, 0, v85
	v_min_f32_e32 v7, v12, v48
	v_add_f32_e32 v43, 0, v90
	v_dual_add_f32 v89, v9, v8 :: v_dual_add_f32 v90, v42, v22
	v_dual_add_f32 v8, 0, v125 :: v_dual_add_f32 v45, 0, v88
	s_delay_alu instid0(VALU_DEP_4)
	v_add_f32_e32 v92, v7, v3
	v_add_f32_e32 v22, 0, v130
	v_min_f32_e32 v42, v29, v49
	v_add_f32_e32 v3, 0, v129
	v_add_f32_e32 v91, v50, v45
	v_dual_add_f32 v45, 0, v87 :: v_dual_min_f32 v50, v20, v48
	v_min_f32_e32 v7, v25, v49
	v_dual_add_f32 v83, v42, v22 :: v_dual_min_f32 v42, v36, v48
	v_add_f32_e32 v22, 0, v128
	s_delay_alu instid0(VALU_DEP_4) | instskip(SKIP_1) | instid1(VALU_DEP_3)
	v_dual_add_f32 v88, v50, v45 :: v_dual_add_f32 v45, 0, v131
	v_dual_min_f32 v50, v33, v49 :: v_dual_min_f32 v9, v24, v48
	v_dual_add_f32 v81, v42, v22 :: v_dual_min_f32 v12, v12, v52
	v_add_f32_e32 v22, 0, v31
	s_delay_alu instid0(VALU_DEP_3) | instskip(NEXT) | instid1(VALU_DEP_4)
	v_dual_add_f32 v80, v50, v45 :: v_dual_add_f32 v87, v44, v43
	v_dual_add_f32 v86, v9, v8 :: v_dual_add_f32 v43, 0, v126
	v_min_f32_e32 v44, v28, v48
	v_dual_add_f32 v8, 0, v132 :: v_dual_add_f32 v85, v7, v3
	v_min_f32_e32 v7, v32, v48
	s_delay_alu instid0(VALU_DEP_3) | instskip(SKIP_2) | instid1(VALU_DEP_1)
	v_dual_add_f32 v45, 0, v46 :: v_dual_add_f32 v84, v44, v43
	v_dual_add_f32 v43, 0, v47 :: v_dual_min_f32 v44, v41, v49
	v_dual_min_f32 v9, v37, v49 :: v_dual_min_f32 v46, v40, v48
	v_dual_add_f32 v76, v44, v43 :: v_dual_add_f32 v79, v9, v8
	v_add_f32_e32 v8, 0, v14
	v_add_f32_e32 v14, 0, v23
	s_delay_alu instid0(VALU_DEP_4) | instskip(SKIP_2) | instid1(VALU_DEP_3)
	v_dual_add_f32 v3, 0, v127 :: v_dual_add_f32 v78, v46, v45
	v_add_f32_e32 v9, 0, v15
	v_dual_add_f32 v15, 0, v26 :: v_dual_add_f32 v26, 0, v35
	v_dual_add_f32 v82, v7, v3 :: v_dual_add_f32 v3, 0, v6
	;; [unrolled: 1-line block ×4, first 2 shown]
	s_delay_alu instid0(VALU_DEP_2) | instskip(SKIP_3) | instid1(VALU_DEP_3)
	v_dual_add_f32 v18, 0, v27 :: v_dual_add_f32 v75, v13, v6
	v_dual_min_f32 v6, v17, v53 :: v_dual_add_f32 v27, 0, v38
	v_dual_add_f32 v19, 0, v30 :: v_dual_add_f32 v30, 0, v39
	v_add_f32_e32 v77, v12, v3
	v_dual_add_f32 v73, v6, v8 :: v_dual_min_f32 v6, v25, v53
	v_dual_min_f32 v13, v16, v52 :: v_dual_min_f32 v16, v21, v53
	v_min_f32_e32 v8, v28, v52
	s_delay_alu instid0(VALU_DEP_3) | instskip(NEXT) | instid1(VALU_DEP_3)
	v_add_f32_e32 v68, v6, v14
	v_dual_add_f32 v23, 0, v34 :: v_dual_add_f32 v74, v13, v7
	s_delay_alu instid0(VALU_DEP_4) | instskip(NEXT) | instid1(VALU_DEP_4)
	v_add_f32_e32 v69, v16, v10
	v_dual_add_f32 v67, v8, v15 :: v_dual_min_f32 v8, v41, v53
	v_min_f32_e32 v7, v29, v53
	v_min_f32_e32 v6, v33, v53
	s_delay_alu instid0(VALU_DEP_3) | instskip(NEXT) | instid1(VALU_DEP_3)
	v_add_f32_e32 v60, v8, v30
	v_dual_min_f32 v3, v20, v52 :: v_dual_add_f32 v66, v7, v18
	s_delay_alu instid0(VALU_DEP_3) | instskip(SKIP_1) | instid1(VALU_DEP_3)
	v_add_f32_e32 v62, v6, v22
	v_dual_min_f32 v6, v37, v53 :: v_dual_min_f32 v7, v36, v52
	v_add_f32_e32 v71, v3, v9
	v_min_f32_e32 v3, v24, v52
	s_delay_alu instid0(VALU_DEP_3) | instskip(NEXT) | instid1(VALU_DEP_4)
	v_dual_min_f32 v9, v40, v52 :: v_dual_add_f32 v64, v6, v26
	v_add_f32_e32 v63, v7, v23
	s_delay_alu instid0(VALU_DEP_3) | instskip(NEXT) | instid1(VALU_DEP_3)
	v_dual_add_f32 v70, v3, v11 :: v_dual_min_f32 v3, v32, v52
	v_add_f32_e32 v61, v9, v27
	s_delay_alu instid0(VALU_DEP_2)
	v_add_f32_e32 v65, v3, v19
	s_cbranch_scc1 .LBB41_33
; %bb.20:
	v_add_nc_u32_e32 v6, 12, v4
	v_add_nc_u32_e32 v2, s21, v5
	v_lshl_or_b32 v5, s14, 6, v5
	s_lshl_b32 s14, s22, 6
	v_add_nc_u32_e32 v10, 8, v4
	v_mad_i64_i32 v[0:1], null, v6, s18, 0
	v_ashrrev_i32_e32 v3, 31, v2
	v_or_b32_e32 v125, 0x1000, v72
	s_delay_alu instid0(VALU_DEP_4) | instskip(SKIP_1) | instid1(VALU_DEP_4)
	v_mad_i64_i32 v[8:9], null, v10, s16, 0
	v_add_nc_u32_e32 v126, 0x1000, v59
	v_lshlrev_b64 v[2:3], 2, v[2:3]
	v_lshlrev_b64 v[48:49], 2, v[0:1]
	v_subrev_nc_u32_e32 v0, s14, v5
	v_mad_i64_i32 v[4:5], null, v6, s16, 0
	v_mad_i64_i32 v[6:7], null, v10, s18, 0
	s_delay_alu instid0(VALU_DEP_3) | instskip(SKIP_2) | instid1(VALU_DEP_3)
	v_ashrrev_i32_e32 v1, 31, v0
	v_add_co_u32 v131, vcc_lo, s12, v2
	v_add_co_ci_u32_e32 v132, vcc_lo, s13, v3, vcc_lo
	v_lshlrev_b64 v[0:1], 2, v[0:1]
	v_lshlrev_b64 v[50:51], 2, v[4:5]
	;; [unrolled: 1-line block ×4, first 2 shown]
	v_add_nc_u32_e32 v127, 0x1400, v72
	v_or_b32_e32 v128, 0x800, v72
	v_add_co_u32 v133, vcc_lo, s10, v0
	v_lshl_add_u32 v129, v56, 4, 0x1400
	v_lshl_add_u32 v130, v57, 4, 0x800
	v_add_co_ci_u32_e32 v134, vcc_lo, s11, v1, vcc_lo
	s_add_i32 s8, s8, -8
	s_lshl_b64 s[10:11], s[18:19], 5
	s_lshl_b64 s[12:13], s[16:17], 5
	s_mov_b32 s14, 0
	s_branch .LBB41_23
.LBB41_21:                              ;   in Loop: Header=BB41_23 Depth=1
	v_add_co_u32 v0, vcc_lo, v131, v48
	v_add_co_ci_u32_e32 v1, vcc_lo, v132, v49, vcc_lo
	s_clause 0x1
	flat_load_b32 v218, v[0:1]
	flat_load_b32 v1, v[0:1] offset:256
	s_waitcnt vmcnt(0) lgkmcnt(0)
	v_dual_mul_f32 v0, s9, v218 :: v_dual_mul_f32 v1, s9, v1
.LBB41_22:                              ;   in Loop: Header=BB41_23 Depth=1
	v_dual_add_f32 v36, v36, v124 :: v_dual_add_f32 v41, v41, v122
	v_dual_add_f32 v40, v40, v123 :: v_dual_add_f32 v29, v29, v120
	;; [unrolled: 1-line block ×13, first 2 shown]
	ds_load_b128 v[20:23], v58
	ds_load_b128 v[28:31], v126
	v_dual_add_f32 v32, v32, v119 :: v_dual_add_f32 v37, v37, v117
	v_dual_add_f32 v12, v12, v109 :: v_dual_add_f32 v17, v17, v107
	;; [unrolled: 1-line block ×26, first 2 shown]
	ds_load_b128 v[8:11], v126 offset:128
	v_dual_add_f32 v136, v14, v62 :: v_dual_add_f32 v65, v3, v65
	s_waitcnt lgkmcnt(2)
	v_dual_add_f32 v64, v15, v64 :: v_dual_max_f32 v21, v21, v21
	v_dual_add_f32 v6, v6, v63 :: v_dual_add_f32 v137, v19, v46
	ds_load_b128 v[2:5], v126 offset:256
	ds_load_b128 v[12:15], v126 offset:384
	;; [unrolled: 1-line block ×5, first 2 shown]
	v_dual_add_f32 v7, v7, v43 :: v_dual_max_f32 v20, v20, v20
	s_waitcnt lgkmcnt(6)
	v_dual_max_f32 v28, v28, v28 :: v_dual_max_f32 v29, v29, v29
	v_dual_add_f32 v100, v139, v100 :: v_dual_add_f32 v99, v141, v99
	ds_load_b128 v[36:39], v126 offset:768
	ds_load_b128 v[40:43], v126 offset:896
	v_dual_min_f32 v138, v28, v20 :: v_dual_min_f32 v139, v29, v21
	v_dual_add_f32 v121, v190, v45 :: v_dual_add_f32 v122, v181, v44
	ds_load_b128 v[44:47], v58 offset:1024
	ds_load_b128 v[60:63], v58 offset:1536
	s_waitcnt lgkmcnt(9)
	v_dual_max_f32 v8, v8, v8 :: v_dual_max_f32 v9, v9, v9
	v_add_f32_e32 v95, v138, v95
	s_waitcnt lgkmcnt(8)
	v_dual_max_f32 v2, v2, v2 :: v_dual_max_f32 v3, v3, v3
	v_add_f32_e32 v94, v139, v94
	s_waitcnt lgkmcnt(7)
	v_dual_max_f32 v12, v12, v12 :: v_dual_max_f32 v13, v13, v13
	s_delay_alu instid0(VALU_DEP_3)
	v_min_f32_e32 v139, v2, v20
	s_waitcnt lgkmcnt(6)
	v_dual_max_f32 v16, v16, v16 :: v_dual_max_f32 v17, v17, v17
	v_min_f32_e32 v140, v8, v20
	s_waitcnt lgkmcnt(5)
	v_max_f32_e32 v24, v24, v24
	v_dual_add_f32 v108, v139, v108 :: v_dual_min_f32 v139, v13, v21
	s_waitcnt lgkmcnt(2)
	v_dual_max_f32 v36, v36, v36 :: v_dual_max_f32 v41, v41, v41
	v_max_f32_e32 v25, v25, v25
	v_max_f32_e32 v37, v37, v37
	v_add_f32_e32 v109, v139, v109
	v_min_f32_e32 v139, v17, v21
	v_min_f32_e32 v138, v9, v21
	v_max_f32_e32 v40, v40, v40
	v_dual_max_f32 v32, v32, v32 :: v_dual_max_f32 v33, v33, v33
	s_delay_alu instid0(VALU_DEP_4) | instskip(NEXT) | instid1(VALU_DEP_4)
	v_dual_add_f32 v111, v139, v111 :: v_dual_add_f32 v106, v140, v106
	v_add_f32_e32 v105, v138, v105
	v_dual_min_f32 v138, v3, v21 :: v_dual_min_f32 v139, v36, v20
	v_min_f32_e32 v140, v12, v20
	v_dual_add_f32 v98, v142, v98 :: v_dual_add_f32 v97, v143, v97
	s_delay_alu instid0(VALU_DEP_3) | instskip(NEXT) | instid1(VALU_DEP_3)
	v_dual_add_f32 v107, v138, v107 :: v_dual_min_f32 v138, v16, v20
	v_add_f32_e32 v110, v140, v110
	v_dual_min_f32 v140, v25, v21 :: v_dual_add_f32 v139, v139, v116
	s_delay_alu instid0(VALU_DEP_4) | instskip(NEXT) | instid1(VALU_DEP_4)
	v_dual_add_f32 v100, v192, v100 :: v_dual_add_f32 v97, v194, v97
	v_add_f32_e32 v112, v138, v112
	v_min_f32_e32 v138, v24, v20
	s_delay_alu instid0(VALU_DEP_4) | instskip(SKIP_2) | instid1(VALU_DEP_4)
	v_dual_add_f32 v113, v140, v113 :: v_dual_add_f32 v104, v182, v104
	v_add_f32_e32 v99, v193, v99
	v_dual_add_f32 v101, v184, v101 :: v_dual_add_f32 v98, v185, v98
	v_add_f32_e32 v114, v138, v114
	v_min_f32_e32 v138, v37, v21
	v_dual_min_f32 v21, v41, v21 :: v_dual_min_f32 v20, v40, v20
	s_waitcnt lgkmcnt(1)
	v_max_f32_e32 v44, v44, v44
	v_dual_add_f32 v96, v186, v96 :: v_dual_add_f32 v93, v204, v93
	s_delay_alu instid0(VALU_DEP_3) | instskip(SKIP_4) | instid1(VALU_DEP_4)
	v_dual_add_f32 v138, v138, v115 :: v_dual_add_f32 v21, v21, v117
	v_min_f32_e32 v117, v3, v33
	v_dual_min_f32 v115, v28, v32 :: v_dual_min_f32 v116, v29, v33
	v_dual_max_f32 v45, v45, v45 :: v_dual_add_f32 v88, v150, v88
	v_add_f32_e32 v87, v151, v87
	v_add_f32_e32 v103, v117, v103
	v_min_f32_e32 v117, v24, v32
	v_dual_add_f32 v140, v115, v120 :: v_dual_add_f32 v141, v116, v119
	v_dual_min_f32 v115, v9, v33 :: v_dual_add_f32 v20, v20, v118
	v_min_f32_e32 v118, v8, v32
	v_dual_add_f32 v86, v152, v86 :: v_dual_add_f32 v85, v153, v85
	s_delay_alu instid0(VALU_DEP_3) | instskip(NEXT) | instid1(VALU_DEP_3)
	v_add_f32_e32 v143, v115, v121
	v_dual_min_f32 v115, v13, v33 :: v_dual_add_f32 v142, v118, v122
	v_min_f32_e32 v118, v12, v32
	v_dual_add_f32 v92, v196, v92 :: v_dual_add_f32 v89, v206, v89
	s_delay_alu instid0(VALU_DEP_3) | instskip(SKIP_3) | instid1(VALU_DEP_4)
	v_dual_add_f32 v100, v115, v100 :: v_dual_min_f32 v115, v17, v33
	v_min_f32_e32 v116, v2, v32
	v_dual_add_f32 v84, v154, v84 :: v_dual_add_f32 v83, v155, v83
	v_dual_add_f32 v87, v207, v87 :: v_dual_add_f32 v88, v198, v88
	v_add_f32_e32 v99, v115, v99
	v_dual_min_f32 v115, v37, v33 :: v_dual_add_f32 v102, v118, v102
	v_min_f32_e32 v118, v25, v33
	v_min_f32_e32 v33, v41, v33
	v_dual_add_f32 v85, v208, v85 :: v_dual_add_f32 v86, v199, v86
	s_delay_alu instid0(VALU_DEP_4) | instskip(NEXT) | instid1(VALU_DEP_4)
	v_dual_add_f32 v144, v115, v123 :: v_dual_min_f32 v115, v28, v44
	v_dual_add_f32 v104, v116, v104 :: v_dual_add_f32 v97, v118, v97
	s_delay_alu instid0(VALU_DEP_4) | instskip(SKIP_2) | instid1(VALU_DEP_3)
	v_dual_min_f32 v116, v16, v32 :: v_dual_add_f32 v33, v33, v93
	v_min_f32_e32 v93, v9, v45
	v_dual_add_f32 v98, v117, v98 :: v_dual_min_f32 v117, v8, v44
	v_add_f32_e32 v101, v116, v101
	v_min_f32_e32 v116, v36, v32
	s_delay_alu instid0(VALU_DEP_4) | instskip(NEXT) | instid1(VALU_DEP_4)
	v_dual_min_f32 v32, v40, v32 :: v_dual_add_f32 v89, v93, v89
	v_dual_add_f32 v90, v117, v90 :: v_dual_min_f32 v117, v12, v44
	s_delay_alu instid0(VALU_DEP_3) | instskip(SKIP_1) | instid1(VALU_DEP_4)
	v_add_f32_e32 v96, v116, v96
	v_min_f32_e32 v116, v29, v45
	v_dual_add_f32 v32, v32, v124 :: v_dual_min_f32 v93, v13, v45
	v_add_f32_e32 v92, v115, v92
	v_min_f32_e32 v115, v2, v44
	s_delay_alu instid0(VALU_DEP_4)
	v_add_f32_e32 v91, v116, v91
	v_dual_add_f32 v82, v156, v82 :: v_dual_add_f32 v81, v158, v81
	v_dual_add_f32 v80, v157, v80 :: v_dual_add_f32 v79, v159, v79
	;; [unrolled: 1-line block ×3, first 2 shown]
	v_min_f32_e32 v116, v3, v45
	v_dual_add_f32 v88, v115, v88 :: v_dual_add_f32 v85, v93, v85
	v_min_f32_e32 v115, v16, v44
	s_waitcnt lgkmcnt(0)
	v_dual_min_f32 v93, v17, v45 :: v_dual_max_f32 v60, v60, v60
	v_max_f32_e32 v61, v61, v61
	v_dual_add_f32 v82, v201, v82 :: v_dual_add_f32 v79, v214, v79
	v_dual_add_f32 v87, v116, v87 :: v_dual_add_f32 v86, v117, v86
	v_dual_min_f32 v116, v24, v44 :: v_dual_min_f32 v117, v25, v45
	v_add_f32_e32 v84, v115, v84
	v_min_f32_e32 v115, v36, v44
	s_delay_alu instid0(VALU_DEP_3) | instskip(SKIP_4) | instid1(VALU_DEP_3)
	v_dual_add_f32 v83, v93, v83 :: v_dual_add_f32 v82, v116, v82
	v_dual_min_f32 v93, v37, v45 :: v_dual_min_f32 v44, v40, v44
	v_dual_min_f32 v25, v25, v61 :: v_dual_min_f32 v36, v36, v60
	v_min_f32_e32 v37, v37, v61
	v_dual_add_f32 v76, v161, v76 :: v_dual_add_f32 v75, v163, v75
	v_dual_add_f32 v25, v25, v136 :: v_dual_max_f32 v22, v22, v22
	s_delay_alu instid0(VALU_DEP_4) | instskip(NEXT) | instid1(VALU_DEP_4)
	v_add_f32_e32 v6, v36, v6
	v_dual_add_f32 v36, v37, v64 :: v_dual_max_f32 v23, v23, v23
	v_dual_min_f32 v37, v40, v60 :: v_dual_max_f32 v30, v30, v30
	v_dual_add_f32 v80, v210, v80 :: v_dual_add_f32 v75, v216, v75
	v_dual_min_f32 v45, v41, v45 :: v_dual_min_f32 v28, v28, v60
	v_dual_min_f32 v29, v29, v61 :: v_dual_min_f32 v8, v8, v60
	v_min_f32_e32 v9, v9, v61
	v_dual_max_f32 v31, v31, v31 :: v_dual_min_f32 v40, v41, v61
	v_dual_max_f32 v11, v11, v11 :: v_dual_max_f32 v10, v10, v10
	v_min_f32_e32 v41, v30, v22
	v_dual_max_f32 v5, v5, v5 :: v_dual_max_f32 v14, v14, v14
	v_dual_add_f32 v29, v29, v75 :: v_dual_min_f32 v2, v2, v60
	v_dual_add_f32 v8, v8, v74 :: v_dual_add_f32 v9, v9, v73
	v_dual_min_f32 v12, v12, v60 :: v_dual_min_f32 v13, v13, v61
	v_dual_min_f32 v16, v16, v60 :: v_dual_min_f32 v17, v17, v61
	v_dual_min_f32 v24, v24, v60 :: v_dual_add_f32 v7, v37, v7
	v_dual_add_f32 v40, v40, v137 :: v_dual_min_f32 v37, v31, v23
	v_max_f32_e32 v4, v4, v4
	v_min_f32_e32 v60, v11, v23
	v_add_f32_e32 v124, v41, v95
	v_dual_min_f32 v41, v5, v23 :: v_dual_max_f32 v18, v18, v18
	v_max_f32_e32 v15, v15, v15
	v_add_f32_e32 v123, v37, v94
	v_min_f32_e32 v37, v10, v22
	s_delay_alu instid0(VALU_DEP_4) | instskip(SKIP_1) | instid1(VALU_DEP_3)
	v_dual_add_f32 v119, v41, v107 :: v_dual_max_f32 v26, v26, v26
	v_min_f32_e32 v41, v14, v22
	v_dual_add_f32 v121, v60, v105 :: v_dual_add_f32 v122, v37, v106
	v_max_f32_e32 v19, v19, v19
	v_dual_add_f32 v81, v202, v81 :: v_dual_add_f32 v76, v215, v76
	s_delay_alu instid0(VALU_DEP_4) | instskip(SKIP_2) | instid1(VALU_DEP_4)
	v_add_f32_e32 v118, v41, v110
	v_min_f32_e32 v41, v18, v22
	v_dual_min_f32 v37, v4, v22 :: v_dual_add_f32 v80, v117, v80
	v_dual_add_f32 v81, v115, v81 :: v_dual_max_f32 v38, v38, v38
	s_delay_alu instid0(VALU_DEP_3) | instskip(NEXT) | instid1(VALU_DEP_3)
	v_add_f32_e32 v116, v41, v112
	v_dual_add_f32 v120, v37, v108 :: v_dual_min_f32 v37, v19, v23
	v_min_f32_e32 v60, v15, v23
	v_dual_max_f32 v34, v34, v34 :: v_dual_max_f32 v35, v35, v35
	v_max_f32_e32 v43, v43, v43
	s_delay_alu instid0(VALU_DEP_4) | instskip(SKIP_4) | instid1(VALU_DEP_3)
	v_add_f32_e32 v115, v37, v111
	v_max_f32_e32 v37, v39, v39
	v_dual_add_f32 v117, v60, v109 :: v_dual_min_f32 v60, v26, v22
	v_dual_max_f32 v27, v27, v27 :: v_dual_add_f32 v78, v160, v78
	v_add_f32_e32 v77, v162, v77
	v_dual_min_f32 v41, v37, v23 :: v_dual_add_f32 v114, v60, v114
	s_delay_alu instid0(VALU_DEP_3) | instskip(NEXT) | instid1(VALU_DEP_3)
	v_min_f32_e32 v39, v27, v23
	v_dual_add_f32 v78, v211, v78 :: v_dual_add_f32 v77, v212, v77
	s_delay_alu instid0(VALU_DEP_3) | instskip(SKIP_1) | instid1(VALU_DEP_4)
	v_add_f32_e32 v111, v41, v138
	v_max_f32_e32 v41, v42, v42
	v_dual_min_f32 v42, v30, v34 :: v_dual_add_f32 v113, v39, v113
	v_min_f32_e32 v39, v38, v22
	v_dual_add_f32 v79, v93, v79 :: v_dual_add_f32 v44, v44, v78
	s_delay_alu instid0(VALU_DEP_4) | instskip(SKIP_2) | instid1(VALU_DEP_3)
	v_min_f32_e32 v22, v41, v22
	v_dual_add_f32 v45, v45, v76 :: v_dual_add_f32 v28, v28, v77
	v_dual_min_f32 v3, v3, v61 :: v_dual_add_f32 v2, v2, v71
	v_add_f32_e32 v110, v22, v20
	v_min_f32_e32 v20, v10, v34
	v_dual_min_f32 v22, v4, v34 :: v_dual_min_f32 v23, v43, v23
	s_delay_alu instid0(VALU_DEP_4) | instskip(NEXT) | instid1(VALU_DEP_3)
	v_dual_add_f32 v3, v3, v69 :: v_dual_add_f32 v12, v12, v70
	v_add_f32_e32 v106, v20, v142
	v_min_f32_e32 v20, v14, v34
	s_delay_alu instid0(VALU_DEP_4)
	v_add_f32_e32 v104, v22, v104
	v_min_f32_e32 v22, v27, v35
	v_add_f32_e32 v112, v39, v139
	v_min_f32_e32 v39, v31, v35
	v_dual_add_f32 v109, v23, v21 :: v_dual_add_f32 v102, v20, v102
	v_dual_min_f32 v21, v11, v35 :: v_dual_min_f32 v20, v18, v34
	s_delay_alu instid0(VALU_DEP_3)
	v_add_f32_e32 v107, v39, v141
	v_add_f32_e32 v97, v22, v97
	v_dual_max_f32 v22, v46, v46 :: v_dual_add_f32 v13, v13, v68
	v_add_f32_e32 v16, v16, v67
	v_dual_add_f32 v101, v20, v101 :: v_dual_min_f32 v20, v38, v34
	v_dual_add_f32 v17, v17, v66 :: v_dual_add_f32 v24, v24, v65
	v_add_co_u32 v131, vcc_lo, v131, s10
	s_delay_alu instid0(VALU_DEP_3) | instskip(SKIP_2) | instid1(VALU_DEP_3)
	v_dual_add_f32 v96, v20, v96 :: v_dual_min_f32 v23, v15, v35
	v_add_co_ci_u32_e32 v132, vcc_lo, s11, v132, vcc_lo
	v_add_co_u32 v133, vcc_lo, v133, s12
	v_dual_add_f32 v100, v23, v100 :: v_dual_min_f32 v23, v26, v34
	v_add_f32_e32 v105, v21, v143
	v_min_f32_e32 v21, v5, v35
	v_min_f32_e32 v34, v41, v34
	v_add_f32_e32 v108, v42, v140
	v_add_f32_e32 v98, v23, v98
	v_add_co_ci_u32_e32 v134, vcc_lo, s13, v134, vcc_lo
	v_add_f32_e32 v103, v21, v103
	v_dual_min_f32 v21, v19, v35 :: v_dual_add_f32 v94, v34, v32
	s_add_i32 s14, s14, 8
	ds_store_b32 v127, v135
	ds_store_2addr_stride64_b32 v128, v0, v1 offset1:4
	s_cmp_ge_i32 s14, s8
	v_add_f32_e32 v99, v21, v99
	v_min_f32_e32 v21, v37, v35
	s_waitcnt lgkmcnt(0)
	s_barrier
	buffer_gl0_inv
	v_add_f32_e32 v95, v21, v144
	v_max_f32_e32 v21, v47, v47
	s_delay_alu instid0(VALU_DEP_1) | instskip(NEXT) | instid1(VALU_DEP_1)
	v_min_f32_e32 v20, v31, v21
	v_dual_add_f32 v91, v20, v91 :: v_dual_min_f32 v20, v10, v22
	s_delay_alu instid0(VALU_DEP_1) | instskip(SKIP_1) | instid1(VALU_DEP_1)
	v_add_f32_e32 v90, v20, v90
	v_min_f32_e32 v20, v14, v22
	v_dual_add_f32 v86, v20, v86 :: v_dual_min_f32 v23, v43, v35
	v_dual_min_f32 v32, v5, v21 :: v_dual_min_f32 v35, v30, v22
	s_delay_alu instid0(VALU_DEP_1) | instskip(NEXT) | instid1(VALU_DEP_3)
	v_dual_min_f32 v20, v27, v21 :: v_dual_add_f32 v87, v32, v87
	v_dual_min_f32 v32, v18, v22 :: v_dual_add_f32 v93, v23, v33
	s_delay_alu instid0(VALU_DEP_2) | instskip(NEXT) | instid1(VALU_DEP_2)
	v_dual_min_f32 v23, v11, v21 :: v_dual_add_f32 v80, v20, v80
	v_dual_min_f32 v33, v15, v21 :: v_dual_add_f32 v84, v32, v84
	v_max_f32_e32 v32, v63, v63
	s_delay_alu instid0(VALU_DEP_3) | instskip(SKIP_1) | instid1(VALU_DEP_4)
	v_dual_add_f32 v89, v23, v89 :: v_dual_min_f32 v20, v38, v22
	v_min_f32_e32 v23, v4, v22
	v_add_f32_e32 v85, v33, v85
	s_delay_alu instid0(VALU_DEP_4) | instskip(SKIP_1) | instid1(VALU_DEP_4)
	v_min_f32_e32 v5, v5, v32
	v_add_f32_e32 v92, v35, v92
	v_add_f32_e32 v88, v23, v88
	v_min_f32_e32 v23, v19, v21
	s_delay_alu instid0(VALU_DEP_4) | instskip(SKIP_1) | instid1(VALU_DEP_3)
	v_add_f32_e32 v69, v5, v3
	v_min_f32_e32 v3, v15, v32
	v_add_f32_e32 v83, v23, v83
	v_min_f32_e32 v23, v37, v21
	s_delay_alu instid0(VALU_DEP_3) | instskip(SKIP_1) | instid1(VALU_DEP_3)
	v_add_f32_e32 v68, v3, v13
	v_min_f32_e32 v3, v27, v32
	v_add_f32_e32 v79, v23, v79
	v_max_f32_e32 v23, v62, v62
	v_min_f32_e32 v33, v26, v22
	v_min_f32_e32 v21, v43, v21
	;; [unrolled: 1-line block ×3, first 2 shown]
	v_add_f32_e32 v81, v20, v81
	v_min_f32_e32 v4, v4, v23
	v_min_f32_e32 v20, v30, v23
	;; [unrolled: 1-line block ×3, first 2 shown]
	v_dual_min_f32 v5, v18, v23 :: v_dual_min_f32 v22, v41, v22
	s_delay_alu instid0(VALU_DEP_4)
	v_dual_add_f32 v71, v4, v2 :: v_dual_min_f32 v2, v14, v23
	v_min_f32_e32 v4, v19, v32
	v_add_f32_e32 v75, v31, v29
	v_min_f32_e32 v11, v11, v32
	v_add_f32_e32 v77, v20, v28
	v_add_f32_e32 v74, v10, v8
	v_min_f32_e32 v8, v41, v23
	v_add_f32_e32 v70, v2, v12
	v_dual_add_f32 v66, v4, v17 :: v_dual_add_f32 v67, v5, v16
	v_min_f32_e32 v2, v26, v23
	v_dual_add_f32 v62, v3, v25 :: v_dual_min_f32 v3, v37, v32
	v_dual_min_f32 v4, v38, v23 :: v_dual_min_f32 v5, v43, v32
	v_add_f32_e32 v82, v33, v82
	v_add_f32_e32 v76, v21, v45
	v_dual_add_f32 v78, v22, v44 :: v_dual_add_f32 v73, v11, v9
	s_delay_alu instid0(VALU_DEP_4)
	v_add_f32_e32 v60, v5, v40
	v_add_f32_e32 v65, v2, v24
	v_dual_add_f32 v64, v3, v36 :: v_dual_add_f32 v63, v4, v6
	v_add_f32_e32 v61, v8, v7
	s_cbranch_scc1 .LBB41_33
.LBB41_23:                              ; =>This Inner Loop Header: Depth=1
	s_and_b32 vcc_lo, exec_lo, s3
	s_cbranch_vccnz .LBB41_26
; %bb.24:                               ;   in Loop: Header=BB41_23 Depth=1
	v_add_co_u32 v0, vcc_lo, v133, v54
	v_add_co_ci_u32_e32 v1, vcc_lo, v134, v55, vcc_lo
	flat_load_b32 v0, v[0:1]
	s_waitcnt vmcnt(0) lgkmcnt(0)
	v_mul_f32_e32 v135, s9, v0
	s_and_b32 vcc_lo, exec_lo, s3
	s_cbranch_vccnz .LBB41_27
.LBB41_25:                              ;   in Loop: Header=BB41_23 Depth=1
	v_add_co_u32 v0, vcc_lo, v131, v52
	v_add_co_ci_u32_e32 v1, vcc_lo, v132, v53, vcc_lo
	s_clause 0x1
	flat_load_b32 v2, v[0:1]
	flat_load_b32 v0, v[0:1] offset:256
	s_waitcnt vmcnt(0) lgkmcnt(0)
	v_dual_mul_f32 v136, s9, v2 :: v_dual_mul_f32 v137, s9, v0
	s_branch .LBB41_28
.LBB41_26:                              ;   in Loop: Header=BB41_23 Depth=1
	v_mov_b32_e32 v135, 0
	s_and_b32 vcc_lo, exec_lo, s3
	s_cbranch_vccz .LBB41_25
.LBB41_27:                              ;   in Loop: Header=BB41_23 Depth=1
	v_dual_mov_b32 v136, 0 :: v_dual_mov_b32 v137, 0
.LBB41_28:                              ;   in Loop: Header=BB41_23 Depth=1
	ds_load_b128 v[40:43], v129
	ds_load_b128 v[36:39], v129 offset:128
	ds_load_b128 v[32:35], v129 offset:256
	;; [unrolled: 1-line block ×7, first 2 shown]
	ds_load_b128 v[44:47], v130
	ds_load_b128 v[8:11], v130 offset:512
	ds_load_b128 v[4:7], v130 offset:1024
	;; [unrolled: 1-line block ×3, first 2 shown]
	s_and_b32 vcc_lo, exec_lo, s3
	ds_store_b32 v125, v135
	ds_store_2addr_stride64_b32 v72, v136, v137 offset1:4
	s_waitcnt lgkmcnt(0)
	s_barrier
	buffer_gl0_inv
	s_cbranch_vccnz .LBB41_30
; %bb.29:                               ;   in Loop: Header=BB41_23 Depth=1
	v_add_co_u32 v135, vcc_lo, v133, v50
	v_add_co_ci_u32_e32 v136, vcc_lo, v134, v51, vcc_lo
	flat_load_b32 v135, v[135:136]
	s_waitcnt vmcnt(0) lgkmcnt(0)
	v_mul_f32_e32 v135, s9, v135
	s_branch .LBB41_31
.LBB41_30:                              ;   in Loop: Header=BB41_23 Depth=1
	v_mov_b32_e32 v135, 0
.LBB41_31:                              ;   in Loop: Header=BB41_23 Depth=1
	v_dual_max_f32 v44, v44, v44 :: v_dual_max_f32 v45, v45, v45
	v_dual_max_f32 v162, v40, v40 :: v_dual_max_f32 v163, v41, v41
	;; [unrolled: 1-line block ×6, first 2 shown]
	v_dual_min_f32 v36, v162, v44 :: v_dual_max_f32 v167, v33, v33
	v_dual_max_f32 v166, v32, v32 :: v_dual_max_f32 v169, v29, v29
	v_max_f32_e32 v168, v28, v28
	v_dual_max_f32 v172, v20, v20 :: v_dual_max_f32 v173, v21, v21
	v_dual_min_f32 v16, v170, v44 :: v_dual_max_f32 v177, v13, v13
	v_dual_max_f32 v145, v8, v8 :: v_dual_max_f32 v146, v9, v9
	v_max_f32_e32 v176, v12, v12
	v_dual_min_f32 v158, v174, v160 :: v_dual_max_f32 v1, v1, v1
	v_dual_max_f32 v0, v0, v0 :: v_dual_min_f32 v159, v175, v161
	v_dual_max_f32 v179, v46, v46 :: v_dual_max_f32 v180, v47, v47
	v_dual_max_f32 v218, v30, v30 :: v_dual_max_f32 v219, v31, v31
	v_dual_min_f32 v40, v163, v45 :: v_dual_min_f32 v41, v164, v44
	v_dual_min_f32 v28, v165, v45 :: v_dual_min_f32 v29, v166, v44
	v_min_f32_e32 v37, v169, v45
	v_dual_min_f32 v32, v167, v45 :: v_dual_min_f32 v33, v168, v44
	v_dual_min_f32 v20, v171, v45 :: v_dual_min_f32 v21, v172, v44
	;; [unrolled: 1-line block ×4, first 2 shown]
	v_min_f32_e32 v13, v162, v145
	v_dual_min_f32 v8, v175, v45 :: v_dual_min_f32 v9, v176, v44
	v_dual_min_f32 v44, v164, v145 :: v_dual_min_f32 v45, v165, v146
	;; [unrolled: 1-line block ×6, first 2 shown]
	v_min_f32_e32 v144, v174, v145
	v_dual_min_f32 v4, v175, v146 :: v_dual_min_f32 v5, v176, v145
	v_dual_min_f32 v145, v177, v146 :: v_dual_min_f32 v146, v162, v160
	;; [unrolled: 1-line block ×14, first 2 shown]
	v_dual_min_f32 v175, v175, v1 :: v_dual_max_f32 v212, v42, v42
	v_max_f32_e32 v213, v43, v43
	v_dual_max_f32 v217, v38, v38 :: v_dual_min_f32 v46, v177, v1
	v_dual_min_f32 v43, v176, v0 :: v_dual_max_f32 v0, v39, v39
	v_max_f32_e32 v1, v34, v34
	v_dual_min_f32 v39, v219, v180 :: v_dual_max_f32 v220, v26, v26
	v_dual_max_f32 v223, v23, v23 :: v_dual_max_f32 v224, v18, v18
	v_dual_max_f32 v19, v19, v19 :: v_dual_max_f32 v10, v10, v10
	;; [unrolled: 1-line block ×3, first 2 shown]
	v_dual_min_f32 v160, v176, v160 :: v_dual_min_f32 v161, v177, v161
	v_dual_max_f32 v221, v27, v27 :: v_dual_max_f32 v222, v22, v22
	v_max_f32_e32 v176, v35, v35
	v_dual_min_f32 v18, v220, v179 :: v_dual_max_f32 v225, v14, v14
	v_dual_max_f32 v226, v15, v15 :: v_dual_min_f32 v181, v217, v10
	v_max_f32_e32 v11, v11, v11
	v_dual_min_f32 v210, v223, v7 :: v_dual_max_f32 v227, v2, v2
	s_delay_alu instid0(VALU_DEP_4)
	v_dual_max_f32 v228, v3, v3 :: v_dual_min_f32 v211, v225, v6
	v_dual_min_f32 v38, v212, v179 :: v_dual_min_f32 v47, v213, v180
	v_min_f32_e32 v42, v217, v179
	v_dual_min_f32 v34, v0, v180 :: v_dual_min_f32 v31, v218, v179
	v_min_f32_e32 v177, v221, v180
	v_dual_min_f32 v30, v1, v179 :: v_dual_min_f32 v35, v176, v180
	v_dual_min_f32 v22, v222, v179 :: v_dual_min_f32 v187, v19, v180
	;; [unrolled: 1-line block ×5, first 2 shown]
	v_min_f32_e32 v184, v220, v10
	v_dual_min_f32 v190, v0, v11 :: v_dual_min_f32 v183, v218, v10
	v_dual_min_f32 v182, v1, v10 :: v_dual_min_f32 v191, v176, v11
	;; [unrolled: 1-line block ×12, first 2 shown]
	v_min_f32_e32 v214, v19, v7
	v_dual_min_f32 v215, v226, v7 :: v_dual_min_f32 v216, v213, v228
	v_dual_min_f32 v212, v212, v227 :: v_dual_min_f32 v27, v219, v228
	;; [unrolled: 1-line block ×4, first 2 shown]
	v_min_f32_e32 v15, v19, v228
	v_dual_min_f32 v11, v218, v227 :: v_dual_min_f32 v176, v221, v228
	v_dual_min_f32 v2, v220, v227 :: v_dual_min_f32 v19, v226, v228
	;; [unrolled: 1-line block ×3, first 2 shown]
	v_min_f32_e32 v6, v224, v227
	v_min_f32_e32 v7, v225, v227
	s_and_b32 vcc_lo, exec_lo, s3
	s_cbranch_vccz .LBB41_21
; %bb.32:                               ;   in Loop: Header=BB41_23 Depth=1
	v_dual_mov_b32 v0, 0 :: v_dual_mov_b32 v1, 0
	s_branch .LBB41_22
.LBB41_33:
	s_load_b32 s8, s[0:1], 0x50
	v_add_nc_u32_e32 v48, s21, v57
	ds_load_b128 v[0:3], v59 offset:5120
	ds_load_b128 v[40:43], v58 offset:2048
	v_add_nc_u32_e32 v46, s20, v56
	v_cmp_neq_f32_e64 s9, s15, 0
	v_mov_b32_e32 v52, 0
	v_mov_b32_e32 v50, 0
	s_delay_alu instid0(VALU_DEP_4) | instskip(NEXT) | instid1(VALU_DEP_4)
	v_ashrrev_i32_e32 v47, 31, v46
	s_and_b32 vcc_lo, exec_lo, s9
	s_delay_alu instid0(VALU_DEP_1) | instskip(SKIP_2) | instid1(VALU_DEP_1)
	v_lshlrev_b64 v[44:45], 2, v[46:47]
	s_waitcnt lgkmcnt(0)
	v_mad_i64_i32 v[4:5], null, v48, s8, 0
	v_lshlrev_b64 v[4:5], 2, v[4:5]
	s_delay_alu instid0(VALU_DEP_1) | instskip(NEXT) | instid1(VALU_DEP_1)
	v_add_co_u32 v125, s3, s4, v4
	v_add_co_ci_u32_e64 v126, s3, s5, v5, s3
	s_cbranch_vccz .LBB41_35
; %bb.34:
	s_delay_alu instid0(VALU_DEP_2) | instskip(NEXT) | instid1(VALU_DEP_2)
	v_add_co_u32 v4, vcc_lo, v125, v44
	v_add_co_ci_u32_e32 v5, vcc_lo, v126, v45, vcc_lo
	flat_load_b32 v4, v[4:5]
	s_waitcnt vmcnt(0) lgkmcnt(0)
	v_mul_f32_e32 v50, s15, v4
.LBB41_35:
	ds_load_b128 v[36:39], v59 offset:5248
	ds_load_b128 v[32:35], v59 offset:5376
	;; [unrolled: 1-line block ×4, first 2 shown]
	s_clause 0x1
	s_load_b32 s3, s[0:1], 0x68
	s_load_b64 s[0:1], s[0:1], 0x70
	v_dual_max_f32 v127, v40, v40 :: v_dual_max_f32 v128, v41, v41
	v_max_f32_e32 v47, v0, v0
	v_max_f32_e32 v49, v1, v1
	ds_load_b128 v[20:23], v59 offset:5760
	ds_load_b128 v[16:19], v59 offset:5888
	;; [unrolled: 1-line block ×5, first 2 shown]
	v_dual_min_f32 v0, v47, v127 :: v_dual_min_f32 v1, v49, v128
	s_delay_alu instid0(VALU_DEP_1) | instskip(NEXT) | instid1(VALU_DEP_2)
	v_dual_add_f32 v51, v0, v124 :: v_dual_max_f32 v124, v42, v42
	v_dual_max_f32 v42, v2, v2 :: v_dual_add_f32 v53, v1, v123
	v_max_f32_e32 v129, v43, v43
	v_max_f32_e32 v43, v3, v3
	s_waitcnt lgkmcnt(0)
	v_mad_i64_i32 v[40:41], null, v48, s3, 0
	v_min_f32_e32 v55, v42, v124
	ds_load_b128 v[0:3], v58 offset:3584
	v_min_f32_e32 v54, v43, v129
	s_lshl_b64 s[10:11], s[0:1], 2
	v_add_f32_e32 v51, v55, v51
	v_lshlrev_b64 v[40:41], 2, v[40:41]
	s_delay_alu instid0(VALU_DEP_3) | instskip(SKIP_3) | instid1(VALU_DEP_2)
	v_dual_add_f32 v56, v54, v53 :: v_dual_add_nc_u32 v53, 8, v46
	s_add_u32 s1, s6, s10
	s_addc_u32 s6, s7, s11
	v_cndmask_b32_e64 v55, 0, 1, s9
	v_add_f32_e32 v51, v51, v56
	v_add_co_u32 v123, vcc_lo, s1, v40
	v_ashrrev_i32_e32 v54, 31, v53
	v_add_co_ci_u32_e32 v130, vcc_lo, s6, v41, vcc_lo
	s_delay_alu instid0(VALU_DEP_4) | instskip(NEXT) | instid1(VALU_DEP_4)
	v_add_f32_e32 v56, v51, v50
	v_add_co_u32 v50, vcc_lo, v123, v44
	s_delay_alu instid0(VALU_DEP_4)
	v_lshlrev_b64 v[40:41], 2, v[53:54]
	v_cmp_ne_u32_e64 s0, 1, v55
	v_add_co_ci_u32_e32 v51, vcc_lo, v130, v45, vcc_lo
	s_and_not1_b32 vcc_lo, exec_lo, s9
	global_store_b32 v[50:51], v56, off
	s_cbranch_vccnz .LBB41_37
; %bb.36:
	v_add_co_u32 v50, vcc_lo, v125, v40
	v_add_co_ci_u32_e32 v51, vcc_lo, v126, v41, vcc_lo
	flat_load_b32 v50, v[50:51]
	s_waitcnt vmcnt(0) lgkmcnt(0)
	v_mul_f32_e32 v52, s15, v50
.LBB41_37:
	v_dual_max_f32 v51, v37, v37 :: v_dual_max_f32 v50, v36, v36
	v_dual_max_f32 v38, v38, v38 :: v_dual_max_f32 v39, v39, v39
	v_add_co_u32 v57, vcc_lo, v123, v40
	s_delay_alu instid0(VALU_DEP_3) | instskip(NEXT) | instid1(VALU_DEP_3)
	v_dual_min_f32 v36, v51, v128 :: v_dual_min_f32 v37, v50, v127
	v_dual_min_f32 v53, v38, v124 :: v_dual_min_f32 v54, v39, v129
	v_add_co_ci_u32_e32 v58, vcc_lo, v130, v41, vcc_lo
	s_delay_alu instid0(VALU_DEP_3) | instskip(NEXT) | instid1(VALU_DEP_4)
	v_dual_add_f32 v55, v36, v121 :: v_dual_add_nc_u32 v36, 16, v46
	v_dual_add_f32 v37, v37, v122 :: v_dual_mov_b32 v56, 0
	s_and_b32 vcc_lo, exec_lo, s0
	s_delay_alu instid0(VALU_DEP_1) | instskip(NEXT) | instid1(VALU_DEP_3)
	v_dual_add_f32 v54, v54, v55 :: v_dual_add_f32 v53, v53, v37
	v_ashrrev_i32_e32 v37, 31, v36
	s_delay_alu instid0(VALU_DEP_2) | instskip(NEXT) | instid1(VALU_DEP_2)
	v_dual_add_f32 v53, v53, v54 :: v_dual_mov_b32 v54, 0
	v_lshlrev_b64 v[36:37], 2, v[36:37]
	s_delay_alu instid0(VALU_DEP_2)
	v_add_f32_e32 v52, v53, v52
	global_store_b32 v[57:58], v52, off
	s_cbranch_vccnz .LBB41_39
; %bb.38:
	v_add_co_u32 v52, vcc_lo, v125, v36
	v_add_co_ci_u32_e32 v53, vcc_lo, v126, v37, vcc_lo
	flat_load_b32 v52, v[52:53]
	s_waitcnt vmcnt(0) lgkmcnt(0)
	v_mul_f32_e32 v54, s15, v52
.LBB41_39:
	v_dual_max_f32 v53, v33, v33 :: v_dual_max_f32 v52, v32, v32
	v_dual_max_f32 v34, v34, v34 :: v_dual_max_f32 v35, v35, v35
	s_delay_alu instid0(VALU_DEP_2) | instskip(NEXT) | instid1(VALU_DEP_2)
	v_dual_min_f32 v32, v53, v128 :: v_dual_min_f32 v33, v52, v127
	v_min_f32_e32 v55, v34, v124
	s_delay_alu instid0(VALU_DEP_2) | instskip(NEXT) | instid1(VALU_DEP_3)
	v_dual_min_f32 v57, v35, v129 :: v_dual_add_f32 v58, v32, v119
	v_dual_add_f32 v33, v33, v120 :: v_dual_add_nc_u32 v32, 24, v46
	s_delay_alu instid0(VALU_DEP_2) | instskip(NEXT) | instid1(VALU_DEP_2)
	v_add_f32_e32 v57, v57, v58
	v_add_f32_e32 v55, v55, v33
	s_delay_alu instid0(VALU_DEP_3) | instskip(NEXT) | instid1(VALU_DEP_2)
	v_ashrrev_i32_e32 v33, 31, v32
	v_add_f32_e32 v55, v55, v57
	v_add_co_u32 v57, vcc_lo, v123, v36
	s_delay_alu instid0(VALU_DEP_3) | instskip(SKIP_1) | instid1(VALU_DEP_4)
	v_lshlrev_b64 v[32:33], 2, v[32:33]
	v_add_co_ci_u32_e32 v58, vcc_lo, v130, v37, vcc_lo
	v_add_f32_e32 v54, v55, v54
	s_and_b32 vcc_lo, exec_lo, s0
	global_store_b32 v[57:58], v54, off
	s_cbranch_vccnz .LBB41_41
; %bb.40:
	v_add_co_u32 v54, vcc_lo, v125, v32
	v_add_co_ci_u32_e32 v55, vcc_lo, v126, v33, vcc_lo
	flat_load_b32 v54, v[54:55]
	s_waitcnt vmcnt(0) lgkmcnt(0)
	v_mul_f32_e32 v56, s15, v54
.LBB41_41:
	v_dual_max_f32 v55, v29, v29 :: v_dual_max_f32 v54, v28, v28
	v_dual_max_f32 v30, v30, v30 :: v_dual_max_f32 v31, v31, v31
	v_mov_b32_e32 v72, 0
	s_delay_alu instid0(VALU_DEP_3) | instskip(NEXT) | instid1(VALU_DEP_3)
	v_dual_min_f32 v28, v55, v128 :: v_dual_min_f32 v29, v54, v127
	v_dual_min_f32 v57, v30, v124 :: v_dual_min_f32 v58, v31, v129
	s_delay_alu instid0(VALU_DEP_2) | instskip(NEXT) | instid1(VALU_DEP_3)
	v_dual_add_f32 v59, v28, v117 :: v_dual_add_nc_u32 v28, 32, v46
	v_add_f32_e32 v29, v29, v118
	v_add_co_u32 v117, vcc_lo, v123, v32
	s_delay_alu instid0(VALU_DEP_3) | instskip(SKIP_1) | instid1(VALU_DEP_4)
	v_add_f32_e32 v58, v58, v59
	v_add_co_ci_u32_e32 v118, vcc_lo, v130, v33, vcc_lo
	v_add_f32_e32 v57, v57, v29
	v_ashrrev_i32_e32 v29, 31, v28
	s_and_b32 vcc_lo, exec_lo, s0
	s_delay_alu instid0(VALU_DEP_2) | instskip(NEXT) | instid1(VALU_DEP_2)
	v_dual_add_f32 v57, v57, v58 :: v_dual_mov_b32 v58, 0
	v_lshlrev_b64 v[28:29], 2, v[28:29]
	s_delay_alu instid0(VALU_DEP_2)
	v_add_f32_e32 v56, v57, v56
	global_store_b32 v[117:118], v56, off
	s_cbranch_vccnz .LBB41_43
; %bb.42:
	v_add_co_u32 v56, vcc_lo, v125, v28
	v_add_co_ci_u32_e32 v57, vcc_lo, v126, v29, vcc_lo
	flat_load_b32 v56, v[56:57]
	s_waitcnt vmcnt(0) lgkmcnt(0)
	v_mul_f32_e32 v58, s15, v56
.LBB41_43:
	v_dual_max_f32 v57, v25, v25 :: v_dual_max_f32 v56, v24, v24
	v_dual_max_f32 v26, v26, v26 :: v_dual_max_f32 v27, v27, v27
	s_delay_alu instid0(VALU_DEP_2) | instskip(NEXT) | instid1(VALU_DEP_2)
	v_dual_min_f32 v24, v57, v128 :: v_dual_min_f32 v25, v56, v127
	v_min_f32_e32 v59, v26, v124
	s_delay_alu instid0(VALU_DEP_3) | instskip(NEXT) | instid1(VALU_DEP_3)
	v_min_f32_e32 v117, v27, v129
	v_add_f32_e32 v115, v24, v115
	s_delay_alu instid0(VALU_DEP_4) | instskip(NEXT) | instid1(VALU_DEP_2)
	v_dual_add_f32 v25, v25, v116 :: v_dual_add_nc_u32 v24, 40, v46
	v_add_f32_e32 v115, v117, v115
	s_delay_alu instid0(VALU_DEP_2) | instskip(NEXT) | instid1(VALU_DEP_3)
	v_add_f32_e32 v59, v59, v25
	v_ashrrev_i32_e32 v25, 31, v24
	s_delay_alu instid0(VALU_DEP_2) | instskip(SKIP_1) | instid1(VALU_DEP_3)
	v_add_f32_e32 v59, v59, v115
	v_add_co_u32 v115, vcc_lo, v123, v28
	v_lshlrev_b64 v[24:25], 2, v[24:25]
	v_add_co_ci_u32_e32 v116, vcc_lo, v130, v29, vcc_lo
	s_delay_alu instid0(VALU_DEP_4)
	v_add_f32_e32 v58, v59, v58
	s_and_b32 vcc_lo, exec_lo, s0
	global_store_b32 v[115:116], v58, off
	s_cbranch_vccnz .LBB41_45
; %bb.44:
	v_add_co_u32 v58, vcc_lo, v125, v24
	v_add_co_ci_u32_e32 v59, vcc_lo, v126, v25, vcc_lo
	flat_load_b32 v58, v[58:59]
	s_waitcnt vmcnt(0) lgkmcnt(0)
	v_mul_f32_e32 v72, s15, v58
.LBB41_45:
	v_dual_max_f32 v59, v21, v21 :: v_dual_max_f32 v58, v20, v20
	v_dual_max_f32 v22, v22, v22 :: v_dual_max_f32 v23, v23, v23
	s_delay_alu instid0(VALU_DEP_2) | instskip(NEXT) | instid1(VALU_DEP_2)
	v_dual_min_f32 v20, v59, v128 :: v_dual_min_f32 v21, v58, v127
	v_dual_min_f32 v115, v22, v124 :: v_dual_min_f32 v116, v23, v129
	s_delay_alu instid0(VALU_DEP_2) | instskip(NEXT) | instid1(VALU_DEP_3)
	v_dual_add_f32 v113, v20, v113 :: v_dual_add_nc_u32 v20, 48, v46
	v_add_f32_e32 v21, v21, v114
	s_delay_alu instid0(VALU_DEP_2) | instskip(SKIP_1) | instid1(VALU_DEP_3)
	v_add_f32_e32 v113, v116, v113
	v_add_co_u32 v116, vcc_lo, v123, v24
	v_dual_add_f32 v114, v115, v21 :: v_dual_mov_b32 v115, 0
	v_ashrrev_i32_e32 v21, 31, v20
	v_add_co_ci_u32_e32 v117, vcc_lo, v130, v25, vcc_lo
	s_delay_alu instid0(VALU_DEP_3) | instskip(NEXT) | instid1(VALU_DEP_3)
	v_dual_add_f32 v113, v114, v113 :: v_dual_mov_b32 v114, 0
	v_lshlrev_b64 v[20:21], 2, v[20:21]
	s_and_b32 vcc_lo, exec_lo, s0
	s_delay_alu instid0(VALU_DEP_2)
	v_add_f32_e32 v72, v113, v72
	global_store_b32 v[116:117], v72, off
	s_cbranch_vccnz .LBB41_47
; %bb.46:
	v_add_co_u32 v115, vcc_lo, v125, v20
	v_add_co_ci_u32_e32 v116, vcc_lo, v126, v21, vcc_lo
	flat_load_b32 v72, v[115:116]
	s_waitcnt vmcnt(0) lgkmcnt(0)
	v_mul_f32_e32 v115, s15, v72
.LBB41_47:
	v_dual_max_f32 v113, v17, v17 :: v_dual_max_f32 v72, v16, v16
	v_dual_max_f32 v18, v18, v18 :: v_dual_max_f32 v19, v19, v19
	s_delay_alu instid0(VALU_DEP_2) | instskip(NEXT) | instid1(VALU_DEP_2)
	v_dual_min_f32 v16, v113, v128 :: v_dual_min_f32 v17, v72, v127
	v_dual_min_f32 v116, v18, v124 :: v_dual_min_f32 v117, v19, v129
	s_delay_alu instid0(VALU_DEP_2) | instskip(NEXT) | instid1(VALU_DEP_1)
	v_dual_add_f32 v111, v16, v111 :: v_dual_add_nc_u32 v16, 56, v46
	v_add_f32_e32 v46, v117, v111
	s_delay_alu instid0(VALU_DEP_4) | instskip(NEXT) | instid1(VALU_DEP_1)
	v_add_f32_e32 v17, v17, v112
	v_add_f32_e32 v111, v116, v17
	s_delay_alu instid0(VALU_DEP_4) | instskip(NEXT) | instid1(VALU_DEP_2)
	v_ashrrev_i32_e32 v17, 31, v16
	v_add_f32_e32 v46, v111, v46
	v_add_co_u32 v111, vcc_lo, v123, v20
	s_delay_alu instid0(VALU_DEP_3) | instskip(SKIP_1) | instid1(VALU_DEP_4)
	v_lshlrev_b64 v[16:17], 2, v[16:17]
	v_add_co_ci_u32_e32 v112, vcc_lo, v130, v21, vcc_lo
	v_add_f32_e32 v46, v46, v115
	s_and_b32 vcc_lo, exec_lo, s0
	global_store_b32 v[111:112], v46, off
	s_cbranch_vccnz .LBB41_49
; %bb.48:
	v_add_co_u32 v111, vcc_lo, v125, v16
	v_add_co_ci_u32_e32 v112, vcc_lo, v126, v17, vcc_lo
	flat_load_b32 v46, v[111:112]
	s_waitcnt vmcnt(0) lgkmcnt(0)
	v_mul_f32_e32 v114, s15, v46
.LBB41_49:
	v_dual_max_f32 v12, v12, v12 :: v_dual_max_f32 v13, v13, v13
	v_dual_max_f32 v14, v14, v14 :: v_dual_add_nc_u32 v115, 32, v48
	v_max_f32_e32 v15, v15, v15
	s_delay_alu instid0(VALU_DEP_3) | instskip(NEXT) | instid1(VALU_DEP_4)
	v_min_f32_e32 v46, v12, v127
	v_min_f32_e32 v116, v13, v128
	s_delay_alu instid0(VALU_DEP_4) | instskip(SKIP_2) | instid1(VALU_DEP_4)
	v_min_f32_e32 v117, v14, v124
	v_mad_i64_i32 v[111:112], null, v115, s8, 0
	v_min_f32_e32 v118, v15, v129
	v_add_f32_e32 v116, v116, v109
	v_add_f32_e32 v46, v46, v110
	s_delay_alu instid0(VALU_DEP_4) | instskip(NEXT) | instid1(VALU_DEP_3)
	v_lshlrev_b64 v[109:110], 2, v[111:112]
	v_add_f32_e32 v116, v118, v116
	s_delay_alu instid0(VALU_DEP_3) | instskip(SKIP_2) | instid1(VALU_DEP_3)
	v_add_f32_e32 v46, v117, v46
	v_add_co_u32 v111, vcc_lo, v123, v16
	v_add_co_ci_u32_e32 v112, vcc_lo, v130, v17, vcc_lo
	v_add_f32_e32 v116, v46, v116
	v_add_co_u32 v46, vcc_lo, s4, v109
	v_add_co_ci_u32_e32 v109, vcc_lo, s5, v110, vcc_lo
	s_delay_alu instid0(VALU_DEP_3)
	v_add_f32_e32 v110, v116, v114
	v_mov_b32_e32 v114, 0
	v_mov_b32_e32 v116, 0
	s_and_b32 vcc_lo, exec_lo, s0
	global_store_b32 v[111:112], v110, off
	s_cbranch_vccnz .LBB41_51
; %bb.50:
	v_add_co_u32 v110, vcc_lo, v46, v44
	v_add_co_ci_u32_e32 v111, vcc_lo, v109, v45, vcc_lo
	flat_load_b32 v110, v[110:111]
	s_waitcnt vmcnt(0) lgkmcnt(0)
	v_mul_f32_e32 v116, s15, v110
.LBB41_51:
	v_dual_max_f32 v110, v8, v8 :: v_dual_max_f32 v111, v9, v9
	v_max_f32_e32 v112, v10, v10
	v_mad_i64_i32 v[9:10], null, v115, s3, 0
	s_delay_alu instid0(VALU_DEP_3) | instskip(NEXT) | instid1(VALU_DEP_3)
	v_min_f32_e32 v117, v49, v111
	v_dual_max_f32 v8, v11, v11 :: v_dual_min_f32 v115, v42, v112
	v_min_f32_e32 v11, v47, v110
	s_delay_alu instid0(VALU_DEP_2) | instskip(SKIP_1) | instid1(VALU_DEP_3)
	v_dual_add_f32 v107, v117, v107 :: v_dual_min_f32 v118, v43, v8
	v_lshlrev_b64 v[9:10], 2, v[9:10]
	v_add_f32_e32 v11, v11, v108
	s_delay_alu instid0(VALU_DEP_3) | instskip(NEXT) | instid1(VALU_DEP_2)
	v_add_f32_e32 v107, v118, v107
	v_add_f32_e32 v11, v115, v11
	s_delay_alu instid0(VALU_DEP_4) | instskip(SKIP_1) | instid1(VALU_DEP_3)
	v_add_co_u32 v9, vcc_lo, s1, v9
	v_add_co_ci_u32_e32 v10, vcc_lo, s6, v10, vcc_lo
	v_add_f32_e32 v11, v11, v107
	s_delay_alu instid0(VALU_DEP_3) | instskip(NEXT) | instid1(VALU_DEP_3)
	v_add_co_u32 v107, vcc_lo, v9, v44
	v_add_co_ci_u32_e32 v108, vcc_lo, v10, v45, vcc_lo
	s_delay_alu instid0(VALU_DEP_3)
	v_add_f32_e32 v11, v11, v116
	s_and_b32 vcc_lo, exec_lo, s0
	global_store_b32 v[107:108], v11, off
	s_cbranch_vccnz .LBB41_53
; %bb.52:
	v_add_co_u32 v107, vcc_lo, v46, v40
	v_add_co_ci_u32_e32 v108, vcc_lo, v109, v41, vcc_lo
	flat_load_b32 v11, v[107:108]
	s_waitcnt vmcnt(0) lgkmcnt(0)
	v_mul_f32_e32 v114, s15, v11
.LBB41_53:
	v_dual_min_f32 v11, v51, v111 :: v_dual_min_f32 v108, v38, v112
	v_min_f32_e32 v107, v50, v110
	v_min_f32_e32 v115, v39, v8
	s_delay_alu instid0(VALU_DEP_3) | instskip(NEXT) | instid1(VALU_DEP_3)
	v_add_f32_e32 v11, v11, v105
	v_add_f32_e32 v105, v107, v106
	v_add_co_u32 v106, vcc_lo, v9, v40
	s_delay_alu instid0(VALU_DEP_3) | instskip(SKIP_1) | instid1(VALU_DEP_4)
	v_add_f32_e32 v11, v115, v11
	v_add_co_ci_u32_e32 v107, vcc_lo, v10, v41, vcc_lo
	v_add_f32_e32 v105, v108, v105
	s_and_b32 vcc_lo, exec_lo, s0
	s_delay_alu instid0(VALU_DEP_1) | instskip(NEXT) | instid1(VALU_DEP_1)
	v_add_f32_e32 v11, v105, v11
	v_dual_mov_b32 v105, 0 :: v_dual_add_f32 v108, v11, v114
	v_mov_b32_e32 v11, 0
	global_store_b32 v[106:107], v108, off
	s_cbranch_vccnz .LBB41_55
; %bb.54:
	v_add_co_u32 v105, vcc_lo, v46, v36
	v_add_co_ci_u32_e32 v106, vcc_lo, v109, v37, vcc_lo
	flat_load_b32 v105, v[105:106]
	s_waitcnt vmcnt(0) lgkmcnt(0)
	v_mul_f32_e32 v105, s15, v105
.LBB41_55:
	v_dual_min_f32 v106, v53, v111 :: v_dual_min_f32 v107, v52, v110
	s_delay_alu instid0(VALU_DEP_1) | instskip(NEXT) | instid1(VALU_DEP_1)
	v_dual_min_f32 v114, v35, v8 :: v_dual_add_f32 v103, v106, v103
	v_dual_add_f32 v104, v107, v104 :: v_dual_add_f32 v103, v114, v103
	v_min_f32_e32 v108, v34, v112
	s_delay_alu instid0(VALU_DEP_1) | instskip(NEXT) | instid1(VALU_DEP_1)
	v_add_f32_e32 v104, v108, v104
	v_add_f32_e32 v103, v104, v103
	s_delay_alu instid0(VALU_DEP_1)
	v_add_f32_e32 v105, v103, v105
	v_add_co_u32 v103, vcc_lo, v9, v36
	v_add_co_ci_u32_e32 v104, vcc_lo, v10, v37, vcc_lo
	s_and_b32 vcc_lo, exec_lo, s0
	global_store_b32 v[103:104], v105, off
	s_cbranch_vccnz .LBB41_57
; %bb.56:
	v_add_co_u32 v103, vcc_lo, v46, v32
	v_add_co_ci_u32_e32 v104, vcc_lo, v109, v33, vcc_lo
	flat_load_b32 v11, v[103:104]
	s_waitcnt vmcnt(0) lgkmcnt(0)
	v_mul_f32_e32 v11, s15, v11
.LBB41_57:
	v_dual_min_f32 v103, v55, v111 :: v_dual_min_f32 v104, v54, v110
	v_min_f32_e32 v105, v30, v112
	v_min_f32_e32 v106, v31, v8
	s_delay_alu instid0(VALU_DEP_3) | instskip(NEXT) | instid1(VALU_DEP_4)
	v_add_f32_e32 v100, v103, v100
	v_add_f32_e32 v102, v104, v102
	s_delay_alu instid0(VALU_DEP_2) | instskip(NEXT) | instid1(VALU_DEP_2)
	v_add_f32_e32 v100, v106, v100
	v_add_f32_e32 v102, v105, v102
	s_delay_alu instid0(VALU_DEP_1) | instskip(SKIP_2) | instid1(VALU_DEP_3)
	v_add_f32_e32 v100, v102, v100
	v_add_co_u32 v102, vcc_lo, v9, v32
	v_add_co_ci_u32_e32 v103, vcc_lo, v10, v33, vcc_lo
	v_dual_add_f32 v104, v100, v11 :: v_dual_mov_b32 v11, 0
	v_mov_b32_e32 v100, 0
	s_and_b32 vcc_lo, exec_lo, s0
	global_store_b32 v[102:103], v104, off
	s_cbranch_vccnz .LBB41_59
; %bb.58:
	v_add_co_u32 v102, vcc_lo, v46, v28
	v_add_co_ci_u32_e32 v103, vcc_lo, v109, v29, vcc_lo
	flat_load_b32 v100, v[102:103]
	s_waitcnt vmcnt(0) lgkmcnt(0)
	v_mul_f32_e32 v100, s15, v100
.LBB41_59:
	v_dual_min_f32 v102, v57, v111 :: v_dual_min_f32 v103, v56, v110
	v_min_f32_e32 v104, v26, v112
	v_min_f32_e32 v105, v27, v8
	s_delay_alu instid0(VALU_DEP_3) | instskip(NEXT) | instid1(VALU_DEP_4)
	v_add_f32_e32 v99, v102, v99
	v_add_f32_e32 v101, v103, v101
	s_delay_alu instid0(VALU_DEP_2) | instskip(NEXT) | instid1(VALU_DEP_2)
	v_add_f32_e32 v99, v105, v99
	v_add_f32_e32 v101, v104, v101
	s_delay_alu instid0(VALU_DEP_1) | instskip(NEXT) | instid1(VALU_DEP_1)
	v_add_f32_e32 v99, v101, v99
	v_add_f32_e32 v101, v99, v100
	v_add_co_u32 v99, vcc_lo, v9, v28
	v_add_co_ci_u32_e32 v100, vcc_lo, v10, v29, vcc_lo
	s_and_b32 vcc_lo, exec_lo, s0
	global_store_b32 v[99:100], v101, off
	s_cbranch_vccnz .LBB41_61
; %bb.60:
	v_add_co_u32 v99, vcc_lo, v46, v24
	v_add_co_ci_u32_e32 v100, vcc_lo, v109, v25, vcc_lo
	flat_load_b32 v11, v[99:100]
	s_waitcnt vmcnt(0) lgkmcnt(0)
	v_mul_f32_e32 v11, s15, v11
.LBB41_61:
	v_dual_min_f32 v99, v59, v111 :: v_dual_min_f32 v100, v58, v110
	s_delay_alu instid0(VALU_DEP_1) | instskip(NEXT) | instid1(VALU_DEP_1)
	v_dual_min_f32 v101, v22, v112 :: v_dual_add_f32 v98, v100, v98
	v_dual_add_f32 v97, v99, v97 :: v_dual_add_f32 v98, v101, v98
	v_min_f32_e32 v102, v23, v8
	s_delay_alu instid0(VALU_DEP_1) | instskip(NEXT) | instid1(VALU_DEP_1)
	v_add_f32_e32 v97, v102, v97
	v_add_f32_e32 v97, v98, v97
	v_add_co_u32 v98, vcc_lo, v9, v24
	v_add_co_ci_u32_e32 v99, vcc_lo, v10, v25, vcc_lo
	s_delay_alu instid0(VALU_DEP_3)
	v_dual_add_f32 v100, v97, v11 :: v_dual_mov_b32 v11, 0
	v_mov_b32_e32 v97, 0
	s_and_b32 vcc_lo, exec_lo, s0
	global_store_b32 v[98:99], v100, off
	s_cbranch_vccnz .LBB41_63
; %bb.62:
	v_add_co_u32 v97, vcc_lo, v46, v20
	v_add_co_ci_u32_e32 v98, vcc_lo, v109, v21, vcc_lo
	flat_load_b32 v97, v[97:98]
	s_waitcnt vmcnt(0) lgkmcnt(0)
	v_mul_f32_e32 v97, s15, v97
.LBB41_63:
	v_dual_min_f32 v98, v113, v111 :: v_dual_min_f32 v99, v72, v110
	v_min_f32_e32 v101, v19, v8
	s_delay_alu instid0(VALU_DEP_2) | instskip(NEXT) | instid1(VALU_DEP_1)
	v_dual_add_f32 v95, v98, v95 :: v_dual_add_f32 v96, v99, v96
	v_dual_min_f32 v100, v18, v112 :: v_dual_add_f32 v95, v101, v95
	s_delay_alu instid0(VALU_DEP_1) | instskip(NEXT) | instid1(VALU_DEP_1)
	v_add_f32_e32 v96, v100, v96
	v_add_f32_e32 v95, v96, v95
	s_delay_alu instid0(VALU_DEP_1)
	v_add_f32_e32 v97, v95, v97
	v_add_co_u32 v95, vcc_lo, v9, v20
	v_add_co_ci_u32_e32 v96, vcc_lo, v10, v21, vcc_lo
	s_and_b32 vcc_lo, exec_lo, s0
	global_store_b32 v[95:96], v97, off
	s_cbranch_vccnz .LBB41_65
; %bb.64:
	v_add_co_u32 v95, vcc_lo, v46, v16
	v_add_co_ci_u32_e32 v96, vcc_lo, v109, v17, vcc_lo
	flat_load_b32 v11, v[95:96]
	s_waitcnt vmcnt(0) lgkmcnt(0)
	v_mul_f32_e32 v11, s15, v11
.LBB41_65:
	v_dual_min_f32 v46, v12, v110 :: v_dual_min_f32 v97, v14, v112
	v_dual_min_f32 v96, v13, v111 :: v_dual_add_nc_u32 v95, 64, v48
	v_min_f32_e32 v8, v15, v8
	s_delay_alu instid0(VALU_DEP_3) | instskip(NEXT) | instid1(VALU_DEP_3)
	v_add_f32_e32 v46, v46, v94
	v_add_f32_e32 v96, v96, v93
	s_delay_alu instid0(VALU_DEP_4) | instskip(NEXT) | instid1(VALU_DEP_3)
	v_mad_i64_i32 v[93:94], null, v95, s8, 0
	v_add_f32_e32 v46, v97, v46
	s_delay_alu instid0(VALU_DEP_3) | instskip(SKIP_3) | instid1(VALU_DEP_4)
	v_add_f32_e32 v8, v8, v96
	v_add_co_u32 v96, vcc_lo, v9, v16
	v_add_co_ci_u32_e32 v97, vcc_lo, v10, v17, vcc_lo
	v_lshlrev_b64 v[93:94], 2, v[93:94]
	v_add_f32_e32 v8, v46, v8
	s_delay_alu instid0(VALU_DEP_1) | instskip(NEXT) | instid1(VALU_DEP_3)
	v_add_f32_e32 v10, v8, v11
	v_add_co_u32 v8, vcc_lo, s4, v93
	v_mov_b32_e32 v93, 0
	v_add_co_ci_u32_e32 v9, vcc_lo, s5, v94, vcc_lo
	v_mov_b32_e32 v94, 0
	s_and_b32 vcc_lo, exec_lo, s0
	global_store_b32 v[96:97], v10, off
	s_cbranch_vccnz .LBB41_67
; %bb.66:
	v_add_co_u32 v10, vcc_lo, v8, v44
	v_add_co_ci_u32_e32 v11, vcc_lo, v9, v45, vcc_lo
	flat_load_b32 v10, v[10:11]
	s_waitcnt vmcnt(0) lgkmcnt(0)
	v_mul_f32_e32 v94, s15, v10
.LBB41_67:
	v_dual_max_f32 v10, v4, v4 :: v_dual_max_f32 v11, v5, v5
	v_max_f32_e32 v4, v7, v7
	v_max_f32_e32 v46, v6, v6
	v_mad_i64_i32 v[5:6], null, v95, s3, 0
	s_delay_alu instid0(VALU_DEP_4) | instskip(NEXT) | instid1(VALU_DEP_4)
	v_dual_min_f32 v7, v47, v10 :: v_dual_min_f32 v96, v49, v11
	v_min_f32_e32 v97, v43, v4
	s_delay_alu instid0(VALU_DEP_4) | instskip(NEXT) | instid1(VALU_DEP_3)
	v_min_f32_e32 v95, v42, v46
	v_add_f32_e32 v7, v7, v92
	s_delay_alu instid0(VALU_DEP_4) | instskip(SKIP_1) | instid1(VALU_DEP_3)
	v_add_f32_e32 v91, v96, v91
	v_lshlrev_b64 v[5:6], 2, v[5:6]
	v_add_f32_e32 v7, v95, v7
	s_delay_alu instid0(VALU_DEP_3) | instskip(NEXT) | instid1(VALU_DEP_3)
	v_add_f32_e32 v91, v97, v91
	v_add_co_u32 v5, vcc_lo, s1, v5
	s_delay_alu instid0(VALU_DEP_4) | instskip(NEXT) | instid1(VALU_DEP_3)
	v_add_co_ci_u32_e32 v6, vcc_lo, s6, v6, vcc_lo
	v_add_f32_e32 v7, v7, v91
	s_delay_alu instid0(VALU_DEP_3) | instskip(NEXT) | instid1(VALU_DEP_3)
	v_add_co_u32 v91, vcc_lo, v5, v44
	v_add_co_ci_u32_e32 v92, vcc_lo, v6, v45, vcc_lo
	s_delay_alu instid0(VALU_DEP_3)
	v_add_f32_e32 v7, v7, v94
	s_and_b32 vcc_lo, exec_lo, s0
	global_store_b32 v[91:92], v7, off
	s_cbranch_vccnz .LBB41_69
; %bb.68:
	v_add_co_u32 v91, vcc_lo, v8, v40
	v_add_co_ci_u32_e32 v92, vcc_lo, v9, v41, vcc_lo
	flat_load_b32 v7, v[91:92]
	s_waitcnt vmcnt(0) lgkmcnt(0)
	v_mul_f32_e32 v93, s15, v7
.LBB41_69:
	v_dual_min_f32 v7, v51, v11 :: v_dual_min_f32 v92, v38, v46
	v_dual_min_f32 v91, v50, v10 :: v_dual_min_f32 v94, v39, v4
	s_delay_alu instid0(VALU_DEP_2) | instskip(NEXT) | instid1(VALU_DEP_2)
	v_add_f32_e32 v7, v7, v89
	v_add_f32_e32 v89, v91, v90
	v_add_co_u32 v90, vcc_lo, v5, v40
	s_delay_alu instid0(VALU_DEP_3) | instskip(SKIP_1) | instid1(VALU_DEP_4)
	v_add_f32_e32 v7, v94, v7
	v_add_co_ci_u32_e32 v91, vcc_lo, v6, v41, vcc_lo
	v_add_f32_e32 v89, v92, v89
	s_and_b32 vcc_lo, exec_lo, s0
	s_delay_alu instid0(VALU_DEP_1) | instskip(NEXT) | instid1(VALU_DEP_1)
	v_add_f32_e32 v7, v89, v7
	v_dual_mov_b32 v89, 0 :: v_dual_add_f32 v92, v7, v93
	v_mov_b32_e32 v7, 0
	global_store_b32 v[90:91], v92, off
	s_cbranch_vccnz .LBB41_71
; %bb.70:
	v_add_co_u32 v89, vcc_lo, v8, v36
	v_add_co_ci_u32_e32 v90, vcc_lo, v9, v37, vcc_lo
	flat_load_b32 v89, v[89:90]
	s_waitcnt vmcnt(0) lgkmcnt(0)
	v_mul_f32_e32 v89, s15, v89
.LBB41_71:
	v_dual_min_f32 v90, v53, v11 :: v_dual_min_f32 v91, v52, v10
	v_dual_min_f32 v92, v34, v46 :: v_dual_min_f32 v93, v35, v4
	s_delay_alu instid0(VALU_DEP_2) | instskip(NEXT) | instid1(VALU_DEP_1)
	v_dual_add_f32 v87, v90, v87 :: v_dual_add_f32 v88, v91, v88
	v_dual_add_f32 v87, v93, v87 :: v_dual_add_f32 v88, v92, v88
	s_delay_alu instid0(VALU_DEP_1) | instskip(NEXT) | instid1(VALU_DEP_1)
	v_add_f32_e32 v87, v88, v87
	v_add_f32_e32 v89, v87, v89
	v_add_co_u32 v87, vcc_lo, v5, v36
	v_add_co_ci_u32_e32 v88, vcc_lo, v6, v37, vcc_lo
	s_and_b32 vcc_lo, exec_lo, s0
	global_store_b32 v[87:88], v89, off
	s_cbranch_vccnz .LBB41_73
; %bb.72:
	v_add_co_u32 v87, vcc_lo, v8, v32
	v_add_co_ci_u32_e32 v88, vcc_lo, v9, v33, vcc_lo
	flat_load_b32 v7, v[87:88]
	s_waitcnt vmcnt(0) lgkmcnt(0)
	v_mul_f32_e32 v7, s15, v7
.LBB41_73:
	v_dual_min_f32 v87, v55, v11 :: v_dual_min_f32 v88, v54, v10
	v_dual_min_f32 v89, v30, v46 :: v_dual_min_f32 v90, v31, v4
	s_delay_alu instid0(VALU_DEP_2) | instskip(NEXT) | instid1(VALU_DEP_1)
	v_dual_add_f32 v85, v87, v85 :: v_dual_add_f32 v86, v88, v86
	v_dual_add_f32 v85, v90, v85 :: v_dual_add_f32 v86, v89, v86
	s_delay_alu instid0(VALU_DEP_1) | instskip(SKIP_2) | instid1(VALU_DEP_3)
	v_add_f32_e32 v85, v86, v85
	v_add_co_u32 v86, vcc_lo, v5, v32
	v_add_co_ci_u32_e32 v87, vcc_lo, v6, v33, vcc_lo
	v_dual_add_f32 v88, v85, v7 :: v_dual_mov_b32 v7, 0
	v_mov_b32_e32 v85, 0
	s_and_b32 vcc_lo, exec_lo, s0
	global_store_b32 v[86:87], v88, off
	s_cbranch_vccnz .LBB41_75
; %bb.74:
	v_add_co_u32 v85, vcc_lo, v8, v28
	v_add_co_ci_u32_e32 v86, vcc_lo, v9, v29, vcc_lo
	flat_load_b32 v85, v[85:86]
	s_waitcnt vmcnt(0) lgkmcnt(0)
	v_mul_f32_e32 v85, s15, v85
.LBB41_75:
	v_dual_min_f32 v86, v57, v11 :: v_dual_min_f32 v87, v56, v10
	v_dual_min_f32 v88, v26, v46 :: v_dual_min_f32 v89, v27, v4
	s_delay_alu instid0(VALU_DEP_2) | instskip(NEXT) | instid1(VALU_DEP_1)
	v_dual_add_f32 v83, v86, v83 :: v_dual_add_f32 v84, v87, v84
	v_dual_add_f32 v83, v89, v83 :: v_dual_add_f32 v84, v88, v84
	s_delay_alu instid0(VALU_DEP_1) | instskip(NEXT) | instid1(VALU_DEP_1)
	v_add_f32_e32 v83, v84, v83
	v_add_f32_e32 v85, v83, v85
	v_add_co_u32 v83, vcc_lo, v5, v28
	v_add_co_ci_u32_e32 v84, vcc_lo, v6, v29, vcc_lo
	s_and_b32 vcc_lo, exec_lo, s0
	global_store_b32 v[83:84], v85, off
	s_cbranch_vccnz .LBB41_77
; %bb.76:
	v_add_co_u32 v83, vcc_lo, v8, v24
	v_add_co_ci_u32_e32 v84, vcc_lo, v9, v25, vcc_lo
	flat_load_b32 v7, v[83:84]
	s_waitcnt vmcnt(0) lgkmcnt(0)
	v_mul_f32_e32 v7, s15, v7
.LBB41_77:
	v_dual_min_f32 v83, v59, v11 :: v_dual_min_f32 v84, v58, v10
	v_dual_min_f32 v85, v22, v46 :: v_dual_min_f32 v86, v23, v4
	s_delay_alu instid0(VALU_DEP_2) | instskip(NEXT) | instid1(VALU_DEP_3)
	v_add_f32_e32 v80, v83, v80
	v_add_f32_e32 v82, v84, v82
	s_delay_alu instid0(VALU_DEP_2) | instskip(NEXT) | instid1(VALU_DEP_2)
	v_add_f32_e32 v80, v86, v80
	v_add_f32_e32 v82, v85, v82
	s_delay_alu instid0(VALU_DEP_1) | instskip(SKIP_2) | instid1(VALU_DEP_3)
	v_add_f32_e32 v80, v82, v80
	v_add_co_u32 v82, vcc_lo, v5, v24
	v_add_co_ci_u32_e32 v83, vcc_lo, v6, v25, vcc_lo
	v_dual_add_f32 v84, v80, v7 :: v_dual_mov_b32 v7, 0
	v_mov_b32_e32 v80, 0
	s_and_b32 vcc_lo, exec_lo, s0
	global_store_b32 v[82:83], v84, off
	s_cbranch_vccnz .LBB41_79
; %bb.78:
	v_add_co_u32 v82, vcc_lo, v8, v20
	v_add_co_ci_u32_e32 v83, vcc_lo, v9, v21, vcc_lo
	flat_load_b32 v80, v[82:83]
	s_waitcnt vmcnt(0) lgkmcnt(0)
	v_mul_f32_e32 v80, s15, v80
.LBB41_79:
	v_dual_min_f32 v82, v113, v11 :: v_dual_min_f32 v83, v72, v10
	v_dual_min_f32 v84, v18, v46 :: v_dual_min_f32 v85, v19, v4
	s_delay_alu instid0(VALU_DEP_2) | instskip(NEXT) | instid1(VALU_DEP_3)
	v_add_f32_e32 v79, v82, v79
	v_add_f32_e32 v81, v83, v81
	s_delay_alu instid0(VALU_DEP_2) | instskip(NEXT) | instid1(VALU_DEP_2)
	v_add_f32_e32 v79, v85, v79
	v_add_f32_e32 v81, v84, v81
	s_delay_alu instid0(VALU_DEP_1) | instskip(NEXT) | instid1(VALU_DEP_1)
	v_add_f32_e32 v79, v81, v79
	v_add_f32_e32 v81, v79, v80
	v_add_co_u32 v79, vcc_lo, v5, v20
	v_add_co_ci_u32_e32 v80, vcc_lo, v6, v21, vcc_lo
	s_and_b32 vcc_lo, exec_lo, s0
	global_store_b32 v[79:80], v81, off
	s_cbranch_vccnz .LBB41_81
; %bb.80:
	v_add_co_u32 v7, vcc_lo, v8, v16
	v_add_co_ci_u32_e32 v8, vcc_lo, v9, v17, vcc_lo
	flat_load_b32 v7, v[7:8]
	s_waitcnt vmcnt(0) lgkmcnt(0)
	v_mul_f32_e32 v7, s15, v7
.LBB41_81:
	v_dual_min_f32 v8, v12, v10 :: v_dual_add_nc_u32 v9, 0x60, v48
	v_min_f32_e32 v10, v13, v11
	v_min_f32_e32 v46, v14, v46
	;; [unrolled: 1-line block ×3, first 2 shown]
	s_delay_alu instid0(VALU_DEP_4) | instskip(SKIP_3) | instid1(VALU_DEP_4)
	v_add_f32_e32 v8, v8, v78
	v_add_co_u32 v78, vcc_lo, v5, v16
	v_add_f32_e32 v48, v10, v76
	v_mad_i64_i32 v[10:11], null, v9, s8, 0
	v_add_f32_e32 v8, v46, v8
	v_add_co_ci_u32_e32 v79, vcc_lo, v6, v17, vcc_lo
	s_delay_alu instid0(VALU_DEP_4) | instskip(NEXT) | instid1(VALU_DEP_4)
	v_add_f32_e32 v4, v4, v48
	v_lshlrev_b64 v[10:11], 2, v[10:11]
	s_delay_alu instid0(VALU_DEP_2) | instskip(SKIP_1) | instid1(VALU_DEP_2)
	v_add_f32_e32 v4, v8, v4
	v_mov_b32_e32 v8, 0
	v_add_f32_e32 v6, v4, v7
	s_delay_alu instid0(VALU_DEP_4)
	v_add_co_u32 v4, vcc_lo, s4, v10
	v_add_co_ci_u32_e32 v5, vcc_lo, s5, v11, vcc_lo
	v_mov_b32_e32 v10, 0
	s_and_b32 vcc_lo, exec_lo, s0
	global_store_b32 v[78:79], v6, off
	s_cbranch_vccnz .LBB41_83
; %bb.82:
	v_add_co_u32 v6, vcc_lo, v4, v44
	v_add_co_ci_u32_e32 v7, vcc_lo, v5, v45, vcc_lo
	flat_load_b32 v6, v[6:7]
	s_waitcnt vmcnt(0) lgkmcnt(0)
	v_mul_f32_e32 v10, s15, v6
.LBB41_83:
	s_waitcnt lgkmcnt(0)
	v_dual_max_f32 v0, v0, v0 :: v_dual_max_f32 v1, v1, v1
	v_dual_max_f32 v2, v2, v2 :: v_dual_max_f32 v3, v3, v3
	v_mad_i64_i32 v[6:7], null, v9, s3, 0
	s_delay_alu instid0(VALU_DEP_3) | instskip(NEXT) | instid1(VALU_DEP_3)
	v_dual_min_f32 v11, v47, v0 :: v_dual_min_f32 v46, v49, v1
	v_dual_min_f32 v9, v42, v2 :: v_dual_min_f32 v42, v43, v3
	s_delay_alu instid0(VALU_DEP_2) | instskip(NEXT) | instid1(VALU_DEP_3)
	v_add_f32_e32 v43, v46, v75
	v_add_f32_e32 v11, v11, v77
	v_lshlrev_b64 v[6:7], 2, v[6:7]
	s_delay_alu instid0(VALU_DEP_3) | instskip(NEXT) | instid1(VALU_DEP_3)
	v_add_f32_e32 v42, v42, v43
	v_add_f32_e32 v9, v9, v11
	s_delay_alu instid0(VALU_DEP_3) | instskip(NEXT) | instid1(VALU_DEP_4)
	v_add_co_u32 v6, vcc_lo, s1, v6
	v_add_co_ci_u32_e32 v7, vcc_lo, s6, v7, vcc_lo
	s_delay_alu instid0(VALU_DEP_3) | instskip(NEXT) | instid1(VALU_DEP_1)
	v_add_f32_e32 v9, v9, v42
	v_add_f32_e32 v11, v9, v10
	s_delay_alu instid0(VALU_DEP_4) | instskip(NEXT) | instid1(VALU_DEP_4)
	v_add_co_u32 v9, vcc_lo, v6, v44
	v_add_co_ci_u32_e32 v10, vcc_lo, v7, v45, vcc_lo
	s_and_b32 vcc_lo, exec_lo, s0
	global_store_b32 v[9:10], v11, off
	s_cbranch_vccnz .LBB41_85
; %bb.84:
	v_add_co_u32 v8, vcc_lo, v4, v40
	v_add_co_ci_u32_e32 v9, vcc_lo, v5, v41, vcc_lo
	flat_load_b32 v8, v[8:9]
	s_waitcnt vmcnt(0) lgkmcnt(0)
	v_mul_f32_e32 v8, s15, v8
.LBB41_85:
	v_dual_min_f32 v9, v51, v1 :: v_dual_min_f32 v10, v50, v0
	v_dual_min_f32 v11, v38, v2 :: v_dual_min_f32 v38, v39, v3
	s_delay_alu instid0(VALU_DEP_2) | instskip(NEXT) | instid1(VALU_DEP_1)
	v_dual_add_f32 v9, v9, v73 :: v_dual_add_f32 v10, v10, v74
	v_dual_add_f32 v9, v38, v9 :: v_dual_add_f32 v10, v11, v10
	s_delay_alu instid0(VALU_DEP_1) | instskip(SKIP_2) | instid1(VALU_DEP_3)
	v_add_f32_e32 v9, v10, v9
	v_add_co_u32 v10, vcc_lo, v6, v40
	v_add_co_ci_u32_e32 v11, vcc_lo, v7, v41, vcc_lo
	v_dual_add_f32 v38, v9, v8 :: v_dual_mov_b32 v9, 0
	v_mov_b32_e32 v8, 0
	s_and_b32 vcc_lo, exec_lo, s0
	global_store_b32 v[10:11], v38, off
	s_cbranch_vccnz .LBB41_87
; %bb.86:
	v_add_co_u32 v9, vcc_lo, v4, v36
	v_add_co_ci_u32_e32 v10, vcc_lo, v5, v37, vcc_lo
	flat_load_b32 v9, v[9:10]
	s_waitcnt vmcnt(0) lgkmcnt(0)
	v_mul_f32_e32 v9, s15, v9
.LBB41_87:
	v_dual_min_f32 v10, v53, v1 :: v_dual_min_f32 v11, v52, v0
	v_dual_min_f32 v34, v34, v2 :: v_dual_min_f32 v35, v35, v3
	s_delay_alu instid0(VALU_DEP_2) | instskip(NEXT) | instid1(VALU_DEP_1)
	v_dual_add_f32 v10, v10, v69 :: v_dual_add_f32 v11, v11, v71
	v_dual_add_f32 v10, v35, v10 :: v_dual_add_f32 v11, v34, v11
	s_delay_alu instid0(VALU_DEP_1) | instskip(NEXT) | instid1(VALU_DEP_1)
	v_add_f32_e32 v10, v11, v10
	v_add_f32_e32 v11, v10, v9
	v_add_co_u32 v9, vcc_lo, v6, v36
	v_add_co_ci_u32_e32 v10, vcc_lo, v7, v37, vcc_lo
	s_and_b32 vcc_lo, exec_lo, s0
	global_store_b32 v[9:10], v11, off
	s_cbranch_vccnz .LBB41_89
; %bb.88:
	v_add_co_u32 v8, vcc_lo, v4, v32
	v_add_co_ci_u32_e32 v9, vcc_lo, v5, v33, vcc_lo
	flat_load_b32 v8, v[8:9]
	s_waitcnt vmcnt(0) lgkmcnt(0)
	v_mul_f32_e32 v8, s15, v8
.LBB41_89:
	v_dual_min_f32 v9, v55, v1 :: v_dual_min_f32 v10, v54, v0
	v_dual_min_f32 v11, v30, v2 :: v_dual_min_f32 v30, v31, v3
	s_delay_alu instid0(VALU_DEP_2) | instskip(NEXT) | instid1(VALU_DEP_1)
	v_dual_add_f32 v9, v9, v68 :: v_dual_add_f32 v10, v10, v70
	v_dual_add_f32 v9, v30, v9 :: v_dual_add_f32 v10, v11, v10
	s_delay_alu instid0(VALU_DEP_1) | instskip(SKIP_2) | instid1(VALU_DEP_3)
	v_add_f32_e32 v9, v10, v9
	v_add_co_u32 v10, vcc_lo, v6, v32
	v_add_co_ci_u32_e32 v11, vcc_lo, v7, v33, vcc_lo
	v_dual_add_f32 v30, v9, v8 :: v_dual_mov_b32 v9, 0
	v_mov_b32_e32 v8, 0
	s_and_b32 vcc_lo, exec_lo, s0
	global_store_b32 v[10:11], v30, off
	s_cbranch_vccnz .LBB41_91
; %bb.90:
	v_add_co_u32 v9, vcc_lo, v4, v28
	v_add_co_ci_u32_e32 v10, vcc_lo, v5, v29, vcc_lo
	flat_load_b32 v9, v[9:10]
	s_waitcnt vmcnt(0) lgkmcnt(0)
	v_mul_f32_e32 v9, s15, v9
.LBB41_91:
	v_dual_min_f32 v10, v57, v1 :: v_dual_min_f32 v11, v56, v0
	v_dual_min_f32 v26, v26, v2 :: v_dual_min_f32 v27, v27, v3
	s_delay_alu instid0(VALU_DEP_2) | instskip(NEXT) | instid1(VALU_DEP_1)
	v_dual_add_f32 v10, v10, v66 :: v_dual_add_f32 v11, v11, v67
	v_dual_add_f32 v10, v27, v10 :: v_dual_add_f32 v11, v26, v11
	s_delay_alu instid0(VALU_DEP_1) | instskip(NEXT) | instid1(VALU_DEP_1)
	v_add_f32_e32 v10, v11, v10
	v_add_f32_e32 v11, v10, v9
	v_add_co_u32 v9, vcc_lo, v6, v28
	v_add_co_ci_u32_e32 v10, vcc_lo, v7, v29, vcc_lo
	s_and_b32 vcc_lo, exec_lo, s0
	global_store_b32 v[9:10], v11, off
	s_cbranch_vccnz .LBB41_93
; %bb.92:
	v_add_co_u32 v8, vcc_lo, v4, v24
	v_add_co_ci_u32_e32 v9, vcc_lo, v5, v25, vcc_lo
	flat_load_b32 v8, v[8:9]
	s_waitcnt vmcnt(0) lgkmcnt(0)
	v_mul_f32_e32 v8, s15, v8
.LBB41_93:
	v_dual_min_f32 v9, v59, v1 :: v_dual_min_f32 v10, v58, v0
	v_dual_min_f32 v11, v22, v2 :: v_dual_min_f32 v22, v23, v3
	;; [unrolled: 1-line block ×3, first 2 shown]
	s_delay_alu instid0(VALU_DEP_3) | instskip(NEXT) | instid1(VALU_DEP_2)
	v_dual_add_f32 v9, v9, v62 :: v_dual_add_f32 v10, v10, v65
	v_dual_min_f32 v18, v18, v2 :: v_dual_add_f32 v23, v23, v64
	s_delay_alu instid0(VALU_DEP_2) | instskip(SKIP_2) | instid1(VALU_DEP_2)
	v_dual_add_f32 v9, v22, v9 :: v_dual_add_f32 v10, v11, v10
	v_min_f32_e32 v11, v19, v3
	v_add_f32_e32 v19, v26, v63
	v_dual_add_f32 v22, v10, v9 :: v_dual_add_f32 v11, v11, v23
	s_delay_alu instid0(VALU_DEP_2) | instskip(SKIP_2) | instid1(VALU_DEP_4)
	v_add_f32_e32 v18, v18, v19
	v_add_co_u32 v9, vcc_lo, v6, v24
	v_add_co_ci_u32_e32 v10, vcc_lo, v7, v25, vcc_lo
	v_add_f32_e32 v19, v22, v8
	s_delay_alu instid0(VALU_DEP_4)
	v_add_f32_e32 v8, v18, v11
	s_mov_b32 vcc_lo, s2
	global_store_b32 v[9:10], v19, off
	s_cbranch_vccz .LBB41_96
; %bb.94:
	v_add_co_u32 v9, vcc_lo, v6, v20
	v_add_f32_e32 v11, 0, v8
	v_add_co_ci_u32_e32 v10, vcc_lo, v7, v21, vcc_lo
	s_mov_b32 s0, 0
	global_store_b32 v[9:10], v11, off
	s_cbranch_execz .LBB41_97
; %bb.95:
	v_mov_b32_e32 v4, s0
	s_branch .LBB41_98
.LBB41_96:
	s_mov_b32 s0, -1
.LBB41_97:
	v_add_co_u32 v9, vcc_lo, v4, v20
	v_add_co_ci_u32_e32 v10, vcc_lo, v5, v21, vcc_lo
	flat_load_b32 v11, v[9:10]
	v_add_co_u32 v9, vcc_lo, v6, v20
	v_add_co_ci_u32_e32 v10, vcc_lo, v7, v21, vcc_lo
	v_add_co_u32 v4, vcc_lo, v4, v16
	v_add_co_ci_u32_e32 v5, vcc_lo, v5, v17, vcc_lo
	s_waitcnt vmcnt(0) lgkmcnt(0)
	v_fmac_f32_e32 v8, s15, v11
	global_store_b32 v[9:10], v8, off
	flat_load_b32 v4, v[4:5]
	s_waitcnt vmcnt(0) lgkmcnt(0)
	v_mul_f32_e32 v4, s15, v4
.LBB41_98:
	v_dual_min_f32 v1, v13, v1 :: v_dual_min_f32 v0, v12, v0
	v_dual_min_f32 v2, v14, v2 :: v_dual_min_f32 v3, v15, v3
	s_delay_alu instid0(VALU_DEP_2) | instskip(NEXT) | instid1(VALU_DEP_1)
	v_dual_add_f32 v1, v1, v60 :: v_dual_add_f32 v0, v0, v61
	v_dual_add_f32 v1, v3, v1 :: v_dual_add_f32 v0, v2, v0
	s_delay_alu instid0(VALU_DEP_1) | instskip(NEXT) | instid1(VALU_DEP_1)
	v_add_f32_e32 v0, v0, v1
	v_add_f32_e32 v2, v0, v4
	v_add_co_u32 v0, vcc_lo, v6, v16
	v_add_co_ci_u32_e32 v1, vcc_lo, v7, v17, vcc_lo
	global_store_b32 v[0:1], v2, off
	s_nop 0
	s_sendmsg sendmsg(MSG_DEALLOC_VGPRS)
	s_endpgm
	.section	.rodata,"a",@progbits
	.p2align	6, 0x0
	.amdhsa_kernel _ZN12_GLOBAL__N_120geam_min_plus_kernelIf15HIP_vector_typeIfLj2EES2_Li8ELi32ELi64ELi128ELi4ELi64ELi4ELi64ELi4ELc78ELc84ELb0ELb0ELb0EfKPKfKPfEEviiiT16_PT17_ilSA_ilS8_SA_ilPT18_ili26rocblas_geam_ex_operation_
		.amdhsa_group_segment_fixed_size 6144
		.amdhsa_private_segment_fixed_size 0
		.amdhsa_kernarg_size 128
		.amdhsa_user_sgpr_count 14
		.amdhsa_user_sgpr_dispatch_ptr 0
		.amdhsa_user_sgpr_queue_ptr 0
		.amdhsa_user_sgpr_kernarg_segment_ptr 1
		.amdhsa_user_sgpr_dispatch_id 0
		.amdhsa_user_sgpr_private_segment_size 0
		.amdhsa_wavefront_size32 1
		.amdhsa_uses_dynamic_stack 0
		.amdhsa_enable_private_segment 0
		.amdhsa_system_sgpr_workgroup_id_x 1
		.amdhsa_system_sgpr_workgroup_id_y 0
		.amdhsa_system_sgpr_workgroup_id_z 1
		.amdhsa_system_sgpr_workgroup_info 0
		.amdhsa_system_vgpr_workitem_id 1
		.amdhsa_next_free_vgpr 229
		.amdhsa_next_free_sgpr 24
		.amdhsa_reserve_vcc 1
		.amdhsa_float_round_mode_32 0
		.amdhsa_float_round_mode_16_64 0
		.amdhsa_float_denorm_mode_32 3
		.amdhsa_float_denorm_mode_16_64 3
		.amdhsa_dx10_clamp 1
		.amdhsa_ieee_mode 1
		.amdhsa_fp16_overflow 0
		.amdhsa_workgroup_processor_mode 1
		.amdhsa_memory_ordered 1
		.amdhsa_forward_progress 0
		.amdhsa_shared_vgpr_count 0
		.amdhsa_exception_fp_ieee_invalid_op 0
		.amdhsa_exception_fp_denorm_src 0
		.amdhsa_exception_fp_ieee_div_zero 0
		.amdhsa_exception_fp_ieee_overflow 0
		.amdhsa_exception_fp_ieee_underflow 0
		.amdhsa_exception_fp_ieee_inexact 0
		.amdhsa_exception_int_div_zero 0
	.end_amdhsa_kernel
	.section	.text._ZN12_GLOBAL__N_120geam_min_plus_kernelIf15HIP_vector_typeIfLj2EES2_Li8ELi32ELi64ELi128ELi4ELi64ELi4ELi64ELi4ELc78ELc84ELb0ELb0ELb0EfKPKfKPfEEviiiT16_PT17_ilSA_ilS8_SA_ilPT18_ili26rocblas_geam_ex_operation_,"axG",@progbits,_ZN12_GLOBAL__N_120geam_min_plus_kernelIf15HIP_vector_typeIfLj2EES2_Li8ELi32ELi64ELi128ELi4ELi64ELi4ELi64ELi4ELc78ELc84ELb0ELb0ELb0EfKPKfKPfEEviiiT16_PT17_ilSA_ilS8_SA_ilPT18_ili26rocblas_geam_ex_operation_,comdat
.Lfunc_end41:
	.size	_ZN12_GLOBAL__N_120geam_min_plus_kernelIf15HIP_vector_typeIfLj2EES2_Li8ELi32ELi64ELi128ELi4ELi64ELi4ELi64ELi4ELc78ELc84ELb0ELb0ELb0EfKPKfKPfEEviiiT16_PT17_ilSA_ilS8_SA_ilPT18_ili26rocblas_geam_ex_operation_, .Lfunc_end41-_ZN12_GLOBAL__N_120geam_min_plus_kernelIf15HIP_vector_typeIfLj2EES2_Li8ELi32ELi64ELi128ELi4ELi64ELi4ELi64ELi4ELc78ELc84ELb0ELb0ELb0EfKPKfKPfEEviiiT16_PT17_ilSA_ilS8_SA_ilPT18_ili26rocblas_geam_ex_operation_
                                        ; -- End function
	.section	.AMDGPU.csdata,"",@progbits
; Kernel info:
; codeLenInByte = 10316
; NumSgprs: 26
; NumVgprs: 229
; ScratchSize: 0
; MemoryBound: 0
; FloatMode: 240
; IeeeMode: 1
; LDSByteSize: 6144 bytes/workgroup (compile time only)
; SGPRBlocks: 3
; VGPRBlocks: 28
; NumSGPRsForWavesPerEU: 26
; NumVGPRsForWavesPerEU: 229
; Occupancy: 6
; WaveLimiterHint : 1
; COMPUTE_PGM_RSRC2:SCRATCH_EN: 0
; COMPUTE_PGM_RSRC2:USER_SGPR: 14
; COMPUTE_PGM_RSRC2:TRAP_HANDLER: 0
; COMPUTE_PGM_RSRC2:TGID_X_EN: 1
; COMPUTE_PGM_RSRC2:TGID_Y_EN: 0
; COMPUTE_PGM_RSRC2:TGID_Z_EN: 1
; COMPUTE_PGM_RSRC2:TIDIG_COMP_CNT: 1
	.section	.text._ZN12_GLOBAL__N_120geam_min_plus_kernelIf15HIP_vector_typeIfLj2EES2_Li8ELi32ELi64ELi128ELi4ELi64ELi4ELi64ELi4ELc78ELc84ELb0ELb1ELb0EPKfKS4_KPfEEviiiT16_PT17_ilSA_ilS8_SA_ilPT18_ili26rocblas_geam_ex_operation_,"axG",@progbits,_ZN12_GLOBAL__N_120geam_min_plus_kernelIf15HIP_vector_typeIfLj2EES2_Li8ELi32ELi64ELi128ELi4ELi64ELi4ELi64ELi4ELc78ELc84ELb0ELb1ELb0EPKfKS4_KPfEEviiiT16_PT17_ilSA_ilS8_SA_ilPT18_ili26rocblas_geam_ex_operation_,comdat
	.globl	_ZN12_GLOBAL__N_120geam_min_plus_kernelIf15HIP_vector_typeIfLj2EES2_Li8ELi32ELi64ELi128ELi4ELi64ELi4ELi64ELi4ELc78ELc84ELb0ELb1ELb0EPKfKS4_KPfEEviiiT16_PT17_ilSA_ilS8_SA_ilPT18_ili26rocblas_geam_ex_operation_ ; -- Begin function _ZN12_GLOBAL__N_120geam_min_plus_kernelIf15HIP_vector_typeIfLj2EES2_Li8ELi32ELi64ELi128ELi4ELi64ELi4ELi64ELi4ELc78ELc84ELb0ELb1ELb0EPKfKS4_KPfEEviiiT16_PT17_ilSA_ilS8_SA_ilPT18_ili26rocblas_geam_ex_operation_
	.p2align	8
	.type	_ZN12_GLOBAL__N_120geam_min_plus_kernelIf15HIP_vector_typeIfLj2EES2_Li8ELi32ELi64ELi128ELi4ELi64ELi4ELi64ELi4ELc78ELc84ELb0ELb1ELb0EPKfKS4_KPfEEviiiT16_PT17_ilSA_ilS8_SA_ilPT18_ili26rocblas_geam_ex_operation_,@function
_ZN12_GLOBAL__N_120geam_min_plus_kernelIf15HIP_vector_typeIfLj2EES2_Li8ELi32ELi64ELi128ELi4ELi64ELi4ELi64ELi4ELc78ELc84ELb0ELb1ELb0EPKfKS4_KPfEEviiiT16_PT17_ilSA_ilS8_SA_ilPT18_ili26rocblas_geam_ex_operation_: ; @_ZN12_GLOBAL__N_120geam_min_plus_kernelIf15HIP_vector_typeIfLj2EES2_Li8ELi32ELi64ELi128ELi4ELi64ELi4ELi64ELi4ELc78ELc84ELb0ELb1ELb0EPKfKS4_KPfEEviiiT16_PT17_ilSA_ilS8_SA_ilPT18_ili26rocblas_geam_ex_operation_
; %bb.0:
	s_clause 0x1
	s_load_b128 s[16:19], s[0:1], 0x10
	s_load_b128 s[4:7], s[0:1], 0x28
	s_mov_b32 s2, s15
	s_mov_b32 s3, 0
	s_mov_b64 s[20:21], 0
	s_lshl_b64 s[12:13], s[2:3], 2
	s_waitcnt lgkmcnt(0)
	s_add_u32 s8, s16, s12
	s_addc_u32 s9, s17, s13
	s_load_b32 s23, s[8:9], 0x0
	s_clause 0x1
	s_load_b128 s[8:11], s[0:1], 0x40
	s_load_b64 s[16:17], s[0:1], 0x50
	s_waitcnt lgkmcnt(0)
	v_cmp_eq_f32_e64 s15, s23, 0
	v_cmp_neq_f32_e64 s24, s23, 0
	s_add_u32 s10, s10, s12
	s_addc_u32 s11, s11, s13
	s_mov_b64 s[12:13], 0
	s_and_b32 vcc_lo, exec_lo, s15
	s_cbranch_vccnz .LBB42_2
; %bb.1:
	s_lshl_b64 s[20:21], s[2:3], 3
	s_delay_alu instid0(SALU_CYCLE_1)
	s_add_u32 s18, s18, s20
	s_addc_u32 s19, s19, s21
	s_lshl_b64 s[4:5], s[4:5], 2
	s_load_b64 s[18:19], s[18:19], 0x0
	s_waitcnt lgkmcnt(0)
	s_add_u32 s20, s18, s4
	s_addc_u32 s21, s19, s5
.LBB42_2:
	s_load_b32 s15, s[10:11], 0x0
	s_and_not1_b32 vcc_lo, exec_lo, s24
	s_cbranch_vccnz .LBB42_4
; %bb.3:
	s_lshl_b64 s[4:5], s[2:3], 3
	s_delay_alu instid0(SALU_CYCLE_1)
	s_add_u32 s4, s6, s4
	s_addc_u32 s5, s7, s5
	s_lshl_b64 s[6:7], s[8:9], 2
	s_load_b64 s[4:5], s[4:5], 0x0
	s_waitcnt lgkmcnt(0)
	s_add_u32 s12, s4, s6
	s_addc_u32 s13, s5, s7
.LBB42_4:
	s_load_b128 s[4:7], s[0:1], 0x60
	s_waitcnt lgkmcnt(0)
	v_cmp_eq_f32_e64 s8, s15, 0
	v_cmp_neq_f32_e64 s22, s15, 0
	s_delay_alu instid0(VALU_DEP_2)
	s_and_b32 vcc_lo, exec_lo, s8
	s_cbranch_vccnz .LBB42_6
; %bb.5:
	s_lshl_b64 s[8:9], s[2:3], 3
	s_delay_alu instid0(SALU_CYCLE_1)
	s_add_u32 s8, s16, s8
	s_addc_u32 s9, s17, s9
	s_lshl_b64 s[4:5], s[4:5], 2
	s_load_b64 s[8:9], s[8:9], 0x0
	s_waitcnt lgkmcnt(0)
	s_add_u32 s10, s8, s4
	s_addc_u32 s11, s9, s5
	s_branch .LBB42_7
.LBB42_6:
	s_mov_b64 s[10:11], 0
.LBB42_7:
	s_clause 0x1
	s_load_b32 s8, s[0:1], 0x20
	s_load_b128 s[16:19], s[0:1], 0x0
	s_lshl_b64 s[2:3], s[2:3], 3
	v_dual_mov_b32 v9, 0 :: v_dual_and_b32 v54, 0x3ff, v0
	v_bfe_u32 v55, v0, 10, 10
	v_mov_b32_e32 v8, 0
	s_waitcnt lgkmcnt(0)
	s_ashr_i32 s9, s8, 31
	s_add_u32 s4, s6, s2
	s_addc_u32 s5, s7, s3
	s_add_i32 s2, s16, -1
	s_delay_alu instid0(SALU_CYCLE_1) | instskip(NEXT) | instid1(SALU_CYCLE_1)
	s_ashr_i32 s3, s2, 31
	s_lshr_b32 s3, s3, 26
	s_delay_alu instid0(SALU_CYCLE_1) | instskip(NEXT) | instid1(SALU_CYCLE_1)
	s_add_i32 s2, s2, s3
	s_ashr_i32 s2, s2, 6
	s_delay_alu instid0(SALU_CYCLE_1) | instskip(SKIP_2) | instid1(VALU_DEP_1)
	s_add_i32 s6, s2, 1
	s_not_b32 s2, s2
	v_cvt_f32_u32_e32 v1, s6
	v_rcp_iflag_f32_e32 v1, v1
	s_waitcnt_depctr 0xfff
	v_mul_f32_e32 v1, 0x4f7ffffe, v1
	s_delay_alu instid0(VALU_DEP_1) | instskip(NEXT) | instid1(VALU_DEP_1)
	v_cvt_u32_f32_e32 v1, v1
	v_readfirstlane_b32 s3, v1
	v_lshl_add_u32 v1, v55, 3, v54
	s_delay_alu instid0(VALU_DEP_2) | instskip(NEXT) | instid1(VALU_DEP_1)
	s_mul_i32 s2, s2, s3
	v_and_b32_e32 v7, 63, v1
	s_mul_hi_u32 s2, s3, s2
	v_lshrrev_b32_e32 v56, 6, v1
	s_add_i32 s3, s3, s2
	s_delay_alu instid0(SALU_CYCLE_1) | instskip(NEXT) | instid1(SALU_CYCLE_1)
	s_mul_hi_u32 s2, s14, s3
	s_mul_i32 s3, s2, s6
	s_add_i32 s7, s2, 1
	s_sub_i32 s3, s14, s3
	s_delay_alu instid0(SALU_CYCLE_1)
	s_sub_i32 s19, s3, s6
	s_cmp_ge_u32 s3, s6
	s_cselect_b32 s2, s7, s2
	s_cselect_b32 s3, s19, s3
	s_add_i32 s7, s2, 1
	s_cmp_ge_u32 s3, s6
	s_cselect_b32 s3, s7, s2
	s_delay_alu instid0(SALU_CYCLE_1) | instskip(SKIP_2) | instid1(SALU_CYCLE_1)
	s_mul_i32 s2, s3, s6
	s_load_b64 s[6:7], s[4:5], 0x0
	s_sub_i32 s2, s14, s2
	s_lshl_b32 s14, s2, 6
	v_cmp_gt_i32_e64 s2, s18, v56
	v_or_b32_e32 v0, s14, v7
	s_delay_alu instid0(VALU_DEP_1) | instskip(SKIP_1) | instid1(VALU_DEP_4)
	v_cmp_gt_i32_e32 vcc_lo, s16, v0
	v_ashrrev_i32_e32 v1, 31, v0
	s_and_b32 s2, s2, vcc_lo
	s_delay_alu instid0(SALU_CYCLE_1) | instskip(NEXT) | instid1(SALU_CYCLE_1)
	s_and_b32 s2, s24, s2
	s_and_saveexec_b32 s4, s2
	s_cbranch_execz .LBB42_9
; %bb.8:
	v_mad_i64_i32 v[2:3], null, s8, v56, 0
	v_lshlrev_b64 v[4:5], 2, v[0:1]
	s_delay_alu instid0(VALU_DEP_2) | instskip(NEXT) | instid1(VALU_DEP_1)
	v_lshlrev_b64 v[2:3], 2, v[2:3]
	v_add_co_u32 v2, s2, s20, v2
	s_delay_alu instid0(VALU_DEP_1) | instskip(NEXT) | instid1(VALU_DEP_2)
	v_add_co_ci_u32_e64 v3, s2, s21, v3, s2
	v_add_co_u32 v2, s2, v2, v4
	s_delay_alu instid0(VALU_DEP_1)
	v_add_co_ci_u32_e64 v3, s2, v3, v5, s2
	flat_load_b32 v2, v[2:3]
	s_waitcnt vmcnt(0) lgkmcnt(0)
	v_mul_f32_e32 v9, s23, v2
.LBB42_9:
	s_or_b32 exec_lo, exec_lo, s4
	s_load_b32 s25, s[0:1], 0x38
	s_add_i32 s26, s18, -1
	s_lshl_b32 s19, s3, 7
	v_min_i32_e32 v2, s26, v56
	v_cmp_le_i32_e64 s4, s18, v56
	s_xor_b32 s27, s24, -1
	s_waitcnt lgkmcnt(0)
	s_delay_alu instid0(VALU_DEP_2) | instskip(SKIP_1) | instid1(VALU_DEP_1)
	v_mad_i64_i32 v[3:4], null, s25, v2, 0
	v_or_b32_e32 v2, s19, v7
	v_cmp_le_i32_e64 s2, s17, v2
	s_delay_alu instid0(VALU_DEP_3) | instskip(NEXT) | instid1(VALU_DEP_2)
	v_lshlrev_b64 v[3:4], 2, v[3:4]
	s_or_b32 s5, s4, s2
	s_delay_alu instid0(VALU_DEP_1) | instskip(NEXT) | instid1(VALU_DEP_1)
	v_add_co_u32 v5, s3, s12, v3
	v_add_co_ci_u32_e64 v6, s3, s13, v4, s3
	v_ashrrev_i32_e32 v3, 31, v2
	s_or_b32 s3, s5, s27
	s_delay_alu instid0(SALU_CYCLE_1) | instskip(NEXT) | instid1(SALU_CYCLE_1)
	s_xor_b32 s3, s3, -1
	s_and_saveexec_b32 s5, s3
	s_cbranch_execz .LBB42_11
; %bb.10:
	v_lshlrev_b64 v[10:11], 2, v[2:3]
	s_delay_alu instid0(VALU_DEP_1) | instskip(NEXT) | instid1(VALU_DEP_1)
	v_add_co_u32 v10, s3, v5, v10
	v_add_co_ci_u32_e64 v11, s3, v6, v11, s3
	flat_load_b32 v4, v[10:11]
	s_waitcnt vmcnt(0) lgkmcnt(0)
	v_mul_f32_e32 v8, s23, v4
.LBB42_11:
	s_or_b32 exec_lo, exec_lo, s5
	v_or_b32_e32 v4, 64, v2
	v_mov_b32_e32 v10, 0
	s_delay_alu instid0(VALU_DEP_2) | instskip(SKIP_1) | instid1(VALU_DEP_2)
	v_cmp_le_i32_e64 s3, s17, v4
	v_mov_b32_e32 v4, 0
	s_or_b32 s4, s4, s3
	s_delay_alu instid0(SALU_CYCLE_1) | instskip(NEXT) | instid1(SALU_CYCLE_1)
	s_or_b32 s4, s4, s27
	s_xor_b32 s4, s4, -1
	s_delay_alu instid0(SALU_CYCLE_1)
	s_and_saveexec_b32 s5, s4
	s_cbranch_execz .LBB42_13
; %bb.12:
	v_lshlrev_b64 v[10:11], 2, v[2:3]
	s_delay_alu instid0(VALU_DEP_1) | instskip(NEXT) | instid1(VALU_DEP_1)
	v_add_co_u32 v5, s4, v5, v10
	v_add_co_ci_u32_e64 v6, s4, v6, v11, s4
	flat_load_b32 v5, v[5:6] offset:256
	s_waitcnt vmcnt(0) lgkmcnt(0)
	v_mul_f32_e32 v10, s23, v5
.LBB42_13:
	s_or_b32 exec_lo, exec_lo, s5
	v_add_nc_u32_e32 v5, 4, v56
	s_delay_alu instid0(VALU_DEP_1) | instskip(NEXT) | instid1(VALU_DEP_1)
	v_cmp_gt_i32_e64 s4, s18, v5
	s_and_b32 s4, vcc_lo, s4
	s_delay_alu instid0(SALU_CYCLE_1) | instskip(NEXT) | instid1(SALU_CYCLE_1)
	s_and_b32 s4, s24, s4
	s_and_saveexec_b32 s5, s4
	s_cbranch_execz .LBB42_15
; %bb.14:
	v_mad_u64_u32 v[11:12], null, s8, v5, 0
	s_delay_alu instid0(VALU_DEP_1) | instskip(NEXT) | instid1(VALU_DEP_1)
	v_mov_b32_e32 v4, v12
	v_mad_u64_u32 v[12:13], null, s9, v5, v[4:5]
	v_lshlrev_b64 v[13:14], 2, v[0:1]
	s_delay_alu instid0(VALU_DEP_2) | instskip(NEXT) | instid1(VALU_DEP_1)
	v_lshlrev_b64 v[11:12], 2, v[11:12]
	v_add_co_u32 v4, s4, s20, v11
	s_delay_alu instid0(VALU_DEP_1) | instskip(NEXT) | instid1(VALU_DEP_2)
	v_add_co_ci_u32_e64 v6, s4, s21, v12, s4
	v_add_co_u32 v11, s4, v4, v13
	s_delay_alu instid0(VALU_DEP_1)
	v_add_co_ci_u32_e64 v12, s4, v6, v14, s4
	flat_load_b32 v4, v[11:12]
	s_waitcnt vmcnt(0) lgkmcnt(0)
	v_mul_f32_e32 v4, s23, v4
.LBB42_15:
	s_or_b32 exec_lo, exec_lo, s5
	v_min_i32_e32 v6, s26, v5
	v_cmp_le_i32_e64 s4, s18, v5
	v_mov_b32_e32 v5, 0
	s_delay_alu instid0(VALU_DEP_3) | instskip(SKIP_1) | instid1(VALU_DEP_4)
	v_mad_i64_i32 v[11:12], null, s25, v6, 0
	v_mov_b32_e32 v6, 0
	s_or_b32 s28, s2, s4
	s_delay_alu instid0(VALU_DEP_2) | instskip(NEXT) | instid1(VALU_DEP_1)
	v_lshlrev_b64 v[11:12], 2, v[11:12]
	v_add_co_u32 v11, s5, s12, v11
	s_delay_alu instid0(VALU_DEP_1) | instskip(SKIP_1) | instid1(SALU_CYCLE_1)
	v_add_co_ci_u32_e64 v12, s5, s13, v12, s5
	s_or_b32 s5, s28, s27
	s_xor_b32 s5, s5, -1
	s_delay_alu instid0(SALU_CYCLE_1)
	s_and_saveexec_b32 s28, s5
	s_cbranch_execz .LBB42_17
; %bb.16:
	v_lshlrev_b64 v[13:14], 2, v[2:3]
	s_delay_alu instid0(VALU_DEP_1) | instskip(NEXT) | instid1(VALU_DEP_1)
	v_add_co_u32 v13, s5, v11, v13
	v_add_co_ci_u32_e64 v14, s5, v12, v14, s5
	flat_load_b32 v6, v[13:14]
	s_waitcnt vmcnt(0) lgkmcnt(0)
	v_mul_f32_e32 v6, s23, v6
.LBB42_17:
	s_or_b32 exec_lo, exec_lo, s28
	s_or_b32 s4, s3, s4
	s_delay_alu instid0(SALU_CYCLE_1) | instskip(NEXT) | instid1(SALU_CYCLE_1)
	s_or_b32 s4, s4, s27
	s_xor_b32 s4, s4, -1
	s_delay_alu instid0(SALU_CYCLE_1)
	s_and_saveexec_b32 s5, s4
	s_cbranch_execz .LBB42_19
; %bb.18:
	v_lshlrev_b64 v[13:14], 2, v[2:3]
	s_delay_alu instid0(VALU_DEP_1) | instskip(NEXT) | instid1(VALU_DEP_1)
	v_add_co_u32 v11, s4, v11, v13
	v_add_co_ci_u32_e64 v12, s4, v12, v14, s4
	flat_load_b32 v5, v[11:12] offset:256
	s_waitcnt vmcnt(0) lgkmcnt(0)
	v_mul_f32_e32 v5, s23, v5
.LBB42_19:
	s_or_b32 exec_lo, exec_lo, s5
	v_lshlrev_b32_e32 v11, 2, v56
	v_lshlrev_b32_e32 v57, 4, v55
	;; [unrolled: 1-line block ×3, first 2 shown]
	s_mov_b32 s28, 0
	s_cmp_lt_i32 s18, 9
	v_lshl_add_u32 v59, v7, 4, v11
	ds_store_b32 v59, v9 offset:4096
	ds_store_2addr_stride64_b32 v59, v8, v10 offset1:4
	s_waitcnt lgkmcnt(0)
	s_barrier
	buffer_gl0_inv
	ds_load_b128 v[7:10], v57
	ds_load_b128 v[11:14], v58 offset:4096
	ds_load_b128 v[15:18], v58 offset:4224
	ds_load_b128 v[19:22], v58 offset:4352
	ds_load_b128 v[23:26], v58 offset:4480
	ds_load_b128 v[27:30], v58 offset:4608
	ds_load_b128 v[31:34], v58 offset:4736
	ds_load_b128 v[35:38], v58 offset:4864
	ds_load_b128 v[39:42], v58 offset:4992
	ds_load_b128 v[43:46], v57 offset:512
	ds_load_b128 v[47:50], v57 offset:1024
	ds_load_b128 v[60:63], v57 offset:1536
	ds_store_b32 v59, v4 offset:5120
	ds_store_2addr_stride64_b32 v59, v6, v5 offset0:8 offset1:12
	s_waitcnt lgkmcnt(0)
	s_barrier
	buffer_gl0_inv
	v_max_f32_e32 v7, v7, v7
	v_dual_max_f32 v11, v11, v11 :: v_dual_max_f32 v12, v12, v12
	v_dual_max_f32 v8, v8, v8 :: v_dual_max_f32 v15, v15, v15
	;; [unrolled: 1-line block ×8, first 2 shown]
	v_dual_min_f32 v51, v11, v7 :: v_dual_min_f32 v52, v12, v8
	v_dual_min_f32 v53, v15, v7 :: v_dual_min_f32 v64, v16, v8
	v_dual_min_f32 v65, v19, v7 :: v_dual_min_f32 v66, v20, v8
	v_dual_min_f32 v67, v23, v7 :: v_dual_min_f32 v68, v24, v8
	v_dual_min_f32 v69, v27, v7 :: v_dual_max_f32 v32, v32, v32
	v_dual_min_f32 v70, v28, v8 :: v_dual_min_f32 v71, v31, v7
	v_dual_min_f32 v73, v35, v7 :: v_dual_min_f32 v74, v36, v8
	v_dual_min_f32 v7, v39, v7 :: v_dual_max_f32 v44, v44, v44
	v_max_f32_e32 v43, v43, v43
	v_dual_max_f32 v47, v47, v47 :: v_dual_min_f32 v72, v32, v8
	v_dual_min_f32 v8, v40, v8 :: v_dual_max_f32 v9, v9, v9
	s_delay_alu instid0(VALU_DEP_4) | instskip(NEXT) | instid1(VALU_DEP_4)
	v_min_f32_e32 v76, v12, v44
	v_dual_max_f32 v10, v10, v10 :: v_dual_min_f32 v75, v11, v43
	v_dual_max_f32 v14, v14, v14 :: v_dual_max_f32 v13, v13, v13
	v_dual_min_f32 v78, v16, v44 :: v_dual_min_f32 v77, v15, v43
	v_dual_max_f32 v18, v18, v18 :: v_dual_max_f32 v17, v17, v17
	v_dual_min_f32 v80, v20, v44 :: v_dual_min_f32 v79, v19, v43
	;; [unrolled: 2-line block ×5, first 2 shown]
	v_dual_max_f32 v34, v34, v34 :: v_dual_min_f32 v87, v35, v43
	v_dual_min_f32 v88, v36, v44 :: v_dual_min_f32 v43, v39, v43
	v_max_f32_e32 v48, v48, v48
	v_dual_min_f32 v44, v40, v44 :: v_dual_min_f32 v91, v19, v47
	v_dual_max_f32 v60, v60, v60 :: v_dual_min_f32 v89, v11, v47
	v_dual_max_f32 v46, v46, v46 :: v_dual_max_f32 v41, v41, v41
	v_min_f32_e32 v90, v15, v47
	v_dual_min_f32 v93, v23, v47 :: v_dual_max_f32 v100, v62, v62
	v_dual_max_f32 v49, v49, v49 :: v_dual_min_f32 v126, v27, v47
	v_dual_max_f32 v61, v61, v61 :: v_dual_min_f32 v128, v35, v47
	v_dual_min_f32 v127, v31, v47 :: v_dual_min_f32 v94, v16, v48
	v_dual_min_f32 v47, v39, v47 :: v_dual_min_f32 v130, v28, v48
	v_min_f32_e32 v11, v11, v60
	s_delay_alu instid0(VALU_DEP_4)
	v_dual_min_f32 v15, v15, v60 :: v_dual_min_f32 v16, v16, v61
	v_min_f32_e32 v19, v19, v60
	v_min_f32_e32 v23, v23, v60
	v_dual_min_f32 v27, v27, v60 :: v_dual_min_f32 v28, v28, v61
	v_min_f32_e32 v31, v31, v60
	v_dual_min_f32 v35, v35, v60 :: v_dual_min_f32 v62, v13, v9
	v_min_f32_e32 v39, v39, v60
	v_dual_min_f32 v132, v36, v48 :: v_dual_add_f32 v51, 0, v51
	v_add_f32_e32 v52, 0, v52
	v_dual_min_f32 v60, v14, v10 :: v_dual_max_f32 v117, v63, v63
	v_min_f32_e32 v92, v12, v48
	s_delay_alu instid0(VALU_DEP_4)
	v_dual_min_f32 v95, v20, v48 :: v_dual_add_f32 v124, v51, v62
	v_min_f32_e32 v129, v24, v48
	v_min_f32_e32 v131, v32, v48
	v_dual_min_f32 v48, v40, v48 :: v_dual_add_f32 v53, 0, v53
	v_min_f32_e32 v12, v12, v61
	v_min_f32_e32 v20, v20, v61
	;; [unrolled: 1-line block ×4, first 2 shown]
	v_dual_min_f32 v36, v36, v61 :: v_dual_add_f32 v51, 0, v64
	v_dual_min_f32 v40, v40, v61 :: v_dual_add_f32 v61, 0, v66
	v_dual_add_f32 v125, v52, v60 :: v_dual_min_f32 v62, v22, v10
	v_dual_min_f32 v52, v18, v10 :: v_dual_max_f32 v33, v33, v33
	v_max_f32_e32 v38, v38, v38
	v_min_f32_e32 v60, v17, v9
	v_dual_add_f32 v63, 0, v65 :: v_dual_min_f32 v66, v26, v10
	v_dual_min_f32 v64, v21, v9 :: v_dual_add_f32 v65, 0, v68
	v_dual_add_f32 v122, v51, v52 :: v_dual_add_f32 v51, 0, v67
	v_min_f32_e32 v52, v25, v9
	v_dual_max_f32 v37, v37, v37 :: v_dual_max_f32 v42, v42, v42
	v_dual_add_f32 v123, v53, v60 :: v_dual_min_f32 v60, v30, v10
	v_dual_add_f32 v120, v61, v62 :: v_dual_add_f32 v121, v63, v64
	v_dual_add_f32 v118, v65, v66 :: v_dual_add_f32 v61, 0, v69
	v_dual_add_f32 v53, 0, v70 :: v_dual_min_f32 v62, v29, v9
	v_add_f32_e32 v65, 0, v71
	v_dual_add_f32 v63, 0, v72 :: v_dual_min_f32 v64, v34, v10
	v_dual_add_f32 v119, v51, v52 :: v_dual_min_f32 v66, v33, v9
	v_dual_max_f32 v45, v45, v45 :: v_dual_max_f32 v50, v50, v50
	v_dual_add_f32 v60, v53, v60 :: v_dual_add_f32 v51, 0, v74
	v_dual_add_f32 v61, v61, v62 :: v_dual_add_f32 v8, 0, v8
	s_delay_alu instid0(VALU_DEP_4) | instskip(SKIP_4) | instid1(VALU_DEP_4)
	v_dual_add_f32 v63, v63, v64 :: v_dual_add_f32 v62, v65, v66
	v_dual_add_f32 v53, 0, v73 :: v_dual_min_f32 v52, v38, v10
	v_dual_min_f32 v65, v37, v9 :: v_dual_min_f32 v10, v42, v10
	v_add_f32_e32 v7, 0, v7
	v_dual_min_f32 v9, v41, v9 :: v_dual_add_f32 v66, 0, v76
	v_dual_min_f32 v67, v14, v46 :: v_dual_add_f32 v64, v51, v52
	s_delay_alu instid0(VALU_DEP_4) | instskip(NEXT) | instid1(VALU_DEP_3)
	v_add_f32_e32 v65, v53, v65
	v_dual_add_f32 v115, v8, v10 :: v_dual_add_f32 v116, v7, v9
	s_delay_alu instid0(VALU_DEP_3) | instskip(SKIP_4) | instid1(VALU_DEP_4)
	v_dual_add_f32 v113, v66, v67 :: v_dual_min_f32 v8, v13, v45
	v_dual_add_f32 v7, 0, v75 :: v_dual_min_f32 v52, v17, v45
	;; [unrolled: 1-line block ×3, first 2 shown]
	v_dual_min_f32 v10, v18, v46 :: v_dual_add_f32 v51, 0, v77
	v_dual_min_f32 v66, v22, v46 :: v_dual_add_f32 v53, 0, v80
	v_dual_add_f32 v67, 0, v79 :: v_dual_add_f32 v114, v7, v8
	s_delay_alu instid0(VALU_DEP_3) | instskip(SKIP_1) | instid1(VALU_DEP_3)
	v_dual_add_f32 v111, v9, v10 :: v_dual_add_f32 v112, v51, v52
	v_dual_add_f32 v7, 0, v82 :: v_dual_min_f32 v10, v25, v45
	v_dual_add_f32 v109, v67, v68 :: v_dual_min_f32 v8, v26, v46
	v_dual_add_f32 v110, v53, v66 :: v_dual_add_f32 v9, 0, v81
	v_dual_min_f32 v52, v30, v46 :: v_dual_add_f32 v51, 0, v84
	v_dual_min_f32 v66, v29, v45 :: v_dual_add_f32 v53, 0, v83
	v_min_f32_e32 v68, v34, v46
	v_add_f32_e32 v67, 0, v86
	v_dual_add_f32 v107, v7, v8 :: v_dual_add_f32 v108, v9, v10
	s_delay_alu instid0(VALU_DEP_4) | instskip(SKIP_1) | instid1(VALU_DEP_4)
	v_dual_add_f32 v105, v51, v52 :: v_dual_add_f32 v106, v53, v66
	v_dual_add_f32 v7, 0, v85 :: v_dual_add_f32 v44, 0, v44
	v_dual_min_f32 v8, v33, v45 :: v_dual_add_f32 v103, v67, v68
	v_dual_min_f32 v10, v38, v46 :: v_dual_add_f32 v9, 0, v88
	;; [unrolled: 1-line block ×4, first 2 shown]
	s_delay_alu instid0(VALU_DEP_4) | instskip(NEXT) | instid1(VALU_DEP_3)
	v_dual_add_f32 v104, v7, v8 :: v_dual_min_f32 v45, v41, v45
	v_dual_add_f32 v102, v51, v52 :: v_dual_add_f32 v101, v9, v10
	s_delay_alu instid0(VALU_DEP_3) | instskip(NEXT) | instid1(VALU_DEP_3)
	v_dual_add_f32 v99, v44, v46 :: v_dual_min_f32 v10, v13, v49
	v_dual_add_f32 v98, v43, v45 :: v_dual_add_f32 v7, 0, v92
	v_dual_min_f32 v8, v14, v50 :: v_dual_add_f32 v9, 0, v89
	v_min_f32_e32 v44, v18, v50
	v_dual_add_f32 v43, 0, v94 :: v_dual_min_f32 v46, v17, v49
	v_add_f32_e32 v45, 0, v90
	v_dual_add_f32 v51, 0, v95 :: v_dual_min_f32 v52, v22, v50
	v_dual_add_f32 v97, v7, v8 :: v_dual_add_f32 v96, v9, v10
	s_delay_alu instid0(VALU_DEP_3) | instskip(NEXT) | instid1(VALU_DEP_3)
	v_dual_add_f32 v94, v43, v44 :: v_dual_add_f32 v95, v45, v46
	v_dual_add_f32 v92, v51, v52 :: v_dual_add_f32 v7, 0, v91
	v_min_f32_e32 v8, v21, v49
	v_dual_add_f32 v9, 0, v129 :: v_dual_min_f32 v10, v26, v50
	v_dual_add_f32 v43, 0, v93 :: v_dual_min_f32 v46, v30, v50
	v_dual_min_f32 v44, v25, v49 :: v_dual_add_f32 v45, 0, v130
	v_dual_add_f32 v51, 0, v126 :: v_dual_min_f32 v52, v29, v49
	s_delay_alu instid0(VALU_DEP_4) | instskip(NEXT) | instid1(VALU_DEP_3)
	v_dual_add_f32 v93, v7, v8 :: v_dual_add_f32 v90, v9, v10
	v_dual_add_f32 v91, v43, v44 :: v_dual_min_f32 v8, v34, v50
	s_delay_alu instid0(VALU_DEP_3)
	v_dual_add_f32 v89, v45, v46 :: v_dual_add_f32 v88, v51, v52
	v_dual_add_f32 v7, 0, v131 :: v_dual_min_f32 v10, v33, v49
	v_dual_add_f32 v9, 0, v127 :: v_dual_min_f32 v44, v38, v50
	;; [unrolled: 1-line block ×4, first 2 shown]
	v_add_f32_e32 v48, 0, v48
	s_delay_alu instid0(VALU_DEP_4) | instskip(NEXT) | instid1(VALU_DEP_4)
	v_dual_add_f32 v87, v7, v8 :: v_dual_add_f32 v86, v9, v10
	v_dual_add_f32 v84, v43, v44 :: v_dual_add_f32 v7, 0, v47
	s_delay_alu instid0(VALU_DEP_4) | instskip(NEXT) | instid1(VALU_DEP_4)
	v_add_f32_e32 v85, v45, v46
	v_dual_add_f32 v82, v48, v50 :: v_dual_add_f32 v9, 0, v12
	v_dual_add_f32 v12, 0, v19 :: v_dual_add_f32 v19, 0, v24
	v_dual_add_f32 v24, 0, v31 :: v_dual_min_f32 v31, v41, v49
	v_dual_add_f32 v8, 0, v11 :: v_dual_add_f32 v11, 0, v16
	v_dual_add_f32 v16, 0, v23 :: v_dual_add_f32 v23, 0, v28
	v_add_f32_e32 v28, 0, v35
	s_delay_alu instid0(VALU_DEP_4)
	v_dual_min_f32 v14, v14, v117 :: v_dual_add_f32 v83, v7, v31
	v_dual_min_f32 v7, v13, v100 :: v_dual_add_f32 v10, 0, v15
	v_dual_add_f32 v15, 0, v20 :: v_dual_add_f32 v20, 0, v27
	v_add_f32_e32 v27, 0, v32
	v_dual_add_f32 v32, 0, v36 :: v_dual_add_f32 v35, 0, v39
	v_add_f32_e32 v36, 0, v40
	v_dual_add_f32 v80, v9, v14 :: v_dual_add_f32 v81, v8, v7
	v_min_f32_e32 v9, v18, v117
	v_dual_min_f32 v13, v17, v100 :: v_dual_min_f32 v14, v22, v117
	v_dual_min_f32 v7, v21, v100 :: v_dual_min_f32 v8, v26, v117
	s_delay_alu instid0(VALU_DEP_3) | instskip(NEXT) | instid1(VALU_DEP_3)
	v_add_f32_e32 v79, v11, v9
	v_add_f32_e32 v78, v10, v13
	v_min_f32_e32 v10, v29, v100
	s_delay_alu instid0(VALU_DEP_4) | instskip(SKIP_4) | instid1(VALU_DEP_4)
	v_dual_add_f32 v76, v15, v14 :: v_dual_add_f32 v77, v12, v7
	v_min_f32_e32 v7, v25, v100
	v_dual_min_f32 v9, v30, v117 :: v_dual_add_f32 v74, v19, v8
	v_min_f32_e32 v8, v34, v117
	v_add_f32_e32 v72, v20, v10
	v_add_f32_e32 v75, v16, v7
	s_delay_alu instid0(VALU_DEP_4) | instskip(SKIP_4) | instid1(VALU_DEP_4)
	v_add_f32_e32 v73, v23, v9
	v_min_f32_e32 v7, v33, v100
	v_add_f32_e32 v70, v27, v8
	v_dual_min_f32 v8, v38, v117 :: v_dual_min_f32 v9, v37, v100
	v_dual_min_f32 v10, v42, v117 :: v_dual_min_f32 v11, v41, v100
	v_add_f32_e32 v71, v24, v7
	s_delay_alu instid0(VALU_DEP_3) | instskip(NEXT) | instid1(VALU_DEP_3)
	v_add_f32_e32 v68, v28, v9
	v_dual_add_f32 v69, v32, v8 :: v_dual_add_f32 v66, v35, v11
	s_delay_alu instid0(VALU_DEP_4)
	v_add_f32_e32 v67, v36, v10
	s_cbranch_scc1 .LBB42_34
; %bb.20:
	v_add_nc_u32_e32 v6, 12, v56
	v_add_nc_u32_e32 v8, 8, v56
	v_lshlrev_b64 v[0:1], 2, v[0:1]
	v_lshlrev_b64 v[52:53], 2, v[2:3]
	v_or_b32_e32 v100, 0x1000, v59
	v_mad_i64_i32 v[4:5], null, v6, s8, 0
	v_mad_i64_i32 v[6:7], null, v8, s8, 0
	v_add_co_u32 v128, s4, s20, v0
	v_add_nc_u32_e32 v117, 0x1000, v58
	v_add_nc_u32_e32 v126, 0x1400, v59
	v_lshlrev_b64 v[48:49], 2, v[4:5]
	v_or_b32_e32 v127, 0x800, v59
	v_lshlrev_b64 v[50:51], 2, v[6:7]
	v_add_co_ci_u32_e64 v129, s4, s21, v1, s4
	v_lshl_add_u32 v130, v54, 4, 0x1400
	v_lshl_add_u32 v131, v55, 4, 0x800
	s_add_i32 s20, s18, -8
	s_lshl_b64 s[8:9], s[8:9], 5
	s_branch .LBB42_22
.LBB42_21:                              ;   in Loop: Header=BB42_22 Depth=1
	s_or_b32 exec_lo, exec_lo, s5
	v_dual_add_f32 v36, v124, v36 :: v_dual_add_f32 v41, v123, v41
	v_dual_add_f32 v40, v125, v40 :: v_dual_add_f32 v33, v119, v33
	;; [unrolled: 1-line block ×25, first 2 shown]
	ds_load_b128 v[20:23], v57
	ds_load_b128 v[28:31], v117
	v_dual_add_f32 v113, v12, v187 :: v_dual_add_f32 v114, v9, v178
	v_dual_add_f32 v80, v80, v215 :: v_dual_add_f32 v77, v77, v10
	;; [unrolled: 1-line block ×3, first 2 shown]
	ds_load_b128 v[8:11], v117 offset:128
	v_dual_add_f32 v32, v120, v32 :: v_dual_add_f32 v37, v118, v37
	v_dual_add_f32 v102, v102, v145 :: v_dual_add_f32 v97, v97, v148
	;; [unrolled: 1-line block ×5, first 2 shown]
	v_add_f32_e32 v70, v70, v172
	v_add_f32_e32 v46, v67, v46
	;; [unrolled: 1-line block ×3, first 2 shown]
	v_dual_add_f32 v105, v37, v39 :: v_dual_add_f32 v108, v16, v18
	v_dual_add_f32 v115, v17, v188 :: v_dual_add_f32 v60, v60, v181
	;; [unrolled: 1-line block ×7, first 2 shown]
	s_waitcnt lgkmcnt(2)
	v_dual_add_f32 v76, v76, v19 :: v_dual_max_f32 v21, v21, v21
	v_dual_add_f32 v74, v74, v26 :: v_dual_add_f32 v73, v73, v27
	v_dual_add_f32 v72, v72, v2 :: v_dual_add_f32 v71, v71, v3
	;; [unrolled: 1-line block ×4, first 2 shown]
	ds_load_b128 v[0:3], v117 offset:256
	ds_load_b128 v[4:7], v117 offset:384
	;; [unrolled: 1-line block ×5, first 2 shown]
	s_waitcnt lgkmcnt(6)
	v_dual_max_f32 v20, v20, v20 :: v_dual_max_f32 v29, v29, v29
	s_waitcnt lgkmcnt(5)
	v_dual_max_f32 v28, v28, v28 :: v_dual_max_f32 v9, v9, v9
	v_dual_add_f32 v98, v99, v146 :: v_dual_add_f32 v93, v93, v151
	v_dual_add_f32 v99, v32, v35 :: v_dual_add_f32 v124, v46, v177
	s_delay_alu instid0(VALU_DEP_3)
	v_min_f32_e32 v135, v28, v20
	ds_load_b128 v[32:35], v117 offset:768
	ds_load_b128 v[36:39], v117 offset:896
	v_max_f32_e32 v8, v8, v8
	v_dual_add_f32 v118, v45, v189 :: v_dual_add_f32 v63, v63, v191
	v_dual_add_f32 v67, v67, v135 :: v_dual_min_f32 v136, v29, v21
	s_delay_alu instid0(VALU_DEP_3) | instskip(SKIP_2) | instid1(VALU_DEP_3)
	v_min_f32_e32 v137, v8, v20
	s_waitcnt lgkmcnt(6)
	v_dual_max_f32 v0, v0, v0 :: v_dual_max_f32 v1, v1, v1
	v_dual_min_f32 v135, v9, v21 :: v_dual_add_f32 v66, v66, v136
	s_waitcnt lgkmcnt(5)
	v_dual_max_f32 v4, v4, v4 :: v_dual_max_f32 v5, v5, v5
	s_delay_alu instid0(VALU_DEP_3) | instskip(NEXT) | instid1(VALU_DEP_3)
	v_min_f32_e32 v136, v0, v20
	v_dual_add_f32 v84, v84, v137 :: v_dual_add_f32 v83, v83, v135
	v_min_f32_e32 v135, v1, v21
	s_delay_alu instid0(VALU_DEP_4) | instskip(NEXT) | instid1(VALU_DEP_4)
	v_min_f32_e32 v137, v4, v20
	v_add_f32_e32 v101, v101, v136
	s_waitcnt lgkmcnt(4)
	v_max_f32_e32 v12, v12, v12
	v_dual_min_f32 v136, v5, v21 :: v_dual_add_f32 v99, v99, v135
	s_waitcnt lgkmcnt(3)
	v_dual_max_f32 v13, v13, v13 :: v_dual_max_f32 v16, v16, v16
	s_waitcnt lgkmcnt(1)
	v_dual_max_f32 v17, v17, v17 :: v_dual_max_f32 v32, v32, v32
	v_dual_add_f32 v106, v106, v137 :: v_dual_min_f32 v135, v12, v20
	v_add_f32_e32 v105, v105, v136
	v_min_f32_e32 v136, v13, v21
	s_waitcnt lgkmcnt(0)
	v_dual_min_f32 v137, v17, v21 :: v_dual_max_f32 v36, v36, v36
	v_dual_max_f32 v25, v25, v25 :: v_dual_add_f32 v108, v108, v135
	s_delay_alu instid0(VALU_DEP_3) | instskip(NEXT) | instid1(VALU_DEP_3)
	v_add_f32_e32 v107, v107, v136
	v_dual_min_f32 v136, v32, v20 :: v_dual_add_f32 v109, v109, v137
	v_min_f32_e32 v135, v16, v20
	v_dual_min_f32 v20, v36, v20 :: v_dual_max_f32 v37, v37, v37
	s_delay_alu instid0(VALU_DEP_3) | instskip(SKIP_1) | instid1(VALU_DEP_4)
	v_add_f32_e32 v112, v112, v136
	v_min_f32_e32 v136, v29, v25
	v_dual_max_f32 v33, v33, v33 :: v_dual_add_f32 v110, v110, v135
	v_max_f32_e32 v24, v24, v24
	v_add_f32_e32 v20, v114, v20
	ds_load_b128 v[40:43], v57 offset:1024
	ds_load_b128 v[44:47], v57 offset:1536
	v_min_f32_e32 v135, v33, v21
	v_dual_min_f32 v21, v37, v21 :: v_dual_min_f32 v114, v8, v24
	v_dual_add_f32 v104, v104, v143 :: v_dual_add_f32 v103, v103, v144
	s_delay_alu instid0(VALU_DEP_3) | instskip(SKIP_1) | instid1(VALU_DEP_4)
	v_add_f32_e32 v111, v111, v135
	v_min_f32_e32 v135, v28, v24
	v_add_f32_e32 v21, v113, v21
	v_add_f32_e32 v113, v115, v136
	;; [unrolled: 1-line block ×3, first 2 shown]
	v_dual_min_f32 v114, v0, v24 :: v_dual_add_f32 v61, v61, v190
	v_add_f32_e32 v64, v64, v183
	v_dual_add_f32 v62, v62, v182 :: v_dual_add_f32 v65, v65, v192
	s_delay_alu instid0(VALU_DEP_3) | instskip(SKIP_3) | instid1(VALU_DEP_3)
	v_add_f32_e32 v138, v60, v114
	v_dual_min_f32 v60, v12, v24 :: v_dual_add_f32 v103, v103, v193
	v_add_f32_e32 v104, v104, v184
	v_dual_add_f32 v96, v96, v147 :: v_dual_add_f32 v95, v95, v149
	v_add_f32_e32 v142, v64, v60
	v_min_f32_e32 v60, v32, v24
	v_dual_add_f32 v135, v116, v135 :: v_dual_min_f32 v116, v1, v25
	s_waitcnt lgkmcnt(1)
	v_max_f32_e32 v40, v40, v40
	v_dual_add_f32 v96, v96, v195 :: v_dual_add_f32 v93, v93, v197
	v_add_f32_e32 v102, v102, v60
	v_add_f32_e32 v139, v61, v116
	v_min_f32_e32 v61, v13, v25
	v_dual_max_f32 v41, v41, v41 :: v_dual_min_f32 v60, v28, v40
	v_dual_min_f32 v119, v4, v24 :: v_dual_add_f32 v94, v94, v150
	v_add_f32_e32 v91, v91, v153
	s_delay_alu instid0(VALU_DEP_4) | instskip(NEXT) | instid1(VALU_DEP_4)
	v_add_f32_e32 v143, v65, v61
	v_dual_min_f32 v61, v33, v25 :: v_dual_add_f32 v96, v96, v60
	v_min_f32_e32 v60, v9, v41
	v_dual_min_f32 v115, v9, v25 :: v_dual_add_f32 v140, v62, v119
	v_min_f32_e32 v62, v16, v24
	v_dual_add_f32 v92, v92, v152 :: v_dual_add_f32 v87, v87, v158
	s_delay_alu instid0(VALU_DEP_3)
	v_add_f32_e32 v137, v118, v115
	v_dual_add_f32 v90, v90, v154 :: v_dual_add_f32 v89, v89, v156
	v_dual_add_f32 v98, v98, v203 :: v_dual_add_f32 v95, v95, v196
	v_dual_min_f32 v115, v5, v25 :: v_dual_add_f32 v104, v104, v62
	v_min_f32_e32 v62, v8, v40
	v_dual_add_f32 v94, v94, v205 :: v_dual_add_f32 v91, v91, v198
	v_dual_add_f32 v92, v92, v206 :: v_dual_add_f32 v89, v89, v208
	s_delay_alu instid0(VALU_DEP_4)
	v_add_f32_e32 v141, v63, v115
	v_dual_min_f32 v63, v17, v25 :: v_dual_min_f32 v24, v36, v24
	v_dual_add_f32 v144, v120, v61 :: v_dual_add_f32 v95, v95, v62
	v_min_f32_e32 v62, v1, v41
	v_dual_min_f32 v61, v29, v41 :: v_dual_add_f32 v90, v90, v207
	v_add_f32_e32 v87, v87, v209
	v_add_f32_e32 v103, v103, v63
	v_dual_min_f32 v25, v37, v25 :: v_dual_add_f32 v94, v94, v60
	v_dual_min_f32 v63, v4, v40 :: v_dual_min_f32 v60, v5, v41
	v_dual_add_f32 v92, v92, v62 :: v_dual_add_f32 v97, v97, v61
	v_min_f32_e32 v61, v0, v40
	v_dual_add_f32 v88, v88, v199 :: v_dual_add_f32 v85, v85, v201
	s_delay_alu instid0(VALU_DEP_4) | instskip(SKIP_1) | instid1(VALU_DEP_4)
	v_add_f32_e32 v90, v90, v60
	v_min_f32_e32 v60, v13, v41
	v_add_f32_e32 v93, v93, v61
	v_dual_add_f32 v91, v91, v63 :: v_dual_min_f32 v62, v16, v40
	v_min_f32_e32 v61, v12, v40
	s_waitcnt lgkmcnt(0)
	v_dual_min_f32 v63, v17, v41 :: v_dual_max_f32 v44, v44, v44
	s_delay_alu instid0(VALU_DEP_3) | instskip(NEXT) | instid1(VALU_DEP_3)
	v_dual_max_f32 v45, v45, v45 :: v_dual_add_f32 v86, v86, v62
	v_dual_add_f32 v88, v88, v61 :: v_dual_add_f32 v89, v89, v60
	v_dual_min_f32 v61, v32, v40 :: v_dual_min_f32 v60, v33, v41
	s_delay_alu instid0(VALU_DEP_4)
	v_dual_min_f32 v40, v36, v40 :: v_dual_add_f32 v87, v87, v63
	v_dual_add_f32 v82, v82, v214 :: v_dual_add_f32 v79, v79, v216
	v_dual_min_f32 v28, v28, v44 :: v_dual_min_f32 v9, v9, v45
	v_dual_min_f32 v0, v0, v44 :: v_dual_min_f32 v13, v13, v45
	;; [unrolled: 1-line block ×4, first 2 shown]
	v_dual_max_f32 v23, v23, v23 :: v_dual_max_f32 v30, v30, v30
	v_dual_max_f32 v31, v31, v31 :: v_dual_max_f32 v10, v10, v10
	v_add_f32_e32 v145, v122, v60
	v_dual_min_f32 v41, v37, v41 :: v_dual_min_f32 v8, v8, v44
	v_dual_add_f32 v9, v79, v9 :: v_dual_min_f32 v4, v4, v44
	v_dual_min_f32 v1, v1, v45 :: v_dual_min_f32 v12, v12, v44
	v_dual_add_f32 v13, v73, v13 :: v_dual_min_f32 v36, v36, v44
	v_dual_add_f32 v32, v68, v32 :: v_dual_add_f32 v33, v69, v33
	v_max_f32_e32 v22, v22, v22
	v_dual_min_f32 v44, v31, v23 :: v_dual_add_f32 v17, v70, v17
	s_delay_alu instid0(VALU_DEP_4) | instskip(SKIP_1) | instid1(VALU_DEP_3)
	v_dual_add_f32 v36, v125, v36 :: v_dual_max_f32 v11, v11, v11
	v_dual_min_f32 v29, v29, v45 :: v_dual_add_f32 v8, v78, v8
	v_add_f32_e32 v125, v66, v44
	v_dual_min_f32 v44, v10, v22 :: v_dual_min_f32 v37, v37, v45
	s_delay_alu instid0(VALU_DEP_4) | instskip(SKIP_1) | instid1(VALU_DEP_3)
	v_dual_min_f32 v60, v11, v23 :: v_dual_min_f32 v5, v5, v45
	v_dual_add_f32 v4, v75, v4 :: v_dual_min_f32 v45, v30, v22
	v_dual_add_f32 v37, v124, v37 :: v_dual_max_f32 v2, v2, v2
	v_dual_max_f32 v3, v3, v3 :: v_dual_max_f32 v6, v6, v6
	v_max_f32_e32 v7, v7, v7
	v_dual_add_f32 v85, v85, v61 :: v_dual_add_f32 v40, v123, v40
	v_add_f32_e32 v122, v83, v60
	v_dual_add_f32 v124, v67, v45 :: v_dual_add_f32 v123, v84, v44
	v_min_f32_e32 v44, v2, v22
	v_min_f32_e32 v60, v7, v23
	;; [unrolled: 1-line block ×3, first 2 shown]
	v_dual_max_f32 v15, v15, v15 :: v_dual_max_f32 v14, v14, v14
	v_dual_add_f32 v24, v121, v24 :: v_dual_add_f32 v25, v98, v25
	s_delay_alu instid0(VALU_DEP_4) | instskip(NEXT) | instid1(VALU_DEP_4)
	v_add_f32_e32 v118, v105, v60
	v_dual_add_f32 v120, v99, v45 :: v_dual_min_f32 v45, v6, v22
	s_delay_alu instid0(VALU_DEP_4) | instskip(SKIP_1) | instid1(VALU_DEP_3)
	v_dual_add_f32 v121, v101, v44 :: v_dual_min_f32 v44, v15, v23
	v_dual_max_f32 v19, v19, v19 :: v_dual_max_f32 v18, v18, v18
	v_add_f32_e32 v119, v106, v45
	v_min_f32_e32 v45, v14, v22
	v_max_f32_e32 v35, v35, v35
	v_dual_max_f32 v39, v39, v39 :: v_dual_max_f32 v38, v38, v38
	v_add_f32_e32 v60, v107, v44
	v_min_f32_e32 v44, v19, v23
	v_min_f32_e32 v62, v18, v22
	v_dual_max_f32 v34, v34, v34 :: v_dual_add_f32 v61, v108, v45
	v_min_f32_e32 v45, v35, v23
	v_dual_max_f32 v27, v27, v27 :: v_dual_max_f32 v26, v26, v26
	v_min_f32_e32 v23, v39, v23
	s_delay_alu instid0(VALU_DEP_4) | instskip(SKIP_1) | instid1(VALU_DEP_3)
	v_dual_add_f32 v63, v109, v44 :: v_dual_min_f32 v44, v34, v22
	v_min_f32_e32 v22, v38, v22
	v_dual_add_f32 v62, v110, v62 :: v_dual_add_f32 v115, v21, v23
	v_min_f32_e32 v21, v11, v27
	s_delay_alu instid0(VALU_DEP_4) | instskip(NEXT) | instid1(VALU_DEP_4)
	v_dual_add_f32 v64, v111, v45 :: v_dual_add_f32 v65, v112, v44
	v_add_f32_e32 v116, v20, v22
	s_delay_alu instid0(VALU_DEP_3) | instskip(SKIP_1) | instid1(VALU_DEP_2)
	v_dual_min_f32 v20, v10, v26 :: v_dual_add_f32 v111, v137, v21
	v_dual_min_f32 v22, v2, v26 :: v_dual_min_f32 v21, v3, v27
	v_dual_min_f32 v23, v7, v27 :: v_dual_add_f32 v112, v136, v20
	v_min_f32_e32 v20, v6, v26
	s_delay_alu instid0(VALU_DEP_3) | instskip(SKIP_1) | instid1(VALU_DEP_3)
	v_dual_add_f32 v109, v138, v22 :: v_dual_add_f32 v110, v139, v21
	v_min_f32_e32 v21, v15, v27
	v_dual_add_f32 v107, v141, v23 :: v_dual_add_f32 v108, v140, v20
	v_min_f32_e32 v20, v14, v26
	v_dual_min_f32 v22, v19, v27 :: v_dual_min_f32 v23, v18, v26
	s_delay_alu instid0(VALU_DEP_4) | instskip(NEXT) | instid1(VALU_DEP_3)
	v_add_f32_e32 v105, v143, v21
	v_dual_min_f32 v21, v35, v27 :: v_dual_add_f32 v106, v142, v20
	v_min_f32_e32 v20, v34, v26
	s_delay_alu instid0(VALU_DEP_4) | instskip(NEXT) | instid1(VALU_DEP_3)
	v_dual_add_f32 v103, v103, v22 :: v_dual_add_f32 v104, v104, v23
	v_dual_add_f32 v101, v144, v21 :: v_dual_max_f32 v22, v42, v42
	v_max_f32_e32 v21, v43, v43
	s_delay_alu instid0(VALU_DEP_4) | instskip(SKIP_2) | instid1(VALU_DEP_4)
	v_dual_min_f32 v23, v39, v27 :: v_dual_add_f32 v102, v102, v20
	v_dual_min_f32 v44, v31, v27 :: v_dual_min_f32 v45, v30, v26
	v_min_f32_e32 v26, v38, v26
	v_dual_min_f32 v20, v31, v21 :: v_dual_min_f32 v27, v30, v22
	s_delay_alu instid0(VALU_DEP_4) | instskip(NEXT) | instid1(VALU_DEP_3)
	v_add_f32_e32 v99, v25, v23
	v_dual_min_f32 v23, v11, v21 :: v_dual_add_f32 v98, v24, v26
	s_delay_alu instid0(VALU_DEP_3) | instskip(NEXT) | instid1(VALU_DEP_4)
	v_dual_add_f32 v97, v97, v20 :: v_dual_min_f32 v20, v10, v22
	v_add_f32_e32 v96, v96, v27
	v_min_f32_e32 v24, v3, v21
	s_delay_alu instid0(VALU_DEP_4) | instskip(SKIP_2) | instid1(VALU_DEP_4)
	v_dual_add_f32 v94, v94, v23 :: v_dual_min_f32 v25, v7, v21
	v_min_f32_e32 v23, v2, v22
	v_dual_add_f32 v95, v95, v20 :: v_dual_min_f32 v20, v6, v22
	v_add_f32_e32 v92, v92, v24
	s_delay_alu instid0(VALU_DEP_3) | instskip(SKIP_1) | instid1(VALU_DEP_4)
	v_dual_add_f32 v90, v90, v25 :: v_dual_add_f32 v93, v93, v23
	v_dual_min_f32 v23, v15, v21 :: v_dual_min_f32 v24, v14, v22
	v_add_f32_e32 v91, v91, v20
	v_dual_min_f32 v20, v19, v21 :: v_dual_min_f32 v25, v18, v22
	s_delay_alu instid0(VALU_DEP_3) | instskip(SKIP_1) | instid1(VALU_DEP_3)
	v_dual_add_f32 v89, v89, v23 :: v_dual_add_f32 v88, v88, v24
	v_min_f32_e32 v23, v35, v21
	v_dual_add_f32 v87, v87, v20 :: v_dual_add_f32 v86, v86, v25
	v_min_f32_e32 v20, v34, v22
	v_max_f32_e32 v24, v47, v47
	s_delay_alu instid0(VALU_DEP_4) | instskip(SKIP_3) | instid1(VALU_DEP_3)
	v_dual_add_f32 v84, v145, v23 :: v_dual_min_f32 v21, v39, v21
	v_max_f32_e32 v23, v46, v46
	v_dual_add_f32 v41, v82, v41 :: v_dual_add_f32 v28, v81, v28
	v_dual_add_f32 v1, v76, v1 :: v_dual_add_f32 v16, v71, v16
	v_dual_add_f32 v85, v85, v20 :: v_dual_min_f32 v20, v30, v23
	v_dual_min_f32 v10, v10, v23 :: v_dual_min_f32 v3, v3, v24
	v_dual_add_f32 v29, v80, v29 :: v_dual_add_f32 v0, v77, v0
	v_dual_add_f32 v5, v74, v5 :: v_dual_add_f32 v12, v72, v12
	s_delay_alu instid0(VALU_DEP_4) | instskip(NEXT) | instid1(VALU_DEP_4)
	v_dual_add_f32 v81, v28, v20 :: v_dual_min_f32 v2, v2, v23
	v_dual_add_f32 v76, v1, v3 :: v_dual_min_f32 v1, v7, v24
	v_dual_min_f32 v22, v38, v22 :: v_dual_min_f32 v25, v31, v24
	s_delay_alu instid0(VALU_DEP_3) | instskip(SKIP_1) | instid1(VALU_DEP_4)
	v_dual_add_f32 v77, v0, v2 :: v_dual_min_f32 v0, v6, v23
	v_dual_min_f32 v2, v15, v24 :: v_dual_min_f32 v3, v14, v23
	v_dual_add_f32 v74, v5, v1 :: v_dual_min_f32 v1, v19, v24
	s_delay_alu instid0(VALU_DEP_4) | instskip(NEXT) | instid1(VALU_DEP_4)
	v_dual_add_f32 v80, v29, v25 :: v_dual_min_f32 v11, v11, v24
	v_dual_add_f32 v75, v4, v0 :: v_dual_min_f32 v0, v18, v23
	s_delay_alu instid0(VALU_DEP_4) | instskip(NEXT) | instid1(VALU_DEP_4)
	v_dual_add_f32 v73, v13, v2 :: v_dual_add_f32 v72, v12, v3
	v_dual_add_f32 v70, v17, v1 :: v_dual_min_f32 v1, v35, v24
	v_dual_min_f32 v2, v34, v23 :: v_dual_min_f32 v3, v39, v24
	s_delay_alu instid0(VALU_DEP_4)
	v_dual_min_f32 v4, v38, v23 :: v_dual_add_f32 v71, v16, v0
	v_add_co_u32 v128, s4, v128, s8
	v_dual_add_f32 v113, v113, v44 :: v_dual_add_f32 v114, v135, v45
	v_dual_add_f32 v82, v41, v21 :: v_dual_add_f32 v83, v40, v22
	;; [unrolled: 1-line block ×5, first 2 shown]
	v_add_co_ci_u32_e64 v129, s4, s9, v129, s4
	s_add_i32 s28, s28, 8
	ds_store_b32 v126, v132
	ds_store_2addr_stride64_b32 v127, v134, v133 offset1:4
	s_cmp_ge_i32 s28, s20
	s_waitcnt lgkmcnt(0)
	s_barrier
	buffer_gl0_inv
	s_cbranch_scc1 .LBB42_34
.LBB42_22:                              ; =>This Inner Loop Header: Depth=1
	v_dual_mov_b32 v134, 0 :: v_dual_add_nc_u32 v133, s28, v56
	s_delay_alu instid0(VALU_DEP_1) | instskip(NEXT) | instid1(VALU_DEP_1)
	v_dual_mov_b32 v135, 0 :: v_dual_add_nc_u32 v0, 8, v133
	v_cmp_gt_i32_e64 s4, s18, v0
	s_delay_alu instid0(VALU_DEP_1) | instskip(NEXT) | instid1(SALU_CYCLE_1)
	s_and_b32 s4, vcc_lo, s4
	s_and_b32 s4, s24, s4
	s_delay_alu instid0(SALU_CYCLE_1)
	s_and_saveexec_b32 s5, s4
	s_cbranch_execz .LBB42_24
; %bb.23:                               ;   in Loop: Header=BB42_22 Depth=1
	v_add_co_u32 v1, s4, v128, v50
	s_delay_alu instid0(VALU_DEP_1)
	v_add_co_ci_u32_e64 v2, s4, v129, v51, s4
	flat_load_b32 v1, v[1:2]
	s_waitcnt vmcnt(0) lgkmcnt(0)
	v_mul_f32_e32 v135, s23, v1
.LBB42_24:                              ;   in Loop: Header=BB42_22 Depth=1
	s_or_b32 exec_lo, exec_lo, s5
	v_min_i32_e32 v3, s26, v0
	v_cmp_le_i32_e64 s4, s18, v0
	s_delay_alu instid0(VALU_DEP_2) | instskip(NEXT) | instid1(VALU_DEP_2)
	v_mad_i64_i32 v[1:2], null, v3, s25, 0
	s_or_b32 s21, s2, s4
	s_delay_alu instid0(VALU_DEP_1) | instskip(NEXT) | instid1(VALU_DEP_1)
	v_lshlrev_b64 v[0:1], 2, v[1:2]
	v_add_co_u32 v0, s5, s12, v0
	s_delay_alu instid0(VALU_DEP_1) | instskip(SKIP_1) | instid1(SALU_CYCLE_1)
	v_add_co_ci_u32_e64 v1, s5, s13, v1, s5
	s_or_b32 s5, s21, s27
	s_xor_b32 s5, s5, -1
	s_delay_alu instid0(SALU_CYCLE_1)
	s_and_saveexec_b32 s21, s5
	s_cbranch_execz .LBB42_26
; %bb.25:                               ;   in Loop: Header=BB42_22 Depth=1
	v_add_co_u32 v2, s5, v0, v52
	s_delay_alu instid0(VALU_DEP_1)
	v_add_co_ci_u32_e64 v3, s5, v1, v53, s5
	flat_load_b32 v2, v[2:3]
	s_waitcnt vmcnt(0) lgkmcnt(0)
	v_mul_f32_e32 v134, s23, v2
.LBB42_26:                              ;   in Loop: Header=BB42_22 Depth=1
	s_or_b32 exec_lo, exec_lo, s21
	s_or_b32 s4, s3, s4
	v_mov_b32_e32 v132, 0
	v_mov_b32_e32 v136, 0
	s_or_b32 s4, s4, s27
	s_delay_alu instid0(SALU_CYCLE_1) | instskip(NEXT) | instid1(SALU_CYCLE_1)
	s_xor_b32 s4, s4, -1
	s_and_saveexec_b32 s5, s4
	s_cbranch_execz .LBB42_28
; %bb.27:                               ;   in Loop: Header=BB42_22 Depth=1
	v_add_co_u32 v0, s4, v0, v52
	s_delay_alu instid0(VALU_DEP_1)
	v_add_co_ci_u32_e64 v1, s4, v1, v53, s4
	flat_load_b32 v0, v[0:1] offset:256
	s_waitcnt vmcnt(0) lgkmcnt(0)
	v_mul_f32_e32 v136, s23, v0
.LBB42_28:                              ;   in Loop: Header=BB42_22 Depth=1
	s_or_b32 exec_lo, exec_lo, s5
	ds_load_b128 v[40:43], v130
	ds_load_b128 v[36:39], v130 offset:128
	ds_load_b128 v[32:35], v130 offset:256
	;; [unrolled: 1-line block ×7, first 2 shown]
	ds_load_b128 v[44:47], v131
	ds_load_b128 v[8:11], v131 offset:512
	ds_load_b128 v[4:7], v131 offset:1024
	;; [unrolled: 1-line block ×3, first 2 shown]
	v_add_nc_u32_e32 v133, 12, v133
	ds_store_b32 v100, v135
	ds_store_2addr_stride64_b32 v59, v134, v136 offset1:4
	s_waitcnt lgkmcnt(0)
	s_barrier
	buffer_gl0_inv
	v_cmp_gt_i32_e64 s4, s18, v133
	s_delay_alu instid0(VALU_DEP_1) | instskip(NEXT) | instid1(SALU_CYCLE_1)
	s_and_b32 s4, vcc_lo, s4
	s_and_b32 s4, s24, s4
	s_delay_alu instid0(SALU_CYCLE_1)
	s_and_saveexec_b32 s5, s4
	s_cbranch_execz .LBB42_30
; %bb.29:                               ;   in Loop: Header=BB42_22 Depth=1
	v_add_co_u32 v134, s4, v128, v48
	s_delay_alu instid0(VALU_DEP_1)
	v_add_co_ci_u32_e64 v135, s4, v129, v49, s4
	flat_load_b32 v132, v[134:135]
	s_waitcnt vmcnt(0) lgkmcnt(0)
	v_mul_f32_e32 v132, s23, v132
.LBB42_30:                              ;   in Loop: Header=BB42_22 Depth=1
	s_or_b32 exec_lo, exec_lo, s5
	v_min_i32_e32 v136, s26, v133
	v_cmp_le_i32_e64 s4, s18, v133
	v_mov_b32_e32 v133, 0
	s_delay_alu instid0(VALU_DEP_3) | instskip(NEXT) | instid1(VALU_DEP_3)
	v_mad_i64_i32 v[134:135], null, v136, s25, 0
	s_or_b32 s21, s2, s4
	s_delay_alu instid0(VALU_DEP_1) | instskip(SKIP_1) | instid1(VALU_DEP_2)
	v_lshlrev_b64 v[135:136], 2, v[134:135]
	v_mov_b32_e32 v134, 0
	v_add_co_u32 v135, s5, s12, v135
	s_delay_alu instid0(VALU_DEP_1) | instskip(SKIP_1) | instid1(SALU_CYCLE_1)
	v_add_co_ci_u32_e64 v136, s5, s13, v136, s5
	s_or_b32 s5, s21, s27
	s_xor_b32 s5, s5, -1
	s_delay_alu instid0(SALU_CYCLE_1)
	s_and_saveexec_b32 s21, s5
	s_cbranch_execz .LBB42_32
; %bb.31:                               ;   in Loop: Header=BB42_22 Depth=1
	v_add_co_u32 v137, s5, v135, v52
	s_delay_alu instid0(VALU_DEP_1)
	v_add_co_ci_u32_e64 v138, s5, v136, v53, s5
	flat_load_b32 v134, v[137:138]
	s_waitcnt vmcnt(0) lgkmcnt(0)
	v_mul_f32_e32 v134, s23, v134
.LBB42_32:                              ;   in Loop: Header=BB42_22 Depth=1
	s_or_b32 exec_lo, exec_lo, s21
	v_dual_max_f32 v44, v44, v44 :: v_dual_max_f32 v45, v45, v45
	v_dual_max_f32 v161, v40, v40 :: v_dual_max_f32 v162, v41, v41
	v_max_f32_e32 v163, v36, v36
	v_dual_max_f32 v169, v24, v24 :: v_dual_max_f32 v170, v25, v25
	v_max_f32_e32 v173, v16, v16
	v_dual_max_f32 v146, v8, v8 :: v_dual_max_f32 v147, v9, v9
	s_delay_alu instid0(VALU_DEP_4)
	v_dual_min_f32 v40, v162, v45 :: v_dual_min_f32 v41, v163, v44
	v_dual_max_f32 v164, v37, v37 :: v_dual_max_f32 v165, v32, v32
	v_dual_max_f32 v166, v33, v33 :: v_dual_max_f32 v167, v28, v28
	;; [unrolled: 1-line block ×3, first 2 shown]
	v_max_f32_e32 v172, v21, v21
	v_min_f32_e32 v20, v170, v45
	v_dual_max_f32 v174, v17, v17 :: v_dual_max_f32 v175, v12, v12
	v_max_f32_e32 v176, v13, v13
	v_dual_min_f32 v145, v173, v146 :: v_dual_max_f32 v160, v4, v4
	s_delay_alu instid0(VALU_DEP_3)
	v_dual_max_f32 v177, v5, v5 :: v_dual_min_f32 v4, v174, v147
	v_dual_min_f32 v36, v161, v44 :: v_dual_min_f32 v37, v168, v45
	v_dual_min_f32 v28, v164, v45 :: v_dual_min_f32 v29, v165, v44
	;; [unrolled: 1-line block ×7, first 2 shown]
	v_min_f32_e32 v13, v161, v146
	v_dual_min_f32 v44, v163, v146 :: v_dual_min_f32 v45, v164, v147
	v_dual_min_f32 v137, v165, v146 :: v_dual_min_f32 v138, v166, v147
	;; [unrolled: 1-line block ×12, first 2 shown]
	v_min_f32_e32 v159, v173, v160
	v_dual_max_f32 v178, v0, v0 :: v_dual_max_f32 v179, v1, v1
	v_dual_min_f32 v0, v174, v177 :: v_dual_min_f32 v1, v175, v160
	v_dual_min_f32 v160, v176, v177 :: v_dual_max_f32 v177, v46, v46
	v_dual_max_f32 v180, v47, v47 :: v_dual_max_f32 v211, v42, v42
	v_max_f32_e32 v212, v43, v43
	v_dual_max_f32 v216, v38, v38 :: v_dual_max_f32 v217, v39, v39
	v_dual_max_f32 v218, v34, v34 :: v_dual_max_f32 v219, v35, v35
	s_delay_alu instid0(VALU_DEP_3) | instskip(NEXT) | instid1(VALU_DEP_3)
	v_min_f32_e32 v47, v212, v180
	v_min_f32_e32 v42, v216, v177
	v_dual_max_f32 v220, v30, v30 :: v_dual_max_f32 v221, v31, v31
	v_dual_max_f32 v222, v26, v26 :: v_dual_max_f32 v27, v27, v27
	;; [unrolled: 1-line block ×4, first 2 shown]
	v_max_f32_e32 v227, v14, v14
	v_dual_max_f32 v10, v10, v10 :: v_dual_max_f32 v11, v11, v11
	v_dual_max_f32 v6, v6, v6 :: v_dual_max_f32 v7, v7, v7
	v_dual_min_f32 v161, v161, v178 :: v_dual_min_f32 v162, v162, v179
	v_dual_min_f32 v163, v163, v178 :: v_dual_min_f32 v164, v164, v179
	;; [unrolled: 1-line block ×12, first 2 shown]
	v_min_f32_e32 v22, v223, v177
	v_dual_min_f32 v176, v224, v180 :: v_dual_min_f32 v23, v225, v177
	v_dual_max_f32 v228, v15, v15 :: v_dual_min_f32 v181, v218, v10
	v_min_f32_e32 v178, v227, v177
	v_dual_min_f32 v208, v27, v7 :: v_dual_max_f32 v177, v2, v2
	v_max_f32_e32 v229, v3, v3
	s_or_b32 s4, s3, s4
	v_dual_min_f32 v186, v226, v180 :: v_dual_min_f32 v179, v211, v10
	v_min_f32_e32 v187, v228, v180
	v_dual_min_f32 v188, v212, v11 :: v_dual_min_f32 v183, v222, v10
	v_dual_min_f32 v180, v216, v10 :: v_dual_min_f32 v189, v217, v11
	;; [unrolled: 1-line block ×15, first 2 shown]
	v_min_f32_e32 v215, v212, v229
	v_min_f32_e32 v212, v216, v177
	;; [unrolled: 1-line block ×15, first 2 shown]
	s_or_b32 s4, s4, s27
	s_delay_alu instid0(SALU_CYCLE_1) | instskip(NEXT) | instid1(SALU_CYCLE_1)
	s_xor_b32 s4, s4, -1
	s_and_saveexec_b32 s5, s4
	s_cbranch_execz .LBB42_21
; %bb.33:                               ;   in Loop: Header=BB42_22 Depth=1
	v_add_co_u32 v135, s4, v135, v52
	s_delay_alu instid0(VALU_DEP_1)
	v_add_co_ci_u32_e64 v136, s4, v136, v53, s4
	flat_load_b32 v133, v[135:136] offset:256
	s_waitcnt vmcnt(0) lgkmcnt(0)
	v_mul_f32_e32 v133, s23, v133
	s_branch .LBB42_21
.LBB42_34:
	s_clause 0x2
	s_load_b32 s12, s[0:1], 0x58
	s_load_b32 s9, s[0:1], 0x70
	s_load_b64 s[0:1], s[0:1], 0x78
	v_add_nc_u32_e32 v117, s19, v55
	ds_load_b128 v[32:35], v58 offset:5120
	ds_load_b128 v[28:31], v58 offset:5248
	;; [unrolled: 1-line block ×12, first 2 shown]
	v_add_nc_u32_e32 v48, s14, v54
	v_cmp_gt_i32_e64 s8, s17, v117
	v_cndmask_b32_e64 v100, 0, 1, s22
	s_waitcnt lgkmcnt(0)
	v_mad_i64_i32 v[49:50], null, v117, s12, 0
	v_mad_i64_i32 v[51:52], null, v117, s9, 0
	s_lshl_b64 s[0:1], s[0:1], 2
	s_delay_alu instid0(SALU_CYCLE_1) | instskip(SKIP_1) | instid1(VALU_DEP_2)
	s_add_u32 s13, s6, s0
	s_addc_u32 s14, s7, s1
	v_lshlrev_b64 v[49:50], 2, v[49:50]
	v_cmp_gt_i32_e64 s0, s16, v48
	s_delay_alu instid0(VALU_DEP_3) | instskip(NEXT) | instid1(VALU_DEP_2)
	v_lshlrev_b64 v[51:52], 2, v[51:52]
	s_and_b32 s2, s0, s8
	s_delay_alu instid0(VALU_DEP_3) | instskip(NEXT) | instid1(VALU_DEP_4)
	v_add_co_u32 v128, vcc_lo, s10, v49
	v_add_co_ci_u32_e32 v129, vcc_lo, s11, v50, vcc_lo
	s_delay_alu instid0(VALU_DEP_3) | instskip(NEXT) | instid1(VALU_DEP_4)
	v_add_co_u32 v126, vcc_lo, s13, v51
	v_add_co_ci_u32_e32 v127, vcc_lo, s14, v52, vcc_lo
	v_ashrrev_i32_e32 v49, 31, v48
	s_and_saveexec_b32 s1, s2
	s_cbranch_execz .LBB42_39
; %bb.35:
	s_delay_alu instid0(VALU_DEP_1)
	v_lshlrev_b64 v[50:51], 2, v[48:49]
	s_and_not1_b32 vcc_lo, exec_lo, s22
	s_cbranch_vccnz .LBB42_37
; %bb.36:
	s_delay_alu instid0(VALU_DEP_1) | instskip(NEXT) | instid1(VALU_DEP_2)
	v_add_co_u32 v52, vcc_lo, v128, v50
	v_add_co_ci_u32_e32 v53, vcc_lo, v129, v51, vcc_lo
	flat_load_b32 v52, v[52:53]
	s_waitcnt vmcnt(0) lgkmcnt(0)
	v_mul_f32_e32 v52, s15, v52
	s_branch .LBB42_38
.LBB42_37:
	v_mov_b32_e32 v52, 0
.LBB42_38:
	v_dual_max_f32 v53, v45, v45 :: v_dual_max_f32 v56, v32, v32
	v_dual_max_f32 v54, v33, v33 :: v_dual_max_f32 v55, v44, v44
	;; [unrolled: 1-line block ×3, first 2 shown]
	v_max_f32_e32 v59, v35, v35
	s_delay_alu instid0(VALU_DEP_3) | instskip(NEXT) | instid1(VALU_DEP_4)
	v_min_f32_e32 v53, v54, v53
	v_dual_max_f32 v54, v34, v34 :: v_dual_min_f32 v55, v56, v55
	v_add_co_u32 v50, vcc_lo, v126, v50
	v_add_co_ci_u32_e32 v51, vcc_lo, v127, v51, vcc_lo
	s_delay_alu instid0(VALU_DEP_3) | instskip(NEXT) | instid1(VALU_DEP_4)
	v_min_f32_e32 v54, v54, v57
	v_dual_min_f32 v56, v59, v58 :: v_dual_add_f32 v55, v124, v55
	s_delay_alu instid0(VALU_DEP_1) | instskip(NEXT) | instid1(VALU_DEP_1)
	v_dual_add_f32 v53, v125, v53 :: v_dual_add_f32 v54, v55, v54
	v_add_f32_e32 v53, v53, v56
	s_delay_alu instid0(VALU_DEP_1) | instskip(NEXT) | instid1(VALU_DEP_1)
	v_add_f32_e32 v53, v54, v53
	v_add_f32_e32 v52, v53, v52
	global_store_b32 v[50:51], v52, off
.LBB42_39:
	s_or_b32 exec_lo, exec_lo, s1
	v_add_nc_u32_e32 v50, 8, v48
	s_delay_alu instid0(VALU_DEP_1) | instskip(SKIP_1) | instid1(VALU_DEP_2)
	v_cmp_gt_i32_e64 s1, s16, v50
	v_ashrrev_i32_e32 v51, 31, v50
	s_and_b32 s3, s1, s8
	s_delay_alu instid0(SALU_CYCLE_1)
	s_and_saveexec_b32 s2, s3
	s_cbranch_execz .LBB42_44
; %bb.40:
	v_cmp_ne_u32_e32 vcc_lo, 1, v100
	v_lshlrev_b64 v[52:53], 2, v[50:51]
	s_cbranch_vccnz .LBB42_42
; %bb.41:
	s_delay_alu instid0(VALU_DEP_1) | instskip(NEXT) | instid1(VALU_DEP_2)
	v_add_co_u32 v54, vcc_lo, v128, v52
	v_add_co_ci_u32_e32 v55, vcc_lo, v129, v53, vcc_lo
	flat_load_b32 v54, v[54:55]
	s_waitcnt vmcnt(0) lgkmcnt(0)
	v_mul_f32_e32 v54, s15, v54
	s_branch .LBB42_43
.LBB42_42:
	v_mov_b32_e32 v54, 0
.LBB42_43:
	v_dual_max_f32 v55, v45, v45 :: v_dual_max_f32 v58, v28, v28
	v_dual_max_f32 v56, v29, v29 :: v_dual_max_f32 v57, v44, v44
	;; [unrolled: 1-line block ×3, first 2 shown]
	v_add_co_u32 v52, vcc_lo, v126, v52
	s_delay_alu instid0(VALU_DEP_3) | instskip(NEXT) | instid1(VALU_DEP_4)
	v_dual_min_f32 v55, v56, v55 :: v_dual_max_f32 v56, v30, v30
	v_min_f32_e32 v57, v58, v57
	v_add_co_ci_u32_e32 v53, vcc_lo, v127, v53, vcc_lo
	s_delay_alu instid0(VALU_DEP_2) | instskip(NEXT) | instid1(VALU_DEP_1)
	v_dual_min_f32 v56, v56, v59 :: v_dual_add_f32 v57, v123, v57
	v_dual_max_f32 v125, v31, v31 :: v_dual_add_f32 v56, v57, v56
	s_delay_alu instid0(VALU_DEP_1) | instskip(NEXT) | instid1(VALU_DEP_1)
	v_dual_add_f32 v55, v122, v55 :: v_dual_min_f32 v58, v125, v124
	v_add_f32_e32 v55, v55, v58
	s_delay_alu instid0(VALU_DEP_1) | instskip(NEXT) | instid1(VALU_DEP_1)
	v_add_f32_e32 v55, v56, v55
	v_add_f32_e32 v54, v55, v54
	global_store_b32 v[52:53], v54, off
.LBB42_44:
	s_or_b32 exec_lo, exec_lo, s2
	v_add_nc_u32_e32 v52, 16, v48
	s_delay_alu instid0(VALU_DEP_1) | instskip(SKIP_1) | instid1(VALU_DEP_2)
	v_cmp_gt_i32_e64 s2, s16, v52
	v_ashrrev_i32_e32 v53, 31, v52
	s_and_b32 s4, s2, s8
	s_delay_alu instid0(SALU_CYCLE_1)
	s_and_saveexec_b32 s3, s4
	s_cbranch_execz .LBB42_49
; %bb.45:
	v_cmp_ne_u32_e32 vcc_lo, 1, v100
	v_lshlrev_b64 v[54:55], 2, v[52:53]
	s_cbranch_vccnz .LBB42_47
; %bb.46:
	s_delay_alu instid0(VALU_DEP_1) | instskip(NEXT) | instid1(VALU_DEP_2)
	v_add_co_u32 v56, vcc_lo, v128, v54
	v_add_co_ci_u32_e32 v57, vcc_lo, v129, v55, vcc_lo
	flat_load_b32 v56, v[56:57]
	s_waitcnt vmcnt(0) lgkmcnt(0)
	v_mul_f32_e32 v56, s15, v56
	s_branch .LBB42_48
.LBB42_47:
	v_mov_b32_e32 v56, 0
.LBB42_48:
	v_dual_max_f32 v57, v45, v45 :: v_dual_max_f32 v122, v24, v24
	v_dual_max_f32 v58, v25, v25 :: v_dual_max_f32 v59, v44, v44
	;; [unrolled: 1-line block ×3, first 2 shown]
	v_max_f32_e32 v125, v27, v27
	s_delay_alu instid0(VALU_DEP_3) | instskip(SKIP_3) | instid1(VALU_DEP_4)
	v_min_f32_e32 v57, v58, v57
	v_max_f32_e32 v58, v26, v26
	v_min_f32_e32 v59, v122, v59
	v_add_co_u32 v54, vcc_lo, v126, v54
	v_dual_add_f32 v57, v120, v57 :: v_dual_min_f32 v120, v125, v124
	s_delay_alu instid0(VALU_DEP_4) | instskip(NEXT) | instid1(VALU_DEP_4)
	v_min_f32_e32 v58, v58, v123
	v_add_f32_e32 v59, v121, v59
	v_add_co_ci_u32_e32 v55, vcc_lo, v127, v55, vcc_lo
	s_delay_alu instid0(VALU_DEP_2) | instskip(NEXT) | instid1(VALU_DEP_1)
	v_dual_add_f32 v57, v57, v120 :: v_dual_add_f32 v58, v59, v58
	v_add_f32_e32 v57, v58, v57
	s_delay_alu instid0(VALU_DEP_1)
	v_add_f32_e32 v56, v57, v56
	global_store_b32 v[54:55], v56, off
.LBB42_49:
	s_or_b32 exec_lo, exec_lo, s3
	v_add_nc_u32_e32 v54, 24, v48
	s_delay_alu instid0(VALU_DEP_1) | instskip(SKIP_1) | instid1(VALU_DEP_2)
	v_cmp_gt_i32_e64 s3, s16, v54
	v_ashrrev_i32_e32 v55, 31, v54
	s_and_b32 s5, s3, s8
	s_delay_alu instid0(SALU_CYCLE_1)
	s_and_saveexec_b32 s4, s5
	s_cbranch_execz .LBB42_54
; %bb.50:
	v_cmp_ne_u32_e32 vcc_lo, 1, v100
	v_lshlrev_b64 v[56:57], 2, v[54:55]
	s_cbranch_vccnz .LBB42_52
; %bb.51:
	s_delay_alu instid0(VALU_DEP_1) | instskip(NEXT) | instid1(VALU_DEP_2)
	v_add_co_u32 v58, vcc_lo, v128, v56
	v_add_co_ci_u32_e32 v59, vcc_lo, v129, v57, vcc_lo
	flat_load_b32 v58, v[58:59]
	s_waitcnt vmcnt(0) lgkmcnt(0)
	v_mul_f32_e32 v58, s15, v58
	s_branch .LBB42_53
.LBB42_52:
	v_mov_b32_e32 v58, 0
.LBB42_53:
	v_dual_max_f32 v59, v45, v45 :: v_dual_max_f32 v122, v20, v20
	v_dual_max_f32 v120, v21, v21 :: v_dual_max_f32 v121, v44, v44
	;; [unrolled: 1-line block ×3, first 2 shown]
	v_max_f32_e32 v125, v23, v23
	s_delay_alu instid0(VALU_DEP_3) | instskip(NEXT) | instid1(VALU_DEP_4)
	v_dual_min_f32 v59, v120, v59 :: v_dual_max_f32 v120, v22, v22
	v_min_f32_e32 v121, v122, v121
	v_add_co_u32 v56, vcc_lo, v126, v56
	s_delay_alu instid0(VALU_DEP_3) | instskip(NEXT) | instid1(VALU_DEP_4)
	v_add_f32_e32 v59, v118, v59
	v_min_f32_e32 v118, v120, v123
	s_delay_alu instid0(VALU_DEP_4) | instskip(SKIP_1) | instid1(VALU_DEP_2)
	v_dual_min_f32 v120, v125, v124 :: v_dual_add_f32 v119, v119, v121
	v_add_co_ci_u32_e32 v57, vcc_lo, v127, v57, vcc_lo
	v_add_f32_e32 v59, v59, v120
	s_delay_alu instid0(VALU_DEP_3) | instskip(NEXT) | instid1(VALU_DEP_1)
	v_add_f32_e32 v118, v119, v118
	v_add_f32_e32 v59, v118, v59
	s_delay_alu instid0(VALU_DEP_1)
	v_add_f32_e32 v58, v59, v58
	global_store_b32 v[56:57], v58, off
.LBB42_54:
	s_or_b32 exec_lo, exec_lo, s4
	v_add_nc_u32_e32 v56, 32, v48
	s_delay_alu instid0(VALU_DEP_1) | instskip(SKIP_1) | instid1(VALU_DEP_2)
	v_cmp_gt_i32_e64 s4, s16, v56
	v_ashrrev_i32_e32 v57, 31, v56
	s_and_b32 s6, s4, s8
	s_delay_alu instid0(SALU_CYCLE_1)
	s_and_saveexec_b32 s5, s6
	s_cbranch_execz .LBB42_59
; %bb.55:
	v_cmp_ne_u32_e32 vcc_lo, 1, v100
	v_lshlrev_b64 v[58:59], 2, v[56:57]
	s_cbranch_vccnz .LBB42_57
; %bb.56:
	s_delay_alu instid0(VALU_DEP_1) | instskip(NEXT) | instid1(VALU_DEP_2)
	v_add_co_u32 v118, vcc_lo, v128, v58
	v_add_co_ci_u32_e32 v119, vcc_lo, v129, v59, vcc_lo
	flat_load_b32 v118, v[118:119]
	s_waitcnt vmcnt(0) lgkmcnt(0)
	v_mul_f32_e32 v118, s15, v118
	s_branch .LBB42_58
.LBB42_57:
	v_mov_b32_e32 v118, 0
.LBB42_58:
	v_dual_max_f32 v119, v45, v45 :: v_dual_max_f32 v122, v16, v16
	v_dual_max_f32 v120, v17, v17 :: v_dual_max_f32 v121, v44, v44
	;; [unrolled: 1-line block ×3, first 2 shown]
	v_add_co_u32 v58, vcc_lo, v126, v58
	s_delay_alu instid0(VALU_DEP_3) | instskip(NEXT) | instid1(VALU_DEP_4)
	v_dual_min_f32 v119, v120, v119 :: v_dual_max_f32 v120, v18, v18
	v_min_f32_e32 v121, v122, v121
	v_add_co_ci_u32_e32 v59, vcc_lo, v127, v59, vcc_lo
	s_delay_alu instid0(VALU_DEP_3) | instskip(SKIP_3) | instid1(VALU_DEP_3)
	v_add_f32_e32 v60, v60, v119
	v_max_f32_e32 v125, v19, v19
	v_min_f32_e32 v119, v120, v123
	v_add_f32_e32 v61, v61, v121
	v_min_f32_e32 v120, v125, v124
	s_delay_alu instid0(VALU_DEP_1) | instskip(NEXT) | instid1(VALU_DEP_1)
	v_dual_add_f32 v61, v61, v119 :: v_dual_add_f32 v60, v60, v120
	v_add_f32_e32 v60, v61, v60
	s_delay_alu instid0(VALU_DEP_1)
	v_add_f32_e32 v60, v60, v118
	global_store_b32 v[58:59], v60, off
.LBB42_59:
	s_or_b32 exec_lo, exec_lo, s5
	v_add_nc_u32_e32 v58, 40, v48
	s_delay_alu instid0(VALU_DEP_1) | instskip(SKIP_1) | instid1(VALU_DEP_2)
	v_cmp_gt_i32_e64 s5, s16, v58
	v_ashrrev_i32_e32 v59, 31, v58
	s_and_b32 s7, s5, s8
	s_delay_alu instid0(SALU_CYCLE_1)
	s_and_saveexec_b32 s6, s7
	s_cbranch_execz .LBB42_64
; %bb.60:
	v_cmp_ne_u32_e32 vcc_lo, 1, v100
	v_lshlrev_b64 v[60:61], 2, v[58:59]
	s_cbranch_vccnz .LBB42_62
; %bb.61:
	s_delay_alu instid0(VALU_DEP_1) | instskip(NEXT) | instid1(VALU_DEP_2)
	v_add_co_u32 v118, vcc_lo, v128, v60
	v_add_co_ci_u32_e32 v119, vcc_lo, v129, v61, vcc_lo
	flat_load_b32 v118, v[118:119]
	s_waitcnt vmcnt(0) lgkmcnt(0)
	v_mul_f32_e32 v118, s15, v118
	s_branch .LBB42_63
.LBB42_62:
	v_mov_b32_e32 v118, 0
.LBB42_63:
	v_dual_max_f32 v119, v45, v45 :: v_dual_max_f32 v122, v12, v12
	v_dual_max_f32 v120, v13, v13 :: v_dual_max_f32 v121, v44, v44
	;; [unrolled: 1-line block ×3, first 2 shown]
	v_add_co_u32 v60, vcc_lo, v126, v60
	s_delay_alu instid0(VALU_DEP_3) | instskip(NEXT) | instid1(VALU_DEP_4)
	v_dual_min_f32 v119, v120, v119 :: v_dual_max_f32 v120, v14, v14
	v_min_f32_e32 v121, v122, v121
	v_max_f32_e32 v125, v15, v15
	v_add_co_ci_u32_e32 v61, vcc_lo, v127, v61, vcc_lo
	s_delay_alu instid0(VALU_DEP_4) | instskip(NEXT) | instid1(VALU_DEP_4)
	v_add_f32_e32 v63, v63, v119
	v_dual_min_f32 v119, v120, v123 :: v_dual_add_f32 v62, v62, v121
	s_delay_alu instid0(VALU_DEP_4) | instskip(NEXT) | instid1(VALU_DEP_1)
	v_min_f32_e32 v120, v125, v124
	v_dual_add_f32 v62, v62, v119 :: v_dual_add_f32 v63, v63, v120
	s_delay_alu instid0(VALU_DEP_1) | instskip(NEXT) | instid1(VALU_DEP_1)
	v_add_f32_e32 v62, v62, v63
	v_add_f32_e32 v62, v62, v118
	global_store_b32 v[60:61], v62, off
.LBB42_64:
	s_or_b32 exec_lo, exec_lo, s6
	v_add_nc_u32_e32 v60, 48, v48
	s_delay_alu instid0(VALU_DEP_1) | instskip(SKIP_1) | instid1(VALU_DEP_2)
	v_cmp_gt_i32_e64 s6, s16, v60
	v_ashrrev_i32_e32 v61, 31, v60
	s_and_b32 s18, s6, s8
	s_delay_alu instid0(SALU_CYCLE_1)
	s_and_saveexec_b32 s7, s18
	s_cbranch_execz .LBB42_69
; %bb.65:
	v_cmp_ne_u32_e32 vcc_lo, 1, v100
	v_lshlrev_b64 v[62:63], 2, v[60:61]
	s_cbranch_vccnz .LBB42_67
; %bb.66:
	s_delay_alu instid0(VALU_DEP_1) | instskip(NEXT) | instid1(VALU_DEP_2)
	v_add_co_u32 v118, vcc_lo, v128, v62
	v_add_co_ci_u32_e32 v119, vcc_lo, v129, v63, vcc_lo
	flat_load_b32 v118, v[118:119]
	s_waitcnt vmcnt(0) lgkmcnt(0)
	v_mul_f32_e32 v118, s15, v118
	s_branch .LBB42_68
.LBB42_67:
	v_mov_b32_e32 v118, 0
.LBB42_68:
	v_dual_max_f32 v119, v45, v45 :: v_dual_max_f32 v122, v8, v8
	v_dual_max_f32 v120, v9, v9 :: v_dual_max_f32 v121, v44, v44
	;; [unrolled: 1-line block ×3, first 2 shown]
	v_add_co_u32 v62, vcc_lo, v126, v62
	s_delay_alu instid0(VALU_DEP_3) | instskip(NEXT) | instid1(VALU_DEP_4)
	v_dual_min_f32 v119, v120, v119 :: v_dual_max_f32 v120, v10, v10
	v_min_f32_e32 v121, v122, v121
	v_add_co_ci_u32_e32 v63, vcc_lo, v127, v63, vcc_lo
	s_delay_alu instid0(VALU_DEP_3) | instskip(SKIP_3) | instid1(VALU_DEP_3)
	v_add_f32_e32 v64, v64, v119
	v_max_f32_e32 v125, v11, v11
	v_min_f32_e32 v119, v120, v123
	v_add_f32_e32 v65, v65, v121
	v_min_f32_e32 v120, v125, v124
	s_delay_alu instid0(VALU_DEP_1) | instskip(NEXT) | instid1(VALU_DEP_1)
	v_dual_add_f32 v65, v65, v119 :: v_dual_add_f32 v64, v64, v120
	v_add_f32_e32 v64, v65, v64
	s_delay_alu instid0(VALU_DEP_1)
	v_add_f32_e32 v64, v64, v118
	global_store_b32 v[62:63], v64, off
.LBB42_69:
	s_or_b32 exec_lo, exec_lo, s7
	v_add_nc_u32_e32 v62, 56, v48
	s_delay_alu instid0(VALU_DEP_1) | instskip(SKIP_1) | instid1(VALU_DEP_2)
	v_cmp_gt_i32_e64 s7, s16, v62
	v_ashrrev_i32_e32 v63, 31, v62
	s_and_b32 s16, s7, s8
	s_delay_alu instid0(SALU_CYCLE_1)
	s_and_saveexec_b32 s8, s16
	s_cbranch_execz .LBB42_74
; %bb.70:
	v_cmp_ne_u32_e32 vcc_lo, 1, v100
	v_lshlrev_b64 v[64:65], 2, v[62:63]
	s_cbranch_vccnz .LBB42_72
; %bb.71:
	s_delay_alu instid0(VALU_DEP_1) | instskip(NEXT) | instid1(VALU_DEP_2)
	v_add_co_u32 v118, vcc_lo, v128, v64
	v_add_co_ci_u32_e32 v119, vcc_lo, v129, v65, vcc_lo
	flat_load_b32 v118, v[118:119]
	s_waitcnt vmcnt(0) lgkmcnt(0)
	v_mul_f32_e32 v118, s15, v118
	s_branch .LBB42_73
.LBB42_72:
	v_mov_b32_e32 v118, 0
.LBB42_73:
	v_dual_max_f32 v45, v45, v45 :: v_dual_max_f32 v44, v44, v44
	v_dual_max_f32 v119, v1, v1 :: v_dual_max_f32 v120, v0, v0
	s_delay_alu instid0(VALU_DEP_1) | instskip(NEXT) | instid1(VALU_DEP_2)
	v_dual_max_f32 v46, v46, v46 :: v_dual_min_f32 v45, v119, v45
	v_dual_max_f32 v119, v2, v2 :: v_dual_min_f32 v44, v120, v44
	v_max_f32_e32 v47, v47, v47
	s_delay_alu instid0(VALU_DEP_2) | instskip(NEXT) | instid1(VALU_DEP_3)
	v_dual_add_f32 v45, v115, v45 :: v_dual_add_f32 v44, v116, v44
	v_min_f32_e32 v46, v119, v46
	s_delay_alu instid0(VALU_DEP_1) | instskip(NEXT) | instid1(VALU_DEP_1)
	v_dual_max_f32 v121, v3, v3 :: v_dual_add_f32 v44, v44, v46
	v_min_f32_e32 v47, v121, v47
	s_delay_alu instid0(VALU_DEP_1) | instskip(NEXT) | instid1(VALU_DEP_1)
	v_add_f32_e32 v45, v45, v47
	v_add_f32_e32 v44, v44, v45
	s_delay_alu instid0(VALU_DEP_1)
	v_add_f32_e32 v46, v44, v118
	v_add_co_u32 v44, vcc_lo, v126, v64
	v_add_co_ci_u32_e32 v45, vcc_lo, v127, v65, vcc_lo
	global_store_b32 v[44:45], v46, off
.LBB42_74:
	s_or_b32 exec_lo, exec_lo, s8
	v_add_nc_u32_e32 v64, 32, v117
	s_delay_alu instid0(VALU_DEP_1) | instskip(SKIP_2) | instid1(VALU_DEP_3)
	v_mad_i64_i32 v[44:45], null, v64, s12, 0
	v_mad_i64_i32 v[46:47], null, v64, s9, 0
	v_cmp_gt_i32_e64 s8, s17, v64
	v_lshlrev_b64 v[44:45], 2, v[44:45]
	s_delay_alu instid0(VALU_DEP_2) | instskip(NEXT) | instid1(VALU_DEP_3)
	s_and_b32 s18, s0, s8
	v_lshlrev_b64 v[46:47], 2, v[46:47]
	s_delay_alu instid0(VALU_DEP_2) | instskip(NEXT) | instid1(VALU_DEP_3)
	v_add_co_u32 v64, vcc_lo, s10, v44
	v_add_co_ci_u32_e32 v65, vcc_lo, s11, v45, vcc_lo
	s_delay_alu instid0(VALU_DEP_3) | instskip(NEXT) | instid1(VALU_DEP_4)
	v_add_co_u32 v46, vcc_lo, s13, v46
	v_add_co_ci_u32_e32 v47, vcc_lo, s14, v47, vcc_lo
	s_and_saveexec_b32 s16, s18
	s_cbranch_execnz .LBB42_82
; %bb.75:
	s_or_b32 exec_lo, exec_lo, s16
	s_and_b32 s18, s1, s8
	s_delay_alu instid0(SALU_CYCLE_1)
	s_and_saveexec_b32 s16, s18
	s_cbranch_execnz .LBB42_86
.LBB42_76:
	s_or_b32 exec_lo, exec_lo, s16
	s_and_b32 s18, s2, s8
	s_delay_alu instid0(SALU_CYCLE_1)
	s_and_saveexec_b32 s16, s18
	s_cbranch_execnz .LBB42_90
.LBB42_77:
	s_or_b32 exec_lo, exec_lo, s16
	s_and_b32 s18, s3, s8
	s_delay_alu instid0(SALU_CYCLE_1)
	s_and_saveexec_b32 s16, s18
	s_cbranch_execnz .LBB42_94
.LBB42_78:
	s_or_b32 exec_lo, exec_lo, s16
	s_and_b32 s18, s4, s8
	s_delay_alu instid0(SALU_CYCLE_1)
	s_and_saveexec_b32 s16, s18
	s_cbranch_execnz .LBB42_98
.LBB42_79:
	s_or_b32 exec_lo, exec_lo, s16
	s_and_b32 s18, s5, s8
	s_delay_alu instid0(SALU_CYCLE_1)
	s_and_saveexec_b32 s16, s18
	s_cbranch_execnz .LBB42_102
.LBB42_80:
	s_or_b32 exec_lo, exec_lo, s16
	s_and_b32 s18, s6, s8
	s_delay_alu instid0(SALU_CYCLE_1)
	s_and_saveexec_b32 s16, s18
	s_cbranch_execnz .LBB42_106
.LBB42_81:
	s_or_b32 exec_lo, exec_lo, s16
	s_and_b32 s16, s7, s8
	s_delay_alu instid0(SALU_CYCLE_1)
	s_and_saveexec_b32 s8, s16
	s_cbranch_execnz .LBB42_110
	s_branch .LBB42_114
.LBB42_82:
	v_cmp_ne_u32_e32 vcc_lo, 1, v100
	v_lshlrev_b64 v[44:45], 2, v[48:49]
	s_cbranch_vccnz .LBB42_84
; %bb.83:
	s_delay_alu instid0(VALU_DEP_1) | instskip(NEXT) | instid1(VALU_DEP_2)
	v_add_co_u32 v115, vcc_lo, v64, v44
	v_add_co_ci_u32_e32 v116, vcc_lo, v65, v45, vcc_lo
	flat_load_b32 v115, v[115:116]
	s_waitcnt vmcnt(0) lgkmcnt(0)
	v_mul_f32_e32 v115, s15, v115
	s_branch .LBB42_85
.LBB42_84:
	v_mov_b32_e32 v115, 0
.LBB42_85:
	v_dual_max_f32 v116, v41, v41 :: v_dual_max_f32 v119, v40, v40
	v_dual_max_f32 v118, v33, v33 :: v_dual_max_f32 v121, v42, v42
	;; [unrolled: 1-line block ×3, first 2 shown]
	v_add_co_u32 v44, vcc_lo, v46, v44
	s_delay_alu instid0(VALU_DEP_2) | instskip(SKIP_2) | instid1(VALU_DEP_3)
	v_dual_min_f32 v116, v118, v116 :: v_dual_min_f32 v119, v120, v119
	v_max_f32_e32 v118, v34, v34
	v_add_co_ci_u32_e32 v45, vcc_lo, v47, v45, vcc_lo
	v_dual_add_f32 v113, v113, v116 :: v_dual_max_f32 v122, v43, v43
	s_delay_alu instid0(VALU_DEP_3) | instskip(SKIP_1) | instid1(VALU_DEP_1)
	v_min_f32_e32 v116, v118, v121
	v_add_f32_e32 v114, v114, v119
	v_add_f32_e32 v114, v114, v116
	s_delay_alu instid0(VALU_DEP_4) | instskip(NEXT) | instid1(VALU_DEP_1)
	v_min_f32_e32 v118, v123, v122
	v_add_f32_e32 v113, v113, v118
	s_delay_alu instid0(VALU_DEP_1) | instskip(NEXT) | instid1(VALU_DEP_1)
	v_add_f32_e32 v113, v114, v113
	v_add_f32_e32 v113, v113, v115
	global_store_b32 v[44:45], v113, off
	s_or_b32 exec_lo, exec_lo, s16
	s_and_b32 s18, s1, s8
	s_delay_alu instid0(SALU_CYCLE_1)
	s_and_saveexec_b32 s16, s18
	s_cbranch_execz .LBB42_76
.LBB42_86:
	v_cmp_ne_u32_e32 vcc_lo, 1, v100
	v_lshlrev_b64 v[44:45], 2, v[50:51]
	s_cbranch_vccnz .LBB42_88
; %bb.87:
	s_delay_alu instid0(VALU_DEP_1) | instskip(NEXT) | instid1(VALU_DEP_2)
	v_add_co_u32 v113, vcc_lo, v64, v44
	v_add_co_ci_u32_e32 v114, vcc_lo, v65, v45, vcc_lo
	flat_load_b32 v113, v[113:114]
	s_waitcnt vmcnt(0) lgkmcnt(0)
	v_mul_f32_e32 v113, s15, v113
	s_branch .LBB42_89
.LBB42_88:
	v_mov_b32_e32 v113, 0
.LBB42_89:
	v_dual_max_f32 v114, v41, v41 :: v_dual_max_f32 v119, v42, v42
	v_dual_max_f32 v115, v29, v29 :: v_dual_max_f32 v116, v40, v40
	v_max_f32_e32 v118, v28, v28
	v_max_f32_e32 v120, v43, v43
	;; [unrolled: 1-line block ×3, first 2 shown]
	s_delay_alu instid0(VALU_DEP_4) | instskip(SKIP_3) | instid1(VALU_DEP_4)
	v_min_f32_e32 v114, v115, v114
	v_max_f32_e32 v115, v30, v30
	v_min_f32_e32 v116, v118, v116
	v_add_co_u32 v44, vcc_lo, v46, v44
	v_add_f32_e32 v111, v111, v114
	s_delay_alu instid0(VALU_DEP_4) | instskip(NEXT) | instid1(VALU_DEP_4)
	v_min_f32_e32 v114, v115, v119
	v_add_f32_e32 v112, v112, v116
	v_min_f32_e32 v115, v121, v120
	v_add_co_ci_u32_e32 v45, vcc_lo, v47, v45, vcc_lo
	s_delay_alu instid0(VALU_DEP_2) | instskip(NEXT) | instid1(VALU_DEP_1)
	v_dual_add_f32 v112, v112, v114 :: v_dual_add_f32 v111, v111, v115
	v_add_f32_e32 v111, v112, v111
	s_delay_alu instid0(VALU_DEP_1) | instskip(SKIP_3) | instid1(SALU_CYCLE_1)
	v_add_f32_e32 v111, v111, v113
	global_store_b32 v[44:45], v111, off
	s_or_b32 exec_lo, exec_lo, s16
	s_and_b32 s18, s2, s8
	s_and_saveexec_b32 s16, s18
	s_cbranch_execz .LBB42_77
.LBB42_90:
	v_cmp_ne_u32_e32 vcc_lo, 1, v100
	v_lshlrev_b64 v[44:45], 2, v[52:53]
	s_cbranch_vccnz .LBB42_92
; %bb.91:
	s_delay_alu instid0(VALU_DEP_1) | instskip(NEXT) | instid1(VALU_DEP_2)
	v_add_co_u32 v111, vcc_lo, v64, v44
	v_add_co_ci_u32_e32 v112, vcc_lo, v65, v45, vcc_lo
	flat_load_b32 v111, v[111:112]
	s_waitcnt vmcnt(0) lgkmcnt(0)
	v_mul_f32_e32 v111, s15, v111
	s_branch .LBB42_93
.LBB42_92:
	v_mov_b32_e32 v111, 0
.LBB42_93:
	v_dual_max_f32 v112, v41, v41 :: v_dual_max_f32 v115, v24, v24
	v_dual_max_f32 v113, v25, v25 :: v_dual_max_f32 v114, v40, v40
	;; [unrolled: 1-line block ×3, first 2 shown]
	v_add_co_u32 v44, vcc_lo, v46, v44
	s_delay_alu instid0(VALU_DEP_3) | instskip(SKIP_1) | instid1(VALU_DEP_2)
	v_dual_min_f32 v112, v113, v112 :: v_dual_max_f32 v113, v26, v26
	v_add_co_ci_u32_e32 v45, vcc_lo, v47, v45, vcc_lo
	v_add_f32_e32 v110, v110, v112
	s_delay_alu instid0(VALU_DEP_3) | instskip(SKIP_1) | instid1(VALU_DEP_1)
	v_min_f32_e32 v112, v113, v116
	v_min_f32_e32 v114, v115, v114
	v_dual_max_f32 v118, v43, v43 :: v_dual_add_f32 v109, v109, v114
	s_delay_alu instid0(VALU_DEP_1) | instskip(NEXT) | instid1(VALU_DEP_1)
	v_min_f32_e32 v113, v119, v118
	v_dual_add_f32 v109, v109, v112 :: v_dual_add_f32 v110, v110, v113
	s_delay_alu instid0(VALU_DEP_1) | instskip(NEXT) | instid1(VALU_DEP_1)
	v_add_f32_e32 v109, v109, v110
	v_add_f32_e32 v109, v109, v111
	global_store_b32 v[44:45], v109, off
	s_or_b32 exec_lo, exec_lo, s16
	s_and_b32 s18, s3, s8
	s_delay_alu instid0(SALU_CYCLE_1)
	s_and_saveexec_b32 s16, s18
	s_cbranch_execz .LBB42_78
.LBB42_94:
	v_cmp_ne_u32_e32 vcc_lo, 1, v100
	v_lshlrev_b64 v[44:45], 2, v[54:55]
	s_cbranch_vccnz .LBB42_96
; %bb.95:
	s_delay_alu instid0(VALU_DEP_1) | instskip(NEXT) | instid1(VALU_DEP_2)
	v_add_co_u32 v109, vcc_lo, v64, v44
	v_add_co_ci_u32_e32 v110, vcc_lo, v65, v45, vcc_lo
	flat_load_b32 v109, v[109:110]
	s_waitcnt vmcnt(0) lgkmcnt(0)
	v_mul_f32_e32 v109, s15, v109
	s_branch .LBB42_97
.LBB42_96:
	v_mov_b32_e32 v109, 0
.LBB42_97:
	v_dual_max_f32 v110, v41, v41 :: v_dual_max_f32 v113, v20, v20
	v_dual_max_f32 v111, v21, v21 :: v_dual_max_f32 v112, v40, v40
	;; [unrolled: 1-line block ×3, first 2 shown]
	v_max_f32_e32 v116, v23, v23
	s_delay_alu instid0(VALU_DEP_3) | instskip(NEXT) | instid1(VALU_DEP_4)
	v_min_f32_e32 v110, v111, v110
	v_dual_max_f32 v111, v22, v22 :: v_dual_min_f32 v112, v113, v112
	v_add_co_u32 v44, vcc_lo, v46, v44
	s_delay_alu instid0(VALU_DEP_3) | instskip(NEXT) | instid1(VALU_DEP_3)
	v_add_f32_e32 v107, v107, v110
	v_dual_min_f32 v110, v111, v114 :: v_dual_min_f32 v111, v116, v115
	s_delay_alu instid0(VALU_DEP_4) | instskip(SKIP_1) | instid1(VALU_DEP_2)
	v_add_f32_e32 v108, v108, v112
	v_add_co_ci_u32_e32 v45, vcc_lo, v47, v45, vcc_lo
	v_dual_add_f32 v107, v107, v111 :: v_dual_add_f32 v108, v108, v110
	s_delay_alu instid0(VALU_DEP_1) | instskip(NEXT) | instid1(VALU_DEP_1)
	v_add_f32_e32 v107, v108, v107
	v_add_f32_e32 v107, v107, v109
	global_store_b32 v[44:45], v107, off
	s_or_b32 exec_lo, exec_lo, s16
	s_and_b32 s18, s4, s8
	s_delay_alu instid0(SALU_CYCLE_1)
	s_and_saveexec_b32 s16, s18
	s_cbranch_execz .LBB42_79
.LBB42_98:
	v_cmp_ne_u32_e32 vcc_lo, 1, v100
	v_lshlrev_b64 v[44:45], 2, v[56:57]
	s_cbranch_vccnz .LBB42_100
; %bb.99:
	s_delay_alu instid0(VALU_DEP_1) | instskip(NEXT) | instid1(VALU_DEP_2)
	v_add_co_u32 v107, vcc_lo, v64, v44
	v_add_co_ci_u32_e32 v108, vcc_lo, v65, v45, vcc_lo
	flat_load_b32 v107, v[107:108]
	s_waitcnt vmcnt(0) lgkmcnt(0)
	v_mul_f32_e32 v107, s15, v107
	s_branch .LBB42_101
.LBB42_100:
	v_mov_b32_e32 v107, 0
.LBB42_101:
	v_dual_max_f32 v108, v41, v41 :: v_dual_max_f32 v111, v16, v16
	v_dual_max_f32 v109, v17, v17 :: v_dual_max_f32 v110, v40, v40
	;; [unrolled: 1-line block ×3, first 2 shown]
	v_add_co_u32 v44, vcc_lo, v46, v44
	s_delay_alu instid0(VALU_DEP_3) | instskip(SKIP_2) | instid1(VALU_DEP_3)
	v_dual_min_f32 v108, v109, v108 :: v_dual_max_f32 v109, v18, v18
	v_max_f32_e32 v114, v19, v19
	v_add_co_ci_u32_e32 v45, vcc_lo, v47, v45, vcc_lo
	v_dual_add_f32 v105, v105, v108 :: v_dual_min_f32 v110, v111, v110
	s_delay_alu instid0(VALU_DEP_3) | instskip(NEXT) | instid1(VALU_DEP_1)
	v_dual_min_f32 v108, v109, v112 :: v_dual_min_f32 v109, v114, v113
	v_dual_add_f32 v106, v106, v110 :: v_dual_add_f32 v105, v105, v109
	s_delay_alu instid0(VALU_DEP_1) | instskip(NEXT) | instid1(VALU_DEP_1)
	v_add_f32_e32 v106, v106, v108
	v_add_f32_e32 v105, v106, v105
	s_delay_alu instid0(VALU_DEP_1) | instskip(SKIP_3) | instid1(SALU_CYCLE_1)
	v_add_f32_e32 v105, v105, v107
	global_store_b32 v[44:45], v105, off
	s_or_b32 exec_lo, exec_lo, s16
	s_and_b32 s18, s5, s8
	s_and_saveexec_b32 s16, s18
	s_cbranch_execz .LBB42_80
.LBB42_102:
	v_cmp_ne_u32_e32 vcc_lo, 1, v100
	v_lshlrev_b64 v[44:45], 2, v[58:59]
	s_cbranch_vccnz .LBB42_104
; %bb.103:
	s_delay_alu instid0(VALU_DEP_1) | instskip(NEXT) | instid1(VALU_DEP_2)
	v_add_co_u32 v105, vcc_lo, v64, v44
	v_add_co_ci_u32_e32 v106, vcc_lo, v65, v45, vcc_lo
	flat_load_b32 v105, v[105:106]
	s_waitcnt vmcnt(0) lgkmcnt(0)
	v_mul_f32_e32 v105, s15, v105
	s_branch .LBB42_105
.LBB42_104:
	v_mov_b32_e32 v105, 0
.LBB42_105:
	v_dual_max_f32 v106, v41, v41 :: v_dual_max_f32 v109, v12, v12
	v_dual_max_f32 v107, v13, v13 :: v_dual_max_f32 v108, v40, v40
	;; [unrolled: 1-line block ×3, first 2 shown]
	v_max_f32_e32 v112, v15, v15
	s_delay_alu instid0(VALU_DEP_3) | instskip(NEXT) | instid1(VALU_DEP_4)
	v_min_f32_e32 v106, v107, v106
	v_dual_max_f32 v107, v14, v14 :: v_dual_min_f32 v108, v109, v108
	v_add_co_u32 v44, vcc_lo, v46, v44
	s_delay_alu instid0(VALU_DEP_3) | instskip(NEXT) | instid1(VALU_DEP_3)
	v_add_f32_e32 v103, v103, v106
	v_dual_min_f32 v106, v107, v110 :: v_dual_min_f32 v107, v112, v111
	s_delay_alu instid0(VALU_DEP_4) | instskip(SKIP_1) | instid1(VALU_DEP_2)
	v_add_f32_e32 v104, v104, v108
	v_add_co_ci_u32_e32 v45, vcc_lo, v47, v45, vcc_lo
	v_dual_add_f32 v103, v103, v107 :: v_dual_add_f32 v104, v104, v106
	s_delay_alu instid0(VALU_DEP_1) | instskip(NEXT) | instid1(VALU_DEP_1)
	v_add_f32_e32 v103, v104, v103
	v_add_f32_e32 v103, v103, v105
	global_store_b32 v[44:45], v103, off
	s_or_b32 exec_lo, exec_lo, s16
	s_and_b32 s18, s6, s8
	s_delay_alu instid0(SALU_CYCLE_1)
	s_and_saveexec_b32 s16, s18
	s_cbranch_execz .LBB42_81
.LBB42_106:
	v_cmp_ne_u32_e32 vcc_lo, 1, v100
	v_lshlrev_b64 v[44:45], 2, v[60:61]
	s_cbranch_vccnz .LBB42_108
; %bb.107:
	s_delay_alu instid0(VALU_DEP_1) | instskip(NEXT) | instid1(VALU_DEP_2)
	v_add_co_u32 v103, vcc_lo, v64, v44
	v_add_co_ci_u32_e32 v104, vcc_lo, v65, v45, vcc_lo
	flat_load_b32 v103, v[103:104]
	s_waitcnt vmcnt(0) lgkmcnt(0)
	v_mul_f32_e32 v103, s15, v103
	s_branch .LBB42_109
.LBB42_108:
	v_mov_b32_e32 v103, 0
.LBB42_109:
	v_dual_max_f32 v104, v41, v41 :: v_dual_max_f32 v107, v8, v8
	v_dual_max_f32 v105, v9, v9 :: v_dual_max_f32 v106, v40, v40
	;; [unrolled: 1-line block ×3, first 2 shown]
	v_add_co_u32 v44, vcc_lo, v46, v44
	s_delay_alu instid0(VALU_DEP_3) | instskip(SKIP_2) | instid1(VALU_DEP_3)
	v_dual_min_f32 v104, v105, v104 :: v_dual_max_f32 v105, v10, v10
	v_max_f32_e32 v110, v11, v11
	v_add_co_ci_u32_e32 v45, vcc_lo, v47, v45, vcc_lo
	v_dual_add_f32 v101, v101, v104 :: v_dual_min_f32 v106, v107, v106
	s_delay_alu instid0(VALU_DEP_3) | instskip(NEXT) | instid1(VALU_DEP_1)
	v_dual_min_f32 v104, v105, v108 :: v_dual_min_f32 v105, v110, v109
	v_dual_add_f32 v102, v102, v106 :: v_dual_add_f32 v101, v101, v105
	s_delay_alu instid0(VALU_DEP_1) | instskip(NEXT) | instid1(VALU_DEP_1)
	v_add_f32_e32 v102, v102, v104
	v_add_f32_e32 v101, v102, v101
	s_delay_alu instid0(VALU_DEP_1) | instskip(SKIP_3) | instid1(SALU_CYCLE_1)
	v_add_f32_e32 v101, v101, v103
	global_store_b32 v[44:45], v101, off
	s_or_b32 exec_lo, exec_lo, s16
	s_and_b32 s16, s7, s8
	s_and_saveexec_b32 s8, s16
	s_cbranch_execz .LBB42_114
.LBB42_110:
	v_cmp_ne_u32_e32 vcc_lo, 1, v100
	v_lshlrev_b64 v[44:45], 2, v[62:63]
	s_cbranch_vccnz .LBB42_112
; %bb.111:
	s_delay_alu instid0(VALU_DEP_1) | instskip(NEXT) | instid1(VALU_DEP_2)
	v_add_co_u32 v64, vcc_lo, v64, v44
	v_add_co_ci_u32_e32 v65, vcc_lo, v65, v45, vcc_lo
	flat_load_b32 v64, v[64:65]
	s_waitcnt vmcnt(0) lgkmcnt(0)
	v_mul_f32_e32 v64, s15, v64
	s_branch .LBB42_113
.LBB42_112:
	v_mov_b32_e32 v64, 0
.LBB42_113:
	v_dual_max_f32 v41, v41, v41 :: v_dual_max_f32 v40, v40, v40
	v_dual_max_f32 v65, v1, v1 :: v_dual_max_f32 v42, v42, v42
	;; [unrolled: 1-line block ×3, first 2 shown]
	s_delay_alu instid0(VALU_DEP_1) | instskip(NEXT) | instid1(VALU_DEP_1)
	v_dual_max_f32 v43, v43, v43 :: v_dual_min_f32 v40, v101, v40
	v_dual_min_f32 v41, v65, v41 :: v_dual_add_f32 v40, v98, v40
	s_delay_alu instid0(VALU_DEP_1) | instskip(NEXT) | instid1(VALU_DEP_3)
	v_add_f32_e32 v41, v99, v41
	v_min_f32_e32 v43, v102, v43
	s_delay_alu instid0(VALU_DEP_1) | instskip(SKIP_1) | instid1(VALU_DEP_1)
	v_add_f32_e32 v41, v41, v43
	v_max_f32_e32 v65, v2, v2
	v_min_f32_e32 v42, v65, v42
	s_delay_alu instid0(VALU_DEP_1) | instskip(NEXT) | instid1(VALU_DEP_1)
	v_add_f32_e32 v40, v40, v42
	v_add_f32_e32 v40, v40, v41
	s_delay_alu instid0(VALU_DEP_1)
	v_add_f32_e32 v42, v40, v64
	v_add_co_u32 v40, vcc_lo, v46, v44
	v_add_co_ci_u32_e32 v41, vcc_lo, v47, v45, vcc_lo
	global_store_b32 v[40:41], v42, off
.LBB42_114:
	s_or_b32 exec_lo, exec_lo, s8
	v_add_nc_u32_e32 v44, 64, v117
	s_delay_alu instid0(VALU_DEP_1) | instskip(SKIP_2) | instid1(VALU_DEP_3)
	v_mad_i64_i32 v[40:41], null, v44, s12, 0
	v_mad_i64_i32 v[42:43], null, v44, s9, 0
	v_cmp_gt_i32_e64 s8, s17, v44
	v_lshlrev_b64 v[40:41], 2, v[40:41]
	s_delay_alu instid0(VALU_DEP_2) | instskip(NEXT) | instid1(VALU_DEP_3)
	s_and_b32 s18, s0, s8
	v_lshlrev_b64 v[42:43], 2, v[42:43]
	s_delay_alu instid0(VALU_DEP_2) | instskip(NEXT) | instid1(VALU_DEP_3)
	v_add_co_u32 v44, vcc_lo, s10, v40
	v_add_co_ci_u32_e32 v45, vcc_lo, s11, v41, vcc_lo
	s_delay_alu instid0(VALU_DEP_3) | instskip(NEXT) | instid1(VALU_DEP_4)
	v_add_co_u32 v42, vcc_lo, s13, v42
	v_add_co_ci_u32_e32 v43, vcc_lo, s14, v43, vcc_lo
	s_and_saveexec_b32 s16, s18
	s_cbranch_execnz .LBB42_122
; %bb.115:
	s_or_b32 exec_lo, exec_lo, s16
	s_and_b32 s18, s1, s8
	s_delay_alu instid0(SALU_CYCLE_1)
	s_and_saveexec_b32 s16, s18
	s_cbranch_execnz .LBB42_126
.LBB42_116:
	s_or_b32 exec_lo, exec_lo, s16
	s_and_b32 s18, s2, s8
	s_delay_alu instid0(SALU_CYCLE_1)
	s_and_saveexec_b32 s16, s18
	s_cbranch_execnz .LBB42_130
.LBB42_117:
	s_or_b32 exec_lo, exec_lo, s16
	s_and_b32 s18, s3, s8
	s_delay_alu instid0(SALU_CYCLE_1)
	s_and_saveexec_b32 s16, s18
	s_cbranch_execnz .LBB42_134
.LBB42_118:
	s_or_b32 exec_lo, exec_lo, s16
	s_and_b32 s18, s4, s8
	s_delay_alu instid0(SALU_CYCLE_1)
	s_and_saveexec_b32 s16, s18
	s_cbranch_execnz .LBB42_138
.LBB42_119:
	s_or_b32 exec_lo, exec_lo, s16
	s_and_b32 s18, s5, s8
	s_delay_alu instid0(SALU_CYCLE_1)
	s_and_saveexec_b32 s16, s18
	s_cbranch_execnz .LBB42_142
.LBB42_120:
	s_or_b32 exec_lo, exec_lo, s16
	s_and_b32 s18, s6, s8
	s_delay_alu instid0(SALU_CYCLE_1)
	s_and_saveexec_b32 s16, s18
	s_cbranch_execnz .LBB42_146
.LBB42_121:
	s_or_b32 exec_lo, exec_lo, s16
	s_and_b32 s16, s7, s8
	s_delay_alu instid0(SALU_CYCLE_1)
	s_and_saveexec_b32 s8, s16
	s_cbranch_execnz .LBB42_150
	s_branch .LBB42_154
.LBB42_122:
	v_cmp_ne_u32_e32 vcc_lo, 1, v100
	v_lshlrev_b64 v[40:41], 2, v[48:49]
	s_cbranch_vccnz .LBB42_124
; %bb.123:
	s_delay_alu instid0(VALU_DEP_1) | instskip(NEXT) | instid1(VALU_DEP_2)
	v_add_co_u32 v46, vcc_lo, v44, v40
	v_add_co_ci_u32_e32 v47, vcc_lo, v45, v41, vcc_lo
	flat_load_b32 v46, v[46:47]
	s_waitcnt vmcnt(0) lgkmcnt(0)
	v_mul_f32_e32 v46, s15, v46
	s_branch .LBB42_125
.LBB42_124:
	v_mov_b32_e32 v46, 0
.LBB42_125:
	v_dual_max_f32 v47, v37, v37 :: v_dual_max_f32 v98, v32, v32
	v_dual_max_f32 v64, v33, v33 :: v_dual_max_f32 v65, v36, v36
	;; [unrolled: 1-line block ×3, first 2 shown]
	v_add_co_u32 v40, vcc_lo, v42, v40
	s_delay_alu instid0(VALU_DEP_3) | instskip(NEXT) | instid1(VALU_DEP_4)
	v_dual_min_f32 v47, v64, v47 :: v_dual_max_f32 v64, v34, v34
	v_min_f32_e32 v65, v98, v65
	v_add_co_ci_u32_e32 v41, vcc_lo, v43, v41, vcc_lo
	s_delay_alu instid0(VALU_DEP_3) | instskip(NEXT) | instid1(VALU_DEP_4)
	v_add_f32_e32 v47, v97, v47
	v_min_f32_e32 v64, v64, v99
	s_delay_alu instid0(VALU_DEP_4) | instskip(NEXT) | instid1(VALU_DEP_1)
	v_add_f32_e32 v65, v96, v65
	v_dual_max_f32 v101, v39, v39 :: v_dual_add_f32 v64, v65, v64
	s_delay_alu instid0(VALU_DEP_1) | instskip(NEXT) | instid1(VALU_DEP_1)
	v_min_f32_e32 v97, v102, v101
	v_add_f32_e32 v47, v47, v97
	s_delay_alu instid0(VALU_DEP_1) | instskip(NEXT) | instid1(VALU_DEP_1)
	v_add_f32_e32 v47, v64, v47
	v_add_f32_e32 v46, v47, v46
	global_store_b32 v[40:41], v46, off
	s_or_b32 exec_lo, exec_lo, s16
	s_and_b32 s18, s1, s8
	s_delay_alu instid0(SALU_CYCLE_1)
	s_and_saveexec_b32 s16, s18
	s_cbranch_execz .LBB42_116
.LBB42_126:
	v_cmp_ne_u32_e32 vcc_lo, 1, v100
	v_lshlrev_b64 v[40:41], 2, v[50:51]
	s_cbranch_vccnz .LBB42_128
; %bb.127:
	s_delay_alu instid0(VALU_DEP_1) | instskip(NEXT) | instid1(VALU_DEP_2)
	v_add_co_u32 v46, vcc_lo, v44, v40
	v_add_co_ci_u32_e32 v47, vcc_lo, v45, v41, vcc_lo
	flat_load_b32 v46, v[46:47]
	s_waitcnt vmcnt(0) lgkmcnt(0)
	v_mul_f32_e32 v46, s15, v46
	s_branch .LBB42_129
.LBB42_128:
	v_mov_b32_e32 v46, 0
.LBB42_129:
	v_dual_max_f32 v47, v37, v37 :: v_dual_max_f32 v96, v28, v28
	v_dual_max_f32 v64, v29, v29 :: v_dual_max_f32 v65, v36, v36
	;; [unrolled: 1-line block ×3, first 2 shown]
	v_add_co_u32 v40, vcc_lo, v42, v40
	s_delay_alu instid0(VALU_DEP_3) | instskip(SKIP_2) | instid1(VALU_DEP_3)
	v_dual_min_f32 v47, v64, v47 :: v_dual_max_f32 v64, v30, v30
	v_max_f32_e32 v99, v31, v31
	v_add_co_ci_u32_e32 v41, vcc_lo, v43, v41, vcc_lo
	v_min_f32_e32 v64, v64, v97
	v_min_f32_e32 v65, v96, v65
	s_delay_alu instid0(VALU_DEP_4) | instskip(NEXT) | instid1(VALU_DEP_2)
	v_dual_add_f32 v47, v94, v47 :: v_dual_min_f32 v94, v99, v98
	v_add_f32_e32 v65, v95, v65
	s_delay_alu instid0(VALU_DEP_1) | instskip(NEXT) | instid1(VALU_DEP_1)
	v_dual_add_f32 v64, v65, v64 :: v_dual_add_f32 v47, v47, v94
	v_add_f32_e32 v47, v64, v47
	s_delay_alu instid0(VALU_DEP_1) | instskip(SKIP_3) | instid1(SALU_CYCLE_1)
	v_add_f32_e32 v46, v47, v46
	global_store_b32 v[40:41], v46, off
	s_or_b32 exec_lo, exec_lo, s16
	s_and_b32 s18, s2, s8
	s_and_saveexec_b32 s16, s18
	s_cbranch_execz .LBB42_117
.LBB42_130:
	v_cmp_ne_u32_e32 vcc_lo, 1, v100
	v_lshlrev_b64 v[40:41], 2, v[52:53]
	s_cbranch_vccnz .LBB42_132
; %bb.131:
	s_delay_alu instid0(VALU_DEP_1) | instskip(NEXT) | instid1(VALU_DEP_2)
	v_add_co_u32 v46, vcc_lo, v44, v40
	v_add_co_ci_u32_e32 v47, vcc_lo, v45, v41, vcc_lo
	flat_load_b32 v46, v[46:47]
	s_waitcnt vmcnt(0) lgkmcnt(0)
	v_mul_f32_e32 v46, s15, v46
	s_branch .LBB42_133
.LBB42_132:
	v_mov_b32_e32 v46, 0
.LBB42_133:
	v_dual_max_f32 v47, v37, v37 :: v_dual_max_f32 v94, v24, v24
	v_dual_max_f32 v64, v25, v25 :: v_dual_max_f32 v65, v36, v36
	;; [unrolled: 1-line block ×3, first 2 shown]
	v_add_co_u32 v40, vcc_lo, v42, v40
	s_delay_alu instid0(VALU_DEP_3) | instskip(NEXT) | instid1(VALU_DEP_4)
	v_dual_min_f32 v47, v64, v47 :: v_dual_max_f32 v64, v26, v26
	v_min_f32_e32 v65, v94, v65
	v_add_co_ci_u32_e32 v41, vcc_lo, v43, v41, vcc_lo
	s_delay_alu instid0(VALU_DEP_2) | instskip(NEXT) | instid1(VALU_DEP_1)
	v_dual_min_f32 v64, v64, v95 :: v_dual_add_f32 v65, v93, v65
	v_dual_max_f32 v97, v27, v27 :: v_dual_add_f32 v64, v65, v64
	s_delay_alu instid0(VALU_DEP_1) | instskip(NEXT) | instid1(VALU_DEP_1)
	v_dual_add_f32 v47, v92, v47 :: v_dual_min_f32 v92, v97, v96
	v_add_f32_e32 v47, v47, v92
	s_delay_alu instid0(VALU_DEP_1) | instskip(NEXT) | instid1(VALU_DEP_1)
	v_add_f32_e32 v47, v64, v47
	v_add_f32_e32 v46, v47, v46
	global_store_b32 v[40:41], v46, off
	s_or_b32 exec_lo, exec_lo, s16
	s_and_b32 s18, s3, s8
	s_delay_alu instid0(SALU_CYCLE_1)
	s_and_saveexec_b32 s16, s18
	s_cbranch_execz .LBB42_118
.LBB42_134:
	v_cmp_ne_u32_e32 vcc_lo, 1, v100
	v_lshlrev_b64 v[40:41], 2, v[54:55]
	s_cbranch_vccnz .LBB42_136
; %bb.135:
	s_delay_alu instid0(VALU_DEP_1) | instskip(NEXT) | instid1(VALU_DEP_2)
	v_add_co_u32 v46, vcc_lo, v44, v40
	v_add_co_ci_u32_e32 v47, vcc_lo, v45, v41, vcc_lo
	flat_load_b32 v46, v[46:47]
	s_waitcnt vmcnt(0) lgkmcnt(0)
	v_mul_f32_e32 v46, s15, v46
	s_branch .LBB42_137
.LBB42_136:
	v_mov_b32_e32 v46, 0
.LBB42_137:
	v_dual_max_f32 v47, v37, v37 :: v_dual_max_f32 v92, v20, v20
	v_dual_max_f32 v64, v21, v21 :: v_dual_max_f32 v65, v36, v36
	;; [unrolled: 1-line block ×3, first 2 shown]
	v_add_co_u32 v40, vcc_lo, v42, v40
	s_delay_alu instid0(VALU_DEP_3) | instskip(SKIP_2) | instid1(VALU_DEP_3)
	v_dual_min_f32 v47, v64, v47 :: v_dual_max_f32 v64, v22, v22
	v_max_f32_e32 v95, v23, v23
	v_add_co_ci_u32_e32 v41, vcc_lo, v43, v41, vcc_lo
	v_min_f32_e32 v64, v64, v93
	v_min_f32_e32 v65, v92, v65
	s_delay_alu instid0(VALU_DEP_4) | instskip(NEXT) | instid1(VALU_DEP_2)
	v_dual_add_f32 v47, v90, v47 :: v_dual_min_f32 v90, v95, v94
	v_add_f32_e32 v65, v91, v65
	s_delay_alu instid0(VALU_DEP_1) | instskip(NEXT) | instid1(VALU_DEP_1)
	v_dual_add_f32 v64, v65, v64 :: v_dual_add_f32 v47, v47, v90
	v_add_f32_e32 v47, v64, v47
	s_delay_alu instid0(VALU_DEP_1) | instskip(SKIP_3) | instid1(SALU_CYCLE_1)
	v_add_f32_e32 v46, v47, v46
	global_store_b32 v[40:41], v46, off
	s_or_b32 exec_lo, exec_lo, s16
	s_and_b32 s18, s4, s8
	s_and_saveexec_b32 s16, s18
	s_cbranch_execz .LBB42_119
.LBB42_138:
	v_cmp_ne_u32_e32 vcc_lo, 1, v100
	v_lshlrev_b64 v[40:41], 2, v[56:57]
	s_cbranch_vccnz .LBB42_140
; %bb.139:
	s_delay_alu instid0(VALU_DEP_1) | instskip(NEXT) | instid1(VALU_DEP_2)
	v_add_co_u32 v46, vcc_lo, v44, v40
	v_add_co_ci_u32_e32 v47, vcc_lo, v45, v41, vcc_lo
	flat_load_b32 v46, v[46:47]
	s_waitcnt vmcnt(0) lgkmcnt(0)
	v_mul_f32_e32 v46, s15, v46
	s_branch .LBB42_141
.LBB42_140:
	v_mov_b32_e32 v46, 0
.LBB42_141:
	v_dual_max_f32 v47, v37, v37 :: v_dual_max_f32 v90, v16, v16
	v_dual_max_f32 v64, v17, v17 :: v_dual_max_f32 v65, v36, v36
	;; [unrolled: 1-line block ×3, first 2 shown]
	v_add_co_u32 v40, vcc_lo, v42, v40
	s_delay_alu instid0(VALU_DEP_3) | instskip(NEXT) | instid1(VALU_DEP_4)
	v_dual_min_f32 v47, v64, v47 :: v_dual_max_f32 v64, v18, v18
	v_min_f32_e32 v65, v90, v65
	v_add_co_ci_u32_e32 v41, vcc_lo, v43, v41, vcc_lo
	s_delay_alu instid0(VALU_DEP_3) | instskip(NEXT) | instid1(VALU_DEP_4)
	v_add_f32_e32 v47, v89, v47
	v_min_f32_e32 v64, v64, v91
	s_delay_alu instid0(VALU_DEP_4) | instskip(NEXT) | instid1(VALU_DEP_1)
	v_add_f32_e32 v65, v88, v65
	v_dual_max_f32 v93, v19, v19 :: v_dual_add_f32 v64, v65, v64
	s_delay_alu instid0(VALU_DEP_1) | instskip(NEXT) | instid1(VALU_DEP_1)
	v_min_f32_e32 v89, v93, v92
	v_add_f32_e32 v47, v47, v89
	s_delay_alu instid0(VALU_DEP_1) | instskip(NEXT) | instid1(VALU_DEP_1)
	v_add_f32_e32 v47, v64, v47
	v_add_f32_e32 v46, v47, v46
	global_store_b32 v[40:41], v46, off
	s_or_b32 exec_lo, exec_lo, s16
	s_and_b32 s18, s5, s8
	s_delay_alu instid0(SALU_CYCLE_1)
	s_and_saveexec_b32 s16, s18
	s_cbranch_execz .LBB42_120
.LBB42_142:
	v_cmp_ne_u32_e32 vcc_lo, 1, v100
	v_lshlrev_b64 v[40:41], 2, v[58:59]
	s_cbranch_vccnz .LBB42_144
; %bb.143:
	s_delay_alu instid0(VALU_DEP_1) | instskip(NEXT) | instid1(VALU_DEP_2)
	v_add_co_u32 v46, vcc_lo, v44, v40
	v_add_co_ci_u32_e32 v47, vcc_lo, v45, v41, vcc_lo
	flat_load_b32 v46, v[46:47]
	s_waitcnt vmcnt(0) lgkmcnt(0)
	v_mul_f32_e32 v46, s15, v46
	s_branch .LBB42_145
.LBB42_144:
	v_mov_b32_e32 v46, 0
.LBB42_145:
	v_dual_max_f32 v47, v37, v37 :: v_dual_max_f32 v88, v12, v12
	v_dual_max_f32 v64, v13, v13 :: v_dual_max_f32 v65, v36, v36
	;; [unrolled: 1-line block ×3, first 2 shown]
	v_add_co_u32 v40, vcc_lo, v42, v40
	s_delay_alu instid0(VALU_DEP_3) | instskip(SKIP_3) | instid1(VALU_DEP_4)
	v_dual_min_f32 v47, v64, v47 :: v_dual_max_f32 v64, v14, v14
	v_max_f32_e32 v91, v15, v15
	v_min_f32_e32 v65, v88, v65
	v_add_co_ci_u32_e32 v41, vcc_lo, v43, v41, vcc_lo
	v_min_f32_e32 v64, v64, v89
	s_delay_alu instid0(VALU_DEP_3) | instskip(SKIP_1) | instid1(VALU_DEP_2)
	v_add_f32_e32 v65, v86, v65
	v_add_f32_e32 v47, v87, v47
	v_dual_min_f32 v87, v91, v90 :: v_dual_add_f32 v64, v65, v64
	s_delay_alu instid0(VALU_DEP_1) | instskip(NEXT) | instid1(VALU_DEP_1)
	v_add_f32_e32 v47, v47, v87
	v_add_f32_e32 v47, v64, v47
	s_delay_alu instid0(VALU_DEP_1) | instskip(SKIP_3) | instid1(SALU_CYCLE_1)
	v_add_f32_e32 v46, v47, v46
	global_store_b32 v[40:41], v46, off
	s_or_b32 exec_lo, exec_lo, s16
	s_and_b32 s18, s6, s8
	s_and_saveexec_b32 s16, s18
	s_cbranch_execz .LBB42_121
.LBB42_146:
	v_cmp_ne_u32_e32 vcc_lo, 1, v100
	v_lshlrev_b64 v[40:41], 2, v[60:61]
	s_cbranch_vccnz .LBB42_148
; %bb.147:
	s_delay_alu instid0(VALU_DEP_1) | instskip(NEXT) | instid1(VALU_DEP_2)
	v_add_co_u32 v46, vcc_lo, v44, v40
	v_add_co_ci_u32_e32 v47, vcc_lo, v45, v41, vcc_lo
	flat_load_b32 v46, v[46:47]
	s_waitcnt vmcnt(0) lgkmcnt(0)
	v_mul_f32_e32 v46, s15, v46
	s_branch .LBB42_149
.LBB42_148:
	v_mov_b32_e32 v46, 0
.LBB42_149:
	v_dual_max_f32 v47, v37, v37 :: v_dual_max_f32 v86, v8, v8
	v_dual_max_f32 v64, v9, v9 :: v_dual_max_f32 v65, v36, v36
	;; [unrolled: 1-line block ×3, first 2 shown]
	v_add_co_u32 v40, vcc_lo, v42, v40
	s_delay_alu instid0(VALU_DEP_3) | instskip(NEXT) | instid1(VALU_DEP_4)
	v_dual_min_f32 v47, v64, v47 :: v_dual_max_f32 v64, v10, v10
	v_min_f32_e32 v65, v86, v65
	v_add_co_ci_u32_e32 v41, vcc_lo, v43, v41, vcc_lo
	s_delay_alu instid0(VALU_DEP_2) | instskip(NEXT) | instid1(VALU_DEP_1)
	v_dual_min_f32 v64, v64, v87 :: v_dual_add_f32 v65, v85, v65
	v_dual_max_f32 v89, v11, v11 :: v_dual_add_f32 v64, v65, v64
	s_delay_alu instid0(VALU_DEP_1) | instskip(NEXT) | instid1(VALU_DEP_1)
	v_dual_add_f32 v47, v84, v47 :: v_dual_min_f32 v84, v89, v88
	v_add_f32_e32 v47, v47, v84
	s_delay_alu instid0(VALU_DEP_1) | instskip(NEXT) | instid1(VALU_DEP_1)
	v_add_f32_e32 v47, v64, v47
	v_add_f32_e32 v46, v47, v46
	global_store_b32 v[40:41], v46, off
	s_or_b32 exec_lo, exec_lo, s16
	s_and_b32 s16, s7, s8
	s_delay_alu instid0(SALU_CYCLE_1)
	s_and_saveexec_b32 s8, s16
	s_cbranch_execz .LBB42_154
.LBB42_150:
	v_cmp_ne_u32_e32 vcc_lo, 1, v100
	v_lshlrev_b64 v[40:41], 2, v[62:63]
	s_cbranch_vccnz .LBB42_152
; %bb.151:
	s_delay_alu instid0(VALU_DEP_1) | instskip(NEXT) | instid1(VALU_DEP_2)
	v_add_co_u32 v44, vcc_lo, v44, v40
	v_add_co_ci_u32_e32 v45, vcc_lo, v45, v41, vcc_lo
	flat_load_b32 v44, v[44:45]
	s_waitcnt vmcnt(0) lgkmcnt(0)
	v_mul_f32_e32 v44, s15, v44
	s_branch .LBB42_153
.LBB42_152:
	v_mov_b32_e32 v44, 0
.LBB42_153:
	v_dual_max_f32 v37, v37, v37 :: v_dual_max_f32 v36, v36, v36
	v_dual_max_f32 v45, v1, v1 :: v_dual_max_f32 v46, v0, v0
	;; [unrolled: 1-line block ×3, first 2 shown]
	s_delay_alu instid0(VALU_DEP_2) | instskip(NEXT) | instid1(VALU_DEP_1)
	v_dual_min_f32 v37, v45, v37 :: v_dual_min_f32 v36, v46, v36
	v_dual_max_f32 v45, v2, v2 :: v_dual_add_f32 v36, v83, v36
	s_delay_alu instid0(VALU_DEP_1) | instskip(NEXT) | instid1(VALU_DEP_1)
	v_dual_max_f32 v47, v3, v3 :: v_dual_min_f32 v38, v45, v38
	v_dual_add_f32 v37, v82, v37 :: v_dual_add_f32 v36, v36, v38
	s_delay_alu instid0(VALU_DEP_2) | instskip(NEXT) | instid1(VALU_DEP_1)
	v_min_f32_e32 v39, v47, v39
	v_add_f32_e32 v37, v37, v39
	s_delay_alu instid0(VALU_DEP_1) | instskip(NEXT) | instid1(VALU_DEP_1)
	v_add_f32_e32 v36, v36, v37
	v_add_f32_e32 v38, v36, v44
	v_add_co_u32 v36, vcc_lo, v42, v40
	v_add_co_ci_u32_e32 v37, vcc_lo, v43, v41, vcc_lo
	global_store_b32 v[36:37], v38, off
.LBB42_154:
	s_or_b32 exec_lo, exec_lo, s8
	v_add_nc_u32_e32 v40, 0x60, v117
	s_delay_alu instid0(VALU_DEP_1) | instskip(SKIP_2) | instid1(VALU_DEP_3)
	v_mad_i64_i32 v[36:37], null, v40, s12, 0
	v_mad_i64_i32 v[38:39], null, v40, s9, 0
	v_cmp_gt_i32_e64 s8, s17, v40
	v_lshlrev_b64 v[36:37], 2, v[36:37]
	s_delay_alu instid0(VALU_DEP_2) | instskip(NEXT) | instid1(VALU_DEP_3)
	s_and_b32 s9, s0, s8
	v_lshlrev_b64 v[38:39], 2, v[38:39]
	s_delay_alu instid0(VALU_DEP_2) | instskip(NEXT) | instid1(VALU_DEP_3)
	v_add_co_u32 v40, vcc_lo, s10, v36
	v_add_co_ci_u32_e32 v41, vcc_lo, s11, v37, vcc_lo
	s_delay_alu instid0(VALU_DEP_3) | instskip(NEXT) | instid1(VALU_DEP_4)
	v_add_co_u32 v38, vcc_lo, s13, v38
	v_add_co_ci_u32_e32 v39, vcc_lo, s14, v39, vcc_lo
	s_and_saveexec_b32 s0, s9
	s_cbranch_execnz .LBB42_163
; %bb.155:
	s_or_b32 exec_lo, exec_lo, s0
	s_and_b32 s1, s1, s8
	s_delay_alu instid0(SALU_CYCLE_1)
	s_and_saveexec_b32 s0, s1
	s_cbranch_execnz .LBB42_167
.LBB42_156:
	s_or_b32 exec_lo, exec_lo, s0
	s_and_b32 s1, s2, s8
	s_delay_alu instid0(SALU_CYCLE_1)
	s_and_saveexec_b32 s0, s1
	s_cbranch_execnz .LBB42_171
.LBB42_157:
	s_or_b32 exec_lo, exec_lo, s0
	s_and_b32 s1, s3, s8
	s_delay_alu instid0(SALU_CYCLE_1)
	s_and_saveexec_b32 s0, s1
	s_cbranch_execnz .LBB42_175
.LBB42_158:
	s_or_b32 exec_lo, exec_lo, s0
	s_and_b32 s1, s4, s8
	s_delay_alu instid0(SALU_CYCLE_1)
	s_and_saveexec_b32 s0, s1
	s_cbranch_execnz .LBB42_179
.LBB42_159:
	s_or_b32 exec_lo, exec_lo, s0
	s_and_b32 s1, s5, s8
	s_delay_alu instid0(SALU_CYCLE_1)
	s_and_saveexec_b32 s0, s1
	s_cbranch_execnz .LBB42_183
.LBB42_160:
	s_or_b32 exec_lo, exec_lo, s0
	s_and_b32 s1, s6, s8
	s_delay_alu instid0(SALU_CYCLE_1)
	s_and_saveexec_b32 s0, s1
	s_cbranch_execnz .LBB42_187
.LBB42_161:
	s_or_b32 exec_lo, exec_lo, s0
	s_and_b32 s0, s7, s8
	s_delay_alu instid0(SALU_CYCLE_1)
	s_and_saveexec_b32 s1, s0
	s_cbranch_execnz .LBB42_191
.LBB42_162:
	s_nop 0
	s_sendmsg sendmsg(MSG_DEALLOC_VGPRS)
	s_endpgm
.LBB42_163:
	v_cmp_ne_u32_e32 vcc_lo, 1, v100
	v_lshlrev_b64 v[36:37], 2, v[48:49]
	s_cbranch_vccnz .LBB42_165
; %bb.164:
	s_delay_alu instid0(VALU_DEP_1) | instskip(NEXT) | instid1(VALU_DEP_2)
	v_add_co_u32 v42, vcc_lo, v40, v36
	v_add_co_ci_u32_e32 v43, vcc_lo, v41, v37, vcc_lo
	flat_load_b32 v42, v[42:43]
	s_waitcnt vmcnt(0) lgkmcnt(0)
	v_mul_f32_e32 v42, s15, v42
	s_branch .LBB42_166
.LBB42_165:
	v_mov_b32_e32 v42, 0
.LBB42_166:
	v_dual_max_f32 v43, v5, v5 :: v_dual_max_f32 v44, v4, v4
	v_dual_max_f32 v33, v33, v33 :: v_dual_max_f32 v32, v32, v32
	v_max_f32_e32 v45, v6, v6
	s_delay_alu instid0(VALU_DEP_2) | instskip(NEXT) | instid1(VALU_DEP_3)
	v_dual_max_f32 v34, v34, v34 :: v_dual_min_f32 v33, v33, v43
	v_dual_min_f32 v32, v32, v44 :: v_dual_max_f32 v43, v7, v7
	s_delay_alu instid0(VALU_DEP_2) | instskip(NEXT) | instid1(VALU_DEP_2)
	v_dual_min_f32 v34, v34, v45 :: v_dual_max_f32 v35, v35, v35
	v_dual_add_f32 v33, v80, v33 :: v_dual_add_f32 v32, v81, v32
	s_delay_alu instid0(VALU_DEP_1) | instskip(NEXT) | instid1(VALU_DEP_1)
	v_dual_min_f32 v35, v35, v43 :: v_dual_add_f32 v32, v32, v34
	v_add_f32_e32 v33, v33, v35
	s_delay_alu instid0(VALU_DEP_1) | instskip(NEXT) | instid1(VALU_DEP_1)
	v_add_f32_e32 v32, v32, v33
	v_add_f32_e32 v34, v32, v42
	v_add_co_u32 v32, vcc_lo, v38, v36
	v_add_co_ci_u32_e32 v33, vcc_lo, v39, v37, vcc_lo
	global_store_b32 v[32:33], v34, off
	s_or_b32 exec_lo, exec_lo, s0
	s_and_b32 s1, s1, s8
	s_delay_alu instid0(SALU_CYCLE_1)
	s_and_saveexec_b32 s0, s1
	s_cbranch_execz .LBB42_156
.LBB42_167:
	v_cmp_ne_u32_e32 vcc_lo, 1, v100
	v_lshlrev_b64 v[32:33], 2, v[50:51]
	s_cbranch_vccnz .LBB42_169
; %bb.168:
	s_delay_alu instid0(VALU_DEP_1) | instskip(NEXT) | instid1(VALU_DEP_2)
	v_add_co_u32 v34, vcc_lo, v40, v32
	v_add_co_ci_u32_e32 v35, vcc_lo, v41, v33, vcc_lo
	flat_load_b32 v34, v[34:35]
	s_waitcnt vmcnt(0) lgkmcnt(0)
	v_mul_f32_e32 v34, s15, v34
	s_branch .LBB42_170
.LBB42_169:
	v_mov_b32_e32 v34, 0
.LBB42_170:
	v_dual_max_f32 v35, v5, v5 :: v_dual_max_f32 v36, v4, v4
	v_dual_max_f32 v29, v29, v29 :: v_dual_max_f32 v28, v28, v28
	v_max_f32_e32 v37, v6, v6
	s_delay_alu instid0(VALU_DEP_2) | instskip(NEXT) | instid1(VALU_DEP_3)
	v_dual_max_f32 v30, v30, v30 :: v_dual_min_f32 v29, v29, v35
	v_dual_min_f32 v28, v28, v36 :: v_dual_max_f32 v35, v7, v7
	s_delay_alu instid0(VALU_DEP_2) | instskip(NEXT) | instid1(VALU_DEP_2)
	v_dual_min_f32 v30, v30, v37 :: v_dual_max_f32 v31, v31, v31
	v_dual_add_f32 v28, v78, v28 :: v_dual_add_f32 v29, v79, v29
	s_delay_alu instid0(VALU_DEP_1) | instskip(NEXT) | instid1(VALU_DEP_1)
	v_dual_add_f32 v28, v28, v30 :: v_dual_min_f32 v31, v31, v35
	v_add_f32_e32 v29, v29, v31
	s_delay_alu instid0(VALU_DEP_1) | instskip(NEXT) | instid1(VALU_DEP_1)
	v_add_f32_e32 v28, v28, v29
	v_add_f32_e32 v30, v28, v34
	v_add_co_u32 v28, vcc_lo, v38, v32
	v_add_co_ci_u32_e32 v29, vcc_lo, v39, v33, vcc_lo
	global_store_b32 v[28:29], v30, off
	s_or_b32 exec_lo, exec_lo, s0
	s_and_b32 s1, s2, s8
	s_delay_alu instid0(SALU_CYCLE_1)
	s_and_saveexec_b32 s0, s1
	s_cbranch_execz .LBB42_157
.LBB42_171:
	v_cmp_ne_u32_e32 vcc_lo, 1, v100
	v_lshlrev_b64 v[28:29], 2, v[52:53]
	s_cbranch_vccnz .LBB42_173
; %bb.172:
	s_delay_alu instid0(VALU_DEP_1) | instskip(NEXT) | instid1(VALU_DEP_2)
	v_add_co_u32 v30, vcc_lo, v40, v28
	v_add_co_ci_u32_e32 v31, vcc_lo, v41, v29, vcc_lo
	flat_load_b32 v30, v[30:31]
	s_waitcnt vmcnt(0) lgkmcnt(0)
	v_mul_f32_e32 v30, s15, v30
	s_branch .LBB42_174
.LBB42_173:
	v_mov_b32_e32 v30, 0
.LBB42_174:
	v_dual_max_f32 v31, v5, v5 :: v_dual_max_f32 v32, v4, v4
	v_dual_max_f32 v25, v25, v25 :: v_dual_max_f32 v24, v24, v24
	v_max_f32_e32 v33, v6, v6
	s_delay_alu instid0(VALU_DEP_2) | instskip(NEXT) | instid1(VALU_DEP_3)
	v_dual_max_f32 v26, v26, v26 :: v_dual_min_f32 v25, v25, v31
	v_dual_min_f32 v24, v24, v32 :: v_dual_max_f32 v31, v7, v7
	s_delay_alu instid0(VALU_DEP_2) | instskip(NEXT) | instid1(VALU_DEP_2)
	v_dual_min_f32 v26, v26, v33 :: v_dual_max_f32 v27, v27, v27
	v_dual_add_f32 v25, v76, v25 :: v_dual_add_f32 v24, v77, v24
	s_delay_alu instid0(VALU_DEP_1) | instskip(NEXT) | instid1(VALU_DEP_1)
	v_dual_min_f32 v27, v27, v31 :: v_dual_add_f32 v24, v24, v26
	v_add_f32_e32 v25, v25, v27
	s_delay_alu instid0(VALU_DEP_1) | instskip(NEXT) | instid1(VALU_DEP_1)
	v_add_f32_e32 v24, v24, v25
	v_add_f32_e32 v26, v24, v30
	v_add_co_u32 v24, vcc_lo, v38, v28
	v_add_co_ci_u32_e32 v25, vcc_lo, v39, v29, vcc_lo
	global_store_b32 v[24:25], v26, off
	s_or_b32 exec_lo, exec_lo, s0
	s_and_b32 s1, s3, s8
	s_delay_alu instid0(SALU_CYCLE_1)
	s_and_saveexec_b32 s0, s1
	s_cbranch_execz .LBB42_158
.LBB42_175:
	v_cmp_ne_u32_e32 vcc_lo, 1, v100
	v_lshlrev_b64 v[24:25], 2, v[54:55]
	s_cbranch_vccnz .LBB42_177
; %bb.176:
	s_delay_alu instid0(VALU_DEP_1) | instskip(NEXT) | instid1(VALU_DEP_2)
	v_add_co_u32 v26, vcc_lo, v40, v24
	v_add_co_ci_u32_e32 v27, vcc_lo, v41, v25, vcc_lo
	flat_load_b32 v26, v[26:27]
	s_waitcnt vmcnt(0) lgkmcnt(0)
	v_mul_f32_e32 v26, s15, v26
	s_branch .LBB42_178
.LBB42_177:
	v_mov_b32_e32 v26, 0
.LBB42_178:
	v_dual_max_f32 v27, v5, v5 :: v_dual_max_f32 v28, v4, v4
	v_dual_max_f32 v21, v21, v21 :: v_dual_max_f32 v20, v20, v20
	v_max_f32_e32 v29, v6, v6
	s_delay_alu instid0(VALU_DEP_2) | instskip(NEXT) | instid1(VALU_DEP_3)
	v_dual_max_f32 v22, v22, v22 :: v_dual_min_f32 v21, v21, v27
	v_dual_min_f32 v20, v20, v28 :: v_dual_max_f32 v27, v7, v7
	s_delay_alu instid0(VALU_DEP_2) | instskip(NEXT) | instid1(VALU_DEP_2)
	v_min_f32_e32 v22, v22, v29
	v_dual_add_f32 v21, v74, v21 :: v_dual_add_f32 v20, v75, v20
	s_delay_alu instid0(VALU_DEP_1) | instskip(NEXT) | instid1(VALU_DEP_1)
	v_dual_max_f32 v23, v23, v23 :: v_dual_add_f32 v20, v20, v22
	v_min_f32_e32 v23, v23, v27
	s_delay_alu instid0(VALU_DEP_1) | instskip(NEXT) | instid1(VALU_DEP_1)
	v_add_f32_e32 v21, v21, v23
	v_add_f32_e32 v20, v20, v21
	s_delay_alu instid0(VALU_DEP_1)
	v_add_f32_e32 v22, v20, v26
	v_add_co_u32 v20, vcc_lo, v38, v24
	v_add_co_ci_u32_e32 v21, vcc_lo, v39, v25, vcc_lo
	global_store_b32 v[20:21], v22, off
	s_or_b32 exec_lo, exec_lo, s0
	s_and_b32 s1, s4, s8
	s_delay_alu instid0(SALU_CYCLE_1)
	s_and_saveexec_b32 s0, s1
	s_cbranch_execz .LBB42_159
.LBB42_179:
	v_cmp_ne_u32_e32 vcc_lo, 1, v100
	v_lshlrev_b64 v[20:21], 2, v[56:57]
	s_cbranch_vccnz .LBB42_181
; %bb.180:
	s_delay_alu instid0(VALU_DEP_1) | instskip(NEXT) | instid1(VALU_DEP_2)
	v_add_co_u32 v22, vcc_lo, v40, v20
	v_add_co_ci_u32_e32 v23, vcc_lo, v41, v21, vcc_lo
	flat_load_b32 v22, v[22:23]
	s_waitcnt vmcnt(0) lgkmcnt(0)
	v_mul_f32_e32 v22, s15, v22
	s_branch .LBB42_182
.LBB42_181:
	v_mov_b32_e32 v22, 0
.LBB42_182:
	v_dual_max_f32 v23, v5, v5 :: v_dual_max_f32 v24, v4, v4
	v_dual_max_f32 v17, v17, v17 :: v_dual_max_f32 v16, v16, v16
	v_max_f32_e32 v25, v6, v6
	s_delay_alu instid0(VALU_DEP_2) | instskip(NEXT) | instid1(VALU_DEP_3)
	v_dual_max_f32 v18, v18, v18 :: v_dual_min_f32 v17, v17, v23
	v_dual_min_f32 v16, v16, v24 :: v_dual_max_f32 v23, v7, v7
	s_delay_alu instid0(VALU_DEP_2) | instskip(NEXT) | instid1(VALU_DEP_2)
	v_dual_min_f32 v18, v18, v25 :: v_dual_max_f32 v19, v19, v19
	v_dual_add_f32 v16, v72, v16 :: v_dual_add_f32 v17, v73, v17
	s_delay_alu instid0(VALU_DEP_1) | instskip(NEXT) | instid1(VALU_DEP_1)
	v_dual_add_f32 v16, v16, v18 :: v_dual_min_f32 v19, v19, v23
	v_add_f32_e32 v17, v17, v19
	s_delay_alu instid0(VALU_DEP_1) | instskip(NEXT) | instid1(VALU_DEP_1)
	v_add_f32_e32 v16, v16, v17
	v_add_f32_e32 v18, v16, v22
	v_add_co_u32 v16, vcc_lo, v38, v20
	v_add_co_ci_u32_e32 v17, vcc_lo, v39, v21, vcc_lo
	global_store_b32 v[16:17], v18, off
	s_or_b32 exec_lo, exec_lo, s0
	s_and_b32 s1, s5, s8
	s_delay_alu instid0(SALU_CYCLE_1)
	s_and_saveexec_b32 s0, s1
	s_cbranch_execz .LBB42_160
.LBB42_183:
	v_cmp_ne_u32_e32 vcc_lo, 1, v100
	v_lshlrev_b64 v[16:17], 2, v[58:59]
	s_cbranch_vccnz .LBB42_185
; %bb.184:
	s_delay_alu instid0(VALU_DEP_1) | instskip(NEXT) | instid1(VALU_DEP_2)
	v_add_co_u32 v18, vcc_lo, v40, v16
	v_add_co_ci_u32_e32 v19, vcc_lo, v41, v17, vcc_lo
	flat_load_b32 v18, v[18:19]
	s_waitcnt vmcnt(0) lgkmcnt(0)
	v_mul_f32_e32 v18, s15, v18
	s_branch .LBB42_186
.LBB42_185:
	v_mov_b32_e32 v18, 0
.LBB42_186:
	v_dual_max_f32 v19, v5, v5 :: v_dual_max_f32 v20, v4, v4
	v_dual_max_f32 v13, v13, v13 :: v_dual_max_f32 v12, v12, v12
	v_max_f32_e32 v21, v6, v6
	s_delay_alu instid0(VALU_DEP_2) | instskip(NEXT) | instid1(VALU_DEP_3)
	v_dual_max_f32 v14, v14, v14 :: v_dual_min_f32 v13, v13, v19
	v_dual_min_f32 v12, v12, v20 :: v_dual_max_f32 v19, v7, v7
	s_delay_alu instid0(VALU_DEP_2) | instskip(NEXT) | instid1(VALU_DEP_2)
	v_min_f32_e32 v14, v14, v21
	v_dual_add_f32 v13, v70, v13 :: v_dual_add_f32 v12, v71, v12
	s_delay_alu instid0(VALU_DEP_1) | instskip(NEXT) | instid1(VALU_DEP_1)
	v_dual_max_f32 v15, v15, v15 :: v_dual_add_f32 v12, v12, v14
	v_min_f32_e32 v15, v15, v19
	s_delay_alu instid0(VALU_DEP_1) | instskip(NEXT) | instid1(VALU_DEP_1)
	v_add_f32_e32 v13, v13, v15
	v_add_f32_e32 v12, v12, v13
	s_delay_alu instid0(VALU_DEP_1)
	v_add_f32_e32 v14, v12, v18
	v_add_co_u32 v12, vcc_lo, v38, v16
	v_add_co_ci_u32_e32 v13, vcc_lo, v39, v17, vcc_lo
	global_store_b32 v[12:13], v14, off
	s_or_b32 exec_lo, exec_lo, s0
	s_and_b32 s1, s6, s8
	s_delay_alu instid0(SALU_CYCLE_1)
	s_and_saveexec_b32 s0, s1
	s_cbranch_execz .LBB42_161
.LBB42_187:
	v_cmp_ne_u32_e32 vcc_lo, 1, v100
	v_lshlrev_b64 v[12:13], 2, v[60:61]
	s_cbranch_vccnz .LBB42_189
; %bb.188:
	s_delay_alu instid0(VALU_DEP_1) | instskip(NEXT) | instid1(VALU_DEP_2)
	v_add_co_u32 v14, vcc_lo, v40, v12
	v_add_co_ci_u32_e32 v15, vcc_lo, v41, v13, vcc_lo
	flat_load_b32 v14, v[14:15]
	s_waitcnt vmcnt(0) lgkmcnt(0)
	v_mul_f32_e32 v14, s15, v14
	s_branch .LBB42_190
.LBB42_189:
	v_mov_b32_e32 v14, 0
.LBB42_190:
	v_dual_max_f32 v15, v5, v5 :: v_dual_max_f32 v16, v4, v4
	v_dual_max_f32 v9, v9, v9 :: v_dual_max_f32 v8, v8, v8
	v_max_f32_e32 v17, v6, v6
	s_delay_alu instid0(VALU_DEP_2) | instskip(NEXT) | instid1(VALU_DEP_3)
	v_dual_max_f32 v10, v10, v10 :: v_dual_min_f32 v9, v9, v15
	v_dual_min_f32 v8, v8, v16 :: v_dual_max_f32 v15, v7, v7
	s_delay_alu instid0(VALU_DEP_2) | instskip(NEXT) | instid1(VALU_DEP_2)
	v_dual_min_f32 v10, v10, v17 :: v_dual_max_f32 v11, v11, v11
	v_dual_add_f32 v8, v68, v8 :: v_dual_add_f32 v9, v69, v9
	s_delay_alu instid0(VALU_DEP_1) | instskip(NEXT) | instid1(VALU_DEP_1)
	v_dual_add_f32 v8, v8, v10 :: v_dual_min_f32 v11, v11, v15
	v_add_f32_e32 v9, v9, v11
	s_delay_alu instid0(VALU_DEP_1) | instskip(NEXT) | instid1(VALU_DEP_1)
	v_add_f32_e32 v8, v8, v9
	v_add_f32_e32 v10, v8, v14
	v_add_co_u32 v8, vcc_lo, v38, v12
	v_add_co_ci_u32_e32 v9, vcc_lo, v39, v13, vcc_lo
	global_store_b32 v[8:9], v10, off
	s_or_b32 exec_lo, exec_lo, s0
	s_and_b32 s0, s7, s8
	s_delay_alu instid0(SALU_CYCLE_1)
	s_and_saveexec_b32 s1, s0
	s_cbranch_execz .LBB42_162
.LBB42_191:
	v_cmp_ne_u32_e32 vcc_lo, 1, v100
	v_lshlrev_b64 v[8:9], 2, v[62:63]
	s_cbranch_vccnz .LBB42_193
; %bb.192:
	s_delay_alu instid0(VALU_DEP_1) | instskip(NEXT) | instid1(VALU_DEP_2)
	v_add_co_u32 v10, vcc_lo, v40, v8
	v_add_co_ci_u32_e32 v11, vcc_lo, v41, v9, vcc_lo
	flat_load_b32 v10, v[10:11]
	s_waitcnt vmcnt(0) lgkmcnt(0)
	v_mul_f32_e32 v10, s15, v10
	s_branch .LBB42_194
.LBB42_193:
	v_mov_b32_e32 v10, 0
.LBB42_194:
	v_dual_max_f32 v5, v5, v5 :: v_dual_max_f32 v4, v4, v4
	v_dual_max_f32 v1, v1, v1 :: v_dual_max_f32 v0, v0, v0
	v_max_f32_e32 v6, v6, v6
	v_dual_max_f32 v2, v2, v2 :: v_dual_max_f32 v3, v3, v3
	s_delay_alu instid0(VALU_DEP_3) | instskip(NEXT) | instid1(VALU_DEP_2)
	v_dual_min_f32 v1, v1, v5 :: v_dual_min_f32 v0, v0, v4
	v_dual_max_f32 v5, v7, v7 :: v_dual_min_f32 v2, v2, v6
	s_delay_alu instid0(VALU_DEP_2) | instskip(NEXT) | instid1(VALU_DEP_1)
	v_dual_add_f32 v1, v67, v1 :: v_dual_add_f32 v0, v66, v0
	v_dual_min_f32 v3, v3, v5 :: v_dual_add_f32 v0, v0, v2
	s_delay_alu instid0(VALU_DEP_1) | instskip(NEXT) | instid1(VALU_DEP_1)
	v_add_f32_e32 v1, v1, v3
	v_add_f32_e32 v0, v0, v1
	s_delay_alu instid0(VALU_DEP_1)
	v_add_f32_e32 v2, v0, v10
	v_add_co_u32 v0, vcc_lo, v38, v8
	v_add_co_ci_u32_e32 v1, vcc_lo, v39, v9, vcc_lo
	global_store_b32 v[0:1], v2, off
	s_nop 0
	s_sendmsg sendmsg(MSG_DEALLOC_VGPRS)
	s_endpgm
	.section	.rodata,"a",@progbits
	.p2align	6, 0x0
	.amdhsa_kernel _ZN12_GLOBAL__N_120geam_min_plus_kernelIf15HIP_vector_typeIfLj2EES2_Li8ELi32ELi64ELi128ELi4ELi64ELi4ELi64ELi4ELc78ELc84ELb0ELb1ELb0EPKfKS4_KPfEEviiiT16_PT17_ilSA_ilS8_SA_ilPT18_ili26rocblas_geam_ex_operation_
		.amdhsa_group_segment_fixed_size 6144
		.amdhsa_private_segment_fixed_size 0
		.amdhsa_kernarg_size 136
		.amdhsa_user_sgpr_count 14
		.amdhsa_user_sgpr_dispatch_ptr 0
		.amdhsa_user_sgpr_queue_ptr 0
		.amdhsa_user_sgpr_kernarg_segment_ptr 1
		.amdhsa_user_sgpr_dispatch_id 0
		.amdhsa_user_sgpr_private_segment_size 0
		.amdhsa_wavefront_size32 1
		.amdhsa_uses_dynamic_stack 0
		.amdhsa_enable_private_segment 0
		.amdhsa_system_sgpr_workgroup_id_x 1
		.amdhsa_system_sgpr_workgroup_id_y 0
		.amdhsa_system_sgpr_workgroup_id_z 1
		.amdhsa_system_sgpr_workgroup_info 0
		.amdhsa_system_vgpr_workitem_id 1
		.amdhsa_next_free_vgpr 230
		.amdhsa_next_free_sgpr 29
		.amdhsa_reserve_vcc 1
		.amdhsa_float_round_mode_32 0
		.amdhsa_float_round_mode_16_64 0
		.amdhsa_float_denorm_mode_32 3
		.amdhsa_float_denorm_mode_16_64 3
		.amdhsa_dx10_clamp 1
		.amdhsa_ieee_mode 1
		.amdhsa_fp16_overflow 0
		.amdhsa_workgroup_processor_mode 1
		.amdhsa_memory_ordered 1
		.amdhsa_forward_progress 0
		.amdhsa_shared_vgpr_count 0
		.amdhsa_exception_fp_ieee_invalid_op 0
		.amdhsa_exception_fp_denorm_src 0
		.amdhsa_exception_fp_ieee_div_zero 0
		.amdhsa_exception_fp_ieee_overflow 0
		.amdhsa_exception_fp_ieee_underflow 0
		.amdhsa_exception_fp_ieee_inexact 0
		.amdhsa_exception_int_div_zero 0
	.end_amdhsa_kernel
	.section	.text._ZN12_GLOBAL__N_120geam_min_plus_kernelIf15HIP_vector_typeIfLj2EES2_Li8ELi32ELi64ELi128ELi4ELi64ELi4ELi64ELi4ELc78ELc84ELb0ELb1ELb0EPKfKS4_KPfEEviiiT16_PT17_ilSA_ilS8_SA_ilPT18_ili26rocblas_geam_ex_operation_,"axG",@progbits,_ZN12_GLOBAL__N_120geam_min_plus_kernelIf15HIP_vector_typeIfLj2EES2_Li8ELi32ELi64ELi128ELi4ELi64ELi4ELi64ELi4ELc78ELc84ELb0ELb1ELb0EPKfKS4_KPfEEviiiT16_PT17_ilSA_ilS8_SA_ilPT18_ili26rocblas_geam_ex_operation_,comdat
.Lfunc_end42:
	.size	_ZN12_GLOBAL__N_120geam_min_plus_kernelIf15HIP_vector_typeIfLj2EES2_Li8ELi32ELi64ELi128ELi4ELi64ELi4ELi64ELi4ELc78ELc84ELb0ELb1ELb0EPKfKS4_KPfEEviiiT16_PT17_ilSA_ilS8_SA_ilPT18_ili26rocblas_geam_ex_operation_, .Lfunc_end42-_ZN12_GLOBAL__N_120geam_min_plus_kernelIf15HIP_vector_typeIfLj2EES2_Li8ELi32ELi64ELi128ELi4ELi64ELi4ELi64ELi4ELc78ELc84ELb0ELb1ELb0EPKfKS4_KPfEEviiiT16_PT17_ilSA_ilS8_SA_ilPT18_ili26rocblas_geam_ex_operation_
                                        ; -- End function
	.section	.AMDGPU.csdata,"",@progbits
; Kernel info:
; codeLenInByte = 13372
; NumSgprs: 31
; NumVgprs: 230
; ScratchSize: 0
; MemoryBound: 0
; FloatMode: 240
; IeeeMode: 1
; LDSByteSize: 6144 bytes/workgroup (compile time only)
; SGPRBlocks: 3
; VGPRBlocks: 28
; NumSGPRsForWavesPerEU: 31
; NumVGPRsForWavesPerEU: 230
; Occupancy: 6
; WaveLimiterHint : 1
; COMPUTE_PGM_RSRC2:SCRATCH_EN: 0
; COMPUTE_PGM_RSRC2:USER_SGPR: 14
; COMPUTE_PGM_RSRC2:TRAP_HANDLER: 0
; COMPUTE_PGM_RSRC2:TGID_X_EN: 1
; COMPUTE_PGM_RSRC2:TGID_Y_EN: 0
; COMPUTE_PGM_RSRC2:TGID_Z_EN: 1
; COMPUTE_PGM_RSRC2:TIDIG_COMP_CNT: 1
	.section	.text._ZN12_GLOBAL__N_120geam_min_plus_kernelIf15HIP_vector_typeIfLj2EES2_Li8ELi32ELi64ELi128ELi4ELi64ELi4ELi64ELi4ELc78ELc84ELb1ELb1ELb0EfKPKfKPfEEviiiT16_PT17_ilSA_ilS8_SA_ilPT18_ili26rocblas_geam_ex_operation_,"axG",@progbits,_ZN12_GLOBAL__N_120geam_min_plus_kernelIf15HIP_vector_typeIfLj2EES2_Li8ELi32ELi64ELi128ELi4ELi64ELi4ELi64ELi4ELc78ELc84ELb1ELb1ELb0EfKPKfKPfEEviiiT16_PT17_ilSA_ilS8_SA_ilPT18_ili26rocblas_geam_ex_operation_,comdat
	.globl	_ZN12_GLOBAL__N_120geam_min_plus_kernelIf15HIP_vector_typeIfLj2EES2_Li8ELi32ELi64ELi128ELi4ELi64ELi4ELi64ELi4ELc78ELc84ELb1ELb1ELb0EfKPKfKPfEEviiiT16_PT17_ilSA_ilS8_SA_ilPT18_ili26rocblas_geam_ex_operation_ ; -- Begin function _ZN12_GLOBAL__N_120geam_min_plus_kernelIf15HIP_vector_typeIfLj2EES2_Li8ELi32ELi64ELi128ELi4ELi64ELi4ELi64ELi4ELc78ELc84ELb1ELb1ELb0EfKPKfKPfEEviiiT16_PT17_ilSA_ilS8_SA_ilPT18_ili26rocblas_geam_ex_operation_
	.p2align	8
	.type	_ZN12_GLOBAL__N_120geam_min_plus_kernelIf15HIP_vector_typeIfLj2EES2_Li8ELi32ELi64ELi128ELi4ELi64ELi4ELi64ELi4ELc78ELc84ELb1ELb1ELb0EfKPKfKPfEEviiiT16_PT17_ilSA_ilS8_SA_ilPT18_ili26rocblas_geam_ex_operation_,@function
_ZN12_GLOBAL__N_120geam_min_plus_kernelIf15HIP_vector_typeIfLj2EES2_Li8ELi32ELi64ELi128ELi4ELi64ELi4ELi64ELi4ELc78ELc84ELb1ELb1ELb0EfKPKfKPfEEviiiT16_PT17_ilSA_ilS8_SA_ilPT18_ili26rocblas_geam_ex_operation_: ; @_ZN12_GLOBAL__N_120geam_min_plus_kernelIf15HIP_vector_typeIfLj2EES2_Li8ELi32ELi64ELi128ELi4ELi64ELi4ELi64ELi4ELc78ELc84ELb1ELb1ELb0EfKPKfKPfEEviiiT16_PT17_ilSA_ilS8_SA_ilPT18_ili26rocblas_geam_ex_operation_
; %bb.0:
	s_clause 0x1
	s_load_b128 s[16:19], s[0:1], 0x0
	s_load_b128 s[4:7], s[0:1], 0x20
	s_mov_b32 s2, s15
	s_mov_b32 s3, 0
	s_waitcnt lgkmcnt(0)
	v_cmp_eq_f32_e64 s10, s19, 0
	s_delay_alu instid0(VALU_DEP_1)
	s_and_b32 vcc_lo, exec_lo, s10
	s_cbranch_vccnz .LBB43_3
; %bb.1:
	s_load_b64 s[8:9], s[0:1], 0x10
	s_lshl_b64 s[12:13], s[2:3], 3
	s_waitcnt lgkmcnt(0)
	s_add_u32 s8, s8, s12
	s_addc_u32 s9, s9, s13
	s_lshl_b64 s[4:5], s[4:5], 2
	s_load_b64 s[8:9], s[8:9], 0x0
	s_waitcnt lgkmcnt(0)
	s_add_u32 s8, s8, s4
	s_addc_u32 s9, s9, s5
	s_and_not1_b32 vcc_lo, exec_lo, s10
	s_cbranch_vccnz .LBB43_4
.LBB43_2:
	s_mov_b64 s[12:13], 0
	s_and_not1_b32 vcc_lo, exec_lo, s3
	s_cbranch_vccz .LBB43_5
	s_branch .LBB43_6
.LBB43_3:
	s_mov_b64 s[8:9], 0
	s_and_not1_b32 vcc_lo, exec_lo, s10
	s_cbranch_vccz .LBB43_2
.LBB43_4:
	s_mov_b32 s3, -1
                                        ; implicit-def: $sgpr12_sgpr13
.LBB43_5:
	s_mov_b32 s3, 0
	s_load_b64 s[10:11], s[0:1], 0x38
	s_lshl_b64 s[4:5], s[2:3], 3
	s_delay_alu instid0(SALU_CYCLE_1) | instskip(SKIP_4) | instid1(SALU_CYCLE_1)
	s_add_u32 s4, s6, s4
	s_addc_u32 s5, s7, s5
	s_load_b64 s[4:5], s[4:5], 0x0
	s_waitcnt lgkmcnt(0)
	s_lshl_b64 s[6:7], s[10:11], 2
	s_add_u32 s12, s4, s6
	s_addc_u32 s13, s5, s7
.LBB43_6:
	s_clause 0x1
	s_load_b32 s19, s[0:1], 0x40
	s_load_b128 s[4:7], s[0:1], 0x58
	s_waitcnt lgkmcnt(0)
	v_cmp_eq_f32_e64 s10, s19, 0
	v_cmp_neq_f32_e64 s22, s19, 0
	s_delay_alu instid0(VALU_DEP_2)
	s_and_b32 vcc_lo, exec_lo, s10
	s_cbranch_vccnz .LBB43_8
; %bb.7:
	s_load_b64 s[10:11], s[0:1], 0x48
	s_lshl_b64 s[20:21], s[2:3], 3
	s_waitcnt lgkmcnt(0)
	s_add_u32 s10, s10, s20
	s_addc_u32 s11, s11, s21
	s_lshl_b64 s[4:5], s[4:5], 2
	s_load_b64 s[10:11], s[10:11], 0x0
	s_waitcnt lgkmcnt(0)
	s_add_u32 s10, s10, s4
	s_addc_u32 s11, s11, s5
	s_branch .LBB43_9
.LBB43_8:
	s_mov_b64 s[10:11], 0
.LBB43_9:
	s_load_b32 s20, s[0:1], 0x18
	s_lshl_b64 s[2:3], s[2:3], 3
	v_dual_mov_b32 v9, 0 :: v_dual_and_b32 v56, 0x3ff, v0
	v_bfe_u32 v57, v0, 10, 10
	v_mov_b32_e32 v8, 0
	s_waitcnt lgkmcnt(0)
	s_ashr_i32 s21, s20, 31
	s_add_u32 s4, s6, s2
	s_addc_u32 s5, s7, s3
	s_add_i32 s2, s16, -1
	s_delay_alu instid0(SALU_CYCLE_1) | instskip(NEXT) | instid1(SALU_CYCLE_1)
	s_ashr_i32 s3, s2, 31
	s_lshr_b32 s3, s3, 26
	s_delay_alu instid0(SALU_CYCLE_1) | instskip(NEXT) | instid1(SALU_CYCLE_1)
	s_add_i32 s2, s2, s3
	s_ashr_i32 s2, s2, 6
	s_delay_alu instid0(SALU_CYCLE_1) | instskip(SKIP_2) | instid1(VALU_DEP_1)
	s_add_i32 s6, s2, 1
	s_not_b32 s2, s2
	v_cvt_f32_u32_e32 v1, s6
	v_rcp_iflag_f32_e32 v1, v1
	s_waitcnt_depctr 0xfff
	v_mul_f32_e32 v1, 0x4f7ffffe, v1
	s_delay_alu instid0(VALU_DEP_1) | instskip(NEXT) | instid1(VALU_DEP_1)
	v_cvt_u32_f32_e32 v1, v1
	v_readfirstlane_b32 s3, v1
	v_lshl_add_u32 v1, v57, 3, v56
	s_delay_alu instid0(VALU_DEP_2) | instskip(NEXT) | instid1(VALU_DEP_1)
	s_mul_i32 s2, s2, s3
	v_and_b32_e32 v7, 63, v1
	s_mul_hi_u32 s2, s3, s2
	v_lshrrev_b32_e32 v58, 6, v1
	s_add_i32 s3, s3, s2
	s_delay_alu instid0(SALU_CYCLE_1) | instskip(NEXT) | instid1(SALU_CYCLE_1)
	s_mul_hi_u32 s2, s14, s3
	s_mul_i32 s3, s2, s6
	s_add_i32 s7, s2, 1
	s_sub_i32 s3, s14, s3
	s_delay_alu instid0(SALU_CYCLE_1)
	s_sub_i32 s15, s3, s6
	s_cmp_ge_u32 s3, s6
	s_cselect_b32 s2, s7, s2
	s_cselect_b32 s3, s15, s3
	s_add_i32 s7, s2, 1
	s_cmp_ge_u32 s3, s6
	s_cselect_b32 s3, s7, s2
	s_delay_alu instid0(SALU_CYCLE_1) | instskip(SKIP_4) | instid1(SALU_CYCLE_1)
	s_mul_i32 s2, s3, s6
	s_load_b64 s[6:7], s[4:5], 0x0
	s_sub_i32 s2, s14, s2
	v_cmp_le_i32_e64 s4, s18, v58
	s_lshl_b32 s23, s2, 6
	v_or_b32_e32 v0, s23, v7
	s_delay_alu instid0(VALU_DEP_1) | instskip(SKIP_2) | instid1(SALU_CYCLE_1)
	v_cmp_le_i32_e32 vcc_lo, s16, v0
	v_ashrrev_i32_e32 v1, 31, v0
	s_or_b32 s2, s4, vcc_lo
	s_xor_b32 s2, s2, -1
	s_delay_alu instid0(SALU_CYCLE_1)
	s_and_saveexec_b32 s5, s2
	s_cbranch_execz .LBB43_11
; %bb.10:
	v_mad_i64_i32 v[2:3], null, s20, v58, 0
	v_lshlrev_b64 v[4:5], 2, v[0:1]
	s_delay_alu instid0(VALU_DEP_2) | instskip(NEXT) | instid1(VALU_DEP_1)
	v_lshlrev_b64 v[2:3], 2, v[2:3]
	v_add_co_u32 v2, s2, s8, v2
	s_delay_alu instid0(VALU_DEP_1) | instskip(NEXT) | instid1(VALU_DEP_2)
	v_add_co_ci_u32_e64 v3, s2, s9, v3, s2
	v_add_co_u32 v2, s2, v2, v4
	s_delay_alu instid0(VALU_DEP_1)
	v_add_co_ci_u32_e64 v3, s2, v3, v5, s2
	flat_load_b32 v9, v[2:3]
.LBB43_11:
	s_or_b32 exec_lo, exec_lo, s5
	s_load_b32 s14, s[0:1], 0x30
	s_lshl_b32 s24, s3, 7
	s_delay_alu instid0(SALU_CYCLE_1) | instskip(NEXT) | instid1(VALU_DEP_1)
	v_or_b32_e32 v2, s24, v7
	v_cmp_le_i32_e64 s2, s17, v2
	s_waitcnt lgkmcnt(0)
	v_mad_i64_i32 v[3:4], null, v58, s14, 0
	s_ashr_i32 s15, s14, 31
	s_delay_alu instid0(VALU_DEP_1) | instskip(NEXT) | instid1(VALU_DEP_1)
	v_lshlrev_b64 v[3:4], 2, v[3:4]
	v_add_co_u32 v5, s3, s12, v3
	s_delay_alu instid0(VALU_DEP_1) | instskip(SKIP_2) | instid1(SALU_CYCLE_1)
	v_add_co_ci_u32_e64 v6, s3, s13, v4, s3
	v_ashrrev_i32_e32 v3, 31, v2
	s_or_b32 s3, s4, s2
	s_xor_b32 s3, s3, -1
	s_delay_alu instid0(SALU_CYCLE_1)
	s_and_saveexec_b32 s5, s3
	s_cbranch_execz .LBB43_13
; %bb.12:
	v_lshlrev_b64 v[10:11], 2, v[2:3]
	s_delay_alu instid0(VALU_DEP_1) | instskip(NEXT) | instid1(VALU_DEP_1)
	v_add_co_u32 v10, s3, v5, v10
	v_add_co_ci_u32_e64 v11, s3, v6, v11, s3
	flat_load_b32 v8, v[10:11]
.LBB43_13:
	s_or_b32 exec_lo, exec_lo, s5
	v_or_b32_e32 v4, 64, v2
	v_mov_b32_e32 v10, 0
	s_delay_alu instid0(VALU_DEP_2) | instskip(SKIP_1) | instid1(VALU_DEP_2)
	v_cmp_le_i32_e64 s3, s17, v4
	v_mov_b32_e32 v4, 0
	s_or_b32 s4, s4, s3
	s_delay_alu instid0(SALU_CYCLE_1) | instskip(NEXT) | instid1(SALU_CYCLE_1)
	s_xor_b32 s4, s4, -1
	s_and_saveexec_b32 s5, s4
	s_cbranch_execz .LBB43_15
; %bb.14:
	v_lshlrev_b64 v[10:11], 2, v[2:3]
	s_delay_alu instid0(VALU_DEP_1) | instskip(NEXT) | instid1(VALU_DEP_1)
	v_add_co_u32 v5, s4, v5, v10
	v_add_co_ci_u32_e64 v6, s4, v6, v11, s4
	flat_load_b32 v10, v[5:6] offset:256
.LBB43_15:
	s_or_b32 exec_lo, exec_lo, s5
	v_add_nc_u32_e32 v5, 4, v58
	s_delay_alu instid0(VALU_DEP_1) | instskip(NEXT) | instid1(VALU_DEP_1)
	v_cmp_le_i32_e64 s4, s18, v5
	s_or_b32 s5, vcc_lo, s4
	s_delay_alu instid0(SALU_CYCLE_1) | instskip(NEXT) | instid1(SALU_CYCLE_1)
	s_xor_b32 s5, s5, -1
	s_and_saveexec_b32 s25, s5
	s_cbranch_execz .LBB43_17
; %bb.16:
	v_mad_i64_i32 v[11:12], null, s20, v5, 0
	v_lshlrev_b64 v[13:14], 2, v[0:1]
	s_delay_alu instid0(VALU_DEP_2) | instskip(NEXT) | instid1(VALU_DEP_1)
	v_lshlrev_b64 v[11:12], 2, v[11:12]
	v_add_co_u32 v4, s5, s8, v11
	s_delay_alu instid0(VALU_DEP_1) | instskip(NEXT) | instid1(VALU_DEP_2)
	v_add_co_ci_u32_e64 v6, s5, s9, v12, s5
	v_add_co_u32 v11, s5, v4, v13
	s_delay_alu instid0(VALU_DEP_1)
	v_add_co_ci_u32_e64 v12, s5, v6, v14, s5
	flat_load_b32 v4, v[11:12]
.LBB43_17:
	s_or_b32 exec_lo, exec_lo, s25
	v_mad_i64_i32 v[11:12], null, v5, s14, 0
	v_dual_mov_b32 v5, 0 :: v_dual_mov_b32 v6, 0
	s_delay_alu instid0(VALU_DEP_2) | instskip(NEXT) | instid1(VALU_DEP_1)
	v_lshlrev_b64 v[11:12], 2, v[11:12]
	v_add_co_u32 v11, s5, s12, v11
	s_delay_alu instid0(VALU_DEP_1) | instskip(SKIP_1) | instid1(SALU_CYCLE_1)
	v_add_co_ci_u32_e64 v12, s5, s13, v12, s5
	s_or_b32 s5, s2, s4
	s_xor_b32 s5, s5, -1
	s_delay_alu instid0(SALU_CYCLE_1)
	s_and_saveexec_b32 s25, s5
	s_cbranch_execz .LBB43_19
; %bb.18:
	v_lshlrev_b64 v[13:14], 2, v[2:3]
	s_delay_alu instid0(VALU_DEP_1) | instskip(NEXT) | instid1(VALU_DEP_1)
	v_add_co_u32 v13, s5, v11, v13
	v_add_co_ci_u32_e64 v14, s5, v12, v14, s5
	flat_load_b32 v6, v[13:14]
.LBB43_19:
	s_or_b32 exec_lo, exec_lo, s25
	s_or_b32 s4, s3, s4
	s_delay_alu instid0(SALU_CYCLE_1) | instskip(NEXT) | instid1(SALU_CYCLE_1)
	s_xor_b32 s4, s4, -1
	s_and_saveexec_b32 s5, s4
	s_cbranch_execz .LBB43_21
; %bb.20:
	v_lshlrev_b64 v[13:14], 2, v[2:3]
	s_delay_alu instid0(VALU_DEP_1) | instskip(NEXT) | instid1(VALU_DEP_1)
	v_add_co_u32 v11, s4, v11, v13
	v_add_co_ci_u32_e64 v12, s4, v12, v14, s4
	flat_load_b32 v5, v[11:12] offset:256
.LBB43_21:
	s_or_b32 exec_lo, exec_lo, s5
	v_lshlrev_b32_e32 v11, 2, v58
	v_lshlrev_b32_e32 v59, 4, v57
	;; [unrolled: 1-line block ×3, first 2 shown]
	s_mov_b32 s25, 0
	s_cmp_lt_i32 s18, 9
	v_lshl_add_u32 v61, v7, 4, v11
	s_waitcnt vmcnt(0)
	ds_store_b32 v61, v9 offset:4096
	s_waitcnt lgkmcnt(1)
	ds_store_2addr_stride64_b32 v61, v8, v10 offset1:4
	s_waitcnt lgkmcnt(0)
	s_barrier
	buffer_gl0_inv
	ds_load_b128 v[7:10], v59
	ds_load_b128 v[11:14], v60 offset:4096
	ds_load_b128 v[15:18], v60 offset:4224
	;; [unrolled: 1-line block ×11, first 2 shown]
	ds_store_b32 v61, v4 offset:5120
	ds_store_2addr_stride64_b32 v61, v6, v5 offset0:8 offset1:12
	s_waitcnt lgkmcnt(0)
	s_barrier
	buffer_gl0_inv
	v_dual_max_f32 v7, v7, v7 :: v_dual_max_f32 v8, v8, v8
	v_dual_max_f32 v11, v11, v11 :: v_dual_max_f32 v16, v16, v16
	;; [unrolled: 1-line block ×5, first 2 shown]
	s_delay_alu instid0(VALU_DEP_3) | instskip(NEXT) | instid1(VALU_DEP_3)
	v_dual_max_f32 v23, v23, v23 :: v_dual_min_f32 v68, v24, v8
	v_dual_min_f32 v62, v12, v8 :: v_dual_max_f32 v31, v31, v31
	s_delay_alu instid0(VALU_DEP_4)
	v_dual_max_f32 v32, v32, v32 :: v_dual_min_f32 v69, v27, v7
	v_dual_max_f32 v36, v36, v36 :: v_dual_max_f32 v35, v35, v35
	v_max_f32_e32 v39, v39, v39
	v_dual_max_f32 v43, v43, v43 :: v_dual_max_f32 v10, v10, v10
	v_dual_min_f32 v55, v11, v7 :: v_dual_min_f32 v64, v16, v8
	v_dual_min_f32 v65, v19, v7 :: v_dual_max_f32 v28, v28, v28
	v_dual_min_f32 v71, v31, v7 :: v_dual_max_f32 v40, v40, v40
	v_dual_min_f32 v72, v32, v8 :: v_dual_min_f32 v73, v35, v7
	v_max_f32_e32 v44, v44, v44
	v_dual_min_f32 v74, v36, v8 :: v_dual_max_f32 v9, v9, v9
	v_dual_min_f32 v75, v11, v43 :: v_dual_max_f32 v14, v14, v14
	s_delay_alu instid0(VALU_DEP_3)
	v_dual_max_f32 v13, v13, v13 :: v_dual_min_f32 v78, v16, v44
	v_dual_min_f32 v77, v15, v43 :: v_dual_max_f32 v18, v18, v18
	v_dual_min_f32 v79, v19, v43 :: v_dual_max_f32 v22, v22, v22
	;; [unrolled: 1-line block ×5, first 2 shown]
	v_dual_min_f32 v87, v35, v43 :: v_dual_min_f32 v88, v36, v44
	v_max_f32_e32 v47, v47, v47
	v_dual_min_f32 v43, v39, v43 :: v_dual_max_f32 v48, v48, v48
	v_max_f32_e32 v51, v51, v51
	v_dual_min_f32 v63, v15, v7 :: v_dual_min_f32 v66, v20, v8
	v_dual_min_f32 v67, v23, v7 :: v_dual_min_f32 v70, v28, v8
	;; [unrolled: 1-line block ×3, first 2 shown]
	v_dual_min_f32 v76, v12, v44 :: v_dual_max_f32 v17, v17, v17
	v_dual_min_f32 v80, v20, v44 :: v_dual_max_f32 v21, v21, v21
	v_dual_min_f32 v82, v24, v44 :: v_dual_max_f32 v25, v25, v25
	v_dual_min_f32 v84, v28, v44 :: v_dual_max_f32 v29, v29, v29
	v_min_f32_e32 v86, v32, v44
	v_dual_min_f32 v44, v40, v44 :: v_dual_min_f32 v89, v11, v47
	v_dual_max_f32 v46, v46, v46 :: v_dual_max_f32 v41, v41, v41
	v_min_f32_e32 v90, v15, v47
	v_dual_min_f32 v91, v19, v47 :: v_dual_max_f32 v52, v52, v52
	v_dual_min_f32 v93, v23, v47 :: v_dual_max_f32 v54, v54, v54
	v_dual_max_f32 v49, v49, v49 :: v_dual_min_f32 v100, v27, v47
	v_dual_max_f32 v53, v53, v53 :: v_dual_min_f32 v128, v35, v47
	v_dual_min_f32 v117, v31, v47 :: v_dual_min_f32 v94, v20, v48
	v_dual_min_f32 v47, v39, v47 :: v_dual_min_f32 v130, v28, v48
	;; [unrolled: 1-line block ×4, first 2 shown]
	v_min_f32_e32 v19, v19, v51
	v_dual_min_f32 v23, v23, v51 :: v_dual_min_f32 v16, v16, v52
	v_dual_min_f32 v27, v27, v51 :: v_dual_min_f32 v20, v20, v52
	v_min_f32_e32 v31, v31, v51
	v_dual_min_f32 v35, v35, v51 :: v_dual_min_f32 v28, v28, v52
	v_dual_min_f32 v39, v39, v51 :: v_dual_add_f32 v62, 0, v62
	v_dual_min_f32 v51, v12, v48 :: v_dual_min_f32 v96, v13, v9
	v_min_f32_e32 v95, v14, v10
	v_dual_add_f32 v55, 0, v55 :: v_dual_min_f32 v36, v36, v52
	v_dual_max_f32 v33, v33, v33 :: v_dual_max_f32 v38, v38, v38
	v_min_f32_e32 v129, v24, v48
	v_min_f32_e32 v131, v32, v48
	v_min_f32_e32 v48, v40, v48
	v_min_f32_e32 v12, v12, v52
	v_min_f32_e32 v24, v24, v52
	v_min_f32_e32 v32, v32, v52
	v_dual_min_f32 v40, v40, v52 :: v_dual_add_f32 v127, v62, v95
	v_dual_add_f32 v126, v55, v96 :: v_dual_min_f32 v55, v18, v10
	v_add_f32_e32 v52, 0, v64
	v_dual_add_f32 v62, 0, v63 :: v_dual_min_f32 v63, v17, v9
	v_add_f32_e32 v64, 0, v66
	v_dual_min_f32 v66, v22, v10 :: v_dual_add_f32 v65, 0, v65
	v_dual_min_f32 v95, v21, v9 :: v_dual_add_f32 v68, 0, v68
	v_dual_min_f32 v96, v26, v10 :: v_dual_max_f32 v37, v37, v37
	v_max_f32_e32 v42, v42, v42
	v_dual_add_f32 v124, v52, v55 :: v_dual_min_f32 v55, v25, v9
	v_dual_add_f32 v125, v62, v63 :: v_dual_add_f32 v122, v64, v66
	s_delay_alu instid0(VALU_DEP_4) | instskip(SKIP_3) | instid1(VALU_DEP_3)
	v_dual_add_f32 v123, v65, v95 :: v_dual_add_f32 v120, v68, v96
	v_dual_min_f32 v63, v30, v10 :: v_dual_add_f32 v52, 0, v67
	v_dual_min_f32 v65, v29, v9 :: v_dual_add_f32 v62, 0, v70
	v_dual_add_f32 v64, 0, v69 :: v_dual_min_f32 v67, v34, v10
	v_dual_add_f32 v66, 0, v72 :: v_dual_add_f32 v121, v52, v55
	s_delay_alu instid0(VALU_DEP_2) | instskip(SKIP_3) | instid1(VALU_DEP_3)
	v_dual_add_f32 v68, 0, v71 :: v_dual_add_f32 v119, v64, v65
	v_min_f32_e32 v69, v33, v9
	v_dual_max_f32 v45, v45, v45 :: v_dual_max_f32 v50, v50, v50
	v_dual_add_f32 v118, v62, v63 :: v_dual_add_f32 v65, 0, v73
	v_dual_add_f32 v63, v66, v67 :: v_dual_add_f32 v62, v68, v69
	;; [unrolled: 1-line block ×3, first 2 shown]
	v_dual_min_f32 v55, v38, v10 :: v_dual_min_f32 v66, v37, v9
	v_dual_add_f32 v8, 0, v8 :: v_dual_min_f32 v9, v41, v9
	v_dual_min_f32 v10, v42, v10 :: v_dual_add_f32 v67, 0, v76
	v_min_f32_e32 v68, v14, v46
	s_delay_alu instid0(VALU_DEP_4) | instskip(NEXT) | instid1(VALU_DEP_3)
	v_dual_add_f32 v64, v52, v55 :: v_dual_add_f32 v65, v65, v66
	v_dual_add_f32 v115, v8, v10 :: v_dual_add_f32 v116, v7, v9
	v_add_f32_e32 v7, 0, v75
	s_delay_alu instid0(VALU_DEP_4) | instskip(SKIP_4) | instid1(VALU_DEP_3)
	v_dual_add_f32 v113, v67, v68 :: v_dual_min_f32 v8, v13, v45
	v_dual_add_f32 v9, 0, v78 :: v_dual_add_f32 v52, 0, v77
	v_dual_min_f32 v10, v18, v46 :: v_dual_min_f32 v55, v17, v45
	v_dual_add_f32 v66, 0, v80 :: v_dual_min_f32 v67, v22, v46
	v_dual_add_f32 v68, 0, v79 :: v_dual_min_f32 v69, v21, v45
	v_dual_add_f32 v114, v7, v8 :: v_dual_add_f32 v111, v9, v10
	s_delay_alu instid0(VALU_DEP_4)
	v_dual_add_f32 v112, v52, v55 :: v_dual_add_f32 v7, 0, v82
	v_dual_min_f32 v8, v26, v46 :: v_dual_add_f32 v9, 0, v81
	v_dual_min_f32 v10, v25, v45 :: v_dual_min_f32 v55, v30, v46
	v_add_f32_e32 v52, 0, v84
	v_dual_add_f32 v110, v66, v67 :: v_dual_add_f32 v109, v68, v69
	v_dual_add_f32 v66, 0, v83 :: v_dual_min_f32 v69, v34, v46
	v_dual_min_f32 v67, v29, v45 :: v_dual_add_f32 v68, 0, v86
	v_dual_add_f32 v107, v7, v8 :: v_dual_add_f32 v108, v9, v10
	v_add_f32_e32 v105, v52, v55
	v_dual_add_f32 v7, 0, v85 :: v_dual_min_f32 v10, v38, v46
	v_dual_min_f32 v8, v33, v45 :: v_dual_add_f32 v9, 0, v88
	v_dual_add_f32 v52, 0, v87 :: v_dual_min_f32 v55, v37, v45
	v_dual_add_f32 v44, 0, v44 :: v_dual_add_f32 v43, 0, v43
	v_dual_min_f32 v46, v42, v46 :: v_dual_min_f32 v45, v41, v45
	s_delay_alu instid0(VALU_DEP_4) | instskip(NEXT) | instid1(VALU_DEP_4)
	v_dual_add_f32 v104, v7, v8 :: v_dual_add_f32 v101, v9, v10
	v_dual_add_f32 v102, v52, v55 :: v_dual_add_f32 v9, 0, v89
	s_delay_alu instid0(VALU_DEP_3) | instskip(SKIP_4) | instid1(VALU_DEP_4)
	v_dual_add_f32 v99, v44, v46 :: v_dual_add_f32 v98, v43, v45
	v_dual_add_f32 v7, 0, v51 :: v_dual_min_f32 v8, v14, v50
	v_dual_min_f32 v10, v13, v49 :: v_dual_add_f32 v43, 0, v92
	v_min_f32_e32 v44, v18, v50
	v_dual_add_f32 v45, 0, v90 :: v_dual_min_f32 v46, v17, v49
	v_dual_min_f32 v52, v22, v50 :: v_dual_add_f32 v97, v7, v8
	v_add_f32_e32 v7, 0, v91
	s_delay_alu instid0(VALU_DEP_4)
	v_dual_add_f32 v51, 0, v94 :: v_dual_add_f32 v94, v43, v44
	v_dual_add_f32 v96, v9, v10 :: v_dual_add_f32 v9, 0, v129
	v_min_f32_e32 v8, v21, v49
	v_dual_min_f32 v10, v26, v50 :: v_dual_add_f32 v43, 0, v93
	v_min_f32_e32 v44, v25, v49
	v_dual_add_f32 v95, v45, v46 :: v_dual_add_f32 v92, v51, v52
	v_add_f32_e32 v45, 0, v130
	v_dual_min_f32 v46, v30, v50 :: v_dual_add_f32 v93, v7, v8
	v_dual_add_f32 v51, 0, v100 :: v_dual_min_f32 v52, v29, v49
	v_dual_add_f32 v91, v43, v44 :: v_dual_add_f32 v90, v9, v10
	v_dual_add_f32 v7, 0, v131 :: v_dual_min_f32 v8, v34, v50
	v_add_f32_e32 v9, 0, v117
	v_dual_min_f32 v10, v33, v49 :: v_dual_add_f32 v43, 0, v132
	v_min_f32_e32 v44, v38, v50
	v_dual_add_f32 v89, v45, v46 :: v_dual_add_f32 v88, v51, v52
	v_dual_add_f32 v45, 0, v128 :: v_dual_min_f32 v46, v37, v49
	v_dual_add_f32 v87, v7, v8 :: v_dual_min_f32 v50, v42, v50
	v_dual_add_f32 v7, 0, v47 :: v_dual_add_f32 v86, v9, v10
	v_add_f32_e32 v9, 0, v12
	v_add_f32_e32 v84, v43, v44
	;; [unrolled: 1-line block ×3, first 2 shown]
	v_dual_add_f32 v12, 0, v19 :: v_dual_add_f32 v19, 0, v24
	v_dual_add_f32 v24, 0, v31 :: v_dual_min_f32 v31, v41, v49
	v_dual_add_f32 v48, 0, v48 :: v_dual_add_f32 v85, v45, v46
	v_dual_add_f32 v8, 0, v11 :: v_dual_add_f32 v15, 0, v20
	v_add_f32_e32 v20, 0, v27
	s_delay_alu instid0(VALU_DEP_4) | instskip(NEXT) | instid1(VALU_DEP_4)
	v_dual_min_f32 v14, v14, v54 :: v_dual_add_f32 v83, v7, v31
	v_dual_min_f32 v7, v13, v53 :: v_dual_add_f32 v82, v48, v50
	v_dual_add_f32 v11, 0, v16 :: v_dual_add_f32 v16, 0, v23
	v_add_f32_e32 v27, 0, v32
	v_dual_add_f32 v23, 0, v28 :: v_dual_add_f32 v28, 0, v35
	v_dual_min_f32 v13, v17, v53 :: v_dual_add_f32 v32, 0, v36
	v_dual_add_f32 v35, 0, v39 :: v_dual_add_f32 v36, 0, v40
	v_dual_add_f32 v81, v8, v7 :: v_dual_add_f32 v80, v9, v14
	v_dual_min_f32 v14, v22, v54 :: v_dual_min_f32 v7, v21, v53
	v_min_f32_e32 v9, v18, v54
	v_add_f32_e32 v78, v10, v13
	v_min_f32_e32 v10, v29, v53
	s_delay_alu instid0(VALU_DEP_4) | instskip(SKIP_4) | instid1(VALU_DEP_4)
	v_dual_add_f32 v76, v15, v14 :: v_dual_add_f32 v77, v12, v7
	v_dual_min_f32 v7, v25, v53 :: v_dual_min_f32 v8, v26, v54
	v_add_f32_e32 v79, v11, v9
	v_min_f32_e32 v9, v30, v54
	v_add_f32_e32 v72, v20, v10
	v_dual_add_f32 v75, v16, v7 :: v_dual_add_f32 v74, v19, v8
	v_dual_min_f32 v7, v33, v53 :: v_dual_min_f32 v8, v34, v54
	s_delay_alu instid0(VALU_DEP_4) | instskip(SKIP_2) | instid1(VALU_DEP_4)
	v_add_f32_e32 v73, v23, v9
	v_min_f32_e32 v9, v37, v53
	v_min_f32_e32 v11, v41, v53
	v_dual_add_f32 v71, v24, v7 :: v_dual_add_f32 v70, v27, v8
	v_min_f32_e32 v8, v38, v54
	v_min_f32_e32 v10, v42, v54
	v_dual_add_f32 v106, v66, v67 :: v_dual_add_f32 v103, v68, v69
	v_add_f32_e32 v68, v28, v9
	s_delay_alu instid0(VALU_DEP_4) | instskip(NEXT) | instid1(VALU_DEP_4)
	v_add_f32_e32 v69, v32, v8
	v_dual_add_f32 v67, v36, v10 :: v_dual_add_f32 v66, v35, v11
	s_cbranch_scc1 .LBB43_36
; %bb.22:
	v_lshlrev_b64 v[0:1], 2, v[0:1]
	v_add_nc_u32_e32 v8, 12, v58
	v_add_nc_u32_e32 v12, 8, v58
	v_or_b32_e32 v100, 0x1000, v61
	v_add_nc_u32_e32 v117, 0x1000, v60
	v_add_nc_u32_e32 v128, 0x1400, v61
	v_add_co_u32 v130, s4, s8, v0
	v_mad_i64_i32 v[4:5], null, v8, s14, 0
	v_mad_i64_i32 v[6:7], null, v8, s20, 0
	;; [unrolled: 1-line block ×4, first 2 shown]
	v_add_co_ci_u32_e64 v131, s4, s9, v1, s4
	v_lshlrev_b64 v[0:1], 2, v[2:3]
	v_lshlrev_b64 v[48:49], 2, v[4:5]
	;; [unrolled: 1-line block ×5, first 2 shown]
	v_or_b32_e32 v129, 0x800, v61
	v_add_co_u32 v134, s4, s12, v0
	v_lshl_add_u32 v132, v56, 4, 0x1400
	v_lshl_add_u32 v133, v57, 4, 0x800
	v_add_co_ci_u32_e64 v135, s4, s13, v1, s4
	s_add_i32 s26, s18, -8
	s_lshl_b64 s[8:9], s[14:15], 5
	s_lshl_b64 s[12:13], s[20:21], 5
	s_branch .LBB43_24
.LBB43_23:                              ;   in Loop: Header=BB43_24 Depth=1
	s_or_b32 exec_lo, exec_lo, s5
	v_dual_add_f32 v36, v126, v36 :: v_dual_add_f32 v41, v125, v41
	v_dual_add_f32 v40, v127, v40 :: v_dual_add_f32 v33, v121, v33
	v_dual_add_f32 v28, v124, v28 :: v_dual_add_f32 v29, v123, v29
	v_dual_add_f32 v16, v119, v16 :: v_dual_add_f32 v21, v62, v21
	v_dual_add_f32 v20, v118, v20 :: v_dual_add_f32 v25, v65, v25
	v_dual_add_f32 v24, v63, v24 :: v_dual_add_f32 v9, v116, v9
	v_dual_add_f32 v8, v64, v8 :: v_dual_add_f32 v13, v114, v13
	v_dual_add_f32 v44, v112, v44 :: v_dual_add_f32 v45, v111, v45
	v_dual_add_f32 v62, v109, v139 :: v_dual_add_f32 v63, v110, v140
	v_dual_add_f32 v64, v108, v141 :: v_dual_add_f32 v65, v107, v142
	v_dual_add_f32 v4, v101, v4 :: v_dual_add_f32 v5, v98, v5
	v_dual_add_f32 v0, v84, v0 :: v_dual_add_f32 v1, v83, v1
	v_dual_add_f32 v82, v82, v162 :: v_dual_add_f32 v77, v77, v167
	v_dual_add_f32 v80, v80, v164 :: v_dual_add_f32 v79, v79, v166
	v_dual_add_f32 v78, v78, v165 :: v_dual_add_f32 v73, v73, v172
	v_dual_add_f32 v76, v76, v168 :: v_dual_add_f32 v75, v75, v169
	v_dual_add_f32 v68, v68, v175 :: v_dual_add_f32 v101, v29, v30
	v_dual_add_f32 v43, v66, v43 :: v_dual_add_f32 v46, v67, v46
	v_dual_add_f32 v67, v36, v38 :: v_dual_add_f32 v108, v33, v31
	v_dual_add_f32 v83, v28, v34 :: v_dual_add_f32 v114, v25, v23
	v_dual_add_f32 v109, v20, v178 :: v_dual_add_f32 v116, v9, v180
	v_add_f32_e32 v112, v21, v22
	ds_load_b128 v[20:23], v59
	ds_load_b128 v[28:31], v117
	v_dual_add_f32 v12, v115, v12 :: v_dual_add_f32 v17, v113, v17
	v_add_f32_e32 v113, v8, v188
	v_dual_add_f32 v80, v80, v217 :: v_dual_add_f32 v77, v77, v10
	v_dual_add_f32 v78, v78, v214 :: v_dual_add_f32 v75, v75, v11
	ds_load_b128 v[8:11], v117 offset:128
	v_dual_add_f32 v32, v122, v32 :: v_dual_add_f32 v37, v120, v37
	v_dual_add_f32 v102, v102, v147 :: v_dual_add_f32 v97, v97, v150
	;; [unrolled: 1-line block ×5, first 2 shown]
	v_add_f32_e32 v70, v70, v174
	v_dual_add_f32 v98, v99, v148 :: v_dual_add_f32 v93, v93, v153
	v_dual_add_f32 v88, v88, v157 :: v_dual_add_f32 v81, v81, v163
	;; [unrolled: 1-line block ×4, first 2 shown]
	v_add_f32_e32 v99, v32, v35
	v_dual_add_f32 v107, v37, v39 :: v_dual_add_f32 v110, v16, v18
	v_dual_add_f32 v115, v12, v189 :: v_dual_add_f32 v118, v17, v190
	;; [unrolled: 1-line block ×7, first 2 shown]
	s_waitcnt lgkmcnt(2)
	v_dual_add_f32 v74, v74, v27 :: v_dual_max_f32 v21, v21, v21
	v_dual_add_f32 v72, v72, v2 :: v_dual_add_f32 v71, v71, v3
	v_dual_add_f32 v70, v70, v14 :: v_dual_add_f32 v69, v69, v15
	;; [unrolled: 1-line block ×3, first 2 shown]
	s_waitcnt lgkmcnt(1)
	v_dual_add_f32 v126, v46, v19 :: v_dual_max_f32 v29, v29, v29
	ds_load_b128 v[0:3], v117 offset:256
	ds_load_b128 v[4:7], v117 offset:384
	;; [unrolled: 1-line block ×5, first 2 shown]
	s_waitcnt lgkmcnt(5)
	v_dual_max_f32 v20, v20, v20 :: v_dual_max_f32 v9, v9, v9
	v_max_f32_e32 v28, v28, v28
	ds_load_b128 v[32:35], v117 offset:768
	ds_load_b128 v[36:39], v117 offset:896
	v_max_f32_e32 v8, v8, v8
	v_min_f32_e32 v140, v29, v21
	v_dual_add_f32 v120, v45, v191 :: v_dual_add_f32 v121, v44, v182
	v_min_f32_e32 v139, v28, v20
	ds_load_b128 v[40:43], v59 offset:1024
	ds_load_b128 v[44:47], v59 offset:1536
	v_add_f32_e32 v66, v66, v140
	v_dual_add_f32 v63, v63, v192 :: v_dual_add_f32 v62, v62, v183
	v_add_f32_e32 v67, v67, v139
	s_waitcnt lgkmcnt(8)
	v_dual_min_f32 v139, v9, v21 :: v_dual_max_f32 v0, v0, v0
	s_waitcnt lgkmcnt(7)
	v_dual_max_f32 v1, v1, v1 :: v_dual_max_f32 v4, v4, v4
	v_max_f32_e32 v5, v5, v5
	s_delay_alu instid0(VALU_DEP_3) | instskip(NEXT) | instid1(VALU_DEP_3)
	v_dual_add_f32 v83, v83, v139 :: v_dual_min_f32 v140, v0, v20
	v_min_f32_e32 v139, v1, v21
	v_min_f32_e32 v141, v8, v20
	s_waitcnt lgkmcnt(6)
	v_dual_max_f32 v12, v12, v12 :: v_dual_max_f32 v13, v13, v13
	v_add_f32_e32 v101, v101, v140
	v_min_f32_e32 v140, v5, v21
	v_dual_add_f32 v84, v84, v141 :: v_dual_add_f32 v99, v99, v139
	v_min_f32_e32 v141, v4, v20
	s_waitcnt lgkmcnt(5)
	v_dual_max_f32 v16, v16, v16 :: v_dual_max_f32 v17, v17, v17
	s_waitcnt lgkmcnt(3)
	v_dual_max_f32 v32, v32, v32 :: v_dual_max_f32 v25, v25, v25
	v_min_f32_e32 v139, v12, v20
	v_dual_add_f32 v107, v107, v140 :: v_dual_min_f32 v140, v13, v21
	v_add_f32_e32 v108, v108, v141
	v_min_f32_e32 v141, v17, v21
	s_waitcnt lgkmcnt(2)
	v_dual_max_f32 v33, v33, v33 :: v_dual_max_f32 v36, v36, v36
	v_add_f32_e32 v109, v109, v140
	s_delay_alu instid0(VALU_DEP_3) | instskip(SKIP_2) | instid1(VALU_DEP_3)
	v_dual_min_f32 v140, v32, v20 :: v_dual_add_f32 v111, v111, v141
	v_dual_max_f32 v37, v37, v37 :: v_dual_max_f32 v24, v24, v24
	v_dual_add_f32 v106, v106, v143 :: v_dual_add_f32 v105, v105, v144
	v_add_f32_e32 v114, v114, v140
	v_min_f32_e32 v140, v29, v25
	v_dual_add_f32 v110, v110, v139 :: v_dual_min_f32 v139, v16, v20
	v_min_f32_e32 v20, v36, v20
	v_dual_add_f32 v104, v104, v145 :: v_dual_add_f32 v103, v103, v146
	s_delay_alu instid0(VALU_DEP_4)
	v_add_f32_e32 v140, v118, v140
	v_min_f32_e32 v118, v1, v25
	v_dual_add_f32 v112, v112, v139 :: v_dual_min_f32 v139, v33, v21
	v_dual_min_f32 v21, v37, v21 :: v_dual_add_f32 v20, v116, v20
	v_min_f32_e32 v116, v8, v24
	v_dual_add_f32 v96, v96, v149 :: v_dual_add_f32 v95, v95, v151
	s_delay_alu instid0(VALU_DEP_4) | instskip(SKIP_4) | instid1(VALU_DEP_4)
	v_add_f32_e32 v113, v113, v139
	v_dual_min_f32 v139, v28, v24 :: v_dual_add_f32 v144, v63, v118
	v_add_f32_e32 v21, v115, v21
	v_min_f32_e32 v115, v9, v25
	v_dual_add_f32 v65, v65, v193 :: v_dual_add_f32 v64, v64, v184
	v_add_f32_e32 v139, v119, v139
	s_delay_alu instid0(VALU_DEP_3)
	v_dual_add_f32 v141, v121, v116 :: v_dual_add_f32 v142, v120, v115
	v_dual_min_f32 v116, v0, v24 :: v_dual_min_f32 v115, v5, v25
	v_min_f32_e32 v119, v4, v24
	v_dual_add_f32 v105, v105, v194 :: v_dual_add_f32 v106, v106, v185
	v_dual_add_f32 v103, v103, v195 :: v_dual_add_f32 v104, v104, v186
	;; [unrolled: 1-line block ×3, first 2 shown]
	v_add_f32_e32 v143, v62, v116
	v_min_f32_e32 v62, v12, v24
	v_add_f32_e32 v146, v65, v115
	v_add_f32_e32 v145, v64, v119
	v_dual_min_f32 v64, v16, v24 :: v_dual_min_f32 v65, v17, v25
	s_delay_alu instid0(VALU_DEP_4) | instskip(SKIP_1) | instid1(VALU_DEP_3)
	v_dual_min_f32 v63, v13, v25 :: v_dual_add_f32 v106, v106, v62
	v_min_f32_e32 v62, v32, v24
	v_dual_add_f32 v104, v104, v64 :: v_dual_add_f32 v103, v103, v65
	s_waitcnt lgkmcnt(1)
	v_max_f32_e32 v40, v40, v40
	v_dual_add_f32 v94, v94, v152 :: v_dual_add_f32 v91, v91, v155
	v_dual_add_f32 v98, v98, v205 :: v_dual_add_f32 v95, v95, v198
	;; [unrolled: 1-line block ×3, first 2 shown]
	v_dual_min_f32 v63, v33, v25 :: v_dual_min_f32 v24, v36, v24
	v_dual_max_f32 v41, v41, v41 :: v_dual_min_f32 v62, v28, v40
	v_dual_min_f32 v25, v37, v25 :: v_dual_min_f32 v64, v8, v40
	v_dual_add_f32 v92, v92, v154 :: v_dual_add_f32 v87, v87, v160
	v_dual_add_f32 v90, v90, v156 :: v_dual_add_f32 v89, v89, v158
	;; [unrolled: 1-line block ×4, first 2 shown]
	v_add_f32_e32 v96, v96, v62
	v_dual_min_f32 v62, v9, v41 :: v_dual_add_f32 v95, v95, v64
	v_dual_min_f32 v63, v29, v41 :: v_dual_add_f32 v92, v92, v208
	v_dual_add_f32 v89, v89, v210 :: v_dual_add_f32 v90, v90, v209
	v_dual_add_f32 v87, v87, v211 :: v_dual_min_f32 v64, v1, v41
	s_delay_alu instid0(VALU_DEP_4)
	v_dual_min_f32 v65, v4, v40 :: v_dual_add_f32 v94, v94, v62
	v_min_f32_e32 v62, v5, v41
	v_add_f32_e32 v97, v97, v63
	v_min_f32_e32 v63, v0, v40
	v_dual_add_f32 v88, v88, v201 :: v_dual_add_f32 v85, v85, v203
	v_dual_add_f32 v25, v98, v25 :: v_dual_add_f32 v92, v92, v64
	s_delay_alu instid0(VALU_DEP_3) | instskip(SKIP_3) | instid1(VALU_DEP_4)
	v_dual_add_f32 v93, v93, v63 :: v_dual_min_f32 v64, v16, v40
	v_dual_min_f32 v63, v12, v40 :: v_dual_add_f32 v90, v90, v62
	v_min_f32_e32 v62, v13, v41
	v_add_f32_e32 v91, v91, v65
	v_dual_min_f32 v65, v17, v41 :: v_dual_add_f32 v86, v86, v64
	s_waitcnt lgkmcnt(0)
	v_dual_max_f32 v44, v44, v44 :: v_dual_max_f32 v45, v45, v45
	v_dual_add_f32 v82, v82, v216 :: v_dual_add_f32 v79, v79, v218
	s_delay_alu instid0(VALU_DEP_3)
	v_dual_add_f32 v87, v87, v65 :: v_dual_add_f32 v88, v88, v63
	v_min_f32_e32 v63, v32, v40
	v_dual_add_f32 v89, v89, v62 :: v_dual_min_f32 v40, v36, v40
	v_min_f32_e32 v62, v33, v41
	v_dual_min_f32 v28, v28, v44 :: v_dual_min_f32 v9, v9, v45
	v_dual_min_f32 v0, v0, v44 :: v_dual_min_f32 v13, v13, v45
	v_dual_min_f32 v16, v16, v44 :: v_dual_min_f32 v17, v17, v45
	v_dual_min_f32 v32, v32, v44 :: v_dual_min_f32 v33, v33, v45
	v_dual_max_f32 v23, v23, v23 :: v_dual_max_f32 v30, v30, v30
	v_dual_max_f32 v31, v31, v31 :: v_dual_max_f32 v10, v10, v10
	v_dual_min_f32 v41, v37, v41 :: v_dual_min_f32 v8, v8, v44
	v_dual_add_f32 v9, v79, v9 :: v_dual_min_f32 v4, v4, v44
	v_dual_min_f32 v1, v1, v45 :: v_dual_min_f32 v12, v12, v44
	v_dual_add_f32 v16, v71, v16 :: v_dual_add_f32 v17, v70, v17
	v_dual_min_f32 v36, v36, v44 :: v_dual_add_f32 v33, v69, v33
	v_dual_max_f32 v22, v22, v22 :: v_dual_min_f32 v37, v37, v45
	v_max_f32_e32 v11, v11, v11
	v_min_f32_e32 v44, v31, v23
	v_dual_add_f32 v85, v85, v63 :: v_dual_add_f32 v148, v124, v62
	v_dual_min_f32 v29, v29, v45 :: v_dual_add_f32 v8, v78, v8
	v_dual_min_f32 v5, v5, v45 :: v_dual_add_f32 v4, v75, v4
	v_dual_add_f32 v36, v127, v36 :: v_dual_min_f32 v45, v30, v22
	v_add_f32_e32 v127, v66, v44
	v_dual_max_f32 v3, v3, v3 :: v_dual_max_f32 v2, v2, v2
	v_min_f32_e32 v44, v10, v22
	v_dual_add_f32 v37, v126, v37 :: v_dual_min_f32 v62, v11, v23
	v_dual_add_f32 v40, v125, v40 :: v_dual_add_f32 v41, v82, v41
	v_add_f32_e32 v126, v67, v45
	v_dual_max_f32 v7, v7, v7 :: v_dual_max_f32 v6, v6, v6
	s_delay_alu instid0(VALU_DEP_4) | instskip(SKIP_2) | instid1(VALU_DEP_4)
	v_dual_add_f32 v124, v83, v62 :: v_dual_add_f32 v125, v84, v44
	v_dual_min_f32 v45, v3, v23 :: v_dual_min_f32 v44, v2, v22
	v_dual_max_f32 v15, v15, v15 :: v_dual_max_f32 v14, v14, v14
	v_min_f32_e32 v62, v7, v23
	s_delay_alu instid0(VALU_DEP_3) | instskip(NEXT) | instid1(VALU_DEP_3)
	v_dual_add_f32 v122, v99, v45 :: v_dual_add_f32 v123, v101, v44
	v_dual_min_f32 v45, v6, v22 :: v_dual_min_f32 v44, v15, v23
	v_dual_max_f32 v19, v19, v19 :: v_dual_max_f32 v18, v18, v18
	s_delay_alu instid0(VALU_DEP_2) | instskip(NEXT) | instid1(VALU_DEP_3)
	v_dual_add_f32 v120, v107, v62 :: v_dual_add_f32 v121, v108, v45
	v_dual_min_f32 v45, v14, v22 :: v_dual_add_f32 v118, v109, v44
	s_delay_alu instid0(VALU_DEP_3) | instskip(NEXT) | instid1(VALU_DEP_2)
	v_dual_max_f32 v35, v35, v35 :: v_dual_min_f32 v62, v18, v22
	v_dual_min_f32 v44, v19, v23 :: v_dual_add_f32 v119, v110, v45
	s_delay_alu instid0(VALU_DEP_2) | instskip(NEXT) | instid1(VALU_DEP_3)
	v_dual_max_f32 v34, v34, v34 :: v_dual_min_f32 v45, v35, v23
	v_dual_add_f32 v62, v112, v62 :: v_dual_max_f32 v39, v39, v39
	s_delay_alu instid0(VALU_DEP_2) | instskip(NEXT) | instid1(VALU_DEP_3)
	v_dual_add_f32 v63, v111, v44 :: v_dual_min_f32 v44, v34, v22
	v_dual_max_f32 v27, v27, v27 :: v_dual_add_f32 v64, v113, v45
	s_delay_alu instid0(VALU_DEP_3) | instskip(SKIP_1) | instid1(VALU_DEP_3)
	v_dual_min_f32 v23, v39, v23 :: v_dual_max_f32 v38, v38, v38
	v_max_f32_e32 v26, v26, v26
	v_dual_add_f32 v65, v114, v44 :: v_dual_min_f32 v44, v31, v27
	s_delay_alu instid0(VALU_DEP_3) | instskip(SKIP_2) | instid1(VALU_DEP_4)
	v_dual_add_f32 v115, v21, v23 :: v_dual_min_f32 v22, v38, v22
	v_min_f32_e32 v21, v11, v27
	v_min_f32_e32 v23, v7, v27
	v_add_f32_e32 v113, v140, v44
	v_dual_add_f32 v0, v77, v0 :: v_dual_add_f32 v1, v76, v1
	s_delay_alu instid0(VALU_DEP_4) | instskip(SKIP_3) | instid1(VALU_DEP_3)
	v_dual_add_f32 v116, v20, v22 :: v_dual_add_f32 v111, v142, v21
	v_dual_min_f32 v20, v10, v26 :: v_dual_min_f32 v21, v3, v27
	v_min_f32_e32 v45, v30, v26
	v_min_f32_e32 v22, v2, v26
	v_dual_add_f32 v107, v146, v23 :: v_dual_add_f32 v112, v141, v20
	v_min_f32_e32 v20, v6, v26
	s_delay_alu instid0(VALU_DEP_3) | instskip(SKIP_2) | instid1(VALU_DEP_4)
	v_dual_add_f32 v110, v144, v21 :: v_dual_add_f32 v109, v143, v22
	v_min_f32_e32 v21, v15, v27
	v_add_f32_e32 v114, v139, v45
	v_dual_add_f32 v108, v145, v20 :: v_dual_min_f32 v23, v18, v26
	s_delay_alu instid0(VALU_DEP_3) | instskip(SKIP_2) | instid1(VALU_DEP_3)
	v_dual_min_f32 v20, v14, v26 :: v_dual_add_f32 v105, v105, v21
	v_min_f32_e32 v21, v35, v27
	v_dual_add_f32 v5, v74, v5 :: v_dual_add_f32 v12, v72, v12
	v_add_f32_e32 v106, v106, v20
	s_delay_alu instid0(VALU_DEP_3) | instskip(SKIP_3) | instid1(VALU_DEP_4)
	v_dual_min_f32 v20, v34, v26 :: v_dual_add_f32 v101, v147, v21
	v_max_f32_e32 v21, v43, v43
	v_add_f32_e32 v104, v104, v23
	v_dual_min_f32 v23, v39, v27 :: v_dual_min_f32 v26, v38, v26
	v_add_f32_e32 v102, v102, v20
	s_delay_alu instid0(VALU_DEP_4) | instskip(SKIP_1) | instid1(VALU_DEP_4)
	v_min_f32_e32 v20, v31, v21
	v_min_f32_e32 v22, v19, v27
	v_add_f32_e32 v99, v25, v23
	v_dual_add_f32 v13, v73, v13 :: v_dual_add_f32 v32, v68, v32
	s_delay_alu instid0(VALU_DEP_4) | instskip(NEXT) | instid1(VALU_DEP_4)
	v_add_f32_e32 v97, v97, v20
	v_add_f32_e32 v103, v103, v22
	v_max_f32_e32 v22, v42, v42
	v_dual_add_f32 v98, v24, v26 :: v_dual_min_f32 v23, v11, v21
	v_dual_min_f32 v25, v7, v21 :: v_dual_add_f32 v28, v81, v28
	v_add_f32_e32 v29, v80, v29
	s_delay_alu instid0(VALU_DEP_4) | instskip(SKIP_3) | instid1(VALU_DEP_3)
	v_min_f32_e32 v27, v30, v22
	v_min_f32_e32 v20, v10, v22
	v_add_f32_e32 v94, v94, v23
	v_dual_min_f32 v23, v2, v22 :: v_dual_min_f32 v24, v3, v21
	v_dual_add_f32 v96, v96, v27 :: v_dual_add_f32 v95, v95, v20
	v_add_co_u32 v134, s4, v134, s8
	s_delay_alu instid0(VALU_DEP_3) | instskip(SKIP_3) | instid1(VALU_DEP_3)
	v_dual_add_f32 v93, v93, v23 :: v_dual_add_f32 v92, v92, v24
	v_dual_min_f32 v23, v15, v21 :: v_dual_min_f32 v20, v6, v22
	v_min_f32_e32 v24, v14, v22
	v_add_co_ci_u32_e64 v135, s4, s9, v135, s4
	v_add_f32_e32 v89, v89, v23
	v_min_f32_e32 v23, v35, v21
	v_dual_add_f32 v90, v90, v25 :: v_dual_add_f32 v91, v91, v20
	v_dual_min_f32 v20, v19, v21 :: v_dual_min_f32 v25, v18, v22
	v_dual_add_f32 v88, v88, v24 :: v_dual_min_f32 v21, v39, v21
	v_max_f32_e32 v24, v47, v47
	s_delay_alu instid0(VALU_DEP_3) | instskip(SKIP_1) | instid1(VALU_DEP_3)
	v_dual_add_f32 v87, v87, v20 :: v_dual_add_f32 v86, v86, v25
	v_dual_add_f32 v84, v148, v23 :: v_dual_max_f32 v23, v46, v46
	v_dual_min_f32 v20, v34, v22 :: v_dual_min_f32 v25, v31, v24
	v_dual_min_f32 v3, v3, v24 :: v_dual_min_f32 v22, v38, v22
	v_min_f32_e32 v11, v11, v24
	s_delay_alu instid0(VALU_DEP_3)
	v_dual_add_f32 v85, v85, v20 :: v_dual_min_f32 v20, v30, v23
	v_min_f32_e32 v10, v10, v23
	v_min_f32_e32 v2, v2, v23
	v_dual_add_f32 v76, v1, v3 :: v_dual_min_f32 v1, v7, v24
	v_min_f32_e32 v3, v14, v23
	v_add_co_u32 v130, s4, v130, s12
	v_dual_add_f32 v82, v41, v21 :: v_dual_add_f32 v83, v40, v22
	s_delay_alu instid0(VALU_DEP_4) | instskip(SKIP_4) | instid1(VALU_DEP_4)
	v_dual_add_f32 v74, v5, v1 :: v_dual_min_f32 v1, v19, v24
	v_dual_add_f32 v77, v0, v2 :: v_dual_min_f32 v2, v15, v24
	v_min_f32_e32 v0, v6, v23
	v_dual_add_f32 v72, v12, v3 :: v_dual_min_f32 v3, v39, v24
	v_dual_add_f32 v80, v29, v25 :: v_dual_add_f32 v81, v28, v20
	v_add_f32_e32 v73, v13, v2
	s_delay_alu instid0(VALU_DEP_4)
	v_dual_add_f32 v75, v4, v0 :: v_dual_min_f32 v0, v18, v23
	v_dual_add_f32 v70, v17, v1 :: v_dual_min_f32 v1, v35, v24
	v_min_f32_e32 v2, v34, v23
	v_min_f32_e32 v4, v38, v23
	v_dual_add_f32 v79, v9, v11 :: v_dual_add_f32 v78, v8, v10
	v_add_f32_e32 v71, v16, v0
	s_delay_alu instid0(VALU_DEP_4) | instskip(NEXT) | instid1(VALU_DEP_4)
	v_dual_add_f32 v69, v33, v1 :: v_dual_add_f32 v68, v32, v2
	v_dual_add_f32 v67, v37, v3 :: v_dual_add_f32 v66, v36, v4
	v_add_co_ci_u32_e64 v131, s4, s13, v131, s4
	s_add_i32 s25, s25, 8
	s_waitcnt vmcnt(0)
	ds_store_b32 v128, v136
	ds_store_2addr_stride64_b32 v129, v138, v137 offset1:4
	s_cmp_ge_i32 s25, s26
	s_waitcnt lgkmcnt(0)
	s_barrier
	buffer_gl0_inv
	s_cbranch_scc1 .LBB43_36
.LBB43_24:                              ; =>This Inner Loop Header: Depth=1
	v_dual_mov_b32 v138, 0 :: v_dual_add_nc_u32 v137, s25, v58
	s_delay_alu instid0(VALU_DEP_1) | instskip(NEXT) | instid1(VALU_DEP_1)
	v_dual_mov_b32 v139, 0 :: v_dual_add_nc_u32 v0, 8, v137
	v_cmp_le_i32_e64 s4, s18, v0
	s_delay_alu instid0(VALU_DEP_1) | instskip(NEXT) | instid1(SALU_CYCLE_1)
	s_or_b32 s5, vcc_lo, s4
	s_xor_b32 s5, s5, -1
	s_delay_alu instid0(SALU_CYCLE_1)
	s_and_saveexec_b32 s14, s5
	s_cbranch_execz .LBB43_26
; %bb.25:                               ;   in Loop: Header=BB43_24 Depth=1
	v_add_co_u32 v0, s5, v130, v52
	s_delay_alu instid0(VALU_DEP_1)
	v_add_co_ci_u32_e64 v1, s5, v131, v53, s5
	flat_load_b32 v139, v[0:1]
.LBB43_26:                              ;   in Loop: Header=BB43_24 Depth=1
	s_or_b32 exec_lo, exec_lo, s14
	s_or_b32 s5, s2, s4
	s_delay_alu instid0(SALU_CYCLE_1) | instskip(NEXT) | instid1(SALU_CYCLE_1)
	s_xor_b32 s5, s5, -1
	s_and_saveexec_b32 s14, s5
	s_cbranch_execz .LBB43_28
; %bb.27:                               ;   in Loop: Header=BB43_24 Depth=1
	v_add_co_u32 v0, s5, v134, v54
	s_delay_alu instid0(VALU_DEP_1)
	v_add_co_ci_u32_e64 v1, s5, v135, v55, s5
	flat_load_b32 v138, v[0:1]
.LBB43_28:                              ;   in Loop: Header=BB43_24 Depth=1
	s_or_b32 exec_lo, exec_lo, s14
	v_mov_b32_e32 v136, 0
	v_mov_b32_e32 v140, 0
	s_or_b32 s4, s3, s4
	s_delay_alu instid0(SALU_CYCLE_1) | instskip(NEXT) | instid1(SALU_CYCLE_1)
	s_xor_b32 s4, s4, -1
	s_and_saveexec_b32 s5, s4
	s_cbranch_execz .LBB43_30
; %bb.29:                               ;   in Loop: Header=BB43_24 Depth=1
	v_add_co_u32 v0, s4, v134, v54
	s_delay_alu instid0(VALU_DEP_1)
	v_add_co_ci_u32_e64 v1, s4, v135, v55, s4
	flat_load_b32 v140, v[0:1] offset:256
.LBB43_30:                              ;   in Loop: Header=BB43_24 Depth=1
	s_or_b32 exec_lo, exec_lo, s5
	ds_load_b128 v[40:43], v132
	ds_load_b128 v[36:39], v132 offset:128
	ds_load_b128 v[32:35], v132 offset:256
	ds_load_b128 v[28:31], v132 offset:384
	ds_load_b128 v[24:27], v132 offset:512
	ds_load_b128 v[20:23], v132 offset:640
	ds_load_b128 v[16:19], v132 offset:768
	ds_load_b128 v[12:15], v132 offset:896
	ds_load_b128 v[44:47], v133
	ds_load_b128 v[8:11], v133 offset:512
	ds_load_b128 v[4:7], v133 offset:1024
	;; [unrolled: 1-line block ×3, first 2 shown]
	v_add_nc_u32_e32 v137, 12, v137
	s_waitcnt vmcnt(0) lgkmcnt(12)
	ds_store_b32 v100, v139
	ds_store_2addr_stride64_b32 v61, v138, v140 offset1:4
	s_waitcnt lgkmcnt(0)
	s_barrier
	buffer_gl0_inv
	v_cmp_le_i32_e64 s4, s18, v137
	s_delay_alu instid0(VALU_DEP_1) | instskip(NEXT) | instid1(SALU_CYCLE_1)
	s_or_b32 s5, vcc_lo, s4
	s_xor_b32 s5, s5, -1
	s_delay_alu instid0(SALU_CYCLE_1)
	s_and_saveexec_b32 s14, s5
	s_cbranch_execz .LBB43_32
; %bb.31:                               ;   in Loop: Header=BB43_24 Depth=1
	v_add_co_u32 v136, s5, v130, v50
	s_delay_alu instid0(VALU_DEP_1)
	v_add_co_ci_u32_e64 v137, s5, v131, v51, s5
	flat_load_b32 v136, v[136:137]
.LBB43_32:                              ;   in Loop: Header=BB43_24 Depth=1
	s_or_b32 exec_lo, exec_lo, s14
	v_dual_mov_b32 v137, 0 :: v_dual_mov_b32 v138, 0
	s_or_b32 s5, s2, s4
	s_delay_alu instid0(SALU_CYCLE_1) | instskip(NEXT) | instid1(SALU_CYCLE_1)
	s_xor_b32 s5, s5, -1
	s_and_saveexec_b32 s14, s5
	s_cbranch_execz .LBB43_34
; %bb.33:                               ;   in Loop: Header=BB43_24 Depth=1
	v_add_co_u32 v138, s5, v134, v48
	s_delay_alu instid0(VALU_DEP_1)
	v_add_co_ci_u32_e64 v139, s5, v135, v49, s5
	flat_load_b32 v138, v[138:139]
.LBB43_34:                              ;   in Loop: Header=BB43_24 Depth=1
	s_or_b32 exec_lo, exec_lo, s14
	v_dual_max_f32 v44, v44, v44 :: v_dual_max_f32 v45, v45, v45
	v_dual_max_f32 v171, v24, v24 :: v_dual_max_f32 v172, v25, v25
	;; [unrolled: 1-line block ×3, first 2 shown]
	v_max_f32_e32 v175, v16, v16
	v_dual_max_f32 v162, v4, v4 :: v_dual_max_f32 v179, v5, v5
	v_dual_max_f32 v163, v40, v40 :: v_dual_max_f32 v164, v41, v41
	;; [unrolled: 1-line block ×5, first 2 shown]
	v_dual_min_f32 v16, v171, v44 :: v_dual_max_f32 v149, v9, v9
	v_dual_min_f32 v24, v174, v45 :: v_dual_min_f32 v25, v175, v44
	v_dual_max_f32 v176, v17, v17 :: v_dual_max_f32 v177, v12, v12
	v_max_f32_e32 v178, v13, v13
	v_dual_max_f32 v148, v8, v8 :: v_dual_min_f32 v161, v175, v162
	v_dual_max_f32 v180, v0, v0 :: v_dual_max_f32 v181, v1, v1
	s_delay_alu instid0(VALU_DEP_4)
	v_min_f32_e32 v0, v176, v179
	v_dual_min_f32 v36, v163, v44 :: v_dual_min_f32 v37, v170, v45
	v_dual_min_f32 v40, v164, v45 :: v_dual_min_f32 v41, v165, v44
	;; [unrolled: 1-line block ×6, first 2 shown]
	v_min_f32_e32 v12, v178, v45
	v_min_f32_e32 v45, v166, v149
	v_min_f32_e32 v13, v163, v148
	v_min_f32_e32 v5, v177, v148
	v_min_f32_e32 v1, v177, v162
	v_dual_max_f32 v182, v46, v46 :: v_dual_max_f32 v183, v47, v47
	v_dual_max_f32 v213, v42, v42 :: v_dual_max_f32 v214, v43, v43
	v_dual_max_f32 v218, v38, v38 :: v_dual_min_f32 v43, v177, v180
	v_dual_min_f32 v46, v178, v181 :: v_dual_max_f32 v177, v39, v39
	v_dual_max_f32 v221, v30, v30 :: v_dual_max_f32 v222, v31, v31
	v_dual_max_f32 v225, v22, v22 :: v_dual_max_f32 v226, v23, v23
	;; [unrolled: 1-line block ×3, first 2 shown]
	s_delay_alu instid0(VALU_DEP_4) | instskip(NEXT) | instid1(VALU_DEP_4)
	v_dual_min_f32 v34, v177, v183 :: v_dual_max_f32 v223, v26, v26
	v_dual_min_f32 v31, v221, v182 :: v_dual_max_f32 v224, v27, v27
	v_max_f32_e32 v227, v18, v18
	v_dual_min_f32 v22, v225, v182 :: v_dual_max_f32 v19, v19, v19
	v_dual_max_f32 v228, v14, v14 :: v_dual_max_f32 v229, v15, v15
	v_dual_max_f32 v10, v10, v10 :: v_dual_max_f32 v11, v11, v11
	;; [unrolled: 1-line block ×4, first 2 shown]
	v_dual_min_f32 v17, v164, v149 :: v_dual_min_f32 v44, v165, v148
	v_dual_min_f32 v139, v167, v148 :: v_dual_min_f32 v140, v168, v149
	;; [unrolled: 1-line block ×12, first 2 shown]
	v_min_f32_e32 v160, v174, v179
	v_dual_min_f32 v162, v178, v179 :: v_dual_min_f32 v163, v163, v180
	v_dual_min_f32 v164, v164, v181 :: v_dual_min_f32 v165, v165, v180
	;; [unrolled: 1-line block ×7, first 2 shown]
	v_min_f32_e32 v176, v176, v181
	v_dual_min_f32 v38, v213, v182 :: v_dual_min_f32 v47, v214, v183
	v_dual_min_f32 v42, v218, v182 :: v_dual_min_f32 v35, v220, v183
	;; [unrolled: 1-line block ×5, first 2 shown]
	v_min_f32_e32 v190, v214, v11
	v_dual_min_f32 v188, v19, v183 :: v_dual_min_f32 v181, v213, v10
	v_dual_min_f32 v180, v228, v182 :: v_dual_min_f32 v189, v229, v183
	;; [unrolled: 1-line block ×19, first 2 shown]
	v_min_f32_e32 v214, v218, v230
	v_dual_min_f32 v218, v177, v231 :: v_dual_min_f32 v7, v228, v230
	v_dual_min_f32 v11, v221, v230 :: v_dual_min_f32 v14, v226, v231
	;; [unrolled: 1-line block ×3, first 2 shown]
	v_min_f32_e32 v177, v224, v231
	v_min_f32_e32 v3, v225, v230
	;; [unrolled: 1-line block ×5, first 2 shown]
	s_or_b32 s4, s3, s4
	s_delay_alu instid0(SALU_CYCLE_1) | instskip(NEXT) | instid1(SALU_CYCLE_1)
	s_xor_b32 s4, s4, -1
	s_and_saveexec_b32 s5, s4
	s_cbranch_execz .LBB43_23
; %bb.35:                               ;   in Loop: Header=BB43_24 Depth=1
	v_add_co_u32 v219, s4, v134, v48
	s_delay_alu instid0(VALU_DEP_1)
	v_add_co_ci_u32_e64 v220, s4, v135, v49, s4
	flat_load_b32 v137, v[219:220] offset:256
	s_branch .LBB43_23
.LBB43_36:
	s_clause 0x2
	s_load_b32 s12, s[0:1], 0x50
	s_load_b32 s9, s[0:1], 0x68
	s_load_b64 s[0:1], s[0:1], 0x70
	v_add_nc_u32_e32 v117, s24, v57
	ds_load_b128 v[32:35], v60 offset:5120
	ds_load_b128 v[28:31], v60 offset:5248
	;; [unrolled: 1-line block ×12, first 2 shown]
	v_add_nc_u32_e32 v48, s23, v56
	v_cmp_gt_i32_e64 s8, s17, v117
	v_cndmask_b32_e64 v100, 0, 1, s22
	s_waitcnt lgkmcnt(0)
	v_mad_i64_i32 v[49:50], null, v117, s12, 0
	v_mad_i64_i32 v[51:52], null, v117, s9, 0
	s_lshl_b64 s[0:1], s[0:1], 2
	s_delay_alu instid0(SALU_CYCLE_1) | instskip(SKIP_1) | instid1(VALU_DEP_2)
	s_add_u32 s13, s6, s0
	s_addc_u32 s14, s7, s1
	v_lshlrev_b64 v[49:50], 2, v[49:50]
	v_cmp_gt_i32_e64 s0, s16, v48
	s_delay_alu instid0(VALU_DEP_3) | instskip(NEXT) | instid1(VALU_DEP_2)
	v_lshlrev_b64 v[51:52], 2, v[51:52]
	s_and_b32 s2, s0, s8
	s_delay_alu instid0(VALU_DEP_3) | instskip(NEXT) | instid1(VALU_DEP_4)
	v_add_co_u32 v130, vcc_lo, s10, v49
	v_add_co_ci_u32_e32 v131, vcc_lo, s11, v50, vcc_lo
	s_delay_alu instid0(VALU_DEP_3) | instskip(NEXT) | instid1(VALU_DEP_4)
	v_add_co_u32 v128, vcc_lo, s13, v51
	v_add_co_ci_u32_e32 v129, vcc_lo, s14, v52, vcc_lo
	v_ashrrev_i32_e32 v49, 31, v48
	s_and_saveexec_b32 s1, s2
	s_cbranch_execz .LBB43_41
; %bb.37:
	s_delay_alu instid0(VALU_DEP_1)
	v_lshlrev_b64 v[50:51], 2, v[48:49]
	s_and_not1_b32 vcc_lo, exec_lo, s22
	s_cbranch_vccnz .LBB43_39
; %bb.38:
	s_delay_alu instid0(VALU_DEP_1) | instskip(NEXT) | instid1(VALU_DEP_2)
	v_add_co_u32 v52, vcc_lo, v130, v50
	v_add_co_ci_u32_e32 v53, vcc_lo, v131, v51, vcc_lo
	flat_load_b32 v52, v[52:53]
	s_waitcnt vmcnt(0) lgkmcnt(0)
	v_mul_f32_e32 v52, s19, v52
	s_branch .LBB43_40
.LBB43_39:
	v_mov_b32_e32 v52, 0
.LBB43_40:
	v_dual_max_f32 v53, v45, v45 :: v_dual_max_f32 v56, v32, v32
	v_dual_max_f32 v54, v33, v33 :: v_dual_max_f32 v55, v44, v44
	;; [unrolled: 1-line block ×3, first 2 shown]
	v_max_f32_e32 v59, v35, v35
	s_delay_alu instid0(VALU_DEP_3) | instskip(NEXT) | instid1(VALU_DEP_4)
	v_min_f32_e32 v53, v54, v53
	v_dual_max_f32 v54, v34, v34 :: v_dual_min_f32 v55, v56, v55
	v_add_co_u32 v50, vcc_lo, v128, v50
	v_add_co_ci_u32_e32 v51, vcc_lo, v129, v51, vcc_lo
	s_delay_alu instid0(VALU_DEP_3) | instskip(SKIP_3) | instid1(VALU_DEP_1)
	v_min_f32_e32 v54, v54, v57
	v_min_f32_e32 v56, v59, v58
	v_add_f32_e32 v53, v127, v53
	v_add_f32_e32 v55, v126, v55
	v_dual_add_f32 v53, v53, v56 :: v_dual_add_f32 v54, v55, v54
	s_delay_alu instid0(VALU_DEP_1) | instskip(NEXT) | instid1(VALU_DEP_1)
	v_add_f32_e32 v53, v54, v53
	v_add_f32_e32 v52, v53, v52
	global_store_b32 v[50:51], v52, off
.LBB43_41:
	s_or_b32 exec_lo, exec_lo, s1
	v_add_nc_u32_e32 v50, 8, v48
	s_delay_alu instid0(VALU_DEP_1) | instskip(SKIP_1) | instid1(VALU_DEP_2)
	v_cmp_gt_i32_e64 s1, s16, v50
	v_ashrrev_i32_e32 v51, 31, v50
	s_and_b32 s3, s1, s8
	s_delay_alu instid0(SALU_CYCLE_1)
	s_and_saveexec_b32 s2, s3
	s_cbranch_execz .LBB43_46
; %bb.42:
	v_cmp_ne_u32_e32 vcc_lo, 1, v100
	v_lshlrev_b64 v[52:53], 2, v[50:51]
	s_cbranch_vccnz .LBB43_44
; %bb.43:
	s_delay_alu instid0(VALU_DEP_1) | instskip(NEXT) | instid1(VALU_DEP_2)
	v_add_co_u32 v54, vcc_lo, v130, v52
	v_add_co_ci_u32_e32 v55, vcc_lo, v131, v53, vcc_lo
	flat_load_b32 v54, v[54:55]
	s_waitcnt vmcnt(0) lgkmcnt(0)
	v_mul_f32_e32 v54, s19, v54
	s_branch .LBB43_45
.LBB43_44:
	v_mov_b32_e32 v54, 0
.LBB43_45:
	v_dual_max_f32 v55, v45, v45 :: v_dual_max_f32 v58, v28, v28
	v_dual_max_f32 v56, v29, v29 :: v_dual_max_f32 v57, v44, v44
	;; [unrolled: 1-line block ×3, first 2 shown]
	v_add_co_u32 v52, vcc_lo, v128, v52
	s_delay_alu instid0(VALU_DEP_3) | instskip(NEXT) | instid1(VALU_DEP_4)
	v_dual_min_f32 v55, v56, v55 :: v_dual_max_f32 v56, v30, v30
	v_min_f32_e32 v57, v58, v57
	v_add_co_ci_u32_e32 v53, vcc_lo, v129, v53, vcc_lo
	s_delay_alu instid0(VALU_DEP_2) | instskip(NEXT) | instid1(VALU_DEP_1)
	v_dual_min_f32 v56, v56, v59 :: v_dual_add_f32 v57, v125, v57
	v_dual_max_f32 v61, v31, v31 :: v_dual_add_f32 v56, v57, v56
	s_delay_alu instid0(VALU_DEP_1) | instskip(NEXT) | instid1(VALU_DEP_1)
	v_dual_add_f32 v55, v124, v55 :: v_dual_min_f32 v58, v61, v60
	v_add_f32_e32 v55, v55, v58
	s_delay_alu instid0(VALU_DEP_1) | instskip(NEXT) | instid1(VALU_DEP_1)
	v_add_f32_e32 v55, v56, v55
	v_add_f32_e32 v54, v55, v54
	global_store_b32 v[52:53], v54, off
.LBB43_46:
	s_or_b32 exec_lo, exec_lo, s2
	v_add_nc_u32_e32 v52, 16, v48
	s_delay_alu instid0(VALU_DEP_1) | instskip(SKIP_1) | instid1(VALU_DEP_2)
	v_cmp_gt_i32_e64 s2, s16, v52
	v_ashrrev_i32_e32 v53, 31, v52
	s_and_b32 s4, s2, s8
	s_delay_alu instid0(SALU_CYCLE_1)
	s_and_saveexec_b32 s3, s4
	s_cbranch_execz .LBB43_51
; %bb.47:
	v_cmp_ne_u32_e32 vcc_lo, 1, v100
	v_lshlrev_b64 v[54:55], 2, v[52:53]
	s_cbranch_vccnz .LBB43_49
; %bb.48:
	s_delay_alu instid0(VALU_DEP_1) | instskip(NEXT) | instid1(VALU_DEP_2)
	v_add_co_u32 v56, vcc_lo, v130, v54
	v_add_co_ci_u32_e32 v57, vcc_lo, v131, v55, vcc_lo
	flat_load_b32 v56, v[56:57]
	s_waitcnt vmcnt(0) lgkmcnt(0)
	v_mul_f32_e32 v56, s19, v56
	s_branch .LBB43_50
.LBB43_49:
	v_mov_b32_e32 v56, 0
.LBB43_50:
	v_dual_max_f32 v57, v45, v45 :: v_dual_max_f32 v60, v24, v24
	v_dual_max_f32 v58, v25, v25 :: v_dual_max_f32 v59, v44, v44
	v_dual_max_f32 v61, v46, v46 :: v_dual_max_f32 v124, v47, v47
	v_max_f32_e32 v125, v27, v27
	s_delay_alu instid0(VALU_DEP_3) | instskip(NEXT) | instid1(VALU_DEP_4)
	v_min_f32_e32 v57, v58, v57
	v_dual_max_f32 v58, v26, v26 :: v_dual_min_f32 v59, v60, v59
	v_add_co_u32 v54, vcc_lo, v128, v54
	v_add_co_ci_u32_e32 v55, vcc_lo, v129, v55, vcc_lo
	s_delay_alu instid0(VALU_DEP_3) | instskip(NEXT) | instid1(VALU_DEP_4)
	v_min_f32_e32 v58, v58, v61
	v_dual_min_f32 v60, v125, v124 :: v_dual_add_f32 v59, v123, v59
	s_delay_alu instid0(VALU_DEP_1) | instskip(NEXT) | instid1(VALU_DEP_1)
	v_dual_add_f32 v57, v122, v57 :: v_dual_add_f32 v58, v59, v58
	v_add_f32_e32 v57, v57, v60
	s_delay_alu instid0(VALU_DEP_1) | instskip(NEXT) | instid1(VALU_DEP_1)
	v_add_f32_e32 v57, v58, v57
	v_add_f32_e32 v56, v57, v56
	global_store_b32 v[54:55], v56, off
.LBB43_51:
	s_or_b32 exec_lo, exec_lo, s3
	v_add_nc_u32_e32 v54, 24, v48
	s_delay_alu instid0(VALU_DEP_1) | instskip(SKIP_1) | instid1(VALU_DEP_2)
	v_cmp_gt_i32_e64 s3, s16, v54
	v_ashrrev_i32_e32 v55, 31, v54
	s_and_b32 s5, s3, s8
	s_delay_alu instid0(SALU_CYCLE_1)
	s_and_saveexec_b32 s4, s5
	s_cbranch_execz .LBB43_56
; %bb.52:
	v_cmp_ne_u32_e32 vcc_lo, 1, v100
	v_lshlrev_b64 v[56:57], 2, v[54:55]
	s_cbranch_vccnz .LBB43_54
; %bb.53:
	s_delay_alu instid0(VALU_DEP_1) | instskip(NEXT) | instid1(VALU_DEP_2)
	v_add_co_u32 v58, vcc_lo, v130, v56
	v_add_co_ci_u32_e32 v59, vcc_lo, v131, v57, vcc_lo
	flat_load_b32 v58, v[58:59]
	s_waitcnt vmcnt(0) lgkmcnt(0)
	v_mul_f32_e32 v58, s19, v58
	s_branch .LBB43_55
.LBB43_54:
	v_mov_b32_e32 v58, 0
.LBB43_55:
	v_dual_max_f32 v59, v45, v45 :: v_dual_max_f32 v122, v20, v20
	v_dual_max_f32 v60, v21, v21 :: v_dual_max_f32 v61, v44, v44
	;; [unrolled: 1-line block ×3, first 2 shown]
	v_add_co_u32 v56, vcc_lo, v128, v56
	s_delay_alu instid0(VALU_DEP_3) | instskip(NEXT) | instid1(VALU_DEP_4)
	v_dual_min_f32 v59, v60, v59 :: v_dual_max_f32 v60, v22, v22
	v_min_f32_e32 v61, v122, v61
	v_add_co_ci_u32_e32 v57, vcc_lo, v129, v57, vcc_lo
	s_delay_alu instid0(VALU_DEP_2) | instskip(NEXT) | instid1(VALU_DEP_1)
	v_dual_min_f32 v60, v60, v123 :: v_dual_add_f32 v61, v121, v61
	v_dual_max_f32 v125, v23, v23 :: v_dual_add_f32 v60, v61, v60
	s_delay_alu instid0(VALU_DEP_1) | instskip(NEXT) | instid1(VALU_DEP_1)
	v_dual_add_f32 v59, v120, v59 :: v_dual_min_f32 v120, v125, v124
	v_add_f32_e32 v59, v59, v120
	s_delay_alu instid0(VALU_DEP_1) | instskip(NEXT) | instid1(VALU_DEP_1)
	v_add_f32_e32 v59, v60, v59
	v_add_f32_e32 v58, v59, v58
	global_store_b32 v[56:57], v58, off
.LBB43_56:
	s_or_b32 exec_lo, exec_lo, s4
	v_add_nc_u32_e32 v56, 32, v48
	s_delay_alu instid0(VALU_DEP_1) | instskip(SKIP_1) | instid1(VALU_DEP_2)
	v_cmp_gt_i32_e64 s4, s16, v56
	v_ashrrev_i32_e32 v57, 31, v56
	s_and_b32 s6, s4, s8
	s_delay_alu instid0(SALU_CYCLE_1)
	s_and_saveexec_b32 s5, s6
	s_cbranch_execz .LBB43_61
; %bb.57:
	v_cmp_ne_u32_e32 vcc_lo, 1, v100
	v_lshlrev_b64 v[58:59], 2, v[56:57]
	s_cbranch_vccnz .LBB43_59
; %bb.58:
	s_delay_alu instid0(VALU_DEP_1) | instskip(NEXT) | instid1(VALU_DEP_2)
	v_add_co_u32 v60, vcc_lo, v130, v58
	v_add_co_ci_u32_e32 v61, vcc_lo, v131, v59, vcc_lo
	flat_load_b32 v60, v[60:61]
	s_waitcnt vmcnt(0) lgkmcnt(0)
	v_mul_f32_e32 v60, s19, v60
	s_branch .LBB43_60
.LBB43_59:
	v_mov_b32_e32 v60, 0
.LBB43_60:
	v_dual_max_f32 v61, v45, v45 :: v_dual_max_f32 v122, v16, v16
	v_dual_max_f32 v120, v17, v17 :: v_dual_max_f32 v121, v44, v44
	;; [unrolled: 1-line block ×3, first 2 shown]
	v_max_f32_e32 v125, v19, v19
	s_delay_alu instid0(VALU_DEP_3) | instskip(NEXT) | instid1(VALU_DEP_4)
	v_dual_min_f32 v61, v120, v61 :: v_dual_max_f32 v120, v18, v18
	v_min_f32_e32 v121, v122, v121
	v_add_co_u32 v58, vcc_lo, v128, v58
	s_delay_alu instid0(VALU_DEP_3) | instskip(NEXT) | instid1(VALU_DEP_3)
	v_dual_add_f32 v61, v118, v61 :: v_dual_min_f32 v118, v120, v123
	v_dual_min_f32 v120, v125, v124 :: v_dual_add_f32 v119, v119, v121
	v_add_co_ci_u32_e32 v59, vcc_lo, v129, v59, vcc_lo
	s_delay_alu instid0(VALU_DEP_2) | instskip(NEXT) | instid1(VALU_DEP_1)
	v_dual_add_f32 v61, v61, v120 :: v_dual_add_f32 v118, v119, v118
	v_add_f32_e32 v61, v118, v61
	s_delay_alu instid0(VALU_DEP_1)
	v_add_f32_e32 v60, v61, v60
	global_store_b32 v[58:59], v60, off
.LBB43_61:
	s_or_b32 exec_lo, exec_lo, s5
	v_add_nc_u32_e32 v58, 40, v48
	s_delay_alu instid0(VALU_DEP_1) | instskip(SKIP_1) | instid1(VALU_DEP_2)
	v_cmp_gt_i32_e64 s5, s16, v58
	v_ashrrev_i32_e32 v59, 31, v58
	s_and_b32 s7, s5, s8
	s_delay_alu instid0(SALU_CYCLE_1)
	s_and_saveexec_b32 s6, s7
	s_cbranch_execz .LBB43_66
; %bb.62:
	v_cmp_ne_u32_e32 vcc_lo, 1, v100
	v_lshlrev_b64 v[60:61], 2, v[58:59]
	s_cbranch_vccnz .LBB43_64
; %bb.63:
	s_delay_alu instid0(VALU_DEP_1) | instskip(NEXT) | instid1(VALU_DEP_2)
	v_add_co_u32 v118, vcc_lo, v130, v60
	v_add_co_ci_u32_e32 v119, vcc_lo, v131, v61, vcc_lo
	flat_load_b32 v118, v[118:119]
	s_waitcnt vmcnt(0) lgkmcnt(0)
	v_mul_f32_e32 v118, s19, v118
	s_branch .LBB43_65
.LBB43_64:
	v_mov_b32_e32 v118, 0
.LBB43_65:
	v_dual_max_f32 v119, v45, v45 :: v_dual_max_f32 v122, v12, v12
	v_dual_max_f32 v120, v13, v13 :: v_dual_max_f32 v121, v44, v44
	;; [unrolled: 1-line block ×3, first 2 shown]
	v_add_co_u32 v60, vcc_lo, v128, v60
	s_delay_alu instid0(VALU_DEP_3) | instskip(NEXT) | instid1(VALU_DEP_4)
	v_dual_min_f32 v119, v120, v119 :: v_dual_max_f32 v120, v14, v14
	v_min_f32_e32 v121, v122, v121
	v_max_f32_e32 v125, v15, v15
	v_add_co_ci_u32_e32 v61, vcc_lo, v129, v61, vcc_lo
	s_delay_alu instid0(VALU_DEP_4) | instskip(NEXT) | instid1(VALU_DEP_4)
	v_add_f32_e32 v63, v63, v119
	v_dual_min_f32 v119, v120, v123 :: v_dual_add_f32 v62, v62, v121
	s_delay_alu instid0(VALU_DEP_4) | instskip(NEXT) | instid1(VALU_DEP_1)
	v_min_f32_e32 v120, v125, v124
	v_dual_add_f32 v62, v62, v119 :: v_dual_add_f32 v63, v63, v120
	s_delay_alu instid0(VALU_DEP_1) | instskip(NEXT) | instid1(VALU_DEP_1)
	v_add_f32_e32 v62, v62, v63
	v_add_f32_e32 v62, v62, v118
	global_store_b32 v[60:61], v62, off
.LBB43_66:
	s_or_b32 exec_lo, exec_lo, s6
	v_add_nc_u32_e32 v60, 48, v48
	s_delay_alu instid0(VALU_DEP_1) | instskip(SKIP_1) | instid1(VALU_DEP_2)
	v_cmp_gt_i32_e64 s6, s16, v60
	v_ashrrev_i32_e32 v61, 31, v60
	s_and_b32 s15, s6, s8
	s_delay_alu instid0(SALU_CYCLE_1)
	s_and_saveexec_b32 s7, s15
	s_cbranch_execz .LBB43_71
; %bb.67:
	v_cmp_ne_u32_e32 vcc_lo, 1, v100
	v_lshlrev_b64 v[62:63], 2, v[60:61]
	s_cbranch_vccnz .LBB43_69
; %bb.68:
	s_delay_alu instid0(VALU_DEP_1) | instskip(NEXT) | instid1(VALU_DEP_2)
	v_add_co_u32 v118, vcc_lo, v130, v62
	v_add_co_ci_u32_e32 v119, vcc_lo, v131, v63, vcc_lo
	flat_load_b32 v118, v[118:119]
	s_waitcnt vmcnt(0) lgkmcnt(0)
	v_mul_f32_e32 v118, s19, v118
	s_branch .LBB43_70
.LBB43_69:
	v_mov_b32_e32 v118, 0
.LBB43_70:
	v_dual_max_f32 v119, v45, v45 :: v_dual_max_f32 v122, v8, v8
	v_dual_max_f32 v120, v9, v9 :: v_dual_max_f32 v121, v44, v44
	;; [unrolled: 1-line block ×3, first 2 shown]
	v_add_co_u32 v62, vcc_lo, v128, v62
	s_delay_alu instid0(VALU_DEP_3) | instskip(NEXT) | instid1(VALU_DEP_4)
	v_dual_min_f32 v119, v120, v119 :: v_dual_max_f32 v120, v10, v10
	v_min_f32_e32 v121, v122, v121
	v_add_co_ci_u32_e32 v63, vcc_lo, v129, v63, vcc_lo
	s_delay_alu instid0(VALU_DEP_3) | instskip(SKIP_3) | instid1(VALU_DEP_3)
	v_add_f32_e32 v64, v64, v119
	v_max_f32_e32 v125, v11, v11
	v_min_f32_e32 v119, v120, v123
	v_add_f32_e32 v65, v65, v121
	v_min_f32_e32 v120, v125, v124
	s_delay_alu instid0(VALU_DEP_1) | instskip(NEXT) | instid1(VALU_DEP_1)
	v_dual_add_f32 v65, v65, v119 :: v_dual_add_f32 v64, v64, v120
	v_add_f32_e32 v64, v65, v64
	s_delay_alu instid0(VALU_DEP_1)
	v_add_f32_e32 v64, v64, v118
	global_store_b32 v[62:63], v64, off
.LBB43_71:
	s_or_b32 exec_lo, exec_lo, s7
	v_add_nc_u32_e32 v62, 56, v48
	s_delay_alu instid0(VALU_DEP_1) | instskip(SKIP_1) | instid1(VALU_DEP_2)
	v_cmp_gt_i32_e64 s7, s16, v62
	v_ashrrev_i32_e32 v63, 31, v62
	s_and_b32 s15, s7, s8
	s_delay_alu instid0(SALU_CYCLE_1)
	s_and_saveexec_b32 s8, s15
	s_cbranch_execz .LBB43_76
; %bb.72:
	v_cmp_ne_u32_e32 vcc_lo, 1, v100
	v_lshlrev_b64 v[64:65], 2, v[62:63]
	s_cbranch_vccnz .LBB43_74
; %bb.73:
	s_delay_alu instid0(VALU_DEP_1) | instskip(NEXT) | instid1(VALU_DEP_2)
	v_add_co_u32 v118, vcc_lo, v130, v64
	v_add_co_ci_u32_e32 v119, vcc_lo, v131, v65, vcc_lo
	flat_load_b32 v118, v[118:119]
	s_waitcnt vmcnt(0) lgkmcnt(0)
	v_mul_f32_e32 v118, s19, v118
	s_branch .LBB43_75
.LBB43_74:
	v_mov_b32_e32 v118, 0
.LBB43_75:
	v_dual_max_f32 v45, v45, v45 :: v_dual_max_f32 v44, v44, v44
	v_dual_max_f32 v119, v1, v1 :: v_dual_max_f32 v120, v0, v0
	s_delay_alu instid0(VALU_DEP_1) | instskip(NEXT) | instid1(VALU_DEP_2)
	v_dual_max_f32 v46, v46, v46 :: v_dual_min_f32 v45, v119, v45
	v_dual_max_f32 v119, v2, v2 :: v_dual_min_f32 v44, v120, v44
	v_max_f32_e32 v47, v47, v47
	s_delay_alu instid0(VALU_DEP_2) | instskip(NEXT) | instid1(VALU_DEP_3)
	v_dual_add_f32 v45, v115, v45 :: v_dual_add_f32 v44, v116, v44
	v_min_f32_e32 v46, v119, v46
	s_delay_alu instid0(VALU_DEP_1) | instskip(NEXT) | instid1(VALU_DEP_1)
	v_dual_max_f32 v121, v3, v3 :: v_dual_add_f32 v44, v44, v46
	v_min_f32_e32 v47, v121, v47
	s_delay_alu instid0(VALU_DEP_1) | instskip(NEXT) | instid1(VALU_DEP_1)
	v_add_f32_e32 v45, v45, v47
	v_add_f32_e32 v44, v44, v45
	s_delay_alu instid0(VALU_DEP_1)
	v_add_f32_e32 v46, v44, v118
	v_add_co_u32 v44, vcc_lo, v128, v64
	v_add_co_ci_u32_e32 v45, vcc_lo, v129, v65, vcc_lo
	global_store_b32 v[44:45], v46, off
.LBB43_76:
	s_or_b32 exec_lo, exec_lo, s8
	v_add_nc_u32_e32 v64, 32, v117
	s_delay_alu instid0(VALU_DEP_1) | instskip(SKIP_2) | instid1(VALU_DEP_3)
	v_mad_i64_i32 v[44:45], null, v64, s12, 0
	v_mad_i64_i32 v[46:47], null, v64, s9, 0
	v_cmp_gt_i32_e64 s8, s17, v64
	v_lshlrev_b64 v[44:45], 2, v[44:45]
	s_delay_alu instid0(VALU_DEP_2) | instskip(NEXT) | instid1(VALU_DEP_3)
	s_and_b32 s16, s0, s8
	v_lshlrev_b64 v[46:47], 2, v[46:47]
	s_delay_alu instid0(VALU_DEP_2) | instskip(NEXT) | instid1(VALU_DEP_3)
	v_add_co_u32 v64, vcc_lo, s10, v44
	v_add_co_ci_u32_e32 v65, vcc_lo, s11, v45, vcc_lo
	s_delay_alu instid0(VALU_DEP_3) | instskip(NEXT) | instid1(VALU_DEP_4)
	v_add_co_u32 v46, vcc_lo, s13, v46
	v_add_co_ci_u32_e32 v47, vcc_lo, s14, v47, vcc_lo
	s_and_saveexec_b32 s15, s16
	s_cbranch_execnz .LBB43_84
; %bb.77:
	s_or_b32 exec_lo, exec_lo, s15
	s_and_b32 s16, s1, s8
	s_delay_alu instid0(SALU_CYCLE_1)
	s_and_saveexec_b32 s15, s16
	s_cbranch_execnz .LBB43_88
.LBB43_78:
	s_or_b32 exec_lo, exec_lo, s15
	s_and_b32 s16, s2, s8
	s_delay_alu instid0(SALU_CYCLE_1)
	s_and_saveexec_b32 s15, s16
	s_cbranch_execnz .LBB43_92
.LBB43_79:
	s_or_b32 exec_lo, exec_lo, s15
	s_and_b32 s16, s3, s8
	s_delay_alu instid0(SALU_CYCLE_1)
	s_and_saveexec_b32 s15, s16
	s_cbranch_execnz .LBB43_96
.LBB43_80:
	s_or_b32 exec_lo, exec_lo, s15
	s_and_b32 s16, s4, s8
	s_delay_alu instid0(SALU_CYCLE_1)
	s_and_saveexec_b32 s15, s16
	s_cbranch_execnz .LBB43_100
.LBB43_81:
	s_or_b32 exec_lo, exec_lo, s15
	s_and_b32 s16, s5, s8
	s_delay_alu instid0(SALU_CYCLE_1)
	s_and_saveexec_b32 s15, s16
	s_cbranch_execnz .LBB43_104
.LBB43_82:
	s_or_b32 exec_lo, exec_lo, s15
	s_and_b32 s16, s6, s8
	s_delay_alu instid0(SALU_CYCLE_1)
	s_and_saveexec_b32 s15, s16
	s_cbranch_execnz .LBB43_108
.LBB43_83:
	s_or_b32 exec_lo, exec_lo, s15
	s_and_b32 s15, s7, s8
	s_delay_alu instid0(SALU_CYCLE_1)
	s_and_saveexec_b32 s8, s15
	s_cbranch_execnz .LBB43_112
	s_branch .LBB43_116
.LBB43_84:
	v_cmp_ne_u32_e32 vcc_lo, 1, v100
	v_lshlrev_b64 v[44:45], 2, v[48:49]
	s_cbranch_vccnz .LBB43_86
; %bb.85:
	s_delay_alu instid0(VALU_DEP_1) | instskip(NEXT) | instid1(VALU_DEP_2)
	v_add_co_u32 v115, vcc_lo, v64, v44
	v_add_co_ci_u32_e32 v116, vcc_lo, v65, v45, vcc_lo
	flat_load_b32 v115, v[115:116]
	s_waitcnt vmcnt(0) lgkmcnt(0)
	v_mul_f32_e32 v115, s19, v115
	s_branch .LBB43_87
.LBB43_86:
	v_mov_b32_e32 v115, 0
.LBB43_87:
	v_dual_max_f32 v116, v41, v41 :: v_dual_max_f32 v119, v40, v40
	v_dual_max_f32 v118, v33, v33 :: v_dual_max_f32 v121, v42, v42
	;; [unrolled: 1-line block ×3, first 2 shown]
	v_add_co_u32 v44, vcc_lo, v46, v44
	s_delay_alu instid0(VALU_DEP_2) | instskip(SKIP_2) | instid1(VALU_DEP_3)
	v_dual_min_f32 v116, v118, v116 :: v_dual_min_f32 v119, v120, v119
	v_max_f32_e32 v118, v34, v34
	v_add_co_ci_u32_e32 v45, vcc_lo, v47, v45, vcc_lo
	v_dual_add_f32 v113, v113, v116 :: v_dual_max_f32 v122, v43, v43
	s_delay_alu instid0(VALU_DEP_3) | instskip(SKIP_1) | instid1(VALU_DEP_1)
	v_min_f32_e32 v116, v118, v121
	v_add_f32_e32 v114, v114, v119
	v_add_f32_e32 v114, v114, v116
	s_delay_alu instid0(VALU_DEP_4) | instskip(NEXT) | instid1(VALU_DEP_1)
	v_min_f32_e32 v118, v123, v122
	v_add_f32_e32 v113, v113, v118
	s_delay_alu instid0(VALU_DEP_1) | instskip(NEXT) | instid1(VALU_DEP_1)
	v_add_f32_e32 v113, v114, v113
	v_add_f32_e32 v113, v113, v115
	global_store_b32 v[44:45], v113, off
	s_or_b32 exec_lo, exec_lo, s15
	s_and_b32 s16, s1, s8
	s_delay_alu instid0(SALU_CYCLE_1)
	s_and_saveexec_b32 s15, s16
	s_cbranch_execz .LBB43_78
.LBB43_88:
	v_cmp_ne_u32_e32 vcc_lo, 1, v100
	v_lshlrev_b64 v[44:45], 2, v[50:51]
	s_cbranch_vccnz .LBB43_90
; %bb.89:
	s_delay_alu instid0(VALU_DEP_1) | instskip(NEXT) | instid1(VALU_DEP_2)
	v_add_co_u32 v113, vcc_lo, v64, v44
	v_add_co_ci_u32_e32 v114, vcc_lo, v65, v45, vcc_lo
	flat_load_b32 v113, v[113:114]
	s_waitcnt vmcnt(0) lgkmcnt(0)
	v_mul_f32_e32 v113, s19, v113
	s_branch .LBB43_91
.LBB43_90:
	v_mov_b32_e32 v113, 0
.LBB43_91:
	v_dual_max_f32 v114, v41, v41 :: v_dual_max_f32 v119, v42, v42
	v_dual_max_f32 v115, v29, v29 :: v_dual_max_f32 v116, v40, v40
	v_max_f32_e32 v118, v28, v28
	v_max_f32_e32 v120, v43, v43
	;; [unrolled: 1-line block ×3, first 2 shown]
	s_delay_alu instid0(VALU_DEP_4) | instskip(SKIP_3) | instid1(VALU_DEP_4)
	v_min_f32_e32 v114, v115, v114
	v_max_f32_e32 v115, v30, v30
	v_min_f32_e32 v116, v118, v116
	v_add_co_u32 v44, vcc_lo, v46, v44
	v_add_f32_e32 v111, v111, v114
	s_delay_alu instid0(VALU_DEP_4) | instskip(NEXT) | instid1(VALU_DEP_4)
	v_min_f32_e32 v114, v115, v119
	v_add_f32_e32 v112, v112, v116
	v_min_f32_e32 v115, v121, v120
	v_add_co_ci_u32_e32 v45, vcc_lo, v47, v45, vcc_lo
	s_delay_alu instid0(VALU_DEP_2) | instskip(NEXT) | instid1(VALU_DEP_1)
	v_dual_add_f32 v112, v112, v114 :: v_dual_add_f32 v111, v111, v115
	v_add_f32_e32 v111, v112, v111
	s_delay_alu instid0(VALU_DEP_1) | instskip(SKIP_3) | instid1(SALU_CYCLE_1)
	v_add_f32_e32 v111, v111, v113
	global_store_b32 v[44:45], v111, off
	s_or_b32 exec_lo, exec_lo, s15
	s_and_b32 s16, s2, s8
	s_and_saveexec_b32 s15, s16
	s_cbranch_execz .LBB43_79
.LBB43_92:
	v_cmp_ne_u32_e32 vcc_lo, 1, v100
	v_lshlrev_b64 v[44:45], 2, v[52:53]
	s_cbranch_vccnz .LBB43_94
; %bb.93:
	s_delay_alu instid0(VALU_DEP_1) | instskip(NEXT) | instid1(VALU_DEP_2)
	v_add_co_u32 v111, vcc_lo, v64, v44
	v_add_co_ci_u32_e32 v112, vcc_lo, v65, v45, vcc_lo
	flat_load_b32 v111, v[111:112]
	s_waitcnt vmcnt(0) lgkmcnt(0)
	v_mul_f32_e32 v111, s19, v111
	s_branch .LBB43_95
.LBB43_94:
	v_mov_b32_e32 v111, 0
.LBB43_95:
	v_dual_max_f32 v112, v41, v41 :: v_dual_max_f32 v115, v24, v24
	v_dual_max_f32 v113, v25, v25 :: v_dual_max_f32 v114, v40, v40
	v_dual_max_f32 v116, v42, v42 :: v_dual_max_f32 v119, v27, v27
	v_add_co_u32 v44, vcc_lo, v46, v44
	s_delay_alu instid0(VALU_DEP_3) | instskip(SKIP_1) | instid1(VALU_DEP_2)
	v_dual_min_f32 v112, v113, v112 :: v_dual_max_f32 v113, v26, v26
	v_add_co_ci_u32_e32 v45, vcc_lo, v47, v45, vcc_lo
	v_add_f32_e32 v110, v110, v112
	s_delay_alu instid0(VALU_DEP_3) | instskip(SKIP_1) | instid1(VALU_DEP_1)
	v_min_f32_e32 v112, v113, v116
	v_min_f32_e32 v114, v115, v114
	v_dual_max_f32 v118, v43, v43 :: v_dual_add_f32 v109, v109, v114
	s_delay_alu instid0(VALU_DEP_1) | instskip(NEXT) | instid1(VALU_DEP_1)
	v_min_f32_e32 v113, v119, v118
	v_dual_add_f32 v109, v109, v112 :: v_dual_add_f32 v110, v110, v113
	s_delay_alu instid0(VALU_DEP_1) | instskip(NEXT) | instid1(VALU_DEP_1)
	v_add_f32_e32 v109, v109, v110
	v_add_f32_e32 v109, v109, v111
	global_store_b32 v[44:45], v109, off
	s_or_b32 exec_lo, exec_lo, s15
	s_and_b32 s16, s3, s8
	s_delay_alu instid0(SALU_CYCLE_1)
	s_and_saveexec_b32 s15, s16
	s_cbranch_execz .LBB43_80
.LBB43_96:
	v_cmp_ne_u32_e32 vcc_lo, 1, v100
	v_lshlrev_b64 v[44:45], 2, v[54:55]
	s_cbranch_vccnz .LBB43_98
; %bb.97:
	s_delay_alu instid0(VALU_DEP_1) | instskip(NEXT) | instid1(VALU_DEP_2)
	v_add_co_u32 v109, vcc_lo, v64, v44
	v_add_co_ci_u32_e32 v110, vcc_lo, v65, v45, vcc_lo
	flat_load_b32 v109, v[109:110]
	s_waitcnt vmcnt(0) lgkmcnt(0)
	v_mul_f32_e32 v109, s19, v109
	s_branch .LBB43_99
.LBB43_98:
	v_mov_b32_e32 v109, 0
.LBB43_99:
	v_dual_max_f32 v110, v41, v41 :: v_dual_max_f32 v113, v20, v20
	v_dual_max_f32 v111, v21, v21 :: v_dual_max_f32 v112, v40, v40
	;; [unrolled: 1-line block ×3, first 2 shown]
	v_max_f32_e32 v116, v23, v23
	s_delay_alu instid0(VALU_DEP_3) | instskip(NEXT) | instid1(VALU_DEP_4)
	v_min_f32_e32 v110, v111, v110
	v_dual_max_f32 v111, v22, v22 :: v_dual_min_f32 v112, v113, v112
	v_add_co_u32 v44, vcc_lo, v46, v44
	s_delay_alu instid0(VALU_DEP_3) | instskip(NEXT) | instid1(VALU_DEP_3)
	v_add_f32_e32 v107, v107, v110
	v_dual_min_f32 v110, v111, v114 :: v_dual_min_f32 v111, v116, v115
	s_delay_alu instid0(VALU_DEP_4) | instskip(SKIP_1) | instid1(VALU_DEP_2)
	v_add_f32_e32 v108, v108, v112
	v_add_co_ci_u32_e32 v45, vcc_lo, v47, v45, vcc_lo
	v_dual_add_f32 v107, v107, v111 :: v_dual_add_f32 v108, v108, v110
	s_delay_alu instid0(VALU_DEP_1) | instskip(NEXT) | instid1(VALU_DEP_1)
	v_add_f32_e32 v107, v108, v107
	v_add_f32_e32 v107, v107, v109
	global_store_b32 v[44:45], v107, off
	s_or_b32 exec_lo, exec_lo, s15
	s_and_b32 s16, s4, s8
	s_delay_alu instid0(SALU_CYCLE_1)
	s_and_saveexec_b32 s15, s16
	s_cbranch_execz .LBB43_81
.LBB43_100:
	v_cmp_ne_u32_e32 vcc_lo, 1, v100
	v_lshlrev_b64 v[44:45], 2, v[56:57]
	s_cbranch_vccnz .LBB43_102
; %bb.101:
	s_delay_alu instid0(VALU_DEP_1) | instskip(NEXT) | instid1(VALU_DEP_2)
	v_add_co_u32 v107, vcc_lo, v64, v44
	v_add_co_ci_u32_e32 v108, vcc_lo, v65, v45, vcc_lo
	flat_load_b32 v107, v[107:108]
	s_waitcnt vmcnt(0) lgkmcnt(0)
	v_mul_f32_e32 v107, s19, v107
	s_branch .LBB43_103
.LBB43_102:
	v_mov_b32_e32 v107, 0
.LBB43_103:
	v_dual_max_f32 v108, v41, v41 :: v_dual_max_f32 v111, v16, v16
	v_dual_max_f32 v109, v17, v17 :: v_dual_max_f32 v110, v40, v40
	;; [unrolled: 1-line block ×3, first 2 shown]
	v_add_co_u32 v44, vcc_lo, v46, v44
	s_delay_alu instid0(VALU_DEP_3) | instskip(SKIP_2) | instid1(VALU_DEP_3)
	v_dual_min_f32 v108, v109, v108 :: v_dual_max_f32 v109, v18, v18
	v_max_f32_e32 v114, v19, v19
	v_add_co_ci_u32_e32 v45, vcc_lo, v47, v45, vcc_lo
	v_dual_add_f32 v105, v105, v108 :: v_dual_min_f32 v110, v111, v110
	s_delay_alu instid0(VALU_DEP_3) | instskip(NEXT) | instid1(VALU_DEP_1)
	v_dual_min_f32 v108, v109, v112 :: v_dual_min_f32 v109, v114, v113
	v_dual_add_f32 v106, v106, v110 :: v_dual_add_f32 v105, v105, v109
	s_delay_alu instid0(VALU_DEP_1) | instskip(NEXT) | instid1(VALU_DEP_1)
	v_add_f32_e32 v106, v106, v108
	v_add_f32_e32 v105, v106, v105
	s_delay_alu instid0(VALU_DEP_1) | instskip(SKIP_3) | instid1(SALU_CYCLE_1)
	v_add_f32_e32 v105, v105, v107
	global_store_b32 v[44:45], v105, off
	s_or_b32 exec_lo, exec_lo, s15
	s_and_b32 s16, s5, s8
	s_and_saveexec_b32 s15, s16
	s_cbranch_execz .LBB43_82
.LBB43_104:
	v_cmp_ne_u32_e32 vcc_lo, 1, v100
	v_lshlrev_b64 v[44:45], 2, v[58:59]
	s_cbranch_vccnz .LBB43_106
; %bb.105:
	s_delay_alu instid0(VALU_DEP_1) | instskip(NEXT) | instid1(VALU_DEP_2)
	v_add_co_u32 v105, vcc_lo, v64, v44
	v_add_co_ci_u32_e32 v106, vcc_lo, v65, v45, vcc_lo
	flat_load_b32 v105, v[105:106]
	s_waitcnt vmcnt(0) lgkmcnt(0)
	v_mul_f32_e32 v105, s19, v105
	s_branch .LBB43_107
.LBB43_106:
	v_mov_b32_e32 v105, 0
.LBB43_107:
	v_dual_max_f32 v106, v41, v41 :: v_dual_max_f32 v109, v12, v12
	v_dual_max_f32 v107, v13, v13 :: v_dual_max_f32 v108, v40, v40
	;; [unrolled: 1-line block ×3, first 2 shown]
	v_max_f32_e32 v112, v15, v15
	s_delay_alu instid0(VALU_DEP_3) | instskip(NEXT) | instid1(VALU_DEP_4)
	v_min_f32_e32 v106, v107, v106
	v_dual_max_f32 v107, v14, v14 :: v_dual_min_f32 v108, v109, v108
	v_add_co_u32 v44, vcc_lo, v46, v44
	s_delay_alu instid0(VALU_DEP_3) | instskip(NEXT) | instid1(VALU_DEP_3)
	v_add_f32_e32 v103, v103, v106
	v_dual_min_f32 v106, v107, v110 :: v_dual_min_f32 v107, v112, v111
	s_delay_alu instid0(VALU_DEP_4) | instskip(SKIP_1) | instid1(VALU_DEP_2)
	v_add_f32_e32 v104, v104, v108
	v_add_co_ci_u32_e32 v45, vcc_lo, v47, v45, vcc_lo
	v_dual_add_f32 v103, v103, v107 :: v_dual_add_f32 v104, v104, v106
	s_delay_alu instid0(VALU_DEP_1) | instskip(NEXT) | instid1(VALU_DEP_1)
	v_add_f32_e32 v103, v104, v103
	v_add_f32_e32 v103, v103, v105
	global_store_b32 v[44:45], v103, off
	s_or_b32 exec_lo, exec_lo, s15
	s_and_b32 s16, s6, s8
	s_delay_alu instid0(SALU_CYCLE_1)
	s_and_saveexec_b32 s15, s16
	s_cbranch_execz .LBB43_83
.LBB43_108:
	v_cmp_ne_u32_e32 vcc_lo, 1, v100
	v_lshlrev_b64 v[44:45], 2, v[60:61]
	s_cbranch_vccnz .LBB43_110
; %bb.109:
	s_delay_alu instid0(VALU_DEP_1) | instskip(NEXT) | instid1(VALU_DEP_2)
	v_add_co_u32 v103, vcc_lo, v64, v44
	v_add_co_ci_u32_e32 v104, vcc_lo, v65, v45, vcc_lo
	flat_load_b32 v103, v[103:104]
	s_waitcnt vmcnt(0) lgkmcnt(0)
	v_mul_f32_e32 v103, s19, v103
	s_branch .LBB43_111
.LBB43_110:
	v_mov_b32_e32 v103, 0
.LBB43_111:
	v_dual_max_f32 v104, v41, v41 :: v_dual_max_f32 v107, v8, v8
	v_dual_max_f32 v105, v9, v9 :: v_dual_max_f32 v106, v40, v40
	;; [unrolled: 1-line block ×3, first 2 shown]
	v_add_co_u32 v44, vcc_lo, v46, v44
	s_delay_alu instid0(VALU_DEP_3) | instskip(SKIP_2) | instid1(VALU_DEP_3)
	v_dual_min_f32 v104, v105, v104 :: v_dual_max_f32 v105, v10, v10
	v_max_f32_e32 v110, v11, v11
	v_add_co_ci_u32_e32 v45, vcc_lo, v47, v45, vcc_lo
	v_dual_add_f32 v101, v101, v104 :: v_dual_min_f32 v106, v107, v106
	s_delay_alu instid0(VALU_DEP_3) | instskip(NEXT) | instid1(VALU_DEP_1)
	v_dual_min_f32 v104, v105, v108 :: v_dual_min_f32 v105, v110, v109
	v_dual_add_f32 v102, v102, v106 :: v_dual_add_f32 v101, v101, v105
	s_delay_alu instid0(VALU_DEP_1) | instskip(NEXT) | instid1(VALU_DEP_1)
	v_add_f32_e32 v102, v102, v104
	v_add_f32_e32 v101, v102, v101
	s_delay_alu instid0(VALU_DEP_1) | instskip(SKIP_3) | instid1(SALU_CYCLE_1)
	v_add_f32_e32 v101, v101, v103
	global_store_b32 v[44:45], v101, off
	s_or_b32 exec_lo, exec_lo, s15
	s_and_b32 s15, s7, s8
	s_and_saveexec_b32 s8, s15
	s_cbranch_execz .LBB43_116
.LBB43_112:
	v_cmp_ne_u32_e32 vcc_lo, 1, v100
	v_lshlrev_b64 v[44:45], 2, v[62:63]
	s_cbranch_vccnz .LBB43_114
; %bb.113:
	s_delay_alu instid0(VALU_DEP_1) | instskip(NEXT) | instid1(VALU_DEP_2)
	v_add_co_u32 v64, vcc_lo, v64, v44
	v_add_co_ci_u32_e32 v65, vcc_lo, v65, v45, vcc_lo
	flat_load_b32 v64, v[64:65]
	s_waitcnt vmcnt(0) lgkmcnt(0)
	v_mul_f32_e32 v64, s19, v64
	s_branch .LBB43_115
.LBB43_114:
	v_mov_b32_e32 v64, 0
.LBB43_115:
	v_dual_max_f32 v41, v41, v41 :: v_dual_max_f32 v40, v40, v40
	v_dual_max_f32 v65, v1, v1 :: v_dual_max_f32 v42, v42, v42
	;; [unrolled: 1-line block ×3, first 2 shown]
	s_delay_alu instid0(VALU_DEP_1) | instskip(NEXT) | instid1(VALU_DEP_1)
	v_dual_max_f32 v43, v43, v43 :: v_dual_min_f32 v40, v101, v40
	v_dual_min_f32 v41, v65, v41 :: v_dual_add_f32 v40, v98, v40
	s_delay_alu instid0(VALU_DEP_1) | instskip(NEXT) | instid1(VALU_DEP_3)
	v_add_f32_e32 v41, v99, v41
	v_min_f32_e32 v43, v102, v43
	s_delay_alu instid0(VALU_DEP_1) | instskip(SKIP_1) | instid1(VALU_DEP_1)
	v_add_f32_e32 v41, v41, v43
	v_max_f32_e32 v65, v2, v2
	v_min_f32_e32 v42, v65, v42
	s_delay_alu instid0(VALU_DEP_1) | instskip(NEXT) | instid1(VALU_DEP_1)
	v_add_f32_e32 v40, v40, v42
	v_add_f32_e32 v40, v40, v41
	s_delay_alu instid0(VALU_DEP_1)
	v_add_f32_e32 v42, v40, v64
	v_add_co_u32 v40, vcc_lo, v46, v44
	v_add_co_ci_u32_e32 v41, vcc_lo, v47, v45, vcc_lo
	global_store_b32 v[40:41], v42, off
.LBB43_116:
	s_or_b32 exec_lo, exec_lo, s8
	v_add_nc_u32_e32 v44, 64, v117
	s_delay_alu instid0(VALU_DEP_1) | instskip(SKIP_2) | instid1(VALU_DEP_3)
	v_mad_i64_i32 v[40:41], null, v44, s12, 0
	v_mad_i64_i32 v[42:43], null, v44, s9, 0
	v_cmp_gt_i32_e64 s8, s17, v44
	v_lshlrev_b64 v[40:41], 2, v[40:41]
	s_delay_alu instid0(VALU_DEP_2) | instskip(NEXT) | instid1(VALU_DEP_3)
	s_and_b32 s16, s0, s8
	v_lshlrev_b64 v[42:43], 2, v[42:43]
	s_delay_alu instid0(VALU_DEP_2) | instskip(NEXT) | instid1(VALU_DEP_3)
	v_add_co_u32 v44, vcc_lo, s10, v40
	v_add_co_ci_u32_e32 v45, vcc_lo, s11, v41, vcc_lo
	s_delay_alu instid0(VALU_DEP_3) | instskip(NEXT) | instid1(VALU_DEP_4)
	v_add_co_u32 v42, vcc_lo, s13, v42
	v_add_co_ci_u32_e32 v43, vcc_lo, s14, v43, vcc_lo
	s_and_saveexec_b32 s15, s16
	s_cbranch_execnz .LBB43_124
; %bb.117:
	s_or_b32 exec_lo, exec_lo, s15
	s_and_b32 s16, s1, s8
	s_delay_alu instid0(SALU_CYCLE_1)
	s_and_saveexec_b32 s15, s16
	s_cbranch_execnz .LBB43_128
.LBB43_118:
	s_or_b32 exec_lo, exec_lo, s15
	s_and_b32 s16, s2, s8
	s_delay_alu instid0(SALU_CYCLE_1)
	s_and_saveexec_b32 s15, s16
	s_cbranch_execnz .LBB43_132
.LBB43_119:
	s_or_b32 exec_lo, exec_lo, s15
	s_and_b32 s16, s3, s8
	s_delay_alu instid0(SALU_CYCLE_1)
	s_and_saveexec_b32 s15, s16
	s_cbranch_execnz .LBB43_136
.LBB43_120:
	s_or_b32 exec_lo, exec_lo, s15
	s_and_b32 s16, s4, s8
	s_delay_alu instid0(SALU_CYCLE_1)
	s_and_saveexec_b32 s15, s16
	s_cbranch_execnz .LBB43_140
.LBB43_121:
	s_or_b32 exec_lo, exec_lo, s15
	s_and_b32 s16, s5, s8
	s_delay_alu instid0(SALU_CYCLE_1)
	s_and_saveexec_b32 s15, s16
	s_cbranch_execnz .LBB43_144
.LBB43_122:
	s_or_b32 exec_lo, exec_lo, s15
	s_and_b32 s16, s6, s8
	s_delay_alu instid0(SALU_CYCLE_1)
	s_and_saveexec_b32 s15, s16
	s_cbranch_execnz .LBB43_148
.LBB43_123:
	s_or_b32 exec_lo, exec_lo, s15
	s_and_b32 s15, s7, s8
	s_delay_alu instid0(SALU_CYCLE_1)
	s_and_saveexec_b32 s8, s15
	s_cbranch_execnz .LBB43_152
	s_branch .LBB43_156
.LBB43_124:
	v_cmp_ne_u32_e32 vcc_lo, 1, v100
	v_lshlrev_b64 v[40:41], 2, v[48:49]
	s_cbranch_vccnz .LBB43_126
; %bb.125:
	s_delay_alu instid0(VALU_DEP_1) | instskip(NEXT) | instid1(VALU_DEP_2)
	v_add_co_u32 v46, vcc_lo, v44, v40
	v_add_co_ci_u32_e32 v47, vcc_lo, v45, v41, vcc_lo
	flat_load_b32 v46, v[46:47]
	s_waitcnt vmcnt(0) lgkmcnt(0)
	v_mul_f32_e32 v46, s19, v46
	s_branch .LBB43_127
.LBB43_126:
	v_mov_b32_e32 v46, 0
.LBB43_127:
	v_dual_max_f32 v47, v37, v37 :: v_dual_max_f32 v98, v32, v32
	v_dual_max_f32 v64, v33, v33 :: v_dual_max_f32 v65, v36, v36
	;; [unrolled: 1-line block ×3, first 2 shown]
	v_add_co_u32 v40, vcc_lo, v42, v40
	s_delay_alu instid0(VALU_DEP_3) | instskip(NEXT) | instid1(VALU_DEP_4)
	v_dual_min_f32 v47, v64, v47 :: v_dual_max_f32 v64, v34, v34
	v_min_f32_e32 v65, v98, v65
	v_add_co_ci_u32_e32 v41, vcc_lo, v43, v41, vcc_lo
	s_delay_alu instid0(VALU_DEP_3) | instskip(NEXT) | instid1(VALU_DEP_4)
	v_add_f32_e32 v47, v97, v47
	v_min_f32_e32 v64, v64, v99
	s_delay_alu instid0(VALU_DEP_4) | instskip(NEXT) | instid1(VALU_DEP_1)
	v_add_f32_e32 v65, v96, v65
	v_dual_max_f32 v101, v39, v39 :: v_dual_add_f32 v64, v65, v64
	s_delay_alu instid0(VALU_DEP_1) | instskip(NEXT) | instid1(VALU_DEP_1)
	v_min_f32_e32 v97, v102, v101
	v_add_f32_e32 v47, v47, v97
	s_delay_alu instid0(VALU_DEP_1) | instskip(NEXT) | instid1(VALU_DEP_1)
	v_add_f32_e32 v47, v64, v47
	v_add_f32_e32 v46, v47, v46
	global_store_b32 v[40:41], v46, off
	s_or_b32 exec_lo, exec_lo, s15
	s_and_b32 s16, s1, s8
	s_delay_alu instid0(SALU_CYCLE_1)
	s_and_saveexec_b32 s15, s16
	s_cbranch_execz .LBB43_118
.LBB43_128:
	v_cmp_ne_u32_e32 vcc_lo, 1, v100
	v_lshlrev_b64 v[40:41], 2, v[50:51]
	s_cbranch_vccnz .LBB43_130
; %bb.129:
	s_delay_alu instid0(VALU_DEP_1) | instskip(NEXT) | instid1(VALU_DEP_2)
	v_add_co_u32 v46, vcc_lo, v44, v40
	v_add_co_ci_u32_e32 v47, vcc_lo, v45, v41, vcc_lo
	flat_load_b32 v46, v[46:47]
	s_waitcnt vmcnt(0) lgkmcnt(0)
	v_mul_f32_e32 v46, s19, v46
	s_branch .LBB43_131
.LBB43_130:
	v_mov_b32_e32 v46, 0
.LBB43_131:
	v_dual_max_f32 v47, v37, v37 :: v_dual_max_f32 v96, v28, v28
	v_dual_max_f32 v64, v29, v29 :: v_dual_max_f32 v65, v36, v36
	;; [unrolled: 1-line block ×3, first 2 shown]
	v_add_co_u32 v40, vcc_lo, v42, v40
	s_delay_alu instid0(VALU_DEP_3) | instskip(SKIP_2) | instid1(VALU_DEP_3)
	v_dual_min_f32 v47, v64, v47 :: v_dual_max_f32 v64, v30, v30
	v_max_f32_e32 v99, v31, v31
	v_add_co_ci_u32_e32 v41, vcc_lo, v43, v41, vcc_lo
	v_min_f32_e32 v64, v64, v97
	v_min_f32_e32 v65, v96, v65
	s_delay_alu instid0(VALU_DEP_4) | instskip(NEXT) | instid1(VALU_DEP_2)
	v_dual_add_f32 v47, v94, v47 :: v_dual_min_f32 v94, v99, v98
	v_add_f32_e32 v65, v95, v65
	s_delay_alu instid0(VALU_DEP_1) | instskip(NEXT) | instid1(VALU_DEP_1)
	v_dual_add_f32 v64, v65, v64 :: v_dual_add_f32 v47, v47, v94
	v_add_f32_e32 v47, v64, v47
	s_delay_alu instid0(VALU_DEP_1) | instskip(SKIP_3) | instid1(SALU_CYCLE_1)
	v_add_f32_e32 v46, v47, v46
	global_store_b32 v[40:41], v46, off
	s_or_b32 exec_lo, exec_lo, s15
	s_and_b32 s16, s2, s8
	s_and_saveexec_b32 s15, s16
	s_cbranch_execz .LBB43_119
.LBB43_132:
	v_cmp_ne_u32_e32 vcc_lo, 1, v100
	v_lshlrev_b64 v[40:41], 2, v[52:53]
	s_cbranch_vccnz .LBB43_134
; %bb.133:
	s_delay_alu instid0(VALU_DEP_1) | instskip(NEXT) | instid1(VALU_DEP_2)
	v_add_co_u32 v46, vcc_lo, v44, v40
	v_add_co_ci_u32_e32 v47, vcc_lo, v45, v41, vcc_lo
	flat_load_b32 v46, v[46:47]
	s_waitcnt vmcnt(0) lgkmcnt(0)
	v_mul_f32_e32 v46, s19, v46
	s_branch .LBB43_135
.LBB43_134:
	v_mov_b32_e32 v46, 0
.LBB43_135:
	v_dual_max_f32 v47, v37, v37 :: v_dual_max_f32 v94, v24, v24
	v_dual_max_f32 v64, v25, v25 :: v_dual_max_f32 v65, v36, v36
	v_dual_max_f32 v95, v38, v38 :: v_dual_max_f32 v96, v39, v39
	v_add_co_u32 v40, vcc_lo, v42, v40
	s_delay_alu instid0(VALU_DEP_3) | instskip(NEXT) | instid1(VALU_DEP_4)
	v_dual_min_f32 v47, v64, v47 :: v_dual_max_f32 v64, v26, v26
	v_min_f32_e32 v65, v94, v65
	v_add_co_ci_u32_e32 v41, vcc_lo, v43, v41, vcc_lo
	s_delay_alu instid0(VALU_DEP_2) | instskip(NEXT) | instid1(VALU_DEP_1)
	v_dual_min_f32 v64, v64, v95 :: v_dual_add_f32 v65, v93, v65
	v_dual_max_f32 v97, v27, v27 :: v_dual_add_f32 v64, v65, v64
	s_delay_alu instid0(VALU_DEP_1) | instskip(NEXT) | instid1(VALU_DEP_1)
	v_dual_add_f32 v47, v92, v47 :: v_dual_min_f32 v92, v97, v96
	v_add_f32_e32 v47, v47, v92
	s_delay_alu instid0(VALU_DEP_1) | instskip(NEXT) | instid1(VALU_DEP_1)
	v_add_f32_e32 v47, v64, v47
	v_add_f32_e32 v46, v47, v46
	global_store_b32 v[40:41], v46, off
	s_or_b32 exec_lo, exec_lo, s15
	s_and_b32 s16, s3, s8
	s_delay_alu instid0(SALU_CYCLE_1)
	s_and_saveexec_b32 s15, s16
	s_cbranch_execz .LBB43_120
.LBB43_136:
	v_cmp_ne_u32_e32 vcc_lo, 1, v100
	v_lshlrev_b64 v[40:41], 2, v[54:55]
	s_cbranch_vccnz .LBB43_138
; %bb.137:
	s_delay_alu instid0(VALU_DEP_1) | instskip(NEXT) | instid1(VALU_DEP_2)
	v_add_co_u32 v46, vcc_lo, v44, v40
	v_add_co_ci_u32_e32 v47, vcc_lo, v45, v41, vcc_lo
	flat_load_b32 v46, v[46:47]
	s_waitcnt vmcnt(0) lgkmcnt(0)
	v_mul_f32_e32 v46, s19, v46
	s_branch .LBB43_139
.LBB43_138:
	v_mov_b32_e32 v46, 0
.LBB43_139:
	v_dual_max_f32 v47, v37, v37 :: v_dual_max_f32 v92, v20, v20
	v_dual_max_f32 v64, v21, v21 :: v_dual_max_f32 v65, v36, v36
	v_dual_max_f32 v93, v38, v38 :: v_dual_max_f32 v94, v39, v39
	v_add_co_u32 v40, vcc_lo, v42, v40
	s_delay_alu instid0(VALU_DEP_3) | instskip(SKIP_2) | instid1(VALU_DEP_3)
	v_dual_min_f32 v47, v64, v47 :: v_dual_max_f32 v64, v22, v22
	v_max_f32_e32 v95, v23, v23
	v_add_co_ci_u32_e32 v41, vcc_lo, v43, v41, vcc_lo
	v_min_f32_e32 v64, v64, v93
	v_min_f32_e32 v65, v92, v65
	s_delay_alu instid0(VALU_DEP_4) | instskip(NEXT) | instid1(VALU_DEP_2)
	v_dual_add_f32 v47, v90, v47 :: v_dual_min_f32 v90, v95, v94
	v_add_f32_e32 v65, v91, v65
	s_delay_alu instid0(VALU_DEP_1) | instskip(NEXT) | instid1(VALU_DEP_1)
	v_dual_add_f32 v64, v65, v64 :: v_dual_add_f32 v47, v47, v90
	v_add_f32_e32 v47, v64, v47
	s_delay_alu instid0(VALU_DEP_1) | instskip(SKIP_3) | instid1(SALU_CYCLE_1)
	v_add_f32_e32 v46, v47, v46
	global_store_b32 v[40:41], v46, off
	s_or_b32 exec_lo, exec_lo, s15
	s_and_b32 s16, s4, s8
	s_and_saveexec_b32 s15, s16
	s_cbranch_execz .LBB43_121
.LBB43_140:
	v_cmp_ne_u32_e32 vcc_lo, 1, v100
	v_lshlrev_b64 v[40:41], 2, v[56:57]
	s_cbranch_vccnz .LBB43_142
; %bb.141:
	s_delay_alu instid0(VALU_DEP_1) | instskip(NEXT) | instid1(VALU_DEP_2)
	v_add_co_u32 v46, vcc_lo, v44, v40
	v_add_co_ci_u32_e32 v47, vcc_lo, v45, v41, vcc_lo
	flat_load_b32 v46, v[46:47]
	s_waitcnt vmcnt(0) lgkmcnt(0)
	v_mul_f32_e32 v46, s19, v46
	s_branch .LBB43_143
.LBB43_142:
	v_mov_b32_e32 v46, 0
.LBB43_143:
	v_dual_max_f32 v47, v37, v37 :: v_dual_max_f32 v90, v16, v16
	v_dual_max_f32 v64, v17, v17 :: v_dual_max_f32 v65, v36, v36
	;; [unrolled: 1-line block ×3, first 2 shown]
	v_add_co_u32 v40, vcc_lo, v42, v40
	s_delay_alu instid0(VALU_DEP_3) | instskip(NEXT) | instid1(VALU_DEP_4)
	v_dual_min_f32 v47, v64, v47 :: v_dual_max_f32 v64, v18, v18
	v_min_f32_e32 v65, v90, v65
	v_add_co_ci_u32_e32 v41, vcc_lo, v43, v41, vcc_lo
	s_delay_alu instid0(VALU_DEP_3) | instskip(NEXT) | instid1(VALU_DEP_4)
	v_add_f32_e32 v47, v89, v47
	v_min_f32_e32 v64, v64, v91
	s_delay_alu instid0(VALU_DEP_4) | instskip(NEXT) | instid1(VALU_DEP_1)
	v_add_f32_e32 v65, v88, v65
	v_dual_max_f32 v93, v19, v19 :: v_dual_add_f32 v64, v65, v64
	s_delay_alu instid0(VALU_DEP_1) | instskip(NEXT) | instid1(VALU_DEP_1)
	v_min_f32_e32 v89, v93, v92
	v_add_f32_e32 v47, v47, v89
	s_delay_alu instid0(VALU_DEP_1) | instskip(NEXT) | instid1(VALU_DEP_1)
	v_add_f32_e32 v47, v64, v47
	v_add_f32_e32 v46, v47, v46
	global_store_b32 v[40:41], v46, off
	s_or_b32 exec_lo, exec_lo, s15
	s_and_b32 s16, s5, s8
	s_delay_alu instid0(SALU_CYCLE_1)
	s_and_saveexec_b32 s15, s16
	s_cbranch_execz .LBB43_122
.LBB43_144:
	v_cmp_ne_u32_e32 vcc_lo, 1, v100
	v_lshlrev_b64 v[40:41], 2, v[58:59]
	s_cbranch_vccnz .LBB43_146
; %bb.145:
	s_delay_alu instid0(VALU_DEP_1) | instskip(NEXT) | instid1(VALU_DEP_2)
	v_add_co_u32 v46, vcc_lo, v44, v40
	v_add_co_ci_u32_e32 v47, vcc_lo, v45, v41, vcc_lo
	flat_load_b32 v46, v[46:47]
	s_waitcnt vmcnt(0) lgkmcnt(0)
	v_mul_f32_e32 v46, s19, v46
	s_branch .LBB43_147
.LBB43_146:
	v_mov_b32_e32 v46, 0
.LBB43_147:
	v_dual_max_f32 v47, v37, v37 :: v_dual_max_f32 v88, v12, v12
	v_dual_max_f32 v64, v13, v13 :: v_dual_max_f32 v65, v36, v36
	;; [unrolled: 1-line block ×3, first 2 shown]
	v_add_co_u32 v40, vcc_lo, v42, v40
	s_delay_alu instid0(VALU_DEP_3) | instskip(SKIP_3) | instid1(VALU_DEP_4)
	v_dual_min_f32 v47, v64, v47 :: v_dual_max_f32 v64, v14, v14
	v_max_f32_e32 v91, v15, v15
	v_min_f32_e32 v65, v88, v65
	v_add_co_ci_u32_e32 v41, vcc_lo, v43, v41, vcc_lo
	v_min_f32_e32 v64, v64, v89
	s_delay_alu instid0(VALU_DEP_3) | instskip(SKIP_1) | instid1(VALU_DEP_2)
	v_add_f32_e32 v65, v86, v65
	v_add_f32_e32 v47, v87, v47
	v_dual_min_f32 v87, v91, v90 :: v_dual_add_f32 v64, v65, v64
	s_delay_alu instid0(VALU_DEP_1) | instskip(NEXT) | instid1(VALU_DEP_1)
	v_add_f32_e32 v47, v47, v87
	v_add_f32_e32 v47, v64, v47
	s_delay_alu instid0(VALU_DEP_1) | instskip(SKIP_3) | instid1(SALU_CYCLE_1)
	v_add_f32_e32 v46, v47, v46
	global_store_b32 v[40:41], v46, off
	s_or_b32 exec_lo, exec_lo, s15
	s_and_b32 s16, s6, s8
	s_and_saveexec_b32 s15, s16
	s_cbranch_execz .LBB43_123
.LBB43_148:
	v_cmp_ne_u32_e32 vcc_lo, 1, v100
	v_lshlrev_b64 v[40:41], 2, v[60:61]
	s_cbranch_vccnz .LBB43_150
; %bb.149:
	s_delay_alu instid0(VALU_DEP_1) | instskip(NEXT) | instid1(VALU_DEP_2)
	v_add_co_u32 v46, vcc_lo, v44, v40
	v_add_co_ci_u32_e32 v47, vcc_lo, v45, v41, vcc_lo
	flat_load_b32 v46, v[46:47]
	s_waitcnt vmcnt(0) lgkmcnt(0)
	v_mul_f32_e32 v46, s19, v46
	s_branch .LBB43_151
.LBB43_150:
	v_mov_b32_e32 v46, 0
.LBB43_151:
	v_dual_max_f32 v47, v37, v37 :: v_dual_max_f32 v86, v8, v8
	v_dual_max_f32 v64, v9, v9 :: v_dual_max_f32 v65, v36, v36
	;; [unrolled: 1-line block ×3, first 2 shown]
	v_add_co_u32 v40, vcc_lo, v42, v40
	s_delay_alu instid0(VALU_DEP_3) | instskip(NEXT) | instid1(VALU_DEP_4)
	v_dual_min_f32 v47, v64, v47 :: v_dual_max_f32 v64, v10, v10
	v_min_f32_e32 v65, v86, v65
	v_add_co_ci_u32_e32 v41, vcc_lo, v43, v41, vcc_lo
	s_delay_alu instid0(VALU_DEP_2) | instskip(NEXT) | instid1(VALU_DEP_1)
	v_dual_min_f32 v64, v64, v87 :: v_dual_add_f32 v65, v85, v65
	v_dual_max_f32 v89, v11, v11 :: v_dual_add_f32 v64, v65, v64
	s_delay_alu instid0(VALU_DEP_1) | instskip(NEXT) | instid1(VALU_DEP_1)
	v_dual_add_f32 v47, v84, v47 :: v_dual_min_f32 v84, v89, v88
	v_add_f32_e32 v47, v47, v84
	s_delay_alu instid0(VALU_DEP_1) | instskip(NEXT) | instid1(VALU_DEP_1)
	v_add_f32_e32 v47, v64, v47
	v_add_f32_e32 v46, v47, v46
	global_store_b32 v[40:41], v46, off
	s_or_b32 exec_lo, exec_lo, s15
	s_and_b32 s15, s7, s8
	s_delay_alu instid0(SALU_CYCLE_1)
	s_and_saveexec_b32 s8, s15
	s_cbranch_execz .LBB43_156
.LBB43_152:
	v_cmp_ne_u32_e32 vcc_lo, 1, v100
	v_lshlrev_b64 v[40:41], 2, v[62:63]
	s_cbranch_vccnz .LBB43_154
; %bb.153:
	s_delay_alu instid0(VALU_DEP_1) | instskip(NEXT) | instid1(VALU_DEP_2)
	v_add_co_u32 v44, vcc_lo, v44, v40
	v_add_co_ci_u32_e32 v45, vcc_lo, v45, v41, vcc_lo
	flat_load_b32 v44, v[44:45]
	s_waitcnt vmcnt(0) lgkmcnt(0)
	v_mul_f32_e32 v44, s19, v44
	s_branch .LBB43_155
.LBB43_154:
	v_mov_b32_e32 v44, 0
.LBB43_155:
	v_dual_max_f32 v37, v37, v37 :: v_dual_max_f32 v36, v36, v36
	v_dual_max_f32 v45, v1, v1 :: v_dual_max_f32 v46, v0, v0
	;; [unrolled: 1-line block ×3, first 2 shown]
	s_delay_alu instid0(VALU_DEP_2) | instskip(NEXT) | instid1(VALU_DEP_1)
	v_dual_min_f32 v37, v45, v37 :: v_dual_min_f32 v36, v46, v36
	v_dual_max_f32 v45, v2, v2 :: v_dual_add_f32 v36, v83, v36
	s_delay_alu instid0(VALU_DEP_1) | instskip(NEXT) | instid1(VALU_DEP_1)
	v_dual_max_f32 v47, v3, v3 :: v_dual_min_f32 v38, v45, v38
	v_dual_add_f32 v37, v82, v37 :: v_dual_add_f32 v36, v36, v38
	s_delay_alu instid0(VALU_DEP_2) | instskip(NEXT) | instid1(VALU_DEP_1)
	v_min_f32_e32 v39, v47, v39
	v_add_f32_e32 v37, v37, v39
	s_delay_alu instid0(VALU_DEP_1) | instskip(NEXT) | instid1(VALU_DEP_1)
	v_add_f32_e32 v36, v36, v37
	v_add_f32_e32 v38, v36, v44
	v_add_co_u32 v36, vcc_lo, v42, v40
	v_add_co_ci_u32_e32 v37, vcc_lo, v43, v41, vcc_lo
	global_store_b32 v[36:37], v38, off
.LBB43_156:
	s_or_b32 exec_lo, exec_lo, s8
	v_add_nc_u32_e32 v40, 0x60, v117
	s_delay_alu instid0(VALU_DEP_1) | instskip(SKIP_2) | instid1(VALU_DEP_3)
	v_mad_i64_i32 v[36:37], null, v40, s12, 0
	v_mad_i64_i32 v[38:39], null, v40, s9, 0
	v_cmp_gt_i32_e64 s8, s17, v40
	v_lshlrev_b64 v[36:37], 2, v[36:37]
	s_delay_alu instid0(VALU_DEP_2) | instskip(NEXT) | instid1(VALU_DEP_3)
	s_and_b32 s9, s0, s8
	v_lshlrev_b64 v[38:39], 2, v[38:39]
	s_delay_alu instid0(VALU_DEP_2) | instskip(NEXT) | instid1(VALU_DEP_3)
	v_add_co_u32 v40, vcc_lo, s10, v36
	v_add_co_ci_u32_e32 v41, vcc_lo, s11, v37, vcc_lo
	s_delay_alu instid0(VALU_DEP_3) | instskip(NEXT) | instid1(VALU_DEP_4)
	v_add_co_u32 v38, vcc_lo, s13, v38
	v_add_co_ci_u32_e32 v39, vcc_lo, s14, v39, vcc_lo
	s_and_saveexec_b32 s0, s9
	s_cbranch_execnz .LBB43_165
; %bb.157:
	s_or_b32 exec_lo, exec_lo, s0
	s_and_b32 s1, s1, s8
	s_delay_alu instid0(SALU_CYCLE_1)
	s_and_saveexec_b32 s0, s1
	s_cbranch_execnz .LBB43_169
.LBB43_158:
	s_or_b32 exec_lo, exec_lo, s0
	s_and_b32 s1, s2, s8
	s_delay_alu instid0(SALU_CYCLE_1)
	s_and_saveexec_b32 s0, s1
	s_cbranch_execnz .LBB43_173
.LBB43_159:
	s_or_b32 exec_lo, exec_lo, s0
	s_and_b32 s1, s3, s8
	s_delay_alu instid0(SALU_CYCLE_1)
	s_and_saveexec_b32 s0, s1
	s_cbranch_execnz .LBB43_177
.LBB43_160:
	s_or_b32 exec_lo, exec_lo, s0
	s_and_b32 s1, s4, s8
	s_delay_alu instid0(SALU_CYCLE_1)
	s_and_saveexec_b32 s0, s1
	s_cbranch_execnz .LBB43_181
.LBB43_161:
	s_or_b32 exec_lo, exec_lo, s0
	s_and_b32 s1, s5, s8
	s_delay_alu instid0(SALU_CYCLE_1)
	s_and_saveexec_b32 s0, s1
	s_cbranch_execnz .LBB43_185
.LBB43_162:
	s_or_b32 exec_lo, exec_lo, s0
	s_and_b32 s1, s6, s8
	s_delay_alu instid0(SALU_CYCLE_1)
	s_and_saveexec_b32 s0, s1
	s_cbranch_execnz .LBB43_189
.LBB43_163:
	s_or_b32 exec_lo, exec_lo, s0
	s_and_b32 s0, s7, s8
	s_delay_alu instid0(SALU_CYCLE_1)
	s_and_saveexec_b32 s1, s0
	s_cbranch_execnz .LBB43_193
.LBB43_164:
	s_nop 0
	s_sendmsg sendmsg(MSG_DEALLOC_VGPRS)
	s_endpgm
.LBB43_165:
	v_cmp_ne_u32_e32 vcc_lo, 1, v100
	v_lshlrev_b64 v[36:37], 2, v[48:49]
	s_cbranch_vccnz .LBB43_167
; %bb.166:
	s_delay_alu instid0(VALU_DEP_1) | instskip(NEXT) | instid1(VALU_DEP_2)
	v_add_co_u32 v42, vcc_lo, v40, v36
	v_add_co_ci_u32_e32 v43, vcc_lo, v41, v37, vcc_lo
	flat_load_b32 v42, v[42:43]
	s_waitcnt vmcnt(0) lgkmcnt(0)
	v_mul_f32_e32 v42, s19, v42
	s_branch .LBB43_168
.LBB43_167:
	v_mov_b32_e32 v42, 0
.LBB43_168:
	v_dual_max_f32 v43, v5, v5 :: v_dual_max_f32 v44, v4, v4
	v_dual_max_f32 v33, v33, v33 :: v_dual_max_f32 v32, v32, v32
	v_max_f32_e32 v45, v6, v6
	s_delay_alu instid0(VALU_DEP_2) | instskip(NEXT) | instid1(VALU_DEP_3)
	v_dual_max_f32 v34, v34, v34 :: v_dual_min_f32 v33, v33, v43
	v_dual_min_f32 v32, v32, v44 :: v_dual_max_f32 v43, v7, v7
	s_delay_alu instid0(VALU_DEP_2) | instskip(NEXT) | instid1(VALU_DEP_2)
	v_dual_min_f32 v34, v34, v45 :: v_dual_max_f32 v35, v35, v35
	v_dual_add_f32 v33, v80, v33 :: v_dual_add_f32 v32, v81, v32
	s_delay_alu instid0(VALU_DEP_1) | instskip(NEXT) | instid1(VALU_DEP_1)
	v_dual_min_f32 v35, v35, v43 :: v_dual_add_f32 v32, v32, v34
	v_add_f32_e32 v33, v33, v35
	s_delay_alu instid0(VALU_DEP_1) | instskip(NEXT) | instid1(VALU_DEP_1)
	v_add_f32_e32 v32, v32, v33
	v_add_f32_e32 v34, v32, v42
	v_add_co_u32 v32, vcc_lo, v38, v36
	v_add_co_ci_u32_e32 v33, vcc_lo, v39, v37, vcc_lo
	global_store_b32 v[32:33], v34, off
	s_or_b32 exec_lo, exec_lo, s0
	s_and_b32 s1, s1, s8
	s_delay_alu instid0(SALU_CYCLE_1)
	s_and_saveexec_b32 s0, s1
	s_cbranch_execz .LBB43_158
.LBB43_169:
	v_cmp_ne_u32_e32 vcc_lo, 1, v100
	v_lshlrev_b64 v[32:33], 2, v[50:51]
	s_cbranch_vccnz .LBB43_171
; %bb.170:
	s_delay_alu instid0(VALU_DEP_1) | instskip(NEXT) | instid1(VALU_DEP_2)
	v_add_co_u32 v34, vcc_lo, v40, v32
	v_add_co_ci_u32_e32 v35, vcc_lo, v41, v33, vcc_lo
	flat_load_b32 v34, v[34:35]
	s_waitcnt vmcnt(0) lgkmcnt(0)
	v_mul_f32_e32 v34, s19, v34
	s_branch .LBB43_172
.LBB43_171:
	v_mov_b32_e32 v34, 0
.LBB43_172:
	v_dual_max_f32 v35, v5, v5 :: v_dual_max_f32 v36, v4, v4
	v_dual_max_f32 v29, v29, v29 :: v_dual_max_f32 v28, v28, v28
	v_max_f32_e32 v37, v6, v6
	s_delay_alu instid0(VALU_DEP_2) | instskip(NEXT) | instid1(VALU_DEP_3)
	v_dual_max_f32 v30, v30, v30 :: v_dual_min_f32 v29, v29, v35
	v_dual_min_f32 v28, v28, v36 :: v_dual_max_f32 v35, v7, v7
	s_delay_alu instid0(VALU_DEP_2) | instskip(NEXT) | instid1(VALU_DEP_2)
	v_dual_min_f32 v30, v30, v37 :: v_dual_max_f32 v31, v31, v31
	v_dual_add_f32 v28, v78, v28 :: v_dual_add_f32 v29, v79, v29
	s_delay_alu instid0(VALU_DEP_1) | instskip(NEXT) | instid1(VALU_DEP_1)
	v_dual_add_f32 v28, v28, v30 :: v_dual_min_f32 v31, v31, v35
	v_add_f32_e32 v29, v29, v31
	s_delay_alu instid0(VALU_DEP_1) | instskip(NEXT) | instid1(VALU_DEP_1)
	v_add_f32_e32 v28, v28, v29
	v_add_f32_e32 v30, v28, v34
	v_add_co_u32 v28, vcc_lo, v38, v32
	v_add_co_ci_u32_e32 v29, vcc_lo, v39, v33, vcc_lo
	global_store_b32 v[28:29], v30, off
	s_or_b32 exec_lo, exec_lo, s0
	s_and_b32 s1, s2, s8
	s_delay_alu instid0(SALU_CYCLE_1)
	s_and_saveexec_b32 s0, s1
	s_cbranch_execz .LBB43_159
.LBB43_173:
	v_cmp_ne_u32_e32 vcc_lo, 1, v100
	v_lshlrev_b64 v[28:29], 2, v[52:53]
	s_cbranch_vccnz .LBB43_175
; %bb.174:
	s_delay_alu instid0(VALU_DEP_1) | instskip(NEXT) | instid1(VALU_DEP_2)
	v_add_co_u32 v30, vcc_lo, v40, v28
	v_add_co_ci_u32_e32 v31, vcc_lo, v41, v29, vcc_lo
	flat_load_b32 v30, v[30:31]
	s_waitcnt vmcnt(0) lgkmcnt(0)
	v_mul_f32_e32 v30, s19, v30
	s_branch .LBB43_176
.LBB43_175:
	v_mov_b32_e32 v30, 0
.LBB43_176:
	v_dual_max_f32 v31, v5, v5 :: v_dual_max_f32 v32, v4, v4
	v_dual_max_f32 v25, v25, v25 :: v_dual_max_f32 v24, v24, v24
	v_max_f32_e32 v33, v6, v6
	s_delay_alu instid0(VALU_DEP_2) | instskip(NEXT) | instid1(VALU_DEP_3)
	v_dual_max_f32 v26, v26, v26 :: v_dual_min_f32 v25, v25, v31
	v_dual_min_f32 v24, v24, v32 :: v_dual_max_f32 v31, v7, v7
	s_delay_alu instid0(VALU_DEP_2) | instskip(NEXT) | instid1(VALU_DEP_2)
	v_dual_min_f32 v26, v26, v33 :: v_dual_max_f32 v27, v27, v27
	v_dual_add_f32 v25, v76, v25 :: v_dual_add_f32 v24, v77, v24
	s_delay_alu instid0(VALU_DEP_1) | instskip(NEXT) | instid1(VALU_DEP_1)
	v_dual_min_f32 v27, v27, v31 :: v_dual_add_f32 v24, v24, v26
	v_add_f32_e32 v25, v25, v27
	s_delay_alu instid0(VALU_DEP_1) | instskip(NEXT) | instid1(VALU_DEP_1)
	v_add_f32_e32 v24, v24, v25
	v_add_f32_e32 v26, v24, v30
	v_add_co_u32 v24, vcc_lo, v38, v28
	v_add_co_ci_u32_e32 v25, vcc_lo, v39, v29, vcc_lo
	global_store_b32 v[24:25], v26, off
	s_or_b32 exec_lo, exec_lo, s0
	s_and_b32 s1, s3, s8
	s_delay_alu instid0(SALU_CYCLE_1)
	s_and_saveexec_b32 s0, s1
	s_cbranch_execz .LBB43_160
.LBB43_177:
	v_cmp_ne_u32_e32 vcc_lo, 1, v100
	v_lshlrev_b64 v[24:25], 2, v[54:55]
	s_cbranch_vccnz .LBB43_179
; %bb.178:
	s_delay_alu instid0(VALU_DEP_1) | instskip(NEXT) | instid1(VALU_DEP_2)
	v_add_co_u32 v26, vcc_lo, v40, v24
	v_add_co_ci_u32_e32 v27, vcc_lo, v41, v25, vcc_lo
	flat_load_b32 v26, v[26:27]
	s_waitcnt vmcnt(0) lgkmcnt(0)
	v_mul_f32_e32 v26, s19, v26
	s_branch .LBB43_180
.LBB43_179:
	v_mov_b32_e32 v26, 0
.LBB43_180:
	v_dual_max_f32 v27, v5, v5 :: v_dual_max_f32 v28, v4, v4
	v_dual_max_f32 v21, v21, v21 :: v_dual_max_f32 v20, v20, v20
	v_max_f32_e32 v29, v6, v6
	s_delay_alu instid0(VALU_DEP_2) | instskip(NEXT) | instid1(VALU_DEP_3)
	v_dual_max_f32 v22, v22, v22 :: v_dual_min_f32 v21, v21, v27
	v_dual_min_f32 v20, v20, v28 :: v_dual_max_f32 v27, v7, v7
	s_delay_alu instid0(VALU_DEP_2) | instskip(NEXT) | instid1(VALU_DEP_2)
	v_min_f32_e32 v22, v22, v29
	v_dual_add_f32 v21, v74, v21 :: v_dual_add_f32 v20, v75, v20
	s_delay_alu instid0(VALU_DEP_1) | instskip(NEXT) | instid1(VALU_DEP_1)
	v_dual_max_f32 v23, v23, v23 :: v_dual_add_f32 v20, v20, v22
	v_min_f32_e32 v23, v23, v27
	s_delay_alu instid0(VALU_DEP_1) | instskip(NEXT) | instid1(VALU_DEP_1)
	v_add_f32_e32 v21, v21, v23
	v_add_f32_e32 v20, v20, v21
	s_delay_alu instid0(VALU_DEP_1)
	v_add_f32_e32 v22, v20, v26
	v_add_co_u32 v20, vcc_lo, v38, v24
	v_add_co_ci_u32_e32 v21, vcc_lo, v39, v25, vcc_lo
	global_store_b32 v[20:21], v22, off
	s_or_b32 exec_lo, exec_lo, s0
	s_and_b32 s1, s4, s8
	s_delay_alu instid0(SALU_CYCLE_1)
	s_and_saveexec_b32 s0, s1
	s_cbranch_execz .LBB43_161
.LBB43_181:
	v_cmp_ne_u32_e32 vcc_lo, 1, v100
	v_lshlrev_b64 v[20:21], 2, v[56:57]
	s_cbranch_vccnz .LBB43_183
; %bb.182:
	s_delay_alu instid0(VALU_DEP_1) | instskip(NEXT) | instid1(VALU_DEP_2)
	v_add_co_u32 v22, vcc_lo, v40, v20
	v_add_co_ci_u32_e32 v23, vcc_lo, v41, v21, vcc_lo
	flat_load_b32 v22, v[22:23]
	s_waitcnt vmcnt(0) lgkmcnt(0)
	v_mul_f32_e32 v22, s19, v22
	s_branch .LBB43_184
.LBB43_183:
	v_mov_b32_e32 v22, 0
.LBB43_184:
	v_dual_max_f32 v23, v5, v5 :: v_dual_max_f32 v24, v4, v4
	v_dual_max_f32 v17, v17, v17 :: v_dual_max_f32 v16, v16, v16
	v_max_f32_e32 v25, v6, v6
	s_delay_alu instid0(VALU_DEP_2) | instskip(NEXT) | instid1(VALU_DEP_3)
	v_dual_max_f32 v18, v18, v18 :: v_dual_min_f32 v17, v17, v23
	v_dual_min_f32 v16, v16, v24 :: v_dual_max_f32 v23, v7, v7
	s_delay_alu instid0(VALU_DEP_2) | instskip(NEXT) | instid1(VALU_DEP_2)
	v_dual_min_f32 v18, v18, v25 :: v_dual_max_f32 v19, v19, v19
	v_dual_add_f32 v16, v72, v16 :: v_dual_add_f32 v17, v73, v17
	s_delay_alu instid0(VALU_DEP_1) | instskip(NEXT) | instid1(VALU_DEP_1)
	v_dual_add_f32 v16, v16, v18 :: v_dual_min_f32 v19, v19, v23
	v_add_f32_e32 v17, v17, v19
	s_delay_alu instid0(VALU_DEP_1) | instskip(NEXT) | instid1(VALU_DEP_1)
	v_add_f32_e32 v16, v16, v17
	v_add_f32_e32 v18, v16, v22
	v_add_co_u32 v16, vcc_lo, v38, v20
	v_add_co_ci_u32_e32 v17, vcc_lo, v39, v21, vcc_lo
	global_store_b32 v[16:17], v18, off
	s_or_b32 exec_lo, exec_lo, s0
	s_and_b32 s1, s5, s8
	s_delay_alu instid0(SALU_CYCLE_1)
	s_and_saveexec_b32 s0, s1
	s_cbranch_execz .LBB43_162
.LBB43_185:
	v_cmp_ne_u32_e32 vcc_lo, 1, v100
	v_lshlrev_b64 v[16:17], 2, v[58:59]
	s_cbranch_vccnz .LBB43_187
; %bb.186:
	s_delay_alu instid0(VALU_DEP_1) | instskip(NEXT) | instid1(VALU_DEP_2)
	v_add_co_u32 v18, vcc_lo, v40, v16
	v_add_co_ci_u32_e32 v19, vcc_lo, v41, v17, vcc_lo
	flat_load_b32 v18, v[18:19]
	s_waitcnt vmcnt(0) lgkmcnt(0)
	v_mul_f32_e32 v18, s19, v18
	s_branch .LBB43_188
.LBB43_187:
	v_mov_b32_e32 v18, 0
.LBB43_188:
	v_dual_max_f32 v19, v5, v5 :: v_dual_max_f32 v20, v4, v4
	v_dual_max_f32 v13, v13, v13 :: v_dual_max_f32 v12, v12, v12
	v_max_f32_e32 v21, v6, v6
	s_delay_alu instid0(VALU_DEP_2) | instskip(NEXT) | instid1(VALU_DEP_3)
	v_dual_max_f32 v14, v14, v14 :: v_dual_min_f32 v13, v13, v19
	v_dual_min_f32 v12, v12, v20 :: v_dual_max_f32 v19, v7, v7
	s_delay_alu instid0(VALU_DEP_2) | instskip(NEXT) | instid1(VALU_DEP_2)
	v_min_f32_e32 v14, v14, v21
	v_dual_add_f32 v13, v70, v13 :: v_dual_add_f32 v12, v71, v12
	s_delay_alu instid0(VALU_DEP_1) | instskip(NEXT) | instid1(VALU_DEP_1)
	v_dual_max_f32 v15, v15, v15 :: v_dual_add_f32 v12, v12, v14
	v_min_f32_e32 v15, v15, v19
	s_delay_alu instid0(VALU_DEP_1) | instskip(NEXT) | instid1(VALU_DEP_1)
	v_add_f32_e32 v13, v13, v15
	v_add_f32_e32 v12, v12, v13
	s_delay_alu instid0(VALU_DEP_1)
	v_add_f32_e32 v14, v12, v18
	v_add_co_u32 v12, vcc_lo, v38, v16
	v_add_co_ci_u32_e32 v13, vcc_lo, v39, v17, vcc_lo
	global_store_b32 v[12:13], v14, off
	s_or_b32 exec_lo, exec_lo, s0
	s_and_b32 s1, s6, s8
	s_delay_alu instid0(SALU_CYCLE_1)
	s_and_saveexec_b32 s0, s1
	s_cbranch_execz .LBB43_163
.LBB43_189:
	v_cmp_ne_u32_e32 vcc_lo, 1, v100
	v_lshlrev_b64 v[12:13], 2, v[60:61]
	s_cbranch_vccnz .LBB43_191
; %bb.190:
	s_delay_alu instid0(VALU_DEP_1) | instskip(NEXT) | instid1(VALU_DEP_2)
	v_add_co_u32 v14, vcc_lo, v40, v12
	v_add_co_ci_u32_e32 v15, vcc_lo, v41, v13, vcc_lo
	flat_load_b32 v14, v[14:15]
	s_waitcnt vmcnt(0) lgkmcnt(0)
	v_mul_f32_e32 v14, s19, v14
	s_branch .LBB43_192
.LBB43_191:
	v_mov_b32_e32 v14, 0
.LBB43_192:
	v_dual_max_f32 v15, v5, v5 :: v_dual_max_f32 v16, v4, v4
	v_dual_max_f32 v9, v9, v9 :: v_dual_max_f32 v8, v8, v8
	v_max_f32_e32 v17, v6, v6
	s_delay_alu instid0(VALU_DEP_2) | instskip(NEXT) | instid1(VALU_DEP_3)
	v_dual_max_f32 v10, v10, v10 :: v_dual_min_f32 v9, v9, v15
	v_dual_min_f32 v8, v8, v16 :: v_dual_max_f32 v15, v7, v7
	s_delay_alu instid0(VALU_DEP_2) | instskip(NEXT) | instid1(VALU_DEP_2)
	v_dual_min_f32 v10, v10, v17 :: v_dual_max_f32 v11, v11, v11
	v_dual_add_f32 v8, v68, v8 :: v_dual_add_f32 v9, v69, v9
	s_delay_alu instid0(VALU_DEP_1) | instskip(NEXT) | instid1(VALU_DEP_1)
	v_dual_add_f32 v8, v8, v10 :: v_dual_min_f32 v11, v11, v15
	v_add_f32_e32 v9, v9, v11
	s_delay_alu instid0(VALU_DEP_1) | instskip(NEXT) | instid1(VALU_DEP_1)
	v_add_f32_e32 v8, v8, v9
	v_add_f32_e32 v10, v8, v14
	v_add_co_u32 v8, vcc_lo, v38, v12
	v_add_co_ci_u32_e32 v9, vcc_lo, v39, v13, vcc_lo
	global_store_b32 v[8:9], v10, off
	s_or_b32 exec_lo, exec_lo, s0
	s_and_b32 s0, s7, s8
	s_delay_alu instid0(SALU_CYCLE_1)
	s_and_saveexec_b32 s1, s0
	s_cbranch_execz .LBB43_164
.LBB43_193:
	v_cmp_ne_u32_e32 vcc_lo, 1, v100
	v_lshlrev_b64 v[8:9], 2, v[62:63]
	s_cbranch_vccnz .LBB43_195
; %bb.194:
	s_delay_alu instid0(VALU_DEP_1) | instskip(NEXT) | instid1(VALU_DEP_2)
	v_add_co_u32 v10, vcc_lo, v40, v8
	v_add_co_ci_u32_e32 v11, vcc_lo, v41, v9, vcc_lo
	flat_load_b32 v10, v[10:11]
	s_waitcnt vmcnt(0) lgkmcnt(0)
	v_mul_f32_e32 v10, s19, v10
	s_branch .LBB43_196
.LBB43_195:
	v_mov_b32_e32 v10, 0
.LBB43_196:
	v_dual_max_f32 v5, v5, v5 :: v_dual_max_f32 v4, v4, v4
	v_dual_max_f32 v1, v1, v1 :: v_dual_max_f32 v0, v0, v0
	v_max_f32_e32 v6, v6, v6
	v_dual_max_f32 v2, v2, v2 :: v_dual_max_f32 v3, v3, v3
	s_delay_alu instid0(VALU_DEP_3) | instskip(NEXT) | instid1(VALU_DEP_2)
	v_dual_min_f32 v1, v1, v5 :: v_dual_min_f32 v0, v0, v4
	v_dual_max_f32 v5, v7, v7 :: v_dual_min_f32 v2, v2, v6
	s_delay_alu instid0(VALU_DEP_2) | instskip(NEXT) | instid1(VALU_DEP_1)
	v_dual_add_f32 v1, v67, v1 :: v_dual_add_f32 v0, v66, v0
	v_dual_min_f32 v3, v3, v5 :: v_dual_add_f32 v0, v0, v2
	s_delay_alu instid0(VALU_DEP_1) | instskip(NEXT) | instid1(VALU_DEP_1)
	v_add_f32_e32 v1, v1, v3
	v_add_f32_e32 v0, v0, v1
	s_delay_alu instid0(VALU_DEP_1)
	v_add_f32_e32 v2, v0, v10
	v_add_co_u32 v0, vcc_lo, v38, v8
	v_add_co_ci_u32_e32 v1, vcc_lo, v39, v9, vcc_lo
	global_store_b32 v[0:1], v2, off
	s_nop 0
	s_sendmsg sendmsg(MSG_DEALLOC_VGPRS)
	s_endpgm
	.section	.rodata,"a",@progbits
	.p2align	6, 0x0
	.amdhsa_kernel _ZN12_GLOBAL__N_120geam_min_plus_kernelIf15HIP_vector_typeIfLj2EES2_Li8ELi32ELi64ELi128ELi4ELi64ELi4ELi64ELi4ELc78ELc84ELb1ELb1ELb0EfKPKfKPfEEviiiT16_PT17_ilSA_ilS8_SA_ilPT18_ili26rocblas_geam_ex_operation_
		.amdhsa_group_segment_fixed_size 6144
		.amdhsa_private_segment_fixed_size 0
		.amdhsa_kernarg_size 128
		.amdhsa_user_sgpr_count 14
		.amdhsa_user_sgpr_dispatch_ptr 0
		.amdhsa_user_sgpr_queue_ptr 0
		.amdhsa_user_sgpr_kernarg_segment_ptr 1
		.amdhsa_user_sgpr_dispatch_id 0
		.amdhsa_user_sgpr_private_segment_size 0
		.amdhsa_wavefront_size32 1
		.amdhsa_uses_dynamic_stack 0
		.amdhsa_enable_private_segment 0
		.amdhsa_system_sgpr_workgroup_id_x 1
		.amdhsa_system_sgpr_workgroup_id_y 0
		.amdhsa_system_sgpr_workgroup_id_z 1
		.amdhsa_system_sgpr_workgroup_info 0
		.amdhsa_system_vgpr_workitem_id 1
		.amdhsa_next_free_vgpr 232
		.amdhsa_next_free_sgpr 27
		.amdhsa_reserve_vcc 1
		.amdhsa_float_round_mode_32 0
		.amdhsa_float_round_mode_16_64 0
		.amdhsa_float_denorm_mode_32 3
		.amdhsa_float_denorm_mode_16_64 3
		.amdhsa_dx10_clamp 1
		.amdhsa_ieee_mode 1
		.amdhsa_fp16_overflow 0
		.amdhsa_workgroup_processor_mode 1
		.amdhsa_memory_ordered 1
		.amdhsa_forward_progress 0
		.amdhsa_shared_vgpr_count 0
		.amdhsa_exception_fp_ieee_invalid_op 0
		.amdhsa_exception_fp_denorm_src 0
		.amdhsa_exception_fp_ieee_div_zero 0
		.amdhsa_exception_fp_ieee_overflow 0
		.amdhsa_exception_fp_ieee_underflow 0
		.amdhsa_exception_fp_ieee_inexact 0
		.amdhsa_exception_int_div_zero 0
	.end_amdhsa_kernel
	.section	.text._ZN12_GLOBAL__N_120geam_min_plus_kernelIf15HIP_vector_typeIfLj2EES2_Li8ELi32ELi64ELi128ELi4ELi64ELi4ELi64ELi4ELc78ELc84ELb1ELb1ELb0EfKPKfKPfEEviiiT16_PT17_ilSA_ilS8_SA_ilPT18_ili26rocblas_geam_ex_operation_,"axG",@progbits,_ZN12_GLOBAL__N_120geam_min_plus_kernelIf15HIP_vector_typeIfLj2EES2_Li8ELi32ELi64ELi128ELi4ELi64ELi4ELi64ELi4ELc78ELc84ELb1ELb1ELb0EfKPKfKPfEEviiiT16_PT17_ilSA_ilS8_SA_ilPT18_ili26rocblas_geam_ex_operation_,comdat
.Lfunc_end43:
	.size	_ZN12_GLOBAL__N_120geam_min_plus_kernelIf15HIP_vector_typeIfLj2EES2_Li8ELi32ELi64ELi128ELi4ELi64ELi4ELi64ELi4ELc78ELc84ELb1ELb1ELb0EfKPKfKPfEEviiiT16_PT17_ilSA_ilS8_SA_ilPT18_ili26rocblas_geam_ex_operation_, .Lfunc_end43-_ZN12_GLOBAL__N_120geam_min_plus_kernelIf15HIP_vector_typeIfLj2EES2_Li8ELi32ELi64ELi128ELi4ELi64ELi4ELi64ELi4ELc78ELc84ELb1ELb1ELb0EfKPKfKPfEEviiiT16_PT17_ilSA_ilS8_SA_ilPT18_ili26rocblas_geam_ex_operation_
                                        ; -- End function
	.section	.AMDGPU.csdata,"",@progbits
; Kernel info:
; codeLenInByte = 13088
; NumSgprs: 29
; NumVgprs: 232
; ScratchSize: 0
; MemoryBound: 0
; FloatMode: 240
; IeeeMode: 1
; LDSByteSize: 6144 bytes/workgroup (compile time only)
; SGPRBlocks: 3
; VGPRBlocks: 28
; NumSGPRsForWavesPerEU: 29
; NumVGPRsForWavesPerEU: 232
; Occupancy: 6
; WaveLimiterHint : 1
; COMPUTE_PGM_RSRC2:SCRATCH_EN: 0
; COMPUTE_PGM_RSRC2:USER_SGPR: 14
; COMPUTE_PGM_RSRC2:TRAP_HANDLER: 0
; COMPUTE_PGM_RSRC2:TGID_X_EN: 1
; COMPUTE_PGM_RSRC2:TGID_Y_EN: 0
; COMPUTE_PGM_RSRC2:TGID_Z_EN: 1
; COMPUTE_PGM_RSRC2:TIDIG_COMP_CNT: 1
	.section	.text._ZN12_GLOBAL__N_120geam_min_plus_kernelIf15HIP_vector_typeIfLj2EES2_Li8ELi32ELi64ELi128ELi4ELi64ELi4ELi64ELi4ELc78ELc84ELb0ELb1ELb0EfKPKfKPfEEviiiT16_PT17_ilSA_ilS8_SA_ilPT18_ili26rocblas_geam_ex_operation_,"axG",@progbits,_ZN12_GLOBAL__N_120geam_min_plus_kernelIf15HIP_vector_typeIfLj2EES2_Li8ELi32ELi64ELi128ELi4ELi64ELi4ELi64ELi4ELc78ELc84ELb0ELb1ELb0EfKPKfKPfEEviiiT16_PT17_ilSA_ilS8_SA_ilPT18_ili26rocblas_geam_ex_operation_,comdat
	.globl	_ZN12_GLOBAL__N_120geam_min_plus_kernelIf15HIP_vector_typeIfLj2EES2_Li8ELi32ELi64ELi128ELi4ELi64ELi4ELi64ELi4ELc78ELc84ELb0ELb1ELb0EfKPKfKPfEEviiiT16_PT17_ilSA_ilS8_SA_ilPT18_ili26rocblas_geam_ex_operation_ ; -- Begin function _ZN12_GLOBAL__N_120geam_min_plus_kernelIf15HIP_vector_typeIfLj2EES2_Li8ELi32ELi64ELi128ELi4ELi64ELi4ELi64ELi4ELc78ELc84ELb0ELb1ELb0EfKPKfKPfEEviiiT16_PT17_ilSA_ilS8_SA_ilPT18_ili26rocblas_geam_ex_operation_
	.p2align	8
	.type	_ZN12_GLOBAL__N_120geam_min_plus_kernelIf15HIP_vector_typeIfLj2EES2_Li8ELi32ELi64ELi128ELi4ELi64ELi4ELi64ELi4ELc78ELc84ELb0ELb1ELb0EfKPKfKPfEEviiiT16_PT17_ilSA_ilS8_SA_ilPT18_ili26rocblas_geam_ex_operation_,@function
_ZN12_GLOBAL__N_120geam_min_plus_kernelIf15HIP_vector_typeIfLj2EES2_Li8ELi32ELi64ELi128ELi4ELi64ELi4ELi64ELi4ELc78ELc84ELb0ELb1ELb0EfKPKfKPfEEviiiT16_PT17_ilSA_ilS8_SA_ilPT18_ili26rocblas_geam_ex_operation_: ; @_ZN12_GLOBAL__N_120geam_min_plus_kernelIf15HIP_vector_typeIfLj2EES2_Li8ELi32ELi64ELi128ELi4ELi64ELi4ELi64ELi4ELc78ELc84ELb0ELb1ELb0EfKPKfKPfEEviiiT16_PT17_ilSA_ilS8_SA_ilPT18_ili26rocblas_geam_ex_operation_
; %bb.0:
	s_clause 0x1
	s_load_b128 s[16:19], s[0:1], 0x0
	s_load_b128 s[4:7], s[0:1], 0x20
	s_mov_b32 s2, s15
	s_mov_b32 s3, 0
	s_waitcnt lgkmcnt(0)
	v_cmp_eq_f32_e64 s8, s19, 0
	v_cmp_neq_f32_e64 s23, s19, 0
	s_delay_alu instid0(VALU_DEP_2)
	s_and_b32 vcc_lo, exec_lo, s8
	s_cbranch_vccnz .LBB44_3
; %bb.1:
	s_load_b64 s[10:11], s[0:1], 0x10
	s_lshl_b64 s[12:13], s[2:3], 3
	s_waitcnt lgkmcnt(0)
	s_add_u32 s10, s10, s12
	s_addc_u32 s11, s11, s13
	s_lshl_b64 s[4:5], s[4:5], 2
	s_load_b64 s[10:11], s[10:11], 0x0
	s_waitcnt lgkmcnt(0)
	s_add_u32 s12, s10, s4
	s_addc_u32 s13, s11, s5
	s_and_not1_b32 vcc_lo, exec_lo, s8
	s_cbranch_vccnz .LBB44_4
.LBB44_2:
	s_mov_b64 s[8:9], 0
	s_and_not1_b32 vcc_lo, exec_lo, s3
	s_cbranch_vccz .LBB44_5
	s_branch .LBB44_6
.LBB44_3:
	s_mov_b64 s[12:13], 0
	s_and_not1_b32 vcc_lo, exec_lo, s8
	s_cbranch_vccz .LBB44_2
.LBB44_4:
	s_mov_b32 s3, -1
                                        ; implicit-def: $sgpr8_sgpr9
.LBB44_5:
	s_mov_b32 s3, 0
	s_load_b64 s[8:9], s[0:1], 0x38
	s_lshl_b64 s[4:5], s[2:3], 3
	s_delay_alu instid0(SALU_CYCLE_1) | instskip(SKIP_4) | instid1(SALU_CYCLE_1)
	s_add_u32 s4, s6, s4
	s_addc_u32 s5, s7, s5
	s_load_b64 s[4:5], s[4:5], 0x0
	s_waitcnt lgkmcnt(0)
	s_lshl_b64 s[6:7], s[8:9], 2
	s_add_u32 s8, s4, s6
	s_addc_u32 s9, s5, s7
.LBB44_6:
	s_clause 0x1
	s_load_b32 s15, s[0:1], 0x40
	s_load_b128 s[4:7], s[0:1], 0x58
	s_waitcnt lgkmcnt(0)
	v_cmp_eq_f32_e64 s10, s15, 0
	v_cmp_neq_f32_e64 s22, s15, 0
	s_delay_alu instid0(VALU_DEP_2)
	s_and_b32 vcc_lo, exec_lo, s10
	s_cbranch_vccnz .LBB44_8
; %bb.7:
	s_load_b64 s[10:11], s[0:1], 0x48
	s_lshl_b64 s[20:21], s[2:3], 3
	s_waitcnt lgkmcnt(0)
	s_add_u32 s10, s10, s20
	s_addc_u32 s11, s11, s21
	s_lshl_b64 s[4:5], s[4:5], 2
	s_load_b64 s[10:11], s[10:11], 0x0
	s_waitcnt lgkmcnt(0)
	s_add_u32 s10, s10, s4
	s_addc_u32 s11, s11, s5
	s_branch .LBB44_9
.LBB44_8:
	s_mov_b64 s[10:11], 0
.LBB44_9:
	s_load_b32 s20, s[0:1], 0x18
	s_lshl_b64 s[2:3], s[2:3], 3
	v_dual_mov_b32 v9, 0 :: v_dual_and_b32 v54, 0x3ff, v0
	v_bfe_u32 v55, v0, 10, 10
	v_mov_b32_e32 v8, 0
	s_waitcnt lgkmcnt(0)
	s_ashr_i32 s21, s20, 31
	s_add_u32 s4, s6, s2
	s_addc_u32 s5, s7, s3
	s_add_i32 s2, s16, -1
	s_delay_alu instid0(SALU_CYCLE_1) | instskip(NEXT) | instid1(SALU_CYCLE_1)
	s_ashr_i32 s3, s2, 31
	s_lshr_b32 s3, s3, 26
	s_delay_alu instid0(SALU_CYCLE_1) | instskip(NEXT) | instid1(SALU_CYCLE_1)
	s_add_i32 s2, s2, s3
	s_ashr_i32 s2, s2, 6
	s_delay_alu instid0(SALU_CYCLE_1) | instskip(SKIP_2) | instid1(VALU_DEP_1)
	s_add_i32 s6, s2, 1
	s_not_b32 s2, s2
	v_cvt_f32_u32_e32 v1, s6
	v_rcp_iflag_f32_e32 v1, v1
	s_waitcnt_depctr 0xfff
	v_mul_f32_e32 v1, 0x4f7ffffe, v1
	s_delay_alu instid0(VALU_DEP_1) | instskip(NEXT) | instid1(VALU_DEP_1)
	v_cvt_u32_f32_e32 v1, v1
	v_readfirstlane_b32 s3, v1
	v_lshl_add_u32 v1, v55, 3, v54
	s_delay_alu instid0(VALU_DEP_2) | instskip(NEXT) | instid1(VALU_DEP_1)
	s_mul_i32 s2, s2, s3
	v_and_b32_e32 v7, 63, v1
	s_mul_hi_u32 s2, s3, s2
	v_lshrrev_b32_e32 v56, 6, v1
	s_add_i32 s3, s3, s2
	s_delay_alu instid0(SALU_CYCLE_1) | instskip(NEXT) | instid1(SALU_CYCLE_1)
	s_mul_hi_u32 s2, s14, s3
	s_mul_i32 s3, s2, s6
	s_add_i32 s7, s2, 1
	s_sub_i32 s3, s14, s3
	s_delay_alu instid0(SALU_CYCLE_1)
	s_sub_i32 s24, s3, s6
	s_cmp_ge_u32 s3, s6
	s_cselect_b32 s2, s7, s2
	s_cselect_b32 s3, s24, s3
	s_add_i32 s7, s2, 1
	s_cmp_ge_u32 s3, s6
	s_cselect_b32 s3, s7, s2
	s_delay_alu instid0(SALU_CYCLE_1) | instskip(SKIP_2) | instid1(SALU_CYCLE_1)
	s_mul_i32 s2, s3, s6
	s_load_b64 s[6:7], s[4:5], 0x0
	s_sub_i32 s2, s14, s2
	s_lshl_b32 s14, s2, 6
	v_cmp_gt_i32_e64 s2, s18, v56
	v_or_b32_e32 v0, s14, v7
	s_delay_alu instid0(VALU_DEP_1) | instskip(SKIP_1) | instid1(VALU_DEP_4)
	v_cmp_gt_i32_e32 vcc_lo, s16, v0
	v_ashrrev_i32_e32 v1, 31, v0
	s_and_b32 s2, s2, vcc_lo
	s_delay_alu instid0(SALU_CYCLE_1) | instskip(NEXT) | instid1(SALU_CYCLE_1)
	s_and_b32 s2, s23, s2
	s_and_saveexec_b32 s4, s2
	s_cbranch_execz .LBB44_11
; %bb.10:
	v_mad_i64_i32 v[2:3], null, s20, v56, 0
	v_lshlrev_b64 v[4:5], 2, v[0:1]
	s_delay_alu instid0(VALU_DEP_2) | instskip(NEXT) | instid1(VALU_DEP_1)
	v_lshlrev_b64 v[2:3], 2, v[2:3]
	v_add_co_u32 v2, s2, s12, v2
	s_delay_alu instid0(VALU_DEP_1) | instskip(NEXT) | instid1(VALU_DEP_2)
	v_add_co_ci_u32_e64 v3, s2, s13, v3, s2
	v_add_co_u32 v2, s2, v2, v4
	s_delay_alu instid0(VALU_DEP_1)
	v_add_co_ci_u32_e64 v3, s2, v3, v5, s2
	flat_load_b32 v2, v[2:3]
	s_waitcnt vmcnt(0) lgkmcnt(0)
	v_mul_f32_e32 v9, s19, v2
.LBB44_11:
	s_or_b32 exec_lo, exec_lo, s4
	s_load_b32 s25, s[0:1], 0x30
	s_add_i32 s26, s18, -1
	s_lshl_b32 s24, s3, 7
	v_min_i32_e32 v2, s26, v56
	v_cmp_le_i32_e64 s4, s18, v56
	s_xor_b32 s27, s23, -1
	s_waitcnt lgkmcnt(0)
	s_delay_alu instid0(VALU_DEP_2) | instskip(SKIP_1) | instid1(VALU_DEP_1)
	v_mad_i64_i32 v[3:4], null, s25, v2, 0
	v_or_b32_e32 v2, s24, v7
	v_cmp_le_i32_e64 s2, s17, v2
	s_delay_alu instid0(VALU_DEP_3) | instskip(NEXT) | instid1(VALU_DEP_2)
	v_lshlrev_b64 v[3:4], 2, v[3:4]
	s_or_b32 s5, s4, s2
	s_delay_alu instid0(VALU_DEP_1) | instskip(NEXT) | instid1(VALU_DEP_1)
	v_add_co_u32 v5, s3, s8, v3
	v_add_co_ci_u32_e64 v6, s3, s9, v4, s3
	v_ashrrev_i32_e32 v3, 31, v2
	s_or_b32 s3, s5, s27
	s_delay_alu instid0(SALU_CYCLE_1) | instskip(NEXT) | instid1(SALU_CYCLE_1)
	s_xor_b32 s3, s3, -1
	s_and_saveexec_b32 s5, s3
	s_cbranch_execz .LBB44_13
; %bb.12:
	v_lshlrev_b64 v[10:11], 2, v[2:3]
	s_delay_alu instid0(VALU_DEP_1) | instskip(NEXT) | instid1(VALU_DEP_1)
	v_add_co_u32 v10, s3, v5, v10
	v_add_co_ci_u32_e64 v11, s3, v6, v11, s3
	flat_load_b32 v4, v[10:11]
	s_waitcnt vmcnt(0) lgkmcnt(0)
	v_mul_f32_e32 v8, s19, v4
.LBB44_13:
	s_or_b32 exec_lo, exec_lo, s5
	v_or_b32_e32 v4, 64, v2
	v_mov_b32_e32 v10, 0
	s_delay_alu instid0(VALU_DEP_2) | instskip(SKIP_1) | instid1(VALU_DEP_2)
	v_cmp_le_i32_e64 s3, s17, v4
	v_mov_b32_e32 v4, 0
	s_or_b32 s4, s4, s3
	s_delay_alu instid0(SALU_CYCLE_1) | instskip(NEXT) | instid1(SALU_CYCLE_1)
	s_or_b32 s4, s4, s27
	s_xor_b32 s4, s4, -1
	s_delay_alu instid0(SALU_CYCLE_1)
	s_and_saveexec_b32 s5, s4
	s_cbranch_execz .LBB44_15
; %bb.14:
	v_lshlrev_b64 v[10:11], 2, v[2:3]
	s_delay_alu instid0(VALU_DEP_1) | instskip(NEXT) | instid1(VALU_DEP_1)
	v_add_co_u32 v5, s4, v5, v10
	v_add_co_ci_u32_e64 v6, s4, v6, v11, s4
	flat_load_b32 v5, v[5:6] offset:256
	s_waitcnt vmcnt(0) lgkmcnt(0)
	v_mul_f32_e32 v10, s19, v5
.LBB44_15:
	s_or_b32 exec_lo, exec_lo, s5
	v_add_nc_u32_e32 v5, 4, v56
	s_delay_alu instid0(VALU_DEP_1) | instskip(NEXT) | instid1(VALU_DEP_1)
	v_cmp_gt_i32_e64 s4, s18, v5
	s_and_b32 s4, vcc_lo, s4
	s_delay_alu instid0(SALU_CYCLE_1) | instskip(NEXT) | instid1(SALU_CYCLE_1)
	s_and_b32 s4, s23, s4
	s_and_saveexec_b32 s5, s4
	s_cbranch_execz .LBB44_17
; %bb.16:
	v_mad_u64_u32 v[11:12], null, s20, v5, 0
	s_delay_alu instid0(VALU_DEP_1) | instskip(NEXT) | instid1(VALU_DEP_1)
	v_mov_b32_e32 v4, v12
	v_mad_u64_u32 v[12:13], null, s21, v5, v[4:5]
	v_lshlrev_b64 v[13:14], 2, v[0:1]
	s_delay_alu instid0(VALU_DEP_2) | instskip(NEXT) | instid1(VALU_DEP_1)
	v_lshlrev_b64 v[11:12], 2, v[11:12]
	v_add_co_u32 v4, s4, s12, v11
	s_delay_alu instid0(VALU_DEP_1) | instskip(NEXT) | instid1(VALU_DEP_2)
	v_add_co_ci_u32_e64 v6, s4, s13, v12, s4
	v_add_co_u32 v11, s4, v4, v13
	s_delay_alu instid0(VALU_DEP_1)
	v_add_co_ci_u32_e64 v12, s4, v6, v14, s4
	flat_load_b32 v4, v[11:12]
	s_waitcnt vmcnt(0) lgkmcnt(0)
	v_mul_f32_e32 v4, s19, v4
.LBB44_17:
	s_or_b32 exec_lo, exec_lo, s5
	v_min_i32_e32 v6, s26, v5
	v_cmp_le_i32_e64 s4, s18, v5
	v_mov_b32_e32 v5, 0
	s_delay_alu instid0(VALU_DEP_3) | instskip(SKIP_1) | instid1(VALU_DEP_4)
	v_mad_i64_i32 v[11:12], null, s25, v6, 0
	v_mov_b32_e32 v6, 0
	s_or_b32 s28, s2, s4
	s_delay_alu instid0(VALU_DEP_2) | instskip(NEXT) | instid1(VALU_DEP_1)
	v_lshlrev_b64 v[11:12], 2, v[11:12]
	v_add_co_u32 v11, s5, s8, v11
	s_delay_alu instid0(VALU_DEP_1) | instskip(SKIP_1) | instid1(SALU_CYCLE_1)
	v_add_co_ci_u32_e64 v12, s5, s9, v12, s5
	s_or_b32 s5, s28, s27
	s_xor_b32 s5, s5, -1
	s_delay_alu instid0(SALU_CYCLE_1)
	s_and_saveexec_b32 s28, s5
	s_cbranch_execz .LBB44_19
; %bb.18:
	v_lshlrev_b64 v[13:14], 2, v[2:3]
	s_delay_alu instid0(VALU_DEP_1) | instskip(NEXT) | instid1(VALU_DEP_1)
	v_add_co_u32 v13, s5, v11, v13
	v_add_co_ci_u32_e64 v14, s5, v12, v14, s5
	flat_load_b32 v6, v[13:14]
	s_waitcnt vmcnt(0) lgkmcnt(0)
	v_mul_f32_e32 v6, s19, v6
.LBB44_19:
	s_or_b32 exec_lo, exec_lo, s28
	s_or_b32 s4, s3, s4
	s_delay_alu instid0(SALU_CYCLE_1) | instskip(NEXT) | instid1(SALU_CYCLE_1)
	s_or_b32 s4, s4, s27
	s_xor_b32 s4, s4, -1
	s_delay_alu instid0(SALU_CYCLE_1)
	s_and_saveexec_b32 s5, s4
	s_cbranch_execz .LBB44_21
; %bb.20:
	v_lshlrev_b64 v[13:14], 2, v[2:3]
	s_delay_alu instid0(VALU_DEP_1) | instskip(NEXT) | instid1(VALU_DEP_1)
	v_add_co_u32 v11, s4, v11, v13
	v_add_co_ci_u32_e64 v12, s4, v12, v14, s4
	flat_load_b32 v5, v[11:12] offset:256
	s_waitcnt vmcnt(0) lgkmcnt(0)
	v_mul_f32_e32 v5, s19, v5
.LBB44_21:
	s_or_b32 exec_lo, exec_lo, s5
	v_lshlrev_b32_e32 v11, 2, v56
	v_lshlrev_b32_e32 v57, 4, v55
	v_lshlrev_b32_e32 v58, 4, v54
	s_mov_b32 s28, 0
	s_cmp_lt_i32 s18, 9
	v_lshl_add_u32 v59, v7, 4, v11
	ds_store_b32 v59, v9 offset:4096
	ds_store_2addr_stride64_b32 v59, v8, v10 offset1:4
	s_waitcnt lgkmcnt(0)
	s_barrier
	buffer_gl0_inv
	ds_load_b128 v[7:10], v57
	ds_load_b128 v[11:14], v58 offset:4096
	ds_load_b128 v[15:18], v58 offset:4224
	;; [unrolled: 1-line block ×11, first 2 shown]
	ds_store_b32 v59, v4 offset:5120
	ds_store_2addr_stride64_b32 v59, v6, v5 offset0:8 offset1:12
	s_waitcnt lgkmcnt(0)
	s_barrier
	buffer_gl0_inv
	v_max_f32_e32 v7, v7, v7
	v_dual_max_f32 v11, v11, v11 :: v_dual_max_f32 v12, v12, v12
	v_dual_max_f32 v8, v8, v8 :: v_dual_max_f32 v15, v15, v15
	;; [unrolled: 1-line block ×8, first 2 shown]
	v_dual_min_f32 v51, v11, v7 :: v_dual_min_f32 v52, v12, v8
	v_dual_min_f32 v53, v15, v7 :: v_dual_min_f32 v64, v16, v8
	;; [unrolled: 1-line block ×4, first 2 shown]
	v_dual_min_f32 v69, v27, v7 :: v_dual_max_f32 v32, v32, v32
	v_dual_min_f32 v70, v28, v8 :: v_dual_min_f32 v71, v31, v7
	v_dual_min_f32 v73, v35, v7 :: v_dual_min_f32 v74, v36, v8
	v_dual_min_f32 v7, v39, v7 :: v_dual_max_f32 v44, v44, v44
	v_max_f32_e32 v43, v43, v43
	v_dual_max_f32 v47, v47, v47 :: v_dual_min_f32 v72, v32, v8
	v_dual_min_f32 v8, v40, v8 :: v_dual_max_f32 v9, v9, v9
	s_delay_alu instid0(VALU_DEP_4) | instskip(NEXT) | instid1(VALU_DEP_4)
	v_min_f32_e32 v76, v12, v44
	v_dual_max_f32 v10, v10, v10 :: v_dual_min_f32 v75, v11, v43
	v_dual_max_f32 v14, v14, v14 :: v_dual_max_f32 v13, v13, v13
	v_dual_min_f32 v78, v16, v44 :: v_dual_min_f32 v77, v15, v43
	v_dual_max_f32 v18, v18, v18 :: v_dual_max_f32 v17, v17, v17
	v_dual_min_f32 v80, v20, v44 :: v_dual_min_f32 v79, v19, v43
	;; [unrolled: 2-line block ×5, first 2 shown]
	v_dual_max_f32 v34, v34, v34 :: v_dual_min_f32 v87, v35, v43
	v_dual_min_f32 v88, v36, v44 :: v_dual_min_f32 v43, v39, v43
	v_max_f32_e32 v48, v48, v48
	v_dual_min_f32 v44, v40, v44 :: v_dual_min_f32 v91, v19, v47
	v_dual_max_f32 v60, v60, v60 :: v_dual_min_f32 v89, v11, v47
	v_dual_max_f32 v46, v46, v46 :: v_dual_max_f32 v41, v41, v41
	v_min_f32_e32 v90, v15, v47
	v_dual_min_f32 v93, v23, v47 :: v_dual_max_f32 v100, v62, v62
	v_dual_max_f32 v49, v49, v49 :: v_dual_min_f32 v126, v27, v47
	v_dual_max_f32 v61, v61, v61 :: v_dual_min_f32 v128, v35, v47
	v_dual_min_f32 v127, v31, v47 :: v_dual_min_f32 v94, v16, v48
	v_dual_min_f32 v47, v39, v47 :: v_dual_min_f32 v130, v28, v48
	v_min_f32_e32 v11, v11, v60
	s_delay_alu instid0(VALU_DEP_4)
	v_dual_min_f32 v15, v15, v60 :: v_dual_min_f32 v16, v16, v61
	v_min_f32_e32 v19, v19, v60
	v_min_f32_e32 v23, v23, v60
	v_dual_min_f32 v27, v27, v60 :: v_dual_min_f32 v28, v28, v61
	v_min_f32_e32 v31, v31, v60
	v_dual_min_f32 v35, v35, v60 :: v_dual_min_f32 v62, v13, v9
	v_min_f32_e32 v39, v39, v60
	v_dual_min_f32 v132, v36, v48 :: v_dual_add_f32 v51, 0, v51
	v_add_f32_e32 v52, 0, v52
	v_dual_min_f32 v60, v14, v10 :: v_dual_max_f32 v117, v63, v63
	v_min_f32_e32 v92, v12, v48
	s_delay_alu instid0(VALU_DEP_4)
	v_dual_min_f32 v95, v20, v48 :: v_dual_add_f32 v124, v51, v62
	v_min_f32_e32 v129, v24, v48
	v_min_f32_e32 v131, v32, v48
	v_dual_min_f32 v48, v40, v48 :: v_dual_add_f32 v53, 0, v53
	v_min_f32_e32 v12, v12, v61
	v_min_f32_e32 v20, v20, v61
	;; [unrolled: 1-line block ×4, first 2 shown]
	v_dual_min_f32 v36, v36, v61 :: v_dual_add_f32 v51, 0, v64
	v_dual_min_f32 v40, v40, v61 :: v_dual_add_f32 v61, 0, v66
	v_dual_add_f32 v125, v52, v60 :: v_dual_min_f32 v62, v22, v10
	v_dual_min_f32 v52, v18, v10 :: v_dual_max_f32 v33, v33, v33
	v_max_f32_e32 v38, v38, v38
	v_min_f32_e32 v60, v17, v9
	v_dual_add_f32 v63, 0, v65 :: v_dual_min_f32 v66, v26, v10
	v_dual_min_f32 v64, v21, v9 :: v_dual_add_f32 v65, 0, v68
	v_dual_add_f32 v122, v51, v52 :: v_dual_add_f32 v51, 0, v67
	v_min_f32_e32 v52, v25, v9
	v_dual_max_f32 v37, v37, v37 :: v_dual_max_f32 v42, v42, v42
	v_dual_add_f32 v123, v53, v60 :: v_dual_min_f32 v60, v30, v10
	v_dual_add_f32 v120, v61, v62 :: v_dual_add_f32 v121, v63, v64
	v_dual_add_f32 v118, v65, v66 :: v_dual_add_f32 v61, 0, v69
	v_dual_add_f32 v53, 0, v70 :: v_dual_min_f32 v62, v29, v9
	v_add_f32_e32 v65, 0, v71
	v_dual_add_f32 v63, 0, v72 :: v_dual_min_f32 v64, v34, v10
	v_dual_add_f32 v119, v51, v52 :: v_dual_min_f32 v66, v33, v9
	v_dual_max_f32 v45, v45, v45 :: v_dual_max_f32 v50, v50, v50
	v_dual_add_f32 v60, v53, v60 :: v_dual_add_f32 v51, 0, v74
	v_dual_add_f32 v61, v61, v62 :: v_dual_add_f32 v8, 0, v8
	s_delay_alu instid0(VALU_DEP_4) | instskip(SKIP_4) | instid1(VALU_DEP_4)
	v_dual_add_f32 v63, v63, v64 :: v_dual_add_f32 v62, v65, v66
	v_dual_add_f32 v53, 0, v73 :: v_dual_min_f32 v52, v38, v10
	v_dual_min_f32 v65, v37, v9 :: v_dual_min_f32 v10, v42, v10
	v_add_f32_e32 v7, 0, v7
	v_dual_min_f32 v9, v41, v9 :: v_dual_add_f32 v66, 0, v76
	v_dual_min_f32 v67, v14, v46 :: v_dual_add_f32 v64, v51, v52
	s_delay_alu instid0(VALU_DEP_4) | instskip(NEXT) | instid1(VALU_DEP_3)
	v_add_f32_e32 v65, v53, v65
	v_dual_add_f32 v115, v8, v10 :: v_dual_add_f32 v116, v7, v9
	s_delay_alu instid0(VALU_DEP_3) | instskip(SKIP_4) | instid1(VALU_DEP_4)
	v_dual_add_f32 v113, v66, v67 :: v_dual_min_f32 v8, v13, v45
	v_dual_add_f32 v7, 0, v75 :: v_dual_min_f32 v52, v17, v45
	v_dual_add_f32 v9, 0, v78 :: v_dual_min_f32 v68, v21, v45
	v_dual_min_f32 v10, v18, v46 :: v_dual_add_f32 v51, 0, v77
	v_dual_min_f32 v66, v22, v46 :: v_dual_add_f32 v53, 0, v80
	v_dual_add_f32 v67, 0, v79 :: v_dual_add_f32 v114, v7, v8
	s_delay_alu instid0(VALU_DEP_3) | instskip(SKIP_1) | instid1(VALU_DEP_3)
	v_dual_add_f32 v111, v9, v10 :: v_dual_add_f32 v112, v51, v52
	v_dual_add_f32 v7, 0, v82 :: v_dual_min_f32 v10, v25, v45
	v_dual_add_f32 v109, v67, v68 :: v_dual_min_f32 v8, v26, v46
	v_dual_add_f32 v110, v53, v66 :: v_dual_add_f32 v9, 0, v81
	v_dual_min_f32 v52, v30, v46 :: v_dual_add_f32 v51, 0, v84
	v_dual_min_f32 v66, v29, v45 :: v_dual_add_f32 v53, 0, v83
	v_min_f32_e32 v68, v34, v46
	v_add_f32_e32 v67, 0, v86
	v_dual_add_f32 v107, v7, v8 :: v_dual_add_f32 v108, v9, v10
	s_delay_alu instid0(VALU_DEP_4) | instskip(SKIP_1) | instid1(VALU_DEP_4)
	v_dual_add_f32 v105, v51, v52 :: v_dual_add_f32 v106, v53, v66
	v_dual_add_f32 v7, 0, v85 :: v_dual_add_f32 v44, 0, v44
	v_dual_min_f32 v8, v33, v45 :: v_dual_add_f32 v103, v67, v68
	v_dual_min_f32 v10, v38, v46 :: v_dual_add_f32 v9, 0, v88
	v_dual_min_f32 v52, v37, v45 :: v_dual_add_f32 v51, 0, v87
	v_dual_min_f32 v46, v42, v46 :: v_dual_add_f32 v43, 0, v43
	s_delay_alu instid0(VALU_DEP_4) | instskip(NEXT) | instid1(VALU_DEP_3)
	v_dual_add_f32 v104, v7, v8 :: v_dual_min_f32 v45, v41, v45
	v_dual_add_f32 v102, v51, v52 :: v_dual_add_f32 v101, v9, v10
	s_delay_alu instid0(VALU_DEP_3) | instskip(NEXT) | instid1(VALU_DEP_3)
	v_dual_add_f32 v99, v44, v46 :: v_dual_min_f32 v10, v13, v49
	v_dual_add_f32 v98, v43, v45 :: v_dual_add_f32 v7, 0, v92
	v_dual_min_f32 v8, v14, v50 :: v_dual_add_f32 v9, 0, v89
	v_min_f32_e32 v44, v18, v50
	v_dual_add_f32 v43, 0, v94 :: v_dual_min_f32 v46, v17, v49
	v_add_f32_e32 v45, 0, v90
	v_dual_add_f32 v51, 0, v95 :: v_dual_min_f32 v52, v22, v50
	v_dual_add_f32 v97, v7, v8 :: v_dual_add_f32 v96, v9, v10
	s_delay_alu instid0(VALU_DEP_3) | instskip(NEXT) | instid1(VALU_DEP_3)
	v_dual_add_f32 v94, v43, v44 :: v_dual_add_f32 v95, v45, v46
	v_dual_add_f32 v92, v51, v52 :: v_dual_add_f32 v7, 0, v91
	v_min_f32_e32 v8, v21, v49
	v_dual_add_f32 v9, 0, v129 :: v_dual_min_f32 v10, v26, v50
	v_dual_add_f32 v43, 0, v93 :: v_dual_min_f32 v46, v30, v50
	v_dual_min_f32 v44, v25, v49 :: v_dual_add_f32 v45, 0, v130
	v_dual_add_f32 v51, 0, v126 :: v_dual_min_f32 v52, v29, v49
	s_delay_alu instid0(VALU_DEP_4) | instskip(NEXT) | instid1(VALU_DEP_3)
	v_dual_add_f32 v93, v7, v8 :: v_dual_add_f32 v90, v9, v10
	v_dual_add_f32 v91, v43, v44 :: v_dual_min_f32 v8, v34, v50
	s_delay_alu instid0(VALU_DEP_3)
	v_dual_add_f32 v89, v45, v46 :: v_dual_add_f32 v88, v51, v52
	v_dual_add_f32 v7, 0, v131 :: v_dual_min_f32 v10, v33, v49
	v_dual_add_f32 v9, 0, v127 :: v_dual_min_f32 v44, v38, v50
	;; [unrolled: 1-line block ×4, first 2 shown]
	v_add_f32_e32 v48, 0, v48
	s_delay_alu instid0(VALU_DEP_4) | instskip(NEXT) | instid1(VALU_DEP_4)
	v_dual_add_f32 v87, v7, v8 :: v_dual_add_f32 v86, v9, v10
	v_dual_add_f32 v84, v43, v44 :: v_dual_add_f32 v7, 0, v47
	s_delay_alu instid0(VALU_DEP_4) | instskip(NEXT) | instid1(VALU_DEP_4)
	v_add_f32_e32 v85, v45, v46
	v_dual_add_f32 v82, v48, v50 :: v_dual_add_f32 v9, 0, v12
	v_dual_add_f32 v12, 0, v19 :: v_dual_add_f32 v19, 0, v24
	v_dual_add_f32 v24, 0, v31 :: v_dual_min_f32 v31, v41, v49
	v_dual_add_f32 v8, 0, v11 :: v_dual_add_f32 v11, 0, v16
	v_dual_add_f32 v16, 0, v23 :: v_dual_add_f32 v23, 0, v28
	v_add_f32_e32 v28, 0, v35
	s_delay_alu instid0(VALU_DEP_4)
	v_dual_min_f32 v14, v14, v117 :: v_dual_add_f32 v83, v7, v31
	v_dual_min_f32 v7, v13, v100 :: v_dual_add_f32 v10, 0, v15
	v_dual_add_f32 v15, 0, v20 :: v_dual_add_f32 v20, 0, v27
	v_add_f32_e32 v27, 0, v32
	v_dual_add_f32 v32, 0, v36 :: v_dual_add_f32 v35, 0, v39
	v_add_f32_e32 v36, 0, v40
	v_dual_add_f32 v80, v9, v14 :: v_dual_add_f32 v81, v8, v7
	v_min_f32_e32 v9, v18, v117
	v_dual_min_f32 v13, v17, v100 :: v_dual_min_f32 v14, v22, v117
	v_dual_min_f32 v7, v21, v100 :: v_dual_min_f32 v8, v26, v117
	s_delay_alu instid0(VALU_DEP_3) | instskip(NEXT) | instid1(VALU_DEP_3)
	v_add_f32_e32 v79, v11, v9
	v_add_f32_e32 v78, v10, v13
	v_min_f32_e32 v10, v29, v100
	s_delay_alu instid0(VALU_DEP_4) | instskip(SKIP_4) | instid1(VALU_DEP_4)
	v_dual_add_f32 v76, v15, v14 :: v_dual_add_f32 v77, v12, v7
	v_min_f32_e32 v7, v25, v100
	v_dual_min_f32 v9, v30, v117 :: v_dual_add_f32 v74, v19, v8
	v_min_f32_e32 v8, v34, v117
	v_add_f32_e32 v72, v20, v10
	v_add_f32_e32 v75, v16, v7
	s_delay_alu instid0(VALU_DEP_4) | instskip(SKIP_4) | instid1(VALU_DEP_4)
	v_add_f32_e32 v73, v23, v9
	v_min_f32_e32 v7, v33, v100
	v_add_f32_e32 v70, v27, v8
	v_dual_min_f32 v8, v38, v117 :: v_dual_min_f32 v9, v37, v100
	v_dual_min_f32 v10, v42, v117 :: v_dual_min_f32 v11, v41, v100
	v_add_f32_e32 v71, v24, v7
	s_delay_alu instid0(VALU_DEP_3) | instskip(NEXT) | instid1(VALU_DEP_3)
	v_add_f32_e32 v68, v28, v9
	v_dual_add_f32 v69, v32, v8 :: v_dual_add_f32 v66, v35, v11
	s_delay_alu instid0(VALU_DEP_4)
	v_add_f32_e32 v67, v36, v10
	s_cbranch_scc1 .LBB44_36
; %bb.22:
	v_add_nc_u32_e32 v6, 12, v56
	v_add_nc_u32_e32 v8, 8, v56
	v_lshlrev_b64 v[0:1], 2, v[0:1]
	v_lshlrev_b64 v[52:53], 2, v[2:3]
	v_or_b32_e32 v100, 0x1000, v59
	v_mad_i64_i32 v[4:5], null, v6, s20, 0
	v_mad_i64_i32 v[6:7], null, v8, s20, 0
	v_add_co_u32 v128, s4, s12, v0
	v_add_nc_u32_e32 v117, 0x1000, v58
	v_add_nc_u32_e32 v126, 0x1400, v59
	v_lshlrev_b64 v[48:49], 2, v[4:5]
	v_or_b32_e32 v127, 0x800, v59
	v_lshlrev_b64 v[50:51], 2, v[6:7]
	v_add_co_ci_u32_e64 v129, s4, s13, v1, s4
	v_lshl_add_u32 v130, v54, 4, 0x1400
	v_lshl_add_u32 v131, v55, 4, 0x800
	s_add_i32 s29, s18, -8
	s_lshl_b64 s[12:13], s[20:21], 5
	s_branch .LBB44_24
.LBB44_23:                              ;   in Loop: Header=BB44_24 Depth=1
	s_or_b32 exec_lo, exec_lo, s5
	v_dual_add_f32 v36, v124, v36 :: v_dual_add_f32 v41, v123, v41
	v_dual_add_f32 v40, v125, v40 :: v_dual_add_f32 v33, v119, v33
	;; [unrolled: 1-line block ×25, first 2 shown]
	ds_load_b128 v[20:23], v57
	ds_load_b128 v[28:31], v117
	v_dual_add_f32 v113, v12, v187 :: v_dual_add_f32 v114, v9, v178
	v_dual_add_f32 v80, v80, v215 :: v_dual_add_f32 v77, v77, v10
	;; [unrolled: 1-line block ×3, first 2 shown]
	ds_load_b128 v[8:11], v117 offset:128
	v_dual_add_f32 v32, v120, v32 :: v_dual_add_f32 v37, v118, v37
	v_dual_add_f32 v102, v102, v145 :: v_dual_add_f32 v97, v97, v148
	;; [unrolled: 1-line block ×5, first 2 shown]
	v_add_f32_e32 v70, v70, v172
	v_add_f32_e32 v46, v67, v46
	v_add_f32_e32 v67, v36, v38
	v_dual_add_f32 v105, v37, v39 :: v_dual_add_f32 v108, v16, v18
	v_dual_add_f32 v115, v17, v188 :: v_dual_add_f32 v60, v60, v181
	;; [unrolled: 1-line block ×7, first 2 shown]
	s_waitcnt lgkmcnt(2)
	v_dual_add_f32 v76, v76, v19 :: v_dual_max_f32 v21, v21, v21
	v_dual_add_f32 v74, v74, v26 :: v_dual_add_f32 v73, v73, v27
	v_dual_add_f32 v72, v72, v2 :: v_dual_add_f32 v71, v71, v3
	;; [unrolled: 1-line block ×4, first 2 shown]
	ds_load_b128 v[0:3], v117 offset:256
	ds_load_b128 v[4:7], v117 offset:384
	;; [unrolled: 1-line block ×5, first 2 shown]
	s_waitcnt lgkmcnt(6)
	v_dual_max_f32 v20, v20, v20 :: v_dual_max_f32 v29, v29, v29
	s_waitcnt lgkmcnt(5)
	v_dual_max_f32 v28, v28, v28 :: v_dual_max_f32 v9, v9, v9
	v_dual_add_f32 v98, v99, v146 :: v_dual_add_f32 v93, v93, v151
	v_dual_add_f32 v99, v32, v35 :: v_dual_add_f32 v124, v46, v177
	s_delay_alu instid0(VALU_DEP_3)
	v_min_f32_e32 v135, v28, v20
	ds_load_b128 v[32:35], v117 offset:768
	ds_load_b128 v[36:39], v117 offset:896
	v_max_f32_e32 v8, v8, v8
	v_dual_add_f32 v118, v45, v189 :: v_dual_add_f32 v63, v63, v191
	v_dual_add_f32 v67, v67, v135 :: v_dual_min_f32 v136, v29, v21
	s_delay_alu instid0(VALU_DEP_3) | instskip(SKIP_2) | instid1(VALU_DEP_3)
	v_min_f32_e32 v137, v8, v20
	s_waitcnt lgkmcnt(6)
	v_dual_max_f32 v0, v0, v0 :: v_dual_max_f32 v1, v1, v1
	v_dual_min_f32 v135, v9, v21 :: v_dual_add_f32 v66, v66, v136
	s_waitcnt lgkmcnt(5)
	v_dual_max_f32 v4, v4, v4 :: v_dual_max_f32 v5, v5, v5
	s_delay_alu instid0(VALU_DEP_3) | instskip(NEXT) | instid1(VALU_DEP_3)
	v_min_f32_e32 v136, v0, v20
	v_dual_add_f32 v84, v84, v137 :: v_dual_add_f32 v83, v83, v135
	v_min_f32_e32 v135, v1, v21
	s_delay_alu instid0(VALU_DEP_4) | instskip(NEXT) | instid1(VALU_DEP_4)
	v_min_f32_e32 v137, v4, v20
	v_add_f32_e32 v101, v101, v136
	s_waitcnt lgkmcnt(4)
	v_max_f32_e32 v12, v12, v12
	v_dual_min_f32 v136, v5, v21 :: v_dual_add_f32 v99, v99, v135
	s_waitcnt lgkmcnt(3)
	v_dual_max_f32 v13, v13, v13 :: v_dual_max_f32 v16, v16, v16
	s_waitcnt lgkmcnt(1)
	v_dual_max_f32 v17, v17, v17 :: v_dual_max_f32 v32, v32, v32
	v_dual_add_f32 v106, v106, v137 :: v_dual_min_f32 v135, v12, v20
	v_add_f32_e32 v105, v105, v136
	v_min_f32_e32 v136, v13, v21
	s_waitcnt lgkmcnt(0)
	v_dual_min_f32 v137, v17, v21 :: v_dual_max_f32 v36, v36, v36
	v_dual_max_f32 v25, v25, v25 :: v_dual_add_f32 v108, v108, v135
	s_delay_alu instid0(VALU_DEP_3) | instskip(NEXT) | instid1(VALU_DEP_3)
	v_add_f32_e32 v107, v107, v136
	v_dual_min_f32 v136, v32, v20 :: v_dual_add_f32 v109, v109, v137
	v_min_f32_e32 v135, v16, v20
	v_dual_min_f32 v20, v36, v20 :: v_dual_max_f32 v37, v37, v37
	s_delay_alu instid0(VALU_DEP_3) | instskip(SKIP_1) | instid1(VALU_DEP_4)
	v_add_f32_e32 v112, v112, v136
	v_min_f32_e32 v136, v29, v25
	v_dual_max_f32 v33, v33, v33 :: v_dual_add_f32 v110, v110, v135
	v_max_f32_e32 v24, v24, v24
	v_add_f32_e32 v20, v114, v20
	ds_load_b128 v[40:43], v57 offset:1024
	ds_load_b128 v[44:47], v57 offset:1536
	v_min_f32_e32 v135, v33, v21
	v_dual_min_f32 v21, v37, v21 :: v_dual_min_f32 v114, v8, v24
	v_dual_add_f32 v104, v104, v143 :: v_dual_add_f32 v103, v103, v144
	s_delay_alu instid0(VALU_DEP_3) | instskip(SKIP_1) | instid1(VALU_DEP_4)
	v_add_f32_e32 v111, v111, v135
	v_min_f32_e32 v135, v28, v24
	v_add_f32_e32 v21, v113, v21
	v_add_f32_e32 v113, v115, v136
	;; [unrolled: 1-line block ×3, first 2 shown]
	v_dual_min_f32 v114, v0, v24 :: v_dual_add_f32 v61, v61, v190
	v_add_f32_e32 v64, v64, v183
	v_dual_add_f32 v62, v62, v182 :: v_dual_add_f32 v65, v65, v192
	s_delay_alu instid0(VALU_DEP_3) | instskip(SKIP_3) | instid1(VALU_DEP_3)
	v_add_f32_e32 v138, v60, v114
	v_dual_min_f32 v60, v12, v24 :: v_dual_add_f32 v103, v103, v193
	v_add_f32_e32 v104, v104, v184
	v_dual_add_f32 v96, v96, v147 :: v_dual_add_f32 v95, v95, v149
	v_add_f32_e32 v142, v64, v60
	v_min_f32_e32 v60, v32, v24
	v_dual_add_f32 v135, v116, v135 :: v_dual_min_f32 v116, v1, v25
	s_waitcnt lgkmcnt(1)
	v_max_f32_e32 v40, v40, v40
	v_dual_add_f32 v96, v96, v195 :: v_dual_add_f32 v93, v93, v197
	v_add_f32_e32 v102, v102, v60
	v_add_f32_e32 v139, v61, v116
	v_min_f32_e32 v61, v13, v25
	v_dual_max_f32 v41, v41, v41 :: v_dual_min_f32 v60, v28, v40
	v_dual_min_f32 v119, v4, v24 :: v_dual_add_f32 v94, v94, v150
	v_add_f32_e32 v91, v91, v153
	s_delay_alu instid0(VALU_DEP_4) | instskip(NEXT) | instid1(VALU_DEP_4)
	v_add_f32_e32 v143, v65, v61
	v_dual_min_f32 v61, v33, v25 :: v_dual_add_f32 v96, v96, v60
	v_min_f32_e32 v60, v9, v41
	v_dual_min_f32 v115, v9, v25 :: v_dual_add_f32 v140, v62, v119
	v_min_f32_e32 v62, v16, v24
	v_dual_add_f32 v92, v92, v152 :: v_dual_add_f32 v87, v87, v158
	s_delay_alu instid0(VALU_DEP_3)
	v_add_f32_e32 v137, v118, v115
	v_dual_add_f32 v90, v90, v154 :: v_dual_add_f32 v89, v89, v156
	v_dual_add_f32 v98, v98, v203 :: v_dual_add_f32 v95, v95, v196
	v_dual_min_f32 v115, v5, v25 :: v_dual_add_f32 v104, v104, v62
	v_min_f32_e32 v62, v8, v40
	v_dual_add_f32 v94, v94, v205 :: v_dual_add_f32 v91, v91, v198
	v_dual_add_f32 v92, v92, v206 :: v_dual_add_f32 v89, v89, v208
	s_delay_alu instid0(VALU_DEP_4)
	v_add_f32_e32 v141, v63, v115
	v_dual_min_f32 v63, v17, v25 :: v_dual_min_f32 v24, v36, v24
	v_dual_add_f32 v144, v120, v61 :: v_dual_add_f32 v95, v95, v62
	v_min_f32_e32 v62, v1, v41
	v_dual_min_f32 v61, v29, v41 :: v_dual_add_f32 v90, v90, v207
	v_add_f32_e32 v87, v87, v209
	v_add_f32_e32 v103, v103, v63
	v_dual_min_f32 v25, v37, v25 :: v_dual_add_f32 v94, v94, v60
	v_dual_min_f32 v63, v4, v40 :: v_dual_min_f32 v60, v5, v41
	v_dual_add_f32 v92, v92, v62 :: v_dual_add_f32 v97, v97, v61
	v_min_f32_e32 v61, v0, v40
	v_dual_add_f32 v88, v88, v199 :: v_dual_add_f32 v85, v85, v201
	s_delay_alu instid0(VALU_DEP_4) | instskip(SKIP_1) | instid1(VALU_DEP_4)
	v_add_f32_e32 v90, v90, v60
	v_min_f32_e32 v60, v13, v41
	v_add_f32_e32 v93, v93, v61
	v_dual_add_f32 v91, v91, v63 :: v_dual_min_f32 v62, v16, v40
	v_min_f32_e32 v61, v12, v40
	s_waitcnt lgkmcnt(0)
	v_dual_min_f32 v63, v17, v41 :: v_dual_max_f32 v44, v44, v44
	s_delay_alu instid0(VALU_DEP_3) | instskip(NEXT) | instid1(VALU_DEP_3)
	v_dual_max_f32 v45, v45, v45 :: v_dual_add_f32 v86, v86, v62
	v_dual_add_f32 v88, v88, v61 :: v_dual_add_f32 v89, v89, v60
	v_dual_min_f32 v61, v32, v40 :: v_dual_min_f32 v60, v33, v41
	s_delay_alu instid0(VALU_DEP_4)
	v_dual_min_f32 v40, v36, v40 :: v_dual_add_f32 v87, v87, v63
	v_dual_add_f32 v82, v82, v214 :: v_dual_add_f32 v79, v79, v216
	v_dual_min_f32 v28, v28, v44 :: v_dual_min_f32 v9, v9, v45
	v_dual_min_f32 v0, v0, v44 :: v_dual_min_f32 v13, v13, v45
	;; [unrolled: 1-line block ×4, first 2 shown]
	v_dual_max_f32 v23, v23, v23 :: v_dual_max_f32 v30, v30, v30
	v_dual_max_f32 v31, v31, v31 :: v_dual_max_f32 v10, v10, v10
	v_add_f32_e32 v145, v122, v60
	v_dual_min_f32 v41, v37, v41 :: v_dual_min_f32 v8, v8, v44
	v_dual_add_f32 v9, v79, v9 :: v_dual_min_f32 v4, v4, v44
	v_dual_min_f32 v1, v1, v45 :: v_dual_min_f32 v12, v12, v44
	v_dual_add_f32 v13, v73, v13 :: v_dual_min_f32 v36, v36, v44
	v_dual_add_f32 v32, v68, v32 :: v_dual_add_f32 v33, v69, v33
	v_max_f32_e32 v22, v22, v22
	v_dual_min_f32 v44, v31, v23 :: v_dual_add_f32 v17, v70, v17
	s_delay_alu instid0(VALU_DEP_4) | instskip(SKIP_1) | instid1(VALU_DEP_3)
	v_dual_add_f32 v36, v125, v36 :: v_dual_max_f32 v11, v11, v11
	v_dual_min_f32 v29, v29, v45 :: v_dual_add_f32 v8, v78, v8
	v_add_f32_e32 v125, v66, v44
	v_dual_min_f32 v44, v10, v22 :: v_dual_min_f32 v37, v37, v45
	s_delay_alu instid0(VALU_DEP_4) | instskip(SKIP_1) | instid1(VALU_DEP_3)
	v_dual_min_f32 v60, v11, v23 :: v_dual_min_f32 v5, v5, v45
	v_dual_add_f32 v4, v75, v4 :: v_dual_min_f32 v45, v30, v22
	v_dual_add_f32 v37, v124, v37 :: v_dual_max_f32 v2, v2, v2
	v_dual_max_f32 v3, v3, v3 :: v_dual_max_f32 v6, v6, v6
	v_max_f32_e32 v7, v7, v7
	v_dual_add_f32 v85, v85, v61 :: v_dual_add_f32 v40, v123, v40
	v_add_f32_e32 v122, v83, v60
	v_dual_add_f32 v124, v67, v45 :: v_dual_add_f32 v123, v84, v44
	v_min_f32_e32 v44, v2, v22
	v_min_f32_e32 v60, v7, v23
	;; [unrolled: 1-line block ×3, first 2 shown]
	v_dual_max_f32 v15, v15, v15 :: v_dual_max_f32 v14, v14, v14
	v_dual_add_f32 v24, v121, v24 :: v_dual_add_f32 v25, v98, v25
	s_delay_alu instid0(VALU_DEP_4) | instskip(NEXT) | instid1(VALU_DEP_4)
	v_add_f32_e32 v118, v105, v60
	v_dual_add_f32 v120, v99, v45 :: v_dual_min_f32 v45, v6, v22
	s_delay_alu instid0(VALU_DEP_4) | instskip(SKIP_1) | instid1(VALU_DEP_3)
	v_dual_add_f32 v121, v101, v44 :: v_dual_min_f32 v44, v15, v23
	v_dual_max_f32 v19, v19, v19 :: v_dual_max_f32 v18, v18, v18
	v_add_f32_e32 v119, v106, v45
	v_min_f32_e32 v45, v14, v22
	v_max_f32_e32 v35, v35, v35
	v_dual_max_f32 v39, v39, v39 :: v_dual_max_f32 v38, v38, v38
	v_add_f32_e32 v60, v107, v44
	v_min_f32_e32 v44, v19, v23
	v_min_f32_e32 v62, v18, v22
	v_dual_max_f32 v34, v34, v34 :: v_dual_add_f32 v61, v108, v45
	v_min_f32_e32 v45, v35, v23
	v_dual_max_f32 v27, v27, v27 :: v_dual_max_f32 v26, v26, v26
	v_min_f32_e32 v23, v39, v23
	s_delay_alu instid0(VALU_DEP_4) | instskip(SKIP_1) | instid1(VALU_DEP_3)
	v_dual_add_f32 v63, v109, v44 :: v_dual_min_f32 v44, v34, v22
	v_min_f32_e32 v22, v38, v22
	v_dual_add_f32 v62, v110, v62 :: v_dual_add_f32 v115, v21, v23
	v_min_f32_e32 v21, v11, v27
	s_delay_alu instid0(VALU_DEP_4) | instskip(NEXT) | instid1(VALU_DEP_4)
	v_dual_add_f32 v64, v111, v45 :: v_dual_add_f32 v65, v112, v44
	v_add_f32_e32 v116, v20, v22
	s_delay_alu instid0(VALU_DEP_3) | instskip(SKIP_1) | instid1(VALU_DEP_2)
	v_dual_min_f32 v20, v10, v26 :: v_dual_add_f32 v111, v137, v21
	v_dual_min_f32 v22, v2, v26 :: v_dual_min_f32 v21, v3, v27
	v_dual_min_f32 v23, v7, v27 :: v_dual_add_f32 v112, v136, v20
	v_min_f32_e32 v20, v6, v26
	s_delay_alu instid0(VALU_DEP_3) | instskip(SKIP_1) | instid1(VALU_DEP_3)
	v_dual_add_f32 v109, v138, v22 :: v_dual_add_f32 v110, v139, v21
	v_min_f32_e32 v21, v15, v27
	v_dual_add_f32 v107, v141, v23 :: v_dual_add_f32 v108, v140, v20
	v_min_f32_e32 v20, v14, v26
	v_dual_min_f32 v22, v19, v27 :: v_dual_min_f32 v23, v18, v26
	s_delay_alu instid0(VALU_DEP_4) | instskip(NEXT) | instid1(VALU_DEP_3)
	v_add_f32_e32 v105, v143, v21
	v_dual_min_f32 v21, v35, v27 :: v_dual_add_f32 v106, v142, v20
	v_min_f32_e32 v20, v34, v26
	s_delay_alu instid0(VALU_DEP_4) | instskip(NEXT) | instid1(VALU_DEP_3)
	v_dual_add_f32 v103, v103, v22 :: v_dual_add_f32 v104, v104, v23
	v_dual_add_f32 v101, v144, v21 :: v_dual_max_f32 v22, v42, v42
	v_max_f32_e32 v21, v43, v43
	s_delay_alu instid0(VALU_DEP_4) | instskip(SKIP_2) | instid1(VALU_DEP_4)
	v_dual_min_f32 v23, v39, v27 :: v_dual_add_f32 v102, v102, v20
	v_dual_min_f32 v44, v31, v27 :: v_dual_min_f32 v45, v30, v26
	v_min_f32_e32 v26, v38, v26
	v_dual_min_f32 v20, v31, v21 :: v_dual_min_f32 v27, v30, v22
	s_delay_alu instid0(VALU_DEP_4) | instskip(NEXT) | instid1(VALU_DEP_3)
	v_add_f32_e32 v99, v25, v23
	v_dual_min_f32 v23, v11, v21 :: v_dual_add_f32 v98, v24, v26
	s_delay_alu instid0(VALU_DEP_3) | instskip(NEXT) | instid1(VALU_DEP_4)
	v_dual_add_f32 v97, v97, v20 :: v_dual_min_f32 v20, v10, v22
	v_add_f32_e32 v96, v96, v27
	v_min_f32_e32 v24, v3, v21
	s_delay_alu instid0(VALU_DEP_4) | instskip(SKIP_2) | instid1(VALU_DEP_4)
	v_dual_add_f32 v94, v94, v23 :: v_dual_min_f32 v25, v7, v21
	v_min_f32_e32 v23, v2, v22
	v_dual_add_f32 v95, v95, v20 :: v_dual_min_f32 v20, v6, v22
	v_add_f32_e32 v92, v92, v24
	s_delay_alu instid0(VALU_DEP_3) | instskip(SKIP_1) | instid1(VALU_DEP_4)
	v_dual_add_f32 v90, v90, v25 :: v_dual_add_f32 v93, v93, v23
	v_dual_min_f32 v23, v15, v21 :: v_dual_min_f32 v24, v14, v22
	v_add_f32_e32 v91, v91, v20
	v_dual_min_f32 v20, v19, v21 :: v_dual_min_f32 v25, v18, v22
	s_delay_alu instid0(VALU_DEP_3) | instskip(SKIP_1) | instid1(VALU_DEP_3)
	v_dual_add_f32 v89, v89, v23 :: v_dual_add_f32 v88, v88, v24
	v_min_f32_e32 v23, v35, v21
	v_dual_add_f32 v87, v87, v20 :: v_dual_add_f32 v86, v86, v25
	v_min_f32_e32 v20, v34, v22
	v_max_f32_e32 v24, v47, v47
	s_delay_alu instid0(VALU_DEP_4) | instskip(SKIP_3) | instid1(VALU_DEP_3)
	v_dual_add_f32 v84, v145, v23 :: v_dual_min_f32 v21, v39, v21
	v_max_f32_e32 v23, v46, v46
	v_dual_add_f32 v41, v82, v41 :: v_dual_add_f32 v28, v81, v28
	v_dual_add_f32 v1, v76, v1 :: v_dual_add_f32 v16, v71, v16
	v_dual_add_f32 v85, v85, v20 :: v_dual_min_f32 v20, v30, v23
	v_dual_min_f32 v10, v10, v23 :: v_dual_min_f32 v3, v3, v24
	v_dual_add_f32 v29, v80, v29 :: v_dual_add_f32 v0, v77, v0
	v_dual_add_f32 v5, v74, v5 :: v_dual_add_f32 v12, v72, v12
	s_delay_alu instid0(VALU_DEP_4) | instskip(NEXT) | instid1(VALU_DEP_4)
	v_dual_add_f32 v81, v28, v20 :: v_dual_min_f32 v2, v2, v23
	v_dual_add_f32 v76, v1, v3 :: v_dual_min_f32 v1, v7, v24
	v_dual_min_f32 v22, v38, v22 :: v_dual_min_f32 v25, v31, v24
	s_delay_alu instid0(VALU_DEP_3) | instskip(SKIP_1) | instid1(VALU_DEP_4)
	v_dual_add_f32 v77, v0, v2 :: v_dual_min_f32 v0, v6, v23
	v_dual_min_f32 v2, v15, v24 :: v_dual_min_f32 v3, v14, v23
	v_dual_add_f32 v74, v5, v1 :: v_dual_min_f32 v1, v19, v24
	s_delay_alu instid0(VALU_DEP_4) | instskip(NEXT) | instid1(VALU_DEP_4)
	v_dual_add_f32 v80, v29, v25 :: v_dual_min_f32 v11, v11, v24
	v_dual_add_f32 v75, v4, v0 :: v_dual_min_f32 v0, v18, v23
	s_delay_alu instid0(VALU_DEP_4) | instskip(NEXT) | instid1(VALU_DEP_4)
	v_dual_add_f32 v73, v13, v2 :: v_dual_add_f32 v72, v12, v3
	v_dual_add_f32 v70, v17, v1 :: v_dual_min_f32 v1, v35, v24
	v_dual_min_f32 v2, v34, v23 :: v_dual_min_f32 v3, v39, v24
	s_delay_alu instid0(VALU_DEP_4)
	v_dual_min_f32 v4, v38, v23 :: v_dual_add_f32 v71, v16, v0
	v_add_co_u32 v128, s4, v128, s12
	v_dual_add_f32 v113, v113, v44 :: v_dual_add_f32 v114, v135, v45
	v_dual_add_f32 v82, v41, v21 :: v_dual_add_f32 v83, v40, v22
	;; [unrolled: 1-line block ×5, first 2 shown]
	v_add_co_ci_u32_e64 v129, s4, s13, v129, s4
	s_add_i32 s28, s28, 8
	ds_store_b32 v126, v132
	ds_store_2addr_stride64_b32 v127, v134, v133 offset1:4
	s_cmp_ge_i32 s28, s29
	s_waitcnt lgkmcnt(0)
	s_barrier
	buffer_gl0_inv
	s_cbranch_scc1 .LBB44_36
.LBB44_24:                              ; =>This Inner Loop Header: Depth=1
	v_dual_mov_b32 v134, 0 :: v_dual_add_nc_u32 v133, s28, v56
	s_delay_alu instid0(VALU_DEP_1) | instskip(NEXT) | instid1(VALU_DEP_1)
	v_dual_mov_b32 v135, 0 :: v_dual_add_nc_u32 v0, 8, v133
	v_cmp_gt_i32_e64 s4, s18, v0
	s_delay_alu instid0(VALU_DEP_1) | instskip(NEXT) | instid1(SALU_CYCLE_1)
	s_and_b32 s4, vcc_lo, s4
	s_and_b32 s4, s23, s4
	s_delay_alu instid0(SALU_CYCLE_1)
	s_and_saveexec_b32 s5, s4
	s_cbranch_execz .LBB44_26
; %bb.25:                               ;   in Loop: Header=BB44_24 Depth=1
	v_add_co_u32 v1, s4, v128, v50
	s_delay_alu instid0(VALU_DEP_1)
	v_add_co_ci_u32_e64 v2, s4, v129, v51, s4
	flat_load_b32 v1, v[1:2]
	s_waitcnt vmcnt(0) lgkmcnt(0)
	v_mul_f32_e32 v135, s19, v1
.LBB44_26:                              ;   in Loop: Header=BB44_24 Depth=1
	s_or_b32 exec_lo, exec_lo, s5
	v_min_i32_e32 v3, s26, v0
	v_cmp_le_i32_e64 s4, s18, v0
	s_delay_alu instid0(VALU_DEP_2) | instskip(NEXT) | instid1(VALU_DEP_2)
	v_mad_i64_i32 v[1:2], null, v3, s25, 0
	s_or_b32 s20, s2, s4
	s_delay_alu instid0(VALU_DEP_1) | instskip(NEXT) | instid1(VALU_DEP_1)
	v_lshlrev_b64 v[0:1], 2, v[1:2]
	v_add_co_u32 v0, s5, s8, v0
	s_delay_alu instid0(VALU_DEP_1) | instskip(SKIP_1) | instid1(SALU_CYCLE_1)
	v_add_co_ci_u32_e64 v1, s5, s9, v1, s5
	s_or_b32 s5, s20, s27
	s_xor_b32 s5, s5, -1
	s_delay_alu instid0(SALU_CYCLE_1)
	s_and_saveexec_b32 s20, s5
	s_cbranch_execz .LBB44_28
; %bb.27:                               ;   in Loop: Header=BB44_24 Depth=1
	v_add_co_u32 v2, s5, v0, v52
	s_delay_alu instid0(VALU_DEP_1)
	v_add_co_ci_u32_e64 v3, s5, v1, v53, s5
	flat_load_b32 v2, v[2:3]
	s_waitcnt vmcnt(0) lgkmcnt(0)
	v_mul_f32_e32 v134, s19, v2
.LBB44_28:                              ;   in Loop: Header=BB44_24 Depth=1
	s_or_b32 exec_lo, exec_lo, s20
	s_or_b32 s4, s3, s4
	v_mov_b32_e32 v132, 0
	v_mov_b32_e32 v136, 0
	s_or_b32 s4, s4, s27
	s_delay_alu instid0(SALU_CYCLE_1) | instskip(NEXT) | instid1(SALU_CYCLE_1)
	s_xor_b32 s4, s4, -1
	s_and_saveexec_b32 s5, s4
	s_cbranch_execz .LBB44_30
; %bb.29:                               ;   in Loop: Header=BB44_24 Depth=1
	v_add_co_u32 v0, s4, v0, v52
	s_delay_alu instid0(VALU_DEP_1)
	v_add_co_ci_u32_e64 v1, s4, v1, v53, s4
	flat_load_b32 v0, v[0:1] offset:256
	s_waitcnt vmcnt(0) lgkmcnt(0)
	v_mul_f32_e32 v136, s19, v0
.LBB44_30:                              ;   in Loop: Header=BB44_24 Depth=1
	s_or_b32 exec_lo, exec_lo, s5
	ds_load_b128 v[40:43], v130
	ds_load_b128 v[36:39], v130 offset:128
	ds_load_b128 v[32:35], v130 offset:256
	;; [unrolled: 1-line block ×7, first 2 shown]
	ds_load_b128 v[44:47], v131
	ds_load_b128 v[8:11], v131 offset:512
	ds_load_b128 v[4:7], v131 offset:1024
	ds_load_b128 v[0:3], v131 offset:1536
	v_add_nc_u32_e32 v133, 12, v133
	ds_store_b32 v100, v135
	ds_store_2addr_stride64_b32 v59, v134, v136 offset1:4
	s_waitcnt lgkmcnt(0)
	s_barrier
	buffer_gl0_inv
	v_cmp_gt_i32_e64 s4, s18, v133
	s_delay_alu instid0(VALU_DEP_1) | instskip(NEXT) | instid1(SALU_CYCLE_1)
	s_and_b32 s4, vcc_lo, s4
	s_and_b32 s4, s23, s4
	s_delay_alu instid0(SALU_CYCLE_1)
	s_and_saveexec_b32 s5, s4
	s_cbranch_execz .LBB44_32
; %bb.31:                               ;   in Loop: Header=BB44_24 Depth=1
	v_add_co_u32 v134, s4, v128, v48
	s_delay_alu instid0(VALU_DEP_1)
	v_add_co_ci_u32_e64 v135, s4, v129, v49, s4
	flat_load_b32 v132, v[134:135]
	s_waitcnt vmcnt(0) lgkmcnt(0)
	v_mul_f32_e32 v132, s19, v132
.LBB44_32:                              ;   in Loop: Header=BB44_24 Depth=1
	s_or_b32 exec_lo, exec_lo, s5
	v_min_i32_e32 v136, s26, v133
	v_cmp_le_i32_e64 s4, s18, v133
	v_mov_b32_e32 v133, 0
	s_delay_alu instid0(VALU_DEP_3) | instskip(NEXT) | instid1(VALU_DEP_3)
	v_mad_i64_i32 v[134:135], null, v136, s25, 0
	s_or_b32 s20, s2, s4
	s_delay_alu instid0(VALU_DEP_1) | instskip(SKIP_1) | instid1(VALU_DEP_2)
	v_lshlrev_b64 v[135:136], 2, v[134:135]
	v_mov_b32_e32 v134, 0
	v_add_co_u32 v135, s5, s8, v135
	s_delay_alu instid0(VALU_DEP_1) | instskip(SKIP_1) | instid1(SALU_CYCLE_1)
	v_add_co_ci_u32_e64 v136, s5, s9, v136, s5
	s_or_b32 s5, s20, s27
	s_xor_b32 s5, s5, -1
	s_delay_alu instid0(SALU_CYCLE_1)
	s_and_saveexec_b32 s20, s5
	s_cbranch_execz .LBB44_34
; %bb.33:                               ;   in Loop: Header=BB44_24 Depth=1
	v_add_co_u32 v137, s5, v135, v52
	s_delay_alu instid0(VALU_DEP_1)
	v_add_co_ci_u32_e64 v138, s5, v136, v53, s5
	flat_load_b32 v134, v[137:138]
	s_waitcnt vmcnt(0) lgkmcnt(0)
	v_mul_f32_e32 v134, s19, v134
.LBB44_34:                              ;   in Loop: Header=BB44_24 Depth=1
	s_or_b32 exec_lo, exec_lo, s20
	v_dual_max_f32 v44, v44, v44 :: v_dual_max_f32 v45, v45, v45
	v_dual_max_f32 v161, v40, v40 :: v_dual_max_f32 v162, v41, v41
	v_max_f32_e32 v163, v36, v36
	v_dual_max_f32 v169, v24, v24 :: v_dual_max_f32 v170, v25, v25
	v_max_f32_e32 v173, v16, v16
	v_dual_max_f32 v146, v8, v8 :: v_dual_max_f32 v147, v9, v9
	s_delay_alu instid0(VALU_DEP_4)
	v_dual_min_f32 v40, v162, v45 :: v_dual_min_f32 v41, v163, v44
	v_dual_max_f32 v164, v37, v37 :: v_dual_max_f32 v165, v32, v32
	v_dual_max_f32 v166, v33, v33 :: v_dual_max_f32 v167, v28, v28
	;; [unrolled: 1-line block ×3, first 2 shown]
	v_max_f32_e32 v172, v21, v21
	v_min_f32_e32 v20, v170, v45
	v_dual_max_f32 v174, v17, v17 :: v_dual_max_f32 v175, v12, v12
	v_max_f32_e32 v176, v13, v13
	v_dual_min_f32 v145, v173, v146 :: v_dual_max_f32 v160, v4, v4
	s_delay_alu instid0(VALU_DEP_3)
	v_dual_max_f32 v177, v5, v5 :: v_dual_min_f32 v4, v174, v147
	v_dual_min_f32 v36, v161, v44 :: v_dual_min_f32 v37, v168, v45
	v_dual_min_f32 v28, v164, v45 :: v_dual_min_f32 v29, v165, v44
	;; [unrolled: 1-line block ×7, first 2 shown]
	v_min_f32_e32 v13, v161, v146
	v_dual_min_f32 v44, v163, v146 :: v_dual_min_f32 v45, v164, v147
	v_dual_min_f32 v137, v165, v146 :: v_dual_min_f32 v138, v166, v147
	;; [unrolled: 1-line block ×12, first 2 shown]
	v_min_f32_e32 v159, v173, v160
	v_dual_max_f32 v178, v0, v0 :: v_dual_max_f32 v179, v1, v1
	v_dual_min_f32 v0, v174, v177 :: v_dual_min_f32 v1, v175, v160
	v_dual_min_f32 v160, v176, v177 :: v_dual_max_f32 v177, v46, v46
	v_dual_max_f32 v180, v47, v47 :: v_dual_max_f32 v211, v42, v42
	v_max_f32_e32 v212, v43, v43
	v_dual_max_f32 v216, v38, v38 :: v_dual_max_f32 v217, v39, v39
	v_dual_max_f32 v218, v34, v34 :: v_dual_max_f32 v219, v35, v35
	s_delay_alu instid0(VALU_DEP_3) | instskip(NEXT) | instid1(VALU_DEP_3)
	v_min_f32_e32 v47, v212, v180
	v_min_f32_e32 v42, v216, v177
	v_dual_max_f32 v220, v30, v30 :: v_dual_max_f32 v221, v31, v31
	v_dual_max_f32 v222, v26, v26 :: v_dual_max_f32 v27, v27, v27
	;; [unrolled: 1-line block ×4, first 2 shown]
	v_max_f32_e32 v227, v14, v14
	v_dual_max_f32 v10, v10, v10 :: v_dual_max_f32 v11, v11, v11
	v_dual_max_f32 v6, v6, v6 :: v_dual_max_f32 v7, v7, v7
	v_dual_min_f32 v161, v161, v178 :: v_dual_min_f32 v162, v162, v179
	v_dual_min_f32 v163, v163, v178 :: v_dual_min_f32 v164, v164, v179
	;; [unrolled: 1-line block ×12, first 2 shown]
	v_min_f32_e32 v22, v223, v177
	v_dual_min_f32 v176, v224, v180 :: v_dual_min_f32 v23, v225, v177
	v_dual_max_f32 v228, v15, v15 :: v_dual_min_f32 v181, v218, v10
	v_min_f32_e32 v178, v227, v177
	v_dual_min_f32 v208, v27, v7 :: v_dual_max_f32 v177, v2, v2
	v_max_f32_e32 v229, v3, v3
	s_or_b32 s4, s3, s4
	v_dual_min_f32 v186, v226, v180 :: v_dual_min_f32 v179, v211, v10
	v_min_f32_e32 v187, v228, v180
	v_dual_min_f32 v188, v212, v11 :: v_dual_min_f32 v183, v222, v10
	v_dual_min_f32 v180, v216, v10 :: v_dual_min_f32 v189, v217, v11
	v_dual_min_f32 v190, v219, v11 :: v_dual_min_f32 v185, v225, v10
	v_dual_min_f32 v182, v220, v10 :: v_dual_min_f32 v191, v221, v11
	v_dual_min_f32 v192, v27, v11 :: v_dual_min_f32 v197, v218, v6
	v_dual_min_f32 v184, v223, v10 :: v_dual_min_f32 v193, v224, v11
	v_dual_min_f32 v202, v226, v11 :: v_dual_min_f32 v195, v211, v6
	v_dual_min_f32 v194, v227, v10 :: v_dual_min_f32 v203, v228, v11
	v_dual_min_f32 v204, v212, v7 :: v_dual_min_f32 v199, v222, v6
	v_dual_min_f32 v196, v216, v6 :: v_dual_min_f32 v205, v217, v7
	v_dual_min_f32 v206, v219, v7 :: v_dual_min_f32 v201, v225, v6
	v_dual_min_f32 v198, v220, v6 :: v_dual_min_f32 v207, v221, v7
	v_dual_min_f32 v200, v223, v6 :: v_dual_min_f32 v209, v224, v7
	v_dual_min_f32 v213, v226, v7 :: v_dual_min_f32 v210, v227, v6
	v_dual_min_f32 v214, v228, v7 :: v_dual_min_f32 v211, v211, v177
	v_min_f32_e32 v215, v212, v229
	v_min_f32_e32 v212, v216, v177
	;; [unrolled: 1-line block ×15, first 2 shown]
	s_or_b32 s4, s4, s27
	s_delay_alu instid0(SALU_CYCLE_1) | instskip(NEXT) | instid1(SALU_CYCLE_1)
	s_xor_b32 s4, s4, -1
	s_and_saveexec_b32 s5, s4
	s_cbranch_execz .LBB44_23
; %bb.35:                               ;   in Loop: Header=BB44_24 Depth=1
	v_add_co_u32 v135, s4, v135, v52
	s_delay_alu instid0(VALU_DEP_1)
	v_add_co_ci_u32_e64 v136, s4, v136, v53, s4
	flat_load_b32 v133, v[135:136] offset:256
	s_waitcnt vmcnt(0) lgkmcnt(0)
	v_mul_f32_e32 v133, s19, v133
	s_branch .LBB44_23
.LBB44_36:
	s_clause 0x2
	s_load_b32 s12, s[0:1], 0x50
	s_load_b32 s9, s[0:1], 0x68
	s_load_b64 s[0:1], s[0:1], 0x70
	v_add_nc_u32_e32 v117, s24, v55
	ds_load_b128 v[32:35], v58 offset:5120
	ds_load_b128 v[28:31], v58 offset:5248
	;; [unrolled: 1-line block ×12, first 2 shown]
	v_add_nc_u32_e32 v48, s14, v54
	v_cmp_gt_i32_e64 s8, s17, v117
	v_cndmask_b32_e64 v100, 0, 1, s22
	s_waitcnt lgkmcnt(0)
	v_mad_i64_i32 v[49:50], null, v117, s12, 0
	v_mad_i64_i32 v[51:52], null, v117, s9, 0
	s_lshl_b64 s[0:1], s[0:1], 2
	s_delay_alu instid0(SALU_CYCLE_1) | instskip(SKIP_1) | instid1(VALU_DEP_2)
	s_add_u32 s13, s6, s0
	s_addc_u32 s14, s7, s1
	v_lshlrev_b64 v[49:50], 2, v[49:50]
	v_cmp_gt_i32_e64 s0, s16, v48
	s_delay_alu instid0(VALU_DEP_3) | instskip(NEXT) | instid1(VALU_DEP_2)
	v_lshlrev_b64 v[51:52], 2, v[51:52]
	s_and_b32 s2, s0, s8
	s_delay_alu instid0(VALU_DEP_3) | instskip(NEXT) | instid1(VALU_DEP_4)
	v_add_co_u32 v128, vcc_lo, s10, v49
	v_add_co_ci_u32_e32 v129, vcc_lo, s11, v50, vcc_lo
	s_delay_alu instid0(VALU_DEP_3) | instskip(NEXT) | instid1(VALU_DEP_4)
	v_add_co_u32 v126, vcc_lo, s13, v51
	v_add_co_ci_u32_e32 v127, vcc_lo, s14, v52, vcc_lo
	v_ashrrev_i32_e32 v49, 31, v48
	s_and_saveexec_b32 s1, s2
	s_cbranch_execz .LBB44_41
; %bb.37:
	s_delay_alu instid0(VALU_DEP_1)
	v_lshlrev_b64 v[50:51], 2, v[48:49]
	s_and_not1_b32 vcc_lo, exec_lo, s22
	s_cbranch_vccnz .LBB44_39
; %bb.38:
	s_delay_alu instid0(VALU_DEP_1) | instskip(NEXT) | instid1(VALU_DEP_2)
	v_add_co_u32 v52, vcc_lo, v128, v50
	v_add_co_ci_u32_e32 v53, vcc_lo, v129, v51, vcc_lo
	flat_load_b32 v52, v[52:53]
	s_waitcnt vmcnt(0) lgkmcnt(0)
	v_mul_f32_e32 v52, s15, v52
	s_branch .LBB44_40
.LBB44_39:
	v_mov_b32_e32 v52, 0
.LBB44_40:
	v_dual_max_f32 v53, v45, v45 :: v_dual_max_f32 v56, v32, v32
	v_dual_max_f32 v54, v33, v33 :: v_dual_max_f32 v55, v44, v44
	;; [unrolled: 1-line block ×3, first 2 shown]
	v_max_f32_e32 v59, v35, v35
	s_delay_alu instid0(VALU_DEP_3) | instskip(NEXT) | instid1(VALU_DEP_4)
	v_min_f32_e32 v53, v54, v53
	v_dual_max_f32 v54, v34, v34 :: v_dual_min_f32 v55, v56, v55
	v_add_co_u32 v50, vcc_lo, v126, v50
	v_add_co_ci_u32_e32 v51, vcc_lo, v127, v51, vcc_lo
	s_delay_alu instid0(VALU_DEP_3) | instskip(NEXT) | instid1(VALU_DEP_4)
	v_min_f32_e32 v54, v54, v57
	v_dual_min_f32 v56, v59, v58 :: v_dual_add_f32 v55, v124, v55
	s_delay_alu instid0(VALU_DEP_1) | instskip(NEXT) | instid1(VALU_DEP_1)
	v_dual_add_f32 v53, v125, v53 :: v_dual_add_f32 v54, v55, v54
	v_add_f32_e32 v53, v53, v56
	s_delay_alu instid0(VALU_DEP_1) | instskip(NEXT) | instid1(VALU_DEP_1)
	v_add_f32_e32 v53, v54, v53
	v_add_f32_e32 v52, v53, v52
	global_store_b32 v[50:51], v52, off
.LBB44_41:
	s_or_b32 exec_lo, exec_lo, s1
	v_add_nc_u32_e32 v50, 8, v48
	s_delay_alu instid0(VALU_DEP_1) | instskip(SKIP_1) | instid1(VALU_DEP_2)
	v_cmp_gt_i32_e64 s1, s16, v50
	v_ashrrev_i32_e32 v51, 31, v50
	s_and_b32 s3, s1, s8
	s_delay_alu instid0(SALU_CYCLE_1)
	s_and_saveexec_b32 s2, s3
	s_cbranch_execz .LBB44_46
; %bb.42:
	v_cmp_ne_u32_e32 vcc_lo, 1, v100
	v_lshlrev_b64 v[52:53], 2, v[50:51]
	s_cbranch_vccnz .LBB44_44
; %bb.43:
	s_delay_alu instid0(VALU_DEP_1) | instskip(NEXT) | instid1(VALU_DEP_2)
	v_add_co_u32 v54, vcc_lo, v128, v52
	v_add_co_ci_u32_e32 v55, vcc_lo, v129, v53, vcc_lo
	flat_load_b32 v54, v[54:55]
	s_waitcnt vmcnt(0) lgkmcnt(0)
	v_mul_f32_e32 v54, s15, v54
	s_branch .LBB44_45
.LBB44_44:
	v_mov_b32_e32 v54, 0
.LBB44_45:
	v_dual_max_f32 v55, v45, v45 :: v_dual_max_f32 v58, v28, v28
	v_dual_max_f32 v56, v29, v29 :: v_dual_max_f32 v57, v44, v44
	;; [unrolled: 1-line block ×3, first 2 shown]
	v_add_co_u32 v52, vcc_lo, v126, v52
	s_delay_alu instid0(VALU_DEP_3) | instskip(NEXT) | instid1(VALU_DEP_4)
	v_dual_min_f32 v55, v56, v55 :: v_dual_max_f32 v56, v30, v30
	v_min_f32_e32 v57, v58, v57
	v_add_co_ci_u32_e32 v53, vcc_lo, v127, v53, vcc_lo
	s_delay_alu instid0(VALU_DEP_2) | instskip(NEXT) | instid1(VALU_DEP_1)
	v_dual_min_f32 v56, v56, v59 :: v_dual_add_f32 v57, v123, v57
	v_dual_max_f32 v125, v31, v31 :: v_dual_add_f32 v56, v57, v56
	s_delay_alu instid0(VALU_DEP_1) | instskip(NEXT) | instid1(VALU_DEP_1)
	v_dual_add_f32 v55, v122, v55 :: v_dual_min_f32 v58, v125, v124
	v_add_f32_e32 v55, v55, v58
	s_delay_alu instid0(VALU_DEP_1) | instskip(NEXT) | instid1(VALU_DEP_1)
	v_add_f32_e32 v55, v56, v55
	v_add_f32_e32 v54, v55, v54
	global_store_b32 v[52:53], v54, off
.LBB44_46:
	s_or_b32 exec_lo, exec_lo, s2
	v_add_nc_u32_e32 v52, 16, v48
	s_delay_alu instid0(VALU_DEP_1) | instskip(SKIP_1) | instid1(VALU_DEP_2)
	v_cmp_gt_i32_e64 s2, s16, v52
	v_ashrrev_i32_e32 v53, 31, v52
	s_and_b32 s4, s2, s8
	s_delay_alu instid0(SALU_CYCLE_1)
	s_and_saveexec_b32 s3, s4
	s_cbranch_execz .LBB44_51
; %bb.47:
	v_cmp_ne_u32_e32 vcc_lo, 1, v100
	v_lshlrev_b64 v[54:55], 2, v[52:53]
	s_cbranch_vccnz .LBB44_49
; %bb.48:
	s_delay_alu instid0(VALU_DEP_1) | instskip(NEXT) | instid1(VALU_DEP_2)
	v_add_co_u32 v56, vcc_lo, v128, v54
	v_add_co_ci_u32_e32 v57, vcc_lo, v129, v55, vcc_lo
	flat_load_b32 v56, v[56:57]
	s_waitcnt vmcnt(0) lgkmcnt(0)
	v_mul_f32_e32 v56, s15, v56
	s_branch .LBB44_50
.LBB44_49:
	v_mov_b32_e32 v56, 0
.LBB44_50:
	v_dual_max_f32 v57, v45, v45 :: v_dual_max_f32 v122, v24, v24
	v_dual_max_f32 v58, v25, v25 :: v_dual_max_f32 v59, v44, v44
	;; [unrolled: 1-line block ×3, first 2 shown]
	v_max_f32_e32 v125, v27, v27
	s_delay_alu instid0(VALU_DEP_3) | instskip(SKIP_3) | instid1(VALU_DEP_4)
	v_min_f32_e32 v57, v58, v57
	v_max_f32_e32 v58, v26, v26
	v_min_f32_e32 v59, v122, v59
	v_add_co_u32 v54, vcc_lo, v126, v54
	v_dual_add_f32 v57, v120, v57 :: v_dual_min_f32 v120, v125, v124
	s_delay_alu instid0(VALU_DEP_4) | instskip(NEXT) | instid1(VALU_DEP_4)
	v_min_f32_e32 v58, v58, v123
	v_add_f32_e32 v59, v121, v59
	v_add_co_ci_u32_e32 v55, vcc_lo, v127, v55, vcc_lo
	s_delay_alu instid0(VALU_DEP_2) | instskip(NEXT) | instid1(VALU_DEP_1)
	v_dual_add_f32 v57, v57, v120 :: v_dual_add_f32 v58, v59, v58
	v_add_f32_e32 v57, v58, v57
	s_delay_alu instid0(VALU_DEP_1)
	v_add_f32_e32 v56, v57, v56
	global_store_b32 v[54:55], v56, off
.LBB44_51:
	s_or_b32 exec_lo, exec_lo, s3
	v_add_nc_u32_e32 v54, 24, v48
	s_delay_alu instid0(VALU_DEP_1) | instskip(SKIP_1) | instid1(VALU_DEP_2)
	v_cmp_gt_i32_e64 s3, s16, v54
	v_ashrrev_i32_e32 v55, 31, v54
	s_and_b32 s5, s3, s8
	s_delay_alu instid0(SALU_CYCLE_1)
	s_and_saveexec_b32 s4, s5
	s_cbranch_execz .LBB44_56
; %bb.52:
	v_cmp_ne_u32_e32 vcc_lo, 1, v100
	v_lshlrev_b64 v[56:57], 2, v[54:55]
	s_cbranch_vccnz .LBB44_54
; %bb.53:
	s_delay_alu instid0(VALU_DEP_1) | instskip(NEXT) | instid1(VALU_DEP_2)
	v_add_co_u32 v58, vcc_lo, v128, v56
	v_add_co_ci_u32_e32 v59, vcc_lo, v129, v57, vcc_lo
	flat_load_b32 v58, v[58:59]
	s_waitcnt vmcnt(0) lgkmcnt(0)
	v_mul_f32_e32 v58, s15, v58
	s_branch .LBB44_55
.LBB44_54:
	v_mov_b32_e32 v58, 0
.LBB44_55:
	v_dual_max_f32 v59, v45, v45 :: v_dual_max_f32 v122, v20, v20
	v_dual_max_f32 v120, v21, v21 :: v_dual_max_f32 v121, v44, v44
	;; [unrolled: 1-line block ×3, first 2 shown]
	v_max_f32_e32 v125, v23, v23
	s_delay_alu instid0(VALU_DEP_3) | instskip(NEXT) | instid1(VALU_DEP_4)
	v_dual_min_f32 v59, v120, v59 :: v_dual_max_f32 v120, v22, v22
	v_min_f32_e32 v121, v122, v121
	v_add_co_u32 v56, vcc_lo, v126, v56
	s_delay_alu instid0(VALU_DEP_3) | instskip(NEXT) | instid1(VALU_DEP_4)
	v_add_f32_e32 v59, v118, v59
	v_min_f32_e32 v118, v120, v123
	s_delay_alu instid0(VALU_DEP_4) | instskip(SKIP_1) | instid1(VALU_DEP_2)
	v_dual_min_f32 v120, v125, v124 :: v_dual_add_f32 v119, v119, v121
	v_add_co_ci_u32_e32 v57, vcc_lo, v127, v57, vcc_lo
	v_add_f32_e32 v59, v59, v120
	s_delay_alu instid0(VALU_DEP_3) | instskip(NEXT) | instid1(VALU_DEP_1)
	v_add_f32_e32 v118, v119, v118
	v_add_f32_e32 v59, v118, v59
	s_delay_alu instid0(VALU_DEP_1)
	v_add_f32_e32 v58, v59, v58
	global_store_b32 v[56:57], v58, off
.LBB44_56:
	s_or_b32 exec_lo, exec_lo, s4
	v_add_nc_u32_e32 v56, 32, v48
	s_delay_alu instid0(VALU_DEP_1) | instskip(SKIP_1) | instid1(VALU_DEP_2)
	v_cmp_gt_i32_e64 s4, s16, v56
	v_ashrrev_i32_e32 v57, 31, v56
	s_and_b32 s6, s4, s8
	s_delay_alu instid0(SALU_CYCLE_1)
	s_and_saveexec_b32 s5, s6
	s_cbranch_execz .LBB44_61
; %bb.57:
	v_cmp_ne_u32_e32 vcc_lo, 1, v100
	v_lshlrev_b64 v[58:59], 2, v[56:57]
	s_cbranch_vccnz .LBB44_59
; %bb.58:
	s_delay_alu instid0(VALU_DEP_1) | instskip(NEXT) | instid1(VALU_DEP_2)
	v_add_co_u32 v118, vcc_lo, v128, v58
	v_add_co_ci_u32_e32 v119, vcc_lo, v129, v59, vcc_lo
	flat_load_b32 v118, v[118:119]
	s_waitcnt vmcnt(0) lgkmcnt(0)
	v_mul_f32_e32 v118, s15, v118
	s_branch .LBB44_60
.LBB44_59:
	v_mov_b32_e32 v118, 0
.LBB44_60:
	v_dual_max_f32 v119, v45, v45 :: v_dual_max_f32 v122, v16, v16
	v_dual_max_f32 v120, v17, v17 :: v_dual_max_f32 v121, v44, v44
	;; [unrolled: 1-line block ×3, first 2 shown]
	v_add_co_u32 v58, vcc_lo, v126, v58
	s_delay_alu instid0(VALU_DEP_3) | instskip(NEXT) | instid1(VALU_DEP_4)
	v_dual_min_f32 v119, v120, v119 :: v_dual_max_f32 v120, v18, v18
	v_min_f32_e32 v121, v122, v121
	v_add_co_ci_u32_e32 v59, vcc_lo, v127, v59, vcc_lo
	s_delay_alu instid0(VALU_DEP_3) | instskip(SKIP_3) | instid1(VALU_DEP_3)
	v_add_f32_e32 v60, v60, v119
	v_max_f32_e32 v125, v19, v19
	v_min_f32_e32 v119, v120, v123
	v_add_f32_e32 v61, v61, v121
	v_min_f32_e32 v120, v125, v124
	s_delay_alu instid0(VALU_DEP_1) | instskip(NEXT) | instid1(VALU_DEP_1)
	v_dual_add_f32 v61, v61, v119 :: v_dual_add_f32 v60, v60, v120
	v_add_f32_e32 v60, v61, v60
	s_delay_alu instid0(VALU_DEP_1)
	v_add_f32_e32 v60, v60, v118
	global_store_b32 v[58:59], v60, off
.LBB44_61:
	s_or_b32 exec_lo, exec_lo, s5
	v_add_nc_u32_e32 v58, 40, v48
	s_delay_alu instid0(VALU_DEP_1) | instskip(SKIP_1) | instid1(VALU_DEP_2)
	v_cmp_gt_i32_e64 s5, s16, v58
	v_ashrrev_i32_e32 v59, 31, v58
	s_and_b32 s7, s5, s8
	s_delay_alu instid0(SALU_CYCLE_1)
	s_and_saveexec_b32 s6, s7
	s_cbranch_execz .LBB44_66
; %bb.62:
	v_cmp_ne_u32_e32 vcc_lo, 1, v100
	v_lshlrev_b64 v[60:61], 2, v[58:59]
	s_cbranch_vccnz .LBB44_64
; %bb.63:
	s_delay_alu instid0(VALU_DEP_1) | instskip(NEXT) | instid1(VALU_DEP_2)
	v_add_co_u32 v118, vcc_lo, v128, v60
	v_add_co_ci_u32_e32 v119, vcc_lo, v129, v61, vcc_lo
	flat_load_b32 v118, v[118:119]
	s_waitcnt vmcnt(0) lgkmcnt(0)
	v_mul_f32_e32 v118, s15, v118
	s_branch .LBB44_65
.LBB44_64:
	v_mov_b32_e32 v118, 0
.LBB44_65:
	v_dual_max_f32 v119, v45, v45 :: v_dual_max_f32 v122, v12, v12
	v_dual_max_f32 v120, v13, v13 :: v_dual_max_f32 v121, v44, v44
	;; [unrolled: 1-line block ×3, first 2 shown]
	v_add_co_u32 v60, vcc_lo, v126, v60
	s_delay_alu instid0(VALU_DEP_3) | instskip(NEXT) | instid1(VALU_DEP_4)
	v_dual_min_f32 v119, v120, v119 :: v_dual_max_f32 v120, v14, v14
	v_min_f32_e32 v121, v122, v121
	v_max_f32_e32 v125, v15, v15
	v_add_co_ci_u32_e32 v61, vcc_lo, v127, v61, vcc_lo
	s_delay_alu instid0(VALU_DEP_4) | instskip(NEXT) | instid1(VALU_DEP_4)
	v_add_f32_e32 v63, v63, v119
	v_dual_min_f32 v119, v120, v123 :: v_dual_add_f32 v62, v62, v121
	s_delay_alu instid0(VALU_DEP_4) | instskip(NEXT) | instid1(VALU_DEP_1)
	v_min_f32_e32 v120, v125, v124
	v_dual_add_f32 v62, v62, v119 :: v_dual_add_f32 v63, v63, v120
	s_delay_alu instid0(VALU_DEP_1) | instskip(NEXT) | instid1(VALU_DEP_1)
	v_add_f32_e32 v62, v62, v63
	v_add_f32_e32 v62, v62, v118
	global_store_b32 v[60:61], v62, off
.LBB44_66:
	s_or_b32 exec_lo, exec_lo, s6
	v_add_nc_u32_e32 v60, 48, v48
	s_delay_alu instid0(VALU_DEP_1) | instskip(SKIP_1) | instid1(VALU_DEP_2)
	v_cmp_gt_i32_e64 s6, s16, v60
	v_ashrrev_i32_e32 v61, 31, v60
	s_and_b32 s18, s6, s8
	s_delay_alu instid0(SALU_CYCLE_1)
	s_and_saveexec_b32 s7, s18
	s_cbranch_execz .LBB44_71
; %bb.67:
	v_cmp_ne_u32_e32 vcc_lo, 1, v100
	v_lshlrev_b64 v[62:63], 2, v[60:61]
	s_cbranch_vccnz .LBB44_69
; %bb.68:
	s_delay_alu instid0(VALU_DEP_1) | instskip(NEXT) | instid1(VALU_DEP_2)
	v_add_co_u32 v118, vcc_lo, v128, v62
	v_add_co_ci_u32_e32 v119, vcc_lo, v129, v63, vcc_lo
	flat_load_b32 v118, v[118:119]
	s_waitcnt vmcnt(0) lgkmcnt(0)
	v_mul_f32_e32 v118, s15, v118
	s_branch .LBB44_70
.LBB44_69:
	v_mov_b32_e32 v118, 0
.LBB44_70:
	v_dual_max_f32 v119, v45, v45 :: v_dual_max_f32 v122, v8, v8
	v_dual_max_f32 v120, v9, v9 :: v_dual_max_f32 v121, v44, v44
	;; [unrolled: 1-line block ×3, first 2 shown]
	v_add_co_u32 v62, vcc_lo, v126, v62
	s_delay_alu instid0(VALU_DEP_3) | instskip(NEXT) | instid1(VALU_DEP_4)
	v_dual_min_f32 v119, v120, v119 :: v_dual_max_f32 v120, v10, v10
	v_min_f32_e32 v121, v122, v121
	v_add_co_ci_u32_e32 v63, vcc_lo, v127, v63, vcc_lo
	s_delay_alu instid0(VALU_DEP_3) | instskip(SKIP_3) | instid1(VALU_DEP_3)
	v_add_f32_e32 v64, v64, v119
	v_max_f32_e32 v125, v11, v11
	v_min_f32_e32 v119, v120, v123
	v_add_f32_e32 v65, v65, v121
	v_min_f32_e32 v120, v125, v124
	s_delay_alu instid0(VALU_DEP_1) | instskip(NEXT) | instid1(VALU_DEP_1)
	v_dual_add_f32 v65, v65, v119 :: v_dual_add_f32 v64, v64, v120
	v_add_f32_e32 v64, v65, v64
	s_delay_alu instid0(VALU_DEP_1)
	v_add_f32_e32 v64, v64, v118
	global_store_b32 v[62:63], v64, off
.LBB44_71:
	s_or_b32 exec_lo, exec_lo, s7
	v_add_nc_u32_e32 v62, 56, v48
	s_delay_alu instid0(VALU_DEP_1) | instskip(SKIP_1) | instid1(VALU_DEP_2)
	v_cmp_gt_i32_e64 s7, s16, v62
	v_ashrrev_i32_e32 v63, 31, v62
	s_and_b32 s16, s7, s8
	s_delay_alu instid0(SALU_CYCLE_1)
	s_and_saveexec_b32 s8, s16
	s_cbranch_execz .LBB44_76
; %bb.72:
	v_cmp_ne_u32_e32 vcc_lo, 1, v100
	v_lshlrev_b64 v[64:65], 2, v[62:63]
	s_cbranch_vccnz .LBB44_74
; %bb.73:
	s_delay_alu instid0(VALU_DEP_1) | instskip(NEXT) | instid1(VALU_DEP_2)
	v_add_co_u32 v118, vcc_lo, v128, v64
	v_add_co_ci_u32_e32 v119, vcc_lo, v129, v65, vcc_lo
	flat_load_b32 v118, v[118:119]
	s_waitcnt vmcnt(0) lgkmcnt(0)
	v_mul_f32_e32 v118, s15, v118
	s_branch .LBB44_75
.LBB44_74:
	v_mov_b32_e32 v118, 0
.LBB44_75:
	v_dual_max_f32 v45, v45, v45 :: v_dual_max_f32 v44, v44, v44
	v_dual_max_f32 v119, v1, v1 :: v_dual_max_f32 v120, v0, v0
	s_delay_alu instid0(VALU_DEP_1) | instskip(NEXT) | instid1(VALU_DEP_2)
	v_dual_max_f32 v46, v46, v46 :: v_dual_min_f32 v45, v119, v45
	v_dual_max_f32 v119, v2, v2 :: v_dual_min_f32 v44, v120, v44
	v_max_f32_e32 v47, v47, v47
	s_delay_alu instid0(VALU_DEP_2) | instskip(NEXT) | instid1(VALU_DEP_3)
	v_dual_add_f32 v45, v115, v45 :: v_dual_add_f32 v44, v116, v44
	v_min_f32_e32 v46, v119, v46
	s_delay_alu instid0(VALU_DEP_1) | instskip(NEXT) | instid1(VALU_DEP_1)
	v_dual_max_f32 v121, v3, v3 :: v_dual_add_f32 v44, v44, v46
	v_min_f32_e32 v47, v121, v47
	s_delay_alu instid0(VALU_DEP_1) | instskip(NEXT) | instid1(VALU_DEP_1)
	v_add_f32_e32 v45, v45, v47
	v_add_f32_e32 v44, v44, v45
	s_delay_alu instid0(VALU_DEP_1)
	v_add_f32_e32 v46, v44, v118
	v_add_co_u32 v44, vcc_lo, v126, v64
	v_add_co_ci_u32_e32 v45, vcc_lo, v127, v65, vcc_lo
	global_store_b32 v[44:45], v46, off
.LBB44_76:
	s_or_b32 exec_lo, exec_lo, s8
	v_add_nc_u32_e32 v64, 32, v117
	s_delay_alu instid0(VALU_DEP_1) | instskip(SKIP_2) | instid1(VALU_DEP_3)
	v_mad_i64_i32 v[44:45], null, v64, s12, 0
	v_mad_i64_i32 v[46:47], null, v64, s9, 0
	v_cmp_gt_i32_e64 s8, s17, v64
	v_lshlrev_b64 v[44:45], 2, v[44:45]
	s_delay_alu instid0(VALU_DEP_2) | instskip(NEXT) | instid1(VALU_DEP_3)
	s_and_b32 s18, s0, s8
	v_lshlrev_b64 v[46:47], 2, v[46:47]
	s_delay_alu instid0(VALU_DEP_2) | instskip(NEXT) | instid1(VALU_DEP_3)
	v_add_co_u32 v64, vcc_lo, s10, v44
	v_add_co_ci_u32_e32 v65, vcc_lo, s11, v45, vcc_lo
	s_delay_alu instid0(VALU_DEP_3) | instskip(NEXT) | instid1(VALU_DEP_4)
	v_add_co_u32 v46, vcc_lo, s13, v46
	v_add_co_ci_u32_e32 v47, vcc_lo, s14, v47, vcc_lo
	s_and_saveexec_b32 s16, s18
	s_cbranch_execnz .LBB44_84
; %bb.77:
	s_or_b32 exec_lo, exec_lo, s16
	s_and_b32 s18, s1, s8
	s_delay_alu instid0(SALU_CYCLE_1)
	s_and_saveexec_b32 s16, s18
	s_cbranch_execnz .LBB44_88
.LBB44_78:
	s_or_b32 exec_lo, exec_lo, s16
	s_and_b32 s18, s2, s8
	s_delay_alu instid0(SALU_CYCLE_1)
	s_and_saveexec_b32 s16, s18
	s_cbranch_execnz .LBB44_92
.LBB44_79:
	s_or_b32 exec_lo, exec_lo, s16
	s_and_b32 s18, s3, s8
	s_delay_alu instid0(SALU_CYCLE_1)
	s_and_saveexec_b32 s16, s18
	s_cbranch_execnz .LBB44_96
.LBB44_80:
	s_or_b32 exec_lo, exec_lo, s16
	s_and_b32 s18, s4, s8
	s_delay_alu instid0(SALU_CYCLE_1)
	s_and_saveexec_b32 s16, s18
	s_cbranch_execnz .LBB44_100
.LBB44_81:
	s_or_b32 exec_lo, exec_lo, s16
	s_and_b32 s18, s5, s8
	s_delay_alu instid0(SALU_CYCLE_1)
	s_and_saveexec_b32 s16, s18
	s_cbranch_execnz .LBB44_104
.LBB44_82:
	s_or_b32 exec_lo, exec_lo, s16
	s_and_b32 s18, s6, s8
	s_delay_alu instid0(SALU_CYCLE_1)
	s_and_saveexec_b32 s16, s18
	s_cbranch_execnz .LBB44_108
.LBB44_83:
	s_or_b32 exec_lo, exec_lo, s16
	s_and_b32 s16, s7, s8
	s_delay_alu instid0(SALU_CYCLE_1)
	s_and_saveexec_b32 s8, s16
	s_cbranch_execnz .LBB44_112
	s_branch .LBB44_116
.LBB44_84:
	v_cmp_ne_u32_e32 vcc_lo, 1, v100
	v_lshlrev_b64 v[44:45], 2, v[48:49]
	s_cbranch_vccnz .LBB44_86
; %bb.85:
	s_delay_alu instid0(VALU_DEP_1) | instskip(NEXT) | instid1(VALU_DEP_2)
	v_add_co_u32 v115, vcc_lo, v64, v44
	v_add_co_ci_u32_e32 v116, vcc_lo, v65, v45, vcc_lo
	flat_load_b32 v115, v[115:116]
	s_waitcnt vmcnt(0) lgkmcnt(0)
	v_mul_f32_e32 v115, s15, v115
	s_branch .LBB44_87
.LBB44_86:
	v_mov_b32_e32 v115, 0
.LBB44_87:
	v_dual_max_f32 v116, v41, v41 :: v_dual_max_f32 v119, v40, v40
	v_dual_max_f32 v118, v33, v33 :: v_dual_max_f32 v121, v42, v42
	;; [unrolled: 1-line block ×3, first 2 shown]
	v_add_co_u32 v44, vcc_lo, v46, v44
	s_delay_alu instid0(VALU_DEP_2) | instskip(SKIP_2) | instid1(VALU_DEP_3)
	v_dual_min_f32 v116, v118, v116 :: v_dual_min_f32 v119, v120, v119
	v_max_f32_e32 v118, v34, v34
	v_add_co_ci_u32_e32 v45, vcc_lo, v47, v45, vcc_lo
	v_dual_add_f32 v113, v113, v116 :: v_dual_max_f32 v122, v43, v43
	s_delay_alu instid0(VALU_DEP_3) | instskip(SKIP_1) | instid1(VALU_DEP_1)
	v_min_f32_e32 v116, v118, v121
	v_add_f32_e32 v114, v114, v119
	v_add_f32_e32 v114, v114, v116
	s_delay_alu instid0(VALU_DEP_4) | instskip(NEXT) | instid1(VALU_DEP_1)
	v_min_f32_e32 v118, v123, v122
	v_add_f32_e32 v113, v113, v118
	s_delay_alu instid0(VALU_DEP_1) | instskip(NEXT) | instid1(VALU_DEP_1)
	v_add_f32_e32 v113, v114, v113
	v_add_f32_e32 v113, v113, v115
	global_store_b32 v[44:45], v113, off
	s_or_b32 exec_lo, exec_lo, s16
	s_and_b32 s18, s1, s8
	s_delay_alu instid0(SALU_CYCLE_1)
	s_and_saveexec_b32 s16, s18
	s_cbranch_execz .LBB44_78
.LBB44_88:
	v_cmp_ne_u32_e32 vcc_lo, 1, v100
	v_lshlrev_b64 v[44:45], 2, v[50:51]
	s_cbranch_vccnz .LBB44_90
; %bb.89:
	s_delay_alu instid0(VALU_DEP_1) | instskip(NEXT) | instid1(VALU_DEP_2)
	v_add_co_u32 v113, vcc_lo, v64, v44
	v_add_co_ci_u32_e32 v114, vcc_lo, v65, v45, vcc_lo
	flat_load_b32 v113, v[113:114]
	s_waitcnt vmcnt(0) lgkmcnt(0)
	v_mul_f32_e32 v113, s15, v113
	s_branch .LBB44_91
.LBB44_90:
	v_mov_b32_e32 v113, 0
.LBB44_91:
	v_dual_max_f32 v114, v41, v41 :: v_dual_max_f32 v119, v42, v42
	v_dual_max_f32 v115, v29, v29 :: v_dual_max_f32 v116, v40, v40
	v_max_f32_e32 v118, v28, v28
	v_max_f32_e32 v120, v43, v43
	;; [unrolled: 1-line block ×3, first 2 shown]
	s_delay_alu instid0(VALU_DEP_4) | instskip(SKIP_3) | instid1(VALU_DEP_4)
	v_min_f32_e32 v114, v115, v114
	v_max_f32_e32 v115, v30, v30
	v_min_f32_e32 v116, v118, v116
	v_add_co_u32 v44, vcc_lo, v46, v44
	v_add_f32_e32 v111, v111, v114
	s_delay_alu instid0(VALU_DEP_4) | instskip(NEXT) | instid1(VALU_DEP_4)
	v_min_f32_e32 v114, v115, v119
	v_add_f32_e32 v112, v112, v116
	v_min_f32_e32 v115, v121, v120
	v_add_co_ci_u32_e32 v45, vcc_lo, v47, v45, vcc_lo
	s_delay_alu instid0(VALU_DEP_2) | instskip(NEXT) | instid1(VALU_DEP_1)
	v_dual_add_f32 v112, v112, v114 :: v_dual_add_f32 v111, v111, v115
	v_add_f32_e32 v111, v112, v111
	s_delay_alu instid0(VALU_DEP_1) | instskip(SKIP_3) | instid1(SALU_CYCLE_1)
	v_add_f32_e32 v111, v111, v113
	global_store_b32 v[44:45], v111, off
	s_or_b32 exec_lo, exec_lo, s16
	s_and_b32 s18, s2, s8
	s_and_saveexec_b32 s16, s18
	s_cbranch_execz .LBB44_79
.LBB44_92:
	v_cmp_ne_u32_e32 vcc_lo, 1, v100
	v_lshlrev_b64 v[44:45], 2, v[52:53]
	s_cbranch_vccnz .LBB44_94
; %bb.93:
	s_delay_alu instid0(VALU_DEP_1) | instskip(NEXT) | instid1(VALU_DEP_2)
	v_add_co_u32 v111, vcc_lo, v64, v44
	v_add_co_ci_u32_e32 v112, vcc_lo, v65, v45, vcc_lo
	flat_load_b32 v111, v[111:112]
	s_waitcnt vmcnt(0) lgkmcnt(0)
	v_mul_f32_e32 v111, s15, v111
	s_branch .LBB44_95
.LBB44_94:
	v_mov_b32_e32 v111, 0
.LBB44_95:
	v_dual_max_f32 v112, v41, v41 :: v_dual_max_f32 v115, v24, v24
	v_dual_max_f32 v113, v25, v25 :: v_dual_max_f32 v114, v40, v40
	;; [unrolled: 1-line block ×3, first 2 shown]
	v_add_co_u32 v44, vcc_lo, v46, v44
	s_delay_alu instid0(VALU_DEP_3) | instskip(SKIP_1) | instid1(VALU_DEP_2)
	v_dual_min_f32 v112, v113, v112 :: v_dual_max_f32 v113, v26, v26
	v_add_co_ci_u32_e32 v45, vcc_lo, v47, v45, vcc_lo
	v_add_f32_e32 v110, v110, v112
	s_delay_alu instid0(VALU_DEP_3) | instskip(SKIP_1) | instid1(VALU_DEP_1)
	v_min_f32_e32 v112, v113, v116
	v_min_f32_e32 v114, v115, v114
	v_dual_max_f32 v118, v43, v43 :: v_dual_add_f32 v109, v109, v114
	s_delay_alu instid0(VALU_DEP_1) | instskip(NEXT) | instid1(VALU_DEP_1)
	v_min_f32_e32 v113, v119, v118
	v_dual_add_f32 v109, v109, v112 :: v_dual_add_f32 v110, v110, v113
	s_delay_alu instid0(VALU_DEP_1) | instskip(NEXT) | instid1(VALU_DEP_1)
	v_add_f32_e32 v109, v109, v110
	v_add_f32_e32 v109, v109, v111
	global_store_b32 v[44:45], v109, off
	s_or_b32 exec_lo, exec_lo, s16
	s_and_b32 s18, s3, s8
	s_delay_alu instid0(SALU_CYCLE_1)
	s_and_saveexec_b32 s16, s18
	s_cbranch_execz .LBB44_80
.LBB44_96:
	v_cmp_ne_u32_e32 vcc_lo, 1, v100
	v_lshlrev_b64 v[44:45], 2, v[54:55]
	s_cbranch_vccnz .LBB44_98
; %bb.97:
	s_delay_alu instid0(VALU_DEP_1) | instskip(NEXT) | instid1(VALU_DEP_2)
	v_add_co_u32 v109, vcc_lo, v64, v44
	v_add_co_ci_u32_e32 v110, vcc_lo, v65, v45, vcc_lo
	flat_load_b32 v109, v[109:110]
	s_waitcnt vmcnt(0) lgkmcnt(0)
	v_mul_f32_e32 v109, s15, v109
	s_branch .LBB44_99
.LBB44_98:
	v_mov_b32_e32 v109, 0
.LBB44_99:
	v_dual_max_f32 v110, v41, v41 :: v_dual_max_f32 v113, v20, v20
	v_dual_max_f32 v111, v21, v21 :: v_dual_max_f32 v112, v40, v40
	;; [unrolled: 1-line block ×3, first 2 shown]
	v_max_f32_e32 v116, v23, v23
	s_delay_alu instid0(VALU_DEP_3) | instskip(NEXT) | instid1(VALU_DEP_4)
	v_min_f32_e32 v110, v111, v110
	v_dual_max_f32 v111, v22, v22 :: v_dual_min_f32 v112, v113, v112
	v_add_co_u32 v44, vcc_lo, v46, v44
	s_delay_alu instid0(VALU_DEP_3) | instskip(NEXT) | instid1(VALU_DEP_3)
	v_add_f32_e32 v107, v107, v110
	v_dual_min_f32 v110, v111, v114 :: v_dual_min_f32 v111, v116, v115
	s_delay_alu instid0(VALU_DEP_4) | instskip(SKIP_1) | instid1(VALU_DEP_2)
	v_add_f32_e32 v108, v108, v112
	v_add_co_ci_u32_e32 v45, vcc_lo, v47, v45, vcc_lo
	v_dual_add_f32 v107, v107, v111 :: v_dual_add_f32 v108, v108, v110
	s_delay_alu instid0(VALU_DEP_1) | instskip(NEXT) | instid1(VALU_DEP_1)
	v_add_f32_e32 v107, v108, v107
	v_add_f32_e32 v107, v107, v109
	global_store_b32 v[44:45], v107, off
	s_or_b32 exec_lo, exec_lo, s16
	s_and_b32 s18, s4, s8
	s_delay_alu instid0(SALU_CYCLE_1)
	s_and_saveexec_b32 s16, s18
	s_cbranch_execz .LBB44_81
.LBB44_100:
	v_cmp_ne_u32_e32 vcc_lo, 1, v100
	v_lshlrev_b64 v[44:45], 2, v[56:57]
	s_cbranch_vccnz .LBB44_102
; %bb.101:
	s_delay_alu instid0(VALU_DEP_1) | instskip(NEXT) | instid1(VALU_DEP_2)
	v_add_co_u32 v107, vcc_lo, v64, v44
	v_add_co_ci_u32_e32 v108, vcc_lo, v65, v45, vcc_lo
	flat_load_b32 v107, v[107:108]
	s_waitcnt vmcnt(0) lgkmcnt(0)
	v_mul_f32_e32 v107, s15, v107
	s_branch .LBB44_103
.LBB44_102:
	v_mov_b32_e32 v107, 0
.LBB44_103:
	v_dual_max_f32 v108, v41, v41 :: v_dual_max_f32 v111, v16, v16
	v_dual_max_f32 v109, v17, v17 :: v_dual_max_f32 v110, v40, v40
	;; [unrolled: 1-line block ×3, first 2 shown]
	v_add_co_u32 v44, vcc_lo, v46, v44
	s_delay_alu instid0(VALU_DEP_3) | instskip(SKIP_2) | instid1(VALU_DEP_3)
	v_dual_min_f32 v108, v109, v108 :: v_dual_max_f32 v109, v18, v18
	v_max_f32_e32 v114, v19, v19
	v_add_co_ci_u32_e32 v45, vcc_lo, v47, v45, vcc_lo
	v_dual_add_f32 v105, v105, v108 :: v_dual_min_f32 v110, v111, v110
	s_delay_alu instid0(VALU_DEP_3) | instskip(NEXT) | instid1(VALU_DEP_1)
	v_dual_min_f32 v108, v109, v112 :: v_dual_min_f32 v109, v114, v113
	v_dual_add_f32 v106, v106, v110 :: v_dual_add_f32 v105, v105, v109
	s_delay_alu instid0(VALU_DEP_1) | instskip(NEXT) | instid1(VALU_DEP_1)
	v_add_f32_e32 v106, v106, v108
	v_add_f32_e32 v105, v106, v105
	s_delay_alu instid0(VALU_DEP_1) | instskip(SKIP_3) | instid1(SALU_CYCLE_1)
	v_add_f32_e32 v105, v105, v107
	global_store_b32 v[44:45], v105, off
	s_or_b32 exec_lo, exec_lo, s16
	s_and_b32 s18, s5, s8
	s_and_saveexec_b32 s16, s18
	s_cbranch_execz .LBB44_82
.LBB44_104:
	v_cmp_ne_u32_e32 vcc_lo, 1, v100
	v_lshlrev_b64 v[44:45], 2, v[58:59]
	s_cbranch_vccnz .LBB44_106
; %bb.105:
	s_delay_alu instid0(VALU_DEP_1) | instskip(NEXT) | instid1(VALU_DEP_2)
	v_add_co_u32 v105, vcc_lo, v64, v44
	v_add_co_ci_u32_e32 v106, vcc_lo, v65, v45, vcc_lo
	flat_load_b32 v105, v[105:106]
	s_waitcnt vmcnt(0) lgkmcnt(0)
	v_mul_f32_e32 v105, s15, v105
	s_branch .LBB44_107
.LBB44_106:
	v_mov_b32_e32 v105, 0
.LBB44_107:
	v_dual_max_f32 v106, v41, v41 :: v_dual_max_f32 v109, v12, v12
	v_dual_max_f32 v107, v13, v13 :: v_dual_max_f32 v108, v40, v40
	;; [unrolled: 1-line block ×3, first 2 shown]
	v_max_f32_e32 v112, v15, v15
	s_delay_alu instid0(VALU_DEP_3) | instskip(NEXT) | instid1(VALU_DEP_4)
	v_min_f32_e32 v106, v107, v106
	v_dual_max_f32 v107, v14, v14 :: v_dual_min_f32 v108, v109, v108
	v_add_co_u32 v44, vcc_lo, v46, v44
	s_delay_alu instid0(VALU_DEP_3) | instskip(NEXT) | instid1(VALU_DEP_3)
	v_add_f32_e32 v103, v103, v106
	v_dual_min_f32 v106, v107, v110 :: v_dual_min_f32 v107, v112, v111
	s_delay_alu instid0(VALU_DEP_4) | instskip(SKIP_1) | instid1(VALU_DEP_2)
	v_add_f32_e32 v104, v104, v108
	v_add_co_ci_u32_e32 v45, vcc_lo, v47, v45, vcc_lo
	v_dual_add_f32 v103, v103, v107 :: v_dual_add_f32 v104, v104, v106
	s_delay_alu instid0(VALU_DEP_1) | instskip(NEXT) | instid1(VALU_DEP_1)
	v_add_f32_e32 v103, v104, v103
	v_add_f32_e32 v103, v103, v105
	global_store_b32 v[44:45], v103, off
	s_or_b32 exec_lo, exec_lo, s16
	s_and_b32 s18, s6, s8
	s_delay_alu instid0(SALU_CYCLE_1)
	s_and_saveexec_b32 s16, s18
	s_cbranch_execz .LBB44_83
.LBB44_108:
	v_cmp_ne_u32_e32 vcc_lo, 1, v100
	v_lshlrev_b64 v[44:45], 2, v[60:61]
	s_cbranch_vccnz .LBB44_110
; %bb.109:
	s_delay_alu instid0(VALU_DEP_1) | instskip(NEXT) | instid1(VALU_DEP_2)
	v_add_co_u32 v103, vcc_lo, v64, v44
	v_add_co_ci_u32_e32 v104, vcc_lo, v65, v45, vcc_lo
	flat_load_b32 v103, v[103:104]
	s_waitcnt vmcnt(0) lgkmcnt(0)
	v_mul_f32_e32 v103, s15, v103
	s_branch .LBB44_111
.LBB44_110:
	v_mov_b32_e32 v103, 0
.LBB44_111:
	v_dual_max_f32 v104, v41, v41 :: v_dual_max_f32 v107, v8, v8
	v_dual_max_f32 v105, v9, v9 :: v_dual_max_f32 v106, v40, v40
	;; [unrolled: 1-line block ×3, first 2 shown]
	v_add_co_u32 v44, vcc_lo, v46, v44
	s_delay_alu instid0(VALU_DEP_3) | instskip(SKIP_2) | instid1(VALU_DEP_3)
	v_dual_min_f32 v104, v105, v104 :: v_dual_max_f32 v105, v10, v10
	v_max_f32_e32 v110, v11, v11
	v_add_co_ci_u32_e32 v45, vcc_lo, v47, v45, vcc_lo
	v_dual_add_f32 v101, v101, v104 :: v_dual_min_f32 v106, v107, v106
	s_delay_alu instid0(VALU_DEP_3) | instskip(NEXT) | instid1(VALU_DEP_1)
	v_dual_min_f32 v104, v105, v108 :: v_dual_min_f32 v105, v110, v109
	v_dual_add_f32 v102, v102, v106 :: v_dual_add_f32 v101, v101, v105
	s_delay_alu instid0(VALU_DEP_1) | instskip(NEXT) | instid1(VALU_DEP_1)
	v_add_f32_e32 v102, v102, v104
	v_add_f32_e32 v101, v102, v101
	s_delay_alu instid0(VALU_DEP_1) | instskip(SKIP_3) | instid1(SALU_CYCLE_1)
	v_add_f32_e32 v101, v101, v103
	global_store_b32 v[44:45], v101, off
	s_or_b32 exec_lo, exec_lo, s16
	s_and_b32 s16, s7, s8
	s_and_saveexec_b32 s8, s16
	s_cbranch_execz .LBB44_116
.LBB44_112:
	v_cmp_ne_u32_e32 vcc_lo, 1, v100
	v_lshlrev_b64 v[44:45], 2, v[62:63]
	s_cbranch_vccnz .LBB44_114
; %bb.113:
	s_delay_alu instid0(VALU_DEP_1) | instskip(NEXT) | instid1(VALU_DEP_2)
	v_add_co_u32 v64, vcc_lo, v64, v44
	v_add_co_ci_u32_e32 v65, vcc_lo, v65, v45, vcc_lo
	flat_load_b32 v64, v[64:65]
	s_waitcnt vmcnt(0) lgkmcnt(0)
	v_mul_f32_e32 v64, s15, v64
	s_branch .LBB44_115
.LBB44_114:
	v_mov_b32_e32 v64, 0
.LBB44_115:
	v_dual_max_f32 v41, v41, v41 :: v_dual_max_f32 v40, v40, v40
	v_dual_max_f32 v65, v1, v1 :: v_dual_max_f32 v42, v42, v42
	;; [unrolled: 1-line block ×3, first 2 shown]
	s_delay_alu instid0(VALU_DEP_1) | instskip(NEXT) | instid1(VALU_DEP_1)
	v_dual_max_f32 v43, v43, v43 :: v_dual_min_f32 v40, v101, v40
	v_dual_min_f32 v41, v65, v41 :: v_dual_add_f32 v40, v98, v40
	s_delay_alu instid0(VALU_DEP_1) | instskip(NEXT) | instid1(VALU_DEP_3)
	v_add_f32_e32 v41, v99, v41
	v_min_f32_e32 v43, v102, v43
	s_delay_alu instid0(VALU_DEP_1) | instskip(SKIP_1) | instid1(VALU_DEP_1)
	v_add_f32_e32 v41, v41, v43
	v_max_f32_e32 v65, v2, v2
	v_min_f32_e32 v42, v65, v42
	s_delay_alu instid0(VALU_DEP_1) | instskip(NEXT) | instid1(VALU_DEP_1)
	v_add_f32_e32 v40, v40, v42
	v_add_f32_e32 v40, v40, v41
	s_delay_alu instid0(VALU_DEP_1)
	v_add_f32_e32 v42, v40, v64
	v_add_co_u32 v40, vcc_lo, v46, v44
	v_add_co_ci_u32_e32 v41, vcc_lo, v47, v45, vcc_lo
	global_store_b32 v[40:41], v42, off
.LBB44_116:
	s_or_b32 exec_lo, exec_lo, s8
	v_add_nc_u32_e32 v44, 64, v117
	s_delay_alu instid0(VALU_DEP_1) | instskip(SKIP_2) | instid1(VALU_DEP_3)
	v_mad_i64_i32 v[40:41], null, v44, s12, 0
	v_mad_i64_i32 v[42:43], null, v44, s9, 0
	v_cmp_gt_i32_e64 s8, s17, v44
	v_lshlrev_b64 v[40:41], 2, v[40:41]
	s_delay_alu instid0(VALU_DEP_2) | instskip(NEXT) | instid1(VALU_DEP_3)
	s_and_b32 s18, s0, s8
	v_lshlrev_b64 v[42:43], 2, v[42:43]
	s_delay_alu instid0(VALU_DEP_2) | instskip(NEXT) | instid1(VALU_DEP_3)
	v_add_co_u32 v44, vcc_lo, s10, v40
	v_add_co_ci_u32_e32 v45, vcc_lo, s11, v41, vcc_lo
	s_delay_alu instid0(VALU_DEP_3) | instskip(NEXT) | instid1(VALU_DEP_4)
	v_add_co_u32 v42, vcc_lo, s13, v42
	v_add_co_ci_u32_e32 v43, vcc_lo, s14, v43, vcc_lo
	s_and_saveexec_b32 s16, s18
	s_cbranch_execnz .LBB44_124
; %bb.117:
	s_or_b32 exec_lo, exec_lo, s16
	s_and_b32 s18, s1, s8
	s_delay_alu instid0(SALU_CYCLE_1)
	s_and_saveexec_b32 s16, s18
	s_cbranch_execnz .LBB44_128
.LBB44_118:
	s_or_b32 exec_lo, exec_lo, s16
	s_and_b32 s18, s2, s8
	s_delay_alu instid0(SALU_CYCLE_1)
	s_and_saveexec_b32 s16, s18
	s_cbranch_execnz .LBB44_132
.LBB44_119:
	s_or_b32 exec_lo, exec_lo, s16
	s_and_b32 s18, s3, s8
	s_delay_alu instid0(SALU_CYCLE_1)
	s_and_saveexec_b32 s16, s18
	s_cbranch_execnz .LBB44_136
.LBB44_120:
	s_or_b32 exec_lo, exec_lo, s16
	s_and_b32 s18, s4, s8
	s_delay_alu instid0(SALU_CYCLE_1)
	s_and_saveexec_b32 s16, s18
	s_cbranch_execnz .LBB44_140
.LBB44_121:
	s_or_b32 exec_lo, exec_lo, s16
	s_and_b32 s18, s5, s8
	s_delay_alu instid0(SALU_CYCLE_1)
	s_and_saveexec_b32 s16, s18
	s_cbranch_execnz .LBB44_144
.LBB44_122:
	s_or_b32 exec_lo, exec_lo, s16
	s_and_b32 s18, s6, s8
	s_delay_alu instid0(SALU_CYCLE_1)
	s_and_saveexec_b32 s16, s18
	s_cbranch_execnz .LBB44_148
.LBB44_123:
	s_or_b32 exec_lo, exec_lo, s16
	s_and_b32 s16, s7, s8
	s_delay_alu instid0(SALU_CYCLE_1)
	s_and_saveexec_b32 s8, s16
	s_cbranch_execnz .LBB44_152
	s_branch .LBB44_156
.LBB44_124:
	v_cmp_ne_u32_e32 vcc_lo, 1, v100
	v_lshlrev_b64 v[40:41], 2, v[48:49]
	s_cbranch_vccnz .LBB44_126
; %bb.125:
	s_delay_alu instid0(VALU_DEP_1) | instskip(NEXT) | instid1(VALU_DEP_2)
	v_add_co_u32 v46, vcc_lo, v44, v40
	v_add_co_ci_u32_e32 v47, vcc_lo, v45, v41, vcc_lo
	flat_load_b32 v46, v[46:47]
	s_waitcnt vmcnt(0) lgkmcnt(0)
	v_mul_f32_e32 v46, s15, v46
	s_branch .LBB44_127
.LBB44_126:
	v_mov_b32_e32 v46, 0
.LBB44_127:
	v_dual_max_f32 v47, v37, v37 :: v_dual_max_f32 v98, v32, v32
	v_dual_max_f32 v64, v33, v33 :: v_dual_max_f32 v65, v36, v36
	;; [unrolled: 1-line block ×3, first 2 shown]
	v_add_co_u32 v40, vcc_lo, v42, v40
	s_delay_alu instid0(VALU_DEP_3) | instskip(NEXT) | instid1(VALU_DEP_4)
	v_dual_min_f32 v47, v64, v47 :: v_dual_max_f32 v64, v34, v34
	v_min_f32_e32 v65, v98, v65
	v_add_co_ci_u32_e32 v41, vcc_lo, v43, v41, vcc_lo
	s_delay_alu instid0(VALU_DEP_3) | instskip(NEXT) | instid1(VALU_DEP_4)
	v_add_f32_e32 v47, v97, v47
	v_min_f32_e32 v64, v64, v99
	s_delay_alu instid0(VALU_DEP_4) | instskip(NEXT) | instid1(VALU_DEP_1)
	v_add_f32_e32 v65, v96, v65
	v_dual_max_f32 v101, v39, v39 :: v_dual_add_f32 v64, v65, v64
	s_delay_alu instid0(VALU_DEP_1) | instskip(NEXT) | instid1(VALU_DEP_1)
	v_min_f32_e32 v97, v102, v101
	v_add_f32_e32 v47, v47, v97
	s_delay_alu instid0(VALU_DEP_1) | instskip(NEXT) | instid1(VALU_DEP_1)
	v_add_f32_e32 v47, v64, v47
	v_add_f32_e32 v46, v47, v46
	global_store_b32 v[40:41], v46, off
	s_or_b32 exec_lo, exec_lo, s16
	s_and_b32 s18, s1, s8
	s_delay_alu instid0(SALU_CYCLE_1)
	s_and_saveexec_b32 s16, s18
	s_cbranch_execz .LBB44_118
.LBB44_128:
	v_cmp_ne_u32_e32 vcc_lo, 1, v100
	v_lshlrev_b64 v[40:41], 2, v[50:51]
	s_cbranch_vccnz .LBB44_130
; %bb.129:
	s_delay_alu instid0(VALU_DEP_1) | instskip(NEXT) | instid1(VALU_DEP_2)
	v_add_co_u32 v46, vcc_lo, v44, v40
	v_add_co_ci_u32_e32 v47, vcc_lo, v45, v41, vcc_lo
	flat_load_b32 v46, v[46:47]
	s_waitcnt vmcnt(0) lgkmcnt(0)
	v_mul_f32_e32 v46, s15, v46
	s_branch .LBB44_131
.LBB44_130:
	v_mov_b32_e32 v46, 0
.LBB44_131:
	v_dual_max_f32 v47, v37, v37 :: v_dual_max_f32 v96, v28, v28
	v_dual_max_f32 v64, v29, v29 :: v_dual_max_f32 v65, v36, v36
	;; [unrolled: 1-line block ×3, first 2 shown]
	v_add_co_u32 v40, vcc_lo, v42, v40
	s_delay_alu instid0(VALU_DEP_3) | instskip(SKIP_2) | instid1(VALU_DEP_3)
	v_dual_min_f32 v47, v64, v47 :: v_dual_max_f32 v64, v30, v30
	v_max_f32_e32 v99, v31, v31
	v_add_co_ci_u32_e32 v41, vcc_lo, v43, v41, vcc_lo
	v_min_f32_e32 v64, v64, v97
	v_min_f32_e32 v65, v96, v65
	s_delay_alu instid0(VALU_DEP_4) | instskip(NEXT) | instid1(VALU_DEP_2)
	v_dual_add_f32 v47, v94, v47 :: v_dual_min_f32 v94, v99, v98
	v_add_f32_e32 v65, v95, v65
	s_delay_alu instid0(VALU_DEP_1) | instskip(NEXT) | instid1(VALU_DEP_1)
	v_dual_add_f32 v64, v65, v64 :: v_dual_add_f32 v47, v47, v94
	v_add_f32_e32 v47, v64, v47
	s_delay_alu instid0(VALU_DEP_1) | instskip(SKIP_3) | instid1(SALU_CYCLE_1)
	v_add_f32_e32 v46, v47, v46
	global_store_b32 v[40:41], v46, off
	s_or_b32 exec_lo, exec_lo, s16
	s_and_b32 s18, s2, s8
	s_and_saveexec_b32 s16, s18
	s_cbranch_execz .LBB44_119
.LBB44_132:
	v_cmp_ne_u32_e32 vcc_lo, 1, v100
	v_lshlrev_b64 v[40:41], 2, v[52:53]
	s_cbranch_vccnz .LBB44_134
; %bb.133:
	s_delay_alu instid0(VALU_DEP_1) | instskip(NEXT) | instid1(VALU_DEP_2)
	v_add_co_u32 v46, vcc_lo, v44, v40
	v_add_co_ci_u32_e32 v47, vcc_lo, v45, v41, vcc_lo
	flat_load_b32 v46, v[46:47]
	s_waitcnt vmcnt(0) lgkmcnt(0)
	v_mul_f32_e32 v46, s15, v46
	s_branch .LBB44_135
.LBB44_134:
	v_mov_b32_e32 v46, 0
.LBB44_135:
	v_dual_max_f32 v47, v37, v37 :: v_dual_max_f32 v94, v24, v24
	v_dual_max_f32 v64, v25, v25 :: v_dual_max_f32 v65, v36, v36
	;; [unrolled: 1-line block ×3, first 2 shown]
	v_add_co_u32 v40, vcc_lo, v42, v40
	s_delay_alu instid0(VALU_DEP_3) | instskip(NEXT) | instid1(VALU_DEP_4)
	v_dual_min_f32 v47, v64, v47 :: v_dual_max_f32 v64, v26, v26
	v_min_f32_e32 v65, v94, v65
	v_add_co_ci_u32_e32 v41, vcc_lo, v43, v41, vcc_lo
	s_delay_alu instid0(VALU_DEP_2) | instskip(NEXT) | instid1(VALU_DEP_1)
	v_dual_min_f32 v64, v64, v95 :: v_dual_add_f32 v65, v93, v65
	v_dual_max_f32 v97, v27, v27 :: v_dual_add_f32 v64, v65, v64
	s_delay_alu instid0(VALU_DEP_1) | instskip(NEXT) | instid1(VALU_DEP_1)
	v_dual_add_f32 v47, v92, v47 :: v_dual_min_f32 v92, v97, v96
	v_add_f32_e32 v47, v47, v92
	s_delay_alu instid0(VALU_DEP_1) | instskip(NEXT) | instid1(VALU_DEP_1)
	v_add_f32_e32 v47, v64, v47
	v_add_f32_e32 v46, v47, v46
	global_store_b32 v[40:41], v46, off
	s_or_b32 exec_lo, exec_lo, s16
	s_and_b32 s18, s3, s8
	s_delay_alu instid0(SALU_CYCLE_1)
	s_and_saveexec_b32 s16, s18
	s_cbranch_execz .LBB44_120
.LBB44_136:
	v_cmp_ne_u32_e32 vcc_lo, 1, v100
	v_lshlrev_b64 v[40:41], 2, v[54:55]
	s_cbranch_vccnz .LBB44_138
; %bb.137:
	s_delay_alu instid0(VALU_DEP_1) | instskip(NEXT) | instid1(VALU_DEP_2)
	v_add_co_u32 v46, vcc_lo, v44, v40
	v_add_co_ci_u32_e32 v47, vcc_lo, v45, v41, vcc_lo
	flat_load_b32 v46, v[46:47]
	s_waitcnt vmcnt(0) lgkmcnt(0)
	v_mul_f32_e32 v46, s15, v46
	s_branch .LBB44_139
.LBB44_138:
	v_mov_b32_e32 v46, 0
.LBB44_139:
	v_dual_max_f32 v47, v37, v37 :: v_dual_max_f32 v92, v20, v20
	v_dual_max_f32 v64, v21, v21 :: v_dual_max_f32 v65, v36, v36
	v_dual_max_f32 v93, v38, v38 :: v_dual_max_f32 v94, v39, v39
	v_add_co_u32 v40, vcc_lo, v42, v40
	s_delay_alu instid0(VALU_DEP_3) | instskip(SKIP_2) | instid1(VALU_DEP_3)
	v_dual_min_f32 v47, v64, v47 :: v_dual_max_f32 v64, v22, v22
	v_max_f32_e32 v95, v23, v23
	v_add_co_ci_u32_e32 v41, vcc_lo, v43, v41, vcc_lo
	v_min_f32_e32 v64, v64, v93
	v_min_f32_e32 v65, v92, v65
	s_delay_alu instid0(VALU_DEP_4) | instskip(NEXT) | instid1(VALU_DEP_2)
	v_dual_add_f32 v47, v90, v47 :: v_dual_min_f32 v90, v95, v94
	v_add_f32_e32 v65, v91, v65
	s_delay_alu instid0(VALU_DEP_1) | instskip(NEXT) | instid1(VALU_DEP_1)
	v_dual_add_f32 v64, v65, v64 :: v_dual_add_f32 v47, v47, v90
	v_add_f32_e32 v47, v64, v47
	s_delay_alu instid0(VALU_DEP_1) | instskip(SKIP_3) | instid1(SALU_CYCLE_1)
	v_add_f32_e32 v46, v47, v46
	global_store_b32 v[40:41], v46, off
	s_or_b32 exec_lo, exec_lo, s16
	s_and_b32 s18, s4, s8
	s_and_saveexec_b32 s16, s18
	s_cbranch_execz .LBB44_121
.LBB44_140:
	v_cmp_ne_u32_e32 vcc_lo, 1, v100
	v_lshlrev_b64 v[40:41], 2, v[56:57]
	s_cbranch_vccnz .LBB44_142
; %bb.141:
	s_delay_alu instid0(VALU_DEP_1) | instskip(NEXT) | instid1(VALU_DEP_2)
	v_add_co_u32 v46, vcc_lo, v44, v40
	v_add_co_ci_u32_e32 v47, vcc_lo, v45, v41, vcc_lo
	flat_load_b32 v46, v[46:47]
	s_waitcnt vmcnt(0) lgkmcnt(0)
	v_mul_f32_e32 v46, s15, v46
	s_branch .LBB44_143
.LBB44_142:
	v_mov_b32_e32 v46, 0
.LBB44_143:
	v_dual_max_f32 v47, v37, v37 :: v_dual_max_f32 v90, v16, v16
	v_dual_max_f32 v64, v17, v17 :: v_dual_max_f32 v65, v36, v36
	;; [unrolled: 1-line block ×3, first 2 shown]
	v_add_co_u32 v40, vcc_lo, v42, v40
	s_delay_alu instid0(VALU_DEP_3) | instskip(NEXT) | instid1(VALU_DEP_4)
	v_dual_min_f32 v47, v64, v47 :: v_dual_max_f32 v64, v18, v18
	v_min_f32_e32 v65, v90, v65
	v_add_co_ci_u32_e32 v41, vcc_lo, v43, v41, vcc_lo
	s_delay_alu instid0(VALU_DEP_3) | instskip(NEXT) | instid1(VALU_DEP_4)
	v_add_f32_e32 v47, v89, v47
	v_min_f32_e32 v64, v64, v91
	s_delay_alu instid0(VALU_DEP_4) | instskip(NEXT) | instid1(VALU_DEP_1)
	v_add_f32_e32 v65, v88, v65
	v_dual_max_f32 v93, v19, v19 :: v_dual_add_f32 v64, v65, v64
	s_delay_alu instid0(VALU_DEP_1) | instskip(NEXT) | instid1(VALU_DEP_1)
	v_min_f32_e32 v89, v93, v92
	v_add_f32_e32 v47, v47, v89
	s_delay_alu instid0(VALU_DEP_1) | instskip(NEXT) | instid1(VALU_DEP_1)
	v_add_f32_e32 v47, v64, v47
	v_add_f32_e32 v46, v47, v46
	global_store_b32 v[40:41], v46, off
	s_or_b32 exec_lo, exec_lo, s16
	s_and_b32 s18, s5, s8
	s_delay_alu instid0(SALU_CYCLE_1)
	s_and_saveexec_b32 s16, s18
	s_cbranch_execz .LBB44_122
.LBB44_144:
	v_cmp_ne_u32_e32 vcc_lo, 1, v100
	v_lshlrev_b64 v[40:41], 2, v[58:59]
	s_cbranch_vccnz .LBB44_146
; %bb.145:
	s_delay_alu instid0(VALU_DEP_1) | instskip(NEXT) | instid1(VALU_DEP_2)
	v_add_co_u32 v46, vcc_lo, v44, v40
	v_add_co_ci_u32_e32 v47, vcc_lo, v45, v41, vcc_lo
	flat_load_b32 v46, v[46:47]
	s_waitcnt vmcnt(0) lgkmcnt(0)
	v_mul_f32_e32 v46, s15, v46
	s_branch .LBB44_147
.LBB44_146:
	v_mov_b32_e32 v46, 0
.LBB44_147:
	v_dual_max_f32 v47, v37, v37 :: v_dual_max_f32 v88, v12, v12
	v_dual_max_f32 v64, v13, v13 :: v_dual_max_f32 v65, v36, v36
	;; [unrolled: 1-line block ×3, first 2 shown]
	v_add_co_u32 v40, vcc_lo, v42, v40
	s_delay_alu instid0(VALU_DEP_3) | instskip(SKIP_3) | instid1(VALU_DEP_4)
	v_dual_min_f32 v47, v64, v47 :: v_dual_max_f32 v64, v14, v14
	v_max_f32_e32 v91, v15, v15
	v_min_f32_e32 v65, v88, v65
	v_add_co_ci_u32_e32 v41, vcc_lo, v43, v41, vcc_lo
	v_min_f32_e32 v64, v64, v89
	s_delay_alu instid0(VALU_DEP_3) | instskip(SKIP_1) | instid1(VALU_DEP_2)
	v_add_f32_e32 v65, v86, v65
	v_add_f32_e32 v47, v87, v47
	v_dual_min_f32 v87, v91, v90 :: v_dual_add_f32 v64, v65, v64
	s_delay_alu instid0(VALU_DEP_1) | instskip(NEXT) | instid1(VALU_DEP_1)
	v_add_f32_e32 v47, v47, v87
	v_add_f32_e32 v47, v64, v47
	s_delay_alu instid0(VALU_DEP_1) | instskip(SKIP_3) | instid1(SALU_CYCLE_1)
	v_add_f32_e32 v46, v47, v46
	global_store_b32 v[40:41], v46, off
	s_or_b32 exec_lo, exec_lo, s16
	s_and_b32 s18, s6, s8
	s_and_saveexec_b32 s16, s18
	s_cbranch_execz .LBB44_123
.LBB44_148:
	v_cmp_ne_u32_e32 vcc_lo, 1, v100
	v_lshlrev_b64 v[40:41], 2, v[60:61]
	s_cbranch_vccnz .LBB44_150
; %bb.149:
	s_delay_alu instid0(VALU_DEP_1) | instskip(NEXT) | instid1(VALU_DEP_2)
	v_add_co_u32 v46, vcc_lo, v44, v40
	v_add_co_ci_u32_e32 v47, vcc_lo, v45, v41, vcc_lo
	flat_load_b32 v46, v[46:47]
	s_waitcnt vmcnt(0) lgkmcnt(0)
	v_mul_f32_e32 v46, s15, v46
	s_branch .LBB44_151
.LBB44_150:
	v_mov_b32_e32 v46, 0
.LBB44_151:
	v_dual_max_f32 v47, v37, v37 :: v_dual_max_f32 v86, v8, v8
	v_dual_max_f32 v64, v9, v9 :: v_dual_max_f32 v65, v36, v36
	;; [unrolled: 1-line block ×3, first 2 shown]
	v_add_co_u32 v40, vcc_lo, v42, v40
	s_delay_alu instid0(VALU_DEP_3) | instskip(NEXT) | instid1(VALU_DEP_4)
	v_dual_min_f32 v47, v64, v47 :: v_dual_max_f32 v64, v10, v10
	v_min_f32_e32 v65, v86, v65
	v_add_co_ci_u32_e32 v41, vcc_lo, v43, v41, vcc_lo
	s_delay_alu instid0(VALU_DEP_2) | instskip(NEXT) | instid1(VALU_DEP_1)
	v_dual_min_f32 v64, v64, v87 :: v_dual_add_f32 v65, v85, v65
	v_dual_max_f32 v89, v11, v11 :: v_dual_add_f32 v64, v65, v64
	s_delay_alu instid0(VALU_DEP_1) | instskip(NEXT) | instid1(VALU_DEP_1)
	v_dual_add_f32 v47, v84, v47 :: v_dual_min_f32 v84, v89, v88
	v_add_f32_e32 v47, v47, v84
	s_delay_alu instid0(VALU_DEP_1) | instskip(NEXT) | instid1(VALU_DEP_1)
	v_add_f32_e32 v47, v64, v47
	v_add_f32_e32 v46, v47, v46
	global_store_b32 v[40:41], v46, off
	s_or_b32 exec_lo, exec_lo, s16
	s_and_b32 s16, s7, s8
	s_delay_alu instid0(SALU_CYCLE_1)
	s_and_saveexec_b32 s8, s16
	s_cbranch_execz .LBB44_156
.LBB44_152:
	v_cmp_ne_u32_e32 vcc_lo, 1, v100
	v_lshlrev_b64 v[40:41], 2, v[62:63]
	s_cbranch_vccnz .LBB44_154
; %bb.153:
	s_delay_alu instid0(VALU_DEP_1) | instskip(NEXT) | instid1(VALU_DEP_2)
	v_add_co_u32 v44, vcc_lo, v44, v40
	v_add_co_ci_u32_e32 v45, vcc_lo, v45, v41, vcc_lo
	flat_load_b32 v44, v[44:45]
	s_waitcnt vmcnt(0) lgkmcnt(0)
	v_mul_f32_e32 v44, s15, v44
	s_branch .LBB44_155
.LBB44_154:
	v_mov_b32_e32 v44, 0
.LBB44_155:
	v_dual_max_f32 v37, v37, v37 :: v_dual_max_f32 v36, v36, v36
	v_dual_max_f32 v45, v1, v1 :: v_dual_max_f32 v46, v0, v0
	;; [unrolled: 1-line block ×3, first 2 shown]
	s_delay_alu instid0(VALU_DEP_2) | instskip(NEXT) | instid1(VALU_DEP_1)
	v_dual_min_f32 v37, v45, v37 :: v_dual_min_f32 v36, v46, v36
	v_dual_max_f32 v45, v2, v2 :: v_dual_add_f32 v36, v83, v36
	s_delay_alu instid0(VALU_DEP_1) | instskip(NEXT) | instid1(VALU_DEP_1)
	v_dual_max_f32 v47, v3, v3 :: v_dual_min_f32 v38, v45, v38
	v_dual_add_f32 v37, v82, v37 :: v_dual_add_f32 v36, v36, v38
	s_delay_alu instid0(VALU_DEP_2) | instskip(NEXT) | instid1(VALU_DEP_1)
	v_min_f32_e32 v39, v47, v39
	v_add_f32_e32 v37, v37, v39
	s_delay_alu instid0(VALU_DEP_1) | instskip(NEXT) | instid1(VALU_DEP_1)
	v_add_f32_e32 v36, v36, v37
	v_add_f32_e32 v38, v36, v44
	v_add_co_u32 v36, vcc_lo, v42, v40
	v_add_co_ci_u32_e32 v37, vcc_lo, v43, v41, vcc_lo
	global_store_b32 v[36:37], v38, off
.LBB44_156:
	s_or_b32 exec_lo, exec_lo, s8
	v_add_nc_u32_e32 v40, 0x60, v117
	s_delay_alu instid0(VALU_DEP_1) | instskip(SKIP_2) | instid1(VALU_DEP_3)
	v_mad_i64_i32 v[36:37], null, v40, s12, 0
	v_mad_i64_i32 v[38:39], null, v40, s9, 0
	v_cmp_gt_i32_e64 s8, s17, v40
	v_lshlrev_b64 v[36:37], 2, v[36:37]
	s_delay_alu instid0(VALU_DEP_2) | instskip(NEXT) | instid1(VALU_DEP_3)
	s_and_b32 s9, s0, s8
	v_lshlrev_b64 v[38:39], 2, v[38:39]
	s_delay_alu instid0(VALU_DEP_2) | instskip(NEXT) | instid1(VALU_DEP_3)
	v_add_co_u32 v40, vcc_lo, s10, v36
	v_add_co_ci_u32_e32 v41, vcc_lo, s11, v37, vcc_lo
	s_delay_alu instid0(VALU_DEP_3) | instskip(NEXT) | instid1(VALU_DEP_4)
	v_add_co_u32 v38, vcc_lo, s13, v38
	v_add_co_ci_u32_e32 v39, vcc_lo, s14, v39, vcc_lo
	s_and_saveexec_b32 s0, s9
	s_cbranch_execnz .LBB44_165
; %bb.157:
	s_or_b32 exec_lo, exec_lo, s0
	s_and_b32 s1, s1, s8
	s_delay_alu instid0(SALU_CYCLE_1)
	s_and_saveexec_b32 s0, s1
	s_cbranch_execnz .LBB44_169
.LBB44_158:
	s_or_b32 exec_lo, exec_lo, s0
	s_and_b32 s1, s2, s8
	s_delay_alu instid0(SALU_CYCLE_1)
	s_and_saveexec_b32 s0, s1
	s_cbranch_execnz .LBB44_173
.LBB44_159:
	s_or_b32 exec_lo, exec_lo, s0
	s_and_b32 s1, s3, s8
	s_delay_alu instid0(SALU_CYCLE_1)
	s_and_saveexec_b32 s0, s1
	s_cbranch_execnz .LBB44_177
.LBB44_160:
	s_or_b32 exec_lo, exec_lo, s0
	s_and_b32 s1, s4, s8
	s_delay_alu instid0(SALU_CYCLE_1)
	s_and_saveexec_b32 s0, s1
	s_cbranch_execnz .LBB44_181
.LBB44_161:
	s_or_b32 exec_lo, exec_lo, s0
	s_and_b32 s1, s5, s8
	s_delay_alu instid0(SALU_CYCLE_1)
	s_and_saveexec_b32 s0, s1
	s_cbranch_execnz .LBB44_185
.LBB44_162:
	s_or_b32 exec_lo, exec_lo, s0
	s_and_b32 s1, s6, s8
	s_delay_alu instid0(SALU_CYCLE_1)
	s_and_saveexec_b32 s0, s1
	s_cbranch_execnz .LBB44_189
.LBB44_163:
	s_or_b32 exec_lo, exec_lo, s0
	s_and_b32 s0, s7, s8
	s_delay_alu instid0(SALU_CYCLE_1)
	s_and_saveexec_b32 s1, s0
	s_cbranch_execnz .LBB44_193
.LBB44_164:
	s_nop 0
	s_sendmsg sendmsg(MSG_DEALLOC_VGPRS)
	s_endpgm
.LBB44_165:
	v_cmp_ne_u32_e32 vcc_lo, 1, v100
	v_lshlrev_b64 v[36:37], 2, v[48:49]
	s_cbranch_vccnz .LBB44_167
; %bb.166:
	s_delay_alu instid0(VALU_DEP_1) | instskip(NEXT) | instid1(VALU_DEP_2)
	v_add_co_u32 v42, vcc_lo, v40, v36
	v_add_co_ci_u32_e32 v43, vcc_lo, v41, v37, vcc_lo
	flat_load_b32 v42, v[42:43]
	s_waitcnt vmcnt(0) lgkmcnt(0)
	v_mul_f32_e32 v42, s15, v42
	s_branch .LBB44_168
.LBB44_167:
	v_mov_b32_e32 v42, 0
.LBB44_168:
	v_dual_max_f32 v43, v5, v5 :: v_dual_max_f32 v44, v4, v4
	v_dual_max_f32 v33, v33, v33 :: v_dual_max_f32 v32, v32, v32
	v_max_f32_e32 v45, v6, v6
	s_delay_alu instid0(VALU_DEP_2) | instskip(NEXT) | instid1(VALU_DEP_3)
	v_dual_max_f32 v34, v34, v34 :: v_dual_min_f32 v33, v33, v43
	v_dual_min_f32 v32, v32, v44 :: v_dual_max_f32 v43, v7, v7
	s_delay_alu instid0(VALU_DEP_2) | instskip(NEXT) | instid1(VALU_DEP_2)
	v_dual_min_f32 v34, v34, v45 :: v_dual_max_f32 v35, v35, v35
	v_dual_add_f32 v33, v80, v33 :: v_dual_add_f32 v32, v81, v32
	s_delay_alu instid0(VALU_DEP_1) | instskip(NEXT) | instid1(VALU_DEP_1)
	v_dual_min_f32 v35, v35, v43 :: v_dual_add_f32 v32, v32, v34
	v_add_f32_e32 v33, v33, v35
	s_delay_alu instid0(VALU_DEP_1) | instskip(NEXT) | instid1(VALU_DEP_1)
	v_add_f32_e32 v32, v32, v33
	v_add_f32_e32 v34, v32, v42
	v_add_co_u32 v32, vcc_lo, v38, v36
	v_add_co_ci_u32_e32 v33, vcc_lo, v39, v37, vcc_lo
	global_store_b32 v[32:33], v34, off
	s_or_b32 exec_lo, exec_lo, s0
	s_and_b32 s1, s1, s8
	s_delay_alu instid0(SALU_CYCLE_1)
	s_and_saveexec_b32 s0, s1
	s_cbranch_execz .LBB44_158
.LBB44_169:
	v_cmp_ne_u32_e32 vcc_lo, 1, v100
	v_lshlrev_b64 v[32:33], 2, v[50:51]
	s_cbranch_vccnz .LBB44_171
; %bb.170:
	s_delay_alu instid0(VALU_DEP_1) | instskip(NEXT) | instid1(VALU_DEP_2)
	v_add_co_u32 v34, vcc_lo, v40, v32
	v_add_co_ci_u32_e32 v35, vcc_lo, v41, v33, vcc_lo
	flat_load_b32 v34, v[34:35]
	s_waitcnt vmcnt(0) lgkmcnt(0)
	v_mul_f32_e32 v34, s15, v34
	s_branch .LBB44_172
.LBB44_171:
	v_mov_b32_e32 v34, 0
.LBB44_172:
	v_dual_max_f32 v35, v5, v5 :: v_dual_max_f32 v36, v4, v4
	v_dual_max_f32 v29, v29, v29 :: v_dual_max_f32 v28, v28, v28
	v_max_f32_e32 v37, v6, v6
	s_delay_alu instid0(VALU_DEP_2) | instskip(NEXT) | instid1(VALU_DEP_3)
	v_dual_max_f32 v30, v30, v30 :: v_dual_min_f32 v29, v29, v35
	v_dual_min_f32 v28, v28, v36 :: v_dual_max_f32 v35, v7, v7
	s_delay_alu instid0(VALU_DEP_2) | instskip(NEXT) | instid1(VALU_DEP_2)
	v_dual_min_f32 v30, v30, v37 :: v_dual_max_f32 v31, v31, v31
	v_dual_add_f32 v28, v78, v28 :: v_dual_add_f32 v29, v79, v29
	s_delay_alu instid0(VALU_DEP_1) | instskip(NEXT) | instid1(VALU_DEP_1)
	v_dual_add_f32 v28, v28, v30 :: v_dual_min_f32 v31, v31, v35
	v_add_f32_e32 v29, v29, v31
	s_delay_alu instid0(VALU_DEP_1) | instskip(NEXT) | instid1(VALU_DEP_1)
	v_add_f32_e32 v28, v28, v29
	v_add_f32_e32 v30, v28, v34
	v_add_co_u32 v28, vcc_lo, v38, v32
	v_add_co_ci_u32_e32 v29, vcc_lo, v39, v33, vcc_lo
	global_store_b32 v[28:29], v30, off
	s_or_b32 exec_lo, exec_lo, s0
	s_and_b32 s1, s2, s8
	s_delay_alu instid0(SALU_CYCLE_1)
	s_and_saveexec_b32 s0, s1
	s_cbranch_execz .LBB44_159
.LBB44_173:
	v_cmp_ne_u32_e32 vcc_lo, 1, v100
	v_lshlrev_b64 v[28:29], 2, v[52:53]
	s_cbranch_vccnz .LBB44_175
; %bb.174:
	s_delay_alu instid0(VALU_DEP_1) | instskip(NEXT) | instid1(VALU_DEP_2)
	v_add_co_u32 v30, vcc_lo, v40, v28
	v_add_co_ci_u32_e32 v31, vcc_lo, v41, v29, vcc_lo
	flat_load_b32 v30, v[30:31]
	s_waitcnt vmcnt(0) lgkmcnt(0)
	v_mul_f32_e32 v30, s15, v30
	s_branch .LBB44_176
.LBB44_175:
	v_mov_b32_e32 v30, 0
.LBB44_176:
	v_dual_max_f32 v31, v5, v5 :: v_dual_max_f32 v32, v4, v4
	v_dual_max_f32 v25, v25, v25 :: v_dual_max_f32 v24, v24, v24
	v_max_f32_e32 v33, v6, v6
	s_delay_alu instid0(VALU_DEP_2) | instskip(NEXT) | instid1(VALU_DEP_3)
	v_dual_max_f32 v26, v26, v26 :: v_dual_min_f32 v25, v25, v31
	v_dual_min_f32 v24, v24, v32 :: v_dual_max_f32 v31, v7, v7
	s_delay_alu instid0(VALU_DEP_2) | instskip(NEXT) | instid1(VALU_DEP_2)
	v_dual_min_f32 v26, v26, v33 :: v_dual_max_f32 v27, v27, v27
	v_dual_add_f32 v25, v76, v25 :: v_dual_add_f32 v24, v77, v24
	s_delay_alu instid0(VALU_DEP_1) | instskip(NEXT) | instid1(VALU_DEP_1)
	v_dual_min_f32 v27, v27, v31 :: v_dual_add_f32 v24, v24, v26
	v_add_f32_e32 v25, v25, v27
	s_delay_alu instid0(VALU_DEP_1) | instskip(NEXT) | instid1(VALU_DEP_1)
	v_add_f32_e32 v24, v24, v25
	v_add_f32_e32 v26, v24, v30
	v_add_co_u32 v24, vcc_lo, v38, v28
	v_add_co_ci_u32_e32 v25, vcc_lo, v39, v29, vcc_lo
	global_store_b32 v[24:25], v26, off
	s_or_b32 exec_lo, exec_lo, s0
	s_and_b32 s1, s3, s8
	s_delay_alu instid0(SALU_CYCLE_1)
	s_and_saveexec_b32 s0, s1
	s_cbranch_execz .LBB44_160
.LBB44_177:
	v_cmp_ne_u32_e32 vcc_lo, 1, v100
	v_lshlrev_b64 v[24:25], 2, v[54:55]
	s_cbranch_vccnz .LBB44_179
; %bb.178:
	s_delay_alu instid0(VALU_DEP_1) | instskip(NEXT) | instid1(VALU_DEP_2)
	v_add_co_u32 v26, vcc_lo, v40, v24
	v_add_co_ci_u32_e32 v27, vcc_lo, v41, v25, vcc_lo
	flat_load_b32 v26, v[26:27]
	s_waitcnt vmcnt(0) lgkmcnt(0)
	v_mul_f32_e32 v26, s15, v26
	s_branch .LBB44_180
.LBB44_179:
	v_mov_b32_e32 v26, 0
.LBB44_180:
	v_dual_max_f32 v27, v5, v5 :: v_dual_max_f32 v28, v4, v4
	v_dual_max_f32 v21, v21, v21 :: v_dual_max_f32 v20, v20, v20
	v_max_f32_e32 v29, v6, v6
	s_delay_alu instid0(VALU_DEP_2) | instskip(NEXT) | instid1(VALU_DEP_3)
	v_dual_max_f32 v22, v22, v22 :: v_dual_min_f32 v21, v21, v27
	v_dual_min_f32 v20, v20, v28 :: v_dual_max_f32 v27, v7, v7
	s_delay_alu instid0(VALU_DEP_2) | instskip(NEXT) | instid1(VALU_DEP_2)
	v_min_f32_e32 v22, v22, v29
	v_dual_add_f32 v21, v74, v21 :: v_dual_add_f32 v20, v75, v20
	s_delay_alu instid0(VALU_DEP_1) | instskip(NEXT) | instid1(VALU_DEP_1)
	v_dual_max_f32 v23, v23, v23 :: v_dual_add_f32 v20, v20, v22
	v_min_f32_e32 v23, v23, v27
	s_delay_alu instid0(VALU_DEP_1) | instskip(NEXT) | instid1(VALU_DEP_1)
	v_add_f32_e32 v21, v21, v23
	v_add_f32_e32 v20, v20, v21
	s_delay_alu instid0(VALU_DEP_1)
	v_add_f32_e32 v22, v20, v26
	v_add_co_u32 v20, vcc_lo, v38, v24
	v_add_co_ci_u32_e32 v21, vcc_lo, v39, v25, vcc_lo
	global_store_b32 v[20:21], v22, off
	s_or_b32 exec_lo, exec_lo, s0
	s_and_b32 s1, s4, s8
	s_delay_alu instid0(SALU_CYCLE_1)
	s_and_saveexec_b32 s0, s1
	s_cbranch_execz .LBB44_161
.LBB44_181:
	v_cmp_ne_u32_e32 vcc_lo, 1, v100
	v_lshlrev_b64 v[20:21], 2, v[56:57]
	s_cbranch_vccnz .LBB44_183
; %bb.182:
	s_delay_alu instid0(VALU_DEP_1) | instskip(NEXT) | instid1(VALU_DEP_2)
	v_add_co_u32 v22, vcc_lo, v40, v20
	v_add_co_ci_u32_e32 v23, vcc_lo, v41, v21, vcc_lo
	flat_load_b32 v22, v[22:23]
	s_waitcnt vmcnt(0) lgkmcnt(0)
	v_mul_f32_e32 v22, s15, v22
	s_branch .LBB44_184
.LBB44_183:
	v_mov_b32_e32 v22, 0
.LBB44_184:
	v_dual_max_f32 v23, v5, v5 :: v_dual_max_f32 v24, v4, v4
	v_dual_max_f32 v17, v17, v17 :: v_dual_max_f32 v16, v16, v16
	v_max_f32_e32 v25, v6, v6
	s_delay_alu instid0(VALU_DEP_2) | instskip(NEXT) | instid1(VALU_DEP_3)
	v_dual_max_f32 v18, v18, v18 :: v_dual_min_f32 v17, v17, v23
	v_dual_min_f32 v16, v16, v24 :: v_dual_max_f32 v23, v7, v7
	s_delay_alu instid0(VALU_DEP_2) | instskip(NEXT) | instid1(VALU_DEP_2)
	v_dual_min_f32 v18, v18, v25 :: v_dual_max_f32 v19, v19, v19
	v_dual_add_f32 v16, v72, v16 :: v_dual_add_f32 v17, v73, v17
	s_delay_alu instid0(VALU_DEP_1) | instskip(NEXT) | instid1(VALU_DEP_1)
	v_dual_add_f32 v16, v16, v18 :: v_dual_min_f32 v19, v19, v23
	v_add_f32_e32 v17, v17, v19
	s_delay_alu instid0(VALU_DEP_1) | instskip(NEXT) | instid1(VALU_DEP_1)
	v_add_f32_e32 v16, v16, v17
	v_add_f32_e32 v18, v16, v22
	v_add_co_u32 v16, vcc_lo, v38, v20
	v_add_co_ci_u32_e32 v17, vcc_lo, v39, v21, vcc_lo
	global_store_b32 v[16:17], v18, off
	s_or_b32 exec_lo, exec_lo, s0
	s_and_b32 s1, s5, s8
	s_delay_alu instid0(SALU_CYCLE_1)
	s_and_saveexec_b32 s0, s1
	s_cbranch_execz .LBB44_162
.LBB44_185:
	v_cmp_ne_u32_e32 vcc_lo, 1, v100
	v_lshlrev_b64 v[16:17], 2, v[58:59]
	s_cbranch_vccnz .LBB44_187
; %bb.186:
	s_delay_alu instid0(VALU_DEP_1) | instskip(NEXT) | instid1(VALU_DEP_2)
	v_add_co_u32 v18, vcc_lo, v40, v16
	v_add_co_ci_u32_e32 v19, vcc_lo, v41, v17, vcc_lo
	flat_load_b32 v18, v[18:19]
	s_waitcnt vmcnt(0) lgkmcnt(0)
	v_mul_f32_e32 v18, s15, v18
	s_branch .LBB44_188
.LBB44_187:
	v_mov_b32_e32 v18, 0
.LBB44_188:
	v_dual_max_f32 v19, v5, v5 :: v_dual_max_f32 v20, v4, v4
	v_dual_max_f32 v13, v13, v13 :: v_dual_max_f32 v12, v12, v12
	v_max_f32_e32 v21, v6, v6
	s_delay_alu instid0(VALU_DEP_2) | instskip(NEXT) | instid1(VALU_DEP_3)
	v_dual_max_f32 v14, v14, v14 :: v_dual_min_f32 v13, v13, v19
	v_dual_min_f32 v12, v12, v20 :: v_dual_max_f32 v19, v7, v7
	s_delay_alu instid0(VALU_DEP_2) | instskip(NEXT) | instid1(VALU_DEP_2)
	v_min_f32_e32 v14, v14, v21
	v_dual_add_f32 v13, v70, v13 :: v_dual_add_f32 v12, v71, v12
	s_delay_alu instid0(VALU_DEP_1) | instskip(NEXT) | instid1(VALU_DEP_1)
	v_dual_max_f32 v15, v15, v15 :: v_dual_add_f32 v12, v12, v14
	v_min_f32_e32 v15, v15, v19
	s_delay_alu instid0(VALU_DEP_1) | instskip(NEXT) | instid1(VALU_DEP_1)
	v_add_f32_e32 v13, v13, v15
	v_add_f32_e32 v12, v12, v13
	s_delay_alu instid0(VALU_DEP_1)
	v_add_f32_e32 v14, v12, v18
	v_add_co_u32 v12, vcc_lo, v38, v16
	v_add_co_ci_u32_e32 v13, vcc_lo, v39, v17, vcc_lo
	global_store_b32 v[12:13], v14, off
	s_or_b32 exec_lo, exec_lo, s0
	s_and_b32 s1, s6, s8
	s_delay_alu instid0(SALU_CYCLE_1)
	s_and_saveexec_b32 s0, s1
	s_cbranch_execz .LBB44_163
.LBB44_189:
	v_cmp_ne_u32_e32 vcc_lo, 1, v100
	v_lshlrev_b64 v[12:13], 2, v[60:61]
	s_cbranch_vccnz .LBB44_191
; %bb.190:
	s_delay_alu instid0(VALU_DEP_1) | instskip(NEXT) | instid1(VALU_DEP_2)
	v_add_co_u32 v14, vcc_lo, v40, v12
	v_add_co_ci_u32_e32 v15, vcc_lo, v41, v13, vcc_lo
	flat_load_b32 v14, v[14:15]
	s_waitcnt vmcnt(0) lgkmcnt(0)
	v_mul_f32_e32 v14, s15, v14
	s_branch .LBB44_192
.LBB44_191:
	v_mov_b32_e32 v14, 0
.LBB44_192:
	v_dual_max_f32 v15, v5, v5 :: v_dual_max_f32 v16, v4, v4
	v_dual_max_f32 v9, v9, v9 :: v_dual_max_f32 v8, v8, v8
	v_max_f32_e32 v17, v6, v6
	s_delay_alu instid0(VALU_DEP_2) | instskip(NEXT) | instid1(VALU_DEP_3)
	v_dual_max_f32 v10, v10, v10 :: v_dual_min_f32 v9, v9, v15
	v_dual_min_f32 v8, v8, v16 :: v_dual_max_f32 v15, v7, v7
	s_delay_alu instid0(VALU_DEP_2) | instskip(NEXT) | instid1(VALU_DEP_2)
	v_dual_min_f32 v10, v10, v17 :: v_dual_max_f32 v11, v11, v11
	v_dual_add_f32 v8, v68, v8 :: v_dual_add_f32 v9, v69, v9
	s_delay_alu instid0(VALU_DEP_1) | instskip(NEXT) | instid1(VALU_DEP_1)
	v_dual_add_f32 v8, v8, v10 :: v_dual_min_f32 v11, v11, v15
	v_add_f32_e32 v9, v9, v11
	s_delay_alu instid0(VALU_DEP_1) | instskip(NEXT) | instid1(VALU_DEP_1)
	v_add_f32_e32 v8, v8, v9
	v_add_f32_e32 v10, v8, v14
	v_add_co_u32 v8, vcc_lo, v38, v12
	v_add_co_ci_u32_e32 v9, vcc_lo, v39, v13, vcc_lo
	global_store_b32 v[8:9], v10, off
	s_or_b32 exec_lo, exec_lo, s0
	s_and_b32 s0, s7, s8
	s_delay_alu instid0(SALU_CYCLE_1)
	s_and_saveexec_b32 s1, s0
	s_cbranch_execz .LBB44_164
.LBB44_193:
	v_cmp_ne_u32_e32 vcc_lo, 1, v100
	v_lshlrev_b64 v[8:9], 2, v[62:63]
	s_cbranch_vccnz .LBB44_195
; %bb.194:
	s_delay_alu instid0(VALU_DEP_1) | instskip(NEXT) | instid1(VALU_DEP_2)
	v_add_co_u32 v10, vcc_lo, v40, v8
	v_add_co_ci_u32_e32 v11, vcc_lo, v41, v9, vcc_lo
	flat_load_b32 v10, v[10:11]
	s_waitcnt vmcnt(0) lgkmcnt(0)
	v_mul_f32_e32 v10, s15, v10
	s_branch .LBB44_196
.LBB44_195:
	v_mov_b32_e32 v10, 0
.LBB44_196:
	v_dual_max_f32 v5, v5, v5 :: v_dual_max_f32 v4, v4, v4
	v_dual_max_f32 v1, v1, v1 :: v_dual_max_f32 v0, v0, v0
	v_max_f32_e32 v6, v6, v6
	v_dual_max_f32 v2, v2, v2 :: v_dual_max_f32 v3, v3, v3
	s_delay_alu instid0(VALU_DEP_3) | instskip(NEXT) | instid1(VALU_DEP_2)
	v_dual_min_f32 v1, v1, v5 :: v_dual_min_f32 v0, v0, v4
	v_dual_max_f32 v5, v7, v7 :: v_dual_min_f32 v2, v2, v6
	s_delay_alu instid0(VALU_DEP_2) | instskip(NEXT) | instid1(VALU_DEP_1)
	v_dual_add_f32 v1, v67, v1 :: v_dual_add_f32 v0, v66, v0
	v_dual_min_f32 v3, v3, v5 :: v_dual_add_f32 v0, v0, v2
	s_delay_alu instid0(VALU_DEP_1) | instskip(NEXT) | instid1(VALU_DEP_1)
	v_add_f32_e32 v1, v1, v3
	v_add_f32_e32 v0, v0, v1
	s_delay_alu instid0(VALU_DEP_1)
	v_add_f32_e32 v2, v0, v10
	v_add_co_u32 v0, vcc_lo, v38, v8
	v_add_co_ci_u32_e32 v1, vcc_lo, v39, v9, vcc_lo
	global_store_b32 v[0:1], v2, off
	s_nop 0
	s_sendmsg sendmsg(MSG_DEALLOC_VGPRS)
	s_endpgm
	.section	.rodata,"a",@progbits
	.p2align	6, 0x0
	.amdhsa_kernel _ZN12_GLOBAL__N_120geam_min_plus_kernelIf15HIP_vector_typeIfLj2EES2_Li8ELi32ELi64ELi128ELi4ELi64ELi4ELi64ELi4ELc78ELc84ELb0ELb1ELb0EfKPKfKPfEEviiiT16_PT17_ilSA_ilS8_SA_ilPT18_ili26rocblas_geam_ex_operation_
		.amdhsa_group_segment_fixed_size 6144
		.amdhsa_private_segment_fixed_size 0
		.amdhsa_kernarg_size 128
		.amdhsa_user_sgpr_count 14
		.amdhsa_user_sgpr_dispatch_ptr 0
		.amdhsa_user_sgpr_queue_ptr 0
		.amdhsa_user_sgpr_kernarg_segment_ptr 1
		.amdhsa_user_sgpr_dispatch_id 0
		.amdhsa_user_sgpr_private_segment_size 0
		.amdhsa_wavefront_size32 1
		.amdhsa_uses_dynamic_stack 0
		.amdhsa_enable_private_segment 0
		.amdhsa_system_sgpr_workgroup_id_x 1
		.amdhsa_system_sgpr_workgroup_id_y 0
		.amdhsa_system_sgpr_workgroup_id_z 1
		.amdhsa_system_sgpr_workgroup_info 0
		.amdhsa_system_vgpr_workitem_id 1
		.amdhsa_next_free_vgpr 230
		.amdhsa_next_free_sgpr 30
		.amdhsa_reserve_vcc 1
		.amdhsa_float_round_mode_32 0
		.amdhsa_float_round_mode_16_64 0
		.amdhsa_float_denorm_mode_32 3
		.amdhsa_float_denorm_mode_16_64 3
		.amdhsa_dx10_clamp 1
		.amdhsa_ieee_mode 1
		.amdhsa_fp16_overflow 0
		.amdhsa_workgroup_processor_mode 1
		.amdhsa_memory_ordered 1
		.amdhsa_forward_progress 0
		.amdhsa_shared_vgpr_count 0
		.amdhsa_exception_fp_ieee_invalid_op 0
		.amdhsa_exception_fp_denorm_src 0
		.amdhsa_exception_fp_ieee_div_zero 0
		.amdhsa_exception_fp_ieee_overflow 0
		.amdhsa_exception_fp_ieee_underflow 0
		.amdhsa_exception_fp_ieee_inexact 0
		.amdhsa_exception_int_div_zero 0
	.end_amdhsa_kernel
	.section	.text._ZN12_GLOBAL__N_120geam_min_plus_kernelIf15HIP_vector_typeIfLj2EES2_Li8ELi32ELi64ELi128ELi4ELi64ELi4ELi64ELi4ELc78ELc84ELb0ELb1ELb0EfKPKfKPfEEviiiT16_PT17_ilSA_ilS8_SA_ilPT18_ili26rocblas_geam_ex_operation_,"axG",@progbits,_ZN12_GLOBAL__N_120geam_min_plus_kernelIf15HIP_vector_typeIfLj2EES2_Li8ELi32ELi64ELi128ELi4ELi64ELi4ELi64ELi4ELc78ELc84ELb0ELb1ELb0EfKPKfKPfEEviiiT16_PT17_ilSA_ilS8_SA_ilPT18_ili26rocblas_geam_ex_operation_,comdat
.Lfunc_end44:
	.size	_ZN12_GLOBAL__N_120geam_min_plus_kernelIf15HIP_vector_typeIfLj2EES2_Li8ELi32ELi64ELi128ELi4ELi64ELi4ELi64ELi4ELc78ELc84ELb0ELb1ELb0EfKPKfKPfEEviiiT16_PT17_ilSA_ilS8_SA_ilPT18_ili26rocblas_geam_ex_operation_, .Lfunc_end44-_ZN12_GLOBAL__N_120geam_min_plus_kernelIf15HIP_vector_typeIfLj2EES2_Li8ELi32ELi64ELi128ELi4ELi64ELi4ELi64ELi4ELc78ELc84ELb0ELb1ELb0EfKPKfKPfEEviiiT16_PT17_ilSA_ilS8_SA_ilPT18_ili26rocblas_geam_ex_operation_
                                        ; -- End function
	.section	.AMDGPU.csdata,"",@progbits
; Kernel info:
; codeLenInByte = 13368
; NumSgprs: 32
; NumVgprs: 230
; ScratchSize: 0
; MemoryBound: 0
; FloatMode: 240
; IeeeMode: 1
; LDSByteSize: 6144 bytes/workgroup (compile time only)
; SGPRBlocks: 3
; VGPRBlocks: 28
; NumSGPRsForWavesPerEU: 32
; NumVGPRsForWavesPerEU: 230
; Occupancy: 6
; WaveLimiterHint : 1
; COMPUTE_PGM_RSRC2:SCRATCH_EN: 0
; COMPUTE_PGM_RSRC2:USER_SGPR: 14
; COMPUTE_PGM_RSRC2:TRAP_HANDLER: 0
; COMPUTE_PGM_RSRC2:TGID_X_EN: 1
; COMPUTE_PGM_RSRC2:TGID_Y_EN: 0
; COMPUTE_PGM_RSRC2:TGID_Z_EN: 1
; COMPUTE_PGM_RSRC2:TIDIG_COMP_CNT: 1
	.section	.text._ZN12_GLOBAL__N_120geam_min_plus_kernelIf15HIP_vector_typeIfLj2EES2_Li8ELi32ELi64ELi128ELi4ELi4ELi64ELi64ELi4ELc84ELc84ELb0ELb0ELb0EPKfKS4_KPfEEviiiT16_PT17_ilSA_ilS8_SA_ilPT18_ili26rocblas_geam_ex_operation_,"axG",@progbits,_ZN12_GLOBAL__N_120geam_min_plus_kernelIf15HIP_vector_typeIfLj2EES2_Li8ELi32ELi64ELi128ELi4ELi4ELi64ELi64ELi4ELc84ELc84ELb0ELb0ELb0EPKfKS4_KPfEEviiiT16_PT17_ilSA_ilS8_SA_ilPT18_ili26rocblas_geam_ex_operation_,comdat
	.globl	_ZN12_GLOBAL__N_120geam_min_plus_kernelIf15HIP_vector_typeIfLj2EES2_Li8ELi32ELi64ELi128ELi4ELi4ELi64ELi64ELi4ELc84ELc84ELb0ELb0ELb0EPKfKS4_KPfEEviiiT16_PT17_ilSA_ilS8_SA_ilPT18_ili26rocblas_geam_ex_operation_ ; -- Begin function _ZN12_GLOBAL__N_120geam_min_plus_kernelIf15HIP_vector_typeIfLj2EES2_Li8ELi32ELi64ELi128ELi4ELi4ELi64ELi64ELi4ELc84ELc84ELb0ELb0ELb0EPKfKS4_KPfEEviiiT16_PT17_ilSA_ilS8_SA_ilPT18_ili26rocblas_geam_ex_operation_
	.p2align	8
	.type	_ZN12_GLOBAL__N_120geam_min_plus_kernelIf15HIP_vector_typeIfLj2EES2_Li8ELi32ELi64ELi128ELi4ELi4ELi64ELi64ELi4ELc84ELc84ELb0ELb0ELb0EPKfKS4_KPfEEviiiT16_PT17_ilSA_ilS8_SA_ilPT18_ili26rocblas_geam_ex_operation_,@function
_ZN12_GLOBAL__N_120geam_min_plus_kernelIf15HIP_vector_typeIfLj2EES2_Li8ELi32ELi64ELi128ELi4ELi4ELi64ELi64ELi4ELc84ELc84ELb0ELb0ELb0EPKfKS4_KPfEEviiiT16_PT17_ilSA_ilS8_SA_ilPT18_ili26rocblas_geam_ex_operation_: ; @_ZN12_GLOBAL__N_120geam_min_plus_kernelIf15HIP_vector_typeIfLj2EES2_Li8ELi32ELi64ELi128ELi4ELi4ELi64ELi64ELi4ELc84ELc84ELb0ELb0ELb0EPKfKS4_KPfEEviiiT16_PT17_ilSA_ilS8_SA_ilPT18_ili26rocblas_geam_ex_operation_
; %bb.0:
	s_clause 0x1
	s_load_b128 s[16:19], s[0:1], 0x10
	s_load_b128 s[4:7], s[0:1], 0x28
	s_mov_b32 s20, s15
	s_mov_b32 s21, 0
	s_delay_alu instid0(SALU_CYCLE_1)
	s_lshl_b64 s[2:3], s[20:21], 2
	s_waitcnt lgkmcnt(0)
	s_add_u32 s8, s16, s2
	s_addc_u32 s9, s17, s3
	s_load_b32 s22, s[8:9], 0x0
	s_clause 0x1
	s_load_b128 s[8:11], s[0:1], 0x40
	s_load_b64 s[16:17], s[0:1], 0x50
	s_waitcnt lgkmcnt(0)
	v_cmp_eq_f32_e64 s12, s22, 0
	v_cmp_neq_f32_e64 s23, s22, 0
	s_add_u32 s2, s10, s2
	s_addc_u32 s3, s11, s3
	s_mov_b64 s[10:11], 0
	s_and_b32 vcc_lo, exec_lo, s12
	s_mov_b64 s[12:13], 0
	s_cbranch_vccnz .LBB45_2
; %bb.1:
	s_lshl_b64 s[12:13], s[20:21], 3
	s_delay_alu instid0(SALU_CYCLE_1)
	s_add_u32 s12, s18, s12
	s_addc_u32 s13, s19, s13
	s_lshl_b64 s[4:5], s[4:5], 2
	s_load_b64 s[12:13], s[12:13], 0x0
	s_waitcnt lgkmcnt(0)
	s_add_u32 s12, s12, s4
	s_addc_u32 s13, s13, s5
.LBB45_2:
	s_load_b32 s15, s[2:3], 0x0
	v_cndmask_b32_e64 v1, 0, 1, s23
	s_and_not1_b32 vcc_lo, exec_lo, s23
	s_delay_alu instid0(VALU_DEP_1)
	v_cmp_ne_u32_e64 s3, 1, v1
	s_cbranch_vccnz .LBB45_4
; %bb.3:
	s_lshl_b64 s[4:5], s[20:21], 3
	s_delay_alu instid0(SALU_CYCLE_1)
	s_add_u32 s4, s6, s4
	s_addc_u32 s5, s7, s5
	s_lshl_b64 s[6:7], s[8:9], 2
	s_load_b64 s[4:5], s[4:5], 0x0
	s_waitcnt lgkmcnt(0)
	s_add_u32 s10, s4, s6
	s_addc_u32 s11, s5, s7
.LBB45_4:
	s_load_b128 s[4:7], s[0:1], 0x60
	s_waitcnt lgkmcnt(0)
	v_cmp_eq_f32_e64 s2, s15, 0
	s_delay_alu instid0(VALU_DEP_1) | instskip(NEXT) | instid1(SALU_CYCLE_1)
	s_and_b32 s2, exec_lo, s2
	s_mov_b32 vcc_lo, s2
	s_cbranch_vccnz .LBB45_6
; %bb.5:
	s_lshl_b64 s[8:9], s[20:21], 3
	s_delay_alu instid0(SALU_CYCLE_1)
	s_add_u32 s8, s16, s8
	s_addc_u32 s9, s17, s9
	s_lshl_b64 s[4:5], s[4:5], 2
	s_load_b64 s[8:9], s[8:9], 0x0
	s_waitcnt lgkmcnt(0)
	s_add_u32 s4, s8, s4
	s_addc_u32 s5, s9, s5
	s_branch .LBB45_7
.LBB45_6:
	s_mov_b64 s[4:5], 0
.LBB45_7:
	s_clause 0x1
	s_load_b32 s16, s[0:1], 0x0
	s_load_b32 s17, s[0:1], 0x20
	s_lshl_b64 s[8:9], s[20:21], 3
	v_and_b32_e32 v54, 0x3ff, v0
	s_add_u32 s6, s6, s8
	s_addc_u32 s7, s7, s9
	v_bfe_u32 v55, v0, 10, 10
	s_delay_alu instid0(VALU_DEP_2) | instskip(NEXT) | instid1(VALU_DEP_1)
	v_and_b32_e32 v0, 3, v54
	v_lshlrev_b32_e32 v2, 2, v0
	s_waitcnt lgkmcnt(0)
	s_add_i32 s8, s16, -1
	s_delay_alu instid0(SALU_CYCLE_1) | instskip(NEXT) | instid1(SALU_CYCLE_1)
	s_ashr_i32 s9, s8, 31
	s_lshr_b32 s9, s9, 26
	s_delay_alu instid0(SALU_CYCLE_1) | instskip(NEXT) | instid1(SALU_CYCLE_1)
	s_add_i32 s8, s8, s9
	s_ashr_i32 s8, s8, 6
	s_delay_alu instid0(SALU_CYCLE_1) | instskip(SKIP_2) | instid1(VALU_DEP_1)
	s_add_i32 s16, s8, 1
	s_not_b32 s8, s8
	v_cvt_f32_u32_e32 v1, s16
	v_rcp_iflag_f32_e32 v1, v1
	s_waitcnt_depctr 0xfff
	v_mul_f32_e32 v1, 0x4f7ffffe, v1
	s_delay_alu instid0(VALU_DEP_1) | instskip(NEXT) | instid1(VALU_DEP_1)
	v_cvt_u32_f32_e32 v1, v1
	v_readfirstlane_b32 s9, v1
	v_lshl_add_u32 v1, v55, 3, v54
	s_delay_alu instid0(VALU_DEP_2) | instskip(NEXT) | instid1(VALU_DEP_1)
	s_mul_i32 s8, s8, s9
	v_lshrrev_b32_e32 v8, 2, v1
	s_mul_hi_u32 s8, s9, s8
	s_delay_alu instid0(SALU_CYCLE_1) | instskip(NEXT) | instid1(SALU_CYCLE_1)
	s_add_i32 s9, s9, s8
	s_mul_hi_u32 s8, s14, s9
	s_delay_alu instid0(SALU_CYCLE_1) | instskip(SKIP_2) | instid1(SALU_CYCLE_1)
	s_mul_i32 s9, s8, s16
	s_add_i32 s18, s8, 1
	s_sub_i32 s9, s14, s9
	s_sub_i32 s19, s9, s16
	s_cmp_ge_u32 s9, s16
	s_cselect_b32 s8, s18, s8
	s_cselect_b32 s9, s19, s9
	s_add_i32 s18, s8, 1
	s_cmp_ge_u32 s9, s16
	s_cselect_b32 s9, s18, s8
	s_and_b32 vcc_lo, exec_lo, s3
	s_mul_i32 s8, s9, s16
	s_delay_alu instid0(SALU_CYCLE_1) | instskip(NEXT) | instid1(SALU_CYCLE_1)
	s_sub_i32 s8, s14, s8
	s_lshl_b32 s14, s8, 6
	s_delay_alu instid0(SALU_CYCLE_1)
	v_add_nc_u32_e32 v3, s14, v8
	s_cbranch_vccnz .LBB45_9
; %bb.8:
	s_delay_alu instid0(VALU_DEP_1) | instskip(NEXT) | instid1(VALU_DEP_1)
	v_mad_i64_i32 v[4:5], null, v3, s17, 0
	v_lshlrev_b64 v[4:5], 2, v[4:5]
	s_delay_alu instid0(VALU_DEP_1) | instskip(NEXT) | instid1(VALU_DEP_2)
	v_add_co_u32 v0, vcc_lo, s12, v4
	v_add_co_ci_u32_e32 v5, vcc_lo, s13, v5, vcc_lo
	s_delay_alu instid0(VALU_DEP_2) | instskip(NEXT) | instid1(VALU_DEP_2)
	v_add_co_u32 v4, vcc_lo, v0, v2
	v_add_co_ci_u32_e32 v5, vcc_lo, 0, v5, vcc_lo
	flat_load_b32 v0, v[4:5]
	s_waitcnt vmcnt(0) lgkmcnt(0)
	v_mul_f32_e32 v9, s22, v0
	s_branch .LBB45_10
.LBB45_9:
	v_mov_b32_e32 v9, 0
.LBB45_10:
	s_load_b32 s8, s[0:1], 0x38
	v_and_b32_e32 v5, 63, v1
	s_lshl_b32 s16, s9, 7
	v_lshrrev_b32_e32 v4, 6, v1
	s_and_b32 vcc_lo, exec_lo, s3
	s_delay_alu instid0(VALU_DEP_2) | instskip(NEXT) | instid1(VALU_DEP_1)
	v_or_b32_e32 v0, s16, v5
	v_ashrrev_i32_e32 v1, 31, v0
	s_waitcnt lgkmcnt(0)
	s_ashr_i32 s9, s8, 31
	s_cbranch_vccnz .LBB45_14
; %bb.11:
	v_mad_i64_i32 v[6:7], null, s8, v4, 0
	v_lshlrev_b64 v[10:11], 2, v[0:1]
	s_delay_alu instid0(VALU_DEP_2) | instskip(NEXT) | instid1(VALU_DEP_1)
	v_lshlrev_b64 v[6:7], 2, v[6:7]
	v_add_co_u32 v6, vcc_lo, s10, v6
	s_delay_alu instid0(VALU_DEP_2) | instskip(NEXT) | instid1(VALU_DEP_2)
	v_add_co_ci_u32_e32 v7, vcc_lo, s11, v7, vcc_lo
	v_add_co_u32 v6, vcc_lo, v6, v10
	s_delay_alu instid0(VALU_DEP_2)
	v_add_co_ci_u32_e32 v7, vcc_lo, v7, v11, vcc_lo
	s_clause 0x1
	flat_load_b32 v10, v[6:7]
	flat_load_b32 v6, v[6:7] offset:256
	s_waitcnt vmcnt(1) lgkmcnt(1)
	v_mul_f32_e32 v10, s22, v10
	s_waitcnt vmcnt(0) lgkmcnt(0)
	v_mul_f32_e32 v11, s22, v6
	s_and_b32 vcc_lo, exec_lo, s3
	s_cbranch_vccnz .LBB45_15
.LBB45_12:
	v_mad_i64_i32 v[6:7], null, v3, s17, 0
	s_delay_alu instid0(VALU_DEP_1) | instskip(NEXT) | instid1(VALU_DEP_1)
	v_lshlrev_b64 v[6:7], 2, v[6:7]
	v_add_co_u32 v6, vcc_lo, s12, v6
	s_delay_alu instid0(VALU_DEP_2) | instskip(NEXT) | instid1(VALU_DEP_2)
	v_add_co_ci_u32_e32 v7, vcc_lo, s13, v7, vcc_lo
	v_add_co_u32 v6, vcc_lo, v6, v2
	s_delay_alu instid0(VALU_DEP_2)
	v_add_co_ci_u32_e32 v7, vcc_lo, 0, v7, vcc_lo
	flat_load_b32 v6, v[6:7] offset:16
	s_waitcnt vmcnt(0) lgkmcnt(0)
	v_mul_f32_e32 v6, s22, v6
	s_and_b32 vcc_lo, exec_lo, s3
	s_cbranch_vccnz .LBB45_16
.LBB45_13:
	v_add_nc_u32_e32 v7, 4, v4
	v_lshlrev_b64 v[0:1], 2, v[0:1]
	s_delay_alu instid0(VALU_DEP_2) | instskip(NEXT) | instid1(VALU_DEP_1)
	v_mad_i64_i32 v[12:13], null, s8, v7, 0
	v_lshlrev_b64 v[12:13], 2, v[12:13]
	s_delay_alu instid0(VALU_DEP_1) | instskip(NEXT) | instid1(VALU_DEP_2)
	v_add_co_u32 v7, vcc_lo, s10, v12
	v_add_co_ci_u32_e32 v12, vcc_lo, s11, v13, vcc_lo
	s_delay_alu instid0(VALU_DEP_2) | instskip(NEXT) | instid1(VALU_DEP_2)
	v_add_co_u32 v0, vcc_lo, v7, v0
	v_add_co_ci_u32_e32 v1, vcc_lo, v12, v1, vcc_lo
	s_clause 0x1
	flat_load_b32 v7, v[0:1]
	flat_load_b32 v0, v[0:1] offset:256
	s_waitcnt vmcnt(1) lgkmcnt(1)
	v_mul_f32_e32 v1, s22, v7
	s_waitcnt vmcnt(0) lgkmcnt(0)
	v_mul_f32_e32 v7, s22, v0
	s_branch .LBB45_17
.LBB45_14:
	v_dual_mov_b32 v10, 0 :: v_dual_mov_b32 v11, 0
	s_and_b32 vcc_lo, exec_lo, s3
	s_cbranch_vccz .LBB45_12
.LBB45_15:
	v_mov_b32_e32 v6, 0
	s_and_b32 vcc_lo, exec_lo, s3
	s_cbranch_vccz .LBB45_13
.LBB45_16:
	v_mov_b32_e32 v1, 0
	v_mov_b32_e32 v7, 0
.LBB45_17:
	v_lshlrev_b32_e32 v12, 2, v4
	v_lshl_or_b32 v0, v8, 4, v2
	v_lshlrev_b32_e32 v56, 4, v55
	v_lshlrev_b32_e32 v57, 4, v54
	s_load_b64 s[6:7], s[6:7], 0x0
	v_lshl_add_u32 v70, v5, 4, v12
	s_load_b32 s18, s[0:1], 0x8
	ds_store_b32 v0, v9 offset:4096
	ds_store_2addr_stride64_b32 v70, v10, v11 offset1:4
	s_waitcnt lgkmcnt(0)
	s_barrier
	buffer_gl0_inv
	ds_load_b128 v[8:11], v56
	ds_load_b128 v[12:15], v57 offset:4096
	ds_load_b128 v[16:19], v57 offset:4224
	;; [unrolled: 1-line block ×11, first 2 shown]
	ds_store_b32 v0, v6 offset:5120
	ds_store_2addr_stride64_b32 v70, v1, v7 offset0:8 offset1:12
	s_waitcnt lgkmcnt(0)
	s_barrier
	buffer_gl0_inv
	v_dual_max_f32 v8, v8, v8 :: v_dual_max_f32 v9, v9, v9
	v_dual_max_f32 v16, v16, v16 :: v_dual_max_f32 v21, v21, v21
	;; [unrolled: 1-line block ×3, first 2 shown]
	s_delay_alu instid0(VALU_DEP_2) | instskip(SKIP_2) | instid1(VALU_DEP_4)
	v_dual_max_f32 v25, v25, v25 :: v_dual_min_f32 v62, v16, v8
	v_max_f32_e32 v28, v28, v28
	v_dual_max_f32 v12, v12, v12 :: v_dual_max_f32 v17, v17, v17
	v_dual_min_f32 v53, v13, v9 :: v_dual_min_f32 v64, v20, v8
	v_dual_max_f32 v29, v29, v29 :: v_dual_max_f32 v24, v24, v24
	v_min_f32_e32 v65, v21, v9
	v_dual_min_f32 v67, v25, v9 :: v_dual_min_f32 v68, v28, v8
	v_dual_max_f32 v33, v33, v33 :: v_dual_max_f32 v32, v32, v32
	v_dual_max_f32 v37, v37, v37 :: v_dual_max_f32 v36, v36, v36
	;; [unrolled: 1-line block ×5, first 2 shown]
	v_dual_min_f32 v52, v12, v8 :: v_dual_min_f32 v63, v17, v9
	v_dual_min_f32 v66, v24, v8 :: v_dual_min_f32 v69, v29, v9
	v_dual_min_f32 v71, v32, v8 :: v_dual_min_f32 v72, v33, v9
	v_dual_min_f32 v73, v36, v8 :: v_dual_min_f32 v74, v37, v9
	v_dual_min_f32 v8, v40, v8 :: v_dual_max_f32 v15, v15, v15
	v_dual_min_f32 v9, v41, v9 :: v_dual_max_f32 v14, v14, v14
	;; [unrolled: 1-line block ×3, first 2 shown]
	v_dual_max_f32 v19, v19, v19 :: v_dual_min_f32 v76, v13, v45
	v_dual_min_f32 v77, v16, v44 :: v_dual_min_f32 v78, v17, v45
	v_dual_min_f32 v79, v20, v44 :: v_dual_min_f32 v80, v21, v45
	;; [unrolled: 1-line block ×3, first 2 shown]
	v_min_f32_e32 v83, v28, v44
	v_dual_min_f32 v84, v32, v44 :: v_dual_max_f32 v39, v39, v39
	v_dual_max_f32 v48, v48, v48 :: v_dual_max_f32 v43, v43, v43
	v_dual_max_f32 v38, v38, v38 :: v_dual_min_f32 v85, v36, v44
	v_dual_min_f32 v44, v40, v44 :: v_dual_max_f32 v49, v49, v49
	v_dual_max_f32 v46, v46, v46 :: v_dual_max_f32 v59, v59, v59
	s_delay_alu instid0(VALU_DEP_4)
	v_dual_max_f32 v58, v58, v58 :: v_dual_min_f32 v127, v36, v48
	v_dual_max_f32 v22, v22, v22 :: v_dual_max_f32 v23, v23, v23
	v_dual_max_f32 v26, v26, v26 :: v_dual_max_f32 v27, v27, v27
	v_dual_min_f32 v86, v12, v48 :: v_dual_max_f32 v47, v47, v47
	v_dual_max_f32 v42, v42, v42 :: v_dual_min_f32 v123, v20, v48
	v_dual_min_f32 v88, v16, v48 :: v_dual_max_f32 v51, v51, v51
	v_dual_min_f32 v124, v24, v48 :: v_dual_max_f32 v61, v61, v61
	v_dual_max_f32 v50, v50, v50 :: v_dual_max_f32 v125, v60, v60
	v_dual_min_f32 v60, v28, v48 :: v_dual_min_f32 v87, v33, v45
	v_dual_min_f32 v126, v32, v48 :: v_dual_min_f32 v89, v37, v45
	v_min_f32_e32 v48, v40, v48
	v_dual_min_f32 v12, v12, v58 :: v_dual_min_f32 v91, v17, v49
	v_dual_min_f32 v16, v16, v58 :: v_dual_min_f32 v129, v25, v49
	;; [unrolled: 1-line block ×3, first 2 shown]
	v_min_f32_e32 v24, v24, v58
	v_min_f32_e32 v28, v28, v58
	v_dual_min_f32 v32, v32, v58 :: v_dual_min_f32 v17, v17, v59
	v_min_f32_e32 v36, v36, v58
	v_dual_min_f32 v40, v40, v58 :: v_dual_min_f32 v25, v25, v59
	v_min_f32_e32 v58, v29, v45
	v_min_f32_e32 v45, v41, v45
	v_dual_min_f32 v90, v13, v49 :: v_dual_add_f32 v63, 0, v63
	v_dual_min_f32 v128, v21, v49 :: v_dual_min_f32 v93, v19, v11
	v_dual_min_f32 v130, v29, v49 :: v_dual_min_f32 v95, v23, v11
	v_min_f32_e32 v132, v37, v49
	v_min_f32_e32 v49, v41, v49
	;; [unrolled: 1-line block ×4, first 2 shown]
	v_dual_min_f32 v29, v29, v59 :: v_dual_add_f32 v52, 0, v52
	v_dual_min_f32 v33, v33, v59 :: v_dual_min_f32 v92, v14, v10
	v_dual_min_f32 v37, v37, v59 :: v_dual_add_f32 v62, 0, v62
	v_dual_min_f32 v41, v41, v59 :: v_dual_min_f32 v94, v18, v10
	s_delay_alu instid0(VALU_DEP_3) | instskip(SKIP_4) | instid1(VALU_DEP_4)
	v_dual_add_f32 v53, 0, v53 :: v_dual_add_f32 v122, v92, v52
	v_dual_min_f32 v59, v15, v11 :: v_dual_max_f32 v30, v30, v30
	v_dual_max_f32 v31, v31, v31 :: v_dual_max_f32 v34, v34, v34
	v_max_f32_e32 v35, v35, v35
	v_dual_add_f32 v65, 0, v65 :: v_dual_add_f32 v120, v94, v62
	v_dual_add_f32 v121, v59, v53 :: v_dual_add_f32 v52, 0, v64
	v_min_f32_e32 v53, v22, v10
	v_add_f32_e32 v59, 0, v67
	v_min_f32_e32 v62, v27, v11
	v_dual_add_f32 v119, v93, v63 :: v_dual_min_f32 v64, v26, v10
	v_add_f32_e32 v117, v95, v65
	v_add_f32_e32 v63, 0, v66
	v_dual_add_f32 v65, 0, v69 :: v_dual_min_f32 v66, v31, v11
	v_dual_add_f32 v118, v53, v52 :: v_dual_add_f32 v115, v62, v59
	v_dual_add_f32 v52, 0, v72 :: v_dual_min_f32 v53, v35, v11
	v_dual_min_f32 v62, v34, v10 :: v_dual_add_f32 v59, 0, v71
	v_dual_add_f32 v67, 0, v68 :: v_dual_add_f32 v116, v64, v63
	v_min_f32_e32 v68, v30, v10
	v_add_f32_e32 v113, v66, v65
	v_dual_add_f32 v63, 0, v74 :: v_dual_min_f32 v64, v39, v11
	v_dual_min_f32 v66, v38, v10 :: v_dual_add_f32 v65, 0, v73
	v_dual_add_f32 v112, v62, v59 :: v_dual_add_f32 v9, 0, v9
	v_dual_add_f32 v8, 0, v8 :: v_dual_min_f32 v11, v43, v11
	s_delay_alu instid0(VALU_DEP_3) | instskip(SKIP_1) | instid1(VALU_DEP_3)
	v_dual_add_f32 v110, v66, v65 :: v_dual_add_f32 v109, v64, v63
	v_dual_add_f32 v63, 0, v77 :: v_dual_min_f32 v64, v18, v46
	v_add_f32_e32 v107, v11, v9
	v_dual_min_f32 v9, v42, v10 :: v_dual_min_f32 v62, v19, v47
	v_dual_add_f32 v111, v53, v52 :: v_dual_add_f32 v52, 0, v75
	s_delay_alu instid0(VALU_DEP_2) | instskip(SKIP_3) | instid1(VALU_DEP_3)
	v_dual_min_f32 v11, v15, v47 :: v_dual_add_f32 v108, v9, v8
	v_dual_add_f32 v8, 0, v80 :: v_dual_min_f32 v53, v14, v46
	v_dual_add_f32 v104, v64, v63 :: v_dual_add_f32 v59, 0, v78
	v_dual_add_f32 v10, 0, v76 :: v_dual_min_f32 v9, v23, v47
	v_add_f32_e32 v106, v53, v52
	s_delay_alu instid0(VALU_DEP_3) | instskip(SKIP_1) | instid1(VALU_DEP_4)
	v_dual_add_f32 v52, 0, v82 :: v_dual_add_f32 v103, v62, v59
	v_dual_min_f32 v53, v27, v47 :: v_dual_add_f32 v58, 0, v58
	v_dual_add_f32 v105, v11, v10 :: v_dual_add_f32 v10, 0, v79
	s_delay_alu instid0(VALU_DEP_2) | instskip(SKIP_2) | instid1(VALU_DEP_3)
	v_dual_min_f32 v11, v22, v46 :: v_dual_add_f32 v98, v53, v52
	v_dual_add_f32 v59, 0, v81 :: v_dual_min_f32 v62, v26, v46
	v_dual_min_f32 v63, v31, v47 :: v_dual_add_f32 v52, 0, v84
	v_dual_add_f32 v102, v11, v10 :: v_dual_add_f32 v101, v9, v8
	s_delay_alu instid0(VALU_DEP_2)
	v_dual_add_f32 v100, v62, v59 :: v_dual_add_f32 v97, v63, v58
	v_dual_add_f32 v8, 0, v83 :: v_dual_min_f32 v9, v30, v46
	v_add_f32_e32 v10, 0, v87
	v_dual_min_f32 v11, v35, v47 :: v_dual_add_f32 v58, 0, v89
	v_dual_min_f32 v53, v34, v46 :: v_dual_add_f32 v62, 0, v85
	v_min_f32_e32 v59, v39, v47
	v_min_f32_e32 v63, v38, v46
	v_add_f32_e32 v99, v9, v8
	v_dual_add_f32 v95, v11, v10 :: v_dual_add_f32 v10, 0, v44
	s_delay_alu instid0(VALU_DEP_4)
	v_dual_add_f32 v96, v53, v52 :: v_dual_add_f32 v93, v59, v58
	v_add_f32_e32 v52, 0, v91
	v_dual_add_f32 v8, 0, v45 :: v_dual_min_f32 v9, v43, v47
	v_add_f32_e32 v44, 0, v90
	v_min_f32_e32 v11, v42, v46
	v_dual_min_f32 v45, v15, v51 :: v_dual_add_f32 v46, 0, v86
	v_min_f32_e32 v47, v14, v50
	v_min_f32_e32 v53, v19, v51
	v_add_f32_e32 v91, v9, v8
	v_add_f32_e32 v8, 0, v88
	;; [unrolled: 1-line block ×3, first 2 shown]
	v_dual_min_f32 v9, v18, v50 :: v_dual_add_f32 v10, 0, v128
	v_dual_add_f32 v89, v45, v44 :: v_dual_add_f32 v90, v47, v46
	v_dual_add_f32 v46, 0, v129 :: v_dual_add_f32 v87, v53, v52
	v_add_f32_e32 v44, 0, v123
	v_dual_add_f32 v52, 0, v124 :: v_dual_min_f32 v11, v23, v51
	v_dual_add_f32 v88, v9, v8 :: v_dual_min_f32 v53, v26, v50
	;; [unrolled: 1-line block ×3, first 2 shown]
	s_delay_alu instid0(VALU_DEP_3) | instskip(NEXT) | instid1(VALU_DEP_3)
	v_dual_add_f32 v85, v11, v10 :: v_dual_add_f32 v10, 0, v60
	v_dual_min_f32 v45, v22, v50 :: v_dual_add_f32 v84, v53, v52
	v_min_f32_e32 v47, v27, v51
	v_dual_min_f32 v53, v39, v51 :: v_dual_add_f32 v12, 0, v12
	s_delay_alu instid0(VALU_DEP_3) | instskip(NEXT) | instid1(VALU_DEP_3)
	v_add_f32_e32 v86, v45, v44
	v_dual_add_f32 v44, 0, v131 :: v_dual_add_f32 v83, v47, v46
	v_dual_add_f32 v52, 0, v132 :: v_dual_min_f32 v45, v35, v51
	v_add_f32_e32 v46, 0, v126
	v_min_f32_e32 v11, v30, v50
	v_min_f32_e32 v47, v34, v50
	s_delay_alu instid0(VALU_DEP_4) | instskip(NEXT) | instid1(VALU_DEP_3)
	v_dual_min_f32 v19, v19, v61 :: v_dual_add_f32 v78, v45, v44
	v_dual_add_f32 v81, v9, v8 :: v_dual_add_f32 v82, v11, v10
	v_dual_add_f32 v8, 0, v127 :: v_dual_min_f32 v9, v38, v50
	v_add_f32_e32 v44, 0, v48
	v_dual_add_f32 v10, 0, v49 :: v_dual_min_f32 v11, v43, v51
	v_min_f32_e32 v45, v42, v50
	s_delay_alu instid0(VALU_DEP_4) | instskip(SKIP_1) | instid1(VALU_DEP_4)
	v_dual_min_f32 v14, v14, v125 :: v_dual_add_f32 v79, v9, v8
	v_min_f32_e32 v15, v15, v61
	v_dual_add_f32 v75, v11, v10 :: v_dual_add_f32 v10, 0, v20
	v_dual_add_f32 v8, 0, v16 :: v_dual_add_f32 v13, 0, v13
	;; [unrolled: 1-line block ×4, first 2 shown]
	v_dual_min_f32 v23, v23, v61 :: v_dual_add_f32 v114, v68, v67
	s_delay_alu instid0(VALU_DEP_4) | instskip(SKIP_2) | instid1(VALU_DEP_4)
	v_dual_add_f32 v74, v14, v12 :: v_dual_add_f32 v71, v15, v13
	v_add_f32_e32 v12, 0, v24
	v_add_f32_e32 v14, 0, v28
	v_dual_min_f32 v18, v18, v125 :: v_dual_add_f32 v67, v23, v11
	v_add_f32_e32 v72, v19, v9
	v_min_f32_e32 v9, v26, v125
	v_min_f32_e32 v11, v30, v125
	s_delay_alu instid0(VALU_DEP_4)
	v_add_f32_e32 v73, v18, v8
	v_min_f32_e32 v22, v22, v125
	v_dual_add_f32 v13, 0, v25 :: v_dual_add_f32 v20, 0, v36
	v_dual_add_f32 v15, 0, v29 :: v_dual_add_f32 v24, 0, v40
	;; [unrolled: 1-line block ×3, first 2 shown]
	v_add_f32_e32 v65, v11, v14
	v_dual_min_f32 v8, v27, v61 :: v_dual_add_f32 v69, v22, v10
	v_min_f32_e32 v9, v34, v125
	v_min_f32_e32 v10, v31, v61
	v_add_f32_e32 v94, v63, v62
	v_min_f32_e32 v12, v42, v125
	v_add_f32_e32 v25, 0, v41
	v_add_f32_e32 v63, v9, v16
	v_dual_add_f32 v21, 0, v37 :: v_dual_add_f32 v64, v10, v15
	v_min_f32_e32 v10, v38, v125
	v_add_f32_e32 v66, v8, v13
	v_dual_min_f32 v8, v35, v61 :: v_dual_add_f32 v59, v12, v24
	v_min_f32_e32 v11, v43, v61
	v_dual_add_f32 v80, v47, v46 :: v_dual_add_f32 v77, v53, v52
	s_delay_alu instid0(VALU_DEP_3) | instskip(SKIP_1) | instid1(VALU_DEP_4)
	v_add_f32_e32 v60, v8, v17
	v_dual_min_f32 v8, v39, v61 :: v_dual_add_f32 v61, v10, v20
	v_add_f32_e32 v58, v11, v25
	s_cmp_lt_i32 s18, 9
	s_delay_alu instid0(VALU_DEP_2)
	v_add_f32_e32 v62, v8, v21
	s_cbranch_scc1 .LBB45_31
; %bb.18:
	v_mad_i64_i32 v[7:8], null, s17, v3, 0
	v_add_nc_u32_e32 v5, s16, v5
	v_add_nc_u32_e32 v1, 12, v4
	;; [unrolled: 1-line block ×5, first 2 shown]
	v_ashrrev_i32_e32 v6, 31, v5
	v_mad_i64_i32 v[9:10], null, v1, s8, 0
	v_lshlrev_b64 v[0:1], 2, v[7:8]
	v_add_nc_u32_e32 v124, 0x1000, v57
	s_delay_alu instid0(VALU_DEP_4)
	v_lshlrev_b64 v[5:6], 2, v[5:6]
	v_or_b32_e32 v126, 0x800, v70
	v_lshl_add_u32 v127, v54, 4, 0x1400
	v_lshl_add_u32 v128, v55, 4, 0x800
	v_add_co_u32 v2, vcc_lo, v0, v2
	v_add_co_ci_u32_e32 v4, vcc_lo, 0, v1, vcc_lo
	v_add_co_u32 v129, vcc_lo, s10, v5
	v_mad_i64_i32 v[0:1], null, v3, s8, 0
	v_add_co_ci_u32_e32 v130, vcc_lo, s11, v6, vcc_lo
	v_add_co_u32 v2, vcc_lo, v2, s12
	v_add_co_ci_u32_e32 v3, vcc_lo, s13, v4, vcc_lo
	v_lshlrev_b64 v[48:49], 2, v[9:10]
	s_delay_alu instid0(VALU_DEP_3) | instskip(SKIP_1) | instid1(VALU_DEP_4)
	v_add_co_u32 v52, vcc_lo, v2, 32
	v_lshlrev_b64 v[50:51], 2, v[0:1]
	v_add_co_ci_u32_e32 v53, vcc_lo, 0, v3, vcc_lo
	s_add_i32 s10, s18, -8
	s_lshl_b64 s[8:9], s[8:9], 5
	s_mov_b32 s11, 0
	s_branch .LBB45_21
.LBB45_19:                              ;   in Loop: Header=BB45_21 Depth=1
	v_add_co_u32 v0, vcc_lo, v129, v48
	v_add_co_ci_u32_e32 v1, vcc_lo, v130, v49, vcc_lo
	s_clause 0x1
	flat_load_b32 v214, v[0:1]
	flat_load_b32 v1, v[0:1] offset:256
	s_waitcnt vmcnt(0) lgkmcnt(0)
	v_dual_mul_f32 v0, s22, v214 :: v_dual_mul_f32 v1, s22, v1
.LBB45_20:                              ;   in Loop: Header=BB45_21 Depth=1
	v_dual_add_f32 v36, v36, v122 :: v_dual_add_f32 v41, v41, v120
	v_dual_add_f32 v40, v40, v121 :: v_dual_add_f32 v29, v29, v118
	;; [unrolled: 1-line block ×15, first 2 shown]
	ds_load_b128 v[20:23], v56
	ds_load_b128 v[28:31], v124
	v_dual_add_f32 v69, v10, v69 :: v_dual_add_f32 v68, v11, v68
	ds_load_b128 v[8:11], v124 offset:128
	v_dual_add_f32 v32, v32, v117 :: v_dual_add_f32 v37, v37, v115
	v_dual_add_f32 v12, v12, v107 :: v_dual_add_f32 v17, v17, v105
	;; [unrolled: 1-line block ×20, first 2 shown]
	s_waitcnt lgkmcnt(2)
	v_dual_add_f32 v62, v15, v62 :: v_dual_max_f32 v21, v21, v21
	v_dual_add_f32 v6, v6, v61 :: v_dual_add_f32 v133, v19, v46
	ds_load_b128 v[2:5], v124 offset:256
	ds_load_b128 v[12:15], v124 offset:384
	;; [unrolled: 1-line block ×5, first 2 shown]
	v_dual_add_f32 v7, v7, v43 :: v_dual_max_f32 v20, v20, v20
	s_waitcnt lgkmcnt(6)
	v_dual_max_f32 v28, v28, v28 :: v_dual_max_f32 v29, v29, v29
	s_waitcnt lgkmcnt(5)
	v_dual_max_f32 v8, v8, v8 :: v_dual_max_f32 v9, v9, v9
	ds_load_b128 v[36:39], v124 offset:768
	ds_load_b128 v[40:43], v124 offset:896
	v_dual_add_f32 v100, v134, v100 :: v_dual_add_f32 v99, v136, v99
	v_dual_add_f32 v98, v135, v98 :: v_dual_add_f32 v97, v137, v97
	v_dual_min_f32 v134, v28, v20 :: v_dual_min_f32 v135, v29, v21
	v_dual_min_f32 v136, v8, v20 :: v_dual_add_f32 v119, v186, v45
	v_add_f32_e32 v120, v177, v44
	s_waitcnt lgkmcnt(6)
	v_dual_max_f32 v2, v2, v2 :: v_dual_max_f32 v3, v3, v3
	v_add_f32_e32 v93, v134, v93
	v_min_f32_e32 v134, v9, v21
	v_add_f32_e32 v92, v135, v92
	s_waitcnt lgkmcnt(5)
	v_dual_add_f32 v104, v136, v104 :: v_dual_max_f32 v13, v13, v13
	v_min_f32_e32 v135, v2, v20
	s_waitcnt lgkmcnt(4)
	v_dual_max_f32 v12, v12, v12 :: v_dual_max_f32 v17, v17, v17
	s_waitcnt lgkmcnt(3)
	v_dual_max_f32 v24, v24, v24 :: v_dual_add_f32 v103, v134, v103
	v_dual_add_f32 v106, v135, v106 :: v_dual_min_f32 v135, v13, v21
	v_dual_max_f32 v16, v16, v16 :: v_dual_max_f32 v25, v25, v25
	s_waitcnt lgkmcnt(1)
	v_dual_max_f32 v37, v37, v37 :: v_dual_max_f32 v32, v32, v32
	s_delay_alu instid0(VALU_DEP_3)
	v_add_f32_e32 v107, v135, v107
	v_dual_min_f32 v135, v17, v21 :: v_dual_max_f32 v36, v36, v36
	s_waitcnt lgkmcnt(0)
	v_max_f32_e32 v41, v41, v41
	ds_load_b128 v[44:47], v56 offset:1024
	ds_load_b128 v[58:61], v56 offset:1536
	v_dual_max_f32 v40, v40, v40 :: v_dual_max_f32 v33, v33, v33
	v_add_f32_e32 v109, v135, v109
	v_dual_min_f32 v134, v3, v21 :: v_dual_min_f32 v135, v36, v20
	v_dual_min_f32 v136, v12, v20 :: v_dual_add_f32 v101, v187, v101
	s_delay_alu instid0(VALU_DEP_2) | instskip(SKIP_1) | instid1(VALU_DEP_3)
	v_dual_add_f32 v98, v188, v98 :: v_dual_add_f32 v105, v134, v105
	v_min_f32_e32 v134, v16, v20
	v_add_f32_e32 v108, v136, v108
	v_dual_min_f32 v136, v25, v21 :: v_dual_add_f32 v135, v135, v114
	v_dual_add_f32 v90, v142, v90 :: v_dual_add_f32 v89, v143, v89
	s_delay_alu instid0(VALU_DEP_4) | instskip(SKIP_3) | instid1(VALU_DEP_3)
	v_add_f32_e32 v110, v134, v110
	v_min_f32_e32 v134, v24, v20
	v_dual_add_f32 v100, v179, v100 :: v_dual_add_f32 v97, v189, v97
	v_dual_add_f32 v99, v180, v99 :: v_dual_add_f32 v96, v181, v96
	v_add_f32_e32 v112, v134, v112
	v_min_f32_e32 v134, v37, v21
	v_dual_min_f32 v21, v41, v21 :: v_dual_min_f32 v20, v40, v20
	v_dual_add_f32 v89, v201, v89 :: v_dual_add_f32 v90, v192, v90
	s_waitcnt lgkmcnt(1)
	s_delay_alu instid0(VALU_DEP_2) | instskip(NEXT) | instid1(VALU_DEP_3)
	v_dual_max_f32 v44, v44, v44 :: v_dual_add_f32 v21, v21, v115
	v_dual_min_f32 v115, v3, v33 :: v_dual_add_f32 v20, v20, v116
	v_dual_min_f32 v116, v8, v32 :: v_dual_max_f32 v45, v45, v45
	v_dual_add_f32 v88, v144, v88 :: v_dual_add_f32 v87, v145, v87
	s_delay_alu instid0(VALU_DEP_3) | instskip(SKIP_4) | instid1(VALU_DEP_4)
	v_add_f32_e32 v101, v115, v101
	v_dual_min_f32 v115, v24, v32 :: v_dual_add_f32 v134, v134, v113
	v_min_f32_e32 v113, v28, v32
	v_dual_add_f32 v111, v136, v111 :: v_dual_add_f32 v86, v146, v86
	v_add_f32_e32 v85, v147, v85
	v_add_f32_e32 v96, v115, v96
	s_delay_alu instid0(VALU_DEP_4) | instskip(SKIP_4) | instid1(VALU_DEP_3)
	v_add_f32_e32 v136, v113, v118
	v_dual_min_f32 v113, v9, v33 :: v_dual_add_f32 v138, v116, v120
	v_min_f32_e32 v116, v12, v32
	v_min_f32_e32 v115, v8, v44
	v_dual_add_f32 v84, v148, v84 :: v_dual_add_f32 v83, v149, v83
	v_dual_add_f32 v139, v113, v119 :: v_dual_add_f32 v100, v116, v100
	v_min_f32_e32 v116, v25, v33
	v_min_f32_e32 v114, v29, v33
	;; [unrolled: 1-line block ×3, first 2 shown]
	v_dual_add_f32 v87, v202, v87 :: v_dual_add_f32 v88, v193, v88
	s_delay_alu instid0(VALU_DEP_4) | instskip(NEXT) | instid1(VALU_DEP_4)
	v_add_f32_e32 v95, v116, v95
	v_add_f32_e32 v137, v114, v117
	v_min_f32_e32 v114, v2, v32
	v_add_f32_e32 v98, v113, v98
	v_dual_min_f32 v113, v17, v33 :: v_dual_add_f32 v82, v150, v82
	s_delay_alu instid0(VALU_DEP_3) | instskip(NEXT) | instid1(VALU_DEP_2)
	v_dual_add_f32 v81, v151, v81 :: v_dual_add_f32 v102, v114, v102
	v_dual_min_f32 v114, v16, v32 :: v_dual_add_f32 v97, v113, v97
	v_min_f32_e32 v113, v37, v33
	v_min_f32_e32 v33, v41, v33
	v_dual_add_f32 v78, v153, v78 :: v_dual_add_f32 v77, v155, v77
	s_delay_alu instid0(VALU_DEP_4) | instskip(NEXT) | instid1(VALU_DEP_3)
	v_dual_add_f32 v99, v114, v99 :: v_dual_min_f32 v114, v36, v32
	v_dual_min_f32 v32, v40, v32 :: v_dual_add_f32 v33, v33, v91
	v_min_f32_e32 v91, v9, v45
	v_dual_add_f32 v85, v203, v85 :: v_dual_add_f32 v86, v194, v86
	s_delay_alu instid0(VALU_DEP_4) | instskip(SKIP_3) | instid1(VALU_DEP_3)
	v_add_f32_e32 v94, v114, v94
	v_dual_min_f32 v114, v29, v45 :: v_dual_add_f32 v83, v204, v83
	v_add_f32_e32 v84, v195, v84
	v_dual_add_f32 v32, v32, v122 :: v_dual_add_f32 v87, v91, v87
	v_add_f32_e32 v89, v114, v89
	v_dual_add_f32 v140, v113, v121 :: v_dual_min_f32 v113, v28, v44
	v_dual_add_f32 v88, v115, v88 :: v_dual_min_f32 v91, v13, v45
	v_dual_min_f32 v114, v3, v45 :: v_dual_min_f32 v115, v12, v44
	s_delay_alu instid0(VALU_DEP_3)
	v_dual_add_f32 v90, v113, v90 :: v_dual_min_f32 v113, v2, v44
	v_dual_add_f32 v80, v152, v80 :: v_dual_add_f32 v79, v154, v79
	v_dual_add_f32 v76, v156, v76 :: v_dual_add_f32 v75, v157, v75
	;; [unrolled: 1-line block ×3, first 2 shown]
	v_add_f32_e32 v78, v206, v78
	v_dual_add_f32 v86, v113, v86 :: v_dual_add_f32 v83, v91, v83
	v_dual_add_f32 v84, v115, v84 :: v_dual_min_f32 v91, v17, v45
	v_min_f32_e32 v113, v16, v44
	v_dual_add_f32 v85, v114, v85 :: v_dual_min_f32 v114, v24, v44
	s_waitcnt lgkmcnt(0)
	v_dual_min_f32 v115, v25, v45 :: v_dual_max_f32 v58, v58, v58
	v_dual_max_f32 v59, v59, v59 :: v_dual_add_f32 v74, v158, v74
	v_add_f32_e32 v71, v159, v71
	v_dual_add_f32 v73, v160, v73 :: v_dual_add_f32 v72, v161, v72
	v_dual_add_f32 v80, v197, v80 :: v_dual_add_f32 v77, v210, v77
	;; [unrolled: 1-line block ×3, first 2 shown]
	v_min_f32_e32 v113, v36, v44
	s_delay_alu instid0(VALU_DEP_3)
	v_dual_add_f32 v81, v91, v81 :: v_dual_add_f32 v80, v114, v80
	v_dual_add_f32 v78, v115, v78 :: v_dual_min_f32 v91, v37, v45
	v_dual_min_f32 v25, v25, v59 :: v_dual_min_f32 v36, v36, v58
	v_min_f32_e32 v37, v37, v59
	v_dual_add_f32 v79, v198, v79 :: v_dual_add_f32 v76, v207, v76
	v_dual_add_f32 v71, v212, v71 :: v_dual_add_f32 v72, v213, v72
	;; [unrolled: 1-line block ×3, first 2 shown]
	v_dual_min_f32 v29, v29, v59 :: v_dual_min_f32 v8, v8, v58
	v_min_f32_e32 v9, v9, v59
	v_dual_add_f32 v25, v25, v132 :: v_dual_max_f32 v22, v22, v22
	v_add_f32_e32 v6, v36, v6
	v_dual_add_f32 v36, v37, v62 :: v_dual_max_f32 v23, v23, v23
	v_min_f32_e32 v37, v40, v58
	v_dual_max_f32 v31, v31, v31 :: v_dual_max_f32 v30, v30, v30
	v_dual_max_f32 v11, v11, v11 :: v_dual_max_f32 v10, v10, v10
	v_dual_add_f32 v79, v113, v79 :: v_dual_min_f32 v44, v40, v44
	v_dual_min_f32 v45, v41, v45 :: v_dual_min_f32 v28, v28, v58
	v_dual_add_f32 v29, v29, v71 :: v_dual_min_f32 v2, v2, v58
	v_dual_add_f32 v8, v8, v73 :: v_dual_add_f32 v9, v9, v72
	v_dual_min_f32 v12, v12, v58 :: v_dual_min_f32 v13, v13, v59
	v_dual_min_f32 v16, v16, v58 :: v_dual_min_f32 v17, v17, v59
	v_min_f32_e32 v24, v24, v58
	v_min_f32_e32 v40, v41, v59
	v_add_f32_e32 v7, v37, v7
	v_dual_min_f32 v41, v30, v22 :: v_dual_min_f32 v58, v11, v23
	v_min_f32_e32 v37, v31, v23
	v_dual_max_f32 v5, v5, v5 :: v_dual_max_f32 v4, v4, v4
	s_delay_alu instid0(VALU_DEP_3) | instskip(NEXT) | instid1(VALU_DEP_3)
	v_dual_add_f32 v122, v41, v93 :: v_dual_max_f32 v15, v15, v15
	v_dual_add_f32 v121, v37, v92 :: v_dual_max_f32 v14, v14, v14
	v_min_f32_e32 v37, v10, v22
	s_delay_alu instid0(VALU_DEP_4) | instskip(SKIP_2) | instid1(VALU_DEP_4)
	v_dual_min_f32 v41, v5, v23 :: v_dual_max_f32 v18, v18, v18
	v_add_f32_e32 v119, v58, v103
	v_min_f32_e32 v58, v15, v23
	v_add_f32_e32 v120, v37, v104
	s_delay_alu instid0(VALU_DEP_4)
	v_dual_add_f32 v117, v41, v105 :: v_dual_max_f32 v26, v26, v26
	v_max_f32_e32 v19, v19, v19
	v_min_f32_e32 v41, v14, v22
	v_min_f32_e32 v37, v4, v22
	v_max_f32_e32 v38, v38, v38
	v_dual_max_f32 v34, v34, v34 :: v_dual_max_f32 v43, v43, v43
	s_delay_alu instid0(VALU_DEP_4) | instskip(NEXT) | instid1(VALU_DEP_4)
	v_add_f32_e32 v116, v41, v108
	v_add_f32_e32 v118, v37, v106
	v_min_f32_e32 v41, v18, v22
	v_add_f32_e32 v115, v58, v107
	v_dual_min_f32 v58, v26, v22 :: v_dual_min_f32 v37, v19, v23
	s_delay_alu instid0(VALU_DEP_3) | instskip(NEXT) | instid1(VALU_DEP_2)
	v_dual_max_f32 v27, v27, v27 :: v_dual_add_f32 v114, v41, v110
	v_dual_max_f32 v35, v35, v35 :: v_dual_add_f32 v112, v58, v112
	s_delay_alu instid0(VALU_DEP_3) | instskip(SKIP_1) | instid1(VALU_DEP_4)
	v_add_f32_e32 v113, v37, v109
	v_max_f32_e32 v37, v39, v39
	v_min_f32_e32 v39, v27, v23
	v_dual_add_f32 v77, v91, v77 :: v_dual_add_f32 v44, v44, v76
	v_dual_min_f32 v3, v3, v59 :: v_dual_add_f32 v2, v2, v69
	s_delay_alu instid0(VALU_DEP_4) | instskip(SKIP_1) | instid1(VALU_DEP_3)
	v_dual_min_f32 v41, v37, v23 :: v_dual_add_f32 v12, v12, v68
	v_dual_add_f32 v45, v45, v75 :: v_dual_add_f32 v28, v28, v74
	v_add_f32_e32 v3, v3, v67
	s_delay_alu instid0(VALU_DEP_3) | instskip(SKIP_4) | instid1(VALU_DEP_4)
	v_add_f32_e32 v109, v41, v134
	v_max_f32_e32 v41, v42, v42
	v_dual_min_f32 v42, v30, v34 :: v_dual_add_f32 v111, v39, v111
	v_min_f32_e32 v39, v38, v22
	v_dual_add_f32 v13, v13, v66 :: v_dual_add_f32 v16, v16, v65
	v_min_f32_e32 v22, v41, v22
	v_dual_add_f32 v17, v17, v64 :: v_dual_add_f32 v24, v24, v63
	v_add_f32_e32 v40, v40, v133
	v_add_co_u32 v129, vcc_lo, v129, s8
	s_delay_alu instid0(VALU_DEP_4) | instskip(SKIP_3) | instid1(VALU_DEP_3)
	v_add_f32_e32 v108, v22, v20
	v_dual_min_f32 v20, v10, v34 :: v_dual_min_f32 v23, v43, v23
	v_min_f32_e32 v22, v4, v34
	v_add_co_ci_u32_e32 v130, vcc_lo, s9, v130, vcc_lo
	v_dual_add_f32 v104, v20, v138 :: v_dual_add_f32 v107, v23, v21
	s_delay_alu instid0(VALU_DEP_3) | instskip(SKIP_4) | instid1(VALU_DEP_4)
	v_dual_add_f32 v102, v22, v102 :: v_dual_min_f32 v21, v11, v35
	v_min_f32_e32 v20, v14, v34
	v_min_f32_e32 v22, v27, v35
	v_add_f32_e32 v110, v39, v135
	v_min_f32_e32 v39, v31, v35
	v_dual_min_f32 v23, v15, v35 :: v_dual_add_f32 v100, v20, v100
	v_dual_min_f32 v20, v18, v34 :: v_dual_add_f32 v103, v21, v139
	v_min_f32_e32 v21, v5, v35
	s_delay_alu instid0(VALU_DEP_4) | instskip(SKIP_1) | instid1(VALU_DEP_4)
	v_add_f32_e32 v105, v39, v137
	v_add_f32_e32 v95, v22, v95
	v_dual_max_f32 v22, v46, v46 :: v_dual_add_f32 v99, v20, v99
	s_delay_alu instid0(VALU_DEP_4) | instskip(SKIP_3) | instid1(VALU_DEP_3)
	v_dual_min_f32 v20, v38, v34 :: v_dual_add_f32 v101, v21, v101
	v_min_f32_e32 v21, v19, v35
	v_add_f32_e32 v98, v23, v98
	v_add_co_u32 v52, vcc_lo, v52, 32
	v_dual_add_f32 v94, v20, v94 :: v_dual_add_f32 v97, v21, v97
	v_dual_min_f32 v21, v37, v35 :: v_dual_add_f32 v106, v42, v136
	v_add_co_ci_u32_e32 v53, vcc_lo, 0, v53, vcc_lo
	s_add_i32 s11, s11, 8
	s_delay_alu instid0(VALU_DEP_2)
	v_add_f32_e32 v93, v21, v140
	v_max_f32_e32 v21, v47, v47
	v_min_f32_e32 v23, v26, v34
	s_cmp_ge_i32 s11, s10
	ds_store_b32 v125, v131
	ds_store_2addr_stride64_b32 v126, v0, v1 offset1:4
	s_waitcnt lgkmcnt(0)
	v_min_f32_e32 v20, v31, v21
	v_min_f32_e32 v34, v41, v34
	s_barrier
	buffer_gl0_inv
	v_dual_add_f32 v89, v20, v89 :: v_dual_min_f32 v20, v10, v22
	v_add_f32_e32 v92, v34, v32
	v_min_f32_e32 v32, v5, v21
	v_add_f32_e32 v96, v23, v96
	s_delay_alu instid0(VALU_DEP_4) | instskip(SKIP_1) | instid1(VALU_DEP_4)
	v_add_f32_e32 v88, v20, v88
	v_dual_min_f32 v20, v14, v22 :: v_dual_min_f32 v23, v43, v35
	v_dual_add_f32 v85, v32, v85 :: v_dual_min_f32 v32, v18, v22
	s_delay_alu instid0(VALU_DEP_2) | instskip(SKIP_1) | instid1(VALU_DEP_3)
	v_dual_min_f32 v35, v30, v22 :: v_dual_add_f32 v84, v20, v84
	v_min_f32_e32 v20, v27, v21
	v_dual_add_f32 v91, v23, v33 :: v_dual_add_f32 v82, v32, v82
	v_min_f32_e32 v23, v11, v21
	v_max_f32_e32 v32, v61, v61
	s_delay_alu instid0(VALU_DEP_4) | instskip(NEXT) | instid1(VALU_DEP_3)
	v_dual_add_f32 v78, v20, v78 :: v_dual_min_f32 v33, v15, v21
	v_dual_min_f32 v20, v38, v22 :: v_dual_add_f32 v87, v23, v87
	v_min_f32_e32 v23, v4, v22
	s_delay_alu instid0(VALU_DEP_4) | instskip(SKIP_1) | instid1(VALU_DEP_3)
	v_min_f32_e32 v11, v11, v32
	v_dual_min_f32 v5, v5, v32 :: v_dual_add_f32 v90, v35, v90
	v_add_f32_e32 v86, v23, v86
	v_min_f32_e32 v23, v19, v21
	s_delay_alu instid0(VALU_DEP_3) | instskip(SKIP_2) | instid1(VALU_DEP_4)
	v_dual_add_f32 v72, v11, v9 :: v_dual_add_f32 v67, v5, v3
	v_min_f32_e32 v3, v15, v32
	v_add_f32_e32 v79, v20, v79
	v_add_f32_e32 v81, v23, v81
	v_min_f32_e32 v23, v37, v21
	s_delay_alu instid0(VALU_DEP_4) | instskip(SKIP_1) | instid1(VALU_DEP_3)
	v_add_f32_e32 v66, v3, v13
	v_min_f32_e32 v3, v27, v32
	v_add_f32_e32 v77, v23, v77
	v_max_f32_e32 v23, v60, v60
	v_min_f32_e32 v21, v43, v21
	s_delay_alu instid0(VALU_DEP_4) | instskip(NEXT) | instid1(VALU_DEP_3)
	v_dual_add_f32 v60, v3, v25 :: v_dual_min_f32 v3, v37, v32
	v_min_f32_e32 v20, v30, v23
	v_add_f32_e32 v83, v33, v83
	v_dual_min_f32 v33, v26, v22 :: v_dual_min_f32 v4, v4, v23
	v_min_f32_e32 v5, v18, v23
	v_min_f32_e32 v10, v10, v23
	v_min_f32_e32 v22, v41, v22
	s_delay_alu instid0(VALU_DEP_4)
	v_add_f32_e32 v80, v33, v80
	v_add_f32_e32 v74, v20, v28
	;; [unrolled: 1-line block ×3, first 2 shown]
	v_min_f32_e32 v5, v43, v32
	v_dual_add_f32 v69, v4, v2 :: v_dual_min_f32 v2, v14, v23
	v_min_f32_e32 v4, v19, v32
	v_min_f32_e32 v31, v31, v32
	v_add_f32_e32 v75, v21, v45
	v_add_f32_e32 v73, v10, v8
	;; [unrolled: 1-line block ×3, first 2 shown]
	v_min_f32_e32 v2, v26, v23
	v_add_f32_e32 v64, v4, v17
	v_dual_add_f32 v71, v31, v29 :: v_dual_min_f32 v4, v38, v23
	v_min_f32_e32 v8, v41, v23
	v_add_f32_e32 v76, v22, v44
	v_add_f32_e32 v63, v2, v24
	s_delay_alu instid0(VALU_DEP_4) | instskip(NEXT) | instid1(VALU_DEP_4)
	v_dual_add_f32 v62, v3, v36 :: v_dual_add_f32 v61, v4, v6
	v_dual_add_f32 v58, v5, v40 :: v_dual_add_f32 v59, v8, v7
	s_cbranch_scc1 .LBB45_31
.LBB45_21:                              ; =>This Inner Loop Header: Depth=1
	v_mov_b32_e32 v131, 0
	s_and_b32 vcc_lo, exec_lo, s3
	s_cbranch_vccnz .LBB45_23
; %bb.22:                               ;   in Loop: Header=BB45_21 Depth=1
	flat_load_b32 v0, v[52:53]
	s_waitcnt vmcnt(0) lgkmcnt(0)
	v_mul_f32_e32 v131, s22, v0
.LBB45_23:                              ;   in Loop: Header=BB45_21 Depth=1
	s_and_b32 vcc_lo, exec_lo, s3
	s_cbranch_vccnz .LBB45_25
; %bb.24:                               ;   in Loop: Header=BB45_21 Depth=1
	v_add_co_u32 v0, vcc_lo, v129, v50
	v_add_co_ci_u32_e32 v1, vcc_lo, v130, v51, vcc_lo
	s_clause 0x1
	flat_load_b32 v2, v[0:1]
	flat_load_b32 v0, v[0:1] offset:256
	s_waitcnt vmcnt(0) lgkmcnt(0)
	v_dual_mul_f32 v132, s22, v2 :: v_dual_mul_f32 v133, s22, v0
	s_branch .LBB45_26
.LBB45_25:                              ;   in Loop: Header=BB45_21 Depth=1
	v_dual_mov_b32 v132, 0 :: v_dual_mov_b32 v133, 0
.LBB45_26:                              ;   in Loop: Header=BB45_21 Depth=1
	ds_load_b128 v[40:43], v127
	ds_load_b128 v[36:39], v127 offset:128
	ds_load_b128 v[32:35], v127 offset:256
	;; [unrolled: 1-line block ×7, first 2 shown]
	ds_load_b128 v[44:47], v128
	ds_load_b128 v[8:11], v128 offset:512
	ds_load_b128 v[4:7], v128 offset:1024
	;; [unrolled: 1-line block ×3, first 2 shown]
	s_and_b32 vcc_lo, exec_lo, s3
	ds_store_b32 v123, v131
	ds_store_2addr_stride64_b32 v70, v132, v133 offset1:4
	s_waitcnt lgkmcnt(0)
	s_barrier
	buffer_gl0_inv
	s_cbranch_vccnz .LBB45_28
; %bb.27:                               ;   in Loop: Header=BB45_21 Depth=1
	flat_load_b32 v131, v[52:53] offset:16
	s_waitcnt vmcnt(0) lgkmcnt(0)
	v_mul_f32_e32 v131, s22, v131
	s_branch .LBB45_29
.LBB45_28:                              ;   in Loop: Header=BB45_21 Depth=1
	v_mov_b32_e32 v131, 0
.LBB45_29:                              ;   in Loop: Header=BB45_21 Depth=1
	v_dual_max_f32 v44, v44, v44 :: v_dual_max_f32 v45, v45, v45
	v_dual_max_f32 v158, v40, v40 :: v_dual_max_f32 v159, v41, v41
	;; [unrolled: 1-line block ×6, first 2 shown]
	v_dual_min_f32 v36, v158, v44 :: v_dual_max_f32 v163, v33, v33
	v_dual_max_f32 v162, v32, v32 :: v_dual_max_f32 v165, v29, v29
	v_max_f32_e32 v164, v28, v28
	v_dual_max_f32 v168, v20, v20 :: v_dual_max_f32 v169, v21, v21
	v_dual_min_f32 v16, v166, v44 :: v_dual_max_f32 v173, v13, v13
	v_dual_max_f32 v141, v8, v8 :: v_dual_max_f32 v142, v9, v9
	v_max_f32_e32 v172, v12, v12
	v_dual_min_f32 v154, v170, v156 :: v_dual_max_f32 v1, v1, v1
	v_dual_max_f32 v0, v0, v0 :: v_dual_min_f32 v155, v171, v157
	v_dual_max_f32 v175, v46, v46 :: v_dual_max_f32 v176, v47, v47
	v_dual_max_f32 v214, v30, v30 :: v_dual_max_f32 v215, v31, v31
	v_dual_min_f32 v40, v159, v45 :: v_dual_min_f32 v41, v160, v44
	v_dual_min_f32 v28, v161, v45 :: v_dual_min_f32 v29, v162, v44
	v_min_f32_e32 v37, v165, v45
	v_dual_min_f32 v32, v163, v45 :: v_dual_min_f32 v33, v164, v44
	v_dual_min_f32 v20, v167, v45 :: v_dual_min_f32 v21, v168, v44
	;; [unrolled: 1-line block ×4, first 2 shown]
	v_min_f32_e32 v13, v158, v141
	v_dual_min_f32 v8, v171, v45 :: v_dual_min_f32 v9, v172, v44
	v_dual_min_f32 v44, v160, v141 :: v_dual_min_f32 v45, v161, v142
	;; [unrolled: 1-line block ×6, first 2 shown]
	v_min_f32_e32 v140, v170, v141
	v_dual_min_f32 v4, v171, v142 :: v_dual_min_f32 v5, v172, v141
	v_dual_min_f32 v141, v173, v142 :: v_dual_min_f32 v142, v158, v156
	;; [unrolled: 1-line block ×14, first 2 shown]
	v_dual_min_f32 v171, v171, v1 :: v_dual_max_f32 v208, v42, v42
	v_max_f32_e32 v209, v43, v43
	v_dual_max_f32 v213, v38, v38 :: v_dual_min_f32 v46, v173, v1
	v_dual_min_f32 v43, v172, v0 :: v_dual_max_f32 v0, v39, v39
	v_max_f32_e32 v1, v34, v34
	v_dual_min_f32 v39, v215, v176 :: v_dual_max_f32 v216, v26, v26
	v_dual_max_f32 v219, v23, v23 :: v_dual_max_f32 v220, v18, v18
	v_dual_max_f32 v19, v19, v19 :: v_dual_max_f32 v10, v10, v10
	v_dual_max_f32 v6, v6, v6 :: v_dual_max_f32 v7, v7, v7
	v_dual_min_f32 v156, v172, v156 :: v_dual_min_f32 v157, v173, v157
	v_dual_max_f32 v217, v27, v27 :: v_dual_max_f32 v218, v22, v22
	v_max_f32_e32 v172, v35, v35
	v_dual_min_f32 v18, v216, v175 :: v_dual_max_f32 v221, v14, v14
	v_dual_max_f32 v222, v15, v15 :: v_dual_min_f32 v177, v213, v10
	v_max_f32_e32 v11, v11, v11
	v_dual_min_f32 v206, v219, v7 :: v_dual_max_f32 v223, v2, v2
	s_delay_alu instid0(VALU_DEP_4)
	v_dual_max_f32 v224, v3, v3 :: v_dual_min_f32 v207, v221, v6
	v_dual_min_f32 v38, v208, v175 :: v_dual_min_f32 v47, v209, v176
	v_min_f32_e32 v42, v213, v175
	v_dual_min_f32 v34, v0, v176 :: v_dual_min_f32 v31, v214, v175
	v_min_f32_e32 v173, v217, v176
	v_dual_min_f32 v30, v1, v175 :: v_dual_min_f32 v35, v172, v176
	v_dual_min_f32 v22, v218, v175 :: v_dual_min_f32 v183, v19, v176
	;; [unrolled: 1-line block ×5, first 2 shown]
	v_min_f32_e32 v180, v216, v10
	v_dual_min_f32 v186, v0, v11 :: v_dual_min_f32 v179, v214, v10
	v_dual_min_f32 v178, v1, v10 :: v_dual_min_f32 v187, v172, v11
	;; [unrolled: 1-line block ×12, first 2 shown]
	v_min_f32_e32 v210, v19, v7
	v_dual_min_f32 v211, v222, v7 :: v_dual_min_f32 v212, v209, v224
	v_dual_min_f32 v208, v208, v223 :: v_dual_min_f32 v27, v215, v224
	;; [unrolled: 1-line block ×4, first 2 shown]
	v_min_f32_e32 v15, v19, v224
	v_dual_min_f32 v11, v214, v223 :: v_dual_min_f32 v172, v217, v224
	v_dual_min_f32 v2, v216, v223 :: v_dual_min_f32 v19, v222, v224
	;; [unrolled: 1-line block ×3, first 2 shown]
	v_min_f32_e32 v6, v220, v223
	v_min_f32_e32 v7, v221, v223
	s_and_b32 vcc_lo, exec_lo, s3
	s_cbranch_vccz .LBB45_19
; %bb.30:                               ;   in Loop: Header=BB45_21 Depth=1
	v_dual_mov_b32 v0, 0 :: v_dual_mov_b32 v1, 0
	s_branch .LBB45_20
.LBB45_31:
	s_load_b32 s8, s[0:1], 0x58
	v_add_nc_u32_e32 v48, s16, v55
	ds_load_b128 v[0:3], v57 offset:5120
	ds_load_b128 v[40:43], v56 offset:2048
	v_add_nc_u32_e32 v46, s14, v54
	v_cmp_neq_f32_e64 s9, s15, 0
	v_mov_b32_e32 v52, 0
	v_mov_b32_e32 v50, 0
	s_delay_alu instid0(VALU_DEP_4) | instskip(NEXT) | instid1(VALU_DEP_4)
	v_ashrrev_i32_e32 v47, 31, v46
	s_and_b32 vcc_lo, exec_lo, s9
	s_delay_alu instid0(VALU_DEP_1) | instskip(SKIP_2) | instid1(VALU_DEP_1)
	v_lshlrev_b64 v[44:45], 2, v[46:47]
	s_waitcnt lgkmcnt(0)
	v_mad_i64_i32 v[4:5], null, v48, s8, 0
	v_lshlrev_b64 v[4:5], 2, v[4:5]
	s_delay_alu instid0(VALU_DEP_1) | instskip(NEXT) | instid1(VALU_DEP_1)
	v_add_co_u32 v123, s3, s4, v4
	v_add_co_ci_u32_e64 v124, s3, s5, v5, s3
	s_cbranch_vccz .LBB45_33
; %bb.32:
	s_delay_alu instid0(VALU_DEP_2) | instskip(NEXT) | instid1(VALU_DEP_2)
	v_add_co_u32 v4, vcc_lo, v123, v44
	v_add_co_ci_u32_e32 v5, vcc_lo, v124, v45, vcc_lo
	flat_load_b32 v4, v[4:5]
	s_waitcnt vmcnt(0) lgkmcnt(0)
	v_mul_f32_e32 v50, s15, v4
.LBB45_33:
	ds_load_b128 v[36:39], v57 offset:5248
	ds_load_b128 v[32:35], v57 offset:5376
	;; [unrolled: 1-line block ×4, first 2 shown]
	s_clause 0x1
	s_load_b32 s3, s[0:1], 0x70
	s_load_b64 s[0:1], s[0:1], 0x78
	v_dual_max_f32 v125, v40, v40 :: v_dual_max_f32 v126, v41, v41
	v_max_f32_e32 v47, v0, v0
	v_max_f32_e32 v49, v1, v1
	ds_load_b128 v[20:23], v57 offset:5760
	ds_load_b128 v[16:19], v57 offset:5888
	;; [unrolled: 1-line block ×5, first 2 shown]
	v_min_f32_e32 v0, v47, v125
	s_delay_alu instid0(VALU_DEP_1)
	v_add_f32_e32 v51, v0, v122
	v_max_f32_e32 v122, v42, v42
	v_max_f32_e32 v42, v2, v2
	v_min_f32_e32 v1, v49, v126
	s_waitcnt lgkmcnt(0)
	v_mad_i64_i32 v[40:41], null, v48, s3, 0
	s_delay_alu instid0(VALU_DEP_2)
	v_add_f32_e32 v53, v1, v121
	v_max_f32_e32 v127, v43, v43
	v_max_f32_e32 v43, v3, v3
	v_min_f32_e32 v55, v42, v122
	ds_load_b128 v[0:3], v56 offset:3584
	s_lshl_b64 s[10:11], s[0:1], 2
	v_lshlrev_b64 v[40:41], 2, v[40:41]
	v_min_f32_e32 v54, v43, v127
	v_add_f32_e32 v51, v55, v51
	s_add_u32 s1, s6, s10
	s_addc_u32 s6, s7, s11
	v_cndmask_b32_e64 v55, 0, 1, s9
	v_dual_add_f32 v56, v54, v53 :: v_dual_add_nc_u32 v53, 8, v46
	v_add_co_u32 v121, vcc_lo, s1, v40
	v_add_co_ci_u32_e32 v128, vcc_lo, s6, v41, vcc_lo
	s_delay_alu instid0(VALU_DEP_3) | instskip(NEXT) | instid1(VALU_DEP_4)
	v_add_f32_e32 v51, v51, v56
	v_ashrrev_i32_e32 v54, 31, v53
	v_cmp_ne_u32_e64 s0, 1, v55
	s_delay_alu instid0(VALU_DEP_3) | instskip(SKIP_1) | instid1(VALU_DEP_4)
	v_add_f32_e32 v56, v51, v50
	v_add_co_u32 v50, vcc_lo, v121, v44
	v_lshlrev_b64 v[40:41], 2, v[53:54]
	v_add_co_ci_u32_e32 v51, vcc_lo, v128, v45, vcc_lo
	s_and_not1_b32 vcc_lo, exec_lo, s9
	global_store_b32 v[50:51], v56, off
	s_cbranch_vccnz .LBB45_35
; %bb.34:
	v_add_co_u32 v50, vcc_lo, v123, v40
	v_add_co_ci_u32_e32 v51, vcc_lo, v124, v41, vcc_lo
	flat_load_b32 v50, v[50:51]
	s_waitcnt vmcnt(0) lgkmcnt(0)
	v_mul_f32_e32 v52, s15, v50
.LBB45_35:
	v_dual_max_f32 v51, v37, v37 :: v_dual_max_f32 v50, v36, v36
	v_dual_max_f32 v38, v38, v38 :: v_dual_max_f32 v39, v39, v39
	v_mov_b32_e32 v56, 0
	s_delay_alu instid0(VALU_DEP_3) | instskip(NEXT) | instid1(VALU_DEP_3)
	v_dual_min_f32 v36, v51, v126 :: v_dual_min_f32 v37, v50, v125
	v_dual_min_f32 v53, v38, v122 :: v_dual_min_f32 v54, v39, v127
	s_delay_alu instid0(VALU_DEP_2) | instskip(NEXT) | instid1(VALU_DEP_3)
	v_dual_add_f32 v55, v36, v119 :: v_dual_add_nc_u32 v36, 16, v46
	v_add_f32_e32 v37, v37, v120
	v_add_co_u32 v119, vcc_lo, v121, v40
	s_delay_alu instid0(VALU_DEP_3) | instskip(SKIP_1) | instid1(VALU_DEP_4)
	v_add_f32_e32 v54, v54, v55
	v_add_co_ci_u32_e32 v120, vcc_lo, v128, v41, vcc_lo
	v_add_f32_e32 v53, v53, v37
	v_ashrrev_i32_e32 v37, 31, v36
	s_and_b32 vcc_lo, exec_lo, s0
	s_delay_alu instid0(VALU_DEP_2) | instskip(NEXT) | instid1(VALU_DEP_2)
	v_dual_add_f32 v53, v53, v54 :: v_dual_mov_b32 v54, 0
	v_lshlrev_b64 v[36:37], 2, v[36:37]
	s_delay_alu instid0(VALU_DEP_2)
	v_add_f32_e32 v52, v53, v52
	global_store_b32 v[119:120], v52, off
	s_cbranch_vccnz .LBB45_37
; %bb.36:
	v_add_co_u32 v52, vcc_lo, v123, v36
	v_add_co_ci_u32_e32 v53, vcc_lo, v124, v37, vcc_lo
	flat_load_b32 v52, v[52:53]
	s_waitcnt vmcnt(0) lgkmcnt(0)
	v_mul_f32_e32 v54, s15, v52
.LBB45_37:
	v_dual_max_f32 v53, v33, v33 :: v_dual_max_f32 v52, v32, v32
	v_dual_max_f32 v34, v34, v34 :: v_dual_max_f32 v35, v35, v35
	s_delay_alu instid0(VALU_DEP_2) | instskip(NEXT) | instid1(VALU_DEP_2)
	v_dual_min_f32 v32, v53, v126 :: v_dual_min_f32 v33, v52, v125
	v_min_f32_e32 v55, v34, v122
	s_delay_alu instid0(VALU_DEP_2) | instskip(SKIP_1) | instid1(VALU_DEP_4)
	v_dual_min_f32 v57, v35, v127 :: v_dual_add_f32 v70, v32, v117
	v_add_nc_u32_e32 v32, 24, v46
	v_add_f32_e32 v33, v33, v118
	v_add_co_u32 v117, vcc_lo, v121, v36
	s_delay_alu instid0(VALU_DEP_4) | instskip(SKIP_1) | instid1(VALU_DEP_4)
	v_add_f32_e32 v57, v57, v70
	v_add_co_ci_u32_e32 v118, vcc_lo, v128, v37, vcc_lo
	v_add_f32_e32 v55, v55, v33
	v_ashrrev_i32_e32 v33, 31, v32
	s_and_b32 vcc_lo, exec_lo, s0
	s_delay_alu instid0(VALU_DEP_2) | instskip(NEXT) | instid1(VALU_DEP_2)
	v_add_f32_e32 v55, v55, v57
	v_lshlrev_b64 v[32:33], 2, v[32:33]
	s_delay_alu instid0(VALU_DEP_2)
	v_add_f32_e32 v54, v55, v54
	global_store_b32 v[117:118], v54, off
	s_cbranch_vccnz .LBB45_39
; %bb.38:
	v_add_co_u32 v54, vcc_lo, v123, v32
	v_add_co_ci_u32_e32 v55, vcc_lo, v124, v33, vcc_lo
	flat_load_b32 v54, v[54:55]
	s_waitcnt vmcnt(0) lgkmcnt(0)
	v_mul_f32_e32 v56, s15, v54
.LBB45_39:
	v_dual_max_f32 v55, v29, v29 :: v_dual_max_f32 v54, v28, v28
	v_dual_max_f32 v30, v30, v30 :: v_dual_max_f32 v31, v31, v31
	s_delay_alu instid0(VALU_DEP_2) | instskip(NEXT) | instid1(VALU_DEP_2)
	v_dual_min_f32 v28, v55, v126 :: v_dual_min_f32 v29, v54, v125
	v_dual_min_f32 v57, v30, v122 :: v_dual_min_f32 v70, v31, v127
	s_delay_alu instid0(VALU_DEP_2) | instskip(NEXT) | instid1(VALU_DEP_3)
	v_dual_add_f32 v115, v28, v115 :: v_dual_add_nc_u32 v28, 32, v46
	v_add_f32_e32 v29, v29, v116
	v_add_co_u32 v116, vcc_lo, v121, v32
	s_delay_alu instid0(VALU_DEP_3) | instskip(SKIP_1) | instid1(VALU_DEP_4)
	v_add_f32_e32 v70, v70, v115
	v_add_co_ci_u32_e32 v117, vcc_lo, v128, v33, vcc_lo
	v_add_f32_e32 v57, v57, v29
	v_ashrrev_i32_e32 v29, 31, v28
	s_and_b32 vcc_lo, exec_lo, s0
	s_delay_alu instid0(VALU_DEP_2) | instskip(NEXT) | instid1(VALU_DEP_2)
	v_dual_add_f32 v57, v57, v70 :: v_dual_mov_b32 v70, 0
	v_lshlrev_b64 v[28:29], 2, v[28:29]
	s_delay_alu instid0(VALU_DEP_2)
	v_dual_mov_b32 v115, 0 :: v_dual_add_f32 v56, v57, v56
	global_store_b32 v[116:117], v56, off
	s_cbranch_vccnz .LBB45_41
; %bb.40:
	v_add_co_u32 v56, vcc_lo, v123, v28
	v_add_co_ci_u32_e32 v57, vcc_lo, v124, v29, vcc_lo
	flat_load_b32 v56, v[56:57]
	s_waitcnt vmcnt(0) lgkmcnt(0)
	v_mul_f32_e32 v70, s15, v56
.LBB45_41:
	v_dual_max_f32 v57, v25, v25 :: v_dual_max_f32 v56, v24, v24
	v_dual_max_f32 v26, v26, v26 :: v_dual_max_f32 v27, v27, v27
	s_delay_alu instid0(VALU_DEP_2) | instskip(NEXT) | instid1(VALU_DEP_2)
	v_dual_min_f32 v24, v57, v126 :: v_dual_min_f32 v25, v56, v125
	v_dual_min_f32 v116, v26, v122 :: v_dual_min_f32 v117, v27, v127
	s_delay_alu instid0(VALU_DEP_2) | instskip(NEXT) | instid1(VALU_DEP_1)
	v_dual_add_f32 v113, v24, v113 :: v_dual_add_nc_u32 v24, 40, v46
	v_add_f32_e32 v113, v117, v113
	s_delay_alu instid0(VALU_DEP_4) | instskip(NEXT) | instid1(VALU_DEP_1)
	v_add_f32_e32 v25, v25, v114
	v_add_f32_e32 v114, v116, v25
	s_delay_alu instid0(VALU_DEP_4) | instskip(NEXT) | instid1(VALU_DEP_2)
	v_ashrrev_i32_e32 v25, 31, v24
	v_add_f32_e32 v116, v114, v113
	v_add_co_u32 v113, vcc_lo, v121, v28
	s_delay_alu instid0(VALU_DEP_3) | instskip(SKIP_1) | instid1(VALU_DEP_4)
	v_lshlrev_b64 v[24:25], 2, v[24:25]
	v_add_co_ci_u32_e32 v114, vcc_lo, v128, v29, vcc_lo
	v_add_f32_e32 v70, v116, v70
	s_and_b32 vcc_lo, exec_lo, s0
	global_store_b32 v[113:114], v70, off
	s_cbranch_vccnz .LBB45_43
; %bb.42:
	v_add_co_u32 v113, vcc_lo, v123, v24
	v_add_co_ci_u32_e32 v114, vcc_lo, v124, v25, vcc_lo
	flat_load_b32 v70, v[113:114]
	s_waitcnt vmcnt(0) lgkmcnt(0)
	v_mul_f32_e32 v115, s15, v70
.LBB45_43:
	v_dual_max_f32 v113, v21, v21 :: v_dual_max_f32 v70, v20, v20
	v_dual_max_f32 v22, v22, v22 :: v_dual_max_f32 v23, v23, v23
	s_delay_alu instid0(VALU_DEP_2) | instskip(NEXT) | instid1(VALU_DEP_2)
	v_dual_min_f32 v20, v113, v126 :: v_dual_min_f32 v21, v70, v125
	v_min_f32_e32 v114, v22, v122
	s_delay_alu instid0(VALU_DEP_3) | instskip(NEXT) | instid1(VALU_DEP_3)
	v_min_f32_e32 v116, v23, v127
	v_add_f32_e32 v111, v20, v111
	s_delay_alu instid0(VALU_DEP_4) | instskip(NEXT) | instid1(VALU_DEP_1)
	v_dual_add_f32 v21, v21, v112 :: v_dual_add_nc_u32 v20, 48, v46
	v_dual_add_f32 v111, v116, v111 :: v_dual_add_f32 v112, v114, v21
	s_delay_alu instid0(VALU_DEP_2) | instskip(SKIP_1) | instid1(VALU_DEP_3)
	v_ashrrev_i32_e32 v21, 31, v20
	v_mov_b32_e32 v114, 0
	v_add_f32_e32 v116, v112, v111
	v_add_co_u32 v111, vcc_lo, v121, v24
	s_delay_alu instid0(VALU_DEP_4) | instskip(SKIP_1) | instid1(VALU_DEP_4)
	v_lshlrev_b64 v[20:21], 2, v[20:21]
	v_add_co_ci_u32_e32 v112, vcc_lo, v128, v25, vcc_lo
	v_dual_add_f32 v116, v116, v115 :: v_dual_mov_b32 v115, 0
	s_and_b32 vcc_lo, exec_lo, s0
	global_store_b32 v[111:112], v116, off
	s_cbranch_vccnz .LBB45_45
; %bb.44:
	v_add_co_u32 v111, vcc_lo, v123, v20
	v_add_co_ci_u32_e32 v112, vcc_lo, v124, v21, vcc_lo
	flat_load_b32 v111, v[111:112]
	s_waitcnt vmcnt(0) lgkmcnt(0)
	v_mul_f32_e32 v115, s15, v111
.LBB45_45:
	v_dual_max_f32 v112, v17, v17 :: v_dual_max_f32 v111, v16, v16
	v_dual_max_f32 v18, v18, v18 :: v_dual_max_f32 v19, v19, v19
	s_delay_alu instid0(VALU_DEP_2) | instskip(NEXT) | instid1(VALU_DEP_2)
	v_dual_min_f32 v16, v112, v126 :: v_dual_min_f32 v17, v111, v125
	v_dual_min_f32 v116, v18, v122 :: v_dual_min_f32 v117, v19, v127
	s_delay_alu instid0(VALU_DEP_2) | instskip(NEXT) | instid1(VALU_DEP_3)
	v_dual_add_f32 v109, v16, v109 :: v_dual_add_nc_u32 v16, 56, v46
	v_add_f32_e32 v17, v17, v110
	s_delay_alu instid0(VALU_DEP_2) | instskip(NEXT) | instid1(VALU_DEP_2)
	v_add_f32_e32 v46, v117, v109
	v_add_f32_e32 v109, v116, v17
	s_delay_alu instid0(VALU_DEP_4) | instskip(NEXT) | instid1(VALU_DEP_2)
	v_ashrrev_i32_e32 v17, 31, v16
	v_add_f32_e32 v46, v109, v46
	v_add_co_u32 v109, vcc_lo, v121, v20
	s_delay_alu instid0(VALU_DEP_3) | instskip(SKIP_1) | instid1(VALU_DEP_4)
	v_lshlrev_b64 v[16:17], 2, v[16:17]
	v_add_co_ci_u32_e32 v110, vcc_lo, v128, v21, vcc_lo
	v_add_f32_e32 v46, v46, v115
	s_and_b32 vcc_lo, exec_lo, s0
	global_store_b32 v[109:110], v46, off
	s_cbranch_vccnz .LBB45_47
; %bb.46:
	v_add_co_u32 v109, vcc_lo, v123, v16
	v_add_co_ci_u32_e32 v110, vcc_lo, v124, v17, vcc_lo
	flat_load_b32 v46, v[109:110]
	s_waitcnt vmcnt(0) lgkmcnt(0)
	v_mul_f32_e32 v114, s15, v46
.LBB45_47:
	v_dual_max_f32 v12, v12, v12 :: v_dual_max_f32 v13, v13, v13
	v_dual_max_f32 v14, v14, v14 :: v_dual_add_nc_u32 v115, 32, v48
	s_delay_alu instid0(VALU_DEP_2) | instskip(NEXT) | instid1(VALU_DEP_3)
	v_dual_max_f32 v15, v15, v15 :: v_dual_min_f32 v46, v12, v125
	v_min_f32_e32 v116, v13, v126
	s_delay_alu instid0(VALU_DEP_3) | instskip(NEXT) | instid1(VALU_DEP_4)
	v_min_f32_e32 v117, v14, v122
	v_mad_i64_i32 v[109:110], null, v115, s8, 0
	s_delay_alu instid0(VALU_DEP_4) | instskip(NEXT) | instid1(VALU_DEP_4)
	v_min_f32_e32 v118, v15, v127
	v_add_f32_e32 v116, v116, v107
	v_add_f32_e32 v46, v46, v108
	s_delay_alu instid0(VALU_DEP_4) | instskip(NEXT) | instid1(VALU_DEP_3)
	v_lshlrev_b64 v[107:108], 2, v[109:110]
	v_add_f32_e32 v116, v118, v116
	s_delay_alu instid0(VALU_DEP_3) | instskip(SKIP_2) | instid1(VALU_DEP_3)
	v_add_f32_e32 v46, v117, v46
	v_add_co_u32 v109, vcc_lo, v121, v16
	v_add_co_ci_u32_e32 v110, vcc_lo, v128, v17, vcc_lo
	v_add_f32_e32 v116, v46, v116
	v_add_co_u32 v46, vcc_lo, s4, v107
	v_add_co_ci_u32_e32 v107, vcc_lo, s5, v108, vcc_lo
	s_delay_alu instid0(VALU_DEP_3)
	v_add_f32_e32 v108, v116, v114
	v_mov_b32_e32 v114, 0
	v_mov_b32_e32 v116, 0
	s_and_b32 vcc_lo, exec_lo, s0
	global_store_b32 v[109:110], v108, off
	s_cbranch_vccnz .LBB45_49
; %bb.48:
	v_add_co_u32 v108, vcc_lo, v46, v44
	v_add_co_ci_u32_e32 v109, vcc_lo, v107, v45, vcc_lo
	flat_load_b32 v108, v[108:109]
	s_waitcnt vmcnt(0) lgkmcnt(0)
	v_mul_f32_e32 v116, s15, v108
.LBB45_49:
	v_dual_max_f32 v108, v8, v8 :: v_dual_max_f32 v109, v9, v9
	v_max_f32_e32 v110, v10, v10
	v_mad_i64_i32 v[9:10], null, v115, s3, 0
	s_delay_alu instid0(VALU_DEP_3) | instskip(NEXT) | instid1(VALU_DEP_4)
	v_dual_max_f32 v8, v11, v11 :: v_dual_min_f32 v117, v49, v109
	v_min_f32_e32 v11, v47, v108
	s_delay_alu instid0(VALU_DEP_2) | instskip(NEXT) | instid1(VALU_DEP_3)
	v_dual_min_f32 v115, v42, v110 :: v_dual_min_f32 v118, v43, v8
	v_add_f32_e32 v105, v117, v105
	s_delay_alu instid0(VALU_DEP_3) | instskip(SKIP_1) | instid1(VALU_DEP_3)
	v_add_f32_e32 v11, v11, v106
	v_lshlrev_b64 v[9:10], 2, v[9:10]
	v_add_f32_e32 v105, v118, v105
	s_delay_alu instid0(VALU_DEP_3) | instskip(NEXT) | instid1(VALU_DEP_3)
	v_add_f32_e32 v11, v115, v11
	v_add_co_u32 v9, vcc_lo, s1, v9
	s_delay_alu instid0(VALU_DEP_4) | instskip(NEXT) | instid1(VALU_DEP_3)
	v_add_co_ci_u32_e32 v10, vcc_lo, s6, v10, vcc_lo
	v_add_f32_e32 v11, v11, v105
	s_delay_alu instid0(VALU_DEP_3) | instskip(NEXT) | instid1(VALU_DEP_3)
	v_add_co_u32 v105, vcc_lo, v9, v44
	v_add_co_ci_u32_e32 v106, vcc_lo, v10, v45, vcc_lo
	s_delay_alu instid0(VALU_DEP_3)
	v_add_f32_e32 v11, v11, v116
	s_and_b32 vcc_lo, exec_lo, s0
	global_store_b32 v[105:106], v11, off
	s_cbranch_vccnz .LBB45_51
; %bb.50:
	v_add_co_u32 v105, vcc_lo, v46, v40
	v_add_co_ci_u32_e32 v106, vcc_lo, v107, v41, vcc_lo
	flat_load_b32 v11, v[105:106]
	s_waitcnt vmcnt(0) lgkmcnt(0)
	v_mul_f32_e32 v114, s15, v11
.LBB45_51:
	v_dual_min_f32 v11, v51, v109 :: v_dual_min_f32 v106, v38, v110
	v_min_f32_e32 v105, v50, v108
	v_min_f32_e32 v115, v39, v8
	s_delay_alu instid0(VALU_DEP_3) | instskip(NEXT) | instid1(VALU_DEP_3)
	v_add_f32_e32 v11, v11, v103
	v_add_f32_e32 v103, v105, v104
	v_add_co_u32 v104, vcc_lo, v9, v40
	s_delay_alu instid0(VALU_DEP_3) | instskip(SKIP_1) | instid1(VALU_DEP_4)
	v_add_f32_e32 v11, v115, v11
	v_add_co_ci_u32_e32 v105, vcc_lo, v10, v41, vcc_lo
	v_add_f32_e32 v103, v106, v103
	s_and_b32 vcc_lo, exec_lo, s0
	s_delay_alu instid0(VALU_DEP_1) | instskip(NEXT) | instid1(VALU_DEP_1)
	v_add_f32_e32 v11, v103, v11
	v_dual_mov_b32 v103, 0 :: v_dual_add_f32 v106, v11, v114
	v_mov_b32_e32 v11, 0
	global_store_b32 v[104:105], v106, off
	s_cbranch_vccnz .LBB45_53
; %bb.52:
	v_add_co_u32 v103, vcc_lo, v46, v36
	v_add_co_ci_u32_e32 v104, vcc_lo, v107, v37, vcc_lo
	flat_load_b32 v103, v[103:104]
	s_waitcnt vmcnt(0) lgkmcnt(0)
	v_mul_f32_e32 v103, s15, v103
.LBB45_53:
	v_dual_min_f32 v104, v53, v109 :: v_dual_min_f32 v105, v52, v108
	s_delay_alu instid0(VALU_DEP_1) | instskip(NEXT) | instid1(VALU_DEP_2)
	v_dual_min_f32 v106, v34, v110 :: v_dual_add_f32 v101, v104, v101
	v_add_f32_e32 v102, v105, v102
	s_delay_alu instid0(VALU_DEP_1) | instskip(SKIP_1) | instid1(VALU_DEP_1)
	v_add_f32_e32 v102, v106, v102
	v_min_f32_e32 v114, v35, v8
	v_add_f32_e32 v101, v114, v101
	s_delay_alu instid0(VALU_DEP_1) | instskip(NEXT) | instid1(VALU_DEP_1)
	v_add_f32_e32 v101, v102, v101
	v_add_f32_e32 v103, v101, v103
	v_add_co_u32 v101, vcc_lo, v9, v36
	v_add_co_ci_u32_e32 v102, vcc_lo, v10, v37, vcc_lo
	s_and_b32 vcc_lo, exec_lo, s0
	global_store_b32 v[101:102], v103, off
	s_cbranch_vccnz .LBB45_55
; %bb.54:
	v_add_co_u32 v101, vcc_lo, v46, v32
	v_add_co_ci_u32_e32 v102, vcc_lo, v107, v33, vcc_lo
	flat_load_b32 v11, v[101:102]
	s_waitcnt vmcnt(0) lgkmcnt(0)
	v_mul_f32_e32 v11, s15, v11
.LBB45_55:
	v_dual_min_f32 v101, v55, v109 :: v_dual_min_f32 v102, v54, v108
	v_dual_min_f32 v103, v30, v110 :: v_dual_min_f32 v104, v31, v8
	s_delay_alu instid0(VALU_DEP_2) | instskip(NEXT) | instid1(VALU_DEP_3)
	v_add_f32_e32 v98, v101, v98
	v_add_f32_e32 v100, v102, v100
	s_delay_alu instid0(VALU_DEP_2) | instskip(NEXT) | instid1(VALU_DEP_2)
	v_add_f32_e32 v98, v104, v98
	v_add_f32_e32 v100, v103, v100
	s_delay_alu instid0(VALU_DEP_1) | instskip(SKIP_2) | instid1(VALU_DEP_3)
	v_add_f32_e32 v98, v100, v98
	v_add_co_u32 v100, vcc_lo, v9, v32
	v_add_co_ci_u32_e32 v101, vcc_lo, v10, v33, vcc_lo
	v_dual_add_f32 v102, v98, v11 :: v_dual_mov_b32 v11, 0
	v_mov_b32_e32 v98, 0
	s_and_b32 vcc_lo, exec_lo, s0
	global_store_b32 v[100:101], v102, off
	s_cbranch_vccnz .LBB45_57
; %bb.56:
	v_add_co_u32 v100, vcc_lo, v46, v28
	v_add_co_ci_u32_e32 v101, vcc_lo, v107, v29, vcc_lo
	flat_load_b32 v98, v[100:101]
	s_waitcnt vmcnt(0) lgkmcnt(0)
	v_mul_f32_e32 v98, s15, v98
.LBB45_57:
	v_dual_min_f32 v100, v57, v109 :: v_dual_min_f32 v101, v56, v108
	v_dual_min_f32 v102, v26, v110 :: v_dual_min_f32 v103, v27, v8
	s_delay_alu instid0(VALU_DEP_2) | instskip(NEXT) | instid1(VALU_DEP_3)
	v_add_f32_e32 v97, v100, v97
	v_add_f32_e32 v99, v101, v99
	s_delay_alu instid0(VALU_DEP_2) | instskip(NEXT) | instid1(VALU_DEP_2)
	v_add_f32_e32 v97, v103, v97
	v_add_f32_e32 v99, v102, v99
	s_delay_alu instid0(VALU_DEP_1) | instskip(NEXT) | instid1(VALU_DEP_1)
	v_add_f32_e32 v97, v99, v97
	v_add_f32_e32 v99, v97, v98
	v_add_co_u32 v97, vcc_lo, v9, v28
	v_add_co_ci_u32_e32 v98, vcc_lo, v10, v29, vcc_lo
	s_and_b32 vcc_lo, exec_lo, s0
	global_store_b32 v[97:98], v99, off
	s_cbranch_vccnz .LBB45_59
; %bb.58:
	v_add_co_u32 v97, vcc_lo, v46, v24
	v_add_co_ci_u32_e32 v98, vcc_lo, v107, v25, vcc_lo
	flat_load_b32 v11, v[97:98]
	s_waitcnt vmcnt(0) lgkmcnt(0)
	v_mul_f32_e32 v11, s15, v11
.LBB45_59:
	v_dual_min_f32 v97, v113, v109 :: v_dual_min_f32 v98, v70, v108
	v_dual_min_f32 v99, v22, v110 :: v_dual_min_f32 v100, v23, v8
	s_delay_alu instid0(VALU_DEP_2) | instskip(NEXT) | instid1(VALU_DEP_1)
	v_dual_add_f32 v95, v97, v95 :: v_dual_add_f32 v96, v98, v96
	v_dual_add_f32 v95, v100, v95 :: v_dual_add_f32 v96, v99, v96
	s_delay_alu instid0(VALU_DEP_1) | instskip(SKIP_2) | instid1(VALU_DEP_3)
	v_add_f32_e32 v95, v96, v95
	v_add_co_u32 v96, vcc_lo, v9, v24
	v_add_co_ci_u32_e32 v97, vcc_lo, v10, v25, vcc_lo
	v_dual_add_f32 v98, v95, v11 :: v_dual_mov_b32 v11, 0
	v_mov_b32_e32 v95, 0
	s_and_b32 vcc_lo, exec_lo, s0
	global_store_b32 v[96:97], v98, off
	s_cbranch_vccnz .LBB45_61
; %bb.60:
	v_add_co_u32 v95, vcc_lo, v46, v20
	v_add_co_ci_u32_e32 v96, vcc_lo, v107, v21, vcc_lo
	flat_load_b32 v95, v[95:96]
	s_waitcnt vmcnt(0) lgkmcnt(0)
	v_mul_f32_e32 v95, s15, v95
.LBB45_61:
	v_dual_min_f32 v96, v112, v109 :: v_dual_min_f32 v97, v111, v108
	v_dual_min_f32 v98, v18, v110 :: v_dual_min_f32 v99, v19, v8
	s_delay_alu instid0(VALU_DEP_2) | instskip(NEXT) | instid1(VALU_DEP_1)
	v_dual_add_f32 v93, v96, v93 :: v_dual_add_f32 v94, v97, v94
	v_dual_add_f32 v93, v99, v93 :: v_dual_add_f32 v94, v98, v94
	s_delay_alu instid0(VALU_DEP_1) | instskip(NEXT) | instid1(VALU_DEP_1)
	v_add_f32_e32 v93, v94, v93
	v_add_f32_e32 v95, v93, v95
	v_add_co_u32 v93, vcc_lo, v9, v20
	v_add_co_ci_u32_e32 v94, vcc_lo, v10, v21, vcc_lo
	s_and_b32 vcc_lo, exec_lo, s0
	global_store_b32 v[93:94], v95, off
	s_cbranch_vccnz .LBB45_63
; %bb.62:
	v_add_co_u32 v93, vcc_lo, v46, v16
	v_add_co_ci_u32_e32 v94, vcc_lo, v107, v17, vcc_lo
	flat_load_b32 v11, v[93:94]
	s_waitcnt vmcnt(0) lgkmcnt(0)
	v_mul_f32_e32 v11, s15, v11
.LBB45_63:
	v_dual_min_f32 v46, v12, v108 :: v_dual_min_f32 v95, v14, v110
	v_dual_min_f32 v94, v13, v109 :: v_dual_add_nc_u32 v93, 64, v48
	v_min_f32_e32 v8, v15, v8
	s_delay_alu instid0(VALU_DEP_3) | instskip(NEXT) | instid1(VALU_DEP_3)
	v_add_f32_e32 v46, v46, v92
	v_add_f32_e32 v94, v94, v91
	s_delay_alu instid0(VALU_DEP_4) | instskip(NEXT) | instid1(VALU_DEP_3)
	v_mad_i64_i32 v[91:92], null, v93, s8, 0
	v_add_f32_e32 v46, v95, v46
	s_delay_alu instid0(VALU_DEP_3) | instskip(SKIP_3) | instid1(VALU_DEP_4)
	v_add_f32_e32 v8, v8, v94
	v_add_co_u32 v94, vcc_lo, v9, v16
	v_add_co_ci_u32_e32 v95, vcc_lo, v10, v17, vcc_lo
	v_lshlrev_b64 v[91:92], 2, v[91:92]
	v_add_f32_e32 v8, v46, v8
	s_delay_alu instid0(VALU_DEP_1) | instskip(NEXT) | instid1(VALU_DEP_3)
	v_add_f32_e32 v10, v8, v11
	v_add_co_u32 v8, vcc_lo, s4, v91
	v_mov_b32_e32 v91, 0
	v_add_co_ci_u32_e32 v9, vcc_lo, s5, v92, vcc_lo
	v_mov_b32_e32 v92, 0
	s_and_b32 vcc_lo, exec_lo, s0
	global_store_b32 v[94:95], v10, off
	s_cbranch_vccnz .LBB45_65
; %bb.64:
	v_add_co_u32 v10, vcc_lo, v8, v44
	v_add_co_ci_u32_e32 v11, vcc_lo, v9, v45, vcc_lo
	flat_load_b32 v10, v[10:11]
	s_waitcnt vmcnt(0) lgkmcnt(0)
	v_mul_f32_e32 v92, s15, v10
.LBB45_65:
	v_dual_max_f32 v10, v4, v4 :: v_dual_max_f32 v11, v5, v5
	v_max_f32_e32 v4, v7, v7
	v_max_f32_e32 v46, v6, v6
	v_mad_i64_i32 v[5:6], null, v93, s3, 0
	s_delay_alu instid0(VALU_DEP_4) | instskip(NEXT) | instid1(VALU_DEP_4)
	v_dual_min_f32 v7, v47, v10 :: v_dual_min_f32 v94, v49, v11
	v_min_f32_e32 v95, v43, v4
	s_delay_alu instid0(VALU_DEP_4) | instskip(NEXT) | instid1(VALU_DEP_3)
	v_min_f32_e32 v93, v42, v46
	v_add_f32_e32 v7, v7, v90
	s_delay_alu instid0(VALU_DEP_4) | instskip(SKIP_1) | instid1(VALU_DEP_3)
	v_add_f32_e32 v89, v94, v89
	v_lshlrev_b64 v[5:6], 2, v[5:6]
	v_add_f32_e32 v7, v93, v7
	s_delay_alu instid0(VALU_DEP_3) | instskip(NEXT) | instid1(VALU_DEP_3)
	v_add_f32_e32 v89, v95, v89
	v_add_co_u32 v5, vcc_lo, s1, v5
	s_delay_alu instid0(VALU_DEP_4) | instskip(NEXT) | instid1(VALU_DEP_3)
	v_add_co_ci_u32_e32 v6, vcc_lo, s6, v6, vcc_lo
	v_add_f32_e32 v7, v7, v89
	s_delay_alu instid0(VALU_DEP_3) | instskip(NEXT) | instid1(VALU_DEP_3)
	v_add_co_u32 v89, vcc_lo, v5, v44
	v_add_co_ci_u32_e32 v90, vcc_lo, v6, v45, vcc_lo
	s_delay_alu instid0(VALU_DEP_3)
	v_add_f32_e32 v7, v7, v92
	s_and_b32 vcc_lo, exec_lo, s0
	global_store_b32 v[89:90], v7, off
	s_cbranch_vccnz .LBB45_67
; %bb.66:
	v_add_co_u32 v89, vcc_lo, v8, v40
	v_add_co_ci_u32_e32 v90, vcc_lo, v9, v41, vcc_lo
	flat_load_b32 v7, v[89:90]
	s_waitcnt vmcnt(0) lgkmcnt(0)
	v_mul_f32_e32 v91, s15, v7
.LBB45_67:
	v_dual_min_f32 v7, v51, v11 :: v_dual_min_f32 v90, v38, v46
	v_dual_min_f32 v89, v50, v10 :: v_dual_min_f32 v92, v39, v4
	s_delay_alu instid0(VALU_DEP_2) | instskip(NEXT) | instid1(VALU_DEP_2)
	v_add_f32_e32 v7, v7, v87
	v_add_f32_e32 v87, v89, v88
	v_add_co_u32 v88, vcc_lo, v5, v40
	s_delay_alu instid0(VALU_DEP_3) | instskip(SKIP_1) | instid1(VALU_DEP_4)
	v_add_f32_e32 v7, v92, v7
	v_add_co_ci_u32_e32 v89, vcc_lo, v6, v41, vcc_lo
	v_add_f32_e32 v87, v90, v87
	s_and_b32 vcc_lo, exec_lo, s0
	s_delay_alu instid0(VALU_DEP_1) | instskip(NEXT) | instid1(VALU_DEP_1)
	v_add_f32_e32 v7, v87, v7
	v_dual_mov_b32 v87, 0 :: v_dual_add_f32 v90, v7, v91
	v_mov_b32_e32 v7, 0
	global_store_b32 v[88:89], v90, off
	s_cbranch_vccnz .LBB45_69
; %bb.68:
	v_add_co_u32 v87, vcc_lo, v8, v36
	v_add_co_ci_u32_e32 v88, vcc_lo, v9, v37, vcc_lo
	flat_load_b32 v87, v[87:88]
	s_waitcnt vmcnt(0) lgkmcnt(0)
	v_mul_f32_e32 v87, s15, v87
.LBB45_69:
	v_dual_min_f32 v88, v53, v11 :: v_dual_min_f32 v89, v52, v10
	v_dual_min_f32 v90, v34, v46 :: v_dual_min_f32 v91, v35, v4
	s_delay_alu instid0(VALU_DEP_2) | instskip(NEXT) | instid1(VALU_DEP_1)
	v_dual_add_f32 v85, v88, v85 :: v_dual_add_f32 v86, v89, v86
	v_dual_add_f32 v85, v91, v85 :: v_dual_add_f32 v86, v90, v86
	s_delay_alu instid0(VALU_DEP_1) | instskip(NEXT) | instid1(VALU_DEP_1)
	v_add_f32_e32 v85, v86, v85
	v_add_f32_e32 v87, v85, v87
	v_add_co_u32 v85, vcc_lo, v5, v36
	v_add_co_ci_u32_e32 v86, vcc_lo, v6, v37, vcc_lo
	s_and_b32 vcc_lo, exec_lo, s0
	global_store_b32 v[85:86], v87, off
	s_cbranch_vccnz .LBB45_71
; %bb.70:
	v_add_co_u32 v85, vcc_lo, v8, v32
	v_add_co_ci_u32_e32 v86, vcc_lo, v9, v33, vcc_lo
	flat_load_b32 v7, v[85:86]
	s_waitcnt vmcnt(0) lgkmcnt(0)
	v_mul_f32_e32 v7, s15, v7
.LBB45_71:
	v_dual_min_f32 v85, v55, v11 :: v_dual_min_f32 v86, v54, v10
	v_dual_min_f32 v87, v30, v46 :: v_dual_min_f32 v88, v31, v4
	s_delay_alu instid0(VALU_DEP_2) | instskip(NEXT) | instid1(VALU_DEP_1)
	v_dual_add_f32 v83, v85, v83 :: v_dual_add_f32 v84, v86, v84
	v_dual_add_f32 v83, v88, v83 :: v_dual_add_f32 v84, v87, v84
	s_delay_alu instid0(VALU_DEP_1) | instskip(SKIP_2) | instid1(VALU_DEP_3)
	v_add_f32_e32 v83, v84, v83
	v_add_co_u32 v84, vcc_lo, v5, v32
	v_add_co_ci_u32_e32 v85, vcc_lo, v6, v33, vcc_lo
	v_dual_add_f32 v86, v83, v7 :: v_dual_mov_b32 v7, 0
	v_mov_b32_e32 v83, 0
	s_and_b32 vcc_lo, exec_lo, s0
	global_store_b32 v[84:85], v86, off
	s_cbranch_vccnz .LBB45_73
; %bb.72:
	v_add_co_u32 v83, vcc_lo, v8, v28
	v_add_co_ci_u32_e32 v84, vcc_lo, v9, v29, vcc_lo
	flat_load_b32 v83, v[83:84]
	s_waitcnt vmcnt(0) lgkmcnt(0)
	v_mul_f32_e32 v83, s15, v83
.LBB45_73:
	v_dual_min_f32 v84, v57, v11 :: v_dual_min_f32 v85, v56, v10
	v_dual_min_f32 v86, v26, v46 :: v_dual_min_f32 v87, v27, v4
	s_delay_alu instid0(VALU_DEP_2) | instskip(NEXT) | instid1(VALU_DEP_1)
	v_dual_add_f32 v81, v84, v81 :: v_dual_add_f32 v82, v85, v82
	v_dual_add_f32 v81, v87, v81 :: v_dual_add_f32 v82, v86, v82
	s_delay_alu instid0(VALU_DEP_1) | instskip(NEXT) | instid1(VALU_DEP_1)
	v_add_f32_e32 v81, v82, v81
	v_add_f32_e32 v83, v81, v83
	v_add_co_u32 v81, vcc_lo, v5, v28
	v_add_co_ci_u32_e32 v82, vcc_lo, v6, v29, vcc_lo
	s_and_b32 vcc_lo, exec_lo, s0
	global_store_b32 v[81:82], v83, off
	s_cbranch_vccnz .LBB45_75
; %bb.74:
	v_add_co_u32 v81, vcc_lo, v8, v24
	v_add_co_ci_u32_e32 v82, vcc_lo, v9, v25, vcc_lo
	flat_load_b32 v7, v[81:82]
	s_waitcnt vmcnt(0) lgkmcnt(0)
	v_mul_f32_e32 v7, s15, v7
.LBB45_75:
	v_dual_min_f32 v81, v113, v11 :: v_dual_min_f32 v82, v70, v10
	v_dual_min_f32 v83, v22, v46 :: v_dual_min_f32 v84, v23, v4
	s_delay_alu instid0(VALU_DEP_2) | instskip(NEXT) | instid1(VALU_DEP_3)
	v_add_f32_e32 v78, v81, v78
	v_add_f32_e32 v80, v82, v80
	s_delay_alu instid0(VALU_DEP_2) | instskip(NEXT) | instid1(VALU_DEP_2)
	v_add_f32_e32 v78, v84, v78
	v_add_f32_e32 v80, v83, v80
	s_delay_alu instid0(VALU_DEP_1) | instskip(SKIP_2) | instid1(VALU_DEP_3)
	v_add_f32_e32 v78, v80, v78
	v_add_co_u32 v80, vcc_lo, v5, v24
	v_add_co_ci_u32_e32 v81, vcc_lo, v6, v25, vcc_lo
	v_dual_add_f32 v82, v78, v7 :: v_dual_mov_b32 v7, 0
	v_mov_b32_e32 v78, 0
	s_and_b32 vcc_lo, exec_lo, s0
	global_store_b32 v[80:81], v82, off
	s_cbranch_vccnz .LBB45_77
; %bb.76:
	v_add_co_u32 v80, vcc_lo, v8, v20
	v_add_co_ci_u32_e32 v81, vcc_lo, v9, v21, vcc_lo
	flat_load_b32 v78, v[80:81]
	s_waitcnt vmcnt(0) lgkmcnt(0)
	v_mul_f32_e32 v78, s15, v78
.LBB45_77:
	v_dual_min_f32 v80, v112, v11 :: v_dual_min_f32 v81, v111, v10
	v_dual_min_f32 v82, v18, v46 :: v_dual_min_f32 v83, v19, v4
	s_delay_alu instid0(VALU_DEP_2) | instskip(NEXT) | instid1(VALU_DEP_3)
	v_add_f32_e32 v77, v80, v77
	v_add_f32_e32 v79, v81, v79
	s_delay_alu instid0(VALU_DEP_2) | instskip(NEXT) | instid1(VALU_DEP_2)
	v_add_f32_e32 v77, v83, v77
	v_add_f32_e32 v79, v82, v79
	s_delay_alu instid0(VALU_DEP_1) | instskip(NEXT) | instid1(VALU_DEP_1)
	v_add_f32_e32 v77, v79, v77
	v_add_f32_e32 v79, v77, v78
	v_add_co_u32 v77, vcc_lo, v5, v20
	v_add_co_ci_u32_e32 v78, vcc_lo, v6, v21, vcc_lo
	s_and_b32 vcc_lo, exec_lo, s0
	global_store_b32 v[77:78], v79, off
	s_cbranch_vccnz .LBB45_79
; %bb.78:
	v_add_co_u32 v7, vcc_lo, v8, v16
	v_add_co_ci_u32_e32 v8, vcc_lo, v9, v17, vcc_lo
	flat_load_b32 v7, v[7:8]
	s_waitcnt vmcnt(0) lgkmcnt(0)
	v_mul_f32_e32 v7, s15, v7
.LBB45_79:
	v_dual_min_f32 v8, v12, v10 :: v_dual_add_nc_u32 v9, 0x60, v48
	v_min_f32_e32 v10, v13, v11
	v_min_f32_e32 v46, v14, v46
	;; [unrolled: 1-line block ×3, first 2 shown]
	s_delay_alu instid0(VALU_DEP_4) | instskip(NEXT) | instid1(VALU_DEP_4)
	v_add_f32_e32 v8, v8, v76
	v_add_f32_e32 v48, v10, v75
	v_mad_i64_i32 v[10:11], null, v9, s8, 0
	s_delay_alu instid0(VALU_DEP_3) | instskip(SKIP_1) | instid1(VALU_DEP_4)
	v_add_f32_e32 v8, v46, v8
	v_add_co_u32 v75, vcc_lo, v5, v16
	v_add_f32_e32 v4, v4, v48
	v_add_co_ci_u32_e32 v76, vcc_lo, v6, v17, vcc_lo
	v_lshlrev_b64 v[10:11], 2, v[10:11]
	s_delay_alu instid0(VALU_DEP_3) | instskip(SKIP_1) | instid1(VALU_DEP_2)
	v_add_f32_e32 v4, v8, v4
	v_mov_b32_e32 v8, 0
	v_add_f32_e32 v6, v4, v7
	s_delay_alu instid0(VALU_DEP_4)
	v_add_co_u32 v4, vcc_lo, s4, v10
	v_add_co_ci_u32_e32 v5, vcc_lo, s5, v11, vcc_lo
	v_mov_b32_e32 v10, 0
	s_and_b32 vcc_lo, exec_lo, s0
	global_store_b32 v[75:76], v6, off
	s_cbranch_vccnz .LBB45_81
; %bb.80:
	v_add_co_u32 v6, vcc_lo, v4, v44
	v_add_co_ci_u32_e32 v7, vcc_lo, v5, v45, vcc_lo
	flat_load_b32 v6, v[6:7]
	s_waitcnt vmcnt(0) lgkmcnt(0)
	v_mul_f32_e32 v10, s15, v6
.LBB45_81:
	s_waitcnt lgkmcnt(0)
	v_dual_max_f32 v0, v0, v0 :: v_dual_max_f32 v1, v1, v1
	v_dual_max_f32 v2, v2, v2 :: v_dual_max_f32 v3, v3, v3
	v_mad_i64_i32 v[6:7], null, v9, s3, 0
	s_delay_alu instid0(VALU_DEP_3) | instskip(NEXT) | instid1(VALU_DEP_3)
	v_dual_min_f32 v11, v47, v0 :: v_dual_min_f32 v46, v49, v1
	v_dual_min_f32 v9, v42, v2 :: v_dual_min_f32 v42, v43, v3
	s_delay_alu instid0(VALU_DEP_2) | instskip(NEXT) | instid1(VALU_DEP_3)
	v_add_f32_e32 v43, v46, v71
	v_add_f32_e32 v11, v11, v74
	v_lshlrev_b64 v[6:7], 2, v[6:7]
	s_delay_alu instid0(VALU_DEP_3) | instskip(NEXT) | instid1(VALU_DEP_3)
	v_add_f32_e32 v42, v42, v43
	v_add_f32_e32 v9, v9, v11
	s_delay_alu instid0(VALU_DEP_3) | instskip(NEXT) | instid1(VALU_DEP_4)
	v_add_co_u32 v6, vcc_lo, s1, v6
	v_add_co_ci_u32_e32 v7, vcc_lo, s6, v7, vcc_lo
	s_delay_alu instid0(VALU_DEP_3) | instskip(NEXT) | instid1(VALU_DEP_1)
	v_add_f32_e32 v9, v9, v42
	v_add_f32_e32 v11, v9, v10
	s_delay_alu instid0(VALU_DEP_4) | instskip(NEXT) | instid1(VALU_DEP_4)
	v_add_co_u32 v9, vcc_lo, v6, v44
	v_add_co_ci_u32_e32 v10, vcc_lo, v7, v45, vcc_lo
	s_and_b32 vcc_lo, exec_lo, s0
	global_store_b32 v[9:10], v11, off
	s_cbranch_vccnz .LBB45_83
; %bb.82:
	v_add_co_u32 v8, vcc_lo, v4, v40
	v_add_co_ci_u32_e32 v9, vcc_lo, v5, v41, vcc_lo
	flat_load_b32 v8, v[8:9]
	s_waitcnt vmcnt(0) lgkmcnt(0)
	v_mul_f32_e32 v8, s15, v8
.LBB45_83:
	v_dual_min_f32 v9, v51, v1 :: v_dual_min_f32 v10, v50, v0
	v_dual_min_f32 v11, v38, v2 :: v_dual_min_f32 v38, v39, v3
	s_delay_alu instid0(VALU_DEP_2) | instskip(NEXT) | instid1(VALU_DEP_1)
	v_dual_add_f32 v9, v9, v72 :: v_dual_add_f32 v10, v10, v73
	v_dual_add_f32 v9, v38, v9 :: v_dual_add_f32 v10, v11, v10
	s_delay_alu instid0(VALU_DEP_1) | instskip(SKIP_2) | instid1(VALU_DEP_3)
	v_add_f32_e32 v9, v10, v9
	v_add_co_u32 v10, vcc_lo, v6, v40
	v_add_co_ci_u32_e32 v11, vcc_lo, v7, v41, vcc_lo
	v_dual_add_f32 v38, v9, v8 :: v_dual_mov_b32 v9, 0
	v_mov_b32_e32 v8, 0
	s_and_b32 vcc_lo, exec_lo, s0
	global_store_b32 v[10:11], v38, off
	s_cbranch_vccnz .LBB45_85
; %bb.84:
	v_add_co_u32 v9, vcc_lo, v4, v36
	v_add_co_ci_u32_e32 v10, vcc_lo, v5, v37, vcc_lo
	flat_load_b32 v9, v[9:10]
	s_waitcnt vmcnt(0) lgkmcnt(0)
	v_mul_f32_e32 v9, s15, v9
.LBB45_85:
	v_dual_min_f32 v10, v53, v1 :: v_dual_min_f32 v11, v52, v0
	v_dual_min_f32 v34, v34, v2 :: v_dual_min_f32 v35, v35, v3
	s_delay_alu instid0(VALU_DEP_2) | instskip(NEXT) | instid1(VALU_DEP_1)
	v_dual_add_f32 v10, v10, v67 :: v_dual_add_f32 v11, v11, v69
	v_dual_add_f32 v10, v35, v10 :: v_dual_add_f32 v11, v34, v11
	s_delay_alu instid0(VALU_DEP_1) | instskip(NEXT) | instid1(VALU_DEP_1)
	v_add_f32_e32 v10, v11, v10
	v_add_f32_e32 v11, v10, v9
	v_add_co_u32 v9, vcc_lo, v6, v36
	v_add_co_ci_u32_e32 v10, vcc_lo, v7, v37, vcc_lo
	s_and_b32 vcc_lo, exec_lo, s0
	global_store_b32 v[9:10], v11, off
	s_cbranch_vccnz .LBB45_87
; %bb.86:
	v_add_co_u32 v8, vcc_lo, v4, v32
	v_add_co_ci_u32_e32 v9, vcc_lo, v5, v33, vcc_lo
	flat_load_b32 v8, v[8:9]
	s_waitcnt vmcnt(0) lgkmcnt(0)
	v_mul_f32_e32 v8, s15, v8
.LBB45_87:
	v_dual_min_f32 v9, v55, v1 :: v_dual_min_f32 v10, v54, v0
	v_dual_min_f32 v11, v30, v2 :: v_dual_min_f32 v30, v31, v3
	s_delay_alu instid0(VALU_DEP_2) | instskip(NEXT) | instid1(VALU_DEP_1)
	v_dual_add_f32 v9, v9, v66 :: v_dual_add_f32 v10, v10, v68
	v_dual_add_f32 v9, v30, v9 :: v_dual_add_f32 v10, v11, v10
	s_delay_alu instid0(VALU_DEP_1) | instskip(SKIP_2) | instid1(VALU_DEP_3)
	v_add_f32_e32 v9, v10, v9
	v_add_co_u32 v10, vcc_lo, v6, v32
	v_add_co_ci_u32_e32 v11, vcc_lo, v7, v33, vcc_lo
	v_dual_add_f32 v30, v9, v8 :: v_dual_mov_b32 v9, 0
	v_mov_b32_e32 v8, 0
	s_and_b32 vcc_lo, exec_lo, s0
	global_store_b32 v[10:11], v30, off
	s_cbranch_vccnz .LBB45_89
; %bb.88:
	v_add_co_u32 v9, vcc_lo, v4, v28
	v_add_co_ci_u32_e32 v10, vcc_lo, v5, v29, vcc_lo
	flat_load_b32 v9, v[9:10]
	s_waitcnt vmcnt(0) lgkmcnt(0)
	v_mul_f32_e32 v9, s15, v9
.LBB45_89:
	v_dual_min_f32 v10, v57, v1 :: v_dual_min_f32 v11, v56, v0
	v_dual_min_f32 v26, v26, v2 :: v_dual_min_f32 v27, v27, v3
	s_delay_alu instid0(VALU_DEP_2) | instskip(NEXT) | instid1(VALU_DEP_1)
	v_dual_add_f32 v10, v10, v64 :: v_dual_add_f32 v11, v11, v65
	v_dual_add_f32 v10, v27, v10 :: v_dual_add_f32 v11, v26, v11
	s_delay_alu instid0(VALU_DEP_1) | instskip(NEXT) | instid1(VALU_DEP_1)
	v_add_f32_e32 v10, v11, v10
	v_add_f32_e32 v11, v10, v9
	v_add_co_u32 v9, vcc_lo, v6, v28
	v_add_co_ci_u32_e32 v10, vcc_lo, v7, v29, vcc_lo
	s_and_b32 vcc_lo, exec_lo, s0
	global_store_b32 v[9:10], v11, off
	s_cbranch_vccnz .LBB45_91
; %bb.90:
	v_add_co_u32 v8, vcc_lo, v4, v24
	v_add_co_ci_u32_e32 v9, vcc_lo, v5, v25, vcc_lo
	flat_load_b32 v8, v[8:9]
	s_waitcnt vmcnt(0) lgkmcnt(0)
	v_mul_f32_e32 v8, s15, v8
.LBB45_91:
	v_dual_min_f32 v9, v113, v1 :: v_dual_min_f32 v10, v70, v0
	v_dual_min_f32 v11, v22, v2 :: v_dual_min_f32 v22, v23, v3
	v_dual_min_f32 v23, v112, v1 :: v_dual_min_f32 v18, v18, v2
	s_delay_alu instid0(VALU_DEP_3) | instskip(NEXT) | instid1(VALU_DEP_1)
	v_dual_add_f32 v10, v10, v63 :: v_dual_add_f32 v9, v9, v60
	v_add_f32_e32 v10, v11, v10
	s_delay_alu instid0(VALU_DEP_2) | instskip(NEXT) | instid1(VALU_DEP_4)
	v_dual_min_f32 v26, v111, v0 :: v_dual_add_f32 v9, v22, v9
	v_add_f32_e32 v23, v23, v62
	v_min_f32_e32 v11, v19, v3
	s_delay_alu instid0(VALU_DEP_3) | instskip(NEXT) | instid1(VALU_DEP_4)
	v_add_f32_e32 v19, v26, v61
	v_add_f32_e32 v22, v10, v9
	v_add_co_u32 v9, vcc_lo, v6, v24
	s_delay_alu instid0(VALU_DEP_4) | instskip(NEXT) | instid1(VALU_DEP_4)
	v_add_f32_e32 v11, v11, v23
	v_add_f32_e32 v18, v18, v19
	v_add_co_ci_u32_e32 v10, vcc_lo, v7, v25, vcc_lo
	v_add_f32_e32 v19, v22, v8
	s_mov_b32 vcc_lo, s2
	s_delay_alu instid0(VALU_DEP_3)
	v_add_f32_e32 v8, v18, v11
	global_store_b32 v[9:10], v19, off
	s_cbranch_vccz .LBB45_94
; %bb.92:
	v_add_co_u32 v9, vcc_lo, v6, v20
	v_add_f32_e32 v11, 0, v8
	v_add_co_ci_u32_e32 v10, vcc_lo, v7, v21, vcc_lo
	s_mov_b32 s0, 0
	global_store_b32 v[9:10], v11, off
	s_cbranch_execz .LBB45_95
; %bb.93:
	v_mov_b32_e32 v4, s0
	s_branch .LBB45_96
.LBB45_94:
	s_mov_b32 s0, -1
.LBB45_95:
	v_add_co_u32 v9, vcc_lo, v4, v20
	v_add_co_ci_u32_e32 v10, vcc_lo, v5, v21, vcc_lo
	flat_load_b32 v11, v[9:10]
	v_add_co_u32 v9, vcc_lo, v6, v20
	v_add_co_ci_u32_e32 v10, vcc_lo, v7, v21, vcc_lo
	v_add_co_u32 v4, vcc_lo, v4, v16
	v_add_co_ci_u32_e32 v5, vcc_lo, v5, v17, vcc_lo
	s_waitcnt vmcnt(0) lgkmcnt(0)
	v_fmac_f32_e32 v8, s15, v11
	global_store_b32 v[9:10], v8, off
	flat_load_b32 v4, v[4:5]
	s_waitcnt vmcnt(0) lgkmcnt(0)
	v_mul_f32_e32 v4, s15, v4
.LBB45_96:
	v_dual_min_f32 v1, v13, v1 :: v_dual_min_f32 v0, v12, v0
	v_dual_min_f32 v2, v14, v2 :: v_dual_min_f32 v3, v15, v3
	s_delay_alu instid0(VALU_DEP_2) | instskip(NEXT) | instid1(VALU_DEP_1)
	v_dual_add_f32 v1, v1, v58 :: v_dual_add_f32 v0, v0, v59
	v_dual_add_f32 v1, v3, v1 :: v_dual_add_f32 v0, v2, v0
	s_delay_alu instid0(VALU_DEP_1) | instskip(NEXT) | instid1(VALU_DEP_1)
	v_add_f32_e32 v0, v0, v1
	v_add_f32_e32 v2, v0, v4
	v_add_co_u32 v0, vcc_lo, v6, v16
	v_add_co_ci_u32_e32 v1, vcc_lo, v7, v17, vcc_lo
	global_store_b32 v[0:1], v2, off
	s_nop 0
	s_sendmsg sendmsg(MSG_DEALLOC_VGPRS)
	s_endpgm
	.section	.rodata,"a",@progbits
	.p2align	6, 0x0
	.amdhsa_kernel _ZN12_GLOBAL__N_120geam_min_plus_kernelIf15HIP_vector_typeIfLj2EES2_Li8ELi32ELi64ELi128ELi4ELi4ELi64ELi64ELi4ELc84ELc84ELb0ELb0ELb0EPKfKS4_KPfEEviiiT16_PT17_ilSA_ilS8_SA_ilPT18_ili26rocblas_geam_ex_operation_
		.amdhsa_group_segment_fixed_size 6144
		.amdhsa_private_segment_fixed_size 0
		.amdhsa_kernarg_size 136
		.amdhsa_user_sgpr_count 14
		.amdhsa_user_sgpr_dispatch_ptr 0
		.amdhsa_user_sgpr_queue_ptr 0
		.amdhsa_user_sgpr_kernarg_segment_ptr 1
		.amdhsa_user_sgpr_dispatch_id 0
		.amdhsa_user_sgpr_private_segment_size 0
		.amdhsa_wavefront_size32 1
		.amdhsa_uses_dynamic_stack 0
		.amdhsa_enable_private_segment 0
		.amdhsa_system_sgpr_workgroup_id_x 1
		.amdhsa_system_sgpr_workgroup_id_y 0
		.amdhsa_system_sgpr_workgroup_id_z 1
		.amdhsa_system_sgpr_workgroup_info 0
		.amdhsa_system_vgpr_workitem_id 1
		.amdhsa_next_free_vgpr 225
		.amdhsa_next_free_sgpr 24
		.amdhsa_reserve_vcc 1
		.amdhsa_float_round_mode_32 0
		.amdhsa_float_round_mode_16_64 0
		.amdhsa_float_denorm_mode_32 3
		.amdhsa_float_denorm_mode_16_64 3
		.amdhsa_dx10_clamp 1
		.amdhsa_ieee_mode 1
		.amdhsa_fp16_overflow 0
		.amdhsa_workgroup_processor_mode 1
		.amdhsa_memory_ordered 1
		.amdhsa_forward_progress 0
		.amdhsa_shared_vgpr_count 0
		.amdhsa_exception_fp_ieee_invalid_op 0
		.amdhsa_exception_fp_denorm_src 0
		.amdhsa_exception_fp_ieee_div_zero 0
		.amdhsa_exception_fp_ieee_overflow 0
		.amdhsa_exception_fp_ieee_underflow 0
		.amdhsa_exception_fp_ieee_inexact 0
		.amdhsa_exception_int_div_zero 0
	.end_amdhsa_kernel
	.section	.text._ZN12_GLOBAL__N_120geam_min_plus_kernelIf15HIP_vector_typeIfLj2EES2_Li8ELi32ELi64ELi128ELi4ELi4ELi64ELi64ELi4ELc84ELc84ELb0ELb0ELb0EPKfKS4_KPfEEviiiT16_PT17_ilSA_ilS8_SA_ilPT18_ili26rocblas_geam_ex_operation_,"axG",@progbits,_ZN12_GLOBAL__N_120geam_min_plus_kernelIf15HIP_vector_typeIfLj2EES2_Li8ELi32ELi64ELi128ELi4ELi4ELi64ELi64ELi4ELc84ELc84ELb0ELb0ELb0EPKfKS4_KPfEEviiiT16_PT17_ilSA_ilS8_SA_ilPT18_ili26rocblas_geam_ex_operation_,comdat
.Lfunc_end45:
	.size	_ZN12_GLOBAL__N_120geam_min_plus_kernelIf15HIP_vector_typeIfLj2EES2_Li8ELi32ELi64ELi128ELi4ELi4ELi64ELi64ELi4ELc84ELc84ELb0ELb0ELb0EPKfKS4_KPfEEviiiT16_PT17_ilSA_ilS8_SA_ilPT18_ili26rocblas_geam_ex_operation_, .Lfunc_end45-_ZN12_GLOBAL__N_120geam_min_plus_kernelIf15HIP_vector_typeIfLj2EES2_Li8ELi32ELi64ELi128ELi4ELi4ELi64ELi64ELi4ELc84ELc84ELb0ELb0ELb0EPKfKS4_KPfEEviiiT16_PT17_ilSA_ilS8_SA_ilPT18_ili26rocblas_geam_ex_operation_
                                        ; -- End function
	.section	.AMDGPU.csdata,"",@progbits
; Kernel info:
; codeLenInByte = 10252
; NumSgprs: 26
; NumVgprs: 225
; ScratchSize: 0
; MemoryBound: 0
; FloatMode: 240
; IeeeMode: 1
; LDSByteSize: 6144 bytes/workgroup (compile time only)
; SGPRBlocks: 3
; VGPRBlocks: 28
; NumSGPRsForWavesPerEU: 26
; NumVGPRsForWavesPerEU: 225
; Occupancy: 6
; WaveLimiterHint : 1
; COMPUTE_PGM_RSRC2:SCRATCH_EN: 0
; COMPUTE_PGM_RSRC2:USER_SGPR: 14
; COMPUTE_PGM_RSRC2:TRAP_HANDLER: 0
; COMPUTE_PGM_RSRC2:TGID_X_EN: 1
; COMPUTE_PGM_RSRC2:TGID_Y_EN: 0
; COMPUTE_PGM_RSRC2:TGID_Z_EN: 1
; COMPUTE_PGM_RSRC2:TIDIG_COMP_CNT: 1
	.section	.text._ZN12_GLOBAL__N_120geam_min_plus_kernelIf15HIP_vector_typeIfLj2EES2_Li8ELi32ELi64ELi128ELi4ELi4ELi64ELi64ELi4ELc84ELc84ELb1ELb0ELb0EfKPKfKPfEEviiiT16_PT17_ilSA_ilS8_SA_ilPT18_ili26rocblas_geam_ex_operation_,"axG",@progbits,_ZN12_GLOBAL__N_120geam_min_plus_kernelIf15HIP_vector_typeIfLj2EES2_Li8ELi32ELi64ELi128ELi4ELi4ELi64ELi64ELi4ELc84ELc84ELb1ELb0ELb0EfKPKfKPfEEviiiT16_PT17_ilSA_ilS8_SA_ilPT18_ili26rocblas_geam_ex_operation_,comdat
	.globl	_ZN12_GLOBAL__N_120geam_min_plus_kernelIf15HIP_vector_typeIfLj2EES2_Li8ELi32ELi64ELi128ELi4ELi4ELi64ELi64ELi4ELc84ELc84ELb1ELb0ELb0EfKPKfKPfEEviiiT16_PT17_ilSA_ilS8_SA_ilPT18_ili26rocblas_geam_ex_operation_ ; -- Begin function _ZN12_GLOBAL__N_120geam_min_plus_kernelIf15HIP_vector_typeIfLj2EES2_Li8ELi32ELi64ELi128ELi4ELi4ELi64ELi64ELi4ELc84ELc84ELb1ELb0ELb0EfKPKfKPfEEviiiT16_PT17_ilSA_ilS8_SA_ilPT18_ili26rocblas_geam_ex_operation_
	.p2align	8
	.type	_ZN12_GLOBAL__N_120geam_min_plus_kernelIf15HIP_vector_typeIfLj2EES2_Li8ELi32ELi64ELi128ELi4ELi4ELi64ELi64ELi4ELc84ELc84ELb1ELb0ELb0EfKPKfKPfEEviiiT16_PT17_ilSA_ilS8_SA_ilPT18_ili26rocblas_geam_ex_operation_,@function
_ZN12_GLOBAL__N_120geam_min_plus_kernelIf15HIP_vector_typeIfLj2EES2_Li8ELi32ELi64ELi128ELi4ELi4ELi64ELi64ELi4ELc84ELc84ELb1ELb0ELb0EfKPKfKPfEEviiiT16_PT17_ilSA_ilS8_SA_ilPT18_ili26rocblas_geam_ex_operation_: ; @_ZN12_GLOBAL__N_120geam_min_plus_kernelIf15HIP_vector_typeIfLj2EES2_Li8ELi32ELi64ELi128ELi4ELi4ELi64ELi64ELi4ELc84ELc84ELb1ELb0ELb0EfKPKfKPfEEviiiT16_PT17_ilSA_ilS8_SA_ilPT18_ili26rocblas_geam_ex_operation_
; %bb.0:
	s_clause 0x1
	s_load_b64 s[8:9], s[0:1], 0x8
	s_load_b128 s[4:7], s[0:1], 0x20
	s_mov_b32 s16, s15
	s_mov_b32 s17, 0
	s_waitcnt lgkmcnt(0)
	v_cmp_eq_f32_e64 s2, s9, 0
	s_delay_alu instid0(VALU_DEP_1)
	s_and_b32 vcc_lo, exec_lo, s2
	s_cbranch_vccnz .LBB46_3
; %bb.1:
	s_load_b64 s[10:11], s[0:1], 0x10
	s_lshl_b64 s[12:13], s[16:17], 3
	s_waitcnt lgkmcnt(0)
	s_add_u32 s10, s10, s12
	s_addc_u32 s11, s11, s13
	s_lshl_b64 s[4:5], s[4:5], 2
	s_load_b64 s[10:11], s[10:11], 0x0
	s_waitcnt lgkmcnt(0)
	s_add_u32 s10, s10, s4
	s_addc_u32 s11, s11, s5
	s_and_not1_b32 vcc_lo, exec_lo, s2
	s_cbranch_vccnz .LBB46_4
.LBB46_2:
	s_mov_b64 s[12:13], 0
	s_and_not1_b32 vcc_lo, exec_lo, s17
	s_cbranch_vccz .LBB46_5
	s_branch .LBB46_6
.LBB46_3:
	s_mov_b64 s[10:11], 0
	s_and_not1_b32 vcc_lo, exec_lo, s2
	s_cbranch_vccz .LBB46_2
.LBB46_4:
	s_mov_b32 s17, -1
                                        ; implicit-def: $sgpr12_sgpr13
.LBB46_5:
	s_mov_b32 s17, 0
	s_load_b64 s[4:5], s[0:1], 0x38
	s_lshl_b64 s[2:3], s[16:17], 3
	s_delay_alu instid0(SALU_CYCLE_1) | instskip(SKIP_4) | instid1(SALU_CYCLE_1)
	s_add_u32 s2, s6, s2
	s_addc_u32 s3, s7, s3
	s_load_b64 s[2:3], s[2:3], 0x0
	s_waitcnt lgkmcnt(0)
	s_lshl_b64 s[4:5], s[4:5], 2
	s_add_u32 s12, s2, s4
	s_addc_u32 s13, s3, s5
.LBB46_6:
	s_clause 0x1
	s_load_b32 s15, s[0:1], 0x40
	s_load_b128 s[4:7], s[0:1], 0x58
	s_waitcnt lgkmcnt(0)
	v_cmp_eq_f32_e64 s2, s15, 0
	s_delay_alu instid0(VALU_DEP_1) | instskip(NEXT) | instid1(SALU_CYCLE_1)
	s_and_b32 s2, exec_lo, s2
	s_mov_b32 vcc_lo, s2
	s_cbranch_vccnz .LBB46_8
; %bb.7:
	s_load_b64 s[18:19], s[0:1], 0x48
	s_lshl_b64 s[20:21], s[16:17], 3
	s_waitcnt lgkmcnt(0)
	s_add_u32 s18, s18, s20
	s_addc_u32 s19, s19, s21
	s_lshl_b64 s[4:5], s[4:5], 2
	s_load_b64 s[18:19], s[18:19], 0x0
	s_waitcnt lgkmcnt(0)
	s_add_u32 s4, s18, s4
	s_addc_u32 s5, s19, s5
	s_branch .LBB46_9
.LBB46_8:
	s_mov_b64 s[4:5], 0
.LBB46_9:
	s_load_b32 s3, s[0:1], 0x0
	s_lshl_b64 s[18:19], s[16:17], 3
	v_and_b32_e32 v64, 0x3ff, v0
	s_add_u32 s6, s6, s18
	s_addc_u32 s7, s7, s19
	v_bfe_u32 v65, v0, 10, 10
	s_clause 0x1
	s_load_b32 s9, s[0:1], 0x18
	s_load_b32 s16, s[0:1], 0x30
	v_lshlrev_b32_e32 v70, 4, v64
	v_lshl_add_u32 v2, v65, 3, v64
	v_lshlrev_b32_e32 v68, 4, v65
	s_delay_alu instid0(VALU_DEP_2) | instskip(SKIP_2) | instid1(VALU_DEP_3)
	v_lshrrev_b32_e32 v4, 6, v2
	v_lshrrev_b32_e32 v10, 2, v2
	v_and_b32_e32 v11, 63, v2
	v_lshlrev_b32_e32 v15, 2, v4
	s_waitcnt lgkmcnt(0)
	s_add_i32 s3, s3, -1
	s_delay_alu instid0(SALU_CYCLE_1) | instskip(NEXT) | instid1(SALU_CYCLE_1)
	s_ashr_i32 s17, s3, 31
	s_lshr_b32 s17, s17, 26
	v_lshl_add_u32 v80, v11, 4, v15
	s_add_i32 s3, s3, s17
	s_delay_alu instid0(SALU_CYCLE_1) | instskip(NEXT) | instid1(SALU_CYCLE_1)
	s_ashr_i32 s3, s3, 6
	s_add_i32 s17, s3, 1
	s_not_b32 s3, s3
	v_cvt_f32_u32_e32 v1, s17
	s_delay_alu instid0(VALU_DEP_1) | instskip(SKIP_2) | instid1(VALU_DEP_1)
	v_rcp_iflag_f32_e32 v1, v1
	s_waitcnt_depctr 0xfff
	v_mul_f32_e32 v1, 0x4f7ffffe, v1
	v_cvt_u32_f32_e32 v1, v1
	s_delay_alu instid0(VALU_DEP_1) | instskip(SKIP_1) | instid1(VALU_DEP_2)
	v_readfirstlane_b32 s18, v1
	v_mad_i64_i32 v[0:1], null, s16, v4, 0
	s_mul_i32 s3, s3, s18
	s_delay_alu instid0(SALU_CYCLE_1) | instskip(NEXT) | instid1(SALU_CYCLE_1)
	s_mul_hi_u32 s3, s18, s3
	s_add_i32 s18, s18, s3
	s_delay_alu instid0(VALU_DEP_1) | instskip(SKIP_1) | instid1(SALU_CYCLE_1)
	v_lshlrev_b64 v[8:9], 2, v[0:1]
	s_mul_hi_u32 s3, s14, s18
	s_mul_i32 s18, s3, s17
	s_add_i32 s19, s3, 1
	s_sub_i32 s18, s14, s18
	s_delay_alu instid0(VALU_DEP_1)
	v_add_co_u32 v8, vcc_lo, s12, v8
	s_sub_i32 s20, s18, s17
	s_cmp_ge_u32 s18, s17
	v_add_co_ci_u32_e32 v9, vcc_lo, s13, v9, vcc_lo
	s_cselect_b32 s3, s19, s3
	s_cselect_b32 s18, s20, s18
	s_add_i32 s19, s3, 1
	s_cmp_ge_u32 s18, s17
	s_cselect_b32 s18, s19, s3
	s_delay_alu instid0(SALU_CYCLE_1) | instskip(NEXT) | instid1(SALU_CYCLE_1)
	s_mul_i32 s3, s18, s17
	s_sub_i32 s3, s14, s3
	s_lshl_b32 s14, s18, 7
	s_lshl_b32 s3, s3, 6
	v_or_b32_e32 v6, s14, v11
	v_add_nc_u32_e32 v5, s3, v10
	s_cmp_lt_i32 s8, 9
	s_delay_alu instid0(VALU_DEP_2) | instskip(NEXT) | instid1(VALU_DEP_2)
	v_ashrrev_i32_e32 v7, 31, v6
	v_mad_i64_i32 v[2:3], null, v5, s9, 0
	v_and_b32_e32 v5, 3, v64
	s_delay_alu instid0(VALU_DEP_1) | instskip(NEXT) | instid1(VALU_DEP_3)
	v_lshlrev_b32_e32 v5, 2, v5
	v_lshlrev_b64 v[0:1], 2, v[2:3]
	v_lshlrev_b64 v[2:3], 2, v[6:7]
	s_delay_alu instid0(VALU_DEP_2) | instskip(NEXT) | instid1(VALU_DEP_3)
	v_add_co_u32 v12, vcc_lo, s10, v0
	v_add_co_ci_u32_e32 v13, vcc_lo, s11, v1, vcc_lo
	s_delay_alu instid0(VALU_DEP_3) | instskip(NEXT) | instid1(VALU_DEP_4)
	v_add_co_u32 v6, vcc_lo, v8, v2
	v_add_co_ci_u32_e32 v7, vcc_lo, v9, v3, vcc_lo
	s_delay_alu instid0(VALU_DEP_4) | instskip(NEXT) | instid1(VALU_DEP_4)
	v_add_co_u32 v8, vcc_lo, v12, v5
	v_add_co_ci_u32_e32 v9, vcc_lo, 0, v13, vcc_lo
	s_clause 0x1
	flat_load_b32 v12, v[6:7]
	flat_load_b32 v13, v[6:7] offset:256
	s_clause 0x1
	flat_load_b32 v14, v[8:9]
	flat_load_b32 v57, v[8:9] offset:16
	v_add_nc_u32_e32 v8, 4, v4
	s_load_b64 s[6:7], s[6:7], 0x0
	s_delay_alu instid0(VALU_DEP_1) | instskip(NEXT) | instid1(VALU_DEP_1)
	v_mad_i64_i32 v[6:7], null, s16, v8, 0
	v_lshlrev_b64 v[6:7], 2, v[6:7]
	s_delay_alu instid0(VALU_DEP_1) | instskip(NEXT) | instid1(VALU_DEP_2)
	v_add_co_u32 v6, vcc_lo, s12, v6
	v_add_co_ci_u32_e32 v7, vcc_lo, s13, v7, vcc_lo
	s_delay_alu instid0(VALU_DEP_2) | instskip(NEXT) | instid1(VALU_DEP_2)
	v_add_co_u32 v8, vcc_lo, v6, v2
	v_add_co_ci_u32_e32 v9, vcc_lo, v7, v3, vcc_lo
	s_clause 0x1
	flat_load_b32 v7, v[8:9]
	flat_load_b32 v8, v[8:9] offset:256
	v_lshl_or_b32 v6, v10, 4, v5
	s_waitcnt vmcnt(4) lgkmcnt(0)
	ds_store_2addr_stride64_b32 v80, v12, v13 offset1:4
	s_waitcnt vmcnt(3)
	ds_store_b32 v6, v14 offset:4096
	s_waitcnt vmcnt(0) lgkmcnt(0)
	s_barrier
	buffer_gl0_inv
	ds_load_b128 v[9:12], v68
	ds_load_b128 v[13:16], v70 offset:4096
	ds_load_b128 v[17:20], v70 offset:4224
	;; [unrolled: 1-line block ×11, first 2 shown]
	ds_store_b32 v6, v57 offset:5120
	s_waitcnt lgkmcnt(11)
	v_dual_max_f32 v9, v9, v9 :: v_dual_max_f32 v14, v14, v14
	v_dual_max_f32 v13, v13, v13 :: v_dual_max_f32 v10, v10, v10
	s_waitcnt lgkmcnt(9)
	v_dual_max_f32 v17, v17, v17 :: v_dual_max_f32 v22, v22, v22
	v_dual_max_f32 v18, v18, v18 :: v_dual_max_f32 v21, v21, v21
	s_waitcnt lgkmcnt(8)
	v_dual_max_f32 v26, v26, v26 :: v_dual_max_f32 v25, v25, v25
	s_waitcnt lgkmcnt(7)
	;; [unrolled: 2-line block ×8, first 2 shown]
	v_dual_max_f32 v54, v54, v54 :: v_dual_max_f32 v53, v53, v53
	v_dual_max_f32 v20, v20, v20 :: v_dual_max_f32 v11, v11, v11
	;; [unrolled: 1-line block ×3, first 2 shown]
	v_max_f32_e32 v12, v12, v12
	v_dual_max_f32 v16, v16, v16 :: v_dual_max_f32 v19, v19, v19
	v_dual_max_f32 v28, v28, v28 :: v_dual_max_f32 v23, v23, v23
	;; [unrolled: 1-line block ×9, first 2 shown]
	v_dual_min_f32 v58, v14, v10 :: v_dual_max_f32 v55, v55, v55
	v_dual_min_f32 v60, v18, v10 :: v_dual_min_f32 v57, v13, v9
	v_dual_min_f32 v62, v22, v10 :: v_dual_min_f32 v59, v17, v9
	;; [unrolled: 1-line block ×14, first 2 shown]
	v_min_f32_e32 v84, v37, v45
	v_dual_min_f32 v45, v41, v45 :: v_dual_min_f32 v102, v38, v50
	v_min_f32_e32 v85, v13, v49
	v_dual_min_f32 v86, v17, v49 :: v_dual_min_f32 v93, v30, v46
	v_dual_min_f32 v87, v21, v49 :: v_dual_min_f32 v14, v14, v54
	;; [unrolled: 1-line block ×3, first 2 shown]
	v_min_f32_e32 v89, v29, v49
	v_dual_min_f32 v90, v33, v49 :: v_dual_min_f32 v97, v18, v50
	v_min_f32_e32 v91, v37, v49
	v_min_f32_e32 v49, v41, v49
	v_dual_min_f32 v13, v13, v53 :: v_dual_min_f32 v30, v30, v54
	v_min_f32_e32 v17, v17, v53
	v_dual_min_f32 v21, v21, v53 :: v_dual_min_f32 v38, v38, v54
	v_min_f32_e32 v25, v25, v53
	v_min_f32_e32 v29, v29, v53
	v_dual_min_f32 v33, v33, v53 :: v_dual_min_f32 v104, v23, v11
	v_dual_min_f32 v37, v37, v53 :: v_dual_min_f32 v106, v31, v11
	;; [unrolled: 1-line block ×3, first 2 shown]
	v_min_f32_e32 v53, v22, v46
	v_min_f32_e32 v46, v42, v46
	v_dual_min_f32 v99, v26, v50 :: v_dual_min_f32 v120, v19, v47
	v_dual_min_f32 v101, v34, v50 :: v_dual_min_f32 v122, v27, v47
	v_min_f32_e32 v50, v42, v50
	v_min_f32_e32 v18, v18, v54
	;; [unrolled: 1-line block ×7, first 2 shown]
	v_dual_min_f32 v103, v19, v11 :: v_dual_min_f32 v110, v24, v12
	v_dual_min_f32 v105, v27, v11 :: v_dual_min_f32 v112, v32, v12
	v_min_f32_e32 v107, v35, v11
	v_dual_min_f32 v11, v43, v11 :: v_dual_min_f32 v140, v16, v48
	v_dual_min_f32 v119, v15, v47 :: v_dual_min_f32 v142, v24, v48
	;; [unrolled: 1-line block ×4, first 2 shown]
	v_min_f32_e32 v124, v35, v47
	v_min_f32_e32 v127, v39, v47
	v_dual_min_f32 v47, v43, v47 :: v_dual_min_f32 v148, v20, v52
	v_dual_min_f32 v128, v15, v51 :: v_dual_min_f32 v109, v20, v12
	;; [unrolled: 1-line block ×6, first 2 shown]
	v_min_f32_e32 v137, v35, v51
	v_dual_min_f32 v138, v39, v51 :: v_dual_min_f32 v139, v40, v12
	v_min_f32_e32 v51, v43, v51
	v_min_f32_e32 v15, v15, v55
	;; [unrolled: 1-line block ×16, first 2 shown]
	v_dual_min_f32 v149, v24, v52 :: v_dual_add_f32 v10, 0, v10
	v_min_f32_e32 v151, v32, v52
	v_min_f32_e32 v153, v40, v52
	;; [unrolled: 1-line block ×11, first 2 shown]
	v_dual_add_f32 v56, 0, v58 :: v_dual_add_f32 v57, 0, v57
	v_dual_add_f32 v58, 0, v60 :: v_dual_add_f32 v59, 0, v59
	;; [unrolled: 1-line block ×3, first 2 shown]
	v_add_f32_e32 v82, 0, v82
	v_dual_add_f32 v62, 0, v66 :: v_dual_add_f32 v63, 0, v63
	v_dual_add_f32 v66, 0, v69 :: v_dual_add_f32 v67, 0, v67
	v_add_f32_e32 v84, 0, v84
	v_add_f32_e32 v69, 0, v72
	v_dual_add_f32 v71, 0, v71 :: v_dual_add_f32 v46, 0, v46
	v_dual_add_f32 v72, 0, v74 :: v_dual_add_f32 v73, 0, v73
	;; [unrolled: 1-line block ×3, first 2 shown]
	v_add_f32_e32 v86, 0, v86
	v_dual_add_f32 v74, 0, v76 :: v_dual_add_f32 v75, 0, v75
	v_add_f32_e32 v156, 0, v98
	v_dual_add_f32 v76, 0, v78 :: v_dual_add_f32 v77, 0, v77
	v_dual_add_f32 v158, 0, v99 :: v_dual_add_f32 v53, 0, v53
	v_add_f32_e32 v160, 0, v100
	v_dual_add_f32 v78, 0, v79 :: v_dual_add_f32 v79, 0, v92
	v_add_f32_e32 v162, 0, v101
	v_dual_add_f32 v81, 0, v81 :: v_dual_add_f32 v164, 0, v102
	v_dual_add_f32 v92, 0, v93 :: v_dual_add_f32 v93, 0, v94
	;; [unrolled: 1-line block ×3, first 2 shown]
	v_add_f32_e32 v50, 0, v50
	v_dual_add_f32 v94, 0, v95 :: v_dual_add_f32 v45, 0, v45
	v_dual_add_f32 v14, 0, v14 :: v_dual_add_f32 v85, 0, v85
	;; [unrolled: 1-line block ×6, first 2 shown]
	v_add_f32_e32 v34, 0, v34
	v_dual_add_f32 v163, 0, v90 :: v_dual_add_f32 v130, v103, v59
	v_dual_add_f32 v165, 0, v91 :: v_dual_add_f32 v38, 0, v38
	;; [unrolled: 1-line block ×6, first 2 shown]
	v_add_f32_e32 v25, 0, v25
	v_add_f32_e32 v29, 0, v29
	v_dual_add_f32 v33, 0, v33 :: v_dual_add_f32 v100, v123, v82
	v_dual_add_f32 v37, 0, v37 :: v_dual_add_f32 v98, v124, v83
	;; [unrolled: 1-line block ×4, first 2 shown]
	v_add_f32_e32 v129, v109, v58
	v_dual_add_f32 v125, v110, v60 :: v_dual_add_f32 v110, v11, v9
	v_dual_add_f32 v117, v111, v62 :: v_dual_add_f32 v106, v120, v77
	;; [unrolled: 1-line block ×3, first 2 shown]
	v_add_f32_e32 v113, v113, v69
	v_dual_add_f32 v111, v139, v72 :: v_dual_add_f32 v112, v108, v73
	v_add_f32_e32 v109, v12, v10
	v_dual_add_f32 v107, v140, v74 :: v_dual_add_f32 v88, v134, v157
	v_dual_add_f32 v108, v119, v75 :: v_dual_add_f32 v105, v141, v76
	v_add_f32_e32 v84, v136, v161
	v_dual_add_f32 v103, v142, v53 :: v_dual_add_f32 v90, v133, v86
	v_dual_add_f32 v104, v121, v78 :: v_dual_add_f32 v101, v143, v79
	v_add_f32_e32 v78, v153, v164
	v_dual_add_f32 v99, v144, v92 :: v_dual_add_f32 v82, v137, v163
	v_dual_add_f32 v97, v145, v93 :: v_dual_add_f32 v76, v52, v50
	v_dual_add_f32 v95, v146, v94 :: v_dual_add_f32 v58, v39, v37
	;; [unrolled: 1-line block ×4, first 2 shown]
	v_add_f32_e32 v89, v148, v155
	v_dual_add_f32 v87, v149, v156 :: v_dual_add_f32 v74, v16, v14
	v_dual_add_f32 v85, v150, v158 :: v_dual_add_f32 v86, v135, v159
	v_dual_add_f32 v83, v151, v160 :: v_dual_add_f32 v72, v20, v18
	v_add_f32_e32 v81, v152, v162
	v_dual_add_f32 v79, v138, v165 :: v_dual_add_f32 v66, v28, v26
	v_dual_add_f32 v77, v51, v49 :: v_dual_add_f32 v62, v32, v30
	;; [unrolled: 1-line block ×4, first 2 shown]
	v_add_f32_e32 v69, v24, v22
	v_add_f32_e32 v71, v23, v21
	;; [unrolled: 1-line block ×7, first 2 shown]
	ds_store_2addr_stride64_b32 v80, v7, v8 offset0:8 offset1:12
	s_waitcnt lgkmcnt(0)
	s_barrier
	buffer_gl0_inv
	s_cbranch_scc1 .LBB46_12
; %bb.10:
	v_add_co_u32 v127, vcc_lo, s12, v2
	v_add_nc_u32_e32 v8, 12, v4
	v_add_nc_u32_e32 v4, 8, v4
	v_add_co_ci_u32_e32 v128, vcc_lo, s13, v3, vcc_lo
	v_add_co_u32 v0, vcc_lo, v0, v5
	v_add_co_ci_u32_e32 v1, vcc_lo, 0, v1, vcc_lo
	v_add_nc_u32_e32 v119, 0x1000, v6
	v_add_nc_u32_e32 v121, 0x1400, v6
	v_mad_i64_i32 v[6:7], null, v8, s16, 0
	v_mad_i64_i32 v[2:3], null, v4, s16, 0
	v_add_co_u32 v0, vcc_lo, v0, s10
	v_add_co_ci_u32_e32 v1, vcc_lo, s11, v1, vcc_lo
	s_delay_alu instid0(VALU_DEP_4) | instskip(NEXT) | instid1(VALU_DEP_3)
	v_lshlrev_b64 v[48:49], 2, v[6:7]
	v_add_co_u32 v52, vcc_lo, v0, 32
	v_lshlrev_b64 v[50:51], 2, v[2:3]
	v_add_nc_u32_e32 v120, 0x1000, v70
	v_or_b32_e32 v122, 0x800, v80
	v_lshl_add_u32 v123, v64, 4, 0x1400
	v_lshl_add_u32 v124, v65, 4, 0x800
	v_add_co_ci_u32_e32 v53, vcc_lo, 0, v1, vcc_lo
	s_ashr_i32 s17, s16, 31
	s_add_i32 s10, s8, -8
	s_lshl_b64 s[8:9], s[16:17], 5
	s_mov_b32 s11, 0
.LBB46_11:                              ; =>This Inner Loop Header: Depth=1
	v_add_co_u32 v54, vcc_lo, v127, v50
	v_add_co_ci_u32_e32 v55, vcc_lo, v128, v51, vcc_lo
	ds_load_b128 v[44:47], v124
	ds_load_b128 v[40:43], v123
	ds_load_b128 v[36:39], v123 offset:128
	ds_load_b128 v[32:35], v123 offset:256
	;; [unrolled: 1-line block ×10, first 2 shown]
	flat_load_b32 v133, v[52:53]
	s_clause 0x1
	flat_load_b32 v134, v[54:55]
	flat_load_b32 v54, v[54:55] offset:256
	s_add_i32 s11, s11, 8
	s_waitcnt vmcnt(2) lgkmcnt(2)
	ds_store_b32 v119, v133
	s_waitcnt vmcnt(0) lgkmcnt(1)
	ds_store_2addr_stride64_b32 v80, v134, v54 offset1:4
	v_dual_max_f32 v44, v44, v44 :: v_dual_max_f32 v55, v45, v45
	v_dual_max_f32 v32, v32, v32 :: v_dual_max_f32 v161, v39, v39
	;; [unrolled: 1-line block ×12, first 2 shown]
	v_max_f32_e32 v42, v25, v25
	v_dual_max_f32 v38, v21, v21 :: v_dual_max_f32 v169, v22, v22
	v_dual_max_f32 v4, v4, v4 :: v_dual_max_f32 v171, v6, v6
	;; [unrolled: 1-line block ×7, first 2 shown]
	v_dual_min_f32 v149, v36, v44 :: v_dual_max_f32 v6, v9, v9
	v_min_f32_e32 v147, v32, v44
	v_max_f32_e32 v12, v12, v12
	v_dual_max_f32 v18, v18, v18 :: v_dual_min_f32 v141, v20, v44
	v_max_f32_e32 v8, v8, v8
	v_dual_max_f32 v218, v23, v23 :: v_dual_min_f32 v223, v40, v44
	v_dual_max_f32 v2, v2, v2 :: v_dual_min_f32 v145, v28, v44
	;; [unrolled: 1-line block ×5, first 2 shown]
	v_dual_min_f32 v135, v40, v5 :: v_dual_min_f32 v210, v138, v55
	v_dual_min_f32 v47, v36, v5 :: v_dual_min_f32 v206, v142, v55
	;; [unrolled: 1-line block ×14, first 2 shown]
	v_min_f32_e32 v168, v34, v22
	v_dual_min_f32 v164, v136, v6 :: v_dual_min_f32 v191, v217, v173
	v_min_f32_e32 v162, v138, v6
	v_dual_min_f32 v160, v140, v6 :: v_dual_min_f32 v189, v218, v173
	v_min_f32_e32 v158, v142, v6
	v_min_f32_e32 v151, v1, v6
	v_dual_min_f32 v33, v40, v12 :: v_dual_min_f32 v178, v138, v22
	v_dual_min_f32 v29, v32, v12 :: v_dual_min_f32 v172, v42, v22
	;; [unrolled: 1-line block ×3, first 2 shown]
	v_min_f32_e32 v25, v24, v12
	v_min_f32_e32 v21, v4, v12
	v_dual_min_f32 v19, v0, v12 :: v_dual_min_f32 v140, v169, v46
	v_min_f32_e32 v193, v216, v173
	v_min_f32_e32 v55, v155, v18
	v_dual_min_f32 v13, v32, v8 :: v_dual_min_f32 v152, v34, v6
	v_dual_min_f32 v11, v28, v8 :: v_dual_min_f32 v150, v155, v46
	;; [unrolled: 1-line block ×5, first 2 shown]
	v_dual_min_f32 v3, v0, v8 :: v_dual_add_f32 v114, v141, v114
	v_add_f32_e32 v99, v188, v99
	v_add_co_u32 v0, vcc_lo, v127, v48
	v_dual_min_f32 v31, v36, v12 :: v_dual_min_f32 v174, v142, v22
	v_dual_min_f32 v23, v20, v12 :: v_dual_min_f32 v166, v1, v22
	;; [unrolled: 1-line block ×8, first 2 shown]
	v_min_f32_e32 v142, v167, v46
	v_dual_min_f32 v138, v171, v46 :: v_dual_min_f32 v185, v220, v173
	v_dual_min_f32 v136, v2, v46 :: v_dual_min_f32 v187, v219, v173
	;; [unrolled: 1-line block ×7, first 2 shown]
	v_min_f32_e32 v36, v171, v18
	v_min_f32_e32 v34, v2, v18
	;; [unrolled: 1-line block ×3, first 2 shown]
	v_dual_min_f32 v30, v159, v14 :: v_dual_add_f32 v131, v212, v131
	v_dual_min_f32 v28, v163, v14 :: v_dual_add_f32 v129, v210, v129
	;; [unrolled: 1-line block ×7, first 2 shown]
	v_min_f32_e32 v16, v155, v175
	v_min_f32_e32 v14, v159, v175
	;; [unrolled: 1-line block ×3, first 2 shown]
	v_dual_min_f32 v10, v165, v175 :: v_dual_min_f32 v163, v215, v222
	v_dual_min_f32 v8, v167, v175 :: v_dual_min_f32 v159, v217, v222
	v_min_f32_e32 v6, v169, v175
	v_min_f32_e32 v4, v171, v175
	v_dual_min_f32 v2, v2, v175 :: v_dual_min_f32 v155, v219, v222
	v_min_f32_e32 v175, v217, v221
	v_min_f32_e32 v169, v220, v221
	;; [unrolled: 1-line block ×3, first 2 shown]
	v_dual_min_f32 v161, v216, v222 :: v_dual_add_f32 v132, v223, v132
	v_dual_add_f32 v109, v198, v109 :: v_dual_add_f32 v130, v149, v130
	v_dual_add_f32 v105, v194, v105 :: v_dual_add_f32 v126, v147, v126
	v_add_f32_e32 v45, v45, v104
	v_dual_add_f32 v118, v145, v118 :: v_dual_add_f32 v103, v192, v103
	v_dual_add_f32 v112, v139, v112 :: v_dual_add_f32 v97, v186, v97
	;; [unrolled: 1-line block ×9, first 2 shown]
	v_add_f32_e32 v29, v29, v88
	v_add_f32_e32 v27, v27, v86
	v_dual_add_f32 v13, v13, v71 :: v_dual_add_f32 v104, v40, v41
	v_dual_add_f32 v11, v11, v67 :: v_dual_add_f32 v106, v36, v37
	v_add_f32_e32 v9, v9, v63
	v_dual_add_f32 v7, v7, v61 :: v_dual_add_f32 v72, v165, v72
	v_dual_add_f32 v3, v3, v57 :: v_dual_add_f32 v66, v161, v66
	v_add_f32_e32 v86, v140, v114
	v_add_f32_e32 v5, v5, v58
	v_add_co_ci_u32_e32 v1, vcc_lo, v128, v49, vcc_lo
	v_dual_min_f32 v214, v157, v153 :: v_dual_add_f32 v107, v196, v107
	v_min_f32_e32 v167, v157, v222
	v_min_f32_e32 v157, v218, v222
	;; [unrolled: 1-line block ×3, first 2 shown]
	v_dual_add_f32 v39, v39, v98 :: v_dual_add_f32 v60, v154, v60
	v_dual_add_f32 v35, v35, v94 :: v_dual_add_f32 v58, v152, v59
	;; [unrolled: 1-line block ×7, first 2 shown]
	s_delay_alu instid0(VALU_DEP_4)
	v_dual_add_f32 v61, v150, v132 :: v_dual_add_f32 v114, v20, v21
	v_dual_add_f32 v63, v213, v129 :: v_dual_add_f32 v74, v167, v74
	;; [unrolled: 1-line block ×4, first 2 shown]
	v_add_f32_e32 v73, v146, v126
	v_add_f32_e32 v77, v144, v118
	v_dual_add_f32 v79, v207, v115 :: v_dual_add_f32 v118, v12, v13
	v_dual_add_f32 v108, v32, v33 :: v_dual_add_f32 v47, v195, v103
	v_add_f32_e32 v126, v8, v9
	v_dual_add_f32 v110, v28, v29 :: v_dual_add_f32 v103, v42, v43
	v_dual_add_f32 v130, v4, v5 :: v_dual_add_f32 v125, v10, v11
	v_add_f32_e32 v129, v6, v7
	s_waitcnt lgkmcnt(0)
	s_barrier
	buffer_gl0_inv
	ds_load_b128 v[2:5], v68
	ds_load_b128 v[6:9], v120
	ds_load_b128 v[10:13], v120 offset:128
	flat_load_b32 v133, v[52:53] offset:16
	s_clause 0x1
	flat_load_b32 v134, v[0:1]
	flat_load_b32 v0, v[0:1] offset:256
	v_dual_add_f32 v116, v143, v116 :: v_dual_add_f32 v101, v190, v101
	v_dual_add_f32 v91, v180, v91 :: v_dual_add_f32 v56, v151, v56
	v_add_f32_e32 v31, v31, v90
	v_dual_add_f32 v23, v23, v82 :: v_dual_add_f32 v100, v197, v105
	v_min_f32_e32 v171, v219, v221
	v_dual_add_f32 v89, v178, v89 :: v_dual_add_f32 v62, v156, v62
	v_dual_add_f32 v87, v176, v87 :: v_dual_add_f32 v84, v205, v113
	;; [unrolled: 1-line block ×5, first 2 shown]
	v_add_f32_e32 v59, v214, v131
	v_dual_add_f32 v75, v209, v117 :: v_dual_add_f32 v62, v159, v62
	v_add_f32_e32 v82, v142, v116
	v_add_f32_e32 v90, v138, v112
	s_waitcnt lgkmcnt(5)
	v_dual_add_f32 v105, v38, v39 :: v_dual_max_f32 v4, v4, v4
	s_waitcnt lgkmcnt(3)
	v_dual_add_f32 v107, v34, v35 :: v_dual_max_f32 v12, v12, v12
	v_add_f32_e32 v109, v30, v31
	v_dual_add_f32 v111, v26, v27 :: v_dual_add_f32 v112, v24, v25
	v_add_f32_e32 v113, v22, v23
	v_dual_add_f32 v115, v18, v19 :: v_dual_add_f32 v116, v16, v17
	v_add_f32_e32 v117, v14, v15
	v_add_f32_e32 v131, v153, v56
	ds_load_b128 v[14:17], v120 offset:256
	ds_load_b128 v[18:21], v120 offset:384
	;; [unrolled: 1-line block ×9, first 2 shown]
	v_dual_add_f32 v69, v160, v69 :: v_dual_add_f32 v78, v171, v78
	v_add_f32_e32 v99, v191, v99
	v_add_f32_e32 v97, v189, v97
	v_dual_add_f32 v95, v187, v95 :: v_dual_max_f32 v8, v8, v8
	v_add_f32_e32 v93, v185, v93
	v_add_f32_e32 v91, v183, v91
	;; [unrolled: 1-line block ×6, first 2 shown]
	v_max_f32_e32 v1, v2, v2
	v_max_f32_e32 v2, v6, v6
	v_dual_max_f32 v6, v7, v7 :: v_dual_max_f32 v7, v10, v10
	s_waitcnt lgkmcnt(8)
	v_dual_max_f32 v10, v11, v11 :: v_dual_max_f32 v11, v14, v14
	s_waitcnt lgkmcnt(7)
	;; [unrolled: 2-line block ×5, first 2 shown]
	v_dual_max_f32 v26, v27, v27 :: v_dual_max_f32 v27, v30, v30
	v_max_f32_e32 v16, v16, v16
	s_waitcnt lgkmcnt(3)
	v_dual_max_f32 v30, v31, v31 :: v_dual_max_f32 v31, v34, v34
	s_waitcnt lgkmcnt(2)
	v_dual_max_f32 v34, v35, v35 :: v_dual_max_f32 v35, v38, v38
	v_max_f32_e32 v24, v24, v24
	v_max_f32_e32 v38, v39, v39
	;; [unrolled: 1-line block ×3, first 2 shown]
	s_waitcnt lgkmcnt(1)
	v_dual_max_f32 v39, v42, v42 :: v_dual_min_f32 v176, v16, v4
	s_waitcnt lgkmcnt(0)
	v_dual_max_f32 v42, v43, v43 :: v_dual_max_f32 v43, v54, v54
	v_dual_min_f32 v178, v24, v4 :: v_dual_add_f32 v101, v193, v101
	v_add_f32_e32 v58, v155, v58
	v_dual_add_f32 v83, v175, v83 :: v_dual_max_f32 v32, v32, v32
	v_dual_add_f32 v69, v163, v69 :: v_dual_min_f32 v148, v2, v39
	v_dual_max_f32 v5, v5, v5 :: v_dual_min_f32 v142, v7, v35
	v_dual_max_f32 v20, v20, v20 :: v_dual_max_f32 v21, v21, v21
	v_max_f32_e32 v28, v28, v28
	v_dual_max_f32 v54, v55, v55 :: v_dual_max_f32 v9, v9, v9
	v_min_f32_e32 v144, v15, v35
	v_dual_max_f32 v36, v36, v36 :: v_dual_max_f32 v37, v37, v37
	v_min_f32_e32 v164, v18, v38
	;; [unrolled: 2-line block ×3, first 2 shown]
	v_dual_max_f32 v44, v44, v44 :: v_dual_max_f32 v45, v45, v45
	v_dual_max_f32 v55, v56, v56 :: v_dual_min_f32 v168, v6, v42
	v_max_f32_e32 v56, v57, v57
	v_dual_min_f32 v57, v2, v1 :: v_dual_min_f32 v180, v32, v4
	v_dual_min_f32 v135, v7, v1 :: v_dual_min_f32 v170, v14, v42
	v_min_f32_e32 v136, v11, v1
	v_dual_min_f32 v137, v15, v1 :: v_dual_min_f32 v172, v22, v42
	v_min_f32_e32 v141, v2, v35
	v_min_f32_e32 v143, v11, v35
	;; [unrolled: 1-line block ×5, first 2 shown]
	v_dual_max_f32 v17, v17, v17 :: v_dual_min_f32 v152, v19, v39
	v_min_f32_e32 v138, v19, v1
	v_dual_max_f32 v13, v13, v13 :: v_dual_min_f32 v146, v23, v35
	v_dual_min_f32 v139, v23, v1 :: v_dual_min_f32 v174, v30, v42
	v_min_f32_e32 v145, v19, v35
	v_min_f32_e32 v147, v27, v35
	v_min_f32_e32 v151, v15, v39
	v_min_f32_e32 v153, v23, v39
	v_min_f32_e32 v154, v27, v39
	v_min_f32_e32 v1, v31, v1
	v_min_f32_e32 v35, v31, v35
	v_min_f32_e32 v39, v31, v39
	v_min_f32_e32 v2, v2, v43
	v_dual_min_f32 v7, v7, v43 :: v_dual_min_f32 v182, v12, v40
	v_dual_min_f32 v11, v11, v43 :: v_dual_min_f32 v184, v20, v40
	;; [unrolled: 1-line block ×3, first 2 shown]
	v_min_f32_e32 v19, v19, v43
	v_dual_min_f32 v23, v23, v43 :: v_dual_min_f32 v188, v8, v44
	v_dual_min_f32 v27, v27, v43 :: v_dual_min_f32 v190, v16, v44
	;; [unrolled: 1-line block ×3, first 2 shown]
	v_dual_min_f32 v162, v10, v38 :: v_dual_max_f32 v25, v25, v25
	v_dual_min_f32 v156, v14, v3 :: v_dual_max_f32 v29, v29, v29
	;; [unrolled: 1-line block ×3, first 2 shown]
	v_min_f32_e32 v160, v30, v3
	v_dual_min_f32 v43, v6, v3 :: v_dual_min_f32 v194, v32, v44
	v_min_f32_e32 v155, v10, v3
	v_dual_min_f32 v157, v18, v3 :: v_dual_min_f32 v196, v17, v5
	v_dual_min_f32 v159, v26, v3 :: v_dual_min_f32 v198, v25, v5
	;; [unrolled: 1-line block ×3, first 2 shown]
	v_min_f32_e32 v161, v6, v38
	v_min_f32_e32 v163, v14, v38
	;; [unrolled: 1-line block ×18, first 2 shown]
	v_dual_min_f32 v175, v12, v4 :: v_dual_min_f32 v202, v13, v41
	v_dual_min_f32 v177, v20, v4 :: v_dual_min_f32 v204, v21, v41
	;; [unrolled: 1-line block ×3, first 2 shown]
	v_min_f32_e32 v4, v36, v4
	v_dual_min_f32 v181, v8, v40 :: v_dual_min_f32 v208, v9, v45
	v_dual_min_f32 v183, v16, v40 :: v_dual_min_f32 v210, v17, v45
	;; [unrolled: 1-line block ×4, first 2 shown]
	v_min_f32_e32 v40, v36, v40
	v_min_f32_e32 v189, v12, v44
	;; [unrolled: 1-line block ×3, first 2 shown]
	v_dual_min_f32 v193, v28, v44 :: v_dual_add_f32 v46, v142, v46
	v_min_f32_e32 v44, v36, v44
	v_min_f32_e32 v8, v8, v55
	;; [unrolled: 1-line block ×8, first 2 shown]
	v_dual_min_f32 v36, v36, v55 :: v_dual_min_f32 v55, v9, v5
	v_min_f32_e32 v195, v13, v5
	v_min_f32_e32 v197, v21, v5
	;; [unrolled: 1-line block ×7, first 2 shown]
	v_dual_min_f32 v207, v33, v41 :: v_dual_add_f32 v78, v174, v78
	v_dual_min_f32 v41, v37, v41 :: v_dual_add_f32 v42, v42, v76
	;; [unrolled: 1-line block ×6, first 2 shown]
	v_min_f32_e32 v9, v9, v56
	v_dual_min_f32 v13, v13, v56 :: v_dual_add_f32 v38, v38, v93
	v_dual_min_f32 v17, v17, v56 :: v_dual_add_f32 v14, v14, v69
	;; [unrolled: 1-line block ×5, first 2 shown]
	v_min_f32_e32 v33, v33, v56
	v_min_f32_e32 v37, v37, v56
	v_dual_add_f32 v56, v57, v61 :: v_dual_add_f32 v57, v135, v67
	v_add_f32_e32 v67, v137, v77
	v_add_f32_e32 v3, v3, v92
	;; [unrolled: 1-line block ×6, first 2 shown]
	v_dual_add_f32 v61, v136, v73 :: v_dual_add_f32 v26, v26, v60
	v_dual_add_f32 v63, v156, v71 :: v_dual_add_f32 v142, v153, v113
	v_add_f32_e32 v77, v139, v86
	v_add_f32_e32 v86, v141, v98
	v_dual_add_f32 v98, v145, v104 :: v_dual_add_f32 v135, v146, v105
	v_dual_add_f32 v141, v152, v112 :: v_dual_add_f32 v78, v214, v78
	v_add_f32_e32 v139, v150, v110
	v_add_f32_e32 v11, v11, v118
	v_dual_add_f32 v31, v31, v132 :: v_dual_add_f32 v60, v29, v26
	v_add_f32_e32 v132, v54, v56
	v_dual_add_f32 v73, v138, v82 :: v_dual_add_f32 v118, v177, v67
	v_dual_add_f32 v71, v157, v75 :: v_dual_add_f32 v82, v140, v90
	v_add_f32_e32 v90, v162, v100
	s_delay_alu instid0(VALU_DEP_3)
	v_add_f32_e32 v116, v178, v73
	v_add_f32_e32 v138, v149, v109
	;; [unrolled: 1-line block ×3, first 2 shown]
	v_dual_add_f32 v110, v4, v1 :: v_dual_add_f32 v75, v158, v79
	v_dual_add_f32 v79, v159, v84 :: v_dual_add_f32 v112, v180, v82
	v_add_f32_e32 v84, v160, v88
	v_add_co_u32 v127, vcc_lo, v127, s8
	v_dual_add_f32 v88, v161, v96 :: v_dual_add_f32 v47, v163, v47
	v_add_f32_e32 v94, v144, v103
	v_dual_add_f32 v96, v164, v101 :: v_dual_add_f32 v99, v165, v99
	v_dual_add_f32 v136, v147, v106 :: v_dual_add_f32 v97, v166, v97
	v_add_f32_e32 v35, v35, v107
	v_add_f32_e32 v137, v148, v108
	v_dual_add_f32 v87, v170, v87 :: v_dual_add_f32 v82, v193, v142
	v_add_f32_e32 v140, v151, v111
	v_add_f32_e32 v91, v168, v91
	v_dual_add_f32 v83, v172, v83 :: v_dual_add_f32 v76, v45, v42
	v_add_f32_e32 v143, v154, v114
	v_dual_add_f32 v39, v39, v115 :: v_dual_add_f32 v74, v9, v6
	v_dual_add_f32 v7, v7, v117 :: v_dual_add_f32 v72, v13, v10
	v_dual_add_f32 v15, v15, v125 :: v_dual_add_f32 v66, v21, v18
	v_add_f32_e32 v19, v19, v126
	v_dual_add_f32 v23, v23, v129 :: v_dual_add_f32 v62, v25, v22
	v_add_f32_e32 v27, v27, v130
	v_add_f32_e32 v81, v173, v81
	;; [unrolled: 1-line block ×7, first 2 shown]
	v_dual_add_f32 v95, v167, v95 :: v_dual_add_f32 v92, v188, v137
	v_add_f32_e32 v90, v189, v138
	v_add_f32_e32 v89, v169, v89
	;; [unrolled: 1-line block ×4, first 2 shown]
	v_add_co_ci_u32_e32 v128, vcc_lo, s9, v128, vcc_lo
	v_add_co_u32 v52, vcc_lo, v52, 32
	v_add_co_ci_u32_e32 v53, vcc_lo, 0, v53, vcc_lo
	v_add_f32_e32 v129, v195, v59
	v_dual_add_f32 v130, v175, v57 :: v_dual_add_f32 v125, v196, v63
	v_dual_add_f32 v126, v176, v61 :: v_dual_add_f32 v131, v55, v43
	v_add_f32_e32 v56, v37, v34
	v_add_f32_e32 v117, v197, v71
	;; [unrolled: 1-line block ×3, first 2 shown]
	v_dual_add_f32 v114, v179, v77 :: v_dual_add_f32 v115, v198, v75
	v_add_f32_e32 v107, v201, v88
	v_add_f32_e32 v108, v181, v86
	v_dual_add_f32 v109, v5, v3 :: v_dual_add_f32 v106, v182, v46
	v_add_f32_e32 v103, v203, v47
	v_add_f32_e32 v101, v204, v96
	v_dual_add_f32 v102, v184, v94 :: v_dual_add_f32 v99, v205, v99
	v_add_f32_e32 v95, v207, v95
	v_dual_add_f32 v96, v187, v136 :: v_dual_add_f32 v97, v206, v97
	v_dual_add_f32 v93, v41, v38 :: v_dual_add_f32 v94, v40, v35
	v_add_f32_e32 v89, v209, v89
	v_add_f32_e32 v87, v210, v87
	v_dual_add_f32 v88, v190, v139 :: v_dual_add_f32 v85, v211, v85
	v_dual_add_f32 v86, v191, v140 :: v_dual_add_f32 v91, v208, v91
	v_add_f32_e32 v83, v212, v83
	v_add_f32_e32 v81, v213, v81
	;; [unrolled: 1-line block ×13, first 2 shown]
	s_cmp_ge_i32 s11, s10
	s_waitcnt vmcnt(2)
	ds_store_b32 v121, v133
	s_waitcnt vmcnt(0)
	ds_store_2addr_stride64_b32 v122, v134, v0 offset1:4
	s_waitcnt lgkmcnt(0)
	s_barrier
	buffer_gl0_inv
	s_cbranch_scc0 .LBB46_11
.LBB46_12:
	s_load_b32 s8, s[0:1], 0x50
	v_add_nc_u32_e32 v48, s14, v65
	ds_load_b128 v[0:3], v70 offset:5120
	ds_load_b128 v[40:43], v68 offset:2048
	v_add_nc_u32_e32 v46, s3, v64
	v_cmp_neq_f32_e64 s9, s15, 0
	v_mov_b32_e32 v52, 0
	v_mov_b32_e32 v50, 0
	s_delay_alu instid0(VALU_DEP_4) | instskip(NEXT) | instid1(VALU_DEP_4)
	v_ashrrev_i32_e32 v47, 31, v46
	s_and_b32 vcc_lo, exec_lo, s9
	s_delay_alu instid0(VALU_DEP_1) | instskip(SKIP_2) | instid1(VALU_DEP_1)
	v_lshlrev_b64 v[44:45], 2, v[46:47]
	s_waitcnt lgkmcnt(0)
	v_mad_i64_i32 v[4:5], null, v48, s8, 0
	v_lshlrev_b64 v[4:5], 2, v[4:5]
	s_delay_alu instid0(VALU_DEP_1) | instskip(NEXT) | instid1(VALU_DEP_1)
	v_add_co_u32 v119, s3, s4, v4
	v_add_co_ci_u32_e64 v120, s3, s5, v5, s3
	s_cbranch_vccz .LBB46_14
; %bb.13:
	s_delay_alu instid0(VALU_DEP_2) | instskip(NEXT) | instid1(VALU_DEP_2)
	v_add_co_u32 v4, vcc_lo, v119, v44
	v_add_co_ci_u32_e32 v5, vcc_lo, v120, v45, vcc_lo
	flat_load_b32 v4, v[4:5]
	s_waitcnt vmcnt(0) lgkmcnt(0)
	v_mul_f32_e32 v50, s15, v4
.LBB46_14:
	ds_load_b128 v[36:39], v70 offset:5248
	ds_load_b128 v[32:35], v70 offset:5376
	;; [unrolled: 1-line block ×4, first 2 shown]
	s_clause 0x1
	s_load_b32 s3, s[0:1], 0x68
	s_load_b64 s[0:1], s[0:1], 0x70
	v_dual_max_f32 v121, v40, v40 :: v_dual_max_f32 v122, v41, v41
	v_dual_max_f32 v47, v0, v0 :: v_dual_max_f32 v124, v42, v42
	;; [unrolled: 1-line block ×3, first 2 shown]
	ds_load_b128 v[20:23], v70 offset:5760
	ds_load_b128 v[16:19], v70 offset:5888
	v_min_f32_e32 v0, v47, v121
	ds_load_b128 v[12:15], v70 offset:6016
	v_min_f32_e32 v1, v49, v122
	v_min_f32_e32 v55, v42, v124
	ds_load_b128 v[8:11], v68 offset:2560
	ds_load_b128 v[4:7], v68 offset:3072
	v_add_f32_e32 v53, v1, v131
	v_max_f32_e32 v123, v43, v43
	v_max_f32_e32 v43, v3, v3
	v_add_f32_e32 v51, v0, v132
	s_waitcnt lgkmcnt(0)
	v_mad_i64_i32 v[40:41], null, v48, s3, 0
	ds_load_b128 v[0:3], v68 offset:3584
	v_min_f32_e32 v54, v43, v123
	v_add_f32_e32 v51, v55, v51
	s_lshl_b64 s[10:11], s[0:1], 2
	v_cndmask_b32_e64 v55, 0, 1, s9
	s_add_u32 s1, s6, s10
	v_lshlrev_b64 v[40:41], 2, v[40:41]
	v_dual_add_f32 v64, v54, v53 :: v_dual_add_nc_u32 v53, 8, v46
	s_addc_u32 s6, s7, s11
	v_cmp_ne_u32_e64 s0, 1, v55
	s_delay_alu instid0(VALU_DEP_2) | instskip(NEXT) | instid1(VALU_DEP_4)
	v_add_f32_e32 v51, v51, v64
	v_add_co_u32 v127, vcc_lo, s1, v40
	v_ashrrev_i32_e32 v54, 31, v53
	v_add_co_ci_u32_e32 v128, vcc_lo, s6, v41, vcc_lo
	s_delay_alu instid0(VALU_DEP_4) | instskip(NEXT) | instid1(VALU_DEP_4)
	v_add_f32_e32 v64, v51, v50
	v_add_co_u32 v50, vcc_lo, v127, v44
	s_delay_alu instid0(VALU_DEP_4) | instskip(NEXT) | instid1(VALU_DEP_4)
	v_lshlrev_b64 v[40:41], 2, v[53:54]
	v_add_co_ci_u32_e32 v51, vcc_lo, v128, v45, vcc_lo
	s_and_not1_b32 vcc_lo, exec_lo, s9
	global_store_b32 v[50:51], v64, off
	s_cbranch_vccnz .LBB46_16
; %bb.15:
	v_add_co_u32 v50, vcc_lo, v119, v40
	v_add_co_ci_u32_e32 v51, vcc_lo, v120, v41, vcc_lo
	flat_load_b32 v50, v[50:51]
	s_waitcnt vmcnt(0) lgkmcnt(0)
	v_mul_f32_e32 v52, s15, v50
.LBB46_16:
	v_dual_max_f32 v51, v37, v37 :: v_dual_max_f32 v50, v36, v36
	v_dual_max_f32 v38, v38, v38 :: v_dual_max_f32 v39, v39, v39
	v_mov_b32_e32 v64, 0
	s_delay_alu instid0(VALU_DEP_3) | instskip(NEXT) | instid1(VALU_DEP_3)
	v_dual_min_f32 v36, v51, v122 :: v_dual_min_f32 v37, v50, v121
	v_dual_min_f32 v53, v38, v124 :: v_dual_min_f32 v54, v39, v123
	s_delay_alu instid0(VALU_DEP_2) | instskip(NEXT) | instid1(VALU_DEP_3)
	v_dual_add_f32 v55, v36, v129 :: v_dual_add_nc_u32 v36, 16, v46
	v_add_f32_e32 v37, v37, v130
	v_add_co_u32 v129, vcc_lo, v127, v40
	s_delay_alu instid0(VALU_DEP_3) | instskip(SKIP_1) | instid1(VALU_DEP_4)
	v_add_f32_e32 v54, v54, v55
	v_add_co_ci_u32_e32 v130, vcc_lo, v128, v41, vcc_lo
	v_add_f32_e32 v53, v53, v37
	v_ashrrev_i32_e32 v37, 31, v36
	s_and_b32 vcc_lo, exec_lo, s0
	s_delay_alu instid0(VALU_DEP_2) | instskip(NEXT) | instid1(VALU_DEP_2)
	v_dual_add_f32 v53, v53, v54 :: v_dual_mov_b32 v54, 0
	v_lshlrev_b64 v[36:37], 2, v[36:37]
	s_delay_alu instid0(VALU_DEP_2)
	v_add_f32_e32 v52, v53, v52
	global_store_b32 v[129:130], v52, off
	s_cbranch_vccnz .LBB46_18
; %bb.17:
	v_add_co_u32 v52, vcc_lo, v119, v36
	v_add_co_ci_u32_e32 v53, vcc_lo, v120, v37, vcc_lo
	flat_load_b32 v52, v[52:53]
	s_waitcnt vmcnt(0) lgkmcnt(0)
	v_mul_f32_e32 v54, s15, v52
.LBB46_18:
	v_dual_max_f32 v53, v33, v33 :: v_dual_max_f32 v52, v32, v32
	v_dual_max_f32 v34, v34, v34 :: v_dual_max_f32 v35, v35, v35
	s_delay_alu instid0(VALU_DEP_2) | instskip(NEXT) | instid1(VALU_DEP_2)
	v_dual_min_f32 v32, v53, v122 :: v_dual_min_f32 v33, v52, v121
	v_min_f32_e32 v55, v34, v124
	s_delay_alu instid0(VALU_DEP_2) | instskip(SKIP_1) | instid1(VALU_DEP_4)
	v_dual_min_f32 v65, v35, v123 :: v_dual_add_f32 v68, v32, v125
	v_add_nc_u32_e32 v32, 24, v46
	v_add_f32_e32 v33, v33, v126
	v_add_co_u32 v125, vcc_lo, v127, v36
	s_delay_alu instid0(VALU_DEP_4) | instskip(SKIP_1) | instid1(VALU_DEP_4)
	v_add_f32_e32 v65, v65, v68
	v_add_co_ci_u32_e32 v126, vcc_lo, v128, v37, vcc_lo
	v_add_f32_e32 v55, v55, v33
	v_ashrrev_i32_e32 v33, 31, v32
	s_and_b32 vcc_lo, exec_lo, s0
	s_delay_alu instid0(VALU_DEP_2) | instskip(NEXT) | instid1(VALU_DEP_2)
	v_add_f32_e32 v55, v55, v65
	v_lshlrev_b64 v[32:33], 2, v[32:33]
	s_delay_alu instid0(VALU_DEP_2)
	v_add_f32_e32 v54, v55, v54
	global_store_b32 v[125:126], v54, off
	s_cbranch_vccnz .LBB46_20
; %bb.19:
	v_add_co_u32 v54, vcc_lo, v119, v32
	v_add_co_ci_u32_e32 v55, vcc_lo, v120, v33, vcc_lo
	flat_load_b32 v54, v[54:55]
	s_waitcnt vmcnt(0) lgkmcnt(0)
	v_mul_f32_e32 v64, s15, v54
.LBB46_20:
	v_dual_max_f32 v55, v29, v29 :: v_dual_max_f32 v54, v28, v28
	v_dual_max_f32 v30, v30, v30 :: v_dual_max_f32 v31, v31, v31
	v_mov_b32_e32 v80, 0
	s_delay_alu instid0(VALU_DEP_3) | instskip(NEXT) | instid1(VALU_DEP_3)
	v_dual_min_f32 v28, v55, v122 :: v_dual_min_f32 v29, v54, v121
	v_dual_min_f32 v65, v30, v124 :: v_dual_min_f32 v68, v31, v123
	s_delay_alu instid0(VALU_DEP_2) | instskip(SKIP_2) | instid1(VALU_DEP_3)
	v_dual_add_f32 v70, v28, v117 :: v_dual_add_f32 v29, v29, v118
	v_add_nc_u32_e32 v28, 32, v46
	v_add_co_u32 v117, vcc_lo, v127, v32
	v_dual_add_f32 v68, v68, v70 :: v_dual_add_f32 v65, v65, v29
	s_delay_alu instid0(VALU_DEP_3) | instskip(SKIP_2) | instid1(VALU_DEP_3)
	v_ashrrev_i32_e32 v29, 31, v28
	v_add_co_ci_u32_e32 v118, vcc_lo, v128, v33, vcc_lo
	s_and_b32 vcc_lo, exec_lo, s0
	v_add_f32_e32 v65, v65, v68
	s_delay_alu instid0(VALU_DEP_3) | instskip(SKIP_1) | instid1(VALU_DEP_3)
	v_lshlrev_b64 v[28:29], 2, v[28:29]
	v_mov_b32_e32 v68, 0
	v_add_f32_e32 v64, v65, v64
	global_store_b32 v[117:118], v64, off
	s_cbranch_vccnz .LBB46_22
; %bb.21:
	v_add_co_u32 v64, vcc_lo, v119, v28
	v_add_co_ci_u32_e32 v65, vcc_lo, v120, v29, vcc_lo
	flat_load_b32 v64, v[64:65]
	s_waitcnt vmcnt(0) lgkmcnt(0)
	v_mul_f32_e32 v68, s15, v64
.LBB46_22:
	v_dual_max_f32 v65, v25, v25 :: v_dual_max_f32 v64, v24, v24
	v_dual_max_f32 v26, v26, v26 :: v_dual_max_f32 v27, v27, v27
	s_delay_alu instid0(VALU_DEP_2) | instskip(NEXT) | instid1(VALU_DEP_2)
	v_dual_min_f32 v24, v65, v122 :: v_dual_min_f32 v25, v64, v121
	v_dual_min_f32 v70, v26, v124 :: v_dual_min_f32 v117, v27, v123
	s_delay_alu instid0(VALU_DEP_2) | instskip(NEXT) | instid1(VALU_DEP_1)
	v_dual_add_f32 v115, v24, v115 :: v_dual_add_nc_u32 v24, 40, v46
	v_add_f32_e32 v115, v117, v115
	s_delay_alu instid0(VALU_DEP_4) | instskip(NEXT) | instid1(VALU_DEP_1)
	v_add_f32_e32 v25, v25, v116
	v_add_f32_e32 v70, v70, v25
	s_delay_alu instid0(VALU_DEP_4) | instskip(NEXT) | instid1(VALU_DEP_2)
	v_ashrrev_i32_e32 v25, 31, v24
	v_add_f32_e32 v70, v70, v115
	v_add_co_u32 v115, vcc_lo, v127, v28
	s_delay_alu instid0(VALU_DEP_3) | instskip(SKIP_1) | instid1(VALU_DEP_4)
	v_lshlrev_b64 v[24:25], 2, v[24:25]
	v_add_co_ci_u32_e32 v116, vcc_lo, v128, v29, vcc_lo
	v_add_f32_e32 v68, v70, v68
	s_and_b32 vcc_lo, exec_lo, s0
	global_store_b32 v[115:116], v68, off
	s_cbranch_vccnz .LBB46_24
; %bb.23:
	v_add_co_u32 v115, vcc_lo, v119, v24
	v_add_co_ci_u32_e32 v116, vcc_lo, v120, v25, vcc_lo
	flat_load_b32 v68, v[115:116]
	s_waitcnt vmcnt(0) lgkmcnt(0)
	v_mul_f32_e32 v80, s15, v68
.LBB46_24:
	v_dual_max_f32 v70, v21, v21 :: v_dual_max_f32 v23, v23, v23
	v_max_f32_e32 v68, v20, v20
	v_max_f32_e32 v22, v22, v22
	s_delay_alu instid0(VALU_DEP_2) | instskip(NEXT) | instid1(VALU_DEP_4)
	v_dual_min_f32 v116, v23, v123 :: v_dual_min_f32 v21, v68, v121
	v_min_f32_e32 v20, v70, v122
	s_delay_alu instid0(VALU_DEP_3) | instskip(NEXT) | instid1(VALU_DEP_3)
	v_min_f32_e32 v115, v22, v124
	v_add_f32_e32 v21, v21, v114
	s_delay_alu instid0(VALU_DEP_3) | instskip(NEXT) | instid1(VALU_DEP_2)
	v_dual_add_f32 v113, v20, v113 :: v_dual_add_nc_u32 v20, 48, v46
	v_dual_add_f32 v114, v115, v21 :: v_dual_mov_b32 v115, 0
	s_delay_alu instid0(VALU_DEP_2) | instskip(NEXT) | instid1(VALU_DEP_3)
	v_add_f32_e32 v113, v116, v113
	v_ashrrev_i32_e32 v21, 31, v20
	v_add_co_u32 v116, vcc_lo, v127, v24
	v_add_co_ci_u32_e32 v117, vcc_lo, v128, v25, vcc_lo
	s_delay_alu instid0(VALU_DEP_4) | instskip(NEXT) | instid1(VALU_DEP_4)
	v_dual_add_f32 v113, v114, v113 :: v_dual_mov_b32 v114, 0
	v_lshlrev_b64 v[20:21], 2, v[20:21]
	s_and_b32 vcc_lo, exec_lo, s0
	s_delay_alu instid0(VALU_DEP_2)
	v_add_f32_e32 v80, v113, v80
	global_store_b32 v[116:117], v80, off
	s_cbranch_vccnz .LBB46_26
; %bb.25:
	v_add_co_u32 v115, vcc_lo, v119, v20
	v_add_co_ci_u32_e32 v116, vcc_lo, v120, v21, vcc_lo
	flat_load_b32 v80, v[115:116]
	s_waitcnt vmcnt(0) lgkmcnt(0)
	v_mul_f32_e32 v115, s15, v80
.LBB46_26:
	v_dual_max_f32 v113, v17, v17 :: v_dual_max_f32 v80, v16, v16
	v_dual_max_f32 v18, v18, v18 :: v_dual_max_f32 v19, v19, v19
	s_delay_alu instid0(VALU_DEP_2) | instskip(NEXT) | instid1(VALU_DEP_2)
	v_dual_min_f32 v16, v113, v122 :: v_dual_min_f32 v17, v80, v121
	v_dual_min_f32 v116, v18, v124 :: v_dual_min_f32 v117, v19, v123
	s_delay_alu instid0(VALU_DEP_2) | instskip(NEXT) | instid1(VALU_DEP_1)
	v_dual_add_f32 v111, v16, v111 :: v_dual_add_nc_u32 v16, 56, v46
	v_add_f32_e32 v46, v117, v111
	s_delay_alu instid0(VALU_DEP_4) | instskip(NEXT) | instid1(VALU_DEP_1)
	v_add_f32_e32 v17, v17, v112
	v_add_f32_e32 v111, v116, v17
	s_delay_alu instid0(VALU_DEP_4) | instskip(NEXT) | instid1(VALU_DEP_2)
	v_ashrrev_i32_e32 v17, 31, v16
	v_add_f32_e32 v46, v111, v46
	v_add_co_u32 v111, vcc_lo, v127, v20
	s_delay_alu instid0(VALU_DEP_3) | instskip(SKIP_1) | instid1(VALU_DEP_4)
	v_lshlrev_b64 v[16:17], 2, v[16:17]
	v_add_co_ci_u32_e32 v112, vcc_lo, v128, v21, vcc_lo
	v_add_f32_e32 v46, v46, v115
	s_and_b32 vcc_lo, exec_lo, s0
	global_store_b32 v[111:112], v46, off
	s_cbranch_vccnz .LBB46_28
; %bb.27:
	v_add_co_u32 v111, vcc_lo, v119, v16
	v_add_co_ci_u32_e32 v112, vcc_lo, v120, v17, vcc_lo
	flat_load_b32 v46, v[111:112]
	s_waitcnt vmcnt(0) lgkmcnt(0)
	v_mul_f32_e32 v114, s15, v46
.LBB46_28:
	v_dual_max_f32 v12, v12, v12 :: v_dual_max_f32 v13, v13, v13
	v_dual_max_f32 v14, v14, v14 :: v_dual_add_nc_u32 v115, 32, v48
	s_delay_alu instid0(VALU_DEP_2) | instskip(NEXT) | instid1(VALU_DEP_2)
	v_dual_max_f32 v15, v15, v15 :: v_dual_min_f32 v46, v12, v121
	v_dual_min_f32 v116, v13, v122 :: v_dual_min_f32 v117, v14, v124
	s_delay_alu instid0(VALU_DEP_3) | instskip(NEXT) | instid1(VALU_DEP_3)
	v_mad_i64_i32 v[111:112], null, v115, s8, 0
	v_min_f32_e32 v118, v15, v123
	s_delay_alu instid0(VALU_DEP_3) | instskip(SKIP_1) | instid1(VALU_DEP_4)
	v_add_f32_e32 v116, v116, v109
	v_add_f32_e32 v46, v46, v110
	v_lshlrev_b64 v[109:110], 2, v[111:112]
	s_delay_alu instid0(VALU_DEP_3) | instskip(NEXT) | instid1(VALU_DEP_3)
	v_add_f32_e32 v116, v118, v116
	v_add_f32_e32 v46, v117, v46
	v_add_co_u32 v111, vcc_lo, v127, v16
	v_add_co_ci_u32_e32 v112, vcc_lo, v128, v17, vcc_lo
	s_delay_alu instid0(VALU_DEP_3) | instskip(SKIP_2) | instid1(VALU_DEP_3)
	v_add_f32_e32 v116, v46, v116
	v_add_co_u32 v46, vcc_lo, s4, v109
	v_add_co_ci_u32_e32 v109, vcc_lo, s5, v110, vcc_lo
	v_add_f32_e32 v110, v116, v114
	v_mov_b32_e32 v114, 0
	v_mov_b32_e32 v116, 0
	s_and_b32 vcc_lo, exec_lo, s0
	global_store_b32 v[111:112], v110, off
	s_cbranch_vccnz .LBB46_30
; %bb.29:
	v_add_co_u32 v110, vcc_lo, v46, v44
	v_add_co_ci_u32_e32 v111, vcc_lo, v109, v45, vcc_lo
	flat_load_b32 v110, v[110:111]
	s_waitcnt vmcnt(0) lgkmcnt(0)
	v_mul_f32_e32 v116, s15, v110
.LBB46_30:
	v_dual_max_f32 v110, v8, v8 :: v_dual_max_f32 v111, v9, v9
	v_max_f32_e32 v112, v10, v10
	v_mad_i64_i32 v[9:10], null, v115, s3, 0
	s_delay_alu instid0(VALU_DEP_3) | instskip(NEXT) | instid1(VALU_DEP_3)
	v_min_f32_e32 v117, v49, v111
	v_dual_max_f32 v8, v11, v11 :: v_dual_min_f32 v115, v42, v112
	v_min_f32_e32 v11, v47, v110
	s_delay_alu instid0(VALU_DEP_2) | instskip(SKIP_1) | instid1(VALU_DEP_3)
	v_dual_add_f32 v107, v117, v107 :: v_dual_min_f32 v118, v43, v8
	v_lshlrev_b64 v[9:10], 2, v[9:10]
	v_add_f32_e32 v11, v11, v108
	s_delay_alu instid0(VALU_DEP_3) | instskip(NEXT) | instid1(VALU_DEP_2)
	v_add_f32_e32 v107, v118, v107
	v_add_f32_e32 v11, v115, v11
	s_delay_alu instid0(VALU_DEP_4) | instskip(SKIP_1) | instid1(VALU_DEP_3)
	v_add_co_u32 v9, vcc_lo, s1, v9
	v_add_co_ci_u32_e32 v10, vcc_lo, s6, v10, vcc_lo
	v_add_f32_e32 v11, v11, v107
	s_delay_alu instid0(VALU_DEP_3) | instskip(NEXT) | instid1(VALU_DEP_3)
	v_add_co_u32 v107, vcc_lo, v9, v44
	v_add_co_ci_u32_e32 v108, vcc_lo, v10, v45, vcc_lo
	s_delay_alu instid0(VALU_DEP_3)
	v_add_f32_e32 v11, v11, v116
	s_and_b32 vcc_lo, exec_lo, s0
	global_store_b32 v[107:108], v11, off
	s_cbranch_vccnz .LBB46_32
; %bb.31:
	v_add_co_u32 v107, vcc_lo, v46, v40
	v_add_co_ci_u32_e32 v108, vcc_lo, v109, v41, vcc_lo
	flat_load_b32 v11, v[107:108]
	s_waitcnt vmcnt(0) lgkmcnt(0)
	v_mul_f32_e32 v114, s15, v11
.LBB46_32:
	v_dual_min_f32 v11, v51, v111 :: v_dual_min_f32 v108, v38, v112
	v_min_f32_e32 v107, v50, v110
	v_min_f32_e32 v115, v39, v8
	s_delay_alu instid0(VALU_DEP_3) | instskip(NEXT) | instid1(VALU_DEP_3)
	v_add_f32_e32 v11, v11, v105
	v_add_f32_e32 v105, v107, v106
	v_add_co_u32 v106, vcc_lo, v9, v40
	s_delay_alu instid0(VALU_DEP_3) | instskip(SKIP_1) | instid1(VALU_DEP_4)
	v_add_f32_e32 v11, v115, v11
	v_add_co_ci_u32_e32 v107, vcc_lo, v10, v41, vcc_lo
	v_add_f32_e32 v105, v108, v105
	s_and_b32 vcc_lo, exec_lo, s0
	s_delay_alu instid0(VALU_DEP_1) | instskip(NEXT) | instid1(VALU_DEP_1)
	v_add_f32_e32 v11, v105, v11
	v_dual_mov_b32 v105, 0 :: v_dual_add_f32 v108, v11, v114
	v_mov_b32_e32 v11, 0
	global_store_b32 v[106:107], v108, off
	s_cbranch_vccnz .LBB46_34
; %bb.33:
	v_add_co_u32 v105, vcc_lo, v46, v36
	v_add_co_ci_u32_e32 v106, vcc_lo, v109, v37, vcc_lo
	flat_load_b32 v105, v[105:106]
	s_waitcnt vmcnt(0) lgkmcnt(0)
	v_mul_f32_e32 v105, s15, v105
.LBB46_34:
	v_dual_min_f32 v106, v53, v111 :: v_dual_min_f32 v107, v52, v110
	s_delay_alu instid0(VALU_DEP_1) | instskip(NEXT) | instid1(VALU_DEP_1)
	v_dual_min_f32 v114, v35, v8 :: v_dual_add_f32 v103, v106, v103
	v_dual_add_f32 v104, v107, v104 :: v_dual_add_f32 v103, v114, v103
	v_min_f32_e32 v108, v34, v112
	s_delay_alu instid0(VALU_DEP_1) | instskip(NEXT) | instid1(VALU_DEP_1)
	v_add_f32_e32 v104, v108, v104
	v_add_f32_e32 v103, v104, v103
	s_delay_alu instid0(VALU_DEP_1)
	v_add_f32_e32 v105, v103, v105
	v_add_co_u32 v103, vcc_lo, v9, v36
	v_add_co_ci_u32_e32 v104, vcc_lo, v10, v37, vcc_lo
	s_and_b32 vcc_lo, exec_lo, s0
	global_store_b32 v[103:104], v105, off
	s_cbranch_vccnz .LBB46_36
; %bb.35:
	v_add_co_u32 v103, vcc_lo, v46, v32
	v_add_co_ci_u32_e32 v104, vcc_lo, v109, v33, vcc_lo
	flat_load_b32 v11, v[103:104]
	s_waitcnt vmcnt(0) lgkmcnt(0)
	v_mul_f32_e32 v11, s15, v11
.LBB46_36:
	v_dual_min_f32 v103, v55, v111 :: v_dual_min_f32 v104, v54, v110
	s_delay_alu instid0(VALU_DEP_1) | instskip(NEXT) | instid1(VALU_DEP_1)
	v_dual_min_f32 v105, v30, v112 :: v_dual_add_f32 v102, v104, v102
	v_dual_add_f32 v101, v103, v101 :: v_dual_add_f32 v102, v105, v102
	v_min_f32_e32 v106, v31, v8
	s_delay_alu instid0(VALU_DEP_1) | instskip(NEXT) | instid1(VALU_DEP_1)
	v_add_f32_e32 v101, v106, v101
	v_add_f32_e32 v101, v102, v101
	v_add_co_u32 v102, vcc_lo, v9, v32
	v_add_co_ci_u32_e32 v103, vcc_lo, v10, v33, vcc_lo
	s_delay_alu instid0(VALU_DEP_3)
	v_dual_add_f32 v104, v101, v11 :: v_dual_mov_b32 v11, 0
	v_mov_b32_e32 v101, 0
	s_and_b32 vcc_lo, exec_lo, s0
	global_store_b32 v[102:103], v104, off
	s_cbranch_vccnz .LBB46_38
; %bb.37:
	v_add_co_u32 v101, vcc_lo, v46, v28
	v_add_co_ci_u32_e32 v102, vcc_lo, v109, v29, vcc_lo
	flat_load_b32 v101, v[101:102]
	s_waitcnt vmcnt(0) lgkmcnt(0)
	v_mul_f32_e32 v101, s15, v101
.LBB46_38:
	v_dual_min_f32 v102, v65, v111 :: v_dual_min_f32 v103, v64, v110
	v_min_f32_e32 v105, v27, v8
	s_delay_alu instid0(VALU_DEP_2) | instskip(NEXT) | instid1(VALU_DEP_1)
	v_dual_add_f32 v99, v102, v99 :: v_dual_add_f32 v100, v103, v100
	v_dual_min_f32 v104, v26, v112 :: v_dual_add_f32 v99, v105, v99
	s_delay_alu instid0(VALU_DEP_1) | instskip(NEXT) | instid1(VALU_DEP_1)
	v_add_f32_e32 v100, v104, v100
	v_add_f32_e32 v99, v100, v99
	s_delay_alu instid0(VALU_DEP_1)
	v_add_f32_e32 v101, v99, v101
	v_add_co_u32 v99, vcc_lo, v9, v28
	v_add_co_ci_u32_e32 v100, vcc_lo, v10, v29, vcc_lo
	s_and_b32 vcc_lo, exec_lo, s0
	global_store_b32 v[99:100], v101, off
	s_cbranch_vccnz .LBB46_40
; %bb.39:
	v_add_co_u32 v99, vcc_lo, v46, v24
	v_add_co_ci_u32_e32 v100, vcc_lo, v109, v25, vcc_lo
	flat_load_b32 v11, v[99:100]
	s_waitcnt vmcnt(0) lgkmcnt(0)
	v_mul_f32_e32 v11, s15, v11
.LBB46_40:
	v_dual_min_f32 v99, v70, v111 :: v_dual_min_f32 v100, v68, v110
	s_delay_alu instid0(VALU_DEP_1) | instskip(NEXT) | instid1(VALU_DEP_1)
	v_dual_min_f32 v101, v22, v112 :: v_dual_add_f32 v98, v100, v98
	v_dual_add_f32 v97, v99, v97 :: v_dual_add_f32 v98, v101, v98
	v_min_f32_e32 v102, v23, v8
	s_delay_alu instid0(VALU_DEP_1) | instskip(NEXT) | instid1(VALU_DEP_1)
	v_add_f32_e32 v97, v102, v97
	v_add_f32_e32 v97, v98, v97
	v_add_co_u32 v98, vcc_lo, v9, v24
	v_add_co_ci_u32_e32 v99, vcc_lo, v10, v25, vcc_lo
	s_delay_alu instid0(VALU_DEP_3)
	v_dual_add_f32 v100, v97, v11 :: v_dual_mov_b32 v11, 0
	v_mov_b32_e32 v97, 0
	s_and_b32 vcc_lo, exec_lo, s0
	global_store_b32 v[98:99], v100, off
	s_cbranch_vccnz .LBB46_42
; %bb.41:
	v_add_co_u32 v97, vcc_lo, v46, v20
	v_add_co_ci_u32_e32 v98, vcc_lo, v109, v21, vcc_lo
	flat_load_b32 v97, v[97:98]
	s_waitcnt vmcnt(0) lgkmcnt(0)
	v_mul_f32_e32 v97, s15, v97
.LBB46_42:
	v_dual_min_f32 v98, v113, v111 :: v_dual_min_f32 v99, v80, v110
	v_min_f32_e32 v101, v19, v8
	s_delay_alu instid0(VALU_DEP_2) | instskip(NEXT) | instid1(VALU_DEP_1)
	v_dual_add_f32 v95, v98, v95 :: v_dual_add_f32 v96, v99, v96
	v_dual_min_f32 v100, v18, v112 :: v_dual_add_f32 v95, v101, v95
	s_delay_alu instid0(VALU_DEP_1) | instskip(NEXT) | instid1(VALU_DEP_1)
	v_add_f32_e32 v96, v100, v96
	v_add_f32_e32 v95, v96, v95
	s_delay_alu instid0(VALU_DEP_1)
	v_add_f32_e32 v97, v95, v97
	v_add_co_u32 v95, vcc_lo, v9, v20
	v_add_co_ci_u32_e32 v96, vcc_lo, v10, v21, vcc_lo
	s_and_b32 vcc_lo, exec_lo, s0
	global_store_b32 v[95:96], v97, off
	s_cbranch_vccnz .LBB46_44
; %bb.43:
	v_add_co_u32 v95, vcc_lo, v46, v16
	v_add_co_ci_u32_e32 v96, vcc_lo, v109, v17, vcc_lo
	flat_load_b32 v11, v[95:96]
	s_waitcnt vmcnt(0) lgkmcnt(0)
	v_mul_f32_e32 v11, s15, v11
.LBB46_44:
	v_dual_min_f32 v46, v12, v110 :: v_dual_min_f32 v97, v14, v112
	v_dual_min_f32 v96, v13, v111 :: v_dual_add_nc_u32 v95, 64, v48
	v_min_f32_e32 v8, v15, v8
	s_delay_alu instid0(VALU_DEP_3) | instskip(NEXT) | instid1(VALU_DEP_3)
	v_add_f32_e32 v46, v46, v94
	v_add_f32_e32 v96, v96, v93
	s_delay_alu instid0(VALU_DEP_4) | instskip(NEXT) | instid1(VALU_DEP_3)
	v_mad_i64_i32 v[93:94], null, v95, s8, 0
	v_add_f32_e32 v46, v97, v46
	s_delay_alu instid0(VALU_DEP_3) | instskip(SKIP_3) | instid1(VALU_DEP_4)
	v_add_f32_e32 v8, v8, v96
	v_add_co_u32 v96, vcc_lo, v9, v16
	v_add_co_ci_u32_e32 v97, vcc_lo, v10, v17, vcc_lo
	v_lshlrev_b64 v[93:94], 2, v[93:94]
	v_add_f32_e32 v8, v46, v8
	s_delay_alu instid0(VALU_DEP_1) | instskip(NEXT) | instid1(VALU_DEP_3)
	v_add_f32_e32 v10, v8, v11
	v_add_co_u32 v8, vcc_lo, s4, v93
	v_mov_b32_e32 v93, 0
	v_add_co_ci_u32_e32 v9, vcc_lo, s5, v94, vcc_lo
	v_mov_b32_e32 v94, 0
	s_and_b32 vcc_lo, exec_lo, s0
	global_store_b32 v[96:97], v10, off
	s_cbranch_vccnz .LBB46_46
; %bb.45:
	v_add_co_u32 v10, vcc_lo, v8, v44
	v_add_co_ci_u32_e32 v11, vcc_lo, v9, v45, vcc_lo
	flat_load_b32 v10, v[10:11]
	s_waitcnt vmcnt(0) lgkmcnt(0)
	v_mul_f32_e32 v94, s15, v10
.LBB46_46:
	v_dual_max_f32 v10, v4, v4 :: v_dual_max_f32 v11, v5, v5
	v_max_f32_e32 v4, v7, v7
	v_max_f32_e32 v46, v6, v6
	v_mad_i64_i32 v[5:6], null, v95, s3, 0
	s_delay_alu instid0(VALU_DEP_4) | instskip(NEXT) | instid1(VALU_DEP_4)
	v_dual_min_f32 v7, v47, v10 :: v_dual_min_f32 v96, v49, v11
	v_min_f32_e32 v97, v43, v4
	s_delay_alu instid0(VALU_DEP_4) | instskip(NEXT) | instid1(VALU_DEP_3)
	v_min_f32_e32 v95, v42, v46
	v_add_f32_e32 v7, v7, v92
	s_delay_alu instid0(VALU_DEP_4) | instskip(SKIP_1) | instid1(VALU_DEP_3)
	v_add_f32_e32 v91, v96, v91
	v_lshlrev_b64 v[5:6], 2, v[5:6]
	v_add_f32_e32 v7, v95, v7
	s_delay_alu instid0(VALU_DEP_3) | instskip(NEXT) | instid1(VALU_DEP_3)
	v_add_f32_e32 v91, v97, v91
	v_add_co_u32 v5, vcc_lo, s1, v5
	s_delay_alu instid0(VALU_DEP_4) | instskip(NEXT) | instid1(VALU_DEP_3)
	v_add_co_ci_u32_e32 v6, vcc_lo, s6, v6, vcc_lo
	v_add_f32_e32 v7, v7, v91
	s_delay_alu instid0(VALU_DEP_3) | instskip(NEXT) | instid1(VALU_DEP_3)
	v_add_co_u32 v91, vcc_lo, v5, v44
	v_add_co_ci_u32_e32 v92, vcc_lo, v6, v45, vcc_lo
	s_delay_alu instid0(VALU_DEP_3)
	v_add_f32_e32 v7, v7, v94
	s_and_b32 vcc_lo, exec_lo, s0
	global_store_b32 v[91:92], v7, off
	s_cbranch_vccnz .LBB46_48
; %bb.47:
	v_add_co_u32 v91, vcc_lo, v8, v40
	v_add_co_ci_u32_e32 v92, vcc_lo, v9, v41, vcc_lo
	flat_load_b32 v7, v[91:92]
	s_waitcnt vmcnt(0) lgkmcnt(0)
	v_mul_f32_e32 v93, s15, v7
.LBB46_48:
	v_dual_min_f32 v7, v51, v11 :: v_dual_min_f32 v92, v38, v46
	v_dual_min_f32 v91, v50, v10 :: v_dual_min_f32 v94, v39, v4
	s_delay_alu instid0(VALU_DEP_2) | instskip(NEXT) | instid1(VALU_DEP_2)
	v_add_f32_e32 v7, v7, v89
	v_add_f32_e32 v89, v91, v90
	v_add_co_u32 v90, vcc_lo, v5, v40
	s_delay_alu instid0(VALU_DEP_3) | instskip(SKIP_1) | instid1(VALU_DEP_4)
	v_add_f32_e32 v7, v94, v7
	v_add_co_ci_u32_e32 v91, vcc_lo, v6, v41, vcc_lo
	v_add_f32_e32 v89, v92, v89
	s_and_b32 vcc_lo, exec_lo, s0
	s_delay_alu instid0(VALU_DEP_1) | instskip(NEXT) | instid1(VALU_DEP_1)
	v_add_f32_e32 v7, v89, v7
	v_dual_mov_b32 v89, 0 :: v_dual_add_f32 v92, v7, v93
	v_mov_b32_e32 v7, 0
	global_store_b32 v[90:91], v92, off
	s_cbranch_vccnz .LBB46_50
; %bb.49:
	v_add_co_u32 v89, vcc_lo, v8, v36
	v_add_co_ci_u32_e32 v90, vcc_lo, v9, v37, vcc_lo
	flat_load_b32 v89, v[89:90]
	s_waitcnt vmcnt(0) lgkmcnt(0)
	v_mul_f32_e32 v89, s15, v89
.LBB46_50:
	v_dual_min_f32 v90, v53, v11 :: v_dual_min_f32 v91, v52, v10
	v_dual_min_f32 v92, v34, v46 :: v_dual_min_f32 v93, v35, v4
	s_delay_alu instid0(VALU_DEP_2) | instskip(NEXT) | instid1(VALU_DEP_1)
	v_dual_add_f32 v87, v90, v87 :: v_dual_add_f32 v88, v91, v88
	v_dual_add_f32 v87, v93, v87 :: v_dual_add_f32 v88, v92, v88
	s_delay_alu instid0(VALU_DEP_1) | instskip(NEXT) | instid1(VALU_DEP_1)
	v_add_f32_e32 v87, v88, v87
	v_add_f32_e32 v89, v87, v89
	v_add_co_u32 v87, vcc_lo, v5, v36
	v_add_co_ci_u32_e32 v88, vcc_lo, v6, v37, vcc_lo
	s_and_b32 vcc_lo, exec_lo, s0
	global_store_b32 v[87:88], v89, off
	s_cbranch_vccnz .LBB46_52
; %bb.51:
	v_add_co_u32 v87, vcc_lo, v8, v32
	v_add_co_ci_u32_e32 v88, vcc_lo, v9, v33, vcc_lo
	flat_load_b32 v7, v[87:88]
	s_waitcnt vmcnt(0) lgkmcnt(0)
	v_mul_f32_e32 v7, s15, v7
.LBB46_52:
	v_dual_min_f32 v87, v55, v11 :: v_dual_min_f32 v88, v54, v10
	v_dual_min_f32 v89, v30, v46 :: v_dual_min_f32 v90, v31, v4
	s_delay_alu instid0(VALU_DEP_2) | instskip(NEXT) | instid1(VALU_DEP_1)
	v_dual_add_f32 v85, v87, v85 :: v_dual_add_f32 v86, v88, v86
	v_dual_add_f32 v85, v90, v85 :: v_dual_add_f32 v86, v89, v86
	s_delay_alu instid0(VALU_DEP_1) | instskip(SKIP_2) | instid1(VALU_DEP_3)
	v_add_f32_e32 v85, v86, v85
	v_add_co_u32 v86, vcc_lo, v5, v32
	v_add_co_ci_u32_e32 v87, vcc_lo, v6, v33, vcc_lo
	v_dual_add_f32 v88, v85, v7 :: v_dual_mov_b32 v7, 0
	v_mov_b32_e32 v85, 0
	s_and_b32 vcc_lo, exec_lo, s0
	global_store_b32 v[86:87], v88, off
	s_cbranch_vccnz .LBB46_54
; %bb.53:
	v_add_co_u32 v85, vcc_lo, v8, v28
	v_add_co_ci_u32_e32 v86, vcc_lo, v9, v29, vcc_lo
	flat_load_b32 v85, v[85:86]
	s_waitcnt vmcnt(0) lgkmcnt(0)
	v_mul_f32_e32 v85, s15, v85
.LBB46_54:
	v_dual_min_f32 v86, v65, v11 :: v_dual_min_f32 v87, v64, v10
	v_dual_min_f32 v88, v26, v46 :: v_dual_min_f32 v89, v27, v4
	s_delay_alu instid0(VALU_DEP_2) | instskip(NEXT) | instid1(VALU_DEP_1)
	v_dual_add_f32 v83, v86, v83 :: v_dual_add_f32 v84, v87, v84
	v_dual_add_f32 v83, v89, v83 :: v_dual_add_f32 v84, v88, v84
	s_delay_alu instid0(VALU_DEP_1) | instskip(NEXT) | instid1(VALU_DEP_1)
	v_add_f32_e32 v83, v84, v83
	v_add_f32_e32 v85, v83, v85
	v_add_co_u32 v83, vcc_lo, v5, v28
	v_add_co_ci_u32_e32 v84, vcc_lo, v6, v29, vcc_lo
	s_and_b32 vcc_lo, exec_lo, s0
	global_store_b32 v[83:84], v85, off
	s_cbranch_vccnz .LBB46_56
; %bb.55:
	v_add_co_u32 v83, vcc_lo, v8, v24
	v_add_co_ci_u32_e32 v84, vcc_lo, v9, v25, vcc_lo
	flat_load_b32 v7, v[83:84]
	s_waitcnt vmcnt(0) lgkmcnt(0)
	v_mul_f32_e32 v7, s15, v7
.LBB46_56:
	v_dual_min_f32 v83, v70, v11 :: v_dual_min_f32 v84, v68, v10
	v_dual_min_f32 v85, v22, v46 :: v_dual_min_f32 v86, v23, v4
	s_delay_alu instid0(VALU_DEP_2) | instskip(NEXT) | instid1(VALU_DEP_1)
	v_dual_add_f32 v81, v83, v81 :: v_dual_add_f32 v82, v84, v82
	v_dual_add_f32 v81, v86, v81 :: v_dual_add_f32 v82, v85, v82
	s_delay_alu instid0(VALU_DEP_1) | instskip(SKIP_2) | instid1(VALU_DEP_3)
	v_add_f32_e32 v81, v82, v81
	v_add_co_u32 v82, vcc_lo, v5, v24
	v_add_co_ci_u32_e32 v83, vcc_lo, v6, v25, vcc_lo
	v_dual_add_f32 v84, v81, v7 :: v_dual_mov_b32 v7, 0
	v_mov_b32_e32 v81, 0
	s_and_b32 vcc_lo, exec_lo, s0
	global_store_b32 v[82:83], v84, off
	s_cbranch_vccnz .LBB46_58
; %bb.57:
	v_add_co_u32 v81, vcc_lo, v8, v20
	v_add_co_ci_u32_e32 v82, vcc_lo, v9, v21, vcc_lo
	flat_load_b32 v81, v[81:82]
	s_waitcnt vmcnt(0) lgkmcnt(0)
	v_mul_f32_e32 v81, s15, v81
.LBB46_58:
	v_dual_min_f32 v82, v113, v11 :: v_dual_min_f32 v83, v80, v10
	v_dual_min_f32 v84, v18, v46 :: v_dual_min_f32 v85, v19, v4
	s_delay_alu instid0(VALU_DEP_2) | instskip(NEXT) | instid1(VALU_DEP_1)
	v_dual_add_f32 v78, v82, v78 :: v_dual_add_f32 v79, v83, v79
	v_dual_add_f32 v78, v85, v78 :: v_dual_add_f32 v79, v84, v79
	s_delay_alu instid0(VALU_DEP_1) | instskip(NEXT) | instid1(VALU_DEP_1)
	v_add_f32_e32 v78, v79, v78
	v_add_f32_e32 v81, v78, v81
	v_add_co_u32 v78, vcc_lo, v5, v20
	v_add_co_ci_u32_e32 v79, vcc_lo, v6, v21, vcc_lo
	s_and_b32 vcc_lo, exec_lo, s0
	global_store_b32 v[78:79], v81, off
	s_cbranch_vccnz .LBB46_60
; %bb.59:
	v_add_co_u32 v7, vcc_lo, v8, v16
	v_add_co_ci_u32_e32 v8, vcc_lo, v9, v17, vcc_lo
	flat_load_b32 v7, v[7:8]
	s_waitcnt vmcnt(0) lgkmcnt(0)
	v_mul_f32_e32 v7, s15, v7
.LBB46_60:
	v_dual_min_f32 v8, v12, v10 :: v_dual_add_nc_u32 v9, 0x60, v48
	v_min_f32_e32 v10, v13, v11
	v_min_f32_e32 v46, v14, v46
	;; [unrolled: 1-line block ×3, first 2 shown]
	s_delay_alu instid0(VALU_DEP_4) | instskip(NEXT) | instid1(VALU_DEP_4)
	v_add_f32_e32 v8, v8, v77
	v_add_f32_e32 v48, v10, v76
	v_mad_i64_i32 v[10:11], null, v9, s8, 0
	s_delay_alu instid0(VALU_DEP_3) | instskip(SKIP_1) | instid1(VALU_DEP_4)
	v_add_f32_e32 v8, v46, v8
	v_add_co_u32 v76, vcc_lo, v5, v16
	v_add_f32_e32 v4, v4, v48
	v_add_co_ci_u32_e32 v77, vcc_lo, v6, v17, vcc_lo
	v_lshlrev_b64 v[10:11], 2, v[10:11]
	s_delay_alu instid0(VALU_DEP_3) | instskip(SKIP_1) | instid1(VALU_DEP_2)
	v_add_f32_e32 v4, v8, v4
	v_mov_b32_e32 v8, 0
	v_add_f32_e32 v6, v4, v7
	s_delay_alu instid0(VALU_DEP_4)
	v_add_co_u32 v4, vcc_lo, s4, v10
	v_add_co_ci_u32_e32 v5, vcc_lo, s5, v11, vcc_lo
	v_mov_b32_e32 v10, 0
	s_and_b32 vcc_lo, exec_lo, s0
	global_store_b32 v[76:77], v6, off
	s_cbranch_vccnz .LBB46_62
; %bb.61:
	v_add_co_u32 v6, vcc_lo, v4, v44
	v_add_co_ci_u32_e32 v7, vcc_lo, v5, v45, vcc_lo
	flat_load_b32 v6, v[6:7]
	s_waitcnt vmcnt(0) lgkmcnt(0)
	v_mul_f32_e32 v10, s15, v6
.LBB46_62:
	s_waitcnt lgkmcnt(0)
	v_dual_max_f32 v0, v0, v0 :: v_dual_max_f32 v1, v1, v1
	v_dual_max_f32 v2, v2, v2 :: v_dual_max_f32 v3, v3, v3
	v_mad_i64_i32 v[6:7], null, v9, s3, 0
	s_delay_alu instid0(VALU_DEP_3) | instskip(NEXT) | instid1(VALU_DEP_3)
	v_dual_min_f32 v11, v47, v0 :: v_dual_min_f32 v46, v49, v1
	v_dual_min_f32 v9, v42, v2 :: v_dual_min_f32 v42, v43, v3
	s_delay_alu instid0(VALU_DEP_2) | instskip(NEXT) | instid1(VALU_DEP_3)
	v_add_f32_e32 v11, v11, v75
	v_add_f32_e32 v43, v46, v74
	v_lshlrev_b64 v[6:7], 2, v[6:7]
	s_delay_alu instid0(VALU_DEP_3) | instskip(NEXT) | instid1(VALU_DEP_3)
	v_add_f32_e32 v9, v9, v11
	v_add_f32_e32 v42, v42, v43
	s_delay_alu instid0(VALU_DEP_3) | instskip(NEXT) | instid1(VALU_DEP_4)
	v_add_co_u32 v6, vcc_lo, s1, v6
	v_add_co_ci_u32_e32 v7, vcc_lo, s6, v7, vcc_lo
	s_delay_alu instid0(VALU_DEP_3) | instskip(NEXT) | instid1(VALU_DEP_1)
	v_add_f32_e32 v9, v9, v42
	v_add_f32_e32 v11, v9, v10
	s_delay_alu instid0(VALU_DEP_4) | instskip(NEXT) | instid1(VALU_DEP_4)
	v_add_co_u32 v9, vcc_lo, v6, v44
	v_add_co_ci_u32_e32 v10, vcc_lo, v7, v45, vcc_lo
	s_and_b32 vcc_lo, exec_lo, s0
	global_store_b32 v[9:10], v11, off
	s_cbranch_vccnz .LBB46_64
; %bb.63:
	v_add_co_u32 v8, vcc_lo, v4, v40
	v_add_co_ci_u32_e32 v9, vcc_lo, v5, v41, vcc_lo
	flat_load_b32 v8, v[8:9]
	s_waitcnt vmcnt(0) lgkmcnt(0)
	v_mul_f32_e32 v8, s15, v8
.LBB46_64:
	v_dual_min_f32 v9, v51, v1 :: v_dual_min_f32 v10, v50, v0
	v_dual_min_f32 v11, v38, v2 :: v_dual_min_f32 v38, v39, v3
	s_delay_alu instid0(VALU_DEP_2) | instskip(NEXT) | instid1(VALU_DEP_1)
	v_dual_add_f32 v9, v9, v72 :: v_dual_add_f32 v10, v10, v73
	v_dual_add_f32 v9, v38, v9 :: v_dual_add_f32 v10, v11, v10
	s_delay_alu instid0(VALU_DEP_1) | instskip(SKIP_2) | instid1(VALU_DEP_3)
	v_add_f32_e32 v9, v10, v9
	v_add_co_u32 v10, vcc_lo, v6, v40
	v_add_co_ci_u32_e32 v11, vcc_lo, v7, v41, vcc_lo
	v_dual_add_f32 v38, v9, v8 :: v_dual_mov_b32 v9, 0
	v_mov_b32_e32 v8, 0
	s_and_b32 vcc_lo, exec_lo, s0
	global_store_b32 v[10:11], v38, off
	s_cbranch_vccnz .LBB46_66
; %bb.65:
	v_add_co_u32 v9, vcc_lo, v4, v36
	v_add_co_ci_u32_e32 v10, vcc_lo, v5, v37, vcc_lo
	flat_load_b32 v9, v[9:10]
	s_waitcnt vmcnt(0) lgkmcnt(0)
	v_mul_f32_e32 v9, s15, v9
.LBB46_66:
	v_dual_min_f32 v10, v53, v1 :: v_dual_min_f32 v11, v52, v0
	v_dual_min_f32 v34, v34, v2 :: v_dual_min_f32 v35, v35, v3
	s_delay_alu instid0(VALU_DEP_2) | instskip(NEXT) | instid1(VALU_DEP_1)
	v_dual_add_f32 v10, v10, v69 :: v_dual_add_f32 v11, v11, v71
	v_dual_add_f32 v10, v35, v10 :: v_dual_add_f32 v11, v34, v11
	s_delay_alu instid0(VALU_DEP_1) | instskip(NEXT) | instid1(VALU_DEP_1)
	v_add_f32_e32 v10, v11, v10
	v_add_f32_e32 v11, v10, v9
	v_add_co_u32 v9, vcc_lo, v6, v36
	v_add_co_ci_u32_e32 v10, vcc_lo, v7, v37, vcc_lo
	s_and_b32 vcc_lo, exec_lo, s0
	global_store_b32 v[9:10], v11, off
	s_cbranch_vccnz .LBB46_68
; %bb.67:
	v_add_co_u32 v8, vcc_lo, v4, v32
	v_add_co_ci_u32_e32 v9, vcc_lo, v5, v33, vcc_lo
	flat_load_b32 v8, v[8:9]
	s_waitcnt vmcnt(0) lgkmcnt(0)
	v_mul_f32_e32 v8, s15, v8
.LBB46_68:
	v_dual_min_f32 v9, v55, v1 :: v_dual_min_f32 v10, v54, v0
	v_dual_min_f32 v11, v30, v2 :: v_dual_min_f32 v30, v31, v3
	s_delay_alu instid0(VALU_DEP_2) | instskip(NEXT) | instid1(VALU_DEP_1)
	v_dual_add_f32 v9, v9, v66 :: v_dual_add_f32 v10, v10, v67
	v_dual_add_f32 v9, v30, v9 :: v_dual_add_f32 v10, v11, v10
	s_delay_alu instid0(VALU_DEP_1) | instskip(SKIP_2) | instid1(VALU_DEP_3)
	v_add_f32_e32 v9, v10, v9
	v_add_co_u32 v10, vcc_lo, v6, v32
	v_add_co_ci_u32_e32 v11, vcc_lo, v7, v33, vcc_lo
	v_dual_add_f32 v30, v9, v8 :: v_dual_mov_b32 v9, 0
	v_mov_b32_e32 v8, 0
	s_and_b32 vcc_lo, exec_lo, s0
	global_store_b32 v[10:11], v30, off
	s_cbranch_vccnz .LBB46_70
; %bb.69:
	v_add_co_u32 v9, vcc_lo, v4, v28
	v_add_co_ci_u32_e32 v10, vcc_lo, v5, v29, vcc_lo
	flat_load_b32 v9, v[9:10]
	s_waitcnt vmcnt(0) lgkmcnt(0)
	v_mul_f32_e32 v9, s15, v9
.LBB46_70:
	v_dual_min_f32 v10, v65, v1 :: v_dual_min_f32 v11, v64, v0
	v_dual_min_f32 v26, v26, v2 :: v_dual_min_f32 v27, v27, v3
	s_delay_alu instid0(VALU_DEP_2) | instskip(NEXT) | instid1(VALU_DEP_1)
	v_dual_add_f32 v10, v10, v62 :: v_dual_add_f32 v11, v11, v63
	v_dual_add_f32 v10, v27, v10 :: v_dual_add_f32 v11, v26, v11
	s_delay_alu instid0(VALU_DEP_1) | instskip(NEXT) | instid1(VALU_DEP_1)
	v_add_f32_e32 v10, v11, v10
	v_add_f32_e32 v11, v10, v9
	v_add_co_u32 v9, vcc_lo, v6, v28
	v_add_co_ci_u32_e32 v10, vcc_lo, v7, v29, vcc_lo
	s_and_b32 vcc_lo, exec_lo, s0
	global_store_b32 v[9:10], v11, off
	s_cbranch_vccnz .LBB46_72
; %bb.71:
	v_add_co_u32 v8, vcc_lo, v4, v24
	v_add_co_ci_u32_e32 v9, vcc_lo, v5, v25, vcc_lo
	flat_load_b32 v8, v[8:9]
	s_waitcnt vmcnt(0) lgkmcnt(0)
	v_mul_f32_e32 v8, s15, v8
.LBB46_72:
	v_dual_min_f32 v9, v70, v1 :: v_dual_min_f32 v10, v68, v0
	v_dual_min_f32 v11, v22, v2 :: v_dual_min_f32 v22, v23, v3
	;; [unrolled: 1-line block ×3, first 2 shown]
	s_delay_alu instid0(VALU_DEP_3) | instskip(NEXT) | instid1(VALU_DEP_2)
	v_dual_add_f32 v9, v9, v60 :: v_dual_add_f32 v10, v10, v61
	v_dual_min_f32 v18, v18, v2 :: v_dual_add_f32 v23, v23, v59
	s_delay_alu instid0(VALU_DEP_2) | instskip(SKIP_2) | instid1(VALU_DEP_2)
	v_dual_add_f32 v9, v22, v9 :: v_dual_add_f32 v10, v11, v10
	v_min_f32_e32 v11, v19, v3
	v_add_f32_e32 v19, v26, v58
	v_dual_add_f32 v22, v10, v9 :: v_dual_add_f32 v11, v11, v23
	s_delay_alu instid0(VALU_DEP_2) | instskip(SKIP_2) | instid1(VALU_DEP_4)
	v_add_f32_e32 v18, v18, v19
	v_add_co_u32 v9, vcc_lo, v6, v24
	v_add_co_ci_u32_e32 v10, vcc_lo, v7, v25, vcc_lo
	v_add_f32_e32 v19, v22, v8
	s_delay_alu instid0(VALU_DEP_4)
	v_add_f32_e32 v8, v18, v11
	s_mov_b32 vcc_lo, s2
	global_store_b32 v[9:10], v19, off
	s_cbranch_vccz .LBB46_75
; %bb.73:
	v_add_co_u32 v9, vcc_lo, v6, v20
	v_add_f32_e32 v11, 0, v8
	v_add_co_ci_u32_e32 v10, vcc_lo, v7, v21, vcc_lo
	s_mov_b32 s0, 0
	global_store_b32 v[9:10], v11, off
	s_cbranch_execz .LBB46_76
; %bb.74:
	v_mov_b32_e32 v4, s0
	s_branch .LBB46_77
.LBB46_75:
	s_mov_b32 s0, -1
.LBB46_76:
	v_add_co_u32 v9, vcc_lo, v4, v20
	v_add_co_ci_u32_e32 v10, vcc_lo, v5, v21, vcc_lo
	flat_load_b32 v11, v[9:10]
	v_add_co_u32 v9, vcc_lo, v6, v20
	v_add_co_ci_u32_e32 v10, vcc_lo, v7, v21, vcc_lo
	v_add_co_u32 v4, vcc_lo, v4, v16
	v_add_co_ci_u32_e32 v5, vcc_lo, v5, v17, vcc_lo
	s_waitcnt vmcnt(0) lgkmcnt(0)
	v_fmac_f32_e32 v8, s15, v11
	global_store_b32 v[9:10], v8, off
	flat_load_b32 v4, v[4:5]
	s_waitcnt vmcnt(0) lgkmcnt(0)
	v_mul_f32_e32 v4, s15, v4
.LBB46_77:
	v_dual_min_f32 v1, v13, v1 :: v_dual_min_f32 v0, v12, v0
	v_dual_min_f32 v2, v14, v2 :: v_dual_min_f32 v3, v15, v3
	s_delay_alu instid0(VALU_DEP_2) | instskip(NEXT) | instid1(VALU_DEP_1)
	v_dual_add_f32 v1, v1, v56 :: v_dual_add_f32 v0, v0, v57
	v_dual_add_f32 v1, v3, v1 :: v_dual_add_f32 v0, v2, v0
	s_delay_alu instid0(VALU_DEP_1) | instskip(NEXT) | instid1(VALU_DEP_1)
	v_add_f32_e32 v0, v0, v1
	v_add_f32_e32 v2, v0, v4
	v_add_co_u32 v0, vcc_lo, v6, v16
	v_add_co_ci_u32_e32 v1, vcc_lo, v7, v17, vcc_lo
	global_store_b32 v[0:1], v2, off
	s_nop 0
	s_sendmsg sendmsg(MSG_DEALLOC_VGPRS)
	s_endpgm
	.section	.rodata,"a",@progbits
	.p2align	6, 0x0
	.amdhsa_kernel _ZN12_GLOBAL__N_120geam_min_plus_kernelIf15HIP_vector_typeIfLj2EES2_Li8ELi32ELi64ELi128ELi4ELi4ELi64ELi64ELi4ELc84ELc84ELb1ELb0ELb0EfKPKfKPfEEviiiT16_PT17_ilSA_ilS8_SA_ilPT18_ili26rocblas_geam_ex_operation_
		.amdhsa_group_segment_fixed_size 6144
		.amdhsa_private_segment_fixed_size 0
		.amdhsa_kernarg_size 128
		.amdhsa_user_sgpr_count 14
		.amdhsa_user_sgpr_dispatch_ptr 0
		.amdhsa_user_sgpr_queue_ptr 0
		.amdhsa_user_sgpr_kernarg_segment_ptr 1
		.amdhsa_user_sgpr_dispatch_id 0
		.amdhsa_user_sgpr_private_segment_size 0
		.amdhsa_wavefront_size32 1
		.amdhsa_uses_dynamic_stack 0
		.amdhsa_enable_private_segment 0
		.amdhsa_system_sgpr_workgroup_id_x 1
		.amdhsa_system_sgpr_workgroup_id_y 0
		.amdhsa_system_sgpr_workgroup_id_z 1
		.amdhsa_system_sgpr_workgroup_info 0
		.amdhsa_system_vgpr_workitem_id 1
		.amdhsa_next_free_vgpr 224
		.amdhsa_next_free_sgpr 22
		.amdhsa_reserve_vcc 1
		.amdhsa_float_round_mode_32 0
		.amdhsa_float_round_mode_16_64 0
		.amdhsa_float_denorm_mode_32 3
		.amdhsa_float_denorm_mode_16_64 3
		.amdhsa_dx10_clamp 1
		.amdhsa_ieee_mode 1
		.amdhsa_fp16_overflow 0
		.amdhsa_workgroup_processor_mode 1
		.amdhsa_memory_ordered 1
		.amdhsa_forward_progress 0
		.amdhsa_shared_vgpr_count 0
		.amdhsa_exception_fp_ieee_invalid_op 0
		.amdhsa_exception_fp_denorm_src 0
		.amdhsa_exception_fp_ieee_div_zero 0
		.amdhsa_exception_fp_ieee_overflow 0
		.amdhsa_exception_fp_ieee_underflow 0
		.amdhsa_exception_fp_ieee_inexact 0
		.amdhsa_exception_int_div_zero 0
	.end_amdhsa_kernel
	.section	.text._ZN12_GLOBAL__N_120geam_min_plus_kernelIf15HIP_vector_typeIfLj2EES2_Li8ELi32ELi64ELi128ELi4ELi4ELi64ELi64ELi4ELc84ELc84ELb1ELb0ELb0EfKPKfKPfEEviiiT16_PT17_ilSA_ilS8_SA_ilPT18_ili26rocblas_geam_ex_operation_,"axG",@progbits,_ZN12_GLOBAL__N_120geam_min_plus_kernelIf15HIP_vector_typeIfLj2EES2_Li8ELi32ELi64ELi128ELi4ELi4ELi64ELi64ELi4ELc84ELc84ELb1ELb0ELb0EfKPKfKPfEEviiiT16_PT17_ilSA_ilS8_SA_ilPT18_ili26rocblas_geam_ex_operation_,comdat
.Lfunc_end46:
	.size	_ZN12_GLOBAL__N_120geam_min_plus_kernelIf15HIP_vector_typeIfLj2EES2_Li8ELi32ELi64ELi128ELi4ELi4ELi64ELi64ELi4ELc84ELc84ELb1ELb0ELb0EfKPKfKPfEEviiiT16_PT17_ilSA_ilS8_SA_ilPT18_ili26rocblas_geam_ex_operation_, .Lfunc_end46-_ZN12_GLOBAL__N_120geam_min_plus_kernelIf15HIP_vector_typeIfLj2EES2_Li8ELi32ELi64ELi128ELi4ELi4ELi64ELi64ELi4ELc84ELc84ELb1ELb0ELb0EfKPKfKPfEEviiiT16_PT17_ilSA_ilS8_SA_ilPT18_ili26rocblas_geam_ex_operation_
                                        ; -- End function
	.section	.AMDGPU.csdata,"",@progbits
; Kernel info:
; codeLenInByte = 9720
; NumSgprs: 24
; NumVgprs: 224
; ScratchSize: 0
; MemoryBound: 0
; FloatMode: 240
; IeeeMode: 1
; LDSByteSize: 6144 bytes/workgroup (compile time only)
; SGPRBlocks: 2
; VGPRBlocks: 27
; NumSGPRsForWavesPerEU: 24
; NumVGPRsForWavesPerEU: 224
; Occupancy: 6
; WaveLimiterHint : 1
; COMPUTE_PGM_RSRC2:SCRATCH_EN: 0
; COMPUTE_PGM_RSRC2:USER_SGPR: 14
; COMPUTE_PGM_RSRC2:TRAP_HANDLER: 0
; COMPUTE_PGM_RSRC2:TGID_X_EN: 1
; COMPUTE_PGM_RSRC2:TGID_Y_EN: 0
; COMPUTE_PGM_RSRC2:TGID_Z_EN: 1
; COMPUTE_PGM_RSRC2:TIDIG_COMP_CNT: 1
	.section	.text._ZN12_GLOBAL__N_120geam_min_plus_kernelIf15HIP_vector_typeIfLj2EES2_Li8ELi32ELi64ELi128ELi4ELi4ELi64ELi64ELi4ELc84ELc84ELb0ELb0ELb0EfKPKfKPfEEviiiT16_PT17_ilSA_ilS8_SA_ilPT18_ili26rocblas_geam_ex_operation_,"axG",@progbits,_ZN12_GLOBAL__N_120geam_min_plus_kernelIf15HIP_vector_typeIfLj2EES2_Li8ELi32ELi64ELi128ELi4ELi4ELi64ELi64ELi4ELc84ELc84ELb0ELb0ELb0EfKPKfKPfEEviiiT16_PT17_ilSA_ilS8_SA_ilPT18_ili26rocblas_geam_ex_operation_,comdat
	.globl	_ZN12_GLOBAL__N_120geam_min_plus_kernelIf15HIP_vector_typeIfLj2EES2_Li8ELi32ELi64ELi128ELi4ELi4ELi64ELi64ELi4ELc84ELc84ELb0ELb0ELb0EfKPKfKPfEEviiiT16_PT17_ilSA_ilS8_SA_ilPT18_ili26rocblas_geam_ex_operation_ ; -- Begin function _ZN12_GLOBAL__N_120geam_min_plus_kernelIf15HIP_vector_typeIfLj2EES2_Li8ELi32ELi64ELi128ELi4ELi4ELi64ELi64ELi4ELc84ELc84ELb0ELb0ELb0EfKPKfKPfEEviiiT16_PT17_ilSA_ilS8_SA_ilPT18_ili26rocblas_geam_ex_operation_
	.p2align	8
	.type	_ZN12_GLOBAL__N_120geam_min_plus_kernelIf15HIP_vector_typeIfLj2EES2_Li8ELi32ELi64ELi128ELi4ELi4ELi64ELi64ELi4ELc84ELc84ELb0ELb0ELb0EfKPKfKPfEEviiiT16_PT17_ilSA_ilS8_SA_ilPT18_ili26rocblas_geam_ex_operation_,@function
_ZN12_GLOBAL__N_120geam_min_plus_kernelIf15HIP_vector_typeIfLj2EES2_Li8ELi32ELi64ELi128ELi4ELi4ELi64ELi64ELi4ELc84ELc84ELb0ELb0ELb0EfKPKfKPfEEviiiT16_PT17_ilSA_ilS8_SA_ilPT18_ili26rocblas_geam_ex_operation_: ; @_ZN12_GLOBAL__N_120geam_min_plus_kernelIf15HIP_vector_typeIfLj2EES2_Li8ELi32ELi64ELi128ELi4ELi4ELi64ELi64ELi4ELc84ELc84ELb0ELb0ELb0EfKPKfKPfEEviiiT16_PT17_ilSA_ilS8_SA_ilPT18_ili26rocblas_geam_ex_operation_
; %bb.0:
	s_clause 0x1
	s_load_b64 s[8:9], s[0:1], 0x8
	s_load_b128 s[4:7], s[0:1], 0x20
	s_mov_b32 s16, s15
	s_mov_b32 s17, 0
	s_waitcnt lgkmcnt(0)
	v_cmp_eq_f32_e64 s2, s9, 0
	s_delay_alu instid0(VALU_DEP_1)
	s_and_b32 vcc_lo, exec_lo, s2
	s_cbranch_vccnz .LBB47_3
; %bb.1:
	s_load_b64 s[10:11], s[0:1], 0x10
	s_lshl_b64 s[12:13], s[16:17], 3
	s_waitcnt lgkmcnt(0)
	s_add_u32 s10, s10, s12
	s_addc_u32 s11, s11, s13
	s_lshl_b64 s[4:5], s[4:5], 2
	s_load_b64 s[10:11], s[10:11], 0x0
	s_waitcnt lgkmcnt(0)
	s_add_u32 s10, s10, s4
	s_addc_u32 s11, s11, s5
	s_and_not1_b32 vcc_lo, exec_lo, s2
	s_cbranch_vccnz .LBB47_4
.LBB47_2:
	s_mov_b64 s[12:13], 0
	s_and_not1_b32 vcc_lo, exec_lo, s17
	s_cbranch_vccz .LBB47_5
	s_branch .LBB47_6
.LBB47_3:
	s_mov_b64 s[10:11], 0
	s_and_not1_b32 vcc_lo, exec_lo, s2
	s_cbranch_vccz .LBB47_2
.LBB47_4:
	s_mov_b32 s17, -1
                                        ; implicit-def: $sgpr12_sgpr13
.LBB47_5:
	s_mov_b32 s17, 0
	s_load_b64 s[4:5], s[0:1], 0x38
	s_lshl_b64 s[2:3], s[16:17], 3
	s_delay_alu instid0(SALU_CYCLE_1) | instskip(SKIP_4) | instid1(SALU_CYCLE_1)
	s_add_u32 s2, s6, s2
	s_addc_u32 s3, s7, s3
	s_load_b64 s[2:3], s[2:3], 0x0
	s_waitcnt lgkmcnt(0)
	s_lshl_b64 s[4:5], s[4:5], 2
	s_add_u32 s12, s2, s4
	s_addc_u32 s13, s3, s5
.LBB47_6:
	s_clause 0x1
	s_load_b32 s18, s[0:1], 0x40
	s_load_b128 s[4:7], s[0:1], 0x58
	v_cmp_neq_f32_e64 s15, s9, 0
	s_waitcnt lgkmcnt(0)
	v_cmp_eq_f32_e64 s2, s18, 0
	s_delay_alu instid0(VALU_DEP_1) | instskip(NEXT) | instid1(SALU_CYCLE_1)
	s_and_b32 s2, exec_lo, s2
	s_mov_b32 vcc_lo, s2
	s_cbranch_vccnz .LBB47_8
; %bb.7:
	s_load_b64 s[20:21], s[0:1], 0x48
	s_lshl_b64 s[22:23], s[16:17], 3
	s_waitcnt lgkmcnt(0)
	s_add_u32 s20, s20, s22
	s_addc_u32 s21, s21, s23
	s_lshl_b64 s[4:5], s[4:5], 2
	s_load_b64 s[20:21], s[20:21], 0x0
	s_waitcnt lgkmcnt(0)
	s_add_u32 s4, s20, s4
	s_addc_u32 s5, s21, s5
	s_branch .LBB47_9
.LBB47_8:
	s_mov_b64 s[4:5], 0
.LBB47_9:
	s_clause 0x1
	s_load_b32 s3, s[0:1], 0x0
	s_load_b32 s19, s[0:1], 0x18
	s_lshl_b64 s[16:17], s[16:17], 3
	v_and_b32_e32 v54, 0x3ff, v0
	s_add_u32 s6, s6, s16
	s_addc_u32 s7, s7, s17
	v_bfe_u32 v55, v0, 10, 10
	v_cndmask_b32_e64 v0, 0, 1, s15
	v_and_b32_e32 v2, 3, v54
	s_delay_alu instid0(VALU_DEP_1) | instskip(SKIP_2) | instid1(SALU_CYCLE_1)
	v_lshlrev_b32_e32 v2, 2, v2
	s_waitcnt lgkmcnt(0)
	s_add_i32 s3, s3, -1
	s_ashr_i32 s16, s3, 31
	s_delay_alu instid0(SALU_CYCLE_1) | instskip(NEXT) | instid1(SALU_CYCLE_1)
	s_lshr_b32 s16, s16, 26
	s_add_i32 s3, s3, s16
	s_delay_alu instid0(SALU_CYCLE_1) | instskip(NEXT) | instid1(SALU_CYCLE_1)
	s_ashr_i32 s3, s3, 6
	s_add_i32 s16, s3, 1
	s_not_b32 s3, s3
	v_cvt_f32_u32_e32 v1, s16
	s_delay_alu instid0(VALU_DEP_1) | instskip(SKIP_2) | instid1(VALU_DEP_1)
	v_rcp_iflag_f32_e32 v1, v1
	s_waitcnt_depctr 0xfff
	v_mul_f32_e32 v1, 0x4f7ffffe, v1
	v_cvt_u32_f32_e32 v1, v1
	s_delay_alu instid0(VALU_DEP_1) | instskip(SKIP_1) | instid1(VALU_DEP_2)
	v_readfirstlane_b32 s17, v1
	v_lshl_add_u32 v1, v55, 3, v54
	s_mul_i32 s3, s3, s17
	s_delay_alu instid0(VALU_DEP_1) | instskip(SKIP_1) | instid1(SALU_CYCLE_1)
	v_lshrrev_b32_e32 v8, 2, v1
	s_mul_hi_u32 s3, s17, s3
	s_add_i32 s17, s17, s3
	s_delay_alu instid0(SALU_CYCLE_1) | instskip(NEXT) | instid1(SALU_CYCLE_1)
	s_mul_hi_u32 s3, s14, s17
	s_mul_i32 s17, s3, s16
	s_add_i32 s20, s3, 1
	s_sub_i32 s17, s14, s17
	s_delay_alu instid0(SALU_CYCLE_1)
	s_sub_i32 s21, s17, s16
	s_cmp_ge_u32 s17, s16
	s_cselect_b32 s3, s20, s3
	s_cselect_b32 s17, s21, s17
	s_add_i32 s20, s3, 1
	s_cmp_ge_u32 s17, s16
	s_cselect_b32 s17, s20, s3
	s_and_not1_b32 vcc_lo, exec_lo, s15
	s_mul_i32 s3, s17, s16
	s_delay_alu instid0(SALU_CYCLE_1) | instskip(SKIP_2) | instid1(SALU_CYCLE_1)
	s_sub_i32 s14, s14, s3
	v_cmp_ne_u32_e64 s3, 1, v0
	s_lshl_b32 s16, s14, 6
	v_add_nc_u32_e32 v3, s16, v8
	s_cbranch_vccnz .LBB47_11
; %bb.10:
	s_delay_alu instid0(VALU_DEP_1) | instskip(NEXT) | instid1(VALU_DEP_1)
	v_mad_i64_i32 v[4:5], null, v3, s19, 0
	v_lshlrev_b64 v[4:5], 2, v[4:5]
	s_delay_alu instid0(VALU_DEP_1) | instskip(NEXT) | instid1(VALU_DEP_2)
	v_add_co_u32 v0, vcc_lo, s10, v4
	v_add_co_ci_u32_e32 v5, vcc_lo, s11, v5, vcc_lo
	s_delay_alu instid0(VALU_DEP_2) | instskip(NEXT) | instid1(VALU_DEP_2)
	v_add_co_u32 v4, vcc_lo, v0, v2
	v_add_co_ci_u32_e32 v5, vcc_lo, 0, v5, vcc_lo
	flat_load_b32 v0, v[4:5]
	s_waitcnt vmcnt(0) lgkmcnt(0)
	v_mul_f32_e32 v9, s9, v0
	s_branch .LBB47_12
.LBB47_11:
	v_mov_b32_e32 v9, 0
.LBB47_12:
	s_load_b32 s14, s[0:1], 0x30
	v_and_b32_e32 v5, 63, v1
	s_lshl_b32 s17, s17, 7
	v_lshrrev_b32_e32 v4, 6, v1
	s_and_b32 vcc_lo, exec_lo, s3
	s_delay_alu instid0(VALU_DEP_2) | instskip(NEXT) | instid1(VALU_DEP_1)
	v_or_b32_e32 v0, s17, v5
	v_ashrrev_i32_e32 v1, 31, v0
	s_waitcnt lgkmcnt(0)
	s_ashr_i32 s15, s14, 31
	s_cbranch_vccnz .LBB47_16
; %bb.13:
	v_mad_i64_i32 v[6:7], null, s14, v4, 0
	v_lshlrev_b64 v[10:11], 2, v[0:1]
	s_delay_alu instid0(VALU_DEP_2) | instskip(NEXT) | instid1(VALU_DEP_1)
	v_lshlrev_b64 v[6:7], 2, v[6:7]
	v_add_co_u32 v6, vcc_lo, s12, v6
	s_delay_alu instid0(VALU_DEP_2) | instskip(NEXT) | instid1(VALU_DEP_2)
	v_add_co_ci_u32_e32 v7, vcc_lo, s13, v7, vcc_lo
	v_add_co_u32 v6, vcc_lo, v6, v10
	s_delay_alu instid0(VALU_DEP_2)
	v_add_co_ci_u32_e32 v7, vcc_lo, v7, v11, vcc_lo
	s_clause 0x1
	flat_load_b32 v10, v[6:7]
	flat_load_b32 v6, v[6:7] offset:256
	s_waitcnt vmcnt(1) lgkmcnt(1)
	v_mul_f32_e32 v10, s9, v10
	s_waitcnt vmcnt(0) lgkmcnt(0)
	v_mul_f32_e32 v11, s9, v6
	s_and_b32 vcc_lo, exec_lo, s3
	s_cbranch_vccnz .LBB47_17
.LBB47_14:
	v_mad_i64_i32 v[6:7], null, v3, s19, 0
	s_delay_alu instid0(VALU_DEP_1) | instskip(NEXT) | instid1(VALU_DEP_1)
	v_lshlrev_b64 v[6:7], 2, v[6:7]
	v_add_co_u32 v6, vcc_lo, s10, v6
	s_delay_alu instid0(VALU_DEP_2) | instskip(NEXT) | instid1(VALU_DEP_2)
	v_add_co_ci_u32_e32 v7, vcc_lo, s11, v7, vcc_lo
	v_add_co_u32 v6, vcc_lo, v6, v2
	s_delay_alu instid0(VALU_DEP_2)
	v_add_co_ci_u32_e32 v7, vcc_lo, 0, v7, vcc_lo
	flat_load_b32 v6, v[6:7] offset:16
	s_waitcnt vmcnt(0) lgkmcnt(0)
	v_mul_f32_e32 v6, s9, v6
	s_and_b32 vcc_lo, exec_lo, s3
	s_cbranch_vccnz .LBB47_18
.LBB47_15:
	v_add_nc_u32_e32 v7, 4, v4
	v_lshlrev_b64 v[0:1], 2, v[0:1]
	s_delay_alu instid0(VALU_DEP_2) | instskip(NEXT) | instid1(VALU_DEP_1)
	v_mad_i64_i32 v[12:13], null, s14, v7, 0
	v_lshlrev_b64 v[12:13], 2, v[12:13]
	s_delay_alu instid0(VALU_DEP_1) | instskip(NEXT) | instid1(VALU_DEP_2)
	v_add_co_u32 v7, vcc_lo, s12, v12
	v_add_co_ci_u32_e32 v12, vcc_lo, s13, v13, vcc_lo
	s_delay_alu instid0(VALU_DEP_2) | instskip(NEXT) | instid1(VALU_DEP_2)
	v_add_co_u32 v0, vcc_lo, v7, v0
	v_add_co_ci_u32_e32 v1, vcc_lo, v12, v1, vcc_lo
	s_clause 0x1
	flat_load_b32 v7, v[0:1]
	flat_load_b32 v0, v[0:1] offset:256
	s_waitcnt vmcnt(1) lgkmcnt(1)
	v_mul_f32_e32 v1, s9, v7
	s_waitcnt vmcnt(0) lgkmcnt(0)
	v_mul_f32_e32 v7, s9, v0
	s_branch .LBB47_19
.LBB47_16:
	v_dual_mov_b32 v10, 0 :: v_dual_mov_b32 v11, 0
	s_and_b32 vcc_lo, exec_lo, s3
	s_cbranch_vccz .LBB47_14
.LBB47_17:
	v_mov_b32_e32 v6, 0
	s_and_b32 vcc_lo, exec_lo, s3
	s_cbranch_vccz .LBB47_15
.LBB47_18:
	v_mov_b32_e32 v1, 0
	v_mov_b32_e32 v7, 0
.LBB47_19:
	v_lshlrev_b32_e32 v12, 2, v4
	v_lshl_or_b32 v0, v8, 4, v2
	v_lshlrev_b32_e32 v56, 4, v55
	v_lshlrev_b32_e32 v57, 4, v54
	s_load_b64 s[6:7], s[6:7], 0x0
	v_lshl_add_u32 v70, v5, 4, v12
	s_cmp_lt_i32 s8, 9
	ds_store_b32 v0, v9 offset:4096
	ds_store_2addr_stride64_b32 v70, v10, v11 offset1:4
	s_waitcnt lgkmcnt(0)
	s_barrier
	buffer_gl0_inv
	ds_load_b128 v[8:11], v56
	ds_load_b128 v[12:15], v57 offset:4096
	ds_load_b128 v[16:19], v57 offset:4224
	;; [unrolled: 1-line block ×11, first 2 shown]
	ds_store_b32 v0, v6 offset:5120
	ds_store_2addr_stride64_b32 v70, v1, v7 offset0:8 offset1:12
	s_waitcnt lgkmcnt(0)
	s_barrier
	buffer_gl0_inv
	v_dual_max_f32 v8, v8, v8 :: v_dual_max_f32 v9, v9, v9
	v_dual_max_f32 v16, v16, v16 :: v_dual_max_f32 v21, v21, v21
	;; [unrolled: 1-line block ×3, first 2 shown]
	s_delay_alu instid0(VALU_DEP_2) | instskip(SKIP_2) | instid1(VALU_DEP_4)
	v_dual_max_f32 v25, v25, v25 :: v_dual_min_f32 v62, v16, v8
	v_max_f32_e32 v28, v28, v28
	v_dual_max_f32 v12, v12, v12 :: v_dual_max_f32 v17, v17, v17
	v_dual_min_f32 v53, v13, v9 :: v_dual_min_f32 v64, v20, v8
	v_dual_max_f32 v29, v29, v29 :: v_dual_max_f32 v24, v24, v24
	v_min_f32_e32 v65, v21, v9
	v_dual_min_f32 v67, v25, v9 :: v_dual_min_f32 v68, v28, v8
	v_dual_max_f32 v33, v33, v33 :: v_dual_max_f32 v32, v32, v32
	v_dual_max_f32 v37, v37, v37 :: v_dual_max_f32 v36, v36, v36
	;; [unrolled: 1-line block ×5, first 2 shown]
	v_dual_min_f32 v52, v12, v8 :: v_dual_min_f32 v63, v17, v9
	v_dual_min_f32 v66, v24, v8 :: v_dual_min_f32 v69, v29, v9
	v_dual_min_f32 v71, v32, v8 :: v_dual_min_f32 v72, v33, v9
	v_dual_min_f32 v73, v36, v8 :: v_dual_min_f32 v74, v37, v9
	v_dual_min_f32 v8, v40, v8 :: v_dual_max_f32 v15, v15, v15
	v_dual_min_f32 v9, v41, v9 :: v_dual_max_f32 v14, v14, v14
	;; [unrolled: 1-line block ×3, first 2 shown]
	v_dual_max_f32 v19, v19, v19 :: v_dual_min_f32 v76, v13, v45
	v_dual_min_f32 v77, v16, v44 :: v_dual_min_f32 v78, v17, v45
	v_dual_min_f32 v79, v20, v44 :: v_dual_min_f32 v80, v21, v45
	;; [unrolled: 1-line block ×3, first 2 shown]
	v_min_f32_e32 v83, v28, v44
	v_dual_min_f32 v84, v32, v44 :: v_dual_max_f32 v39, v39, v39
	v_dual_max_f32 v48, v48, v48 :: v_dual_max_f32 v43, v43, v43
	v_dual_max_f32 v38, v38, v38 :: v_dual_min_f32 v85, v36, v44
	v_dual_min_f32 v44, v40, v44 :: v_dual_max_f32 v49, v49, v49
	v_dual_max_f32 v46, v46, v46 :: v_dual_max_f32 v59, v59, v59
	s_delay_alu instid0(VALU_DEP_4)
	v_dual_max_f32 v58, v58, v58 :: v_dual_min_f32 v127, v36, v48
	v_dual_max_f32 v22, v22, v22 :: v_dual_max_f32 v23, v23, v23
	v_dual_max_f32 v26, v26, v26 :: v_dual_max_f32 v27, v27, v27
	v_dual_min_f32 v86, v12, v48 :: v_dual_max_f32 v47, v47, v47
	v_dual_max_f32 v42, v42, v42 :: v_dual_min_f32 v123, v20, v48
	v_dual_min_f32 v88, v16, v48 :: v_dual_max_f32 v51, v51, v51
	v_dual_min_f32 v124, v24, v48 :: v_dual_max_f32 v61, v61, v61
	v_dual_max_f32 v50, v50, v50 :: v_dual_max_f32 v125, v60, v60
	v_dual_min_f32 v60, v28, v48 :: v_dual_min_f32 v87, v33, v45
	v_dual_min_f32 v126, v32, v48 :: v_dual_min_f32 v89, v37, v45
	v_min_f32_e32 v48, v40, v48
	v_dual_min_f32 v12, v12, v58 :: v_dual_min_f32 v91, v17, v49
	v_dual_min_f32 v16, v16, v58 :: v_dual_min_f32 v129, v25, v49
	;; [unrolled: 1-line block ×3, first 2 shown]
	v_min_f32_e32 v24, v24, v58
	v_min_f32_e32 v28, v28, v58
	v_dual_min_f32 v32, v32, v58 :: v_dual_min_f32 v17, v17, v59
	v_min_f32_e32 v36, v36, v58
	v_dual_min_f32 v40, v40, v58 :: v_dual_min_f32 v25, v25, v59
	v_min_f32_e32 v58, v29, v45
	v_min_f32_e32 v45, v41, v45
	v_dual_min_f32 v90, v13, v49 :: v_dual_add_f32 v63, 0, v63
	v_dual_min_f32 v128, v21, v49 :: v_dual_min_f32 v93, v19, v11
	v_dual_min_f32 v130, v29, v49 :: v_dual_min_f32 v95, v23, v11
	v_min_f32_e32 v132, v37, v49
	v_min_f32_e32 v49, v41, v49
	;; [unrolled: 1-line block ×4, first 2 shown]
	v_dual_min_f32 v29, v29, v59 :: v_dual_add_f32 v52, 0, v52
	v_dual_min_f32 v33, v33, v59 :: v_dual_min_f32 v92, v14, v10
	v_dual_min_f32 v37, v37, v59 :: v_dual_add_f32 v62, 0, v62
	v_dual_min_f32 v41, v41, v59 :: v_dual_min_f32 v94, v18, v10
	s_delay_alu instid0(VALU_DEP_3) | instskip(SKIP_4) | instid1(VALU_DEP_4)
	v_dual_add_f32 v53, 0, v53 :: v_dual_add_f32 v122, v92, v52
	v_dual_min_f32 v59, v15, v11 :: v_dual_max_f32 v30, v30, v30
	v_dual_max_f32 v31, v31, v31 :: v_dual_max_f32 v34, v34, v34
	v_max_f32_e32 v35, v35, v35
	v_dual_add_f32 v65, 0, v65 :: v_dual_add_f32 v120, v94, v62
	v_dual_add_f32 v121, v59, v53 :: v_dual_add_f32 v52, 0, v64
	v_min_f32_e32 v53, v22, v10
	v_add_f32_e32 v59, 0, v67
	v_min_f32_e32 v62, v27, v11
	v_dual_add_f32 v119, v93, v63 :: v_dual_min_f32 v64, v26, v10
	v_add_f32_e32 v117, v95, v65
	v_add_f32_e32 v63, 0, v66
	v_dual_add_f32 v65, 0, v69 :: v_dual_min_f32 v66, v31, v11
	v_dual_add_f32 v118, v53, v52 :: v_dual_add_f32 v115, v62, v59
	v_dual_add_f32 v52, 0, v72 :: v_dual_min_f32 v53, v35, v11
	v_dual_min_f32 v62, v34, v10 :: v_dual_add_f32 v59, 0, v71
	v_dual_add_f32 v67, 0, v68 :: v_dual_add_f32 v116, v64, v63
	v_min_f32_e32 v68, v30, v10
	v_add_f32_e32 v113, v66, v65
	v_dual_add_f32 v63, 0, v74 :: v_dual_min_f32 v64, v39, v11
	v_dual_min_f32 v66, v38, v10 :: v_dual_add_f32 v65, 0, v73
	v_dual_add_f32 v112, v62, v59 :: v_dual_add_f32 v9, 0, v9
	v_dual_add_f32 v8, 0, v8 :: v_dual_min_f32 v11, v43, v11
	s_delay_alu instid0(VALU_DEP_3) | instskip(SKIP_1) | instid1(VALU_DEP_3)
	v_dual_add_f32 v110, v66, v65 :: v_dual_add_f32 v109, v64, v63
	v_dual_add_f32 v63, 0, v77 :: v_dual_min_f32 v64, v18, v46
	v_add_f32_e32 v107, v11, v9
	v_dual_min_f32 v9, v42, v10 :: v_dual_min_f32 v62, v19, v47
	v_dual_add_f32 v111, v53, v52 :: v_dual_add_f32 v52, 0, v75
	s_delay_alu instid0(VALU_DEP_2) | instskip(SKIP_3) | instid1(VALU_DEP_3)
	v_dual_min_f32 v11, v15, v47 :: v_dual_add_f32 v108, v9, v8
	v_dual_add_f32 v8, 0, v80 :: v_dual_min_f32 v53, v14, v46
	v_dual_add_f32 v104, v64, v63 :: v_dual_add_f32 v59, 0, v78
	v_dual_add_f32 v10, 0, v76 :: v_dual_min_f32 v9, v23, v47
	v_add_f32_e32 v106, v53, v52
	s_delay_alu instid0(VALU_DEP_3) | instskip(SKIP_1) | instid1(VALU_DEP_4)
	v_dual_add_f32 v52, 0, v82 :: v_dual_add_f32 v103, v62, v59
	v_dual_min_f32 v53, v27, v47 :: v_dual_add_f32 v58, 0, v58
	v_dual_add_f32 v105, v11, v10 :: v_dual_add_f32 v10, 0, v79
	s_delay_alu instid0(VALU_DEP_2) | instskip(SKIP_2) | instid1(VALU_DEP_3)
	v_dual_min_f32 v11, v22, v46 :: v_dual_add_f32 v98, v53, v52
	v_dual_add_f32 v59, 0, v81 :: v_dual_min_f32 v62, v26, v46
	v_dual_min_f32 v63, v31, v47 :: v_dual_add_f32 v52, 0, v84
	v_dual_add_f32 v102, v11, v10 :: v_dual_add_f32 v101, v9, v8
	s_delay_alu instid0(VALU_DEP_2)
	v_dual_add_f32 v100, v62, v59 :: v_dual_add_f32 v97, v63, v58
	v_dual_add_f32 v8, 0, v83 :: v_dual_min_f32 v9, v30, v46
	v_add_f32_e32 v10, 0, v87
	v_dual_min_f32 v11, v35, v47 :: v_dual_add_f32 v58, 0, v89
	v_dual_min_f32 v53, v34, v46 :: v_dual_add_f32 v62, 0, v85
	v_min_f32_e32 v59, v39, v47
	v_min_f32_e32 v63, v38, v46
	v_add_f32_e32 v99, v9, v8
	v_dual_add_f32 v95, v11, v10 :: v_dual_add_f32 v10, 0, v44
	s_delay_alu instid0(VALU_DEP_4)
	v_dual_add_f32 v96, v53, v52 :: v_dual_add_f32 v93, v59, v58
	v_add_f32_e32 v52, 0, v91
	v_dual_add_f32 v8, 0, v45 :: v_dual_min_f32 v9, v43, v47
	v_add_f32_e32 v44, 0, v90
	v_min_f32_e32 v11, v42, v46
	v_dual_min_f32 v45, v15, v51 :: v_dual_add_f32 v46, 0, v86
	v_min_f32_e32 v47, v14, v50
	v_min_f32_e32 v53, v19, v51
	v_add_f32_e32 v91, v9, v8
	v_add_f32_e32 v8, 0, v88
	v_add_f32_e32 v92, v11, v10
	v_dual_min_f32 v9, v18, v50 :: v_dual_add_f32 v10, 0, v128
	v_dual_add_f32 v89, v45, v44 :: v_dual_add_f32 v90, v47, v46
	v_dual_add_f32 v46, 0, v129 :: v_dual_add_f32 v87, v53, v52
	v_add_f32_e32 v44, 0, v123
	v_dual_add_f32 v52, 0, v124 :: v_dual_min_f32 v11, v23, v51
	v_dual_add_f32 v88, v9, v8 :: v_dual_min_f32 v53, v26, v50
	;; [unrolled: 1-line block ×3, first 2 shown]
	s_delay_alu instid0(VALU_DEP_3) | instskip(NEXT) | instid1(VALU_DEP_3)
	v_dual_add_f32 v85, v11, v10 :: v_dual_add_f32 v10, 0, v60
	v_dual_min_f32 v45, v22, v50 :: v_dual_add_f32 v84, v53, v52
	v_min_f32_e32 v47, v27, v51
	v_dual_min_f32 v53, v39, v51 :: v_dual_add_f32 v12, 0, v12
	s_delay_alu instid0(VALU_DEP_3) | instskip(NEXT) | instid1(VALU_DEP_3)
	v_add_f32_e32 v86, v45, v44
	v_dual_add_f32 v44, 0, v131 :: v_dual_add_f32 v83, v47, v46
	v_dual_add_f32 v52, 0, v132 :: v_dual_min_f32 v45, v35, v51
	v_add_f32_e32 v46, 0, v126
	v_min_f32_e32 v11, v30, v50
	v_min_f32_e32 v47, v34, v50
	s_delay_alu instid0(VALU_DEP_4) | instskip(NEXT) | instid1(VALU_DEP_3)
	v_dual_min_f32 v19, v19, v61 :: v_dual_add_f32 v78, v45, v44
	v_dual_add_f32 v81, v9, v8 :: v_dual_add_f32 v82, v11, v10
	v_dual_add_f32 v8, 0, v127 :: v_dual_min_f32 v9, v38, v50
	v_add_f32_e32 v44, 0, v48
	v_dual_add_f32 v10, 0, v49 :: v_dual_min_f32 v11, v43, v51
	v_min_f32_e32 v45, v42, v50
	s_delay_alu instid0(VALU_DEP_4) | instskip(SKIP_1) | instid1(VALU_DEP_4)
	v_dual_min_f32 v14, v14, v125 :: v_dual_add_f32 v79, v9, v8
	v_min_f32_e32 v15, v15, v61
	v_dual_add_f32 v75, v11, v10 :: v_dual_add_f32 v10, 0, v20
	v_dual_add_f32 v8, 0, v16 :: v_dual_add_f32 v13, 0, v13
	;; [unrolled: 1-line block ×4, first 2 shown]
	v_dual_min_f32 v23, v23, v61 :: v_dual_add_f32 v114, v68, v67
	s_delay_alu instid0(VALU_DEP_4) | instskip(SKIP_2) | instid1(VALU_DEP_4)
	v_dual_add_f32 v74, v14, v12 :: v_dual_add_f32 v71, v15, v13
	v_add_f32_e32 v12, 0, v24
	v_add_f32_e32 v14, 0, v28
	v_dual_min_f32 v18, v18, v125 :: v_dual_add_f32 v67, v23, v11
	v_add_f32_e32 v72, v19, v9
	v_min_f32_e32 v9, v26, v125
	v_min_f32_e32 v11, v30, v125
	s_delay_alu instid0(VALU_DEP_4)
	v_add_f32_e32 v73, v18, v8
	v_min_f32_e32 v22, v22, v125
	v_dual_add_f32 v13, 0, v25 :: v_dual_add_f32 v20, 0, v36
	v_dual_add_f32 v15, 0, v29 :: v_dual_add_f32 v24, 0, v40
	;; [unrolled: 1-line block ×3, first 2 shown]
	v_add_f32_e32 v65, v11, v14
	v_dual_min_f32 v8, v27, v61 :: v_dual_add_f32 v69, v22, v10
	v_min_f32_e32 v9, v34, v125
	v_min_f32_e32 v10, v31, v61
	v_add_f32_e32 v94, v63, v62
	v_min_f32_e32 v12, v42, v125
	v_add_f32_e32 v25, 0, v41
	v_add_f32_e32 v63, v9, v16
	v_dual_add_f32 v21, 0, v37 :: v_dual_add_f32 v64, v10, v15
	v_min_f32_e32 v10, v38, v125
	v_add_f32_e32 v66, v8, v13
	v_dual_min_f32 v8, v35, v61 :: v_dual_add_f32 v59, v12, v24
	v_min_f32_e32 v11, v43, v61
	v_dual_add_f32 v80, v47, v46 :: v_dual_add_f32 v77, v53, v52
	s_delay_alu instid0(VALU_DEP_3) | instskip(SKIP_1) | instid1(VALU_DEP_4)
	v_add_f32_e32 v60, v8, v17
	v_dual_min_f32 v8, v39, v61 :: v_dual_add_f32 v61, v10, v20
	v_add_f32_e32 v58, v11, v25
	s_delay_alu instid0(VALU_DEP_2)
	v_add_f32_e32 v62, v8, v21
	s_cbranch_scc1 .LBB47_33
; %bb.20:
	v_mad_i64_i32 v[7:8], null, s19, v3, 0
	v_add_nc_u32_e32 v5, s17, v5
	v_add_nc_u32_e32 v1, 12, v4
	;; [unrolled: 1-line block ×5, first 2 shown]
	v_ashrrev_i32_e32 v6, 31, v5
	v_mad_i64_i32 v[9:10], null, v1, s14, 0
	v_lshlrev_b64 v[0:1], 2, v[7:8]
	v_add_nc_u32_e32 v124, 0x1000, v57
	s_delay_alu instid0(VALU_DEP_4)
	v_lshlrev_b64 v[5:6], 2, v[5:6]
	v_or_b32_e32 v126, 0x800, v70
	v_lshl_add_u32 v127, v54, 4, 0x1400
	v_lshl_add_u32 v128, v55, 4, 0x800
	v_add_co_u32 v2, vcc_lo, v0, v2
	v_add_co_ci_u32_e32 v4, vcc_lo, 0, v1, vcc_lo
	v_add_co_u32 v129, vcc_lo, s12, v5
	v_mad_i64_i32 v[0:1], null, v3, s14, 0
	v_add_co_ci_u32_e32 v130, vcc_lo, s13, v6, vcc_lo
	v_add_co_u32 v2, vcc_lo, v2, s10
	v_add_co_ci_u32_e32 v3, vcc_lo, s11, v4, vcc_lo
	v_lshlrev_b64 v[48:49], 2, v[9:10]
	s_delay_alu instid0(VALU_DEP_3) | instskip(SKIP_1) | instid1(VALU_DEP_4)
	v_add_co_u32 v52, vcc_lo, v2, 32
	v_lshlrev_b64 v[50:51], 2, v[0:1]
	v_add_co_ci_u32_e32 v53, vcc_lo, 0, v3, vcc_lo
	s_add_i32 s8, s8, -8
	s_lshl_b64 s[10:11], s[14:15], 5
	s_mov_b32 s12, 0
	s_branch .LBB47_23
.LBB47_21:                              ;   in Loop: Header=BB47_23 Depth=1
	v_add_co_u32 v0, vcc_lo, v129, v48
	v_add_co_ci_u32_e32 v1, vcc_lo, v130, v49, vcc_lo
	s_clause 0x1
	flat_load_b32 v214, v[0:1]
	flat_load_b32 v1, v[0:1] offset:256
	s_waitcnt vmcnt(0) lgkmcnt(0)
	v_dual_mul_f32 v0, s9, v214 :: v_dual_mul_f32 v1, s9, v1
.LBB47_22:                              ;   in Loop: Header=BB47_23 Depth=1
	v_dual_add_f32 v36, v36, v122 :: v_dual_add_f32 v41, v41, v120
	v_dual_add_f32 v40, v40, v121 :: v_dual_add_f32 v29, v29, v118
	;; [unrolled: 1-line block ×15, first 2 shown]
	ds_load_b128 v[20:23], v56
	ds_load_b128 v[28:31], v124
	v_dual_add_f32 v69, v10, v69 :: v_dual_add_f32 v68, v11, v68
	ds_load_b128 v[8:11], v124 offset:128
	v_dual_add_f32 v32, v32, v117 :: v_dual_add_f32 v37, v37, v115
	v_dual_add_f32 v12, v12, v107 :: v_dual_add_f32 v17, v17, v105
	v_dual_add_f32 v94, v140, v94 :: v_dual_add_f32 v5, v5, v92
	v_dual_add_f32 v67, v163, v67 :: v_dual_add_f32 v66, v165, v66
	v_dual_add_f32 v65, v166, v65 :: v_dual_add_f32 v64, v167, v64
	v_dual_add_f32 v63, v168, v63 :: v_dual_add_f32 v60, v169, v60
	v_dual_add_f32 v61, v170, v61 :: v_dual_add_f32 v62, v171, v62
	v_dual_add_f32 v43, v43, v59 :: v_dual_add_f32 v46, v46, v58
	v_dual_add_f32 v102, v132, v102 :: v_dual_add_f32 v101, v133, v101
	v_dual_add_f32 v96, v138, v96 :: v_dual_add_f32 v95, v139, v95
	v_dual_add_f32 v92, v47, v40 :: v_dual_add_f32 v117, v185, v17
	v_dual_add_f32 v104, v42, v41 :: v_dual_add_f32 v105, v35, v32
	v_dual_add_f32 v107, v39, v37 :: v_dual_add_f32 v110, v18, v16
	v_dual_add_f32 v115, v184, v12 :: v_dual_add_f32 v102, v178, v102
	v_dual_add_f32 v118, v176, v13 :: v_dual_add_f32 v95, v190, v95
	v_dual_add_f32 v121, v199, v4 :: v_dual_add_f32 v94, v182, v94
	v_dual_add_f32 v91, v200, v91 :: v_dual_add_f32 v122, v191, v5
	v_dual_add_f32 v67, v26, v67 :: v_dual_add_f32 v66, v27, v66
	v_dual_add_f32 v64, v172, v64 :: v_dual_add_f32 v65, v2, v65
	v_dual_add_f32 v132, v14, v60 :: v_dual_add_f32 v63, v3, v63
	s_waitcnt lgkmcnt(2)
	v_dual_add_f32 v62, v15, v62 :: v_dual_max_f32 v21, v21, v21
	v_dual_add_f32 v6, v6, v61 :: v_dual_add_f32 v133, v19, v46
	ds_load_b128 v[2:5], v124 offset:256
	ds_load_b128 v[12:15], v124 offset:384
	;; [unrolled: 1-line block ×5, first 2 shown]
	v_dual_add_f32 v7, v7, v43 :: v_dual_max_f32 v20, v20, v20
	s_waitcnt lgkmcnt(6)
	v_dual_max_f32 v28, v28, v28 :: v_dual_max_f32 v29, v29, v29
	s_waitcnt lgkmcnt(5)
	v_dual_max_f32 v8, v8, v8 :: v_dual_max_f32 v9, v9, v9
	ds_load_b128 v[36:39], v124 offset:768
	ds_load_b128 v[40:43], v124 offset:896
	v_dual_add_f32 v100, v134, v100 :: v_dual_add_f32 v99, v136, v99
	v_dual_add_f32 v98, v135, v98 :: v_dual_add_f32 v97, v137, v97
	v_dual_min_f32 v134, v28, v20 :: v_dual_min_f32 v135, v29, v21
	v_dual_min_f32 v136, v8, v20 :: v_dual_add_f32 v119, v186, v45
	v_add_f32_e32 v120, v177, v44
	s_waitcnt lgkmcnt(6)
	v_dual_max_f32 v2, v2, v2 :: v_dual_max_f32 v3, v3, v3
	v_add_f32_e32 v93, v134, v93
	v_min_f32_e32 v134, v9, v21
	v_add_f32_e32 v92, v135, v92
	s_waitcnt lgkmcnt(5)
	v_dual_add_f32 v104, v136, v104 :: v_dual_max_f32 v13, v13, v13
	v_min_f32_e32 v135, v2, v20
	s_waitcnt lgkmcnt(4)
	v_dual_max_f32 v12, v12, v12 :: v_dual_max_f32 v17, v17, v17
	s_waitcnt lgkmcnt(3)
	v_dual_max_f32 v24, v24, v24 :: v_dual_add_f32 v103, v134, v103
	v_dual_add_f32 v106, v135, v106 :: v_dual_min_f32 v135, v13, v21
	v_dual_max_f32 v16, v16, v16 :: v_dual_max_f32 v25, v25, v25
	s_waitcnt lgkmcnt(1)
	v_dual_max_f32 v37, v37, v37 :: v_dual_max_f32 v32, v32, v32
	s_delay_alu instid0(VALU_DEP_3)
	v_add_f32_e32 v107, v135, v107
	v_dual_min_f32 v135, v17, v21 :: v_dual_max_f32 v36, v36, v36
	s_waitcnt lgkmcnt(0)
	v_max_f32_e32 v41, v41, v41
	ds_load_b128 v[44:47], v56 offset:1024
	ds_load_b128 v[58:61], v56 offset:1536
	v_dual_max_f32 v40, v40, v40 :: v_dual_max_f32 v33, v33, v33
	v_add_f32_e32 v109, v135, v109
	v_dual_min_f32 v134, v3, v21 :: v_dual_min_f32 v135, v36, v20
	v_dual_min_f32 v136, v12, v20 :: v_dual_add_f32 v101, v187, v101
	s_delay_alu instid0(VALU_DEP_2) | instskip(SKIP_1) | instid1(VALU_DEP_3)
	v_dual_add_f32 v98, v188, v98 :: v_dual_add_f32 v105, v134, v105
	v_min_f32_e32 v134, v16, v20
	v_add_f32_e32 v108, v136, v108
	v_dual_min_f32 v136, v25, v21 :: v_dual_add_f32 v135, v135, v114
	v_dual_add_f32 v90, v142, v90 :: v_dual_add_f32 v89, v143, v89
	s_delay_alu instid0(VALU_DEP_4) | instskip(SKIP_3) | instid1(VALU_DEP_3)
	v_add_f32_e32 v110, v134, v110
	v_min_f32_e32 v134, v24, v20
	v_dual_add_f32 v100, v179, v100 :: v_dual_add_f32 v97, v189, v97
	v_dual_add_f32 v99, v180, v99 :: v_dual_add_f32 v96, v181, v96
	v_add_f32_e32 v112, v134, v112
	v_min_f32_e32 v134, v37, v21
	v_dual_min_f32 v21, v41, v21 :: v_dual_min_f32 v20, v40, v20
	v_dual_add_f32 v89, v201, v89 :: v_dual_add_f32 v90, v192, v90
	s_waitcnt lgkmcnt(1)
	s_delay_alu instid0(VALU_DEP_2) | instskip(NEXT) | instid1(VALU_DEP_3)
	v_dual_max_f32 v44, v44, v44 :: v_dual_add_f32 v21, v21, v115
	v_dual_min_f32 v115, v3, v33 :: v_dual_add_f32 v20, v20, v116
	v_dual_min_f32 v116, v8, v32 :: v_dual_max_f32 v45, v45, v45
	v_dual_add_f32 v88, v144, v88 :: v_dual_add_f32 v87, v145, v87
	s_delay_alu instid0(VALU_DEP_3) | instskip(SKIP_4) | instid1(VALU_DEP_4)
	v_add_f32_e32 v101, v115, v101
	v_dual_min_f32 v115, v24, v32 :: v_dual_add_f32 v134, v134, v113
	v_min_f32_e32 v113, v28, v32
	v_dual_add_f32 v111, v136, v111 :: v_dual_add_f32 v86, v146, v86
	v_add_f32_e32 v85, v147, v85
	v_add_f32_e32 v96, v115, v96
	s_delay_alu instid0(VALU_DEP_4) | instskip(SKIP_4) | instid1(VALU_DEP_3)
	v_add_f32_e32 v136, v113, v118
	v_dual_min_f32 v113, v9, v33 :: v_dual_add_f32 v138, v116, v120
	v_min_f32_e32 v116, v12, v32
	v_min_f32_e32 v115, v8, v44
	v_dual_add_f32 v84, v148, v84 :: v_dual_add_f32 v83, v149, v83
	v_dual_add_f32 v139, v113, v119 :: v_dual_add_f32 v100, v116, v100
	v_min_f32_e32 v116, v25, v33
	v_min_f32_e32 v114, v29, v33
	;; [unrolled: 1-line block ×3, first 2 shown]
	v_dual_add_f32 v87, v202, v87 :: v_dual_add_f32 v88, v193, v88
	s_delay_alu instid0(VALU_DEP_4) | instskip(NEXT) | instid1(VALU_DEP_4)
	v_add_f32_e32 v95, v116, v95
	v_add_f32_e32 v137, v114, v117
	v_min_f32_e32 v114, v2, v32
	v_add_f32_e32 v98, v113, v98
	v_dual_min_f32 v113, v17, v33 :: v_dual_add_f32 v82, v150, v82
	s_delay_alu instid0(VALU_DEP_3) | instskip(NEXT) | instid1(VALU_DEP_2)
	v_dual_add_f32 v81, v151, v81 :: v_dual_add_f32 v102, v114, v102
	v_dual_min_f32 v114, v16, v32 :: v_dual_add_f32 v97, v113, v97
	v_min_f32_e32 v113, v37, v33
	v_min_f32_e32 v33, v41, v33
	v_dual_add_f32 v78, v153, v78 :: v_dual_add_f32 v77, v155, v77
	s_delay_alu instid0(VALU_DEP_4) | instskip(NEXT) | instid1(VALU_DEP_3)
	v_dual_add_f32 v99, v114, v99 :: v_dual_min_f32 v114, v36, v32
	v_dual_min_f32 v32, v40, v32 :: v_dual_add_f32 v33, v33, v91
	v_min_f32_e32 v91, v9, v45
	v_dual_add_f32 v85, v203, v85 :: v_dual_add_f32 v86, v194, v86
	s_delay_alu instid0(VALU_DEP_4) | instskip(SKIP_3) | instid1(VALU_DEP_3)
	v_add_f32_e32 v94, v114, v94
	v_dual_min_f32 v114, v29, v45 :: v_dual_add_f32 v83, v204, v83
	v_add_f32_e32 v84, v195, v84
	v_dual_add_f32 v32, v32, v122 :: v_dual_add_f32 v87, v91, v87
	v_add_f32_e32 v89, v114, v89
	v_dual_add_f32 v140, v113, v121 :: v_dual_min_f32 v113, v28, v44
	v_dual_add_f32 v88, v115, v88 :: v_dual_min_f32 v91, v13, v45
	v_dual_min_f32 v114, v3, v45 :: v_dual_min_f32 v115, v12, v44
	s_delay_alu instid0(VALU_DEP_3)
	v_dual_add_f32 v90, v113, v90 :: v_dual_min_f32 v113, v2, v44
	v_dual_add_f32 v80, v152, v80 :: v_dual_add_f32 v79, v154, v79
	v_dual_add_f32 v76, v156, v76 :: v_dual_add_f32 v75, v157, v75
	;; [unrolled: 1-line block ×3, first 2 shown]
	v_add_f32_e32 v78, v206, v78
	v_dual_add_f32 v86, v113, v86 :: v_dual_add_f32 v83, v91, v83
	v_dual_add_f32 v84, v115, v84 :: v_dual_min_f32 v91, v17, v45
	v_min_f32_e32 v113, v16, v44
	v_dual_add_f32 v85, v114, v85 :: v_dual_min_f32 v114, v24, v44
	s_waitcnt lgkmcnt(0)
	v_dual_min_f32 v115, v25, v45 :: v_dual_max_f32 v58, v58, v58
	v_dual_max_f32 v59, v59, v59 :: v_dual_add_f32 v74, v158, v74
	v_add_f32_e32 v71, v159, v71
	v_dual_add_f32 v73, v160, v73 :: v_dual_add_f32 v72, v161, v72
	v_dual_add_f32 v80, v197, v80 :: v_dual_add_f32 v77, v210, v77
	;; [unrolled: 1-line block ×3, first 2 shown]
	v_min_f32_e32 v113, v36, v44
	s_delay_alu instid0(VALU_DEP_3)
	v_dual_add_f32 v81, v91, v81 :: v_dual_add_f32 v80, v114, v80
	v_dual_add_f32 v78, v115, v78 :: v_dual_min_f32 v91, v37, v45
	v_dual_min_f32 v25, v25, v59 :: v_dual_min_f32 v36, v36, v58
	v_min_f32_e32 v37, v37, v59
	v_dual_add_f32 v79, v198, v79 :: v_dual_add_f32 v76, v207, v76
	v_dual_add_f32 v71, v212, v71 :: v_dual_add_f32 v72, v213, v72
	;; [unrolled: 1-line block ×3, first 2 shown]
	v_dual_min_f32 v29, v29, v59 :: v_dual_min_f32 v8, v8, v58
	v_min_f32_e32 v9, v9, v59
	v_dual_add_f32 v25, v25, v132 :: v_dual_max_f32 v22, v22, v22
	v_add_f32_e32 v6, v36, v6
	v_dual_add_f32 v36, v37, v62 :: v_dual_max_f32 v23, v23, v23
	v_min_f32_e32 v37, v40, v58
	v_dual_max_f32 v31, v31, v31 :: v_dual_max_f32 v30, v30, v30
	v_dual_max_f32 v11, v11, v11 :: v_dual_max_f32 v10, v10, v10
	v_dual_add_f32 v79, v113, v79 :: v_dual_min_f32 v44, v40, v44
	v_dual_min_f32 v45, v41, v45 :: v_dual_min_f32 v28, v28, v58
	v_dual_add_f32 v29, v29, v71 :: v_dual_min_f32 v2, v2, v58
	v_dual_add_f32 v8, v8, v73 :: v_dual_add_f32 v9, v9, v72
	v_dual_min_f32 v12, v12, v58 :: v_dual_min_f32 v13, v13, v59
	v_dual_min_f32 v16, v16, v58 :: v_dual_min_f32 v17, v17, v59
	v_min_f32_e32 v24, v24, v58
	v_min_f32_e32 v40, v41, v59
	v_add_f32_e32 v7, v37, v7
	v_dual_min_f32 v41, v30, v22 :: v_dual_min_f32 v58, v11, v23
	v_min_f32_e32 v37, v31, v23
	v_dual_max_f32 v5, v5, v5 :: v_dual_max_f32 v4, v4, v4
	s_delay_alu instid0(VALU_DEP_3) | instskip(NEXT) | instid1(VALU_DEP_3)
	v_dual_add_f32 v122, v41, v93 :: v_dual_max_f32 v15, v15, v15
	v_dual_add_f32 v121, v37, v92 :: v_dual_max_f32 v14, v14, v14
	v_min_f32_e32 v37, v10, v22
	s_delay_alu instid0(VALU_DEP_4) | instskip(SKIP_2) | instid1(VALU_DEP_4)
	v_dual_min_f32 v41, v5, v23 :: v_dual_max_f32 v18, v18, v18
	v_add_f32_e32 v119, v58, v103
	v_min_f32_e32 v58, v15, v23
	v_add_f32_e32 v120, v37, v104
	s_delay_alu instid0(VALU_DEP_4)
	v_dual_add_f32 v117, v41, v105 :: v_dual_max_f32 v26, v26, v26
	v_max_f32_e32 v19, v19, v19
	v_min_f32_e32 v41, v14, v22
	v_min_f32_e32 v37, v4, v22
	v_max_f32_e32 v38, v38, v38
	v_dual_max_f32 v34, v34, v34 :: v_dual_max_f32 v43, v43, v43
	s_delay_alu instid0(VALU_DEP_4) | instskip(NEXT) | instid1(VALU_DEP_4)
	v_add_f32_e32 v116, v41, v108
	v_add_f32_e32 v118, v37, v106
	v_min_f32_e32 v41, v18, v22
	v_add_f32_e32 v115, v58, v107
	v_dual_min_f32 v58, v26, v22 :: v_dual_min_f32 v37, v19, v23
	s_delay_alu instid0(VALU_DEP_3) | instskip(NEXT) | instid1(VALU_DEP_2)
	v_dual_max_f32 v27, v27, v27 :: v_dual_add_f32 v114, v41, v110
	v_dual_max_f32 v35, v35, v35 :: v_dual_add_f32 v112, v58, v112
	s_delay_alu instid0(VALU_DEP_3) | instskip(SKIP_1) | instid1(VALU_DEP_4)
	v_add_f32_e32 v113, v37, v109
	v_max_f32_e32 v37, v39, v39
	v_min_f32_e32 v39, v27, v23
	v_dual_add_f32 v77, v91, v77 :: v_dual_add_f32 v44, v44, v76
	v_dual_min_f32 v3, v3, v59 :: v_dual_add_f32 v2, v2, v69
	s_delay_alu instid0(VALU_DEP_4) | instskip(SKIP_1) | instid1(VALU_DEP_3)
	v_dual_min_f32 v41, v37, v23 :: v_dual_add_f32 v12, v12, v68
	v_dual_add_f32 v45, v45, v75 :: v_dual_add_f32 v28, v28, v74
	v_add_f32_e32 v3, v3, v67
	s_delay_alu instid0(VALU_DEP_3) | instskip(SKIP_4) | instid1(VALU_DEP_4)
	v_add_f32_e32 v109, v41, v134
	v_max_f32_e32 v41, v42, v42
	v_dual_min_f32 v42, v30, v34 :: v_dual_add_f32 v111, v39, v111
	v_min_f32_e32 v39, v38, v22
	v_dual_add_f32 v13, v13, v66 :: v_dual_add_f32 v16, v16, v65
	v_min_f32_e32 v22, v41, v22
	v_dual_add_f32 v17, v17, v64 :: v_dual_add_f32 v24, v24, v63
	v_add_f32_e32 v40, v40, v133
	v_add_co_u32 v129, vcc_lo, v129, s10
	s_delay_alu instid0(VALU_DEP_4) | instskip(SKIP_3) | instid1(VALU_DEP_3)
	v_add_f32_e32 v108, v22, v20
	v_dual_min_f32 v20, v10, v34 :: v_dual_min_f32 v23, v43, v23
	v_min_f32_e32 v22, v4, v34
	v_add_co_ci_u32_e32 v130, vcc_lo, s11, v130, vcc_lo
	v_dual_add_f32 v104, v20, v138 :: v_dual_add_f32 v107, v23, v21
	s_delay_alu instid0(VALU_DEP_3) | instskip(SKIP_4) | instid1(VALU_DEP_4)
	v_dual_add_f32 v102, v22, v102 :: v_dual_min_f32 v21, v11, v35
	v_min_f32_e32 v20, v14, v34
	v_min_f32_e32 v22, v27, v35
	v_add_f32_e32 v110, v39, v135
	v_min_f32_e32 v39, v31, v35
	v_dual_min_f32 v23, v15, v35 :: v_dual_add_f32 v100, v20, v100
	v_dual_min_f32 v20, v18, v34 :: v_dual_add_f32 v103, v21, v139
	v_min_f32_e32 v21, v5, v35
	s_delay_alu instid0(VALU_DEP_4) | instskip(SKIP_1) | instid1(VALU_DEP_4)
	v_add_f32_e32 v105, v39, v137
	v_add_f32_e32 v95, v22, v95
	v_dual_max_f32 v22, v46, v46 :: v_dual_add_f32 v99, v20, v99
	s_delay_alu instid0(VALU_DEP_4) | instskip(SKIP_3) | instid1(VALU_DEP_3)
	v_dual_min_f32 v20, v38, v34 :: v_dual_add_f32 v101, v21, v101
	v_min_f32_e32 v21, v19, v35
	v_add_f32_e32 v98, v23, v98
	v_add_co_u32 v52, vcc_lo, v52, 32
	v_dual_add_f32 v94, v20, v94 :: v_dual_add_f32 v97, v21, v97
	v_dual_min_f32 v21, v37, v35 :: v_dual_add_f32 v106, v42, v136
	v_add_co_ci_u32_e32 v53, vcc_lo, 0, v53, vcc_lo
	s_add_i32 s12, s12, 8
	s_delay_alu instid0(VALU_DEP_2)
	v_add_f32_e32 v93, v21, v140
	v_max_f32_e32 v21, v47, v47
	v_min_f32_e32 v23, v26, v34
	s_cmp_ge_i32 s12, s8
	ds_store_b32 v125, v131
	ds_store_2addr_stride64_b32 v126, v0, v1 offset1:4
	s_waitcnt lgkmcnt(0)
	v_min_f32_e32 v20, v31, v21
	v_min_f32_e32 v34, v41, v34
	s_barrier
	buffer_gl0_inv
	v_dual_add_f32 v89, v20, v89 :: v_dual_min_f32 v20, v10, v22
	v_add_f32_e32 v92, v34, v32
	v_min_f32_e32 v32, v5, v21
	v_add_f32_e32 v96, v23, v96
	s_delay_alu instid0(VALU_DEP_4) | instskip(SKIP_1) | instid1(VALU_DEP_4)
	v_add_f32_e32 v88, v20, v88
	v_dual_min_f32 v20, v14, v22 :: v_dual_min_f32 v23, v43, v35
	v_dual_add_f32 v85, v32, v85 :: v_dual_min_f32 v32, v18, v22
	s_delay_alu instid0(VALU_DEP_2) | instskip(SKIP_1) | instid1(VALU_DEP_3)
	v_dual_min_f32 v35, v30, v22 :: v_dual_add_f32 v84, v20, v84
	v_min_f32_e32 v20, v27, v21
	v_dual_add_f32 v91, v23, v33 :: v_dual_add_f32 v82, v32, v82
	v_min_f32_e32 v23, v11, v21
	v_max_f32_e32 v32, v61, v61
	s_delay_alu instid0(VALU_DEP_4) | instskip(NEXT) | instid1(VALU_DEP_3)
	v_dual_add_f32 v78, v20, v78 :: v_dual_min_f32 v33, v15, v21
	v_dual_min_f32 v20, v38, v22 :: v_dual_add_f32 v87, v23, v87
	v_min_f32_e32 v23, v4, v22
	s_delay_alu instid0(VALU_DEP_4) | instskip(SKIP_1) | instid1(VALU_DEP_3)
	v_min_f32_e32 v11, v11, v32
	v_dual_min_f32 v5, v5, v32 :: v_dual_add_f32 v90, v35, v90
	v_add_f32_e32 v86, v23, v86
	v_min_f32_e32 v23, v19, v21
	s_delay_alu instid0(VALU_DEP_3) | instskip(SKIP_2) | instid1(VALU_DEP_4)
	v_dual_add_f32 v72, v11, v9 :: v_dual_add_f32 v67, v5, v3
	v_min_f32_e32 v3, v15, v32
	v_add_f32_e32 v79, v20, v79
	v_add_f32_e32 v81, v23, v81
	v_min_f32_e32 v23, v37, v21
	s_delay_alu instid0(VALU_DEP_4) | instskip(SKIP_1) | instid1(VALU_DEP_3)
	v_add_f32_e32 v66, v3, v13
	v_min_f32_e32 v3, v27, v32
	v_add_f32_e32 v77, v23, v77
	v_max_f32_e32 v23, v60, v60
	v_min_f32_e32 v21, v43, v21
	s_delay_alu instid0(VALU_DEP_4) | instskip(NEXT) | instid1(VALU_DEP_3)
	v_dual_add_f32 v60, v3, v25 :: v_dual_min_f32 v3, v37, v32
	v_min_f32_e32 v20, v30, v23
	v_add_f32_e32 v83, v33, v83
	v_dual_min_f32 v33, v26, v22 :: v_dual_min_f32 v4, v4, v23
	v_min_f32_e32 v5, v18, v23
	v_min_f32_e32 v10, v10, v23
	;; [unrolled: 1-line block ×3, first 2 shown]
	s_delay_alu instid0(VALU_DEP_4)
	v_add_f32_e32 v80, v33, v80
	v_add_f32_e32 v74, v20, v28
	;; [unrolled: 1-line block ×3, first 2 shown]
	v_min_f32_e32 v5, v43, v32
	v_dual_add_f32 v69, v4, v2 :: v_dual_min_f32 v2, v14, v23
	v_min_f32_e32 v4, v19, v32
	v_min_f32_e32 v31, v31, v32
	v_add_f32_e32 v75, v21, v45
	v_add_f32_e32 v73, v10, v8
	;; [unrolled: 1-line block ×3, first 2 shown]
	v_min_f32_e32 v2, v26, v23
	v_add_f32_e32 v64, v4, v17
	v_dual_add_f32 v71, v31, v29 :: v_dual_min_f32 v4, v38, v23
	v_min_f32_e32 v8, v41, v23
	v_add_f32_e32 v76, v22, v44
	v_add_f32_e32 v63, v2, v24
	s_delay_alu instid0(VALU_DEP_4) | instskip(NEXT) | instid1(VALU_DEP_4)
	v_dual_add_f32 v62, v3, v36 :: v_dual_add_f32 v61, v4, v6
	v_dual_add_f32 v58, v5, v40 :: v_dual_add_f32 v59, v8, v7
	s_cbranch_scc1 .LBB47_33
.LBB47_23:                              ; =>This Inner Loop Header: Depth=1
	v_mov_b32_e32 v131, 0
	s_and_b32 vcc_lo, exec_lo, s3
	s_cbranch_vccnz .LBB47_25
; %bb.24:                               ;   in Loop: Header=BB47_23 Depth=1
	flat_load_b32 v0, v[52:53]
	s_waitcnt vmcnt(0) lgkmcnt(0)
	v_mul_f32_e32 v131, s9, v0
.LBB47_25:                              ;   in Loop: Header=BB47_23 Depth=1
	s_and_b32 vcc_lo, exec_lo, s3
	s_cbranch_vccnz .LBB47_27
; %bb.26:                               ;   in Loop: Header=BB47_23 Depth=1
	v_add_co_u32 v0, vcc_lo, v129, v50
	v_add_co_ci_u32_e32 v1, vcc_lo, v130, v51, vcc_lo
	s_clause 0x1
	flat_load_b32 v2, v[0:1]
	flat_load_b32 v0, v[0:1] offset:256
	s_waitcnt vmcnt(0) lgkmcnt(0)
	v_dual_mul_f32 v132, s9, v2 :: v_dual_mul_f32 v133, s9, v0
	s_branch .LBB47_28
.LBB47_27:                              ;   in Loop: Header=BB47_23 Depth=1
	v_dual_mov_b32 v132, 0 :: v_dual_mov_b32 v133, 0
.LBB47_28:                              ;   in Loop: Header=BB47_23 Depth=1
	ds_load_b128 v[40:43], v127
	ds_load_b128 v[36:39], v127 offset:128
	ds_load_b128 v[32:35], v127 offset:256
	;; [unrolled: 1-line block ×7, first 2 shown]
	ds_load_b128 v[44:47], v128
	ds_load_b128 v[8:11], v128 offset:512
	ds_load_b128 v[4:7], v128 offset:1024
	;; [unrolled: 1-line block ×3, first 2 shown]
	s_and_b32 vcc_lo, exec_lo, s3
	ds_store_b32 v123, v131
	ds_store_2addr_stride64_b32 v70, v132, v133 offset1:4
	s_waitcnt lgkmcnt(0)
	s_barrier
	buffer_gl0_inv
	s_cbranch_vccnz .LBB47_30
; %bb.29:                               ;   in Loop: Header=BB47_23 Depth=1
	flat_load_b32 v131, v[52:53] offset:16
	s_waitcnt vmcnt(0) lgkmcnt(0)
	v_mul_f32_e32 v131, s9, v131
	s_branch .LBB47_31
.LBB47_30:                              ;   in Loop: Header=BB47_23 Depth=1
	v_mov_b32_e32 v131, 0
.LBB47_31:                              ;   in Loop: Header=BB47_23 Depth=1
	v_dual_max_f32 v44, v44, v44 :: v_dual_max_f32 v45, v45, v45
	v_dual_max_f32 v158, v40, v40 :: v_dual_max_f32 v159, v41, v41
	;; [unrolled: 1-line block ×6, first 2 shown]
	v_dual_min_f32 v36, v158, v44 :: v_dual_max_f32 v163, v33, v33
	v_dual_max_f32 v162, v32, v32 :: v_dual_max_f32 v165, v29, v29
	v_max_f32_e32 v164, v28, v28
	v_dual_max_f32 v168, v20, v20 :: v_dual_max_f32 v169, v21, v21
	v_dual_min_f32 v16, v166, v44 :: v_dual_max_f32 v173, v13, v13
	v_dual_max_f32 v141, v8, v8 :: v_dual_max_f32 v142, v9, v9
	v_max_f32_e32 v172, v12, v12
	v_dual_min_f32 v154, v170, v156 :: v_dual_max_f32 v1, v1, v1
	v_dual_max_f32 v0, v0, v0 :: v_dual_min_f32 v155, v171, v157
	v_dual_max_f32 v175, v46, v46 :: v_dual_max_f32 v176, v47, v47
	v_dual_max_f32 v214, v30, v30 :: v_dual_max_f32 v215, v31, v31
	v_dual_min_f32 v40, v159, v45 :: v_dual_min_f32 v41, v160, v44
	v_dual_min_f32 v28, v161, v45 :: v_dual_min_f32 v29, v162, v44
	v_min_f32_e32 v37, v165, v45
	v_dual_min_f32 v32, v163, v45 :: v_dual_min_f32 v33, v164, v44
	v_dual_min_f32 v20, v167, v45 :: v_dual_min_f32 v21, v168, v44
	;; [unrolled: 1-line block ×4, first 2 shown]
	v_min_f32_e32 v13, v158, v141
	v_dual_min_f32 v8, v171, v45 :: v_dual_min_f32 v9, v172, v44
	v_dual_min_f32 v44, v160, v141 :: v_dual_min_f32 v45, v161, v142
	;; [unrolled: 1-line block ×6, first 2 shown]
	v_min_f32_e32 v140, v170, v141
	v_dual_min_f32 v4, v171, v142 :: v_dual_min_f32 v5, v172, v141
	v_dual_min_f32 v141, v173, v142 :: v_dual_min_f32 v142, v158, v156
	;; [unrolled: 1-line block ×14, first 2 shown]
	v_dual_min_f32 v171, v171, v1 :: v_dual_max_f32 v208, v42, v42
	v_max_f32_e32 v209, v43, v43
	v_dual_max_f32 v213, v38, v38 :: v_dual_min_f32 v46, v173, v1
	v_dual_min_f32 v43, v172, v0 :: v_dual_max_f32 v0, v39, v39
	v_max_f32_e32 v1, v34, v34
	v_dual_min_f32 v39, v215, v176 :: v_dual_max_f32 v216, v26, v26
	v_dual_max_f32 v219, v23, v23 :: v_dual_max_f32 v220, v18, v18
	v_dual_max_f32 v19, v19, v19 :: v_dual_max_f32 v10, v10, v10
	;; [unrolled: 1-line block ×3, first 2 shown]
	v_dual_min_f32 v156, v172, v156 :: v_dual_min_f32 v157, v173, v157
	v_dual_max_f32 v217, v27, v27 :: v_dual_max_f32 v218, v22, v22
	v_max_f32_e32 v172, v35, v35
	v_dual_min_f32 v18, v216, v175 :: v_dual_max_f32 v221, v14, v14
	v_dual_max_f32 v222, v15, v15 :: v_dual_min_f32 v177, v213, v10
	v_max_f32_e32 v11, v11, v11
	v_dual_min_f32 v206, v219, v7 :: v_dual_max_f32 v223, v2, v2
	s_delay_alu instid0(VALU_DEP_4)
	v_dual_max_f32 v224, v3, v3 :: v_dual_min_f32 v207, v221, v6
	v_dual_min_f32 v38, v208, v175 :: v_dual_min_f32 v47, v209, v176
	v_min_f32_e32 v42, v213, v175
	v_dual_min_f32 v34, v0, v176 :: v_dual_min_f32 v31, v214, v175
	v_min_f32_e32 v173, v217, v176
	v_dual_min_f32 v30, v1, v175 :: v_dual_min_f32 v35, v172, v176
	v_dual_min_f32 v22, v218, v175 :: v_dual_min_f32 v183, v19, v176
	;; [unrolled: 1-line block ×5, first 2 shown]
	v_min_f32_e32 v180, v216, v10
	v_dual_min_f32 v186, v0, v11 :: v_dual_min_f32 v179, v214, v10
	v_dual_min_f32 v178, v1, v10 :: v_dual_min_f32 v187, v172, v11
	;; [unrolled: 1-line block ×12, first 2 shown]
	v_min_f32_e32 v210, v19, v7
	v_dual_min_f32 v211, v222, v7 :: v_dual_min_f32 v212, v209, v224
	v_dual_min_f32 v208, v208, v223 :: v_dual_min_f32 v27, v215, v224
	;; [unrolled: 1-line block ×4, first 2 shown]
	v_min_f32_e32 v15, v19, v224
	v_dual_min_f32 v11, v214, v223 :: v_dual_min_f32 v172, v217, v224
	v_dual_min_f32 v2, v216, v223 :: v_dual_min_f32 v19, v222, v224
	v_dual_min_f32 v3, v218, v223 :: v_dual_min_f32 v14, v219, v224
	v_min_f32_e32 v6, v220, v223
	v_min_f32_e32 v7, v221, v223
	s_and_b32 vcc_lo, exec_lo, s3
	s_cbranch_vccz .LBB47_21
; %bb.32:                               ;   in Loop: Header=BB47_23 Depth=1
	v_dual_mov_b32 v0, 0 :: v_dual_mov_b32 v1, 0
	s_branch .LBB47_22
.LBB47_33:
	s_load_b32 s8, s[0:1], 0x50
	v_add_nc_u32_e32 v48, s17, v55
	ds_load_b128 v[0:3], v57 offset:5120
	ds_load_b128 v[40:43], v56 offset:2048
	v_add_nc_u32_e32 v46, s16, v54
	v_cmp_neq_f32_e64 s9, s18, 0
	v_mov_b32_e32 v52, 0
	v_mov_b32_e32 v50, 0
	s_delay_alu instid0(VALU_DEP_4) | instskip(NEXT) | instid1(VALU_DEP_4)
	v_ashrrev_i32_e32 v47, 31, v46
	s_and_b32 vcc_lo, exec_lo, s9
	s_delay_alu instid0(VALU_DEP_1) | instskip(SKIP_2) | instid1(VALU_DEP_1)
	v_lshlrev_b64 v[44:45], 2, v[46:47]
	s_waitcnt lgkmcnt(0)
	v_mad_i64_i32 v[4:5], null, v48, s8, 0
	v_lshlrev_b64 v[4:5], 2, v[4:5]
	s_delay_alu instid0(VALU_DEP_1) | instskip(NEXT) | instid1(VALU_DEP_1)
	v_add_co_u32 v123, s3, s4, v4
	v_add_co_ci_u32_e64 v124, s3, s5, v5, s3
	s_cbranch_vccz .LBB47_35
; %bb.34:
	s_delay_alu instid0(VALU_DEP_2) | instskip(NEXT) | instid1(VALU_DEP_2)
	v_add_co_u32 v4, vcc_lo, v123, v44
	v_add_co_ci_u32_e32 v5, vcc_lo, v124, v45, vcc_lo
	flat_load_b32 v4, v[4:5]
	s_waitcnt vmcnt(0) lgkmcnt(0)
	v_mul_f32_e32 v50, s18, v4
.LBB47_35:
	ds_load_b128 v[36:39], v57 offset:5248
	ds_load_b128 v[32:35], v57 offset:5376
	;; [unrolled: 1-line block ×4, first 2 shown]
	s_clause 0x1
	s_load_b32 s3, s[0:1], 0x68
	s_load_b64 s[0:1], s[0:1], 0x70
	v_dual_max_f32 v125, v40, v40 :: v_dual_max_f32 v126, v41, v41
	v_max_f32_e32 v47, v0, v0
	v_max_f32_e32 v49, v1, v1
	ds_load_b128 v[20:23], v57 offset:5760
	ds_load_b128 v[16:19], v57 offset:5888
	;; [unrolled: 1-line block ×5, first 2 shown]
	v_min_f32_e32 v0, v47, v125
	s_delay_alu instid0(VALU_DEP_1)
	v_add_f32_e32 v51, v0, v122
	v_max_f32_e32 v122, v42, v42
	v_max_f32_e32 v42, v2, v2
	v_min_f32_e32 v1, v49, v126
	s_waitcnt lgkmcnt(0)
	v_mad_i64_i32 v[40:41], null, v48, s3, 0
	s_delay_alu instid0(VALU_DEP_2)
	v_add_f32_e32 v53, v1, v121
	v_max_f32_e32 v127, v43, v43
	v_max_f32_e32 v43, v3, v3
	v_min_f32_e32 v55, v42, v122
	ds_load_b128 v[0:3], v56 offset:3584
	s_lshl_b64 s[10:11], s[0:1], 2
	v_lshlrev_b64 v[40:41], 2, v[40:41]
	v_min_f32_e32 v54, v43, v127
	v_add_f32_e32 v51, v55, v51
	s_add_u32 s1, s6, s10
	s_addc_u32 s6, s7, s11
	v_cndmask_b32_e64 v55, 0, 1, s9
	v_dual_add_f32 v56, v54, v53 :: v_dual_add_nc_u32 v53, 8, v46
	v_add_co_u32 v121, vcc_lo, s1, v40
	v_add_co_ci_u32_e32 v128, vcc_lo, s6, v41, vcc_lo
	s_delay_alu instid0(VALU_DEP_3) | instskip(NEXT) | instid1(VALU_DEP_4)
	v_add_f32_e32 v51, v51, v56
	v_ashrrev_i32_e32 v54, 31, v53
	v_cmp_ne_u32_e64 s0, 1, v55
	s_delay_alu instid0(VALU_DEP_3) | instskip(SKIP_1) | instid1(VALU_DEP_4)
	v_add_f32_e32 v56, v51, v50
	v_add_co_u32 v50, vcc_lo, v121, v44
	v_lshlrev_b64 v[40:41], 2, v[53:54]
	v_add_co_ci_u32_e32 v51, vcc_lo, v128, v45, vcc_lo
	s_and_not1_b32 vcc_lo, exec_lo, s9
	global_store_b32 v[50:51], v56, off
	s_cbranch_vccnz .LBB47_37
; %bb.36:
	v_add_co_u32 v50, vcc_lo, v123, v40
	v_add_co_ci_u32_e32 v51, vcc_lo, v124, v41, vcc_lo
	flat_load_b32 v50, v[50:51]
	s_waitcnt vmcnt(0) lgkmcnt(0)
	v_mul_f32_e32 v52, s18, v50
.LBB47_37:
	v_dual_max_f32 v51, v37, v37 :: v_dual_max_f32 v50, v36, v36
	v_dual_max_f32 v38, v38, v38 :: v_dual_max_f32 v39, v39, v39
	v_mov_b32_e32 v56, 0
	s_delay_alu instid0(VALU_DEP_3) | instskip(NEXT) | instid1(VALU_DEP_3)
	v_dual_min_f32 v36, v51, v126 :: v_dual_min_f32 v37, v50, v125
	v_dual_min_f32 v53, v38, v122 :: v_dual_min_f32 v54, v39, v127
	s_delay_alu instid0(VALU_DEP_2) | instskip(NEXT) | instid1(VALU_DEP_3)
	v_dual_add_f32 v55, v36, v119 :: v_dual_add_nc_u32 v36, 16, v46
	v_add_f32_e32 v37, v37, v120
	v_add_co_u32 v119, vcc_lo, v121, v40
	s_delay_alu instid0(VALU_DEP_3) | instskip(SKIP_1) | instid1(VALU_DEP_4)
	v_add_f32_e32 v54, v54, v55
	v_add_co_ci_u32_e32 v120, vcc_lo, v128, v41, vcc_lo
	v_add_f32_e32 v53, v53, v37
	v_ashrrev_i32_e32 v37, 31, v36
	s_and_b32 vcc_lo, exec_lo, s0
	s_delay_alu instid0(VALU_DEP_2) | instskip(NEXT) | instid1(VALU_DEP_2)
	v_dual_add_f32 v53, v53, v54 :: v_dual_mov_b32 v54, 0
	v_lshlrev_b64 v[36:37], 2, v[36:37]
	s_delay_alu instid0(VALU_DEP_2)
	v_add_f32_e32 v52, v53, v52
	global_store_b32 v[119:120], v52, off
	s_cbranch_vccnz .LBB47_39
; %bb.38:
	v_add_co_u32 v52, vcc_lo, v123, v36
	v_add_co_ci_u32_e32 v53, vcc_lo, v124, v37, vcc_lo
	flat_load_b32 v52, v[52:53]
	s_waitcnt vmcnt(0) lgkmcnt(0)
	v_mul_f32_e32 v54, s18, v52
.LBB47_39:
	v_dual_max_f32 v53, v33, v33 :: v_dual_max_f32 v52, v32, v32
	v_dual_max_f32 v34, v34, v34 :: v_dual_max_f32 v35, v35, v35
	s_delay_alu instid0(VALU_DEP_2) | instskip(NEXT) | instid1(VALU_DEP_2)
	v_dual_min_f32 v32, v53, v126 :: v_dual_min_f32 v33, v52, v125
	v_min_f32_e32 v55, v34, v122
	s_delay_alu instid0(VALU_DEP_2) | instskip(SKIP_1) | instid1(VALU_DEP_4)
	v_dual_min_f32 v57, v35, v127 :: v_dual_add_f32 v70, v32, v117
	v_add_nc_u32_e32 v32, 24, v46
	v_add_f32_e32 v33, v33, v118
	v_add_co_u32 v117, vcc_lo, v121, v36
	s_delay_alu instid0(VALU_DEP_4) | instskip(SKIP_1) | instid1(VALU_DEP_4)
	v_add_f32_e32 v57, v57, v70
	v_add_co_ci_u32_e32 v118, vcc_lo, v128, v37, vcc_lo
	v_add_f32_e32 v55, v55, v33
	v_ashrrev_i32_e32 v33, 31, v32
	s_and_b32 vcc_lo, exec_lo, s0
	s_delay_alu instid0(VALU_DEP_2) | instskip(NEXT) | instid1(VALU_DEP_2)
	v_add_f32_e32 v55, v55, v57
	v_lshlrev_b64 v[32:33], 2, v[32:33]
	s_delay_alu instid0(VALU_DEP_2)
	v_add_f32_e32 v54, v55, v54
	global_store_b32 v[117:118], v54, off
	s_cbranch_vccnz .LBB47_41
; %bb.40:
	v_add_co_u32 v54, vcc_lo, v123, v32
	v_add_co_ci_u32_e32 v55, vcc_lo, v124, v33, vcc_lo
	flat_load_b32 v54, v[54:55]
	s_waitcnt vmcnt(0) lgkmcnt(0)
	v_mul_f32_e32 v56, s18, v54
.LBB47_41:
	v_dual_max_f32 v55, v29, v29 :: v_dual_max_f32 v54, v28, v28
	v_dual_max_f32 v30, v30, v30 :: v_dual_max_f32 v31, v31, v31
	s_delay_alu instid0(VALU_DEP_2) | instskip(NEXT) | instid1(VALU_DEP_2)
	v_dual_min_f32 v28, v55, v126 :: v_dual_min_f32 v29, v54, v125
	v_dual_min_f32 v57, v30, v122 :: v_dual_min_f32 v70, v31, v127
	s_delay_alu instid0(VALU_DEP_2) | instskip(NEXT) | instid1(VALU_DEP_3)
	v_dual_add_f32 v115, v28, v115 :: v_dual_add_nc_u32 v28, 32, v46
	v_add_f32_e32 v29, v29, v116
	v_add_co_u32 v116, vcc_lo, v121, v32
	s_delay_alu instid0(VALU_DEP_3) | instskip(SKIP_1) | instid1(VALU_DEP_4)
	v_add_f32_e32 v70, v70, v115
	v_add_co_ci_u32_e32 v117, vcc_lo, v128, v33, vcc_lo
	v_add_f32_e32 v57, v57, v29
	v_ashrrev_i32_e32 v29, 31, v28
	s_and_b32 vcc_lo, exec_lo, s0
	s_delay_alu instid0(VALU_DEP_2) | instskip(NEXT) | instid1(VALU_DEP_2)
	v_dual_add_f32 v57, v57, v70 :: v_dual_mov_b32 v70, 0
	v_lshlrev_b64 v[28:29], 2, v[28:29]
	s_delay_alu instid0(VALU_DEP_2)
	v_dual_mov_b32 v115, 0 :: v_dual_add_f32 v56, v57, v56
	global_store_b32 v[116:117], v56, off
	s_cbranch_vccnz .LBB47_43
; %bb.42:
	v_add_co_u32 v56, vcc_lo, v123, v28
	v_add_co_ci_u32_e32 v57, vcc_lo, v124, v29, vcc_lo
	flat_load_b32 v56, v[56:57]
	s_waitcnt vmcnt(0) lgkmcnt(0)
	v_mul_f32_e32 v70, s18, v56
.LBB47_43:
	v_dual_max_f32 v57, v25, v25 :: v_dual_max_f32 v56, v24, v24
	v_dual_max_f32 v26, v26, v26 :: v_dual_max_f32 v27, v27, v27
	s_delay_alu instid0(VALU_DEP_2) | instskip(NEXT) | instid1(VALU_DEP_2)
	v_dual_min_f32 v24, v57, v126 :: v_dual_min_f32 v25, v56, v125
	v_dual_min_f32 v116, v26, v122 :: v_dual_min_f32 v117, v27, v127
	s_delay_alu instid0(VALU_DEP_2) | instskip(NEXT) | instid1(VALU_DEP_1)
	v_dual_add_f32 v113, v24, v113 :: v_dual_add_nc_u32 v24, 40, v46
	v_add_f32_e32 v113, v117, v113
	s_delay_alu instid0(VALU_DEP_4) | instskip(NEXT) | instid1(VALU_DEP_1)
	v_add_f32_e32 v25, v25, v114
	v_add_f32_e32 v114, v116, v25
	s_delay_alu instid0(VALU_DEP_4) | instskip(NEXT) | instid1(VALU_DEP_2)
	v_ashrrev_i32_e32 v25, 31, v24
	v_add_f32_e32 v116, v114, v113
	v_add_co_u32 v113, vcc_lo, v121, v28
	s_delay_alu instid0(VALU_DEP_3) | instskip(SKIP_1) | instid1(VALU_DEP_4)
	v_lshlrev_b64 v[24:25], 2, v[24:25]
	v_add_co_ci_u32_e32 v114, vcc_lo, v128, v29, vcc_lo
	v_add_f32_e32 v70, v116, v70
	s_and_b32 vcc_lo, exec_lo, s0
	global_store_b32 v[113:114], v70, off
	s_cbranch_vccnz .LBB47_45
; %bb.44:
	v_add_co_u32 v113, vcc_lo, v123, v24
	v_add_co_ci_u32_e32 v114, vcc_lo, v124, v25, vcc_lo
	flat_load_b32 v70, v[113:114]
	s_waitcnt vmcnt(0) lgkmcnt(0)
	v_mul_f32_e32 v115, s18, v70
.LBB47_45:
	v_dual_max_f32 v113, v21, v21 :: v_dual_max_f32 v70, v20, v20
	v_dual_max_f32 v22, v22, v22 :: v_dual_max_f32 v23, v23, v23
	s_delay_alu instid0(VALU_DEP_2) | instskip(NEXT) | instid1(VALU_DEP_2)
	v_dual_min_f32 v20, v113, v126 :: v_dual_min_f32 v21, v70, v125
	v_min_f32_e32 v114, v22, v122
	s_delay_alu instid0(VALU_DEP_3) | instskip(NEXT) | instid1(VALU_DEP_3)
	v_min_f32_e32 v116, v23, v127
	v_add_f32_e32 v111, v20, v111
	s_delay_alu instid0(VALU_DEP_4) | instskip(NEXT) | instid1(VALU_DEP_1)
	v_dual_add_f32 v21, v21, v112 :: v_dual_add_nc_u32 v20, 48, v46
	v_dual_add_f32 v111, v116, v111 :: v_dual_add_f32 v112, v114, v21
	s_delay_alu instid0(VALU_DEP_2) | instskip(SKIP_1) | instid1(VALU_DEP_3)
	v_ashrrev_i32_e32 v21, 31, v20
	v_mov_b32_e32 v114, 0
	v_add_f32_e32 v116, v112, v111
	v_add_co_u32 v111, vcc_lo, v121, v24
	s_delay_alu instid0(VALU_DEP_4) | instskip(SKIP_1) | instid1(VALU_DEP_4)
	v_lshlrev_b64 v[20:21], 2, v[20:21]
	v_add_co_ci_u32_e32 v112, vcc_lo, v128, v25, vcc_lo
	v_dual_add_f32 v116, v116, v115 :: v_dual_mov_b32 v115, 0
	s_and_b32 vcc_lo, exec_lo, s0
	global_store_b32 v[111:112], v116, off
	s_cbranch_vccnz .LBB47_47
; %bb.46:
	v_add_co_u32 v111, vcc_lo, v123, v20
	v_add_co_ci_u32_e32 v112, vcc_lo, v124, v21, vcc_lo
	flat_load_b32 v111, v[111:112]
	s_waitcnt vmcnt(0) lgkmcnt(0)
	v_mul_f32_e32 v115, s18, v111
.LBB47_47:
	v_dual_max_f32 v112, v17, v17 :: v_dual_max_f32 v111, v16, v16
	v_dual_max_f32 v18, v18, v18 :: v_dual_max_f32 v19, v19, v19
	s_delay_alu instid0(VALU_DEP_2) | instskip(NEXT) | instid1(VALU_DEP_2)
	v_dual_min_f32 v16, v112, v126 :: v_dual_min_f32 v17, v111, v125
	v_dual_min_f32 v116, v18, v122 :: v_dual_min_f32 v117, v19, v127
	s_delay_alu instid0(VALU_DEP_2) | instskip(NEXT) | instid1(VALU_DEP_3)
	v_dual_add_f32 v109, v16, v109 :: v_dual_add_nc_u32 v16, 56, v46
	v_add_f32_e32 v17, v17, v110
	s_delay_alu instid0(VALU_DEP_2) | instskip(NEXT) | instid1(VALU_DEP_2)
	v_add_f32_e32 v46, v117, v109
	v_add_f32_e32 v109, v116, v17
	s_delay_alu instid0(VALU_DEP_4) | instskip(NEXT) | instid1(VALU_DEP_2)
	v_ashrrev_i32_e32 v17, 31, v16
	v_add_f32_e32 v46, v109, v46
	v_add_co_u32 v109, vcc_lo, v121, v20
	s_delay_alu instid0(VALU_DEP_3) | instskip(SKIP_1) | instid1(VALU_DEP_4)
	v_lshlrev_b64 v[16:17], 2, v[16:17]
	v_add_co_ci_u32_e32 v110, vcc_lo, v128, v21, vcc_lo
	v_add_f32_e32 v46, v46, v115
	s_and_b32 vcc_lo, exec_lo, s0
	global_store_b32 v[109:110], v46, off
	s_cbranch_vccnz .LBB47_49
; %bb.48:
	v_add_co_u32 v109, vcc_lo, v123, v16
	v_add_co_ci_u32_e32 v110, vcc_lo, v124, v17, vcc_lo
	flat_load_b32 v46, v[109:110]
	s_waitcnt vmcnt(0) lgkmcnt(0)
	v_mul_f32_e32 v114, s18, v46
.LBB47_49:
	v_dual_max_f32 v12, v12, v12 :: v_dual_max_f32 v13, v13, v13
	v_dual_max_f32 v14, v14, v14 :: v_dual_add_nc_u32 v115, 32, v48
	s_delay_alu instid0(VALU_DEP_2) | instskip(NEXT) | instid1(VALU_DEP_3)
	v_dual_max_f32 v15, v15, v15 :: v_dual_min_f32 v46, v12, v125
	v_min_f32_e32 v116, v13, v126
	s_delay_alu instid0(VALU_DEP_3) | instskip(NEXT) | instid1(VALU_DEP_4)
	v_min_f32_e32 v117, v14, v122
	v_mad_i64_i32 v[109:110], null, v115, s8, 0
	s_delay_alu instid0(VALU_DEP_4) | instskip(NEXT) | instid1(VALU_DEP_4)
	v_min_f32_e32 v118, v15, v127
	v_add_f32_e32 v116, v116, v107
	v_add_f32_e32 v46, v46, v108
	s_delay_alu instid0(VALU_DEP_4) | instskip(NEXT) | instid1(VALU_DEP_3)
	v_lshlrev_b64 v[107:108], 2, v[109:110]
	v_add_f32_e32 v116, v118, v116
	s_delay_alu instid0(VALU_DEP_3) | instskip(SKIP_2) | instid1(VALU_DEP_3)
	v_add_f32_e32 v46, v117, v46
	v_add_co_u32 v109, vcc_lo, v121, v16
	v_add_co_ci_u32_e32 v110, vcc_lo, v128, v17, vcc_lo
	v_add_f32_e32 v116, v46, v116
	v_add_co_u32 v46, vcc_lo, s4, v107
	v_add_co_ci_u32_e32 v107, vcc_lo, s5, v108, vcc_lo
	s_delay_alu instid0(VALU_DEP_3)
	v_add_f32_e32 v108, v116, v114
	v_mov_b32_e32 v114, 0
	v_mov_b32_e32 v116, 0
	s_and_b32 vcc_lo, exec_lo, s0
	global_store_b32 v[109:110], v108, off
	s_cbranch_vccnz .LBB47_51
; %bb.50:
	v_add_co_u32 v108, vcc_lo, v46, v44
	v_add_co_ci_u32_e32 v109, vcc_lo, v107, v45, vcc_lo
	flat_load_b32 v108, v[108:109]
	s_waitcnt vmcnt(0) lgkmcnt(0)
	v_mul_f32_e32 v116, s18, v108
.LBB47_51:
	v_dual_max_f32 v108, v8, v8 :: v_dual_max_f32 v109, v9, v9
	v_max_f32_e32 v110, v10, v10
	v_mad_i64_i32 v[9:10], null, v115, s3, 0
	s_delay_alu instid0(VALU_DEP_3) | instskip(NEXT) | instid1(VALU_DEP_4)
	v_dual_max_f32 v8, v11, v11 :: v_dual_min_f32 v117, v49, v109
	v_min_f32_e32 v11, v47, v108
	s_delay_alu instid0(VALU_DEP_2) | instskip(NEXT) | instid1(VALU_DEP_3)
	v_dual_min_f32 v115, v42, v110 :: v_dual_min_f32 v118, v43, v8
	v_add_f32_e32 v105, v117, v105
	s_delay_alu instid0(VALU_DEP_3) | instskip(SKIP_1) | instid1(VALU_DEP_3)
	v_add_f32_e32 v11, v11, v106
	v_lshlrev_b64 v[9:10], 2, v[9:10]
	v_add_f32_e32 v105, v118, v105
	s_delay_alu instid0(VALU_DEP_3) | instskip(NEXT) | instid1(VALU_DEP_3)
	v_add_f32_e32 v11, v115, v11
	v_add_co_u32 v9, vcc_lo, s1, v9
	s_delay_alu instid0(VALU_DEP_4) | instskip(NEXT) | instid1(VALU_DEP_3)
	v_add_co_ci_u32_e32 v10, vcc_lo, s6, v10, vcc_lo
	v_add_f32_e32 v11, v11, v105
	s_delay_alu instid0(VALU_DEP_3) | instskip(NEXT) | instid1(VALU_DEP_3)
	v_add_co_u32 v105, vcc_lo, v9, v44
	v_add_co_ci_u32_e32 v106, vcc_lo, v10, v45, vcc_lo
	s_delay_alu instid0(VALU_DEP_3)
	v_add_f32_e32 v11, v11, v116
	s_and_b32 vcc_lo, exec_lo, s0
	global_store_b32 v[105:106], v11, off
	s_cbranch_vccnz .LBB47_53
; %bb.52:
	v_add_co_u32 v105, vcc_lo, v46, v40
	v_add_co_ci_u32_e32 v106, vcc_lo, v107, v41, vcc_lo
	flat_load_b32 v11, v[105:106]
	s_waitcnt vmcnt(0) lgkmcnt(0)
	v_mul_f32_e32 v114, s18, v11
.LBB47_53:
	v_dual_min_f32 v11, v51, v109 :: v_dual_min_f32 v106, v38, v110
	v_min_f32_e32 v105, v50, v108
	v_min_f32_e32 v115, v39, v8
	s_delay_alu instid0(VALU_DEP_3) | instskip(NEXT) | instid1(VALU_DEP_3)
	v_add_f32_e32 v11, v11, v103
	v_add_f32_e32 v103, v105, v104
	v_add_co_u32 v104, vcc_lo, v9, v40
	s_delay_alu instid0(VALU_DEP_3) | instskip(SKIP_1) | instid1(VALU_DEP_4)
	v_add_f32_e32 v11, v115, v11
	v_add_co_ci_u32_e32 v105, vcc_lo, v10, v41, vcc_lo
	v_add_f32_e32 v103, v106, v103
	s_and_b32 vcc_lo, exec_lo, s0
	s_delay_alu instid0(VALU_DEP_1) | instskip(NEXT) | instid1(VALU_DEP_1)
	v_add_f32_e32 v11, v103, v11
	v_dual_mov_b32 v103, 0 :: v_dual_add_f32 v106, v11, v114
	v_mov_b32_e32 v11, 0
	global_store_b32 v[104:105], v106, off
	s_cbranch_vccnz .LBB47_55
; %bb.54:
	v_add_co_u32 v103, vcc_lo, v46, v36
	v_add_co_ci_u32_e32 v104, vcc_lo, v107, v37, vcc_lo
	flat_load_b32 v103, v[103:104]
	s_waitcnt vmcnt(0) lgkmcnt(0)
	v_mul_f32_e32 v103, s18, v103
.LBB47_55:
	v_dual_min_f32 v104, v53, v109 :: v_dual_min_f32 v105, v52, v108
	s_delay_alu instid0(VALU_DEP_1) | instskip(NEXT) | instid1(VALU_DEP_2)
	v_dual_min_f32 v106, v34, v110 :: v_dual_add_f32 v101, v104, v101
	v_add_f32_e32 v102, v105, v102
	s_delay_alu instid0(VALU_DEP_1) | instskip(SKIP_1) | instid1(VALU_DEP_1)
	v_add_f32_e32 v102, v106, v102
	v_min_f32_e32 v114, v35, v8
	v_add_f32_e32 v101, v114, v101
	s_delay_alu instid0(VALU_DEP_1) | instskip(NEXT) | instid1(VALU_DEP_1)
	v_add_f32_e32 v101, v102, v101
	v_add_f32_e32 v103, v101, v103
	v_add_co_u32 v101, vcc_lo, v9, v36
	v_add_co_ci_u32_e32 v102, vcc_lo, v10, v37, vcc_lo
	s_and_b32 vcc_lo, exec_lo, s0
	global_store_b32 v[101:102], v103, off
	s_cbranch_vccnz .LBB47_57
; %bb.56:
	v_add_co_u32 v101, vcc_lo, v46, v32
	v_add_co_ci_u32_e32 v102, vcc_lo, v107, v33, vcc_lo
	flat_load_b32 v11, v[101:102]
	s_waitcnt vmcnt(0) lgkmcnt(0)
	v_mul_f32_e32 v11, s18, v11
.LBB47_57:
	v_dual_min_f32 v101, v55, v109 :: v_dual_min_f32 v102, v54, v108
	v_dual_min_f32 v103, v30, v110 :: v_dual_min_f32 v104, v31, v8
	s_delay_alu instid0(VALU_DEP_2) | instskip(NEXT) | instid1(VALU_DEP_3)
	v_add_f32_e32 v98, v101, v98
	v_add_f32_e32 v100, v102, v100
	s_delay_alu instid0(VALU_DEP_2) | instskip(NEXT) | instid1(VALU_DEP_2)
	v_add_f32_e32 v98, v104, v98
	v_add_f32_e32 v100, v103, v100
	s_delay_alu instid0(VALU_DEP_1) | instskip(SKIP_2) | instid1(VALU_DEP_3)
	v_add_f32_e32 v98, v100, v98
	v_add_co_u32 v100, vcc_lo, v9, v32
	v_add_co_ci_u32_e32 v101, vcc_lo, v10, v33, vcc_lo
	v_dual_add_f32 v102, v98, v11 :: v_dual_mov_b32 v11, 0
	v_mov_b32_e32 v98, 0
	s_and_b32 vcc_lo, exec_lo, s0
	global_store_b32 v[100:101], v102, off
	s_cbranch_vccnz .LBB47_59
; %bb.58:
	v_add_co_u32 v100, vcc_lo, v46, v28
	v_add_co_ci_u32_e32 v101, vcc_lo, v107, v29, vcc_lo
	flat_load_b32 v98, v[100:101]
	s_waitcnt vmcnt(0) lgkmcnt(0)
	v_mul_f32_e32 v98, s18, v98
.LBB47_59:
	v_dual_min_f32 v100, v57, v109 :: v_dual_min_f32 v101, v56, v108
	v_dual_min_f32 v102, v26, v110 :: v_dual_min_f32 v103, v27, v8
	s_delay_alu instid0(VALU_DEP_2) | instskip(NEXT) | instid1(VALU_DEP_3)
	v_add_f32_e32 v97, v100, v97
	v_add_f32_e32 v99, v101, v99
	s_delay_alu instid0(VALU_DEP_2) | instskip(NEXT) | instid1(VALU_DEP_2)
	v_add_f32_e32 v97, v103, v97
	v_add_f32_e32 v99, v102, v99
	s_delay_alu instid0(VALU_DEP_1) | instskip(NEXT) | instid1(VALU_DEP_1)
	v_add_f32_e32 v97, v99, v97
	v_add_f32_e32 v99, v97, v98
	v_add_co_u32 v97, vcc_lo, v9, v28
	v_add_co_ci_u32_e32 v98, vcc_lo, v10, v29, vcc_lo
	s_and_b32 vcc_lo, exec_lo, s0
	global_store_b32 v[97:98], v99, off
	s_cbranch_vccnz .LBB47_61
; %bb.60:
	v_add_co_u32 v97, vcc_lo, v46, v24
	v_add_co_ci_u32_e32 v98, vcc_lo, v107, v25, vcc_lo
	flat_load_b32 v11, v[97:98]
	s_waitcnt vmcnt(0) lgkmcnt(0)
	v_mul_f32_e32 v11, s18, v11
.LBB47_61:
	v_dual_min_f32 v97, v113, v109 :: v_dual_min_f32 v98, v70, v108
	v_dual_min_f32 v99, v22, v110 :: v_dual_min_f32 v100, v23, v8
	s_delay_alu instid0(VALU_DEP_2) | instskip(NEXT) | instid1(VALU_DEP_1)
	v_dual_add_f32 v95, v97, v95 :: v_dual_add_f32 v96, v98, v96
	v_dual_add_f32 v95, v100, v95 :: v_dual_add_f32 v96, v99, v96
	s_delay_alu instid0(VALU_DEP_1) | instskip(SKIP_2) | instid1(VALU_DEP_3)
	v_add_f32_e32 v95, v96, v95
	v_add_co_u32 v96, vcc_lo, v9, v24
	v_add_co_ci_u32_e32 v97, vcc_lo, v10, v25, vcc_lo
	v_dual_add_f32 v98, v95, v11 :: v_dual_mov_b32 v11, 0
	v_mov_b32_e32 v95, 0
	s_and_b32 vcc_lo, exec_lo, s0
	global_store_b32 v[96:97], v98, off
	s_cbranch_vccnz .LBB47_63
; %bb.62:
	v_add_co_u32 v95, vcc_lo, v46, v20
	v_add_co_ci_u32_e32 v96, vcc_lo, v107, v21, vcc_lo
	flat_load_b32 v95, v[95:96]
	s_waitcnt vmcnt(0) lgkmcnt(0)
	v_mul_f32_e32 v95, s18, v95
.LBB47_63:
	v_dual_min_f32 v96, v112, v109 :: v_dual_min_f32 v97, v111, v108
	v_dual_min_f32 v98, v18, v110 :: v_dual_min_f32 v99, v19, v8
	s_delay_alu instid0(VALU_DEP_2) | instskip(NEXT) | instid1(VALU_DEP_1)
	v_dual_add_f32 v93, v96, v93 :: v_dual_add_f32 v94, v97, v94
	v_dual_add_f32 v93, v99, v93 :: v_dual_add_f32 v94, v98, v94
	s_delay_alu instid0(VALU_DEP_1) | instskip(NEXT) | instid1(VALU_DEP_1)
	v_add_f32_e32 v93, v94, v93
	v_add_f32_e32 v95, v93, v95
	v_add_co_u32 v93, vcc_lo, v9, v20
	v_add_co_ci_u32_e32 v94, vcc_lo, v10, v21, vcc_lo
	s_and_b32 vcc_lo, exec_lo, s0
	global_store_b32 v[93:94], v95, off
	s_cbranch_vccnz .LBB47_65
; %bb.64:
	v_add_co_u32 v93, vcc_lo, v46, v16
	v_add_co_ci_u32_e32 v94, vcc_lo, v107, v17, vcc_lo
	flat_load_b32 v11, v[93:94]
	s_waitcnt vmcnt(0) lgkmcnt(0)
	v_mul_f32_e32 v11, s18, v11
.LBB47_65:
	v_dual_min_f32 v46, v12, v108 :: v_dual_min_f32 v95, v14, v110
	v_dual_min_f32 v94, v13, v109 :: v_dual_add_nc_u32 v93, 64, v48
	v_min_f32_e32 v8, v15, v8
	s_delay_alu instid0(VALU_DEP_3) | instskip(NEXT) | instid1(VALU_DEP_3)
	v_add_f32_e32 v46, v46, v92
	v_add_f32_e32 v94, v94, v91
	s_delay_alu instid0(VALU_DEP_4) | instskip(NEXT) | instid1(VALU_DEP_3)
	v_mad_i64_i32 v[91:92], null, v93, s8, 0
	v_add_f32_e32 v46, v95, v46
	s_delay_alu instid0(VALU_DEP_3) | instskip(SKIP_3) | instid1(VALU_DEP_4)
	v_add_f32_e32 v8, v8, v94
	v_add_co_u32 v94, vcc_lo, v9, v16
	v_add_co_ci_u32_e32 v95, vcc_lo, v10, v17, vcc_lo
	v_lshlrev_b64 v[91:92], 2, v[91:92]
	v_add_f32_e32 v8, v46, v8
	s_delay_alu instid0(VALU_DEP_1) | instskip(NEXT) | instid1(VALU_DEP_3)
	v_add_f32_e32 v10, v8, v11
	v_add_co_u32 v8, vcc_lo, s4, v91
	v_mov_b32_e32 v91, 0
	v_add_co_ci_u32_e32 v9, vcc_lo, s5, v92, vcc_lo
	v_mov_b32_e32 v92, 0
	s_and_b32 vcc_lo, exec_lo, s0
	global_store_b32 v[94:95], v10, off
	s_cbranch_vccnz .LBB47_67
; %bb.66:
	v_add_co_u32 v10, vcc_lo, v8, v44
	v_add_co_ci_u32_e32 v11, vcc_lo, v9, v45, vcc_lo
	flat_load_b32 v10, v[10:11]
	s_waitcnt vmcnt(0) lgkmcnt(0)
	v_mul_f32_e32 v92, s18, v10
.LBB47_67:
	v_dual_max_f32 v10, v4, v4 :: v_dual_max_f32 v11, v5, v5
	v_max_f32_e32 v4, v7, v7
	v_max_f32_e32 v46, v6, v6
	v_mad_i64_i32 v[5:6], null, v93, s3, 0
	s_delay_alu instid0(VALU_DEP_4) | instskip(NEXT) | instid1(VALU_DEP_4)
	v_dual_min_f32 v7, v47, v10 :: v_dual_min_f32 v94, v49, v11
	v_min_f32_e32 v95, v43, v4
	s_delay_alu instid0(VALU_DEP_4) | instskip(NEXT) | instid1(VALU_DEP_3)
	v_min_f32_e32 v93, v42, v46
	v_add_f32_e32 v7, v7, v90
	s_delay_alu instid0(VALU_DEP_4) | instskip(SKIP_1) | instid1(VALU_DEP_3)
	v_add_f32_e32 v89, v94, v89
	v_lshlrev_b64 v[5:6], 2, v[5:6]
	v_add_f32_e32 v7, v93, v7
	s_delay_alu instid0(VALU_DEP_3) | instskip(NEXT) | instid1(VALU_DEP_3)
	v_add_f32_e32 v89, v95, v89
	v_add_co_u32 v5, vcc_lo, s1, v5
	s_delay_alu instid0(VALU_DEP_4) | instskip(NEXT) | instid1(VALU_DEP_3)
	v_add_co_ci_u32_e32 v6, vcc_lo, s6, v6, vcc_lo
	v_add_f32_e32 v7, v7, v89
	s_delay_alu instid0(VALU_DEP_3) | instskip(NEXT) | instid1(VALU_DEP_3)
	v_add_co_u32 v89, vcc_lo, v5, v44
	v_add_co_ci_u32_e32 v90, vcc_lo, v6, v45, vcc_lo
	s_delay_alu instid0(VALU_DEP_3)
	v_add_f32_e32 v7, v7, v92
	s_and_b32 vcc_lo, exec_lo, s0
	global_store_b32 v[89:90], v7, off
	s_cbranch_vccnz .LBB47_69
; %bb.68:
	v_add_co_u32 v89, vcc_lo, v8, v40
	v_add_co_ci_u32_e32 v90, vcc_lo, v9, v41, vcc_lo
	flat_load_b32 v7, v[89:90]
	s_waitcnt vmcnt(0) lgkmcnt(0)
	v_mul_f32_e32 v91, s18, v7
.LBB47_69:
	v_dual_min_f32 v7, v51, v11 :: v_dual_min_f32 v90, v38, v46
	v_dual_min_f32 v89, v50, v10 :: v_dual_min_f32 v92, v39, v4
	s_delay_alu instid0(VALU_DEP_2) | instskip(NEXT) | instid1(VALU_DEP_2)
	v_add_f32_e32 v7, v7, v87
	v_add_f32_e32 v87, v89, v88
	v_add_co_u32 v88, vcc_lo, v5, v40
	s_delay_alu instid0(VALU_DEP_3) | instskip(SKIP_1) | instid1(VALU_DEP_4)
	v_add_f32_e32 v7, v92, v7
	v_add_co_ci_u32_e32 v89, vcc_lo, v6, v41, vcc_lo
	v_add_f32_e32 v87, v90, v87
	s_and_b32 vcc_lo, exec_lo, s0
	s_delay_alu instid0(VALU_DEP_1) | instskip(NEXT) | instid1(VALU_DEP_1)
	v_add_f32_e32 v7, v87, v7
	v_dual_mov_b32 v87, 0 :: v_dual_add_f32 v90, v7, v91
	v_mov_b32_e32 v7, 0
	global_store_b32 v[88:89], v90, off
	s_cbranch_vccnz .LBB47_71
; %bb.70:
	v_add_co_u32 v87, vcc_lo, v8, v36
	v_add_co_ci_u32_e32 v88, vcc_lo, v9, v37, vcc_lo
	flat_load_b32 v87, v[87:88]
	s_waitcnt vmcnt(0) lgkmcnt(0)
	v_mul_f32_e32 v87, s18, v87
.LBB47_71:
	v_dual_min_f32 v88, v53, v11 :: v_dual_min_f32 v89, v52, v10
	v_dual_min_f32 v90, v34, v46 :: v_dual_min_f32 v91, v35, v4
	s_delay_alu instid0(VALU_DEP_2) | instskip(NEXT) | instid1(VALU_DEP_1)
	v_dual_add_f32 v85, v88, v85 :: v_dual_add_f32 v86, v89, v86
	v_dual_add_f32 v85, v91, v85 :: v_dual_add_f32 v86, v90, v86
	s_delay_alu instid0(VALU_DEP_1) | instskip(NEXT) | instid1(VALU_DEP_1)
	v_add_f32_e32 v85, v86, v85
	v_add_f32_e32 v87, v85, v87
	v_add_co_u32 v85, vcc_lo, v5, v36
	v_add_co_ci_u32_e32 v86, vcc_lo, v6, v37, vcc_lo
	s_and_b32 vcc_lo, exec_lo, s0
	global_store_b32 v[85:86], v87, off
	s_cbranch_vccnz .LBB47_73
; %bb.72:
	v_add_co_u32 v85, vcc_lo, v8, v32
	v_add_co_ci_u32_e32 v86, vcc_lo, v9, v33, vcc_lo
	flat_load_b32 v7, v[85:86]
	s_waitcnt vmcnt(0) lgkmcnt(0)
	v_mul_f32_e32 v7, s18, v7
.LBB47_73:
	v_dual_min_f32 v85, v55, v11 :: v_dual_min_f32 v86, v54, v10
	v_dual_min_f32 v87, v30, v46 :: v_dual_min_f32 v88, v31, v4
	s_delay_alu instid0(VALU_DEP_2) | instskip(NEXT) | instid1(VALU_DEP_1)
	v_dual_add_f32 v83, v85, v83 :: v_dual_add_f32 v84, v86, v84
	v_dual_add_f32 v83, v88, v83 :: v_dual_add_f32 v84, v87, v84
	s_delay_alu instid0(VALU_DEP_1) | instskip(SKIP_2) | instid1(VALU_DEP_3)
	v_add_f32_e32 v83, v84, v83
	v_add_co_u32 v84, vcc_lo, v5, v32
	v_add_co_ci_u32_e32 v85, vcc_lo, v6, v33, vcc_lo
	v_dual_add_f32 v86, v83, v7 :: v_dual_mov_b32 v7, 0
	v_mov_b32_e32 v83, 0
	s_and_b32 vcc_lo, exec_lo, s0
	global_store_b32 v[84:85], v86, off
	s_cbranch_vccnz .LBB47_75
; %bb.74:
	v_add_co_u32 v83, vcc_lo, v8, v28
	v_add_co_ci_u32_e32 v84, vcc_lo, v9, v29, vcc_lo
	flat_load_b32 v83, v[83:84]
	s_waitcnt vmcnt(0) lgkmcnt(0)
	v_mul_f32_e32 v83, s18, v83
.LBB47_75:
	v_dual_min_f32 v84, v57, v11 :: v_dual_min_f32 v85, v56, v10
	v_dual_min_f32 v86, v26, v46 :: v_dual_min_f32 v87, v27, v4
	s_delay_alu instid0(VALU_DEP_2) | instskip(NEXT) | instid1(VALU_DEP_1)
	v_dual_add_f32 v81, v84, v81 :: v_dual_add_f32 v82, v85, v82
	v_dual_add_f32 v81, v87, v81 :: v_dual_add_f32 v82, v86, v82
	s_delay_alu instid0(VALU_DEP_1) | instskip(NEXT) | instid1(VALU_DEP_1)
	v_add_f32_e32 v81, v82, v81
	v_add_f32_e32 v83, v81, v83
	v_add_co_u32 v81, vcc_lo, v5, v28
	v_add_co_ci_u32_e32 v82, vcc_lo, v6, v29, vcc_lo
	s_and_b32 vcc_lo, exec_lo, s0
	global_store_b32 v[81:82], v83, off
	s_cbranch_vccnz .LBB47_77
; %bb.76:
	v_add_co_u32 v81, vcc_lo, v8, v24
	v_add_co_ci_u32_e32 v82, vcc_lo, v9, v25, vcc_lo
	flat_load_b32 v7, v[81:82]
	s_waitcnt vmcnt(0) lgkmcnt(0)
	v_mul_f32_e32 v7, s18, v7
.LBB47_77:
	v_dual_min_f32 v81, v113, v11 :: v_dual_min_f32 v82, v70, v10
	v_dual_min_f32 v83, v22, v46 :: v_dual_min_f32 v84, v23, v4
	s_delay_alu instid0(VALU_DEP_2) | instskip(NEXT) | instid1(VALU_DEP_3)
	v_add_f32_e32 v78, v81, v78
	v_add_f32_e32 v80, v82, v80
	s_delay_alu instid0(VALU_DEP_2) | instskip(NEXT) | instid1(VALU_DEP_2)
	v_add_f32_e32 v78, v84, v78
	v_add_f32_e32 v80, v83, v80
	s_delay_alu instid0(VALU_DEP_1) | instskip(SKIP_2) | instid1(VALU_DEP_3)
	v_add_f32_e32 v78, v80, v78
	v_add_co_u32 v80, vcc_lo, v5, v24
	v_add_co_ci_u32_e32 v81, vcc_lo, v6, v25, vcc_lo
	v_dual_add_f32 v82, v78, v7 :: v_dual_mov_b32 v7, 0
	v_mov_b32_e32 v78, 0
	s_and_b32 vcc_lo, exec_lo, s0
	global_store_b32 v[80:81], v82, off
	s_cbranch_vccnz .LBB47_79
; %bb.78:
	v_add_co_u32 v80, vcc_lo, v8, v20
	v_add_co_ci_u32_e32 v81, vcc_lo, v9, v21, vcc_lo
	flat_load_b32 v78, v[80:81]
	s_waitcnt vmcnt(0) lgkmcnt(0)
	v_mul_f32_e32 v78, s18, v78
.LBB47_79:
	v_dual_min_f32 v80, v112, v11 :: v_dual_min_f32 v81, v111, v10
	v_dual_min_f32 v82, v18, v46 :: v_dual_min_f32 v83, v19, v4
	s_delay_alu instid0(VALU_DEP_2) | instskip(NEXT) | instid1(VALU_DEP_3)
	v_add_f32_e32 v77, v80, v77
	v_add_f32_e32 v79, v81, v79
	s_delay_alu instid0(VALU_DEP_2) | instskip(NEXT) | instid1(VALU_DEP_2)
	v_add_f32_e32 v77, v83, v77
	v_add_f32_e32 v79, v82, v79
	s_delay_alu instid0(VALU_DEP_1) | instskip(NEXT) | instid1(VALU_DEP_1)
	v_add_f32_e32 v77, v79, v77
	v_add_f32_e32 v79, v77, v78
	v_add_co_u32 v77, vcc_lo, v5, v20
	v_add_co_ci_u32_e32 v78, vcc_lo, v6, v21, vcc_lo
	s_and_b32 vcc_lo, exec_lo, s0
	global_store_b32 v[77:78], v79, off
	s_cbranch_vccnz .LBB47_81
; %bb.80:
	v_add_co_u32 v7, vcc_lo, v8, v16
	v_add_co_ci_u32_e32 v8, vcc_lo, v9, v17, vcc_lo
	flat_load_b32 v7, v[7:8]
	s_waitcnt vmcnt(0) lgkmcnt(0)
	v_mul_f32_e32 v7, s18, v7
.LBB47_81:
	v_dual_min_f32 v8, v12, v10 :: v_dual_add_nc_u32 v9, 0x60, v48
	v_min_f32_e32 v10, v13, v11
	v_min_f32_e32 v46, v14, v46
	v_min_f32_e32 v4, v15, v4
	s_delay_alu instid0(VALU_DEP_4) | instskip(NEXT) | instid1(VALU_DEP_4)
	v_add_f32_e32 v8, v8, v76
	v_add_f32_e32 v48, v10, v75
	v_mad_i64_i32 v[10:11], null, v9, s8, 0
	s_delay_alu instid0(VALU_DEP_3) | instskip(SKIP_1) | instid1(VALU_DEP_4)
	v_add_f32_e32 v8, v46, v8
	v_add_co_u32 v75, vcc_lo, v5, v16
	v_add_f32_e32 v4, v4, v48
	v_add_co_ci_u32_e32 v76, vcc_lo, v6, v17, vcc_lo
	v_lshlrev_b64 v[10:11], 2, v[10:11]
	s_delay_alu instid0(VALU_DEP_3) | instskip(SKIP_1) | instid1(VALU_DEP_2)
	v_add_f32_e32 v4, v8, v4
	v_mov_b32_e32 v8, 0
	v_add_f32_e32 v6, v4, v7
	s_delay_alu instid0(VALU_DEP_4)
	v_add_co_u32 v4, vcc_lo, s4, v10
	v_add_co_ci_u32_e32 v5, vcc_lo, s5, v11, vcc_lo
	v_mov_b32_e32 v10, 0
	s_and_b32 vcc_lo, exec_lo, s0
	global_store_b32 v[75:76], v6, off
	s_cbranch_vccnz .LBB47_83
; %bb.82:
	v_add_co_u32 v6, vcc_lo, v4, v44
	v_add_co_ci_u32_e32 v7, vcc_lo, v5, v45, vcc_lo
	flat_load_b32 v6, v[6:7]
	s_waitcnt vmcnt(0) lgkmcnt(0)
	v_mul_f32_e32 v10, s18, v6
.LBB47_83:
	s_waitcnt lgkmcnt(0)
	v_dual_max_f32 v0, v0, v0 :: v_dual_max_f32 v1, v1, v1
	v_dual_max_f32 v2, v2, v2 :: v_dual_max_f32 v3, v3, v3
	v_mad_i64_i32 v[6:7], null, v9, s3, 0
	s_delay_alu instid0(VALU_DEP_3) | instskip(NEXT) | instid1(VALU_DEP_3)
	v_dual_min_f32 v11, v47, v0 :: v_dual_min_f32 v46, v49, v1
	v_dual_min_f32 v9, v42, v2 :: v_dual_min_f32 v42, v43, v3
	s_delay_alu instid0(VALU_DEP_2) | instskip(NEXT) | instid1(VALU_DEP_3)
	v_add_f32_e32 v43, v46, v71
	v_add_f32_e32 v11, v11, v74
	v_lshlrev_b64 v[6:7], 2, v[6:7]
	s_delay_alu instid0(VALU_DEP_3) | instskip(NEXT) | instid1(VALU_DEP_3)
	v_add_f32_e32 v42, v42, v43
	v_add_f32_e32 v9, v9, v11
	s_delay_alu instid0(VALU_DEP_3) | instskip(NEXT) | instid1(VALU_DEP_4)
	v_add_co_u32 v6, vcc_lo, s1, v6
	v_add_co_ci_u32_e32 v7, vcc_lo, s6, v7, vcc_lo
	s_delay_alu instid0(VALU_DEP_3) | instskip(NEXT) | instid1(VALU_DEP_1)
	v_add_f32_e32 v9, v9, v42
	v_add_f32_e32 v11, v9, v10
	s_delay_alu instid0(VALU_DEP_4) | instskip(NEXT) | instid1(VALU_DEP_4)
	v_add_co_u32 v9, vcc_lo, v6, v44
	v_add_co_ci_u32_e32 v10, vcc_lo, v7, v45, vcc_lo
	s_and_b32 vcc_lo, exec_lo, s0
	global_store_b32 v[9:10], v11, off
	s_cbranch_vccnz .LBB47_85
; %bb.84:
	v_add_co_u32 v8, vcc_lo, v4, v40
	v_add_co_ci_u32_e32 v9, vcc_lo, v5, v41, vcc_lo
	flat_load_b32 v8, v[8:9]
	s_waitcnt vmcnt(0) lgkmcnt(0)
	v_mul_f32_e32 v8, s18, v8
.LBB47_85:
	v_dual_min_f32 v9, v51, v1 :: v_dual_min_f32 v10, v50, v0
	v_dual_min_f32 v11, v38, v2 :: v_dual_min_f32 v38, v39, v3
	s_delay_alu instid0(VALU_DEP_2) | instskip(NEXT) | instid1(VALU_DEP_1)
	v_dual_add_f32 v9, v9, v72 :: v_dual_add_f32 v10, v10, v73
	v_dual_add_f32 v9, v38, v9 :: v_dual_add_f32 v10, v11, v10
	s_delay_alu instid0(VALU_DEP_1) | instskip(SKIP_2) | instid1(VALU_DEP_3)
	v_add_f32_e32 v9, v10, v9
	v_add_co_u32 v10, vcc_lo, v6, v40
	v_add_co_ci_u32_e32 v11, vcc_lo, v7, v41, vcc_lo
	v_dual_add_f32 v38, v9, v8 :: v_dual_mov_b32 v9, 0
	v_mov_b32_e32 v8, 0
	s_and_b32 vcc_lo, exec_lo, s0
	global_store_b32 v[10:11], v38, off
	s_cbranch_vccnz .LBB47_87
; %bb.86:
	v_add_co_u32 v9, vcc_lo, v4, v36
	v_add_co_ci_u32_e32 v10, vcc_lo, v5, v37, vcc_lo
	flat_load_b32 v9, v[9:10]
	s_waitcnt vmcnt(0) lgkmcnt(0)
	v_mul_f32_e32 v9, s18, v9
.LBB47_87:
	v_dual_min_f32 v10, v53, v1 :: v_dual_min_f32 v11, v52, v0
	v_dual_min_f32 v34, v34, v2 :: v_dual_min_f32 v35, v35, v3
	s_delay_alu instid0(VALU_DEP_2) | instskip(NEXT) | instid1(VALU_DEP_1)
	v_dual_add_f32 v10, v10, v67 :: v_dual_add_f32 v11, v11, v69
	v_dual_add_f32 v10, v35, v10 :: v_dual_add_f32 v11, v34, v11
	s_delay_alu instid0(VALU_DEP_1) | instskip(NEXT) | instid1(VALU_DEP_1)
	v_add_f32_e32 v10, v11, v10
	v_add_f32_e32 v11, v10, v9
	v_add_co_u32 v9, vcc_lo, v6, v36
	v_add_co_ci_u32_e32 v10, vcc_lo, v7, v37, vcc_lo
	s_and_b32 vcc_lo, exec_lo, s0
	global_store_b32 v[9:10], v11, off
	s_cbranch_vccnz .LBB47_89
; %bb.88:
	v_add_co_u32 v8, vcc_lo, v4, v32
	v_add_co_ci_u32_e32 v9, vcc_lo, v5, v33, vcc_lo
	flat_load_b32 v8, v[8:9]
	s_waitcnt vmcnt(0) lgkmcnt(0)
	v_mul_f32_e32 v8, s18, v8
.LBB47_89:
	v_dual_min_f32 v9, v55, v1 :: v_dual_min_f32 v10, v54, v0
	v_dual_min_f32 v11, v30, v2 :: v_dual_min_f32 v30, v31, v3
	s_delay_alu instid0(VALU_DEP_2) | instskip(NEXT) | instid1(VALU_DEP_1)
	v_dual_add_f32 v9, v9, v66 :: v_dual_add_f32 v10, v10, v68
	v_dual_add_f32 v9, v30, v9 :: v_dual_add_f32 v10, v11, v10
	s_delay_alu instid0(VALU_DEP_1) | instskip(SKIP_2) | instid1(VALU_DEP_3)
	v_add_f32_e32 v9, v10, v9
	v_add_co_u32 v10, vcc_lo, v6, v32
	v_add_co_ci_u32_e32 v11, vcc_lo, v7, v33, vcc_lo
	v_dual_add_f32 v30, v9, v8 :: v_dual_mov_b32 v9, 0
	v_mov_b32_e32 v8, 0
	s_and_b32 vcc_lo, exec_lo, s0
	global_store_b32 v[10:11], v30, off
	s_cbranch_vccnz .LBB47_91
; %bb.90:
	v_add_co_u32 v9, vcc_lo, v4, v28
	v_add_co_ci_u32_e32 v10, vcc_lo, v5, v29, vcc_lo
	flat_load_b32 v9, v[9:10]
	s_waitcnt vmcnt(0) lgkmcnt(0)
	v_mul_f32_e32 v9, s18, v9
.LBB47_91:
	v_dual_min_f32 v10, v57, v1 :: v_dual_min_f32 v11, v56, v0
	v_dual_min_f32 v26, v26, v2 :: v_dual_min_f32 v27, v27, v3
	s_delay_alu instid0(VALU_DEP_2) | instskip(NEXT) | instid1(VALU_DEP_1)
	v_dual_add_f32 v10, v10, v64 :: v_dual_add_f32 v11, v11, v65
	v_dual_add_f32 v10, v27, v10 :: v_dual_add_f32 v11, v26, v11
	s_delay_alu instid0(VALU_DEP_1) | instskip(NEXT) | instid1(VALU_DEP_1)
	v_add_f32_e32 v10, v11, v10
	v_add_f32_e32 v11, v10, v9
	v_add_co_u32 v9, vcc_lo, v6, v28
	v_add_co_ci_u32_e32 v10, vcc_lo, v7, v29, vcc_lo
	s_and_b32 vcc_lo, exec_lo, s0
	global_store_b32 v[9:10], v11, off
	s_cbranch_vccnz .LBB47_93
; %bb.92:
	v_add_co_u32 v8, vcc_lo, v4, v24
	v_add_co_ci_u32_e32 v9, vcc_lo, v5, v25, vcc_lo
	flat_load_b32 v8, v[8:9]
	s_waitcnt vmcnt(0) lgkmcnt(0)
	v_mul_f32_e32 v8, s18, v8
.LBB47_93:
	v_dual_min_f32 v9, v113, v1 :: v_dual_min_f32 v10, v70, v0
	v_dual_min_f32 v11, v22, v2 :: v_dual_min_f32 v22, v23, v3
	;; [unrolled: 1-line block ×3, first 2 shown]
	s_delay_alu instid0(VALU_DEP_3) | instskip(NEXT) | instid1(VALU_DEP_1)
	v_dual_add_f32 v10, v10, v63 :: v_dual_add_f32 v9, v9, v60
	v_add_f32_e32 v10, v11, v10
	s_delay_alu instid0(VALU_DEP_2) | instskip(NEXT) | instid1(VALU_DEP_4)
	v_dual_min_f32 v26, v111, v0 :: v_dual_add_f32 v9, v22, v9
	v_add_f32_e32 v23, v23, v62
	v_min_f32_e32 v11, v19, v3
	s_delay_alu instid0(VALU_DEP_3) | instskip(NEXT) | instid1(VALU_DEP_4)
	v_add_f32_e32 v19, v26, v61
	v_add_f32_e32 v22, v10, v9
	v_add_co_u32 v9, vcc_lo, v6, v24
	s_delay_alu instid0(VALU_DEP_4) | instskip(NEXT) | instid1(VALU_DEP_4)
	v_add_f32_e32 v11, v11, v23
	v_add_f32_e32 v18, v18, v19
	v_add_co_ci_u32_e32 v10, vcc_lo, v7, v25, vcc_lo
	v_add_f32_e32 v19, v22, v8
	s_mov_b32 vcc_lo, s2
	s_delay_alu instid0(VALU_DEP_3)
	v_add_f32_e32 v8, v18, v11
	global_store_b32 v[9:10], v19, off
	s_cbranch_vccz .LBB47_96
; %bb.94:
	v_add_co_u32 v9, vcc_lo, v6, v20
	v_add_f32_e32 v11, 0, v8
	v_add_co_ci_u32_e32 v10, vcc_lo, v7, v21, vcc_lo
	s_mov_b32 s0, 0
	global_store_b32 v[9:10], v11, off
	s_cbranch_execz .LBB47_97
; %bb.95:
	v_mov_b32_e32 v4, s0
	s_branch .LBB47_98
.LBB47_96:
	s_mov_b32 s0, -1
.LBB47_97:
	v_add_co_u32 v9, vcc_lo, v4, v20
	v_add_co_ci_u32_e32 v10, vcc_lo, v5, v21, vcc_lo
	flat_load_b32 v11, v[9:10]
	v_add_co_u32 v9, vcc_lo, v6, v20
	v_add_co_ci_u32_e32 v10, vcc_lo, v7, v21, vcc_lo
	v_add_co_u32 v4, vcc_lo, v4, v16
	v_add_co_ci_u32_e32 v5, vcc_lo, v5, v17, vcc_lo
	s_waitcnt vmcnt(0) lgkmcnt(0)
	v_fmac_f32_e32 v8, s18, v11
	global_store_b32 v[9:10], v8, off
	flat_load_b32 v4, v[4:5]
	s_waitcnt vmcnt(0) lgkmcnt(0)
	v_mul_f32_e32 v4, s18, v4
.LBB47_98:
	v_dual_min_f32 v1, v13, v1 :: v_dual_min_f32 v0, v12, v0
	v_dual_min_f32 v2, v14, v2 :: v_dual_min_f32 v3, v15, v3
	s_delay_alu instid0(VALU_DEP_2) | instskip(NEXT) | instid1(VALU_DEP_1)
	v_dual_add_f32 v1, v1, v58 :: v_dual_add_f32 v0, v0, v59
	v_dual_add_f32 v1, v3, v1 :: v_dual_add_f32 v0, v2, v0
	s_delay_alu instid0(VALU_DEP_1) | instskip(NEXT) | instid1(VALU_DEP_1)
	v_add_f32_e32 v0, v0, v1
	v_add_f32_e32 v2, v0, v4
	v_add_co_u32 v0, vcc_lo, v6, v16
	v_add_co_ci_u32_e32 v1, vcc_lo, v7, v17, vcc_lo
	global_store_b32 v[0:1], v2, off
	s_nop 0
	s_sendmsg sendmsg(MSG_DEALLOC_VGPRS)
	s_endpgm
	.section	.rodata,"a",@progbits
	.p2align	6, 0x0
	.amdhsa_kernel _ZN12_GLOBAL__N_120geam_min_plus_kernelIf15HIP_vector_typeIfLj2EES2_Li8ELi32ELi64ELi128ELi4ELi4ELi64ELi64ELi4ELc84ELc84ELb0ELb0ELb0EfKPKfKPfEEviiiT16_PT17_ilSA_ilS8_SA_ilPT18_ili26rocblas_geam_ex_operation_
		.amdhsa_group_segment_fixed_size 6144
		.amdhsa_private_segment_fixed_size 0
		.amdhsa_kernarg_size 128
		.amdhsa_user_sgpr_count 14
		.amdhsa_user_sgpr_dispatch_ptr 0
		.amdhsa_user_sgpr_queue_ptr 0
		.amdhsa_user_sgpr_kernarg_segment_ptr 1
		.amdhsa_user_sgpr_dispatch_id 0
		.amdhsa_user_sgpr_private_segment_size 0
		.amdhsa_wavefront_size32 1
		.amdhsa_uses_dynamic_stack 0
		.amdhsa_enable_private_segment 0
		.amdhsa_system_sgpr_workgroup_id_x 1
		.amdhsa_system_sgpr_workgroup_id_y 0
		.amdhsa_system_sgpr_workgroup_id_z 1
		.amdhsa_system_sgpr_workgroup_info 0
		.amdhsa_system_vgpr_workitem_id 1
		.amdhsa_next_free_vgpr 225
		.amdhsa_next_free_sgpr 24
		.amdhsa_reserve_vcc 1
		.amdhsa_float_round_mode_32 0
		.amdhsa_float_round_mode_16_64 0
		.amdhsa_float_denorm_mode_32 3
		.amdhsa_float_denorm_mode_16_64 3
		.amdhsa_dx10_clamp 1
		.amdhsa_ieee_mode 1
		.amdhsa_fp16_overflow 0
		.amdhsa_workgroup_processor_mode 1
		.amdhsa_memory_ordered 1
		.amdhsa_forward_progress 0
		.amdhsa_shared_vgpr_count 0
		.amdhsa_exception_fp_ieee_invalid_op 0
		.amdhsa_exception_fp_denorm_src 0
		.amdhsa_exception_fp_ieee_div_zero 0
		.amdhsa_exception_fp_ieee_overflow 0
		.amdhsa_exception_fp_ieee_underflow 0
		.amdhsa_exception_fp_ieee_inexact 0
		.amdhsa_exception_int_div_zero 0
	.end_amdhsa_kernel
	.section	.text._ZN12_GLOBAL__N_120geam_min_plus_kernelIf15HIP_vector_typeIfLj2EES2_Li8ELi32ELi64ELi128ELi4ELi4ELi64ELi64ELi4ELc84ELc84ELb0ELb0ELb0EfKPKfKPfEEviiiT16_PT17_ilSA_ilS8_SA_ilPT18_ili26rocblas_geam_ex_operation_,"axG",@progbits,_ZN12_GLOBAL__N_120geam_min_plus_kernelIf15HIP_vector_typeIfLj2EES2_Li8ELi32ELi64ELi128ELi4ELi4ELi64ELi64ELi4ELc84ELc84ELb0ELb0ELb0EfKPKfKPfEEviiiT16_PT17_ilSA_ilS8_SA_ilPT18_ili26rocblas_geam_ex_operation_,comdat
.Lfunc_end47:
	.size	_ZN12_GLOBAL__N_120geam_min_plus_kernelIf15HIP_vector_typeIfLj2EES2_Li8ELi32ELi64ELi128ELi4ELi4ELi64ELi64ELi4ELc84ELc84ELb0ELb0ELb0EfKPKfKPfEEviiiT16_PT17_ilSA_ilS8_SA_ilPT18_ili26rocblas_geam_ex_operation_, .Lfunc_end47-_ZN12_GLOBAL__N_120geam_min_plus_kernelIf15HIP_vector_typeIfLj2EES2_Li8ELi32ELi64ELi128ELi4ELi4ELi64ELi64ELi4ELc84ELc84ELb0ELb0ELb0EfKPKfKPfEEviiiT16_PT17_ilSA_ilS8_SA_ilPT18_ili26rocblas_geam_ex_operation_
                                        ; -- End function
	.section	.AMDGPU.csdata,"",@progbits
; Kernel info:
; codeLenInByte = 10240
; NumSgprs: 26
; NumVgprs: 225
; ScratchSize: 0
; MemoryBound: 0
; FloatMode: 240
; IeeeMode: 1
; LDSByteSize: 6144 bytes/workgroup (compile time only)
; SGPRBlocks: 3
; VGPRBlocks: 28
; NumSGPRsForWavesPerEU: 26
; NumVGPRsForWavesPerEU: 225
; Occupancy: 6
; WaveLimiterHint : 1
; COMPUTE_PGM_RSRC2:SCRATCH_EN: 0
; COMPUTE_PGM_RSRC2:USER_SGPR: 14
; COMPUTE_PGM_RSRC2:TRAP_HANDLER: 0
; COMPUTE_PGM_RSRC2:TGID_X_EN: 1
; COMPUTE_PGM_RSRC2:TGID_Y_EN: 0
; COMPUTE_PGM_RSRC2:TGID_Z_EN: 1
; COMPUTE_PGM_RSRC2:TIDIG_COMP_CNT: 1
	.section	.text._ZN12_GLOBAL__N_120geam_min_plus_kernelIf15HIP_vector_typeIfLj2EES2_Li8ELi32ELi64ELi128ELi4ELi4ELi64ELi64ELi4ELc84ELc84ELb0ELb1ELb0EPKfKS4_KPfEEviiiT16_PT17_ilSA_ilS8_SA_ilPT18_ili26rocblas_geam_ex_operation_,"axG",@progbits,_ZN12_GLOBAL__N_120geam_min_plus_kernelIf15HIP_vector_typeIfLj2EES2_Li8ELi32ELi64ELi128ELi4ELi4ELi64ELi64ELi4ELc84ELc84ELb0ELb1ELb0EPKfKS4_KPfEEviiiT16_PT17_ilSA_ilS8_SA_ilPT18_ili26rocblas_geam_ex_operation_,comdat
	.globl	_ZN12_GLOBAL__N_120geam_min_plus_kernelIf15HIP_vector_typeIfLj2EES2_Li8ELi32ELi64ELi128ELi4ELi4ELi64ELi64ELi4ELc84ELc84ELb0ELb1ELb0EPKfKS4_KPfEEviiiT16_PT17_ilSA_ilS8_SA_ilPT18_ili26rocblas_geam_ex_operation_ ; -- Begin function _ZN12_GLOBAL__N_120geam_min_plus_kernelIf15HIP_vector_typeIfLj2EES2_Li8ELi32ELi64ELi128ELi4ELi4ELi64ELi64ELi4ELc84ELc84ELb0ELb1ELb0EPKfKS4_KPfEEviiiT16_PT17_ilSA_ilS8_SA_ilPT18_ili26rocblas_geam_ex_operation_
	.p2align	8
	.type	_ZN12_GLOBAL__N_120geam_min_plus_kernelIf15HIP_vector_typeIfLj2EES2_Li8ELi32ELi64ELi128ELi4ELi4ELi64ELi64ELi4ELc84ELc84ELb0ELb1ELb0EPKfKS4_KPfEEviiiT16_PT17_ilSA_ilS8_SA_ilPT18_ili26rocblas_geam_ex_operation_,@function
_ZN12_GLOBAL__N_120geam_min_plus_kernelIf15HIP_vector_typeIfLj2EES2_Li8ELi32ELi64ELi128ELi4ELi4ELi64ELi64ELi4ELc84ELc84ELb0ELb1ELb0EPKfKS4_KPfEEviiiT16_PT17_ilSA_ilS8_SA_ilPT18_ili26rocblas_geam_ex_operation_: ; @_ZN12_GLOBAL__N_120geam_min_plus_kernelIf15HIP_vector_typeIfLj2EES2_Li8ELi32ELi64ELi128ELi4ELi4ELi64ELi64ELi4ELc84ELc84ELb0ELb1ELb0EPKfKS4_KPfEEviiiT16_PT17_ilSA_ilS8_SA_ilPT18_ili26rocblas_geam_ex_operation_
; %bb.0:
	s_clause 0x1
	s_load_b128 s[16:19], s[0:1], 0x10
	s_load_b128 s[4:7], s[0:1], 0x28
	s_mov_b32 s2, s15
	s_mov_b32 s3, 0
	s_mov_b64 s[20:21], 0
	s_lshl_b64 s[12:13], s[2:3], 2
	s_waitcnt lgkmcnt(0)
	s_add_u32 s8, s16, s12
	s_addc_u32 s9, s17, s13
	s_load_b32 s22, s[8:9], 0x0
	s_clause 0x1
	s_load_b128 s[8:11], s[0:1], 0x40
	s_load_b64 s[16:17], s[0:1], 0x50
	s_waitcnt lgkmcnt(0)
	v_cmp_eq_f32_e64 s15, s22, 0
	v_cmp_neq_f32_e64 s23, s22, 0
	s_add_u32 s10, s10, s12
	s_addc_u32 s11, s11, s13
	s_mov_b64 s[12:13], 0
	s_and_b32 vcc_lo, exec_lo, s15
	s_cbranch_vccnz .LBB48_2
; %bb.1:
	s_lshl_b64 s[20:21], s[2:3], 3
	s_delay_alu instid0(SALU_CYCLE_1)
	s_add_u32 s18, s18, s20
	s_addc_u32 s19, s19, s21
	s_lshl_b64 s[4:5], s[4:5], 2
	s_load_b64 s[18:19], s[18:19], 0x0
	s_waitcnt lgkmcnt(0)
	s_add_u32 s20, s18, s4
	s_addc_u32 s21, s19, s5
.LBB48_2:
	s_load_b32 s15, s[10:11], 0x0
	s_and_not1_b32 vcc_lo, exec_lo, s23
	s_cbranch_vccnz .LBB48_4
; %bb.3:
	s_lshl_b64 s[4:5], s[2:3], 3
	s_delay_alu instid0(SALU_CYCLE_1)
	s_add_u32 s4, s6, s4
	s_addc_u32 s5, s7, s5
	s_lshl_b64 s[6:7], s[8:9], 2
	s_load_b64 s[4:5], s[4:5], 0x0
	s_waitcnt lgkmcnt(0)
	s_add_u32 s12, s4, s6
	s_addc_u32 s13, s5, s7
.LBB48_4:
	s_load_b128 s[4:7], s[0:1], 0x60
	s_waitcnt lgkmcnt(0)
	v_cmp_eq_f32_e64 s8, s15, 0
	v_cmp_neq_f32_e64 s9, s15, 0
	s_delay_alu instid0(VALU_DEP_2)
	s_and_b32 vcc_lo, exec_lo, s8
	s_cbranch_vccnz .LBB48_6
; %bb.5:
	s_lshl_b64 s[10:11], s[2:3], 3
	s_delay_alu instid0(SALU_CYCLE_1)
	s_add_u32 s10, s16, s10
	s_addc_u32 s11, s17, s11
	s_lshl_b64 s[4:5], s[4:5], 2
	s_load_b64 s[10:11], s[10:11], 0x0
	s_waitcnt lgkmcnt(0)
	s_add_u32 s10, s10, s4
	s_addc_u32 s11, s11, s5
	s_branch .LBB48_7
.LBB48_6:
	s_mov_b64 s[10:11], 0
.LBB48_7:
	s_clause 0x1
	s_load_b128 s[16:19], s[0:1], 0x0
	s_load_b32 s27, s[0:1], 0x20
	s_lshl_b64 s[2:3], s[2:3], 3
	v_dual_mov_b32 v9, 0 :: v_dual_and_b32 v52, 0x3ff, v0
	s_add_u32 s4, s6, s2
	s_addc_u32 s5, s7, s3
	v_bfe_u32 v53, v0, 10, 10
	s_delay_alu instid0(VALU_DEP_2) | instskip(SKIP_1) | instid1(VALU_DEP_3)
	v_and_b32_e32 v54, 3, v52
	v_mov_b32_e32 v8, 0
	v_lshl_add_u32 v0, v53, 3, v52
	s_delay_alu instid0(VALU_DEP_3) | instskip(NEXT) | instid1(VALU_DEP_2)
	v_lshlrev_b32_e32 v2, 2, v54
	v_lshrrev_b32_e32 v7, 2, v0
	s_waitcnt lgkmcnt(0)
	s_add_i32 s2, s16, -1
	s_delay_alu instid0(SALU_CYCLE_1) | instskip(NEXT) | instid1(SALU_CYCLE_1)
	s_ashr_i32 s3, s2, 31
	s_lshr_b32 s3, s3, 26
	s_delay_alu instid0(SALU_CYCLE_1) | instskip(NEXT) | instid1(SALU_CYCLE_1)
	s_add_i32 s2, s2, s3
	s_ashr_i32 s2, s2, 6
	s_delay_alu instid0(SALU_CYCLE_1) | instskip(SKIP_2) | instid1(VALU_DEP_1)
	s_add_i32 s8, s2, 1
	s_not_b32 s2, s2
	v_cvt_f32_u32_e32 v1, s8
	v_rcp_iflag_f32_e32 v1, v1
	s_waitcnt_depctr 0xfff
	v_mul_f32_e32 v1, 0x4f7ffffe, v1
	s_delay_alu instid0(VALU_DEP_1) | instskip(NEXT) | instid1(VALU_DEP_1)
	v_cvt_u32_f32_e32 v1, v1
	v_readfirstlane_b32 s3, v1
	s_delay_alu instid0(VALU_DEP_1) | instskip(NEXT) | instid1(SALU_CYCLE_1)
	s_mul_i32 s2, s2, s3
	s_mul_hi_u32 s2, s3, s2
	s_delay_alu instid0(SALU_CYCLE_1) | instskip(NEXT) | instid1(SALU_CYCLE_1)
	s_add_i32 s3, s3, s2
	s_mul_hi_u32 s2, s14, s3
	s_delay_alu instid0(SALU_CYCLE_1) | instskip(SKIP_2) | instid1(SALU_CYCLE_1)
	s_mul_i32 s3, s2, s8
	s_add_i32 s6, s2, 1
	s_sub_i32 s3, s14, s3
	s_sub_i32 s7, s3, s8
	s_cmp_ge_u32 s3, s8
	s_cselect_b32 s2, s6, s2
	s_cselect_b32 s3, s7, s3
	s_add_i32 s6, s2, 1
	s_cmp_ge_u32 s3, s8
	s_cselect_b32 s3, s6, s2
	s_load_b64 s[6:7], s[4:5], 0x0
	s_mul_i32 s2, s3, s8
	s_delay_alu instid0(SALU_CYCLE_1) | instskip(NEXT) | instid1(SALU_CYCLE_1)
	s_sub_i32 s2, s14, s2
	s_lshl_b32 s8, s2, 6
	v_cmp_gt_i32_e64 s2, s18, v54
	v_add_nc_u32_e32 v3, s8, v7
	s_delay_alu instid0(VALU_DEP_1) | instskip(NEXT) | instid1(VALU_DEP_3)
	v_cmp_gt_i32_e32 vcc_lo, s16, v3
	s_and_b32 s2, s2, vcc_lo
	s_delay_alu instid0(SALU_CYCLE_1) | instskip(NEXT) | instid1(SALU_CYCLE_1)
	s_and_b32 s2, s23, s2
	s_and_saveexec_b32 s4, s2
	s_cbranch_execz .LBB48_9
; %bb.8:
	v_mad_i64_i32 v[4:5], null, v3, s27, 0
	s_delay_alu instid0(VALU_DEP_1) | instskip(NEXT) | instid1(VALU_DEP_1)
	v_lshlrev_b64 v[4:5], 2, v[4:5]
	v_add_co_u32 v1, s2, s20, v4
	s_delay_alu instid0(VALU_DEP_1) | instskip(NEXT) | instid1(VALU_DEP_2)
	v_add_co_ci_u32_e64 v5, s2, s21, v5, s2
	v_add_co_u32 v4, s2, v1, v2
	s_delay_alu instid0(VALU_DEP_1)
	v_add_co_ci_u32_e64 v5, s2, 0, v5, s2
	flat_load_b32 v1, v[4:5]
	s_waitcnt vmcnt(0) lgkmcnt(0)
	v_mul_f32_e32 v9, s22, v1
.LBB48_9:
	s_or_b32 exec_lo, exec_lo, s4
	s_load_b32 s19, s[0:1], 0x38
	v_lshrrev_b32_e32 v55, 6, v0
	s_add_i32 s24, s18, -1
	v_and_b32_e32 v10, 63, v0
	s_lshl_b32 s14, s3, 7
	s_xor_b32 s25, s23, -1
	v_min_i32_e32 v1, s24, v55
	v_cmp_le_i32_e64 s4, s18, v55
	v_or_b32_e32 v0, s14, v10
	s_delay_alu instid0(VALU_DEP_1) | instskip(NEXT) | instid1(VALU_DEP_1)
	v_cmp_le_i32_e64 s2, s17, v0
	s_or_b32 s5, s2, s4
	s_waitcnt lgkmcnt(0)
	v_mad_i64_i32 v[4:5], null, s19, v1, 0
	v_ashrrev_i32_e32 v1, 31, v0
	s_delay_alu instid0(VALU_DEP_2) | instskip(NEXT) | instid1(VALU_DEP_1)
	v_lshlrev_b64 v[5:6], 2, v[4:5]
	v_add_co_u32 v5, s3, s12, v5
	s_delay_alu instid0(VALU_DEP_1) | instskip(SKIP_1) | instid1(SALU_CYCLE_1)
	v_add_co_ci_u32_e64 v6, s3, s13, v6, s3
	s_or_b32 s3, s5, s25
	s_xor_b32 s3, s3, -1
	s_delay_alu instid0(SALU_CYCLE_1)
	s_and_saveexec_b32 s5, s3
	s_cbranch_execz .LBB48_11
; %bb.10:
	v_lshlrev_b64 v[11:12], 2, v[0:1]
	s_delay_alu instid0(VALU_DEP_1) | instskip(NEXT) | instid1(VALU_DEP_1)
	v_add_co_u32 v11, s3, v5, v11
	v_add_co_ci_u32_e64 v12, s3, v6, v12, s3
	flat_load_b32 v4, v[11:12]
	s_waitcnt vmcnt(0) lgkmcnt(0)
	v_mul_f32_e32 v8, s22, v4
.LBB48_11:
	s_or_b32 exec_lo, exec_lo, s5
	v_or_b32_e32 v4, 64, v0
	v_mov_b32_e32 v11, 0
	s_delay_alu instid0(VALU_DEP_2) | instskip(SKIP_1) | instid1(VALU_DEP_2)
	v_cmp_le_i32_e64 s3, s17, v4
	v_mov_b32_e32 v4, 0
	s_or_b32 s4, s3, s4
	s_delay_alu instid0(SALU_CYCLE_1) | instskip(NEXT) | instid1(SALU_CYCLE_1)
	s_or_b32 s4, s4, s25
	s_xor_b32 s4, s4, -1
	s_delay_alu instid0(SALU_CYCLE_1)
	s_and_saveexec_b32 s5, s4
	s_cbranch_execz .LBB48_13
; %bb.12:
	v_lshlrev_b64 v[11:12], 2, v[0:1]
	s_delay_alu instid0(VALU_DEP_1) | instskip(NEXT) | instid1(VALU_DEP_1)
	v_add_co_u32 v5, s4, v5, v11
	v_add_co_ci_u32_e64 v6, s4, v6, v12, s4
	flat_load_b32 v5, v[5:6] offset:256
	s_waitcnt vmcnt(0) lgkmcnt(0)
	v_mul_f32_e32 v11, s22, v5
.LBB48_13:
	s_or_b32 exec_lo, exec_lo, s5
	v_or_b32_e32 v5, 4, v54
	s_delay_alu instid0(VALU_DEP_1) | instskip(NEXT) | instid1(VALU_DEP_1)
	v_cmp_gt_i32_e64 s4, s18, v5
	s_and_b32 s4, s4, vcc_lo
	s_delay_alu instid0(SALU_CYCLE_1) | instskip(NEXT) | instid1(SALU_CYCLE_1)
	s_and_b32 s4, s23, s4
	s_and_saveexec_b32 s5, s4
	s_cbranch_execz .LBB48_15
; %bb.14:
	v_mad_i64_i32 v[4:5], null, v3, s27, 0
	s_delay_alu instid0(VALU_DEP_1) | instskip(NEXT) | instid1(VALU_DEP_1)
	v_lshlrev_b64 v[4:5], 2, v[4:5]
	v_add_co_u32 v4, s4, s20, v4
	s_delay_alu instid0(VALU_DEP_1) | instskip(NEXT) | instid1(VALU_DEP_2)
	v_add_co_ci_u32_e64 v5, s4, s21, v5, s4
	v_add_co_u32 v4, s4, v4, v2
	s_delay_alu instid0(VALU_DEP_1)
	v_add_co_ci_u32_e64 v5, s4, 0, v5, s4
	flat_load_b32 v4, v[4:5] offset:16
	s_waitcnt vmcnt(0) lgkmcnt(0)
	v_mul_f32_e32 v4, s22, v4
.LBB48_15:
	s_or_b32 exec_lo, exec_lo, s5
	v_add_nc_u32_e32 v12, 4, v55
	s_delay_alu instid0(VALU_DEP_1) | instskip(SKIP_1) | instid1(VALU_DEP_2)
	v_min_i32_e32 v13, s24, v12
	v_cmp_le_i32_e64 s4, s18, v12
	v_mad_i64_i32 v[5:6], null, s19, v13, 0
	s_delay_alu instid0(VALU_DEP_2) | instskip(NEXT) | instid1(VALU_DEP_1)
	s_or_b32 s26, s2, s4
	v_lshlrev_b64 v[12:13], 2, v[5:6]
	v_dual_mov_b32 v5, 0 :: v_dual_mov_b32 v6, 0
	s_delay_alu instid0(VALU_DEP_2) | instskip(NEXT) | instid1(VALU_DEP_1)
	v_add_co_u32 v12, s5, s12, v12
	v_add_co_ci_u32_e64 v13, s5, s13, v13, s5
	s_or_b32 s5, s26, s25
	s_delay_alu instid0(SALU_CYCLE_1) | instskip(NEXT) | instid1(SALU_CYCLE_1)
	s_xor_b32 s5, s5, -1
	s_and_saveexec_b32 s26, s5
	s_cbranch_execz .LBB48_17
; %bb.16:
	v_lshlrev_b64 v[14:15], 2, v[0:1]
	s_delay_alu instid0(VALU_DEP_1) | instskip(NEXT) | instid1(VALU_DEP_1)
	v_add_co_u32 v14, s5, v12, v14
	v_add_co_ci_u32_e64 v15, s5, v13, v15, s5
	flat_load_b32 v6, v[14:15]
	s_waitcnt vmcnt(0) lgkmcnt(0)
	v_mul_f32_e32 v6, s22, v6
.LBB48_17:
	s_or_b32 exec_lo, exec_lo, s26
	s_or_b32 s4, s3, s4
	s_delay_alu instid0(SALU_CYCLE_1) | instskip(NEXT) | instid1(SALU_CYCLE_1)
	s_or_b32 s4, s4, s25
	s_xor_b32 s4, s4, -1
	s_delay_alu instid0(SALU_CYCLE_1)
	s_and_saveexec_b32 s5, s4
	s_cbranch_execz .LBB48_19
; %bb.18:
	v_lshlrev_b64 v[14:15], 2, v[0:1]
	s_delay_alu instid0(VALU_DEP_1) | instskip(NEXT) | instid1(VALU_DEP_1)
	v_add_co_u32 v12, s4, v12, v14
	v_add_co_ci_u32_e64 v13, s4, v13, v15, s4
	flat_load_b32 v5, v[12:13] offset:256
	s_waitcnt vmcnt(0) lgkmcnt(0)
	v_mul_f32_e32 v5, s22, v5
.LBB48_19:
	s_or_b32 exec_lo, exec_lo, s5
	v_lshlrev_b32_e32 v12, 2, v55
	v_lshl_or_b32 v7, v7, 4, v2
	v_lshlrev_b32_e32 v56, 4, v53
	v_lshlrev_b32_e32 v57, 4, v52
	s_mov_b32 s26, 0
	v_lshl_add_u32 v58, v10, 4, v12
	s_cmp_lt_i32 s18, 9
	ds_store_b32 v7, v9 offset:4096
	ds_store_2addr_stride64_b32 v58, v8, v11 offset1:4
	s_waitcnt lgkmcnt(0)
	s_barrier
	buffer_gl0_inv
	ds_load_b128 v[8:11], v56
	ds_load_b128 v[12:15], v57 offset:4096
	ds_load_b128 v[16:19], v57 offset:4224
	;; [unrolled: 1-line block ×11, first 2 shown]
	ds_store_b32 v7, v4 offset:5120
	ds_store_2addr_stride64_b32 v58, v6, v5 offset0:8 offset1:12
	s_waitcnt lgkmcnt(0)
	s_barrier
	buffer_gl0_inv
	v_dual_max_f32 v8, v8, v8 :: v_dual_max_f32 v13, v13, v13
	v_dual_max_f32 v12, v12, v12 :: v_dual_max_f32 v17, v17, v17
	;; [unrolled: 1-line block ×9, first 2 shown]
	v_max_f32_e32 v9, v9, v9
	v_min_f32_e32 v63, v12, v8
	v_min_f32_e32 v65, v16, v8
	;; [unrolled: 1-line block ×3, first 2 shown]
	s_delay_alu instid0(VALU_DEP_4)
	v_dual_min_f32 v69, v24, v8 :: v_dual_min_f32 v70, v25, v9
	v_dual_min_f32 v71, v28, v8 :: v_dual_min_f32 v72, v29, v9
	;; [unrolled: 1-line block ×4, first 2 shown]
	v_dual_min_f32 v8, v40, v8 :: v_dual_max_f32 v45, v45, v45
	v_dual_max_f32 v44, v44, v44 :: v_dual_max_f32 v15, v15, v15
	v_dual_max_f32 v48, v48, v48 :: v_dual_max_f32 v39, v39, v39
	v_min_f32_e32 v64, v13, v9
	v_min_f32_e32 v66, v17, v9
	v_max_f32_e32 v10, v10, v10
	v_dual_max_f32 v14, v14, v14 :: v_dual_min_f32 v77, v12, v44
	v_dual_min_f32 v78, v13, v45 :: v_dual_max_f32 v19, v19, v19
	v_dual_max_f32 v18, v18, v18 :: v_dual_min_f32 v79, v16, v44
	v_dual_max_f32 v22, v22, v22 :: v_dual_min_f32 v81, v20, v44
	;; [unrolled: 1-line block ×5, first 2 shown]
	v_dual_min_f32 v88, v36, v44 :: v_dual_max_f32 v43, v43, v43
	v_dual_min_f32 v44, v40, v44 :: v_dual_max_f32 v49, v49, v49
	;; [unrolled: 1-line block ×3, first 2 shown]
	v_dual_max_f32 v60, v60, v60 :: v_dual_max_f32 v125, v62, v62
	v_min_f32_e32 v68, v21, v9
	v_min_f32_e32 v9, v41, v9
	v_dual_min_f32 v80, v17, v45 :: v_dual_max_f32 v23, v23, v23
	v_dual_min_f32 v82, v21, v45 :: v_dual_max_f32 v27, v27, v27
	;; [unrolled: 1-line block ×4, first 2 shown]
	v_dual_max_f32 v38, v38, v38 :: v_dual_min_f32 v89, v12, v48
	v_dual_min_f32 v90, v16, v48 :: v_dual_max_f32 v51, v51, v51
	v_dual_max_f32 v46, v46, v46 :: v_dual_min_f32 v91, v20, v48
	v_dual_max_f32 v50, v50, v50 :: v_dual_max_f32 v117, v61, v61
	v_dual_min_f32 v126, v28, v48 :: v_dual_min_f32 v93, v37, v45
	v_dual_min_f32 v127, v32, v48 :: v_dual_min_f32 v92, v33, v45
	;; [unrolled: 1-line block ×7, first 2 shown]
	v_min_f32_e32 v24, v24, v59
	v_min_f32_e32 v28, v28, v59
	v_dual_min_f32 v32, v32, v59 :: v_dual_min_f32 v17, v17, v60
	v_dual_min_f32 v36, v36, v59 :: v_dual_min_f32 v21, v21, v60
	v_min_f32_e32 v40, v40, v59
	v_dual_min_f32 v94, v13, v49 :: v_dual_add_f32 v59, 0, v64
	v_dual_min_f32 v130, v25, v49 :: v_dual_min_f32 v61, v15, v11
	v_min_f32_e32 v132, v33, v49
	v_dual_min_f32 v29, v29, v60 :: v_dual_add_f32 v62, 0, v63
	v_dual_min_f32 v33, v33, v60 :: v_dual_add_f32 v64, 0, v66
	v_dual_min_f32 v37, v37, v60 :: v_dual_min_f32 v66, v19, v11
	v_min_f32_e32 v63, v14, v10
	v_dual_add_f32 v65, 0, v65 :: v_dual_min_f32 v96, v18, v10
	v_min_f32_e32 v49, v41, v49
	v_min_f32_e32 v13, v13, v60
	;; [unrolled: 1-line block ×3, first 2 shown]
	v_dual_min_f32 v41, v41, v60 :: v_dual_add_f32 v124, v59, v61
	v_dual_add_f32 v123, v62, v63 :: v_dual_add_f32 v122, v65, v96
	v_dual_add_f32 v121, v64, v66 :: v_dual_min_f32 v60, v23, v11
	v_dual_add_f32 v59, 0, v68 :: v_dual_min_f32 v62, v22, v10
	;; [unrolled: 1-line block ×5, first 2 shown]
	s_delay_alu instid0(VALU_DEP_3) | instskip(SKIP_1) | instid1(VALU_DEP_3)
	v_dual_add_f32 v67, 0, v72 :: v_dual_add_f32 v120, v61, v62
	v_dual_max_f32 v42, v42, v42 :: v_dual_max_f32 v47, v47, v47
	v_dual_add_f32 v119, v59, v60 :: v_dual_add_f32 v118, v65, v66
	v_dual_add_f32 v59, v63, v64 :: v_dual_min_f32 v62, v30, v10
	s_delay_alu instid0(VALU_DEP_4)
	v_dual_add_f32 v60, v67, v68 :: v_dual_add_f32 v61, 0, v71
	v_dual_add_f32 v63, 0, v74 :: v_dual_min_f32 v64, v35, v11
	v_dual_add_f32 v65, 0, v73 :: v_dual_min_f32 v66, v34, v10
	;; [unrolled: 1-line block ×4, first 2 shown]
	v_add_f32_e32 v61, v61, v62
	s_delay_alu instid0(VALU_DEP_4) | instskip(NEXT) | instid1(VALU_DEP_3)
	v_dual_add_f32 v63, v63, v64 :: v_dual_add_f32 v62, v65, v66
	v_dual_add_f32 v64, v67, v68 :: v_dual_add_f32 v65, v69, v70
	;; [unrolled: 1-line block ×3, first 2 shown]
	v_dual_min_f32 v10, v42, v10 :: v_dual_min_f32 v11, v43, v11
	v_dual_add_f32 v66, 0, v78 :: v_dual_min_f32 v67, v15, v47
	v_dual_add_f32 v68, 0, v77 :: v_dual_min_f32 v69, v14, v46
	v_dual_add_f32 v70, 0, v80 :: v_dual_min_f32 v71, v19, v47
	s_delay_alu instid0(VALU_DEP_4) | instskip(SKIP_1) | instid1(VALU_DEP_4)
	v_dual_add_f32 v116, v8, v10 :: v_dual_add_f32 v115, v9, v11
	v_add_f32_e32 v10, 0, v82
	v_dual_add_f32 v114, v66, v67 :: v_dual_add_f32 v113, v68, v69
	s_delay_alu instid0(VALU_DEP_4) | instskip(SKIP_4) | instid1(VALU_DEP_4)
	v_dual_add_f32 v111, v70, v71 :: v_dual_add_f32 v66, 0, v81
	v_dual_add_f32 v8, 0, v79 :: v_dual_min_f32 v9, v18, v46
	v_dual_min_f32 v11, v23, v47 :: v_dual_add_f32 v68, 0, v84
	v_dual_min_f32 v67, v22, v46 :: v_dual_add_f32 v70, 0, v83
	v_min_f32_e32 v71, v26, v46
	v_dual_min_f32 v69, v27, v47 :: v_dual_add_f32 v112, v8, v9
	s_delay_alu instid0(VALU_DEP_4) | instskip(NEXT) | instid1(VALU_DEP_4)
	v_add_f32_e32 v110, v10, v11
	v_dual_add_f32 v109, v66, v67 :: v_dual_add_f32 v8, 0, v86
	v_dual_min_f32 v9, v31, v47 :: v_dual_add_f32 v66, 0, v92
	v_add_f32_e32 v10, 0, v85
	v_add_f32_e32 v108, v70, v71
	v_min_f32_e32 v11, v30, v46
	v_dual_min_f32 v67, v35, v47 :: v_dual_add_f32 v70, 0, v93
	v_min_f32_e32 v71, v39, v47
	v_dual_add_f32 v107, v68, v69 :: v_dual_add_f32 v68, 0, v87
	v_min_f32_e32 v69, v34, v46
	v_dual_add_f32 v105, v8, v9 :: v_dual_add_f32 v8, 0, v88
	v_add_f32_e32 v106, v10, v11
	v_dual_min_f32 v9, v38, v46 :: v_dual_add_f32 v10, 0, v45
	v_dual_add_f32 v101, v70, v71 :: v_dual_add_f32 v44, 0, v44
	v_min_f32_e32 v11, v43, v47
	s_delay_alu instid0(VALU_DEP_3) | instskip(SKIP_1) | instid1(VALU_DEP_3)
	v_dual_min_f32 v45, v42, v46 :: v_dual_add_f32 v102, v8, v9
	v_dual_add_f32 v46, 0, v94 :: v_dual_min_f32 v47, v15, v51
	v_dual_add_f32 v99, v10, v11 :: v_dual_add_f32 v10, 0, v90
	s_delay_alu instid0(VALU_DEP_3) | instskip(SKIP_4) | instid1(VALU_DEP_4)
	v_add_f32_e32 v98, v44, v45
	v_dual_add_f32 v8, 0, v95 :: v_dual_min_f32 v11, v18, v50
	v_min_f32_e32 v45, v23, v51
	v_min_f32_e32 v9, v19, v51
	v_dual_add_f32 v97, v46, v47 :: v_dual_add_f32 v44, 0, v129
	v_add_f32_e32 v95, v10, v11
	v_add_f32_e32 v10, 0, v131
	s_delay_alu instid0(VALU_DEP_4)
	v_add_f32_e32 v94, v8, v9
	v_dual_add_f32 v8, 0, v100 :: v_dual_min_f32 v9, v26, v50
	v_add_f32_e32 v104, v66, v67
	v_dual_add_f32 v66, 0, v89 :: v_dual_min_f32 v67, v14, v50
	v_dual_add_f32 v46, 0, v91 :: v_dual_min_f32 v47, v22, v50
	v_add_f32_e32 v92, v44, v45
	v_add_f32_e32 v44, 0, v126
	s_delay_alu instid0(VALU_DEP_4) | instskip(SKIP_4) | instid1(VALU_DEP_4)
	v_dual_add_f32 v96, v66, v67 :: v_dual_add_f32 v13, 0, v13
	v_dual_add_f32 v66, 0, v130 :: v_dual_min_f32 v67, v27, v51
	v_min_f32_e32 v45, v30, v50
	v_dual_add_f32 v93, v46, v47 :: v_dual_add_f32 v46, 0, v132
	v_min_f32_e32 v47, v35, v51
	v_dual_add_f32 v90, v66, v67 :: v_dual_min_f32 v15, v15, v125
	v_add_f32_e32 v66, 0, v127
	v_dual_min_f32 v11, v31, v51 :: v_dual_add_f32 v88, v44, v45
	v_min_f32_e32 v67, v34, v50
	v_add_f32_e32 v91, v8, v9
	s_delay_alu instid0(VALU_DEP_3) | instskip(SKIP_4) | instid1(VALU_DEP_3)
	v_dual_add_f32 v8, 0, v133 :: v_dual_add_f32 v89, v10, v11
	v_dual_add_f32 v44, 0, v49 :: v_dual_min_f32 v9, v39, v51
	v_dual_add_f32 v10, 0, v128 :: v_dual_min_f32 v11, v38, v50
	v_min_f32_e32 v14, v14, v117
	v_dual_add_f32 v87, v46, v47 :: v_dual_add_f32 v46, 0, v48
	v_dual_add_f32 v84, v8, v9 :: v_dual_add_f32 v85, v10, v11
	v_add_f32_e32 v8, 0, v12
	v_dual_add_f32 v12, 0, v21 :: v_dual_add_f32 v11, 0, v20
	v_dual_min_f32 v47, v42, v50 :: v_dual_add_f32 v80, v13, v15
	s_delay_alu instid0(VALU_DEP_3) | instskip(NEXT) | instid1(VALU_DEP_2)
	v_dual_add_f32 v81, v8, v14 :: v_dual_min_f32 v8, v22, v117
	v_dual_add_f32 v9, 0, v16 :: v_dual_add_f32 v82, v46, v47
	v_dual_add_f32 v15, 0, v25 :: v_dual_add_f32 v16, 0, v28
	;; [unrolled: 1-line block ×3, first 2 shown]
	s_delay_alu instid0(VALU_DEP_4) | instskip(SKIP_4) | instid1(VALU_DEP_4)
	v_dual_add_f32 v77, v11, v8 :: v_dual_min_f32 v8, v26, v117
	v_min_f32_e32 v11, v30, v117
	v_dual_min_f32 v45, v43, v51 :: v_dual_add_f32 v10, 0, v17
	v_min_f32_e32 v23, v23, v125
	v_dual_add_f32 v13, 0, v24 :: v_dual_min_f32 v18, v18, v117
	v_dual_add_f32 v72, v16, v11 :: v_dual_min_f32 v19, v19, v125
	s_delay_alu instid0(VALU_DEP_3) | instskip(SKIP_1) | instid1(VALU_DEP_3)
	v_dual_add_f32 v76, v12, v23 :: v_dual_add_f32 v17, 0, v29
	v_dual_add_f32 v20, 0, v32 :: v_dual_add_f32 v29, 0, v41
	;; [unrolled: 1-line block ×3, first 2 shown]
	v_min_f32_e32 v10, v31, v125
	v_dual_min_f32 v11, v43, v125 :: v_dual_add_f32 v86, v66, v67
	v_add_f32_e32 v83, v44, v45
	v_dual_add_f32 v21, 0, v33 :: v_dual_add_f32 v24, 0, v36
	s_delay_alu instid0(VALU_DEP_4) | instskip(NEXT) | instid1(VALU_DEP_4)
	v_dual_add_f32 v73, v17, v10 :: v_dual_min_f32 v10, v38, v117
	v_add_f32_e32 v67, v29, v11
	v_min_f32_e32 v9, v27, v125
	v_add_f32_e32 v103, v68, v69
	s_delay_alu instid0(VALU_DEP_4) | instskip(SKIP_1) | instid1(VALU_DEP_4)
	v_dual_add_f32 v75, v13, v8 :: v_dual_add_f32 v68, v24, v10
	v_min_f32_e32 v8, v34, v117
	v_add_f32_e32 v74, v15, v9
	v_min_f32_e32 v9, v35, v125
	s_delay_alu instid0(VALU_DEP_3) | instskip(NEXT) | instid1(VALU_DEP_2)
	v_dual_min_f32 v12, v42, v117 :: v_dual_add_f32 v71, v20, v8
	v_add_f32_e32 v70, v21, v9
	s_delay_alu instid0(VALU_DEP_2) | instskip(NEXT) | instid1(VALU_DEP_1)
	v_dual_min_f32 v9, v39, v125 :: v_dual_add_f32 v66, v28, v12
	v_add_f32_e32 v69, v25, v9
	s_cbranch_scc1 .LBB48_34
; %bb.20:
	v_mad_i64_i32 v[4:5], null, s27, v3, 0
	v_lshlrev_b64 v[48:49], 2, v[0:1]
	v_add_nc_u32_e32 v100, 0x1000, v7
	v_add_nc_u32_e32 v117, 0x1000, v57
	;; [unrolled: 1-line block ×3, first 2 shown]
	v_or_b32_e32 v126, 0x800, v58
	v_lshl_add_u32 v127, v52, 4, 0x1400
	v_lshlrev_b64 v[3:4], 2, v[4:5]
	v_lshl_add_u32 v128, v53, 4, 0x800
	s_delay_alu instid0(VALU_DEP_2) | instskip(NEXT) | instid1(VALU_DEP_1)
	v_add_co_u32 v2, s4, v3, v2
	v_add_co_ci_u32_e64 v3, s4, 0, v4, s4
	s_delay_alu instid0(VALU_DEP_2) | instskip(NEXT) | instid1(VALU_DEP_1)
	v_add_co_u32 v2, s4, v2, s20
	v_add_co_ci_u32_e64 v3, s4, s21, v3, s4
	s_add_i32 s20, s18, -8
	s_delay_alu instid0(VALU_DEP_2) | instskip(NEXT) | instid1(VALU_DEP_1)
	v_add_co_u32 v50, s4, v2, 48
	v_add_co_ci_u32_e64 v51, s4, 0, v3, s4
	s_branch .LBB48_22
.LBB48_21:                              ;   in Loop: Header=BB48_22 Depth=1
	s_or_b32 exec_lo, exec_lo, s5
	v_dual_add_f32 v36, v123, v36 :: v_dual_add_f32 v41, v122, v41
	v_dual_add_f32 v40, v124, v40 :: v_dual_add_f32 v33, v118, v33
	v_dual_add_f32 v28, v121, v28 :: v_dual_add_f32 v29, v120, v29
	v_dual_add_f32 v32, v119, v32 :: v_dual_add_f32 v21, v62, v21
	v_dual_add_f32 v20, v60, v20 :: v_dual_add_f32 v25, v65, v25
	v_dual_add_f32 v24, v63, v24 :: v_dual_add_f32 v9, v116, v9
	v_dual_add_f32 v8, v64, v8 :: v_dual_add_f32 v13, v113, v13
	v_dual_add_f32 v12, v115, v12 :: v_dual_add_f32 v17, v114, v17
	v_dual_add_f32 v77, v77, v162 :: v_dual_add_f32 v74, v74, v165
	v_dual_add_f32 v75, v75, v164 :: v_dual_add_f32 v70, v70, v169
	v_dual_add_f32 v37, v59, v37 :: v_dual_add_f32 v16, v61, v16
	v_dual_add_f32 v44, v112, v44 :: v_dual_add_f32 v45, v111, v45
	v_dual_add_f32 v59, v109, v133 :: v_dual_add_f32 v60, v110, v134
	v_dual_add_f32 v61, v108, v135 :: v_dual_add_f32 v62, v107, v136
	v_dual_add_f32 v63, v106, v137 :: v_dual_add_f32 v64, v105, v138
	v_dual_add_f32 v65, v103, v139 :: v_dual_add_f32 v102, v102, v141
	v_add_f32_e32 v103, v104, v140
	v_dual_add_f32 v4, v101, v4 :: v_dual_add_f32 v5, v98, v5
	v_dual_add_f32 v1, v84, v1 :: v_dual_add_f32 v78, v78, v160
	;; [unrolled: 1-line block ×11, first 2 shown]
	ds_load_b128 v[20:23], v56
	ds_load_b128 v[28:31], v117
	v_dual_add_f32 v77, v77, v10 :: v_dual_add_f32 v124, v43, v7
	v_dual_add_f32 v75, v75, v11 :: v_dual_add_f32 v72, v72, v2
	ds_load_b128 v[8:11], v117 offset:128
	v_dual_add_f32 v81, v81, v158 :: v_dual_add_f32 v76, v76, v163
	v_dual_add_f32 v73, v73, v167 :: v_dual_add_f32 v68, v68, v170
	;; [unrolled: 1-line block ×7, first 2 shown]
	s_delay_alu instid0(VALU_DEP_4)
	v_dual_add_f32 v122, v1, v210 :: v_dual_add_f32 v83, v83, v211
	v_dual_add_f32 v81, v81, v208 :: v_dual_add_f32 v76, v76, v26
	;; [unrolled: 1-line block ×5, first 2 shown]
	s_waitcnt lgkmcnt(2)
	v_dual_add_f32 v69, v69, v15 :: v_dual_max_f32 v20, v20, v20
	s_waitcnt lgkmcnt(1)
	v_dual_add_f32 v123, v46, v19 :: v_dual_max_f32 v28, v28, v28
	ds_load_b128 v[1:4], v117 offset:256
	ds_load_b128 v[12:15], v117 offset:384
	;; [unrolled: 1-line block ×5, first 2 shown]
	v_add_f32_e32 v98, v99, v142
	v_dual_add_f32 v99, v41, v42 :: v_dual_add_f32 v60, v60, v187
	s_waitcnt lgkmcnt(5)
	v_dual_max_f32 v21, v21, v21 :: v_dual_max_f32 v132, v8, v8
	v_max_f32_e32 v29, v29, v29
	ds_load_b128 v[36:39], v117 offset:768
	ds_load_b128 v[40:43], v117 offset:896
	v_max_f32_e32 v9, v9, v9
	v_dual_add_f32 v59, v59, v178 :: v_dual_add_f32 v64, v64, v189
	v_dual_min_f32 v134, v132, v20 :: v_dual_min_f32 v133, v29, v21
	v_dual_add_f32 v118, v45, v186 :: v_dual_add_f32 v119, v44, v177
	v_dual_add_f32 v61, v61, v179 :: v_dual_add_f32 v102, v102, v182
	s_waitcnt lgkmcnt(6)
	v_dual_max_f32 v2, v2, v2 :: v_dual_min_f32 v131, v28, v20
	v_add_f32_e32 v66, v66, v133
	s_waitcnt lgkmcnt(5)
	v_max_f32_e32 v12, v12, v12
	s_waitcnt lgkmcnt(4)
	v_dual_max_f32 v16, v16, v16 :: v_dual_max_f32 v13, v13, v13
	s_waitcnt lgkmcnt(3)
	v_dual_max_f32 v24, v24, v24 :: v_dual_add_f32 v67, v67, v131
	v_min_f32_e32 v131, v9, v21
	s_waitcnt lgkmcnt(1)
	v_dual_max_f32 v1, v1, v1 :: v_dual_max_f32 v36, v36, v36
	s_waitcnt lgkmcnt(0)
	v_dual_max_f32 v40, v40, v40 :: v_dual_max_f32 v25, v25, v25
	v_dual_add_f32 v84, v84, v131 :: v_dual_min_f32 v131, v2, v21
	s_delay_alu instid0(VALU_DEP_3) | instskip(SKIP_2) | instid1(VALU_DEP_4)
	v_min_f32_e32 v133, v1, v20
	v_dual_add_f32 v99, v99, v134 :: v_dual_min_f32 v134, v12, v20
	v_max_f32_e32 v33, v33, v33
	v_add_f32_e32 v101, v101, v131
	v_min_f32_e32 v131, v16, v20
	v_max_f32_e32 v32, v32, v32
	v_add_f32_e32 v106, v106, v134
	v_min_f32_e32 v134, v25, v21
	v_add_f32_e32 v104, v104, v133
	v_dual_min_f32 v133, v13, v21 :: v_dual_add_f32 v108, v108, v131
	v_min_f32_e32 v131, v24, v20
	v_max_f32_e32 v17, v17, v17
	v_max_f32_e32 v37, v37, v37
	s_delay_alu instid0(VALU_DEP_4) | instskip(NEXT) | instid1(VALU_DEP_4)
	v_add_f32_e32 v105, v105, v133
	v_dual_max_f32 v41, v41, v41 :: v_dual_add_f32 v110, v110, v131
	s_delay_alu instid0(VALU_DEP_4)
	v_min_f32_e32 v133, v17, v21
	v_dual_add_f32 v95, v95, v145 :: v_dual_add_f32 v94, v94, v146
	v_add_f32_e32 v121, v5, v191
	ds_load_b128 v[5:8], v56 offset:1024
	ds_load_b128 v[44:47], v56 offset:1536
	v_add_f32_e32 v107, v107, v133
	v_min_f32_e32 v133, v36, v20
	v_dual_min_f32 v20, v40, v20 :: v_dual_add_f32 v109, v109, v134
	v_add_f32_e32 v94, v94, v202
	v_dual_add_f32 v96, v96, v143 :: v_dual_add_f32 v97, v97, v144
	s_delay_alu instid0(VALU_DEP_3) | instskip(SKIP_3) | instid1(VALU_DEP_3)
	v_add_f32_e32 v20, v114, v20
	v_dual_min_f32 v114, v132, v32 :: v_dual_min_f32 v131, v37, v21
	v_min_f32_e32 v21, v41, v21
	v_dual_add_f32 v112, v112, v133 :: v_dual_add_f32 v93, v93, v147
	v_dual_add_f32 v92, v92, v148 :: v_dual_add_f32 v111, v111, v131
	v_min_f32_e32 v131, v28, v32
	s_delay_alu instid0(VALU_DEP_4) | instskip(SKIP_2) | instid1(VALU_DEP_3)
	v_add_f32_e32 v21, v113, v21
	v_dual_add_f32 v91, v91, v149 :: v_dual_add_f32 v90, v90, v150
	s_waitcnt lgkmcnt(1)
	v_dual_max_f32 v6, v6, v6 :: v_dual_add_f32 v113, v116, v131
	v_min_f32_e32 v116, v2, v33
	v_dual_add_f32 v86, v86, v153 :: v_dual_add_f32 v87, v87, v154
	s_waitcnt lgkmcnt(0)
	v_dual_max_f32 v5, v5, v5 :: v_dual_max_f32 v44, v44, v44
	s_delay_alu instid0(VALU_DEP_3) | instskip(SKIP_3) | instid1(VALU_DEP_3)
	v_add_f32_e32 v136, v60, v116
	v_min_f32_e32 v60, v17, v33
	v_dual_add_f32 v97, v97, v201 :: v_dual_add_f32 v92, v92, v203
	v_dual_add_f32 v91, v91, v195 :: v_dual_add_f32 v86, v86, v197
	v_dual_add_f32 v140, v64, v60 :: v_dual_min_f32 v133, v29, v33
	v_min_f32_e32 v60, v37, v33
	v_dual_add_f32 v65, v65, v181 :: v_dual_add_f32 v96, v96, v192
	v_max_f32_e32 v45, v45, v45
	s_delay_alu instid0(VALU_DEP_3) | instskip(SKIP_3) | instid1(VALU_DEP_3)
	v_dual_add_f32 v131, v115, v133 :: v_dual_add_f32 v142, v120, v60
	v_dual_add_f32 v133, v119, v114 :: v_dual_min_f32 v114, v1, v32
	v_dual_add_f32 v103, v103, v190 :: v_dual_add_f32 v98, v98, v200
	v_dual_min_f32 v119, v12, v32 :: v_dual_min_f32 v60, v29, v6
	v_add_f32_e32 v135, v59, v114
	v_min_f32_e32 v59, v16, v32
	v_dual_add_f32 v88, v88, v151 :: v_dual_add_f32 v89, v89, v152
	v_dual_add_f32 v95, v95, v193 :: v_dual_add_f32 v90, v90, v204
	s_delay_alu instid0(VALU_DEP_3) | instskip(SKIP_1) | instid1(VALU_DEP_4)
	v_add_f32_e32 v139, v63, v59
	v_min_f32_e32 v59, v36, v32
	v_dual_add_f32 v93, v93, v194 :: v_dual_add_f32 v88, v88, v196
	v_add_f32_e32 v137, v61, v119
	s_delay_alu instid0(VALU_DEP_3) | instskip(SKIP_4) | instid1(VALU_DEP_4)
	v_dual_add_f32 v97, v97, v60 :: v_dual_add_f32 v102, v102, v59
	v_min_f32_e32 v59, v28, v5
	v_min_f32_e32 v115, v9, v33
	;; [unrolled: 1-line block ×3, first 2 shown]
	v_dual_add_f32 v85, v85, v155 :: v_dual_add_f32 v82, v82, v156
	v_add_f32_e32 v96, v96, v59
	s_delay_alu instid0(VALU_DEP_4) | instskip(SKIP_1) | instid1(VALU_DEP_4)
	v_dual_add_f32 v134, v118, v115 :: v_dual_min_f32 v59, v9, v6
	v_min_f32_e32 v115, v13, v33
	v_dual_add_f32 v89, v89, v205 :: v_dual_add_f32 v82, v82, v207
	v_dual_add_f32 v87, v87, v206 :: v_dual_add_f32 v80, v80, v212
	s_delay_alu instid0(VALU_DEP_4) | instskip(NEXT) | instid1(VALU_DEP_4)
	v_add_f32_e32 v94, v94, v59
	v_add_f32_e32 v138, v62, v115
	v_min_f32_e32 v62, v25, v33
	v_min_f32_e32 v59, v13, v6
	v_dual_add_f32 v93, v93, v60 :: v_dual_min_f32 v60, v16, v5
	s_delay_alu instid0(VALU_DEP_3) | instskip(SKIP_1) | instid1(VALU_DEP_4)
	v_dual_min_f32 v16, v16, v44 :: v_dual_add_f32 v103, v103, v62
	v_min_f32_e32 v62, v12, v5
	v_dual_min_f32 v61, v24, v32 :: v_dual_add_f32 v90, v90, v59
	v_min_f32_e32 v59, v17, v6
	v_dual_add_f32 v85, v85, v198 :: v_dual_add_f32 v78, v78, v209
	s_delay_alu instid0(VALU_DEP_4) | instskip(SKIP_4) | instid1(VALU_DEP_4)
	v_dual_add_f32 v91, v91, v62 :: v_dual_add_f32 v16, v72, v16
	v_min_f32_e32 v62, v25, v6
	v_dual_add_f32 v141, v65, v61 :: v_dual_add_f32 v88, v88, v60
	v_min_f32_e32 v61, v132, v5
	v_dual_min_f32 v60, v36, v5 :: v_dual_add_f32 v89, v89, v59
	v_dual_add_f32 v87, v87, v62 :: v_dual_min_f32 v36, v36, v44
	v_min_f32_e32 v59, v37, v6
	s_delay_alu instid0(VALU_DEP_3) | instskip(SKIP_1) | instid1(VALU_DEP_3)
	v_dual_add_f32 v85, v85, v60 :: v_dual_max_f32 v22, v22, v22
	v_min_f32_e32 v12, v12, v44
	v_dual_add_f32 v36, v68, v36 :: v_dual_add_f32 v143, v122, v59
	v_min_f32_e32 v59, v132, v44
	v_add_f32_e32 v95, v95, v61
	v_min_f32_e32 v61, v2, v6
	v_max_f32_e32 v23, v23, v23
	v_dual_max_f32 v31, v31, v31 :: v_dual_max_f32 v38, v38, v38
	v_min_f32_e32 v32, v40, v32
	s_delay_alu instid0(VALU_DEP_4) | instskip(SKIP_4) | instid1(VALU_DEP_3)
	v_add_f32_e32 v92, v92, v61
	v_min_f32_e32 v61, v24, v5
	v_dual_min_f32 v5, v40, v5 :: v_dual_max_f32 v30, v30, v30
	v_dual_min_f32 v33, v41, v33 :: v_dual_min_f32 v28, v28, v44
	v_dual_min_f32 v1, v1, v44 :: v_dual_max_f32 v14, v14, v14
	v_dual_add_f32 v5, v82, v5 :: v_dual_min_f32 v24, v24, v44
	v_min_f32_e32 v40, v40, v44
	v_dual_min_f32 v44, v31, v23 :: v_dual_min_f32 v29, v29, v45
	v_dual_max_f32 v10, v10, v10 :: v_dual_min_f32 v9, v9, v45
	s_delay_alu instid0(VALU_DEP_3) | instskip(NEXT) | instid1(VALU_DEP_3)
	v_add_f32_e32 v40, v124, v40
	v_dual_add_f32 v124, v66, v44 :: v_dual_max_f32 v3, v3, v3
	s_delay_alu instid0(VALU_DEP_3) | instskip(SKIP_3) | instid1(VALU_DEP_4)
	v_dual_min_f32 v44, v10, v22 :: v_dual_add_f32 v29, v80, v29
	v_min_f32_e32 v13, v13, v45
	v_max_f32_e32 v19, v19, v19
	v_dual_min_f32 v25, v25, v45 :: v_dual_max_f32 v26, v26, v26
	v_add_f32_e32 v122, v99, v44
	v_dual_min_f32 v44, v3, v22 :: v_dual_add_f32 v1, v77, v1
	v_dual_add_f32 v13, v74, v13 :: v_dual_min_f32 v6, v41, v6
	v_dual_add_f32 v9, v79, v9 :: v_dual_max_f32 v4, v4, v4
	s_delay_alu instid0(VALU_DEP_3) | instskip(SKIP_3) | instid1(VALU_DEP_3)
	v_add_f32_e32 v120, v104, v44
	v_dual_min_f32 v44, v19, v23 :: v_dual_min_f32 v37, v37, v45
	v_min_f32_e32 v2, v2, v45
	v_dual_min_f32 v17, v17, v45 :: v_dual_max_f32 v18, v18, v18
	v_dual_add_f32 v60, v107, v44 :: v_dual_add_f32 v37, v69, v37
	v_dual_min_f32 v62, v26, v22 :: v_dual_min_f32 v41, v41, v45
	v_min_f32_e32 v45, v30, v22
	v_dual_max_f32 v42, v42, v42 :: v_dual_max_f32 v27, v27, v27
	s_delay_alu instid0(VALU_DEP_3) | instskip(NEXT) | instid1(VALU_DEP_3)
	v_dual_add_f32 v62, v110, v62 :: v_dual_add_f32 v41, v123, v41
	v_add_f32_e32 v123, v67, v45
	v_min_f32_e32 v45, v4, v23
	v_dual_max_f32 v11, v11, v11 :: v_dual_add_f32 v32, v121, v32
	v_add_f32_e32 v78, v78, v59
	v_max_f32_e32 v35, v35, v35
	s_delay_alu instid0(VALU_DEP_4) | instskip(SKIP_3) | instid1(VALU_DEP_3)
	v_add_f32_e32 v119, v101, v45
	v_min_f32_e32 v45, v14, v22
	v_dual_max_f32 v34, v34, v34 :: v_dual_max_f32 v15, v15, v15
	v_dual_max_f32 v39, v39, v39 :: v_dual_max_f32 v8, v8, v8
	v_add_f32_e32 v118, v106, v45
	v_dual_add_f32 v17, v73, v17 :: v_dual_min_f32 v44, v27, v23
	v_dual_min_f32 v45, v18, v22 :: v_dual_add_f32 v24, v71, v24
	v_dual_add_f32 v86, v86, v61 :: v_dual_max_f32 v7, v7, v7
	s_delay_alu instid0(VALU_DEP_3) | instskip(SKIP_1) | instid1(VALU_DEP_4)
	v_dual_add_f32 v63, v109, v44 :: v_dual_min_f32 v44, v38, v22
	v_dual_min_f32 v59, v11, v23 :: v_dual_min_f32 v22, v42, v22
	v_add_f32_e32 v61, v108, v45
	v_min_f32_e32 v45, v39, v23
	s_delay_alu instid0(VALU_DEP_4) | instskip(NEXT) | instid1(VALU_DEP_4)
	v_add_f32_e32 v65, v112, v44
	v_add_f32_e32 v121, v84, v59
	;; [unrolled: 1-line block ×3, first 2 shown]
	v_dual_min_f32 v20, v10, v34 :: v_dual_min_f32 v59, v15, v23
	v_dual_min_f32 v22, v3, v34 :: v_dual_add_f32 v33, v98, v33
	v_add_f32_e32 v28, v81, v28
	s_delay_alu instid0(VALU_DEP_3) | instskip(NEXT) | instid1(VALU_DEP_4)
	v_add_f32_e32 v112, v133, v20
	v_dual_min_f32 v20, v14, v34 :: v_dual_add_f32 v59, v105, v59
	s_delay_alu instid0(VALU_DEP_4) | instskip(SKIP_2) | instid1(VALU_DEP_4)
	v_add_f32_e32 v109, v135, v22
	v_add_f32_e32 v2, v76, v2
	;; [unrolled: 1-line block ×4, first 2 shown]
	v_min_f32_e32 v20, v18, v34
	v_add_f32_e32 v12, v75, v12
	v_add_co_u32 v50, s4, v50, 32
	s_delay_alu instid0(VALU_DEP_1) | instskip(NEXT) | instid1(VALU_DEP_4)
	v_add_co_ci_u32_e64 v51, s4, 0, v51, s4
	v_add_f32_e32 v106, v139, v20
	v_dual_min_f32 v20, v38, v34 :: v_dual_max_f32 v43, v43, v43
	v_min_f32_e32 v22, v27, v35
	s_add_i32 s26, s26, 8
	ds_store_b32 v125, v129
	ds_store_2addr_stride64_b32 v126, v130, v0 offset1:4
	v_dual_add_f32 v102, v102, v20 :: v_dual_min_f32 v23, v43, v23
	v_add_f32_e32 v104, v103, v22
	v_min_f32_e32 v22, v42, v34
	v_dual_add_f32 v64, v111, v45 :: v_dual_min_f32 v45, v30, v34
	v_min_f32_e32 v20, v31, v8
	s_cmp_ge_i32 s26, s20
	s_delay_alu instid0(VALU_DEP_3) | instskip(SKIP_4) | instid1(VALU_DEP_3)
	v_add_f32_e32 v98, v32, v22
	v_dual_min_f32 v22, v4, v8 :: v_dual_add_f32 v115, v21, v23
	v_min_f32_e32 v21, v11, v35
	v_add_f32_e32 v97, v97, v20
	v_dual_add_f32 v25, v70, v25 :: v_dual_min_f32 v44, v31, v35
	v_dual_add_f32 v92, v92, v22 :: v_dual_add_f32 v111, v134, v21
	v_min_f32_e32 v21, v4, v35
	v_min_f32_e32 v22, v18, v7
	;; [unrolled: 1-line block ×3, first 2 shown]
	v_add_f32_e32 v114, v131, v44
	s_waitcnt lgkmcnt(0)
	v_add_f32_e32 v110, v136, v21
	v_add_f32_e32 v88, v88, v22
	v_max_f32_e32 v22, v47, v47
	v_min_f32_e32 v21, v19, v35
	s_barrier
	buffer_gl0_inv
	v_min_f32_e32 v4, v4, v22
	v_add_f32_e32 v105, v140, v21
	s_delay_alu instid0(VALU_DEP_2) | instskip(NEXT) | instid1(VALU_DEP_1)
	v_dual_min_f32 v21, v39, v35 :: v_dual_add_f32 v76, v2, v4
	v_dual_min_f32 v2, v15, v22 :: v_dual_add_f32 v101, v142, v21
	s_delay_alu instid0(VALU_DEP_1) | instskip(NEXT) | instid1(VALU_DEP_1)
	v_dual_min_f32 v21, v43, v35 :: v_dual_add_f32 v74, v13, v2
	v_add_f32_e32 v99, v33, v21
	v_min_f32_e32 v21, v11, v8
	s_delay_alu instid0(VALU_DEP_1) | instskip(NEXT) | instid1(VALU_DEP_1)
	v_dual_add_f32 v94, v94, v21 :: v_dual_min_f32 v21, v3, v7
	v_add_f32_e32 v93, v93, v21
	v_min_f32_e32 v21, v19, v8
	s_delay_alu instid0(VALU_DEP_1) | instskip(SKIP_2) | instid1(VALU_DEP_2)
	v_add_f32_e32 v89, v89, v21
	v_min_f32_e32 v21, v39, v8
	v_add_f32_e32 v107, v138, v23
	v_dual_min_f32 v23, v26, v34 :: v_dual_add_f32 v84, v143, v21
	v_max_f32_e32 v21, v46, v46
	s_delay_alu instid0(VALU_DEP_2) | instskip(NEXT) | instid1(VALU_DEP_2)
	v_dual_add_f32 v103, v141, v23 :: v_dual_min_f32 v2, v27, v22
	v_min_f32_e32 v4, v18, v21
	v_min_f32_e32 v20, v10, v7
	;; [unrolled: 1-line block ×3, first 2 shown]
	v_add_f32_e32 v113, v113, v45
	s_delay_alu instid0(VALU_DEP_4) | instskip(NEXT) | instid1(VALU_DEP_4)
	v_dual_min_f32 v3, v3, v21 :: v_dual_add_f32 v72, v16, v4
	v_dual_add_f32 v95, v95, v20 :: v_dual_add_f32 v70, v25, v2
	v_min_f32_e32 v20, v14, v7
	v_dual_add_f32 v96, v96, v23 :: v_dual_min_f32 v23, v15, v8
	s_delay_alu instid0(VALU_DEP_4) | instskip(SKIP_1) | instid1(VALU_DEP_4)
	v_add_f32_e32 v77, v1, v3
	v_min_f32_e32 v1, v14, v21
	v_add_f32_e32 v91, v91, v20
	v_min_f32_e32 v20, v27, v8
	v_add_f32_e32 v90, v90, v23
	v_dual_min_f32 v23, v26, v7 :: v_dual_min_f32 v4, v43, v22
	v_min_f32_e32 v8, v43, v8
	s_delay_alu instid0(VALU_DEP_4) | instskip(SKIP_1) | instid1(VALU_DEP_4)
	v_dual_add_f32 v87, v87, v20 :: v_dual_min_f32 v20, v38, v7
	v_min_f32_e32 v7, v42, v7
	v_dual_min_f32 v3, v19, v22 :: v_dual_add_f32 v86, v86, v23
	v_min_f32_e32 v23, v31, v22
	s_delay_alu instid0(VALU_DEP_3) | instskip(SKIP_4) | instid1(VALU_DEP_4)
	v_dual_add_f32 v83, v6, v8 :: v_dual_add_f32 v82, v5, v7
	v_dual_min_f32 v5, v30, v21 :: v_dual_min_f32 v6, v11, v22
	v_min_f32_e32 v7, v10, v21
	v_add_f32_e32 v75, v12, v1
	v_add_f32_e32 v73, v17, v3
	;; [unrolled: 1-line block ×3, first 2 shown]
	v_dual_min_f32 v1, v26, v21 :: v_dual_min_f32 v2, v39, v22
	v_min_f32_e32 v3, v38, v21
	v_min_f32_e32 v5, v42, v21
	v_add_f32_e32 v85, v85, v20
	v_add_f32_e32 v80, v29, v23
	v_dual_add_f32 v79, v9, v6 :: v_dual_add_f32 v78, v78, v7
	v_add_f32_e32 v71, v24, v1
	v_dual_add_f32 v69, v37, v2 :: v_dual_add_f32 v68, v36, v3
	v_dual_add_f32 v67, v41, v4 :: v_dual_add_f32 v66, v40, v5
	s_cbranch_scc1 .LBB48_34
.LBB48_22:                              ; =>This Inner Loop Header: Depth=1
	v_dual_mov_b32 v130, 0 :: v_dual_add_nc_u32 v129, s26, v54
	s_delay_alu instid0(VALU_DEP_1) | instskip(NEXT) | instid1(VALU_DEP_1)
	v_add_nc_u32_e32 v0, 8, v129
	v_cmp_gt_i32_e64 s4, s18, v0
	s_delay_alu instid0(VALU_DEP_1) | instskip(NEXT) | instid1(SALU_CYCLE_1)
	s_and_b32 s4, s4, vcc_lo
	s_and_b32 s4, s23, s4
	s_delay_alu instid0(SALU_CYCLE_1)
	s_and_saveexec_b32 s5, s4
	s_cbranch_execz .LBB48_24
; %bb.23:                               ;   in Loop: Header=BB48_22 Depth=1
	v_add_co_u32 v0, s4, -16, v50
	s_delay_alu instid0(VALU_DEP_1)
	v_add_co_ci_u32_e64 v1, s4, -1, v51, s4
	flat_load_b32 v0, v[0:1]
	s_waitcnt vmcnt(0) lgkmcnt(0)
	v_mul_f32_e32 v130, s22, v0
.LBB48_24:                              ;   in Loop: Header=BB48_22 Depth=1
	s_or_b32 exec_lo, exec_lo, s5
	v_dual_mov_b32 v132, 0 :: v_dual_add_nc_u32 v131, s26, v55
	s_delay_alu instid0(VALU_DEP_1) | instskip(NEXT) | instid1(VALU_DEP_1)
	v_dual_mov_b32 v133, 0 :: v_dual_add_nc_u32 v2, 8, v131
	v_min_i32_e32 v3, s24, v2
	v_cmp_le_i32_e64 s4, s18, v2
	s_delay_alu instid0(VALU_DEP_2) | instskip(NEXT) | instid1(VALU_DEP_2)
	v_mad_i64_i32 v[0:1], null, v3, s19, 0
	s_or_b32 s21, s2, s4
	s_delay_alu instid0(VALU_DEP_1) | instskip(NEXT) | instid1(VALU_DEP_1)
	v_lshlrev_b64 v[0:1], 2, v[0:1]
	v_add_co_u32 v0, s5, s12, v0
	s_delay_alu instid0(VALU_DEP_1) | instskip(SKIP_1) | instid1(SALU_CYCLE_1)
	v_add_co_ci_u32_e64 v1, s5, s13, v1, s5
	s_or_b32 s5, s21, s25
	s_xor_b32 s5, s5, -1
	s_delay_alu instid0(SALU_CYCLE_1)
	s_and_saveexec_b32 s21, s5
	s_cbranch_execz .LBB48_26
; %bb.25:                               ;   in Loop: Header=BB48_22 Depth=1
	v_add_co_u32 v2, s5, v0, v48
	s_delay_alu instid0(VALU_DEP_1)
	v_add_co_ci_u32_e64 v3, s5, v1, v49, s5
	flat_load_b32 v2, v[2:3]
	s_waitcnt vmcnt(0) lgkmcnt(0)
	v_mul_f32_e32 v133, s22, v2
.LBB48_26:                              ;   in Loop: Header=BB48_22 Depth=1
	s_or_b32 exec_lo, exec_lo, s21
	s_or_b32 s4, s3, s4
	s_delay_alu instid0(SALU_CYCLE_1) | instskip(NEXT) | instid1(SALU_CYCLE_1)
	s_or_b32 s4, s4, s25
	s_xor_b32 s4, s4, -1
	s_delay_alu instid0(SALU_CYCLE_1)
	s_and_saveexec_b32 s5, s4
	s_cbranch_execz .LBB48_28
; %bb.27:                               ;   in Loop: Header=BB48_22 Depth=1
	v_add_co_u32 v0, s4, v0, v48
	s_delay_alu instid0(VALU_DEP_1)
	v_add_co_ci_u32_e64 v1, s4, v1, v49, s4
	flat_load_b32 v0, v[0:1] offset:256
	s_waitcnt vmcnt(0) lgkmcnt(0)
	v_mul_f32_e32 v132, s22, v0
.LBB48_28:                              ;   in Loop: Header=BB48_22 Depth=1
	s_or_b32 exec_lo, exec_lo, s5
	ds_load_b128 v[40:43], v127
	ds_load_b128 v[36:39], v127 offset:128
	ds_load_b128 v[32:35], v127 offset:256
	;; [unrolled: 1-line block ×7, first 2 shown]
	ds_load_b128 v[44:47], v128
	ds_load_b128 v[8:11], v128 offset:512
	ds_load_b128 v[4:7], v128 offset:1024
	;; [unrolled: 1-line block ×3, first 2 shown]
	v_add_nc_u32_e32 v129, 12, v129
	ds_store_b32 v100, v130
	v_mov_b32_e32 v130, 0
	ds_store_2addr_stride64_b32 v58, v133, v132 offset1:4
	s_waitcnt lgkmcnt(0)
	v_cmp_gt_i32_e64 s4, s18, v129
	v_mov_b32_e32 v129, 0
	s_barrier
	buffer_gl0_inv
	s_and_b32 s4, s4, vcc_lo
	s_delay_alu instid0(SALU_CYCLE_1) | instskip(NEXT) | instid1(SALU_CYCLE_1)
	s_and_b32 s5, s23, s4
	s_and_saveexec_b32 s4, s5
	s_cbranch_execz .LBB48_30
; %bb.29:                               ;   in Loop: Header=BB48_22 Depth=1
	flat_load_b32 v129, v[50:51]
	s_waitcnt vmcnt(0) lgkmcnt(0)
	v_mul_f32_e32 v129, s22, v129
.LBB48_30:                              ;   in Loop: Header=BB48_22 Depth=1
	s_or_b32 exec_lo, exec_lo, s4
	v_add_nc_u32_e32 v133, 12, v131
	s_delay_alu instid0(VALU_DEP_1) | instskip(SKIP_1) | instid1(VALU_DEP_2)
	v_min_i32_e32 v134, s24, v133
	v_cmp_le_i32_e64 s4, s18, v133
	v_mad_i64_i32 v[131:132], null, v134, s19, 0
	s_delay_alu instid0(VALU_DEP_2) | instskip(NEXT) | instid1(VALU_DEP_1)
	s_or_b32 s21, s2, s4
	v_lshlrev_b64 v[131:132], 2, v[131:132]
	s_delay_alu instid0(VALU_DEP_1) | instskip(NEXT) | instid1(VALU_DEP_1)
	v_add_co_u32 v131, s5, s12, v131
	v_add_co_ci_u32_e64 v132, s5, s13, v132, s5
	s_or_b32 s5, s21, s25
	s_delay_alu instid0(SALU_CYCLE_1) | instskip(NEXT) | instid1(SALU_CYCLE_1)
	s_xor_b32 s5, s5, -1
	s_and_saveexec_b32 s21, s5
	s_cbranch_execz .LBB48_32
; %bb.31:                               ;   in Loop: Header=BB48_22 Depth=1
	v_add_co_u32 v133, s5, v131, v48
	s_delay_alu instid0(VALU_DEP_1)
	v_add_co_ci_u32_e64 v134, s5, v132, v49, s5
	flat_load_b32 v130, v[133:134]
	s_waitcnt vmcnt(0) lgkmcnt(0)
	v_mul_f32_e32 v130, s22, v130
.LBB48_32:                              ;   in Loop: Header=BB48_22 Depth=1
	s_or_b32 exec_lo, exec_lo, s21
	v_dual_max_f32 v44, v44, v44 :: v_dual_max_f32 v45, v45, v45
	v_dual_max_f32 v158, v40, v40 :: v_dual_max_f32 v159, v41, v41
	v_dual_max_f32 v166, v24, v24 :: v_dual_max_f32 v167, v25, v25
	v_dual_max_f32 v170, v16, v16 :: v_dual_max_f32 v171, v17, v17
	v_dual_max_f32 v172, v12, v12 :: v_dual_max_f32 v143, v9, v9
	v_max_f32_e32 v142, v8, v8
	v_dual_max_f32 v160, v36, v36 :: v_dual_max_f32 v161, v37, v37
	v_dual_min_f32 v36, v158, v44 :: v_dual_max_f32 v163, v33, v33
	v_dual_max_f32 v162, v32, v32 :: v_dual_max_f32 v165, v29, v29
	v_max_f32_e32 v164, v28, v28
	v_dual_max_f32 v168, v20, v20 :: v_dual_max_f32 v169, v21, v21
	v_dual_min_f32 v16, v166, v44 :: v_dual_max_f32 v173, v13, v13
	v_min_f32_e32 v17, v159, v143
	v_dual_min_f32 v141, v170, v142 :: v_dual_max_f32 v156, v4, v4
	v_dual_max_f32 v157, v5, v5 :: v_dual_min_f32 v4, v171, v143
	v_dual_max_f32 v0, v0, v0 :: v_dual_max_f32 v175, v46, v46
	v_max_f32_e32 v176, v47, v47
	v_dual_max_f32 v208, v42, v42 :: v_dual_max_f32 v209, v43, v43
	v_dual_max_f32 v213, v38, v38 :: v_dual_min_f32 v40, v159, v45
	v_dual_min_f32 v41, v160, v44 :: v_dual_min_f32 v28, v161, v45
	v_min_f32_e32 v29, v162, v44
	v_min_f32_e32 v37, v165, v45
	v_dual_min_f32 v32, v163, v45 :: v_dual_min_f32 v33, v164, v44
	v_dual_min_f32 v20, v167, v45 :: v_dual_min_f32 v21, v168, v44
	;; [unrolled: 1-line block ×17, first 2 shown]
	v_dual_min_f32 v155, v170, v156 :: v_dual_max_f32 v174, v1, v1
	v_dual_min_f32 v1, v171, v157 :: v_dual_min_f32 v156, v172, v156
	v_dual_min_f32 v157, v173, v157 :: v_dual_min_f32 v158, v158, v0
	s_delay_alu instid0(VALU_DEP_3)
	v_dual_min_f32 v159, v159, v174 :: v_dual_min_f32 v160, v160, v0
	v_dual_min_f32 v161, v161, v174 :: v_dual_min_f32 v162, v162, v0
	;; [unrolled: 1-line block ×6, first 2 shown]
	v_min_f32_e32 v171, v171, v174
	v_dual_min_f32 v43, v172, v0 :: v_dual_min_f32 v46, v173, v174
	v_dual_min_f32 v38, v208, v175 :: v_dual_min_f32 v47, v209, v176
	v_max_f32_e32 v0, v39, v39
	v_dual_min_f32 v42, v213, v175 :: v_dual_max_f32 v215, v30, v30
	v_max_f32_e32 v172, v34, v34
	v_max_f32_e32 v216, v31, v31
	v_max_f32_e32 v214, v35, v35
	v_dual_min_f32 v34, v0, v176 :: v_dual_max_f32 v217, v26, v26
	v_min_f32_e32 v31, v215, v175
	v_dual_min_f32 v30, v172, v175 :: v_dual_max_f32 v219, v22, v22
	v_dual_max_f32 v218, v27, v27 :: v_dual_max_f32 v221, v18, v18
	v_max_f32_e32 v220, v23, v23
	v_dual_max_f32 v19, v19, v19 :: v_dual_max_f32 v222, v14, v14
	v_dual_max_f32 v223, v15, v15 :: v_dual_max_f32 v10, v10, v10
	;; [unrolled: 1-line block ×4, first 2 shown]
	v_max_f32_e32 v225, v3, v3
	s_or_b32 s4, s3, s4
	v_min_f32_e32 v39, v216, v176
	v_dual_min_f32 v35, v214, v176 :: v_dual_min_f32 v18, v217, v175
	v_min_f32_e32 v183, v19, v176
	v_dual_min_f32 v173, v218, v176 :: v_dual_min_f32 v22, v219, v175
	v_dual_min_f32 v177, v213, v10 :: v_dual_min_f32 v174, v220, v176
	v_min_f32_e32 v23, v221, v175
	v_dual_min_f32 v175, v222, v175 :: v_dual_min_f32 v184, v223, v176
	;; [unrolled: 3-line block ×3, first 2 shown]
	v_dual_min_f32 v187, v214, v11 :: v_dual_min_f32 v180, v217, v10
	v_dual_min_f32 v188, v216, v11 :: v_dual_min_f32 v181, v219, v10
	;; [unrolled: 1-line block ×12, first 2 shown]
	v_min_f32_e32 v210, v19, v7
	v_dual_min_f32 v211, v223, v7 :: v_dual_min_f32 v208, v208, v224
	v_dual_min_f32 v212, v209, v225 :: v_dual_min_f32 v11, v215, v224
	v_min_f32_e32 v209, v213, v224
	v_dual_min_f32 v213, v0, v225 :: v_dual_min_f32 v2, v217, v224
	v_dual_min_f32 v10, v172, v224 :: v_dual_min_f32 v15, v19, v225
	;; [unrolled: 1-line block ×4, first 2 shown]
	v_min_f32_e32 v172, v218, v225
	v_dual_min_f32 v14, v220, v225 :: v_dual_min_f32 v7, v222, v224
	v_dual_min_f32 v19, v223, v225 :: v_dual_mov_b32 v0, 0
	s_or_b32 s4, s4, s25
	s_delay_alu instid0(SALU_CYCLE_1) | instskip(NEXT) | instid1(SALU_CYCLE_1)
	s_xor_b32 s4, s4, -1
	s_and_saveexec_b32 s5, s4
	s_cbranch_execz .LBB48_21
; %bb.33:                               ;   in Loop: Header=BB48_22 Depth=1
	v_add_co_u32 v131, s4, v131, v48
	s_delay_alu instid0(VALU_DEP_1)
	v_add_co_ci_u32_e64 v132, s4, v132, v49, s4
	flat_load_b32 v0, v[131:132] offset:256
	s_waitcnt vmcnt(0) lgkmcnt(0)
	v_mul_f32_e32 v0, s22, v0
	s_branch .LBB48_21
.LBB48_34:
	s_clause 0x2
	s_load_b32 s13, s[0:1], 0x58
	s_load_b32 s12, s[0:1], 0x70
	s_load_b64 s[0:1], s[0:1], 0x78
	v_add_nc_u32_e32 v117, s14, v53
	ds_load_b128 v[32:35], v57 offset:5120
	ds_load_b128 v[28:31], v57 offset:5248
	;; [unrolled: 1-line block ×12, first 2 shown]
	v_add_nc_u32_e32 v48, s8, v52
	v_cmp_gt_i32_e64 s8, s17, v117
	v_cndmask_b32_e64 v100, 0, 1, s9
	s_waitcnt lgkmcnt(0)
	v_mad_i64_i32 v[49:50], null, v117, s13, 0
	v_mad_i64_i32 v[53:54], null, v117, s12, 0
	s_lshl_b64 s[0:1], s[0:1], 2
	s_delay_alu instid0(SALU_CYCLE_1) | instskip(SKIP_1) | instid1(VALU_DEP_2)
	s_add_u32 s14, s6, s0
	s_addc_u32 s18, s7, s1
	v_lshlrev_b64 v[49:50], 2, v[49:50]
	v_cmp_gt_i32_e64 s0, s16, v48
	s_delay_alu instid0(VALU_DEP_3) | instskip(NEXT) | instid1(VALU_DEP_2)
	v_lshlrev_b64 v[51:52], 2, v[53:54]
	s_and_b32 s2, s0, s8
	s_delay_alu instid0(VALU_DEP_3) | instskip(NEXT) | instid1(VALU_DEP_4)
	v_add_co_u32 v127, vcc_lo, s10, v49
	v_add_co_ci_u32_e32 v128, vcc_lo, s11, v50, vcc_lo
	s_delay_alu instid0(VALU_DEP_3) | instskip(NEXT) | instid1(VALU_DEP_4)
	v_add_co_u32 v125, vcc_lo, s14, v51
	v_add_co_ci_u32_e32 v126, vcc_lo, s18, v52, vcc_lo
	v_ashrrev_i32_e32 v49, 31, v48
	s_and_saveexec_b32 s1, s2
	s_cbranch_execz .LBB48_39
; %bb.35:
	s_delay_alu instid0(VALU_DEP_1)
	v_lshlrev_b64 v[50:51], 2, v[48:49]
	s_and_not1_b32 vcc_lo, exec_lo, s9
	s_cbranch_vccnz .LBB48_37
; %bb.36:
	s_delay_alu instid0(VALU_DEP_1) | instskip(NEXT) | instid1(VALU_DEP_2)
	v_add_co_u32 v52, vcc_lo, v127, v50
	v_add_co_ci_u32_e32 v53, vcc_lo, v128, v51, vcc_lo
	flat_load_b32 v52, v[52:53]
	s_waitcnt vmcnt(0) lgkmcnt(0)
	v_mul_f32_e32 v52, s15, v52
	s_branch .LBB48_38
.LBB48_37:
	v_mov_b32_e32 v52, 0
.LBB48_38:
	v_dual_max_f32 v53, v45, v45 :: v_dual_max_f32 v56, v32, v32
	v_dual_max_f32 v54, v33, v33 :: v_dual_max_f32 v55, v44, v44
	;; [unrolled: 1-line block ×3, first 2 shown]
	v_max_f32_e32 v129, v35, v35
	s_delay_alu instid0(VALU_DEP_3) | instskip(NEXT) | instid1(VALU_DEP_4)
	v_min_f32_e32 v53, v54, v53
	v_dual_max_f32 v54, v34, v34 :: v_dual_min_f32 v55, v56, v55
	v_add_co_u32 v50, vcc_lo, v125, v50
	v_add_co_ci_u32_e32 v51, vcc_lo, v126, v51, vcc_lo
	s_delay_alu instid0(VALU_DEP_3) | instskip(NEXT) | instid1(VALU_DEP_4)
	v_min_f32_e32 v54, v54, v57
	v_dual_min_f32 v56, v129, v58 :: v_dual_add_f32 v55, v123, v55
	s_delay_alu instid0(VALU_DEP_1) | instskip(NEXT) | instid1(VALU_DEP_1)
	v_dual_add_f32 v53, v124, v53 :: v_dual_add_f32 v54, v55, v54
	v_add_f32_e32 v53, v53, v56
	s_delay_alu instid0(VALU_DEP_1) | instskip(NEXT) | instid1(VALU_DEP_1)
	v_add_f32_e32 v53, v54, v53
	v_add_f32_e32 v52, v53, v52
	global_store_b32 v[50:51], v52, off
.LBB48_39:
	s_or_b32 exec_lo, exec_lo, s1
	v_add_nc_u32_e32 v50, 8, v48
	s_delay_alu instid0(VALU_DEP_1) | instskip(SKIP_1) | instid1(VALU_DEP_2)
	v_cmp_gt_i32_e64 s1, s16, v50
	v_ashrrev_i32_e32 v51, 31, v50
	s_and_b32 s3, s1, s8
	s_delay_alu instid0(SALU_CYCLE_1)
	s_and_saveexec_b32 s2, s3
	s_cbranch_execz .LBB48_44
; %bb.40:
	v_cmp_ne_u32_e32 vcc_lo, 1, v100
	v_lshlrev_b64 v[52:53], 2, v[50:51]
	s_cbranch_vccnz .LBB48_42
; %bb.41:
	s_delay_alu instid0(VALU_DEP_1) | instskip(NEXT) | instid1(VALU_DEP_2)
	v_add_co_u32 v54, vcc_lo, v127, v52
	v_add_co_ci_u32_e32 v55, vcc_lo, v128, v53, vcc_lo
	flat_load_b32 v54, v[54:55]
	s_waitcnt vmcnt(0) lgkmcnt(0)
	v_mul_f32_e32 v54, s15, v54
	s_branch .LBB48_43
.LBB48_42:
	v_mov_b32_e32 v54, 0
.LBB48_43:
	v_dual_max_f32 v55, v45, v45 :: v_dual_max_f32 v58, v28, v28
	v_dual_max_f32 v56, v29, v29 :: v_dual_max_f32 v57, v44, v44
	;; [unrolled: 1-line block ×3, first 2 shown]
	v_add_co_u32 v52, vcc_lo, v125, v52
	s_delay_alu instid0(VALU_DEP_3) | instskip(NEXT) | instid1(VALU_DEP_4)
	v_dual_min_f32 v55, v56, v55 :: v_dual_max_f32 v56, v30, v30
	v_min_f32_e32 v57, v58, v57
	v_add_co_ci_u32_e32 v53, vcc_lo, v126, v53, vcc_lo
	s_delay_alu instid0(VALU_DEP_3) | instskip(NEXT) | instid1(VALU_DEP_3)
	v_add_f32_e32 v55, v121, v55
	v_dual_min_f32 v56, v56, v123 :: v_dual_add_f32 v57, v122, v57
	s_delay_alu instid0(VALU_DEP_1) | instskip(NEXT) | instid1(VALU_DEP_1)
	v_dual_max_f32 v129, v31, v31 :: v_dual_add_f32 v56, v57, v56
	v_min_f32_e32 v58, v129, v124
	s_delay_alu instid0(VALU_DEP_1) | instskip(NEXT) | instid1(VALU_DEP_1)
	v_add_f32_e32 v55, v55, v58
	v_add_f32_e32 v55, v56, v55
	s_delay_alu instid0(VALU_DEP_1)
	v_add_f32_e32 v54, v55, v54
	global_store_b32 v[52:53], v54, off
.LBB48_44:
	s_or_b32 exec_lo, exec_lo, s2
	v_add_nc_u32_e32 v52, 16, v48
	s_delay_alu instid0(VALU_DEP_1) | instskip(SKIP_1) | instid1(VALU_DEP_2)
	v_cmp_gt_i32_e64 s2, s16, v52
	v_ashrrev_i32_e32 v53, 31, v52
	s_and_b32 s4, s2, s8
	s_delay_alu instid0(SALU_CYCLE_1)
	s_and_saveexec_b32 s3, s4
	s_cbranch_execz .LBB48_49
; %bb.45:
	v_cmp_ne_u32_e32 vcc_lo, 1, v100
	v_lshlrev_b64 v[54:55], 2, v[52:53]
	s_cbranch_vccnz .LBB48_47
; %bb.46:
	s_delay_alu instid0(VALU_DEP_1) | instskip(NEXT) | instid1(VALU_DEP_2)
	v_add_co_u32 v56, vcc_lo, v127, v54
	v_add_co_ci_u32_e32 v57, vcc_lo, v128, v55, vcc_lo
	flat_load_b32 v56, v[56:57]
	s_waitcnt vmcnt(0) lgkmcnt(0)
	v_mul_f32_e32 v56, s15, v56
	s_branch .LBB48_48
.LBB48_47:
	v_mov_b32_e32 v56, 0
.LBB48_48:
	v_dual_max_f32 v57, v45, v45 :: v_dual_max_f32 v122, v24, v24
	v_dual_max_f32 v58, v25, v25 :: v_dual_max_f32 v121, v44, v44
	;; [unrolled: 1-line block ×3, first 2 shown]
	v_add_co_u32 v54, vcc_lo, v125, v54
	s_delay_alu instid0(VALU_DEP_3) | instskip(SKIP_1) | instid1(VALU_DEP_2)
	v_min_f32_e32 v121, v122, v121
	v_add_co_ci_u32_e32 v55, vcc_lo, v126, v55, vcc_lo
	v_dual_max_f32 v129, v27, v27 :: v_dual_add_f32 v120, v120, v121
	v_min_f32_e32 v57, v58, v57
	v_max_f32_e32 v58, v26, v26
	s_delay_alu instid0(VALU_DEP_1) | instskip(NEXT) | instid1(VALU_DEP_1)
	v_min_f32_e32 v58, v58, v123
	v_dual_add_f32 v58, v120, v58 :: v_dual_add_f32 v57, v119, v57
	v_min_f32_e32 v119, v129, v124
	s_delay_alu instid0(VALU_DEP_1) | instskip(NEXT) | instid1(VALU_DEP_1)
	v_add_f32_e32 v57, v57, v119
	v_add_f32_e32 v57, v58, v57
	s_delay_alu instid0(VALU_DEP_1)
	v_add_f32_e32 v56, v57, v56
	global_store_b32 v[54:55], v56, off
.LBB48_49:
	s_or_b32 exec_lo, exec_lo, s3
	v_add_nc_u32_e32 v54, 24, v48
	s_delay_alu instid0(VALU_DEP_1) | instskip(SKIP_1) | instid1(VALU_DEP_2)
	v_cmp_gt_i32_e64 s3, s16, v54
	v_ashrrev_i32_e32 v55, 31, v54
	s_and_b32 s5, s3, s8
	s_delay_alu instid0(SALU_CYCLE_1)
	s_and_saveexec_b32 s4, s5
	s_cbranch_execz .LBB48_54
; %bb.50:
	v_cmp_ne_u32_e32 vcc_lo, 1, v100
	v_lshlrev_b64 v[56:57], 2, v[54:55]
	s_cbranch_vccnz .LBB48_52
; %bb.51:
	s_delay_alu instid0(VALU_DEP_1) | instskip(NEXT) | instid1(VALU_DEP_2)
	v_add_co_u32 v119, vcc_lo, v127, v56
	v_add_co_ci_u32_e32 v120, vcc_lo, v128, v57, vcc_lo
	flat_load_b32 v58, v[119:120]
	s_waitcnt vmcnt(0) lgkmcnt(0)
	v_mul_f32_e32 v58, s15, v58
	s_branch .LBB48_53
.LBB48_52:
	v_mov_b32_e32 v58, 0
.LBB48_53:
	v_dual_max_f32 v119, v45, v45 :: v_dual_max_f32 v122, v20, v20
	v_dual_max_f32 v120, v21, v21 :: v_dual_max_f32 v121, v44, v44
	v_dual_max_f32 v123, v46, v46 :: v_dual_max_f32 v124, v47, v47
	v_add_co_u32 v56, vcc_lo, v125, v56
	s_delay_alu instid0(VALU_DEP_3) | instskip(NEXT) | instid1(VALU_DEP_4)
	v_dual_min_f32 v119, v120, v119 :: v_dual_max_f32 v120, v22, v22
	v_min_f32_e32 v121, v122, v121
	v_max_f32_e32 v129, v23, v23
	v_add_co_ci_u32_e32 v57, vcc_lo, v126, v57, vcc_lo
	s_delay_alu instid0(VALU_DEP_3) | instskip(NEXT) | instid1(VALU_DEP_3)
	v_dual_add_f32 v59, v59, v119 :: v_dual_add_f32 v118, v118, v121
	v_dual_min_f32 v119, v120, v123 :: v_dual_min_f32 v120, v129, v124
	s_delay_alu instid0(VALU_DEP_1) | instskip(NEXT) | instid1(VALU_DEP_1)
	v_dual_add_f32 v118, v118, v119 :: v_dual_add_f32 v59, v59, v120
	v_add_f32_e32 v59, v118, v59
	s_delay_alu instid0(VALU_DEP_1)
	v_add_f32_e32 v58, v59, v58
	global_store_b32 v[56:57], v58, off
.LBB48_54:
	s_or_b32 exec_lo, exec_lo, s4
	v_add_nc_u32_e32 v56, 32, v48
	s_delay_alu instid0(VALU_DEP_1) | instskip(SKIP_1) | instid1(VALU_DEP_2)
	v_cmp_gt_i32_e64 s4, s16, v56
	v_ashrrev_i32_e32 v57, 31, v56
	s_and_b32 s6, s4, s8
	s_delay_alu instid0(SALU_CYCLE_1)
	s_and_saveexec_b32 s5, s6
	s_cbranch_execz .LBB48_59
; %bb.55:
	v_cmp_ne_u32_e32 vcc_lo, 1, v100
	v_lshlrev_b64 v[58:59], 2, v[56:57]
	s_cbranch_vccnz .LBB48_57
; %bb.56:
	s_delay_alu instid0(VALU_DEP_1) | instskip(NEXT) | instid1(VALU_DEP_2)
	v_add_co_u32 v118, vcc_lo, v127, v58
	v_add_co_ci_u32_e32 v119, vcc_lo, v128, v59, vcc_lo
	flat_load_b32 v118, v[118:119]
	s_waitcnt vmcnt(0) lgkmcnt(0)
	v_mul_f32_e32 v118, s15, v118
	s_branch .LBB48_58
.LBB48_57:
	v_mov_b32_e32 v118, 0
.LBB48_58:
	v_dual_max_f32 v119, v45, v45 :: v_dual_max_f32 v122, v16, v16
	v_dual_max_f32 v120, v17, v17 :: v_dual_max_f32 v121, v44, v44
	;; [unrolled: 1-line block ×3, first 2 shown]
	v_add_co_u32 v58, vcc_lo, v125, v58
	s_delay_alu instid0(VALU_DEP_3) | instskip(NEXT) | instid1(VALU_DEP_4)
	v_dual_min_f32 v119, v120, v119 :: v_dual_max_f32 v120, v18, v18
	v_min_f32_e32 v121, v122, v121
	v_add_co_ci_u32_e32 v59, vcc_lo, v126, v59, vcc_lo
	s_delay_alu instid0(VALU_DEP_3) | instskip(SKIP_3) | instid1(VALU_DEP_3)
	v_add_f32_e32 v60, v60, v119
	v_max_f32_e32 v129, v19, v19
	v_min_f32_e32 v119, v120, v123
	v_add_f32_e32 v61, v61, v121
	v_min_f32_e32 v120, v129, v124
	s_delay_alu instid0(VALU_DEP_1) | instskip(NEXT) | instid1(VALU_DEP_1)
	v_dual_add_f32 v61, v61, v119 :: v_dual_add_f32 v60, v60, v120
	v_add_f32_e32 v60, v61, v60
	s_delay_alu instid0(VALU_DEP_1)
	v_add_f32_e32 v60, v60, v118
	global_store_b32 v[58:59], v60, off
.LBB48_59:
	s_or_b32 exec_lo, exec_lo, s5
	v_add_nc_u32_e32 v58, 40, v48
	s_delay_alu instid0(VALU_DEP_1) | instskip(SKIP_1) | instid1(VALU_DEP_2)
	v_cmp_gt_i32_e64 s5, s16, v58
	v_ashrrev_i32_e32 v59, 31, v58
	s_and_b32 s7, s5, s8
	s_delay_alu instid0(SALU_CYCLE_1)
	s_and_saveexec_b32 s6, s7
	s_cbranch_execz .LBB48_64
; %bb.60:
	v_cmp_ne_u32_e32 vcc_lo, 1, v100
	v_lshlrev_b64 v[60:61], 2, v[58:59]
	s_cbranch_vccnz .LBB48_62
; %bb.61:
	s_delay_alu instid0(VALU_DEP_1) | instskip(NEXT) | instid1(VALU_DEP_2)
	v_add_co_u32 v118, vcc_lo, v127, v60
	v_add_co_ci_u32_e32 v119, vcc_lo, v128, v61, vcc_lo
	flat_load_b32 v118, v[118:119]
	s_waitcnt vmcnt(0) lgkmcnt(0)
	v_mul_f32_e32 v118, s15, v118
	s_branch .LBB48_63
.LBB48_62:
	v_mov_b32_e32 v118, 0
.LBB48_63:
	v_dual_max_f32 v119, v45, v45 :: v_dual_max_f32 v122, v12, v12
	v_dual_max_f32 v120, v13, v13 :: v_dual_max_f32 v121, v44, v44
	;; [unrolled: 1-line block ×3, first 2 shown]
	v_add_co_u32 v60, vcc_lo, v125, v60
	s_delay_alu instid0(VALU_DEP_3) | instskip(NEXT) | instid1(VALU_DEP_4)
	v_dual_min_f32 v119, v120, v119 :: v_dual_max_f32 v120, v14, v14
	v_min_f32_e32 v121, v122, v121
	v_max_f32_e32 v129, v15, v15
	v_add_co_ci_u32_e32 v61, vcc_lo, v126, v61, vcc_lo
	s_delay_alu instid0(VALU_DEP_4) | instskip(NEXT) | instid1(VALU_DEP_4)
	v_add_f32_e32 v63, v63, v119
	v_dual_min_f32 v119, v120, v123 :: v_dual_add_f32 v62, v62, v121
	s_delay_alu instid0(VALU_DEP_4) | instskip(NEXT) | instid1(VALU_DEP_1)
	v_min_f32_e32 v120, v129, v124
	v_dual_add_f32 v62, v62, v119 :: v_dual_add_f32 v63, v63, v120
	s_delay_alu instid0(VALU_DEP_1) | instskip(NEXT) | instid1(VALU_DEP_1)
	v_add_f32_e32 v62, v62, v63
	v_add_f32_e32 v62, v62, v118
	global_store_b32 v[60:61], v62, off
.LBB48_64:
	s_or_b32 exec_lo, exec_lo, s6
	v_add_nc_u32_e32 v60, 48, v48
	s_delay_alu instid0(VALU_DEP_1) | instskip(SKIP_1) | instid1(VALU_DEP_2)
	v_cmp_gt_i32_e64 s6, s16, v60
	v_ashrrev_i32_e32 v61, 31, v60
	s_and_b32 s9, s6, s8
	s_delay_alu instid0(SALU_CYCLE_1)
	s_and_saveexec_b32 s7, s9
	s_cbranch_execz .LBB48_69
; %bb.65:
	v_cmp_ne_u32_e32 vcc_lo, 1, v100
	v_lshlrev_b64 v[62:63], 2, v[60:61]
	s_cbranch_vccnz .LBB48_67
; %bb.66:
	s_delay_alu instid0(VALU_DEP_1) | instskip(NEXT) | instid1(VALU_DEP_2)
	v_add_co_u32 v118, vcc_lo, v127, v62
	v_add_co_ci_u32_e32 v119, vcc_lo, v128, v63, vcc_lo
	flat_load_b32 v118, v[118:119]
	s_waitcnt vmcnt(0) lgkmcnt(0)
	v_mul_f32_e32 v118, s15, v118
	s_branch .LBB48_68
.LBB48_67:
	v_mov_b32_e32 v118, 0
.LBB48_68:
	v_dual_max_f32 v119, v45, v45 :: v_dual_max_f32 v122, v8, v8
	v_dual_max_f32 v120, v9, v9 :: v_dual_max_f32 v121, v44, v44
	;; [unrolled: 1-line block ×3, first 2 shown]
	v_add_co_u32 v62, vcc_lo, v125, v62
	s_delay_alu instid0(VALU_DEP_3) | instskip(NEXT) | instid1(VALU_DEP_4)
	v_dual_min_f32 v119, v120, v119 :: v_dual_max_f32 v120, v10, v10
	v_min_f32_e32 v121, v122, v121
	v_add_co_ci_u32_e32 v63, vcc_lo, v126, v63, vcc_lo
	s_delay_alu instid0(VALU_DEP_3) | instskip(SKIP_3) | instid1(VALU_DEP_3)
	v_add_f32_e32 v64, v64, v119
	v_max_f32_e32 v129, v11, v11
	v_min_f32_e32 v119, v120, v123
	v_add_f32_e32 v65, v65, v121
	v_min_f32_e32 v120, v129, v124
	s_delay_alu instid0(VALU_DEP_1) | instskip(NEXT) | instid1(VALU_DEP_1)
	v_dual_add_f32 v65, v65, v119 :: v_dual_add_f32 v64, v64, v120
	v_add_f32_e32 v64, v65, v64
	s_delay_alu instid0(VALU_DEP_1)
	v_add_f32_e32 v64, v64, v118
	global_store_b32 v[62:63], v64, off
.LBB48_69:
	s_or_b32 exec_lo, exec_lo, s7
	v_add_nc_u32_e32 v62, 56, v48
	s_delay_alu instid0(VALU_DEP_1) | instskip(SKIP_1) | instid1(VALU_DEP_2)
	v_cmp_gt_i32_e64 s7, s16, v62
	v_ashrrev_i32_e32 v63, 31, v62
	s_and_b32 s9, s7, s8
	s_delay_alu instid0(SALU_CYCLE_1)
	s_and_saveexec_b32 s8, s9
	s_cbranch_execz .LBB48_74
; %bb.70:
	v_cmp_ne_u32_e32 vcc_lo, 1, v100
	v_lshlrev_b64 v[64:65], 2, v[62:63]
	s_cbranch_vccnz .LBB48_72
; %bb.71:
	s_delay_alu instid0(VALU_DEP_1) | instskip(NEXT) | instid1(VALU_DEP_2)
	v_add_co_u32 v118, vcc_lo, v127, v64
	v_add_co_ci_u32_e32 v119, vcc_lo, v128, v65, vcc_lo
	flat_load_b32 v118, v[118:119]
	s_waitcnt vmcnt(0) lgkmcnt(0)
	v_mul_f32_e32 v118, s15, v118
	s_branch .LBB48_73
.LBB48_72:
	v_mov_b32_e32 v118, 0
.LBB48_73:
	v_dual_max_f32 v45, v45, v45 :: v_dual_max_f32 v44, v44, v44
	v_dual_max_f32 v119, v1, v1 :: v_dual_max_f32 v120, v0, v0
	s_delay_alu instid0(VALU_DEP_1) | instskip(NEXT) | instid1(VALU_DEP_2)
	v_dual_max_f32 v46, v46, v46 :: v_dual_min_f32 v45, v119, v45
	v_dual_max_f32 v119, v2, v2 :: v_dual_min_f32 v44, v120, v44
	v_max_f32_e32 v47, v47, v47
	s_delay_alu instid0(VALU_DEP_2) | instskip(NEXT) | instid1(VALU_DEP_3)
	v_dual_add_f32 v45, v115, v45 :: v_dual_add_f32 v44, v116, v44
	v_min_f32_e32 v46, v119, v46
	s_delay_alu instid0(VALU_DEP_1) | instskip(NEXT) | instid1(VALU_DEP_1)
	v_dual_max_f32 v121, v3, v3 :: v_dual_add_f32 v44, v44, v46
	v_min_f32_e32 v47, v121, v47
	s_delay_alu instid0(VALU_DEP_1) | instskip(NEXT) | instid1(VALU_DEP_1)
	v_add_f32_e32 v45, v45, v47
	v_add_f32_e32 v44, v44, v45
	s_delay_alu instid0(VALU_DEP_1)
	v_add_f32_e32 v46, v44, v118
	v_add_co_u32 v44, vcc_lo, v125, v64
	v_add_co_ci_u32_e32 v45, vcc_lo, v126, v65, vcc_lo
	global_store_b32 v[44:45], v46, off
.LBB48_74:
	s_or_b32 exec_lo, exec_lo, s8
	v_add_nc_u32_e32 v64, 32, v117
	s_delay_alu instid0(VALU_DEP_1) | instskip(SKIP_2) | instid1(VALU_DEP_3)
	v_mad_i64_i32 v[44:45], null, v64, s13, 0
	v_mad_i64_i32 v[46:47], null, v64, s12, 0
	v_cmp_gt_i32_e64 s8, s17, v64
	v_lshlrev_b64 v[44:45], 2, v[44:45]
	s_delay_alu instid0(VALU_DEP_2) | instskip(NEXT) | instid1(VALU_DEP_3)
	s_and_b32 s16, s0, s8
	v_lshlrev_b64 v[46:47], 2, v[46:47]
	s_delay_alu instid0(VALU_DEP_2) | instskip(NEXT) | instid1(VALU_DEP_3)
	v_add_co_u32 v64, vcc_lo, s10, v44
	v_add_co_ci_u32_e32 v65, vcc_lo, s11, v45, vcc_lo
	s_delay_alu instid0(VALU_DEP_3) | instskip(NEXT) | instid1(VALU_DEP_4)
	v_add_co_u32 v46, vcc_lo, s14, v46
	v_add_co_ci_u32_e32 v47, vcc_lo, s18, v47, vcc_lo
	s_and_saveexec_b32 s9, s16
	s_cbranch_execnz .LBB48_82
; %bb.75:
	s_or_b32 exec_lo, exec_lo, s9
	s_and_b32 s16, s1, s8
	s_delay_alu instid0(SALU_CYCLE_1)
	s_and_saveexec_b32 s9, s16
	s_cbranch_execnz .LBB48_86
.LBB48_76:
	s_or_b32 exec_lo, exec_lo, s9
	s_and_b32 s16, s2, s8
	s_delay_alu instid0(SALU_CYCLE_1)
	s_and_saveexec_b32 s9, s16
	s_cbranch_execnz .LBB48_90
.LBB48_77:
	s_or_b32 exec_lo, exec_lo, s9
	s_and_b32 s16, s3, s8
	s_delay_alu instid0(SALU_CYCLE_1)
	s_and_saveexec_b32 s9, s16
	s_cbranch_execnz .LBB48_94
.LBB48_78:
	s_or_b32 exec_lo, exec_lo, s9
	s_and_b32 s16, s4, s8
	s_delay_alu instid0(SALU_CYCLE_1)
	s_and_saveexec_b32 s9, s16
	s_cbranch_execnz .LBB48_98
.LBB48_79:
	s_or_b32 exec_lo, exec_lo, s9
	s_and_b32 s16, s5, s8
	s_delay_alu instid0(SALU_CYCLE_1)
	s_and_saveexec_b32 s9, s16
	s_cbranch_execnz .LBB48_102
.LBB48_80:
	s_or_b32 exec_lo, exec_lo, s9
	s_and_b32 s16, s6, s8
	s_delay_alu instid0(SALU_CYCLE_1)
	s_and_saveexec_b32 s9, s16
	s_cbranch_execnz .LBB48_106
.LBB48_81:
	s_or_b32 exec_lo, exec_lo, s9
	s_and_b32 s9, s7, s8
	s_delay_alu instid0(SALU_CYCLE_1)
	s_and_saveexec_b32 s8, s9
	s_cbranch_execnz .LBB48_110
	s_branch .LBB48_114
.LBB48_82:
	v_cmp_ne_u32_e32 vcc_lo, 1, v100
	v_lshlrev_b64 v[44:45], 2, v[48:49]
	s_cbranch_vccnz .LBB48_84
; %bb.83:
	s_delay_alu instid0(VALU_DEP_1) | instskip(NEXT) | instid1(VALU_DEP_2)
	v_add_co_u32 v115, vcc_lo, v64, v44
	v_add_co_ci_u32_e32 v116, vcc_lo, v65, v45, vcc_lo
	flat_load_b32 v115, v[115:116]
	s_waitcnt vmcnt(0) lgkmcnt(0)
	v_mul_f32_e32 v115, s15, v115
	s_branch .LBB48_85
.LBB48_84:
	v_mov_b32_e32 v115, 0
.LBB48_85:
	v_dual_max_f32 v116, v41, v41 :: v_dual_max_f32 v119, v40, v40
	v_dual_max_f32 v118, v33, v33 :: v_dual_max_f32 v121, v42, v42
	;; [unrolled: 1-line block ×3, first 2 shown]
	v_add_co_u32 v44, vcc_lo, v46, v44
	s_delay_alu instid0(VALU_DEP_2) | instskip(SKIP_2) | instid1(VALU_DEP_3)
	v_dual_min_f32 v116, v118, v116 :: v_dual_min_f32 v119, v120, v119
	v_max_f32_e32 v118, v34, v34
	v_add_co_ci_u32_e32 v45, vcc_lo, v47, v45, vcc_lo
	v_dual_add_f32 v114, v114, v116 :: v_dual_add_f32 v113, v113, v119
	s_delay_alu instid0(VALU_DEP_3) | instskip(NEXT) | instid1(VALU_DEP_1)
	v_min_f32_e32 v116, v118, v121
	v_dual_max_f32 v122, v43, v43 :: v_dual_add_f32 v113, v113, v116
	s_delay_alu instid0(VALU_DEP_1) | instskip(NEXT) | instid1(VALU_DEP_1)
	v_min_f32_e32 v118, v123, v122
	v_add_f32_e32 v114, v114, v118
	s_delay_alu instid0(VALU_DEP_1) | instskip(NEXT) | instid1(VALU_DEP_1)
	v_add_f32_e32 v113, v113, v114
	v_add_f32_e32 v113, v113, v115
	global_store_b32 v[44:45], v113, off
	s_or_b32 exec_lo, exec_lo, s9
	s_and_b32 s16, s1, s8
	s_delay_alu instid0(SALU_CYCLE_1)
	s_and_saveexec_b32 s9, s16
	s_cbranch_execz .LBB48_76
.LBB48_86:
	v_cmp_ne_u32_e32 vcc_lo, 1, v100
	v_lshlrev_b64 v[44:45], 2, v[50:51]
	s_cbranch_vccnz .LBB48_88
; %bb.87:
	s_delay_alu instid0(VALU_DEP_1) | instskip(NEXT) | instid1(VALU_DEP_2)
	v_add_co_u32 v113, vcc_lo, v64, v44
	v_add_co_ci_u32_e32 v114, vcc_lo, v65, v45, vcc_lo
	flat_load_b32 v113, v[113:114]
	s_waitcnt vmcnt(0) lgkmcnt(0)
	v_mul_f32_e32 v113, s15, v113
	s_branch .LBB48_89
.LBB48_88:
	v_mov_b32_e32 v113, 0
.LBB48_89:
	v_dual_max_f32 v114, v41, v41 :: v_dual_max_f32 v119, v42, v42
	v_dual_max_f32 v115, v29, v29 :: v_dual_max_f32 v116, v40, v40
	v_max_f32_e32 v118, v28, v28
	v_max_f32_e32 v120, v43, v43
	;; [unrolled: 1-line block ×3, first 2 shown]
	s_delay_alu instid0(VALU_DEP_4) | instskip(SKIP_3) | instid1(VALU_DEP_4)
	v_min_f32_e32 v114, v115, v114
	v_max_f32_e32 v115, v30, v30
	v_min_f32_e32 v116, v118, v116
	v_add_co_u32 v44, vcc_lo, v46, v44
	v_add_f32_e32 v111, v111, v114
	s_delay_alu instid0(VALU_DEP_4) | instskip(NEXT) | instid1(VALU_DEP_4)
	v_min_f32_e32 v114, v115, v119
	v_add_f32_e32 v112, v112, v116
	v_min_f32_e32 v115, v121, v120
	v_add_co_ci_u32_e32 v45, vcc_lo, v47, v45, vcc_lo
	s_delay_alu instid0(VALU_DEP_2) | instskip(NEXT) | instid1(VALU_DEP_1)
	v_dual_add_f32 v112, v112, v114 :: v_dual_add_f32 v111, v111, v115
	v_add_f32_e32 v111, v112, v111
	s_delay_alu instid0(VALU_DEP_1) | instskip(SKIP_3) | instid1(SALU_CYCLE_1)
	v_add_f32_e32 v111, v111, v113
	global_store_b32 v[44:45], v111, off
	s_or_b32 exec_lo, exec_lo, s9
	s_and_b32 s16, s2, s8
	s_and_saveexec_b32 s9, s16
	s_cbranch_execz .LBB48_77
.LBB48_90:
	v_cmp_ne_u32_e32 vcc_lo, 1, v100
	v_lshlrev_b64 v[44:45], 2, v[52:53]
	s_cbranch_vccnz .LBB48_92
; %bb.91:
	s_delay_alu instid0(VALU_DEP_1) | instskip(NEXT) | instid1(VALU_DEP_2)
	v_add_co_u32 v111, vcc_lo, v64, v44
	v_add_co_ci_u32_e32 v112, vcc_lo, v65, v45, vcc_lo
	flat_load_b32 v111, v[111:112]
	s_waitcnt vmcnt(0) lgkmcnt(0)
	v_mul_f32_e32 v111, s15, v111
	s_branch .LBB48_93
.LBB48_92:
	v_mov_b32_e32 v111, 0
.LBB48_93:
	v_dual_max_f32 v112, v41, v41 :: v_dual_max_f32 v115, v24, v24
	v_dual_max_f32 v113, v25, v25 :: v_dual_max_f32 v114, v40, v40
	;; [unrolled: 1-line block ×3, first 2 shown]
	v_add_co_u32 v44, vcc_lo, v46, v44
	s_delay_alu instid0(VALU_DEP_3) | instskip(SKIP_1) | instid1(VALU_DEP_2)
	v_dual_min_f32 v112, v113, v112 :: v_dual_max_f32 v113, v26, v26
	v_add_co_ci_u32_e32 v45, vcc_lo, v47, v45, vcc_lo
	v_add_f32_e32 v110, v110, v112
	s_delay_alu instid0(VALU_DEP_3) | instskip(SKIP_1) | instid1(VALU_DEP_1)
	v_min_f32_e32 v112, v113, v116
	v_min_f32_e32 v114, v115, v114
	v_dual_max_f32 v118, v43, v43 :: v_dual_add_f32 v109, v109, v114
	s_delay_alu instid0(VALU_DEP_1) | instskip(NEXT) | instid1(VALU_DEP_1)
	v_min_f32_e32 v113, v119, v118
	v_dual_add_f32 v109, v109, v112 :: v_dual_add_f32 v110, v110, v113
	s_delay_alu instid0(VALU_DEP_1) | instskip(NEXT) | instid1(VALU_DEP_1)
	v_add_f32_e32 v109, v109, v110
	v_add_f32_e32 v109, v109, v111
	global_store_b32 v[44:45], v109, off
	s_or_b32 exec_lo, exec_lo, s9
	s_and_b32 s16, s3, s8
	s_delay_alu instid0(SALU_CYCLE_1)
	s_and_saveexec_b32 s9, s16
	s_cbranch_execz .LBB48_78
.LBB48_94:
	v_cmp_ne_u32_e32 vcc_lo, 1, v100
	v_lshlrev_b64 v[44:45], 2, v[54:55]
	s_cbranch_vccnz .LBB48_96
; %bb.95:
	s_delay_alu instid0(VALU_DEP_1) | instskip(NEXT) | instid1(VALU_DEP_2)
	v_add_co_u32 v109, vcc_lo, v64, v44
	v_add_co_ci_u32_e32 v110, vcc_lo, v65, v45, vcc_lo
	flat_load_b32 v109, v[109:110]
	s_waitcnt vmcnt(0) lgkmcnt(0)
	v_mul_f32_e32 v109, s15, v109
	s_branch .LBB48_97
.LBB48_96:
	v_mov_b32_e32 v109, 0
.LBB48_97:
	v_dual_max_f32 v110, v41, v41 :: v_dual_max_f32 v113, v20, v20
	v_dual_max_f32 v111, v21, v21 :: v_dual_max_f32 v112, v40, v40
	;; [unrolled: 1-line block ×3, first 2 shown]
	v_max_f32_e32 v116, v23, v23
	s_delay_alu instid0(VALU_DEP_3) | instskip(NEXT) | instid1(VALU_DEP_4)
	v_min_f32_e32 v110, v111, v110
	v_dual_max_f32 v111, v22, v22 :: v_dual_min_f32 v112, v113, v112
	v_add_co_u32 v44, vcc_lo, v46, v44
	s_delay_alu instid0(VALU_DEP_3) | instskip(NEXT) | instid1(VALU_DEP_3)
	v_add_f32_e32 v107, v107, v110
	v_dual_min_f32 v110, v111, v114 :: v_dual_min_f32 v111, v116, v115
	s_delay_alu instid0(VALU_DEP_4) | instskip(SKIP_1) | instid1(VALU_DEP_2)
	v_add_f32_e32 v108, v108, v112
	v_add_co_ci_u32_e32 v45, vcc_lo, v47, v45, vcc_lo
	v_dual_add_f32 v107, v107, v111 :: v_dual_add_f32 v108, v108, v110
	s_delay_alu instid0(VALU_DEP_1) | instskip(NEXT) | instid1(VALU_DEP_1)
	v_add_f32_e32 v107, v108, v107
	v_add_f32_e32 v107, v107, v109
	global_store_b32 v[44:45], v107, off
	s_or_b32 exec_lo, exec_lo, s9
	s_and_b32 s16, s4, s8
	s_delay_alu instid0(SALU_CYCLE_1)
	s_and_saveexec_b32 s9, s16
	s_cbranch_execz .LBB48_79
.LBB48_98:
	v_cmp_ne_u32_e32 vcc_lo, 1, v100
	v_lshlrev_b64 v[44:45], 2, v[56:57]
	s_cbranch_vccnz .LBB48_100
; %bb.99:
	s_delay_alu instid0(VALU_DEP_1) | instskip(NEXT) | instid1(VALU_DEP_2)
	v_add_co_u32 v107, vcc_lo, v64, v44
	v_add_co_ci_u32_e32 v108, vcc_lo, v65, v45, vcc_lo
	flat_load_b32 v107, v[107:108]
	s_waitcnt vmcnt(0) lgkmcnt(0)
	v_mul_f32_e32 v107, s15, v107
	s_branch .LBB48_101
.LBB48_100:
	v_mov_b32_e32 v107, 0
.LBB48_101:
	v_dual_max_f32 v108, v41, v41 :: v_dual_max_f32 v111, v16, v16
	v_dual_max_f32 v109, v17, v17 :: v_dual_max_f32 v110, v40, v40
	;; [unrolled: 1-line block ×3, first 2 shown]
	v_add_co_u32 v44, vcc_lo, v46, v44
	s_delay_alu instid0(VALU_DEP_3) | instskip(SKIP_2) | instid1(VALU_DEP_3)
	v_dual_min_f32 v108, v109, v108 :: v_dual_max_f32 v109, v18, v18
	v_max_f32_e32 v114, v19, v19
	v_add_co_ci_u32_e32 v45, vcc_lo, v47, v45, vcc_lo
	v_dual_add_f32 v105, v105, v108 :: v_dual_min_f32 v110, v111, v110
	s_delay_alu instid0(VALU_DEP_3) | instskip(NEXT) | instid1(VALU_DEP_1)
	v_dual_min_f32 v108, v109, v112 :: v_dual_min_f32 v109, v114, v113
	v_dual_add_f32 v106, v106, v110 :: v_dual_add_f32 v105, v105, v109
	s_delay_alu instid0(VALU_DEP_1) | instskip(NEXT) | instid1(VALU_DEP_1)
	v_add_f32_e32 v106, v106, v108
	v_add_f32_e32 v105, v106, v105
	s_delay_alu instid0(VALU_DEP_1) | instskip(SKIP_3) | instid1(SALU_CYCLE_1)
	v_add_f32_e32 v105, v105, v107
	global_store_b32 v[44:45], v105, off
	s_or_b32 exec_lo, exec_lo, s9
	s_and_b32 s16, s5, s8
	s_and_saveexec_b32 s9, s16
	s_cbranch_execz .LBB48_80
.LBB48_102:
	v_cmp_ne_u32_e32 vcc_lo, 1, v100
	v_lshlrev_b64 v[44:45], 2, v[58:59]
	s_cbranch_vccnz .LBB48_104
; %bb.103:
	s_delay_alu instid0(VALU_DEP_1) | instskip(NEXT) | instid1(VALU_DEP_2)
	v_add_co_u32 v105, vcc_lo, v64, v44
	v_add_co_ci_u32_e32 v106, vcc_lo, v65, v45, vcc_lo
	flat_load_b32 v105, v[105:106]
	s_waitcnt vmcnt(0) lgkmcnt(0)
	v_mul_f32_e32 v105, s15, v105
	s_branch .LBB48_105
.LBB48_104:
	v_mov_b32_e32 v105, 0
.LBB48_105:
	v_dual_max_f32 v106, v41, v41 :: v_dual_max_f32 v109, v12, v12
	v_dual_max_f32 v107, v13, v13 :: v_dual_max_f32 v108, v40, v40
	;; [unrolled: 1-line block ×3, first 2 shown]
	v_max_f32_e32 v112, v15, v15
	s_delay_alu instid0(VALU_DEP_3) | instskip(NEXT) | instid1(VALU_DEP_4)
	v_min_f32_e32 v106, v107, v106
	v_dual_max_f32 v107, v14, v14 :: v_dual_min_f32 v108, v109, v108
	v_add_co_u32 v44, vcc_lo, v46, v44
	s_delay_alu instid0(VALU_DEP_3) | instskip(NEXT) | instid1(VALU_DEP_3)
	v_add_f32_e32 v104, v104, v106
	v_min_f32_e32 v106, v107, v110
	s_delay_alu instid0(VALU_DEP_4) | instskip(SKIP_2) | instid1(VALU_DEP_2)
	v_add_f32_e32 v103, v103, v108
	v_min_f32_e32 v107, v112, v111
	v_add_co_ci_u32_e32 v45, vcc_lo, v47, v45, vcc_lo
	v_dual_add_f32 v103, v103, v106 :: v_dual_add_f32 v104, v104, v107
	s_delay_alu instid0(VALU_DEP_1) | instskip(NEXT) | instid1(VALU_DEP_1)
	v_add_f32_e32 v103, v103, v104
	v_add_f32_e32 v103, v103, v105
	global_store_b32 v[44:45], v103, off
	s_or_b32 exec_lo, exec_lo, s9
	s_and_b32 s16, s6, s8
	s_delay_alu instid0(SALU_CYCLE_1)
	s_and_saveexec_b32 s9, s16
	s_cbranch_execz .LBB48_81
.LBB48_106:
	v_cmp_ne_u32_e32 vcc_lo, 1, v100
	v_lshlrev_b64 v[44:45], 2, v[60:61]
	s_cbranch_vccnz .LBB48_108
; %bb.107:
	s_delay_alu instid0(VALU_DEP_1) | instskip(NEXT) | instid1(VALU_DEP_2)
	v_add_co_u32 v103, vcc_lo, v64, v44
	v_add_co_ci_u32_e32 v104, vcc_lo, v65, v45, vcc_lo
	flat_load_b32 v103, v[103:104]
	s_waitcnt vmcnt(0) lgkmcnt(0)
	v_mul_f32_e32 v103, s15, v103
	s_branch .LBB48_109
.LBB48_108:
	v_mov_b32_e32 v103, 0
.LBB48_109:
	v_dual_max_f32 v104, v41, v41 :: v_dual_max_f32 v107, v8, v8
	v_dual_max_f32 v105, v9, v9 :: v_dual_max_f32 v106, v40, v40
	;; [unrolled: 1-line block ×3, first 2 shown]
	v_add_co_u32 v44, vcc_lo, v46, v44
	s_delay_alu instid0(VALU_DEP_3) | instskip(SKIP_2) | instid1(VALU_DEP_3)
	v_dual_min_f32 v104, v105, v104 :: v_dual_max_f32 v105, v10, v10
	v_max_f32_e32 v110, v11, v11
	v_add_co_ci_u32_e32 v45, vcc_lo, v47, v45, vcc_lo
	v_dual_add_f32 v101, v101, v104 :: v_dual_min_f32 v106, v107, v106
	s_delay_alu instid0(VALU_DEP_3) | instskip(NEXT) | instid1(VALU_DEP_1)
	v_dual_min_f32 v104, v105, v108 :: v_dual_min_f32 v105, v110, v109
	v_dual_add_f32 v102, v102, v106 :: v_dual_add_f32 v101, v101, v105
	s_delay_alu instid0(VALU_DEP_1) | instskip(NEXT) | instid1(VALU_DEP_1)
	v_add_f32_e32 v102, v102, v104
	v_add_f32_e32 v101, v102, v101
	s_delay_alu instid0(VALU_DEP_1) | instskip(SKIP_3) | instid1(SALU_CYCLE_1)
	v_add_f32_e32 v101, v101, v103
	global_store_b32 v[44:45], v101, off
	s_or_b32 exec_lo, exec_lo, s9
	s_and_b32 s9, s7, s8
	s_and_saveexec_b32 s8, s9
	s_cbranch_execz .LBB48_114
.LBB48_110:
	v_cmp_ne_u32_e32 vcc_lo, 1, v100
	v_lshlrev_b64 v[44:45], 2, v[62:63]
	s_cbranch_vccnz .LBB48_112
; %bb.111:
	s_delay_alu instid0(VALU_DEP_1) | instskip(NEXT) | instid1(VALU_DEP_2)
	v_add_co_u32 v64, vcc_lo, v64, v44
	v_add_co_ci_u32_e32 v65, vcc_lo, v65, v45, vcc_lo
	flat_load_b32 v64, v[64:65]
	s_waitcnt vmcnt(0) lgkmcnt(0)
	v_mul_f32_e32 v64, s15, v64
	s_branch .LBB48_113
.LBB48_112:
	v_mov_b32_e32 v64, 0
.LBB48_113:
	v_dual_max_f32 v41, v41, v41 :: v_dual_max_f32 v40, v40, v40
	v_dual_max_f32 v65, v1, v1 :: v_dual_max_f32 v42, v42, v42
	;; [unrolled: 1-line block ×3, first 2 shown]
	s_delay_alu instid0(VALU_DEP_1) | instskip(NEXT) | instid1(VALU_DEP_1)
	v_dual_max_f32 v43, v43, v43 :: v_dual_min_f32 v40, v101, v40
	v_dual_min_f32 v41, v65, v41 :: v_dual_add_f32 v40, v98, v40
	s_delay_alu instid0(VALU_DEP_1) | instskip(NEXT) | instid1(VALU_DEP_3)
	v_add_f32_e32 v41, v99, v41
	v_min_f32_e32 v43, v102, v43
	s_delay_alu instid0(VALU_DEP_1) | instskip(SKIP_1) | instid1(VALU_DEP_1)
	v_add_f32_e32 v41, v41, v43
	v_max_f32_e32 v65, v2, v2
	v_min_f32_e32 v42, v65, v42
	s_delay_alu instid0(VALU_DEP_1) | instskip(NEXT) | instid1(VALU_DEP_1)
	v_add_f32_e32 v40, v40, v42
	v_add_f32_e32 v40, v40, v41
	s_delay_alu instid0(VALU_DEP_1)
	v_add_f32_e32 v42, v40, v64
	v_add_co_u32 v40, vcc_lo, v46, v44
	v_add_co_ci_u32_e32 v41, vcc_lo, v47, v45, vcc_lo
	global_store_b32 v[40:41], v42, off
.LBB48_114:
	s_or_b32 exec_lo, exec_lo, s8
	v_add_nc_u32_e32 v44, 64, v117
	s_delay_alu instid0(VALU_DEP_1) | instskip(SKIP_2) | instid1(VALU_DEP_3)
	v_mad_i64_i32 v[40:41], null, v44, s13, 0
	v_mad_i64_i32 v[42:43], null, v44, s12, 0
	v_cmp_gt_i32_e64 s8, s17, v44
	v_lshlrev_b64 v[40:41], 2, v[40:41]
	s_delay_alu instid0(VALU_DEP_2) | instskip(NEXT) | instid1(VALU_DEP_3)
	s_and_b32 s16, s0, s8
	v_lshlrev_b64 v[42:43], 2, v[42:43]
	s_delay_alu instid0(VALU_DEP_2) | instskip(NEXT) | instid1(VALU_DEP_3)
	v_add_co_u32 v44, vcc_lo, s10, v40
	v_add_co_ci_u32_e32 v45, vcc_lo, s11, v41, vcc_lo
	s_delay_alu instid0(VALU_DEP_3) | instskip(NEXT) | instid1(VALU_DEP_4)
	v_add_co_u32 v42, vcc_lo, s14, v42
	v_add_co_ci_u32_e32 v43, vcc_lo, s18, v43, vcc_lo
	s_and_saveexec_b32 s9, s16
	s_cbranch_execnz .LBB48_122
; %bb.115:
	s_or_b32 exec_lo, exec_lo, s9
	s_and_b32 s16, s1, s8
	s_delay_alu instid0(SALU_CYCLE_1)
	s_and_saveexec_b32 s9, s16
	s_cbranch_execnz .LBB48_126
.LBB48_116:
	s_or_b32 exec_lo, exec_lo, s9
	s_and_b32 s16, s2, s8
	s_delay_alu instid0(SALU_CYCLE_1)
	s_and_saveexec_b32 s9, s16
	s_cbranch_execnz .LBB48_130
.LBB48_117:
	s_or_b32 exec_lo, exec_lo, s9
	s_and_b32 s16, s3, s8
	s_delay_alu instid0(SALU_CYCLE_1)
	s_and_saveexec_b32 s9, s16
	s_cbranch_execnz .LBB48_134
.LBB48_118:
	s_or_b32 exec_lo, exec_lo, s9
	s_and_b32 s16, s4, s8
	s_delay_alu instid0(SALU_CYCLE_1)
	s_and_saveexec_b32 s9, s16
	s_cbranch_execnz .LBB48_138
.LBB48_119:
	s_or_b32 exec_lo, exec_lo, s9
	s_and_b32 s16, s5, s8
	s_delay_alu instid0(SALU_CYCLE_1)
	s_and_saveexec_b32 s9, s16
	s_cbranch_execnz .LBB48_142
.LBB48_120:
	s_or_b32 exec_lo, exec_lo, s9
	s_and_b32 s16, s6, s8
	s_delay_alu instid0(SALU_CYCLE_1)
	s_and_saveexec_b32 s9, s16
	s_cbranch_execnz .LBB48_146
.LBB48_121:
	s_or_b32 exec_lo, exec_lo, s9
	s_and_b32 s9, s7, s8
	s_delay_alu instid0(SALU_CYCLE_1)
	s_and_saveexec_b32 s8, s9
	s_cbranch_execnz .LBB48_150
	s_branch .LBB48_154
.LBB48_122:
	v_cmp_ne_u32_e32 vcc_lo, 1, v100
	v_lshlrev_b64 v[40:41], 2, v[48:49]
	s_cbranch_vccnz .LBB48_124
; %bb.123:
	s_delay_alu instid0(VALU_DEP_1) | instskip(NEXT) | instid1(VALU_DEP_2)
	v_add_co_u32 v46, vcc_lo, v44, v40
	v_add_co_ci_u32_e32 v47, vcc_lo, v45, v41, vcc_lo
	flat_load_b32 v46, v[46:47]
	s_waitcnt vmcnt(0) lgkmcnt(0)
	v_mul_f32_e32 v46, s15, v46
	s_branch .LBB48_125
.LBB48_124:
	v_mov_b32_e32 v46, 0
.LBB48_125:
	v_dual_max_f32 v47, v37, v37 :: v_dual_max_f32 v98, v32, v32
	v_dual_max_f32 v64, v33, v33 :: v_dual_max_f32 v65, v36, v36
	;; [unrolled: 1-line block ×3, first 2 shown]
	v_add_co_u32 v40, vcc_lo, v42, v40
	s_delay_alu instid0(VALU_DEP_3) | instskip(NEXT) | instid1(VALU_DEP_4)
	v_dual_min_f32 v47, v64, v47 :: v_dual_max_f32 v64, v34, v34
	v_min_f32_e32 v65, v98, v65
	v_add_co_ci_u32_e32 v41, vcc_lo, v43, v41, vcc_lo
	s_delay_alu instid0(VALU_DEP_3) | instskip(NEXT) | instid1(VALU_DEP_4)
	v_add_f32_e32 v47, v97, v47
	v_min_f32_e32 v64, v64, v99
	s_delay_alu instid0(VALU_DEP_4) | instskip(NEXT) | instid1(VALU_DEP_1)
	v_add_f32_e32 v65, v96, v65
	v_dual_max_f32 v101, v39, v39 :: v_dual_add_f32 v64, v65, v64
	s_delay_alu instid0(VALU_DEP_1) | instskip(NEXT) | instid1(VALU_DEP_1)
	v_min_f32_e32 v97, v102, v101
	v_add_f32_e32 v47, v47, v97
	s_delay_alu instid0(VALU_DEP_1) | instskip(NEXT) | instid1(VALU_DEP_1)
	v_add_f32_e32 v47, v64, v47
	v_add_f32_e32 v46, v47, v46
	global_store_b32 v[40:41], v46, off
	s_or_b32 exec_lo, exec_lo, s9
	s_and_b32 s16, s1, s8
	s_delay_alu instid0(SALU_CYCLE_1)
	s_and_saveexec_b32 s9, s16
	s_cbranch_execz .LBB48_116
.LBB48_126:
	v_cmp_ne_u32_e32 vcc_lo, 1, v100
	v_lshlrev_b64 v[40:41], 2, v[50:51]
	s_cbranch_vccnz .LBB48_128
; %bb.127:
	s_delay_alu instid0(VALU_DEP_1) | instskip(NEXT) | instid1(VALU_DEP_2)
	v_add_co_u32 v46, vcc_lo, v44, v40
	v_add_co_ci_u32_e32 v47, vcc_lo, v45, v41, vcc_lo
	flat_load_b32 v46, v[46:47]
	s_waitcnt vmcnt(0) lgkmcnt(0)
	v_mul_f32_e32 v46, s15, v46
	s_branch .LBB48_129
.LBB48_128:
	v_mov_b32_e32 v46, 0
.LBB48_129:
	v_dual_max_f32 v47, v37, v37 :: v_dual_max_f32 v96, v28, v28
	v_dual_max_f32 v64, v29, v29 :: v_dual_max_f32 v65, v36, v36
	;; [unrolled: 1-line block ×3, first 2 shown]
	v_add_co_u32 v40, vcc_lo, v42, v40
	s_delay_alu instid0(VALU_DEP_3) | instskip(SKIP_2) | instid1(VALU_DEP_3)
	v_dual_min_f32 v47, v64, v47 :: v_dual_max_f32 v64, v30, v30
	v_max_f32_e32 v99, v31, v31
	v_add_co_ci_u32_e32 v41, vcc_lo, v43, v41, vcc_lo
	v_min_f32_e32 v64, v64, v97
	v_min_f32_e32 v65, v96, v65
	s_delay_alu instid0(VALU_DEP_4) | instskip(NEXT) | instid1(VALU_DEP_2)
	v_dual_add_f32 v47, v94, v47 :: v_dual_min_f32 v94, v99, v98
	v_add_f32_e32 v65, v95, v65
	s_delay_alu instid0(VALU_DEP_1) | instskip(NEXT) | instid1(VALU_DEP_1)
	v_dual_add_f32 v64, v65, v64 :: v_dual_add_f32 v47, v47, v94
	v_add_f32_e32 v47, v64, v47
	s_delay_alu instid0(VALU_DEP_1) | instskip(SKIP_3) | instid1(SALU_CYCLE_1)
	v_add_f32_e32 v46, v47, v46
	global_store_b32 v[40:41], v46, off
	s_or_b32 exec_lo, exec_lo, s9
	s_and_b32 s16, s2, s8
	s_and_saveexec_b32 s9, s16
	s_cbranch_execz .LBB48_117
.LBB48_130:
	v_cmp_ne_u32_e32 vcc_lo, 1, v100
	v_lshlrev_b64 v[40:41], 2, v[52:53]
	s_cbranch_vccnz .LBB48_132
; %bb.131:
	s_delay_alu instid0(VALU_DEP_1) | instskip(NEXT) | instid1(VALU_DEP_2)
	v_add_co_u32 v46, vcc_lo, v44, v40
	v_add_co_ci_u32_e32 v47, vcc_lo, v45, v41, vcc_lo
	flat_load_b32 v46, v[46:47]
	s_waitcnt vmcnt(0) lgkmcnt(0)
	v_mul_f32_e32 v46, s15, v46
	s_branch .LBB48_133
.LBB48_132:
	v_mov_b32_e32 v46, 0
.LBB48_133:
	v_dual_max_f32 v47, v37, v37 :: v_dual_max_f32 v94, v24, v24
	v_dual_max_f32 v64, v25, v25 :: v_dual_max_f32 v65, v36, v36
	v_dual_max_f32 v95, v38, v38 :: v_dual_max_f32 v96, v39, v39
	v_add_co_u32 v40, vcc_lo, v42, v40
	s_delay_alu instid0(VALU_DEP_3) | instskip(NEXT) | instid1(VALU_DEP_4)
	v_dual_min_f32 v47, v64, v47 :: v_dual_max_f32 v64, v26, v26
	v_min_f32_e32 v65, v94, v65
	v_add_co_ci_u32_e32 v41, vcc_lo, v43, v41, vcc_lo
	s_delay_alu instid0(VALU_DEP_2) | instskip(NEXT) | instid1(VALU_DEP_1)
	v_dual_min_f32 v64, v64, v95 :: v_dual_add_f32 v65, v93, v65
	v_dual_max_f32 v97, v27, v27 :: v_dual_add_f32 v64, v65, v64
	s_delay_alu instid0(VALU_DEP_1) | instskip(NEXT) | instid1(VALU_DEP_1)
	v_dual_add_f32 v47, v92, v47 :: v_dual_min_f32 v92, v97, v96
	v_add_f32_e32 v47, v47, v92
	s_delay_alu instid0(VALU_DEP_1) | instskip(NEXT) | instid1(VALU_DEP_1)
	v_add_f32_e32 v47, v64, v47
	v_add_f32_e32 v46, v47, v46
	global_store_b32 v[40:41], v46, off
	s_or_b32 exec_lo, exec_lo, s9
	s_and_b32 s16, s3, s8
	s_delay_alu instid0(SALU_CYCLE_1)
	s_and_saveexec_b32 s9, s16
	s_cbranch_execz .LBB48_118
.LBB48_134:
	v_cmp_ne_u32_e32 vcc_lo, 1, v100
	v_lshlrev_b64 v[40:41], 2, v[54:55]
	s_cbranch_vccnz .LBB48_136
; %bb.135:
	s_delay_alu instid0(VALU_DEP_1) | instskip(NEXT) | instid1(VALU_DEP_2)
	v_add_co_u32 v46, vcc_lo, v44, v40
	v_add_co_ci_u32_e32 v47, vcc_lo, v45, v41, vcc_lo
	flat_load_b32 v46, v[46:47]
	s_waitcnt vmcnt(0) lgkmcnt(0)
	v_mul_f32_e32 v46, s15, v46
	s_branch .LBB48_137
.LBB48_136:
	v_mov_b32_e32 v46, 0
.LBB48_137:
	v_dual_max_f32 v47, v37, v37 :: v_dual_max_f32 v92, v20, v20
	v_dual_max_f32 v64, v21, v21 :: v_dual_max_f32 v65, v36, v36
	v_dual_max_f32 v93, v38, v38 :: v_dual_max_f32 v94, v39, v39
	v_add_co_u32 v40, vcc_lo, v42, v40
	s_delay_alu instid0(VALU_DEP_3) | instskip(SKIP_2) | instid1(VALU_DEP_3)
	v_dual_min_f32 v47, v64, v47 :: v_dual_max_f32 v64, v22, v22
	v_max_f32_e32 v95, v23, v23
	v_add_co_ci_u32_e32 v41, vcc_lo, v43, v41, vcc_lo
	v_min_f32_e32 v64, v64, v93
	v_min_f32_e32 v65, v92, v65
	s_delay_alu instid0(VALU_DEP_4) | instskip(NEXT) | instid1(VALU_DEP_2)
	v_dual_add_f32 v47, v90, v47 :: v_dual_min_f32 v90, v95, v94
	v_add_f32_e32 v65, v91, v65
	s_delay_alu instid0(VALU_DEP_1) | instskip(NEXT) | instid1(VALU_DEP_1)
	v_dual_add_f32 v64, v65, v64 :: v_dual_add_f32 v47, v47, v90
	v_add_f32_e32 v47, v64, v47
	s_delay_alu instid0(VALU_DEP_1) | instskip(SKIP_3) | instid1(SALU_CYCLE_1)
	v_add_f32_e32 v46, v47, v46
	global_store_b32 v[40:41], v46, off
	s_or_b32 exec_lo, exec_lo, s9
	s_and_b32 s16, s4, s8
	s_and_saveexec_b32 s9, s16
	s_cbranch_execz .LBB48_119
.LBB48_138:
	v_cmp_ne_u32_e32 vcc_lo, 1, v100
	v_lshlrev_b64 v[40:41], 2, v[56:57]
	s_cbranch_vccnz .LBB48_140
; %bb.139:
	s_delay_alu instid0(VALU_DEP_1) | instskip(NEXT) | instid1(VALU_DEP_2)
	v_add_co_u32 v46, vcc_lo, v44, v40
	v_add_co_ci_u32_e32 v47, vcc_lo, v45, v41, vcc_lo
	flat_load_b32 v46, v[46:47]
	s_waitcnt vmcnt(0) lgkmcnt(0)
	v_mul_f32_e32 v46, s15, v46
	s_branch .LBB48_141
.LBB48_140:
	v_mov_b32_e32 v46, 0
.LBB48_141:
	v_dual_max_f32 v47, v37, v37 :: v_dual_max_f32 v90, v16, v16
	v_dual_max_f32 v64, v17, v17 :: v_dual_max_f32 v65, v36, v36
	;; [unrolled: 1-line block ×3, first 2 shown]
	v_add_co_u32 v40, vcc_lo, v42, v40
	s_delay_alu instid0(VALU_DEP_3) | instskip(NEXT) | instid1(VALU_DEP_4)
	v_dual_min_f32 v47, v64, v47 :: v_dual_max_f32 v64, v18, v18
	v_min_f32_e32 v65, v90, v65
	v_add_co_ci_u32_e32 v41, vcc_lo, v43, v41, vcc_lo
	s_delay_alu instid0(VALU_DEP_3) | instskip(NEXT) | instid1(VALU_DEP_4)
	v_add_f32_e32 v47, v89, v47
	v_min_f32_e32 v64, v64, v91
	s_delay_alu instid0(VALU_DEP_4) | instskip(NEXT) | instid1(VALU_DEP_1)
	v_add_f32_e32 v65, v88, v65
	v_dual_max_f32 v93, v19, v19 :: v_dual_add_f32 v64, v65, v64
	s_delay_alu instid0(VALU_DEP_1) | instskip(NEXT) | instid1(VALU_DEP_1)
	v_min_f32_e32 v89, v93, v92
	v_add_f32_e32 v47, v47, v89
	s_delay_alu instid0(VALU_DEP_1) | instskip(NEXT) | instid1(VALU_DEP_1)
	v_add_f32_e32 v47, v64, v47
	v_add_f32_e32 v46, v47, v46
	global_store_b32 v[40:41], v46, off
	s_or_b32 exec_lo, exec_lo, s9
	s_and_b32 s16, s5, s8
	s_delay_alu instid0(SALU_CYCLE_1)
	s_and_saveexec_b32 s9, s16
	s_cbranch_execz .LBB48_120
.LBB48_142:
	v_cmp_ne_u32_e32 vcc_lo, 1, v100
	v_lshlrev_b64 v[40:41], 2, v[58:59]
	s_cbranch_vccnz .LBB48_144
; %bb.143:
	s_delay_alu instid0(VALU_DEP_1) | instskip(NEXT) | instid1(VALU_DEP_2)
	v_add_co_u32 v46, vcc_lo, v44, v40
	v_add_co_ci_u32_e32 v47, vcc_lo, v45, v41, vcc_lo
	flat_load_b32 v46, v[46:47]
	s_waitcnt vmcnt(0) lgkmcnt(0)
	v_mul_f32_e32 v46, s15, v46
	s_branch .LBB48_145
.LBB48_144:
	v_mov_b32_e32 v46, 0
.LBB48_145:
	v_dual_max_f32 v47, v37, v37 :: v_dual_max_f32 v88, v12, v12
	v_dual_max_f32 v64, v13, v13 :: v_dual_max_f32 v65, v36, v36
	v_dual_max_f32 v89, v38, v38 :: v_dual_max_f32 v90, v39, v39
	v_add_co_u32 v40, vcc_lo, v42, v40
	s_delay_alu instid0(VALU_DEP_3) | instskip(SKIP_3) | instid1(VALU_DEP_4)
	v_dual_min_f32 v47, v64, v47 :: v_dual_max_f32 v64, v14, v14
	v_max_f32_e32 v91, v15, v15
	v_min_f32_e32 v65, v88, v65
	v_add_co_ci_u32_e32 v41, vcc_lo, v43, v41, vcc_lo
	v_min_f32_e32 v64, v64, v89
	s_delay_alu instid0(VALU_DEP_3) | instskip(SKIP_1) | instid1(VALU_DEP_2)
	v_add_f32_e32 v65, v86, v65
	v_add_f32_e32 v47, v87, v47
	v_dual_min_f32 v87, v91, v90 :: v_dual_add_f32 v64, v65, v64
	s_delay_alu instid0(VALU_DEP_1) | instskip(NEXT) | instid1(VALU_DEP_1)
	v_add_f32_e32 v47, v47, v87
	v_add_f32_e32 v47, v64, v47
	s_delay_alu instid0(VALU_DEP_1) | instskip(SKIP_3) | instid1(SALU_CYCLE_1)
	v_add_f32_e32 v46, v47, v46
	global_store_b32 v[40:41], v46, off
	s_or_b32 exec_lo, exec_lo, s9
	s_and_b32 s16, s6, s8
	s_and_saveexec_b32 s9, s16
	s_cbranch_execz .LBB48_121
.LBB48_146:
	v_cmp_ne_u32_e32 vcc_lo, 1, v100
	v_lshlrev_b64 v[40:41], 2, v[60:61]
	s_cbranch_vccnz .LBB48_148
; %bb.147:
	s_delay_alu instid0(VALU_DEP_1) | instskip(NEXT) | instid1(VALU_DEP_2)
	v_add_co_u32 v46, vcc_lo, v44, v40
	v_add_co_ci_u32_e32 v47, vcc_lo, v45, v41, vcc_lo
	flat_load_b32 v46, v[46:47]
	s_waitcnt vmcnt(0) lgkmcnt(0)
	v_mul_f32_e32 v46, s15, v46
	s_branch .LBB48_149
.LBB48_148:
	v_mov_b32_e32 v46, 0
.LBB48_149:
	v_dual_max_f32 v47, v37, v37 :: v_dual_max_f32 v86, v8, v8
	v_dual_max_f32 v64, v9, v9 :: v_dual_max_f32 v65, v36, v36
	;; [unrolled: 1-line block ×3, first 2 shown]
	v_add_co_u32 v40, vcc_lo, v42, v40
	s_delay_alu instid0(VALU_DEP_3) | instskip(NEXT) | instid1(VALU_DEP_4)
	v_dual_min_f32 v47, v64, v47 :: v_dual_max_f32 v64, v10, v10
	v_min_f32_e32 v65, v86, v65
	v_add_co_ci_u32_e32 v41, vcc_lo, v43, v41, vcc_lo
	s_delay_alu instid0(VALU_DEP_2) | instskip(NEXT) | instid1(VALU_DEP_1)
	v_dual_min_f32 v64, v64, v87 :: v_dual_add_f32 v65, v85, v65
	v_dual_max_f32 v89, v11, v11 :: v_dual_add_f32 v64, v65, v64
	s_delay_alu instid0(VALU_DEP_1) | instskip(NEXT) | instid1(VALU_DEP_1)
	v_dual_add_f32 v47, v84, v47 :: v_dual_min_f32 v84, v89, v88
	v_add_f32_e32 v47, v47, v84
	s_delay_alu instid0(VALU_DEP_1) | instskip(NEXT) | instid1(VALU_DEP_1)
	v_add_f32_e32 v47, v64, v47
	v_add_f32_e32 v46, v47, v46
	global_store_b32 v[40:41], v46, off
	s_or_b32 exec_lo, exec_lo, s9
	s_and_b32 s9, s7, s8
	s_delay_alu instid0(SALU_CYCLE_1)
	s_and_saveexec_b32 s8, s9
	s_cbranch_execz .LBB48_154
.LBB48_150:
	v_cmp_ne_u32_e32 vcc_lo, 1, v100
	v_lshlrev_b64 v[40:41], 2, v[62:63]
	s_cbranch_vccnz .LBB48_152
; %bb.151:
	s_delay_alu instid0(VALU_DEP_1) | instskip(NEXT) | instid1(VALU_DEP_2)
	v_add_co_u32 v44, vcc_lo, v44, v40
	v_add_co_ci_u32_e32 v45, vcc_lo, v45, v41, vcc_lo
	flat_load_b32 v44, v[44:45]
	s_waitcnt vmcnt(0) lgkmcnt(0)
	v_mul_f32_e32 v44, s15, v44
	s_branch .LBB48_153
.LBB48_152:
	v_mov_b32_e32 v44, 0
.LBB48_153:
	v_dual_max_f32 v37, v37, v37 :: v_dual_max_f32 v36, v36, v36
	v_dual_max_f32 v45, v1, v1 :: v_dual_max_f32 v46, v0, v0
	;; [unrolled: 1-line block ×3, first 2 shown]
	s_delay_alu instid0(VALU_DEP_2) | instskip(SKIP_1) | instid1(VALU_DEP_2)
	v_dual_min_f32 v37, v45, v37 :: v_dual_min_f32 v36, v46, v36
	v_max_f32_e32 v47, v3, v3
	v_dual_add_f32 v37, v83, v37 :: v_dual_add_f32 v36, v82, v36
	s_delay_alu instid0(VALU_DEP_2) | instskip(NEXT) | instid1(VALU_DEP_1)
	v_min_f32_e32 v39, v47, v39
	v_add_f32_e32 v37, v37, v39
	v_max_f32_e32 v45, v2, v2
	s_delay_alu instid0(VALU_DEP_1) | instskip(NEXT) | instid1(VALU_DEP_1)
	v_min_f32_e32 v38, v45, v38
	v_add_f32_e32 v36, v36, v38
	s_delay_alu instid0(VALU_DEP_1) | instskip(NEXT) | instid1(VALU_DEP_1)
	v_add_f32_e32 v36, v36, v37
	v_add_f32_e32 v38, v36, v44
	v_add_co_u32 v36, vcc_lo, v42, v40
	v_add_co_ci_u32_e32 v37, vcc_lo, v43, v41, vcc_lo
	global_store_b32 v[36:37], v38, off
.LBB48_154:
	s_or_b32 exec_lo, exec_lo, s8
	v_add_nc_u32_e32 v40, 0x60, v117
	s_delay_alu instid0(VALU_DEP_1) | instskip(SKIP_2) | instid1(VALU_DEP_3)
	v_mad_i64_i32 v[36:37], null, v40, s13, 0
	v_mad_i64_i32 v[38:39], null, v40, s12, 0
	v_cmp_gt_i32_e64 s8, s17, v40
	v_lshlrev_b64 v[36:37], 2, v[36:37]
	s_delay_alu instid0(VALU_DEP_2) | instskip(NEXT) | instid1(VALU_DEP_3)
	s_and_b32 s9, s0, s8
	v_lshlrev_b64 v[38:39], 2, v[38:39]
	s_delay_alu instid0(VALU_DEP_2) | instskip(NEXT) | instid1(VALU_DEP_3)
	v_add_co_u32 v40, vcc_lo, s10, v36
	v_add_co_ci_u32_e32 v41, vcc_lo, s11, v37, vcc_lo
	s_delay_alu instid0(VALU_DEP_3) | instskip(NEXT) | instid1(VALU_DEP_4)
	v_add_co_u32 v38, vcc_lo, s14, v38
	v_add_co_ci_u32_e32 v39, vcc_lo, s18, v39, vcc_lo
	s_and_saveexec_b32 s0, s9
	s_cbranch_execnz .LBB48_163
; %bb.155:
	s_or_b32 exec_lo, exec_lo, s0
	s_and_b32 s1, s1, s8
	s_delay_alu instid0(SALU_CYCLE_1)
	s_and_saveexec_b32 s0, s1
	s_cbranch_execnz .LBB48_167
.LBB48_156:
	s_or_b32 exec_lo, exec_lo, s0
	s_and_b32 s1, s2, s8
	s_delay_alu instid0(SALU_CYCLE_1)
	s_and_saveexec_b32 s0, s1
	s_cbranch_execnz .LBB48_171
.LBB48_157:
	s_or_b32 exec_lo, exec_lo, s0
	s_and_b32 s1, s3, s8
	s_delay_alu instid0(SALU_CYCLE_1)
	s_and_saveexec_b32 s0, s1
	s_cbranch_execnz .LBB48_175
.LBB48_158:
	s_or_b32 exec_lo, exec_lo, s0
	s_and_b32 s1, s4, s8
	s_delay_alu instid0(SALU_CYCLE_1)
	s_and_saveexec_b32 s0, s1
	s_cbranch_execnz .LBB48_179
.LBB48_159:
	s_or_b32 exec_lo, exec_lo, s0
	s_and_b32 s1, s5, s8
	s_delay_alu instid0(SALU_CYCLE_1)
	s_and_saveexec_b32 s0, s1
	s_cbranch_execnz .LBB48_183
.LBB48_160:
	s_or_b32 exec_lo, exec_lo, s0
	s_and_b32 s1, s6, s8
	s_delay_alu instid0(SALU_CYCLE_1)
	s_and_saveexec_b32 s0, s1
	s_cbranch_execnz .LBB48_187
.LBB48_161:
	s_or_b32 exec_lo, exec_lo, s0
	s_and_b32 s0, s7, s8
	s_delay_alu instid0(SALU_CYCLE_1)
	s_and_saveexec_b32 s1, s0
	s_cbranch_execnz .LBB48_191
.LBB48_162:
	s_nop 0
	s_sendmsg sendmsg(MSG_DEALLOC_VGPRS)
	s_endpgm
.LBB48_163:
	v_cmp_ne_u32_e32 vcc_lo, 1, v100
	v_lshlrev_b64 v[36:37], 2, v[48:49]
	s_cbranch_vccnz .LBB48_165
; %bb.164:
	s_delay_alu instid0(VALU_DEP_1) | instskip(NEXT) | instid1(VALU_DEP_2)
	v_add_co_u32 v42, vcc_lo, v40, v36
	v_add_co_ci_u32_e32 v43, vcc_lo, v41, v37, vcc_lo
	flat_load_b32 v42, v[42:43]
	s_waitcnt vmcnt(0) lgkmcnt(0)
	v_mul_f32_e32 v42, s15, v42
	s_branch .LBB48_166
.LBB48_165:
	v_mov_b32_e32 v42, 0
.LBB48_166:
	v_dual_max_f32 v43, v5, v5 :: v_dual_max_f32 v44, v4, v4
	v_dual_max_f32 v33, v33, v33 :: v_dual_max_f32 v32, v32, v32
	v_max_f32_e32 v45, v6, v6
	s_delay_alu instid0(VALU_DEP_2) | instskip(NEXT) | instid1(VALU_DEP_3)
	v_dual_max_f32 v34, v34, v34 :: v_dual_min_f32 v33, v33, v43
	v_dual_min_f32 v32, v32, v44 :: v_dual_max_f32 v43, v7, v7
	s_delay_alu instid0(VALU_DEP_2) | instskip(NEXT) | instid1(VALU_DEP_2)
	v_dual_min_f32 v34, v34, v45 :: v_dual_max_f32 v35, v35, v35
	v_dual_add_f32 v33, v80, v33 :: v_dual_add_f32 v32, v81, v32
	s_delay_alu instid0(VALU_DEP_1) | instskip(NEXT) | instid1(VALU_DEP_1)
	v_dual_min_f32 v35, v35, v43 :: v_dual_add_f32 v32, v32, v34
	v_add_f32_e32 v33, v33, v35
	s_delay_alu instid0(VALU_DEP_1) | instskip(NEXT) | instid1(VALU_DEP_1)
	v_add_f32_e32 v32, v32, v33
	v_add_f32_e32 v34, v32, v42
	v_add_co_u32 v32, vcc_lo, v38, v36
	v_add_co_ci_u32_e32 v33, vcc_lo, v39, v37, vcc_lo
	global_store_b32 v[32:33], v34, off
	s_or_b32 exec_lo, exec_lo, s0
	s_and_b32 s1, s1, s8
	s_delay_alu instid0(SALU_CYCLE_1)
	s_and_saveexec_b32 s0, s1
	s_cbranch_execz .LBB48_156
.LBB48_167:
	v_cmp_ne_u32_e32 vcc_lo, 1, v100
	v_lshlrev_b64 v[32:33], 2, v[50:51]
	s_cbranch_vccnz .LBB48_169
; %bb.168:
	s_delay_alu instid0(VALU_DEP_1) | instskip(NEXT) | instid1(VALU_DEP_2)
	v_add_co_u32 v34, vcc_lo, v40, v32
	v_add_co_ci_u32_e32 v35, vcc_lo, v41, v33, vcc_lo
	flat_load_b32 v34, v[34:35]
	s_waitcnt vmcnt(0) lgkmcnt(0)
	v_mul_f32_e32 v34, s15, v34
	s_branch .LBB48_170
.LBB48_169:
	v_mov_b32_e32 v34, 0
.LBB48_170:
	v_dual_max_f32 v35, v5, v5 :: v_dual_max_f32 v36, v4, v4
	v_dual_max_f32 v29, v29, v29 :: v_dual_max_f32 v28, v28, v28
	v_max_f32_e32 v37, v6, v6
	s_delay_alu instid0(VALU_DEP_2) | instskip(NEXT) | instid1(VALU_DEP_3)
	v_dual_max_f32 v30, v30, v30 :: v_dual_min_f32 v29, v29, v35
	v_dual_min_f32 v28, v28, v36 :: v_dual_max_f32 v35, v7, v7
	s_delay_alu instid0(VALU_DEP_2) | instskip(NEXT) | instid1(VALU_DEP_2)
	v_dual_min_f32 v30, v30, v37 :: v_dual_max_f32 v31, v31, v31
	v_dual_add_f32 v28, v78, v28 :: v_dual_add_f32 v29, v79, v29
	s_delay_alu instid0(VALU_DEP_1) | instskip(NEXT) | instid1(VALU_DEP_1)
	v_dual_add_f32 v28, v28, v30 :: v_dual_min_f32 v31, v31, v35
	v_add_f32_e32 v29, v29, v31
	s_delay_alu instid0(VALU_DEP_1) | instskip(NEXT) | instid1(VALU_DEP_1)
	v_add_f32_e32 v28, v28, v29
	v_add_f32_e32 v30, v28, v34
	v_add_co_u32 v28, vcc_lo, v38, v32
	v_add_co_ci_u32_e32 v29, vcc_lo, v39, v33, vcc_lo
	global_store_b32 v[28:29], v30, off
	s_or_b32 exec_lo, exec_lo, s0
	s_and_b32 s1, s2, s8
	s_delay_alu instid0(SALU_CYCLE_1)
	s_and_saveexec_b32 s0, s1
	s_cbranch_execz .LBB48_157
.LBB48_171:
	v_cmp_ne_u32_e32 vcc_lo, 1, v100
	v_lshlrev_b64 v[28:29], 2, v[52:53]
	s_cbranch_vccnz .LBB48_173
; %bb.172:
	s_delay_alu instid0(VALU_DEP_1) | instskip(NEXT) | instid1(VALU_DEP_2)
	v_add_co_u32 v30, vcc_lo, v40, v28
	v_add_co_ci_u32_e32 v31, vcc_lo, v41, v29, vcc_lo
	flat_load_b32 v30, v[30:31]
	s_waitcnt vmcnt(0) lgkmcnt(0)
	v_mul_f32_e32 v30, s15, v30
	s_branch .LBB48_174
.LBB48_173:
	v_mov_b32_e32 v30, 0
.LBB48_174:
	v_dual_max_f32 v31, v5, v5 :: v_dual_max_f32 v32, v4, v4
	v_dual_max_f32 v25, v25, v25 :: v_dual_max_f32 v24, v24, v24
	v_max_f32_e32 v33, v6, v6
	s_delay_alu instid0(VALU_DEP_2) | instskip(NEXT) | instid1(VALU_DEP_3)
	v_dual_max_f32 v26, v26, v26 :: v_dual_min_f32 v25, v25, v31
	v_dual_min_f32 v24, v24, v32 :: v_dual_max_f32 v31, v7, v7
	s_delay_alu instid0(VALU_DEP_2) | instskip(NEXT) | instid1(VALU_DEP_2)
	v_dual_min_f32 v26, v26, v33 :: v_dual_max_f32 v27, v27, v27
	v_dual_add_f32 v25, v76, v25 :: v_dual_add_f32 v24, v77, v24
	s_delay_alu instid0(VALU_DEP_1) | instskip(NEXT) | instid1(VALU_DEP_1)
	v_dual_min_f32 v27, v27, v31 :: v_dual_add_f32 v24, v24, v26
	v_add_f32_e32 v25, v25, v27
	s_delay_alu instid0(VALU_DEP_1) | instskip(NEXT) | instid1(VALU_DEP_1)
	v_add_f32_e32 v24, v24, v25
	v_add_f32_e32 v26, v24, v30
	v_add_co_u32 v24, vcc_lo, v38, v28
	v_add_co_ci_u32_e32 v25, vcc_lo, v39, v29, vcc_lo
	global_store_b32 v[24:25], v26, off
	s_or_b32 exec_lo, exec_lo, s0
	s_and_b32 s1, s3, s8
	s_delay_alu instid0(SALU_CYCLE_1)
	s_and_saveexec_b32 s0, s1
	s_cbranch_execz .LBB48_158
.LBB48_175:
	v_cmp_ne_u32_e32 vcc_lo, 1, v100
	v_lshlrev_b64 v[24:25], 2, v[54:55]
	s_cbranch_vccnz .LBB48_177
; %bb.176:
	s_delay_alu instid0(VALU_DEP_1) | instskip(NEXT) | instid1(VALU_DEP_2)
	v_add_co_u32 v26, vcc_lo, v40, v24
	v_add_co_ci_u32_e32 v27, vcc_lo, v41, v25, vcc_lo
	flat_load_b32 v26, v[26:27]
	s_waitcnt vmcnt(0) lgkmcnt(0)
	v_mul_f32_e32 v26, s15, v26
	s_branch .LBB48_178
.LBB48_177:
	v_mov_b32_e32 v26, 0
.LBB48_178:
	v_dual_max_f32 v27, v5, v5 :: v_dual_max_f32 v28, v4, v4
	v_dual_max_f32 v21, v21, v21 :: v_dual_max_f32 v20, v20, v20
	v_max_f32_e32 v29, v6, v6
	s_delay_alu instid0(VALU_DEP_2) | instskip(NEXT) | instid1(VALU_DEP_3)
	v_dual_max_f32 v22, v22, v22 :: v_dual_min_f32 v21, v21, v27
	v_dual_min_f32 v20, v20, v28 :: v_dual_max_f32 v27, v7, v7
	s_delay_alu instid0(VALU_DEP_2) | instskip(NEXT) | instid1(VALU_DEP_2)
	v_min_f32_e32 v22, v22, v29
	v_dual_add_f32 v21, v74, v21 :: v_dual_add_f32 v20, v75, v20
	s_delay_alu instid0(VALU_DEP_1) | instskip(NEXT) | instid1(VALU_DEP_1)
	v_dual_max_f32 v23, v23, v23 :: v_dual_add_f32 v20, v20, v22
	v_min_f32_e32 v23, v23, v27
	s_delay_alu instid0(VALU_DEP_1) | instskip(NEXT) | instid1(VALU_DEP_1)
	v_add_f32_e32 v21, v21, v23
	v_add_f32_e32 v20, v20, v21
	s_delay_alu instid0(VALU_DEP_1)
	v_add_f32_e32 v22, v20, v26
	v_add_co_u32 v20, vcc_lo, v38, v24
	v_add_co_ci_u32_e32 v21, vcc_lo, v39, v25, vcc_lo
	global_store_b32 v[20:21], v22, off
	s_or_b32 exec_lo, exec_lo, s0
	s_and_b32 s1, s4, s8
	s_delay_alu instid0(SALU_CYCLE_1)
	s_and_saveexec_b32 s0, s1
	s_cbranch_execz .LBB48_159
.LBB48_179:
	v_cmp_ne_u32_e32 vcc_lo, 1, v100
	v_lshlrev_b64 v[20:21], 2, v[56:57]
	s_cbranch_vccnz .LBB48_181
; %bb.180:
	s_delay_alu instid0(VALU_DEP_1) | instskip(NEXT) | instid1(VALU_DEP_2)
	v_add_co_u32 v22, vcc_lo, v40, v20
	v_add_co_ci_u32_e32 v23, vcc_lo, v41, v21, vcc_lo
	flat_load_b32 v22, v[22:23]
	s_waitcnt vmcnt(0) lgkmcnt(0)
	v_mul_f32_e32 v22, s15, v22
	s_branch .LBB48_182
.LBB48_181:
	v_mov_b32_e32 v22, 0
.LBB48_182:
	v_dual_max_f32 v23, v5, v5 :: v_dual_max_f32 v24, v4, v4
	v_dual_max_f32 v17, v17, v17 :: v_dual_max_f32 v16, v16, v16
	v_max_f32_e32 v25, v6, v6
	s_delay_alu instid0(VALU_DEP_2) | instskip(NEXT) | instid1(VALU_DEP_3)
	v_dual_max_f32 v18, v18, v18 :: v_dual_min_f32 v17, v17, v23
	v_dual_min_f32 v16, v16, v24 :: v_dual_max_f32 v23, v7, v7
	s_delay_alu instid0(VALU_DEP_2) | instskip(NEXT) | instid1(VALU_DEP_2)
	v_dual_min_f32 v18, v18, v25 :: v_dual_max_f32 v19, v19, v19
	v_dual_add_f32 v16, v72, v16 :: v_dual_add_f32 v17, v73, v17
	s_delay_alu instid0(VALU_DEP_1) | instskip(NEXT) | instid1(VALU_DEP_1)
	v_dual_add_f32 v16, v16, v18 :: v_dual_min_f32 v19, v19, v23
	v_add_f32_e32 v17, v17, v19
	s_delay_alu instid0(VALU_DEP_1) | instskip(NEXT) | instid1(VALU_DEP_1)
	v_add_f32_e32 v16, v16, v17
	v_add_f32_e32 v18, v16, v22
	v_add_co_u32 v16, vcc_lo, v38, v20
	v_add_co_ci_u32_e32 v17, vcc_lo, v39, v21, vcc_lo
	global_store_b32 v[16:17], v18, off
	s_or_b32 exec_lo, exec_lo, s0
	s_and_b32 s1, s5, s8
	s_delay_alu instid0(SALU_CYCLE_1)
	s_and_saveexec_b32 s0, s1
	s_cbranch_execz .LBB48_160
.LBB48_183:
	v_cmp_ne_u32_e32 vcc_lo, 1, v100
	v_lshlrev_b64 v[16:17], 2, v[58:59]
	s_cbranch_vccnz .LBB48_185
; %bb.184:
	s_delay_alu instid0(VALU_DEP_1) | instskip(NEXT) | instid1(VALU_DEP_2)
	v_add_co_u32 v18, vcc_lo, v40, v16
	v_add_co_ci_u32_e32 v19, vcc_lo, v41, v17, vcc_lo
	flat_load_b32 v18, v[18:19]
	s_waitcnt vmcnt(0) lgkmcnt(0)
	v_mul_f32_e32 v18, s15, v18
	s_branch .LBB48_186
.LBB48_185:
	v_mov_b32_e32 v18, 0
.LBB48_186:
	v_dual_max_f32 v19, v5, v5 :: v_dual_max_f32 v20, v4, v4
	v_dual_max_f32 v13, v13, v13 :: v_dual_max_f32 v12, v12, v12
	v_max_f32_e32 v21, v6, v6
	s_delay_alu instid0(VALU_DEP_2) | instskip(NEXT) | instid1(VALU_DEP_3)
	v_dual_max_f32 v14, v14, v14 :: v_dual_min_f32 v13, v13, v19
	v_dual_min_f32 v12, v12, v20 :: v_dual_max_f32 v19, v7, v7
	s_delay_alu instid0(VALU_DEP_2) | instskip(NEXT) | instid1(VALU_DEP_2)
	v_min_f32_e32 v14, v14, v21
	v_dual_add_f32 v13, v70, v13 :: v_dual_add_f32 v12, v71, v12
	s_delay_alu instid0(VALU_DEP_1) | instskip(NEXT) | instid1(VALU_DEP_1)
	v_dual_max_f32 v15, v15, v15 :: v_dual_add_f32 v12, v12, v14
	v_min_f32_e32 v15, v15, v19
	s_delay_alu instid0(VALU_DEP_1) | instskip(NEXT) | instid1(VALU_DEP_1)
	v_add_f32_e32 v13, v13, v15
	v_add_f32_e32 v12, v12, v13
	s_delay_alu instid0(VALU_DEP_1)
	v_add_f32_e32 v14, v12, v18
	v_add_co_u32 v12, vcc_lo, v38, v16
	v_add_co_ci_u32_e32 v13, vcc_lo, v39, v17, vcc_lo
	global_store_b32 v[12:13], v14, off
	s_or_b32 exec_lo, exec_lo, s0
	s_and_b32 s1, s6, s8
	s_delay_alu instid0(SALU_CYCLE_1)
	s_and_saveexec_b32 s0, s1
	s_cbranch_execz .LBB48_161
.LBB48_187:
	v_cmp_ne_u32_e32 vcc_lo, 1, v100
	v_lshlrev_b64 v[12:13], 2, v[60:61]
	s_cbranch_vccnz .LBB48_189
; %bb.188:
	s_delay_alu instid0(VALU_DEP_1) | instskip(NEXT) | instid1(VALU_DEP_2)
	v_add_co_u32 v14, vcc_lo, v40, v12
	v_add_co_ci_u32_e32 v15, vcc_lo, v41, v13, vcc_lo
	flat_load_b32 v14, v[14:15]
	s_waitcnt vmcnt(0) lgkmcnt(0)
	v_mul_f32_e32 v14, s15, v14
	s_branch .LBB48_190
.LBB48_189:
	v_mov_b32_e32 v14, 0
.LBB48_190:
	v_dual_max_f32 v15, v5, v5 :: v_dual_max_f32 v16, v4, v4
	v_dual_max_f32 v9, v9, v9 :: v_dual_max_f32 v8, v8, v8
	v_max_f32_e32 v17, v6, v6
	s_delay_alu instid0(VALU_DEP_2) | instskip(NEXT) | instid1(VALU_DEP_3)
	v_dual_max_f32 v10, v10, v10 :: v_dual_min_f32 v9, v9, v15
	v_dual_min_f32 v8, v8, v16 :: v_dual_max_f32 v15, v7, v7
	s_delay_alu instid0(VALU_DEP_2) | instskip(NEXT) | instid1(VALU_DEP_2)
	v_dual_min_f32 v10, v10, v17 :: v_dual_max_f32 v11, v11, v11
	v_dual_add_f32 v8, v68, v8 :: v_dual_add_f32 v9, v69, v9
	s_delay_alu instid0(VALU_DEP_1) | instskip(NEXT) | instid1(VALU_DEP_1)
	v_dual_add_f32 v8, v8, v10 :: v_dual_min_f32 v11, v11, v15
	v_add_f32_e32 v9, v9, v11
	s_delay_alu instid0(VALU_DEP_1) | instskip(NEXT) | instid1(VALU_DEP_1)
	v_add_f32_e32 v8, v8, v9
	v_add_f32_e32 v10, v8, v14
	v_add_co_u32 v8, vcc_lo, v38, v12
	v_add_co_ci_u32_e32 v9, vcc_lo, v39, v13, vcc_lo
	global_store_b32 v[8:9], v10, off
	s_or_b32 exec_lo, exec_lo, s0
	s_and_b32 s0, s7, s8
	s_delay_alu instid0(SALU_CYCLE_1)
	s_and_saveexec_b32 s1, s0
	s_cbranch_execz .LBB48_162
.LBB48_191:
	v_cmp_ne_u32_e32 vcc_lo, 1, v100
	v_lshlrev_b64 v[8:9], 2, v[62:63]
	s_cbranch_vccnz .LBB48_193
; %bb.192:
	s_delay_alu instid0(VALU_DEP_1) | instskip(NEXT) | instid1(VALU_DEP_2)
	v_add_co_u32 v10, vcc_lo, v40, v8
	v_add_co_ci_u32_e32 v11, vcc_lo, v41, v9, vcc_lo
	flat_load_b32 v10, v[10:11]
	s_waitcnt vmcnt(0) lgkmcnt(0)
	v_mul_f32_e32 v10, s15, v10
	s_branch .LBB48_194
.LBB48_193:
	v_mov_b32_e32 v10, 0
.LBB48_194:
	v_dual_max_f32 v5, v5, v5 :: v_dual_max_f32 v4, v4, v4
	v_dual_max_f32 v1, v1, v1 :: v_dual_max_f32 v0, v0, v0
	v_max_f32_e32 v6, v6, v6
	v_dual_max_f32 v2, v2, v2 :: v_dual_max_f32 v3, v3, v3
	s_delay_alu instid0(VALU_DEP_3) | instskip(NEXT) | instid1(VALU_DEP_2)
	v_dual_min_f32 v1, v1, v5 :: v_dual_min_f32 v0, v0, v4
	v_dual_max_f32 v5, v7, v7 :: v_dual_min_f32 v2, v2, v6
	s_delay_alu instid0(VALU_DEP_2) | instskip(NEXT) | instid1(VALU_DEP_1)
	v_dual_add_f32 v1, v67, v1 :: v_dual_add_f32 v0, v66, v0
	v_dual_min_f32 v3, v3, v5 :: v_dual_add_f32 v0, v0, v2
	s_delay_alu instid0(VALU_DEP_1) | instskip(NEXT) | instid1(VALU_DEP_1)
	v_add_f32_e32 v1, v1, v3
	v_add_f32_e32 v0, v0, v1
	s_delay_alu instid0(VALU_DEP_1)
	v_add_f32_e32 v2, v0, v10
	v_add_co_u32 v0, vcc_lo, v38, v8
	v_add_co_ci_u32_e32 v1, vcc_lo, v39, v9, vcc_lo
	global_store_b32 v[0:1], v2, off
	s_nop 0
	s_sendmsg sendmsg(MSG_DEALLOC_VGPRS)
	s_endpgm
	.section	.rodata,"a",@progbits
	.p2align	6, 0x0
	.amdhsa_kernel _ZN12_GLOBAL__N_120geam_min_plus_kernelIf15HIP_vector_typeIfLj2EES2_Li8ELi32ELi64ELi128ELi4ELi4ELi64ELi64ELi4ELc84ELc84ELb0ELb1ELb0EPKfKS4_KPfEEviiiT16_PT17_ilSA_ilS8_SA_ilPT18_ili26rocblas_geam_ex_operation_
		.amdhsa_group_segment_fixed_size 6144
		.amdhsa_private_segment_fixed_size 0
		.amdhsa_kernarg_size 136
		.amdhsa_user_sgpr_count 14
		.amdhsa_user_sgpr_dispatch_ptr 0
		.amdhsa_user_sgpr_queue_ptr 0
		.amdhsa_user_sgpr_kernarg_segment_ptr 1
		.amdhsa_user_sgpr_dispatch_id 0
		.amdhsa_user_sgpr_private_segment_size 0
		.amdhsa_wavefront_size32 1
		.amdhsa_uses_dynamic_stack 0
		.amdhsa_enable_private_segment 0
		.amdhsa_system_sgpr_workgroup_id_x 1
		.amdhsa_system_sgpr_workgroup_id_y 0
		.amdhsa_system_sgpr_workgroup_id_z 1
		.amdhsa_system_sgpr_workgroup_info 0
		.amdhsa_system_vgpr_workitem_id 1
		.amdhsa_next_free_vgpr 226
		.amdhsa_next_free_sgpr 28
		.amdhsa_reserve_vcc 1
		.amdhsa_float_round_mode_32 0
		.amdhsa_float_round_mode_16_64 0
		.amdhsa_float_denorm_mode_32 3
		.amdhsa_float_denorm_mode_16_64 3
		.amdhsa_dx10_clamp 1
		.amdhsa_ieee_mode 1
		.amdhsa_fp16_overflow 0
		.amdhsa_workgroup_processor_mode 1
		.amdhsa_memory_ordered 1
		.amdhsa_forward_progress 0
		.amdhsa_shared_vgpr_count 0
		.amdhsa_exception_fp_ieee_invalid_op 0
		.amdhsa_exception_fp_denorm_src 0
		.amdhsa_exception_fp_ieee_div_zero 0
		.amdhsa_exception_fp_ieee_overflow 0
		.amdhsa_exception_fp_ieee_underflow 0
		.amdhsa_exception_fp_ieee_inexact 0
		.amdhsa_exception_int_div_zero 0
	.end_amdhsa_kernel
	.section	.text._ZN12_GLOBAL__N_120geam_min_plus_kernelIf15HIP_vector_typeIfLj2EES2_Li8ELi32ELi64ELi128ELi4ELi4ELi64ELi64ELi4ELc84ELc84ELb0ELb1ELb0EPKfKS4_KPfEEviiiT16_PT17_ilSA_ilS8_SA_ilPT18_ili26rocblas_geam_ex_operation_,"axG",@progbits,_ZN12_GLOBAL__N_120geam_min_plus_kernelIf15HIP_vector_typeIfLj2EES2_Li8ELi32ELi64ELi128ELi4ELi4ELi64ELi64ELi4ELc84ELc84ELb0ELb1ELb0EPKfKS4_KPfEEviiiT16_PT17_ilSA_ilS8_SA_ilPT18_ili26rocblas_geam_ex_operation_,comdat
.Lfunc_end48:
	.size	_ZN12_GLOBAL__N_120geam_min_plus_kernelIf15HIP_vector_typeIfLj2EES2_Li8ELi32ELi64ELi128ELi4ELi4ELi64ELi64ELi4ELc84ELc84ELb0ELb1ELb0EPKfKS4_KPfEEviiiT16_PT17_ilSA_ilS8_SA_ilPT18_ili26rocblas_geam_ex_operation_, .Lfunc_end48-_ZN12_GLOBAL__N_120geam_min_plus_kernelIf15HIP_vector_typeIfLj2EES2_Li8ELi32ELi64ELi128ELi4ELi4ELi64ELi64ELi4ELc84ELc84ELb0ELb1ELb0EPKfKS4_KPfEEviiiT16_PT17_ilSA_ilS8_SA_ilPT18_ili26rocblas_geam_ex_operation_
                                        ; -- End function
	.section	.AMDGPU.csdata,"",@progbits
; Kernel info:
; codeLenInByte = 13352
; NumSgprs: 30
; NumVgprs: 226
; ScratchSize: 0
; MemoryBound: 0
; FloatMode: 240
; IeeeMode: 1
; LDSByteSize: 6144 bytes/workgroup (compile time only)
; SGPRBlocks: 3
; VGPRBlocks: 28
; NumSGPRsForWavesPerEU: 30
; NumVGPRsForWavesPerEU: 226
; Occupancy: 6
; WaveLimiterHint : 1
; COMPUTE_PGM_RSRC2:SCRATCH_EN: 0
; COMPUTE_PGM_RSRC2:USER_SGPR: 14
; COMPUTE_PGM_RSRC2:TRAP_HANDLER: 0
; COMPUTE_PGM_RSRC2:TGID_X_EN: 1
; COMPUTE_PGM_RSRC2:TGID_Y_EN: 0
; COMPUTE_PGM_RSRC2:TGID_Z_EN: 1
; COMPUTE_PGM_RSRC2:TIDIG_COMP_CNT: 1
	.section	.text._ZN12_GLOBAL__N_120geam_min_plus_kernelIf15HIP_vector_typeIfLj2EES2_Li8ELi32ELi64ELi128ELi4ELi4ELi64ELi64ELi4ELc84ELc84ELb1ELb1ELb0EfKPKfKPfEEviiiT16_PT17_ilSA_ilS8_SA_ilPT18_ili26rocblas_geam_ex_operation_,"axG",@progbits,_ZN12_GLOBAL__N_120geam_min_plus_kernelIf15HIP_vector_typeIfLj2EES2_Li8ELi32ELi64ELi128ELi4ELi4ELi64ELi64ELi4ELc84ELc84ELb1ELb1ELb0EfKPKfKPfEEviiiT16_PT17_ilSA_ilS8_SA_ilPT18_ili26rocblas_geam_ex_operation_,comdat
	.globl	_ZN12_GLOBAL__N_120geam_min_plus_kernelIf15HIP_vector_typeIfLj2EES2_Li8ELi32ELi64ELi128ELi4ELi4ELi64ELi64ELi4ELc84ELc84ELb1ELb1ELb0EfKPKfKPfEEviiiT16_PT17_ilSA_ilS8_SA_ilPT18_ili26rocblas_geam_ex_operation_ ; -- Begin function _ZN12_GLOBAL__N_120geam_min_plus_kernelIf15HIP_vector_typeIfLj2EES2_Li8ELi32ELi64ELi128ELi4ELi4ELi64ELi64ELi4ELc84ELc84ELb1ELb1ELb0EfKPKfKPfEEviiiT16_PT17_ilSA_ilS8_SA_ilPT18_ili26rocblas_geam_ex_operation_
	.p2align	8
	.type	_ZN12_GLOBAL__N_120geam_min_plus_kernelIf15HIP_vector_typeIfLj2EES2_Li8ELi32ELi64ELi128ELi4ELi4ELi64ELi64ELi4ELc84ELc84ELb1ELb1ELb0EfKPKfKPfEEviiiT16_PT17_ilSA_ilS8_SA_ilPT18_ili26rocblas_geam_ex_operation_,@function
_ZN12_GLOBAL__N_120geam_min_plus_kernelIf15HIP_vector_typeIfLj2EES2_Li8ELi32ELi64ELi128ELi4ELi4ELi64ELi64ELi4ELc84ELc84ELb1ELb1ELb0EfKPKfKPfEEviiiT16_PT17_ilSA_ilS8_SA_ilPT18_ili26rocblas_geam_ex_operation_: ; @_ZN12_GLOBAL__N_120geam_min_plus_kernelIf15HIP_vector_typeIfLj2EES2_Li8ELi32ELi64ELi128ELi4ELi4ELi64ELi64ELi4ELc84ELc84ELb1ELb1ELb0EfKPKfKPfEEviiiT16_PT17_ilSA_ilS8_SA_ilPT18_ili26rocblas_geam_ex_operation_
; %bb.0:
	s_clause 0x1
	s_load_b128 s[16:19], s[0:1], 0x0
	s_load_b128 s[4:7], s[0:1], 0x20
	s_mov_b32 s2, s15
	s_mov_b32 s3, 0
	s_waitcnt lgkmcnt(0)
	v_cmp_eq_f32_e64 s10, s19, 0
	s_delay_alu instid0(VALU_DEP_1)
	s_and_b32 vcc_lo, exec_lo, s10
	s_cbranch_vccnz .LBB49_3
; %bb.1:
	s_load_b64 s[8:9], s[0:1], 0x10
	s_lshl_b64 s[12:13], s[2:3], 3
	s_waitcnt lgkmcnt(0)
	s_add_u32 s8, s8, s12
	s_addc_u32 s9, s9, s13
	s_lshl_b64 s[4:5], s[4:5], 2
	s_load_b64 s[8:9], s[8:9], 0x0
	s_waitcnt lgkmcnt(0)
	s_add_u32 s8, s8, s4
	s_addc_u32 s9, s9, s5
	s_and_not1_b32 vcc_lo, exec_lo, s10
	s_cbranch_vccnz .LBB49_4
.LBB49_2:
	s_mov_b64 s[12:13], 0
	s_and_not1_b32 vcc_lo, exec_lo, s3
	s_cbranch_vccz .LBB49_5
	s_branch .LBB49_6
.LBB49_3:
	s_mov_b64 s[8:9], 0
	s_and_not1_b32 vcc_lo, exec_lo, s10
	s_cbranch_vccz .LBB49_2
.LBB49_4:
	s_mov_b32 s3, -1
                                        ; implicit-def: $sgpr12_sgpr13
.LBB49_5:
	s_mov_b32 s3, 0
	s_load_b64 s[10:11], s[0:1], 0x38
	s_lshl_b64 s[4:5], s[2:3], 3
	s_delay_alu instid0(SALU_CYCLE_1) | instskip(SKIP_4) | instid1(SALU_CYCLE_1)
	s_add_u32 s4, s6, s4
	s_addc_u32 s5, s7, s5
	s_load_b64 s[4:5], s[4:5], 0x0
	s_waitcnt lgkmcnt(0)
	s_lshl_b64 s[6:7], s[10:11], 2
	s_add_u32 s12, s4, s6
	s_addc_u32 s13, s5, s7
.LBB49_6:
	s_clause 0x1
	s_load_b32 s19, s[0:1], 0x40
	s_load_b128 s[4:7], s[0:1], 0x58
	s_waitcnt lgkmcnt(0)
	v_cmp_eq_f32_e64 s10, s19, 0
	v_cmp_neq_f32_e64 s20, s19, 0
	s_delay_alu instid0(VALU_DEP_2)
	s_and_b32 vcc_lo, exec_lo, s10
	s_cbranch_vccnz .LBB49_8
; %bb.7:
	s_load_b64 s[10:11], s[0:1], 0x48
	s_lshl_b64 s[22:23], s[2:3], 3
	s_waitcnt lgkmcnt(0)
	s_add_u32 s10, s10, s22
	s_addc_u32 s11, s11, s23
	s_lshl_b64 s[4:5], s[4:5], 2
	s_load_b64 s[10:11], s[10:11], 0x0
	s_waitcnt lgkmcnt(0)
	s_add_u32 s10, s10, s4
	s_addc_u32 s11, s11, s5
	s_branch .LBB49_9
.LBB49_8:
	s_mov_b64 s[10:11], 0
.LBB49_9:
	s_lshl_b64 s[2:3], s[2:3], 3
	v_dual_mov_b32 v9, 0 :: v_dual_and_b32 v54, 0x3ff, v0
	s_add_u32 s4, s6, s2
	s_addc_u32 s5, s7, s3
	s_add_i32 s2, s16, -1
	v_bfe_u32 v55, v0, 10, 10
	s_ashr_i32 s3, s2, 31
	s_load_b32 s24, s[0:1], 0x18
	s_lshr_b32 s3, s3, 26
	v_and_b32_e32 v56, 3, v54
	s_add_i32 s2, s2, s3
	v_lshl_add_u32 v0, v55, 3, v54
	s_ashr_i32 s2, s2, 6
	v_mov_b32_e32 v8, 0
	s_add_i32 s15, s2, 1
	s_not_b32 s2, s2
	v_cvt_f32_u32_e32 v1, s15
	v_lshrrev_b32_e32 v7, 2, v0
	v_lshlrev_b32_e32 v2, 2, v56
	s_delay_alu instid0(VALU_DEP_3) | instskip(SKIP_2) | instid1(VALU_DEP_1)
	v_rcp_iflag_f32_e32 v1, v1
	s_waitcnt_depctr 0xfff
	v_mul_f32_e32 v1, 0x4f7ffffe, v1
	v_cvt_u32_f32_e32 v1, v1
	s_delay_alu instid0(VALU_DEP_1) | instskip(NEXT) | instid1(VALU_DEP_1)
	v_readfirstlane_b32 s3, v1
	s_mul_i32 s2, s2, s3
	s_delay_alu instid0(SALU_CYCLE_1) | instskip(NEXT) | instid1(SALU_CYCLE_1)
	s_mul_hi_u32 s2, s3, s2
	s_add_i32 s3, s3, s2
	s_delay_alu instid0(SALU_CYCLE_1) | instskip(NEXT) | instid1(SALU_CYCLE_1)
	s_mul_hi_u32 s2, s14, s3
	s_mul_i32 s3, s2, s15
	s_add_i32 s6, s2, 1
	s_sub_i32 s3, s14, s3
	s_delay_alu instid0(SALU_CYCLE_1)
	s_sub_i32 s7, s3, s15
	s_cmp_ge_u32 s3, s15
	s_cselect_b32 s2, s6, s2
	s_cselect_b32 s3, s7, s3
	s_add_i32 s6, s2, 1
	s_cmp_ge_u32 s3, s15
	s_cselect_b32 s3, s6, s2
	s_load_b64 s[6:7], s[4:5], 0x0
	s_mul_i32 s2, s3, s15
	s_delay_alu instid0(SALU_CYCLE_1) | instskip(NEXT) | instid1(SALU_CYCLE_1)
	s_sub_i32 s2, s14, s2
	s_lshl_b32 s5, s2, 6
	v_cmp_gt_i32_e64 s2, s18, v56
	v_add_nc_u32_e32 v3, s5, v7
	s_delay_alu instid0(VALU_DEP_1)
	v_cmp_le_i32_e32 vcc_lo, s16, v3
	s_xor_b32 s22, vcc_lo, -1
	s_delay_alu instid0(VALU_DEP_3) | instid1(SALU_CYCLE_1)
	s_and_b32 s4, s2, s22
	s_delay_alu instid0(SALU_CYCLE_1)
	s_and_saveexec_b32 s2, s4
	s_cbranch_execz .LBB49_11
; %bb.10:
	s_waitcnt lgkmcnt(0)
	v_mad_i64_i32 v[4:5], null, v3, s24, 0
	s_delay_alu instid0(VALU_DEP_1) | instskip(NEXT) | instid1(VALU_DEP_1)
	v_lshlrev_b64 v[4:5], 2, v[4:5]
	v_add_co_u32 v1, vcc_lo, s8, v4
	s_delay_alu instid0(VALU_DEP_2) | instskip(NEXT) | instid1(VALU_DEP_2)
	v_add_co_ci_u32_e32 v5, vcc_lo, s9, v5, vcc_lo
	v_add_co_u32 v4, vcc_lo, v1, v2
	s_delay_alu instid0(VALU_DEP_2)
	v_add_co_ci_u32_e32 v5, vcc_lo, 0, v5, vcc_lo
	flat_load_b32 v9, v[4:5]
.LBB49_11:
	s_or_b32 exec_lo, exec_lo, s2
	s_load_b32 s14, s[0:1], 0x30
	v_lshrrev_b32_e32 v57, 6, v0
	v_and_b32_e32 v10, 63, v0
	s_lshl_b32 s21, s3, 7
	s_delay_alu instid0(VALU_DEP_2) | instskip(NEXT) | instid1(VALU_DEP_2)
	v_cmp_le_i32_e64 s3, s18, v57
	v_or_b32_e32 v0, s21, v10
	s_delay_alu instid0(VALU_DEP_1) | instskip(SKIP_4) | instid1(VALU_DEP_1)
	v_cmp_le_i32_e32 vcc_lo, s17, v0
	v_ashrrev_i32_e32 v1, 31, v0
	s_waitcnt lgkmcnt(0)
	v_mad_i64_i32 v[4:5], null, s14, v57, 0
	s_ashr_i32 s15, s14, 31
	v_lshlrev_b64 v[5:6], 2, v[4:5]
	s_delay_alu instid0(VALU_DEP_1) | instskip(NEXT) | instid1(VALU_DEP_1)
	v_add_co_u32 v5, s2, s12, v5
	v_add_co_ci_u32_e64 v6, s2, s13, v6, s2
	s_or_b32 s2, vcc_lo, s3
	s_delay_alu instid0(SALU_CYCLE_1) | instskip(NEXT) | instid1(SALU_CYCLE_1)
	s_xor_b32 s2, s2, -1
	s_and_saveexec_b32 s4, s2
	s_cbranch_execz .LBB49_13
; %bb.12:
	v_lshlrev_b64 v[11:12], 2, v[0:1]
	s_delay_alu instid0(VALU_DEP_1) | instskip(NEXT) | instid1(VALU_DEP_1)
	v_add_co_u32 v11, s2, v5, v11
	v_add_co_ci_u32_e64 v12, s2, v6, v12, s2
	flat_load_b32 v8, v[11:12]
.LBB49_13:
	s_or_b32 exec_lo, exec_lo, s4
	v_or_b32_e32 v4, 64, v0
	v_mov_b32_e32 v11, 0
	s_delay_alu instid0(VALU_DEP_2) | instskip(SKIP_1) | instid1(VALU_DEP_2)
	v_cmp_le_i32_e64 s2, s17, v4
	v_mov_b32_e32 v4, 0
	s_or_b32 s3, s2, s3
	s_delay_alu instid0(SALU_CYCLE_1) | instskip(NEXT) | instid1(SALU_CYCLE_1)
	s_xor_b32 s3, s3, -1
	s_and_saveexec_b32 s4, s3
	s_cbranch_execz .LBB49_15
; %bb.14:
	v_lshlrev_b64 v[11:12], 2, v[0:1]
	s_delay_alu instid0(VALU_DEP_1) | instskip(NEXT) | instid1(VALU_DEP_1)
	v_add_co_u32 v5, s3, v5, v11
	v_add_co_ci_u32_e64 v6, s3, v6, v12, s3
	flat_load_b32 v11, v[5:6] offset:256
.LBB49_15:
	s_or_b32 exec_lo, exec_lo, s4
	v_or_b32_e32 v5, 4, v56
	s_delay_alu instid0(VALU_DEP_1) | instskip(NEXT) | instid1(VALU_DEP_1)
	v_cmp_gt_i32_e64 s3, s18, v5
	s_and_b32 s3, s3, s22
	s_delay_alu instid0(SALU_CYCLE_1)
	s_and_saveexec_b32 s4, s3
	s_cbranch_execz .LBB49_17
; %bb.16:
	v_mad_i64_i32 v[4:5], null, v3, s24, 0
	s_delay_alu instid0(VALU_DEP_1) | instskip(NEXT) | instid1(VALU_DEP_1)
	v_lshlrev_b64 v[4:5], 2, v[4:5]
	v_add_co_u32 v4, s3, s8, v4
	s_delay_alu instid0(VALU_DEP_1) | instskip(NEXT) | instid1(VALU_DEP_2)
	v_add_co_ci_u32_e64 v5, s3, s9, v5, s3
	v_add_co_u32 v4, s3, v4, v2
	s_delay_alu instid0(VALU_DEP_1)
	v_add_co_ci_u32_e64 v5, s3, 0, v5, s3
	flat_load_b32 v4, v[4:5] offset:16
.LBB49_17:
	s_or_b32 exec_lo, exec_lo, s4
	v_add_nc_u32_e32 v14, 4, v57
	s_delay_alu instid0(VALU_DEP_1) | instskip(NEXT) | instid1(VALU_DEP_1)
	v_mad_i64_i32 v[5:6], null, s14, v14, 0
	v_lshlrev_b64 v[12:13], 2, v[5:6]
	v_mov_b32_e32 v5, 0
	v_cmp_le_i32_e64 s3, s18, v14
	v_mov_b32_e32 v6, 0
	s_delay_alu instid0(VALU_DEP_4) | instskip(NEXT) | instid1(VALU_DEP_1)
	v_add_co_u32 v12, s4, s12, v12
	v_add_co_ci_u32_e64 v13, s4, s13, v13, s4
	s_delay_alu instid0(VALU_DEP_4) | instskip(NEXT) | instid1(SALU_CYCLE_1)
	s_or_b32 s4, vcc_lo, s3
	s_xor_b32 s4, s4, -1
	s_delay_alu instid0(SALU_CYCLE_1)
	s_and_saveexec_b32 s23, s4
	s_cbranch_execz .LBB49_19
; %bb.18:
	v_lshlrev_b64 v[14:15], 2, v[0:1]
	s_delay_alu instid0(VALU_DEP_1) | instskip(NEXT) | instid1(VALU_DEP_1)
	v_add_co_u32 v14, s4, v12, v14
	v_add_co_ci_u32_e64 v15, s4, v13, v15, s4
	flat_load_b32 v6, v[14:15]
.LBB49_19:
	s_or_b32 exec_lo, exec_lo, s23
	s_or_b32 s3, s2, s3
	s_delay_alu instid0(SALU_CYCLE_1) | instskip(NEXT) | instid1(SALU_CYCLE_1)
	s_xor_b32 s3, s3, -1
	s_and_saveexec_b32 s4, s3
	s_cbranch_execz .LBB49_21
; %bb.20:
	v_lshlrev_b64 v[14:15], 2, v[0:1]
	s_delay_alu instid0(VALU_DEP_1) | instskip(NEXT) | instid1(VALU_DEP_1)
	v_add_co_u32 v12, s3, v12, v14
	v_add_co_ci_u32_e64 v13, s3, v13, v15, s3
	flat_load_b32 v5, v[12:13] offset:256
.LBB49_21:
	s_or_b32 exec_lo, exec_lo, s4
	v_lshlrev_b32_e32 v12, 2, v57
	v_lshl_or_b32 v7, v7, 4, v2
	v_lshlrev_b32_e32 v58, 4, v55
	v_lshlrev_b32_e32 v59, 4, v54
	s_mov_b32 s23, 0
	v_lshl_add_u32 v60, v10, 4, v12
	s_cmp_lt_i32 s18, 9
	s_waitcnt vmcnt(0)
	ds_store_b32 v7, v9 offset:4096
	s_waitcnt lgkmcnt(1)
	ds_store_2addr_stride64_b32 v60, v8, v11 offset1:4
	s_waitcnt lgkmcnt(0)
	s_barrier
	buffer_gl0_inv
	ds_load_b128 v[8:11], v58
	ds_load_b128 v[12:15], v59 offset:4096
	ds_load_b128 v[16:19], v59 offset:4224
	;; [unrolled: 1-line block ×11, first 2 shown]
	ds_store_b32 v7, v4 offset:5120
	ds_store_2addr_stride64_b32 v60, v6, v5 offset0:8 offset1:12
	s_waitcnt lgkmcnt(0)
	s_barrier
	buffer_gl0_inv
	v_max_f32_e32 v8, v8, v8
	v_dual_max_f32 v12, v12, v12 :: v_dual_max_f32 v13, v13, v13
	v_dual_max_f32 v9, v9, v9 :: v_dual_max_f32 v16, v16, v16
	;; [unrolled: 1-line block ×4, first 2 shown]
	s_delay_alu instid0(VALU_DEP_3)
	v_dual_min_f32 v53, v13, v9 :: v_dual_min_f32 v52, v12, v8
	v_dual_max_f32 v25, v25, v25 :: v_dual_max_f32 v28, v28, v28
	v_dual_max_f32 v29, v29, v29 :: v_dual_max_f32 v32, v32, v32
	;; [unrolled: 1-line block ×5, first 2 shown]
	v_max_f32_e32 v15, v15, v15
	v_dual_min_f32 v65, v16, v8 :: v_dual_min_f32 v66, v17, v9
	v_dual_min_f32 v67, v20, v8 :: v_dual_min_f32 v68, v21, v9
	;; [unrolled: 1-line block ×5, first 2 shown]
	v_min_f32_e32 v75, v36, v8
	v_dual_min_f32 v8, v40, v8 :: v_dual_max_f32 v45, v45, v45
	v_max_f32_e32 v10, v10, v10
	v_dual_max_f32 v14, v14, v14 :: v_dual_min_f32 v77, v12, v44
	v_dual_max_f32 v18, v18, v18 :: v_dual_min_f32 v79, v16, v44
	;; [unrolled: 1-line block ×6, first 2 shown]
	v_dual_max_f32 v48, v48, v48 :: v_dual_max_f32 v39, v39, v39
	v_dual_min_f32 v88, v36, v44 :: v_dual_max_f32 v43, v43, v43
	v_dual_min_f32 v44, v40, v44 :: v_dual_max_f32 v49, v49, v49
	v_dual_min_f32 v76, v37, v9 :: v_dual_max_f32 v11, v11, v11
	v_min_f32_e32 v9, v41, v9
	v_dual_min_f32 v78, v13, v45 :: v_dual_max_f32 v19, v19, v19
	v_dual_min_f32 v100, v24, v48 :: v_dual_max_f32 v61, v61, v61
	v_dual_max_f32 v50, v50, v50 :: v_dual_max_f32 v117, v63, v63
	v_dual_min_f32 v94, v13, v49 :: v_dual_min_f32 v63, v14, v10
	v_dual_min_f32 v131, v21, v49 :: v_dual_add_f32 v52, 0, v52
	v_dual_min_f32 v80, v17, v45 :: v_dual_max_f32 v23, v23, v23
	v_dual_min_f32 v82, v21, v45 :: v_dual_max_f32 v27, v27, v27
	;; [unrolled: 1-line block ×3, first 2 shown]
	v_dual_max_f32 v38, v38, v38 :: v_dual_min_f32 v89, v12, v48
	v_dual_min_f32 v90, v16, v48 :: v_dual_max_f32 v51, v51, v51
	v_dual_max_f32 v46, v46, v46 :: v_dual_min_f32 v91, v20, v48
	v_dual_max_f32 v62, v62, v62 :: v_dual_max_f32 v127, v64, v64
	v_dual_min_f32 v128, v28, v48 :: v_dual_min_f32 v93, v37, v45
	v_dual_min_f32 v129, v32, v48 :: v_dual_min_f32 v92, v33, v45
	v_min_f32_e32 v130, v36, v48
	v_dual_min_f32 v48, v40, v48 :: v_dual_min_f32 v95, v17, v49
	v_dual_min_f32 v12, v12, v61 :: v_dual_min_f32 v13, v13, v62
	;; [unrolled: 1-line block ×4, first 2 shown]
	v_min_f32_e32 v24, v24, v61
	v_min_f32_e32 v28, v28, v61
	;; [unrolled: 1-line block ×4, first 2 shown]
	v_dual_min_f32 v40, v40, v61 :: v_dual_min_f32 v61, v15, v11
	v_dual_min_f32 v132, v25, v49 :: v_dual_add_f32 v125, v52, v63
	v_dual_min_f32 v133, v29, v49 :: v_dual_add_f32 v64, 0, v66
	v_dual_min_f32 v135, v37, v49 :: v_dual_min_f32 v66, v19, v11
	v_min_f32_e32 v134, v33, v49
	v_dual_min_f32 v49, v41, v49 :: v_dual_min_f32 v96, v18, v10
	v_dual_add_f32 v65, 0, v65 :: v_dual_add_f32 v52, 0, v68
	v_add_f32_e32 v53, 0, v53
	v_dual_min_f32 v86, v29, v45 :: v_dual_max_f32 v35, v35, v35
	v_min_f32_e32 v45, v41, v45
	v_min_f32_e32 v25, v25, v62
	;; [unrolled: 1-line block ×6, first 2 shown]
	v_dual_add_f32 v123, v64, v66 :: v_dual_min_f32 v64, v27, v11
	v_add_f32_e32 v124, v65, v96
	v_dual_add_f32 v126, v53, v61 :: v_dual_min_f32 v53, v23, v11
	v_dual_add_f32 v61, 0, v67 :: v_dual_min_f32 v62, v22, v10
	;; [unrolled: 1-line block ×4, first 2 shown]
	s_delay_alu instid0(VALU_DEP_3) | instskip(SKIP_1) | instid1(VALU_DEP_3)
	v_dual_add_f32 v67, 0, v72 :: v_dual_add_f32 v122, v61, v62
	v_dual_max_f32 v42, v42, v42 :: v_dual_max_f32 v47, v47, v47
	v_dual_add_f32 v121, v52, v53 :: v_dual_add_f32 v120, v65, v66
	v_dual_add_f32 v119, v63, v64 :: v_dual_add_f32 v52, 0, v71
	s_delay_alu instid0(VALU_DEP_4) | instskip(SKIP_3) | instid1(VALU_DEP_3)
	v_dual_add_f32 v61, v67, v68 :: v_dual_add_f32 v62, 0, v74
	v_dual_min_f32 v53, v30, v10 :: v_dual_add_f32 v64, 0, v73
	v_dual_min_f32 v63, v35, v11 :: v_dual_add_f32 v66, 0, v76
	;; [unrolled: 1-line block ×4, first 2 shown]
	v_min_f32_e32 v69, v38, v10
	s_delay_alu instid0(VALU_DEP_4) | instskip(NEXT) | instid1(VALU_DEP_4)
	v_dual_add_f32 v63, v62, v63 :: v_dual_add_f32 v8, 0, v8
	v_add_f32_e32 v62, v64, v65
	s_delay_alu instid0(VALU_DEP_3) | instskip(SKIP_4) | instid1(VALU_DEP_4)
	v_dual_add_f32 v64, v66, v67 :: v_dual_add_f32 v65, v68, v69
	v_dual_add_f32 v9, 0, v9 :: v_dual_min_f32 v10, v42, v10
	v_dual_min_f32 v11, v43, v11 :: v_dual_add_f32 v52, 0, v78
	v_dual_min_f32 v53, v15, v47 :: v_dual_add_f32 v66, 0, v77
	;; [unrolled: 1-line block ×4, first 2 shown]
	s_delay_alu instid0(VALU_DEP_3) | instskip(NEXT) | instid1(VALU_DEP_3)
	v_dual_add_f32 v115, v9, v11 :: v_dual_add_f32 v114, v52, v53
	v_dual_add_f32 v113, v66, v67 :: v_dual_add_f32 v10, 0, v82
	s_delay_alu instid0(VALU_DEP_3) | instskip(SKIP_3) | instid1(VALU_DEP_3)
	v_dual_add_f32 v111, v68, v69 :: v_dual_add_f32 v8, 0, v79
	v_dual_min_f32 v9, v18, v46 :: v_dual_add_f32 v52, 0, v81
	v_dual_min_f32 v11, v23, v47 :: v_dual_add_f32 v66, 0, v84
	;; [unrolled: 1-line block ×4, first 2 shown]
	v_min_f32_e32 v69, v26, v46
	s_delay_alu instid0(VALU_DEP_3) | instskip(SKIP_1) | instid1(VALU_DEP_4)
	v_dual_add_f32 v110, v10, v11 :: v_dual_add_f32 v109, v52, v53
	v_dual_add_f32 v8, 0, v86 :: v_dual_min_f32 v9, v31, v47
	v_dual_add_f32 v10, 0, v85 :: v_dual_add_f32 v107, v66, v67
	s_delay_alu instid0(VALU_DEP_4) | instskip(SKIP_3) | instid1(VALU_DEP_3)
	v_dual_add_f32 v108, v68, v69 :: v_dual_min_f32 v11, v30, v46
	v_dual_add_f32 v52, 0, v92 :: v_dual_min_f32 v53, v35, v47
	v_add_f32_e32 v68, 0, v93
	v_dual_add_f32 v66, 0, v87 :: v_dual_min_f32 v67, v34, v46
	v_dual_min_f32 v69, v39, v47 :: v_dual_add_f32 v104, v52, v53
	v_dual_add_f32 v105, v8, v9 :: v_dual_add_f32 v106, v10, v11
	s_delay_alu instid0(VALU_DEP_3) | instskip(NEXT) | instid1(VALU_DEP_3)
	v_dual_add_f32 v103, v66, v67 :: v_dual_add_f32 v8, 0, v88
	v_dual_add_f32 v101, v68, v69 :: v_dual_add_f32 v44, 0, v44
	v_dual_min_f32 v9, v38, v46 :: v_dual_add_f32 v10, 0, v45
	v_min_f32_e32 v11, v43, v47
	v_dual_min_f32 v45, v42, v46 :: v_dual_add_f32 v52, 0, v89
	v_dual_add_f32 v46, 0, v94 :: v_dual_min_f32 v47, v15, v51
	s_delay_alu instid0(VALU_DEP_4) | instskip(NEXT) | instid1(VALU_DEP_3)
	v_dual_add_f32 v102, v8, v9 :: v_dual_min_f32 v53, v14, v50
	v_dual_add_f32 v98, v44, v45 :: v_dual_add_f32 v99, v10, v11
	s_delay_alu instid0(VALU_DEP_3) | instskip(NEXT) | instid1(VALU_DEP_3)
	v_dual_add_f32 v97, v46, v47 :: v_dual_add_f32 v10, 0, v90
	v_add_f32_e32 v96, v52, v53
	v_dual_add_f32 v8, 0, v95 :: v_dual_min_f32 v11, v18, v50
	v_dual_min_f32 v9, v19, v51 :: v_dual_add_f32 v52, 0, v132
	v_dual_add_f32 v44, 0, v131 :: v_dual_min_f32 v47, v22, v50
	s_delay_alu instid0(VALU_DEP_2) | instskip(SKIP_1) | instid1(VALU_DEP_2)
	v_dual_min_f32 v45, v23, v51 :: v_dual_add_f32 v94, v8, v9
	v_dual_add_f32 v46, 0, v91 :: v_dual_min_f32 v9, v26, v50
	v_dual_min_f32 v53, v27, v51 :: v_dual_add_f32 v92, v44, v45
	v_add_f32_e32 v95, v10, v11
	s_delay_alu instid0(VALU_DEP_3) | instskip(SKIP_3) | instid1(VALU_DEP_4)
	v_dual_add_f32 v93, v46, v47 :: v_dual_add_f32 v8, 0, v100
	v_dual_add_f32 v10, 0, v133 :: v_dual_min_f32 v11, v31, v51
	v_dual_add_f32 v44, 0, v128 :: v_dual_min_f32 v45, v30, v50
	;; [unrolled: 1-line block ×3, first 2 shown]
	v_dual_add_f32 v91, v8, v9 :: v_dual_add_f32 v8, 0, v135
	s_delay_alu instid0(VALU_DEP_3)
	v_dual_add_f32 v89, v10, v11 :: v_dual_add_f32 v88, v44, v45
	v_dual_min_f32 v9, v39, v51 :: v_dual_add_f32 v10, 0, v130
	v_dual_min_f32 v11, v38, v50 :: v_dual_add_f32 v44, 0, v49
	v_add_f32_e32 v90, v52, v53
	v_dual_add_f32 v52, 0, v129 :: v_dual_min_f32 v53, v34, v50
	v_add_f32_e32 v87, v46, v47
	v_dual_min_f32 v45, v43, v51 :: v_dual_add_f32 v46, 0, v48
	v_dual_min_f32 v47, v42, v50 :: v_dual_add_f32 v84, v8, v9
	v_add_f32_e32 v13, 0, v13
	v_dual_min_f32 v15, v15, v127 :: v_dual_add_f32 v8, 0, v12
	v_dual_add_f32 v85, v10, v11 :: v_dual_add_f32 v10, 0, v17
	v_dual_add_f32 v11, 0, v20 :: v_dual_min_f32 v14, v14, v117
	v_dual_add_f32 v82, v46, v47 :: v_dual_add_f32 v83, v44, v45
	s_delay_alu instid0(VALU_DEP_4)
	v_dual_add_f32 v80, v13, v15 :: v_dual_add_f32 v9, 0, v16
	v_dual_add_f32 v12, 0, v21 :: v_dual_add_f32 v13, 0, v24
	v_dual_min_f32 v18, v18, v117 :: v_dual_min_f32 v19, v19, v127
	v_dual_add_f32 v81, v8, v14 :: v_dual_min_f32 v8, v22, v117
	v_dual_add_f32 v15, 0, v25 :: v_dual_add_f32 v16, 0, v28
	v_dual_add_f32 v17, 0, v29 :: v_dual_add_f32 v20, 0, v32
	s_delay_alu instid0(VALU_DEP_4) | instskip(SKIP_4) | instid1(VALU_DEP_4)
	v_dual_add_f32 v29, 0, v41 :: v_dual_add_f32 v78, v9, v18
	v_min_f32_e32 v23, v23, v127
	v_min_f32_e32 v9, v27, v127
	v_dual_add_f32 v77, v11, v8 :: v_dual_min_f32 v8, v26, v117
	v_dual_add_f32 v21, 0, v33 :: v_dual_add_f32 v24, 0, v36
	v_dual_add_f32 v76, v12, v23 :: v_dual_min_f32 v11, v30, v117
	s_delay_alu instid0(VALU_DEP_3)
	v_dual_add_f32 v75, v13, v8 :: v_dual_min_f32 v12, v42, v117
	v_min_f32_e32 v8, v34, v117
	v_dual_add_f32 v79, v10, v19 :: v_dual_add_f32 v74, v15, v9
	v_min_f32_e32 v10, v31, v127
	v_min_f32_e32 v9, v35, v127
	v_dual_add_f32 v25, 0, v37 :: v_dual_add_f32 v28, 0, v40
	s_delay_alu instid0(VALU_DEP_3) | instskip(SKIP_1) | instid1(VALU_DEP_4)
	v_dual_add_f32 v72, v16, v11 :: v_dual_add_f32 v73, v17, v10
	v_min_f32_e32 v10, v38, v117
	v_dual_add_f32 v70, v21, v9 :: v_dual_min_f32 v9, v39, v127
	v_dual_min_f32 v11, v43, v127 :: v_dual_add_f32 v86, v52, v53
	s_delay_alu instid0(VALU_DEP_3) | instskip(SKIP_1) | instid1(VALU_DEP_4)
	v_add_f32_e32 v68, v24, v10
	v_add_f32_e32 v71, v20, v8
	;; [unrolled: 1-line block ×3, first 2 shown]
	s_delay_alu instid0(VALU_DEP_4)
	v_dual_add_f32 v67, v29, v11 :: v_dual_add_f32 v66, v28, v12
	s_cbranch_scc1 .LBB49_36
; %bb.22:
	v_mad_i64_i32 v[4:5], null, s24, v3, 0
	v_add_nc_u32_e32 v6, 8, v57
	v_lshlrev_b64 v[0:1], 2, v[0:1]
	v_add_nc_u32_e32 v100, 0x1000, v7
	v_add_nc_u32_e32 v117, 0x1000, v59
	;; [unrolled: 1-line block ×3, first 2 shown]
	v_mad_i64_i32 v[8:9], null, v6, s14, 0
	v_lshlrev_b64 v[3:4], 2, v[4:5]
	v_add_nc_u32_e32 v5, 12, v57
	v_or_b32_e32 v128, 0x800, v60
	v_lshl_add_u32 v129, v54, 4, 0x1400
	v_lshl_add_u32 v130, v55, 4, 0x800
	v_add_co_u32 v6, s3, v3, v2
	s_delay_alu instid0(VALU_DEP_1) | instskip(SKIP_4) | instid1(VALU_DEP_1)
	v_add_co_ci_u32_e64 v4, s3, 0, v4, s3
	v_add_co_u32 v131, s3, s12, v0
	v_mad_i64_i32 v[2:3], null, v5, s14, 0
	v_add_co_ci_u32_e64 v132, s3, s13, v1, s3
	v_add_co_u32 v0, s3, v6, s8
	v_add_co_ci_u32_e64 v1, s3, s9, v4, s3
	v_lshlrev_b64 v[48:49], 2, v[8:9]
	s_delay_alu instid0(VALU_DEP_3) | instskip(SKIP_1) | instid1(VALU_DEP_4)
	v_add_co_u32 v52, s3, v0, 32
	v_lshlrev_b64 v[50:51], 2, v[2:3]
	v_add_co_ci_u32_e64 v53, s3, 0, v1, s3
	s_add_i32 s12, s18, -8
	s_lshl_b64 s[8:9], s[14:15], 5
	s_branch .LBB49_24
.LBB49_23:                              ;   in Loop: Header=BB49_24 Depth=1
	s_or_b32 exec_lo, exec_lo, s4
	v_dual_add_f32 v36, v125, v36 :: v_dual_add_f32 v41, v124, v41
	v_dual_add_f32 v40, v126, v40 :: v_dual_add_f32 v33, v120, v33
	;; [unrolled: 1-line block ×26, first 2 shown]
	ds_load_b128 v[20:23], v58
	ds_load_b128 v[28:31], v117
	v_dual_add_f32 v77, v77, v10 :: v_dual_add_f32 v126, v43, v7
	v_dual_add_f32 v75, v75, v11 :: v_dual_add_f32 v72, v72, v2
	ds_load_b128 v[8:11], v117 offset:128
	v_dual_add_f32 v105, v105, v140 :: v_dual_add_f32 v102, v102, v143
	v_dual_add_f32 v81, v81, v160 :: v_dual_add_f32 v76, v76, v165
	;; [unrolled: 1-line block ×13, first 2 shown]
	s_waitcnt lgkmcnt(1)
	v_dual_add_f32 v125, v46, v19 :: v_dual_max_f32 v28, v28, v28
	ds_load_b128 v[1:4], v117 offset:256
	ds_load_b128 v[12:15], v117 offset:384
	;; [unrolled: 1-line block ×5, first 2 shown]
	v_dual_add_f32 v5, v98, v5 :: v_dual_add_f32 v98, v99, v144
	v_dual_add_f32 v99, v41, v42 :: v_dual_add_f32 v62, v62, v189
	v_dual_add_f32 v73, v73, v174 :: v_dual_max_f32 v20, v20, v20
	s_waitcnt lgkmcnt(5)
	v_dual_max_f32 v21, v21, v21 :: v_dual_max_f32 v136, v8, v8
	v_max_f32_e32 v29, v29, v29
	ds_load_b128 v[36:39], v117 offset:768
	ds_load_b128 v[40:43], v117 offset:896
	v_max_f32_e32 v9, v9, v9
	v_dual_add_f32 v96, v96, v145 :: v_dual_add_f32 v97, v97, v146
	v_dual_min_f32 v138, v136, v20 :: v_dual_min_f32 v137, v29, v21
	s_waitcnt lgkmcnt(6)
	v_dual_max_f32 v2, v2, v2 :: v_dual_min_f32 v135, v28, v20
	s_waitcnt lgkmcnt(5)
	v_max_f32_e32 v12, v12, v12
	s_waitcnt lgkmcnt(4)
	v_max_f32_e32 v16, v16, v16
	v_add_f32_e32 v66, v66, v137
	s_waitcnt lgkmcnt(3)
	v_dual_max_f32 v13, v13, v13 :: v_dual_max_f32 v24, v24, v24
	v_add_f32_e32 v67, v67, v135
	v_min_f32_e32 v135, v9, v21
	v_max_f32_e32 v1, v1, v1
	v_dual_add_f32 v120, v45, v188 :: v_dual_add_f32 v121, v44, v179
	v_dual_add_f32 v123, v5, v193 :: v_dual_add_f32 v96, v96, v194
	s_delay_alu instid0(VALU_DEP_4)
	v_dual_add_f32 v84, v84, v135 :: v_dual_min_f32 v135, v2, v21
	s_waitcnt lgkmcnt(1)
	v_max_f32_e32 v36, v36, v36
	v_min_f32_e32 v137, v1, v20
	v_dual_add_f32 v99, v99, v138 :: v_dual_min_f32 v138, v12, v20
	s_waitcnt lgkmcnt(0)
	v_dual_add_f32 v101, v101, v135 :: v_dual_max_f32 v40, v40, v40
	v_max_f32_e32 v25, v25, v25
	v_min_f32_e32 v135, v16, v20
	ds_load_b128 v[5:8], v58 offset:1024
	ds_load_b128 v[44:47], v58 offset:1536
	v_add_f32_e32 v108, v108, v138
	v_add_f32_e32 v106, v106, v137
	v_min_f32_e32 v138, v25, v21
	v_dual_min_f32 v137, v13, v21 :: v_dual_add_f32 v110, v110, v135
	v_min_f32_e32 v135, v24, v20
	v_max_f32_e32 v17, v17, v17
	v_dual_add_f32 v63, v63, v181 :: v_dual_add_f32 v102, v102, v184
	s_delay_alu instid0(VALU_DEP_4) | instskip(NEXT) | instid1(VALU_DEP_3)
	v_dual_add_f32 v107, v107, v137 :: v_dual_max_f32 v32, v32, v32
	v_dual_add_f32 v112, v112, v135 :: v_dual_min_f32 v137, v17, v21
	v_max_f32_e32 v37, v37, v37
	v_max_f32_e32 v41, v41, v41
	;; [unrolled: 1-line block ×3, first 2 shown]
	v_dual_add_f32 v93, v93, v149 :: v_dual_add_f32 v92, v92, v150
	v_add_f32_e32 v109, v109, v137
	v_min_f32_e32 v137, v36, v20
	v_min_f32_e32 v20, v40, v20
	v_dual_add_f32 v88, v88, v153 :: v_dual_add_f32 v89, v89, v154
	s_waitcnt lgkmcnt(1)
	v_dual_max_f32 v6, v6, v6 :: v_dual_add_f32 v91, v91, v151
	v_add_f32_e32 v90, v90, v152
	v_add_f32_e32 v20, v116, v20
	v_dual_min_f32 v116, v136, v32 :: v_dual_min_f32 v135, v37, v21
	v_dual_min_f32 v21, v41, v21 :: v_dual_add_f32 v86, v86, v155
	v_add_f32_e32 v87, v87, v156
	v_dual_add_f32 v93, v93, v196 :: v_dual_add_f32 v88, v88, v198
	s_delay_alu instid0(VALU_DEP_3)
	v_add_f32_e32 v21, v115, v21
	v_min_f32_e32 v115, v9, v33
	v_dual_add_f32 v95, v95, v147 :: v_dual_add_f32 v94, v94, v148
	v_dual_add_f32 v61, v61, v180 :: v_dual_add_f32 v64, v64, v190
	;; [unrolled: 1-line block ×4, first 2 shown]
	v_dual_min_f32 v116, v1, v32 :: v_dual_add_f32 v139, v120, v115
	v_min_f32_e32 v115, v13, v33
	v_dual_add_f32 v65, v65, v182 :: v_dual_add_f32 v94, v94, v204
	s_delay_alu instid0(VALU_DEP_3) | instskip(SKIP_1) | instid1(VALU_DEP_4)
	v_add_f32_e32 v140, v61, v116
	v_min_f32_e32 v61, v16, v32
	v_dual_add_f32 v143, v64, v115 :: v_dual_min_f32 v64, v25, v33
	s_waitcnt lgkmcnt(0)
	v_dual_max_f32 v5, v5, v5 :: v_dual_max_f32 v44, v44, v44
	s_delay_alu instid0(VALU_DEP_3) | instskip(NEXT) | instid1(VALU_DEP_3)
	v_dual_add_f32 v144, v65, v61 :: v_dual_min_f32 v61, v36, v32
	v_add_f32_e32 v104, v104, v64
	s_delay_alu instid0(VALU_DEP_3) | instskip(SKIP_1) | instid1(VALU_DEP_2)
	v_dual_min_f32 v64, v12, v5 :: v_dual_add_f32 v103, v103, v183
	v_dual_add_f32 v98, v98, v202 :: v_dual_add_f32 v85, v85, v157
	v_dual_add_f32 v82, v82, v158 :: v_dual_add_f32 v91, v91, v64
	v_min_f32_e32 v64, v25, v6
	v_dual_add_f32 v113, v113, v135 :: v_dual_add_f32 v102, v102, v61
	v_min_f32_e32 v135, v28, v32
	v_dual_add_f32 v95, v95, v195 :: v_dual_add_f32 v90, v90, v206
	v_dual_add_f32 v97, v97, v203 :: v_dual_add_f32 v92, v92, v205
	s_delay_alu instid0(VALU_DEP_3) | instskip(SKIP_4) | instid1(VALU_DEP_4)
	v_add_f32_e32 v135, v119, v135
	v_min_f32_e32 v119, v12, v32
	v_dual_add_f32 v85, v85, v200 :: v_dual_add_f32 v78, v78, v211
	v_add_f32_e32 v114, v114, v137
	v_min_f32_e32 v12, v12, v44
	v_dual_add_f32 v142, v63, v119 :: v_dual_min_f32 v63, v24, v32
	v_min_f32_e32 v32, v40, v32
	v_min_f32_e32 v61, v28, v5
	v_max_f32_e32 v45, v45, v45
	v_dual_add_f32 v89, v89, v207 :: v_dual_add_f32 v82, v82, v209
	v_add_f32_e32 v103, v103, v63
	v_min_f32_e32 v63, v136, v5
	v_dual_add_f32 v96, v96, v61 :: v_dual_min_f32 v61, v9, v6
	v_add_f32_e32 v12, v75, v12
	v_dual_add_f32 v87, v87, v208 :: v_dual_add_f32 v80, v80, v214
	s_delay_alu instid0(VALU_DEP_4) | instskip(SKIP_4) | instid1(VALU_DEP_3)
	v_add_f32_e32 v95, v95, v63
	v_min_f32_e32 v63, v2, v6
	v_min_f32_e32 v137, v29, v33
	v_max_f32_e32 v23, v23, v23
	v_dual_max_f32 v31, v31, v31 :: v_dual_max_f32 v38, v38, v38
	v_dual_add_f32 v92, v92, v63 :: v_dual_add_f32 v137, v118, v137
	v_min_f32_e32 v118, v2, v33
	v_min_f32_e32 v2, v2, v45
	v_dual_add_f32 v94, v94, v61 :: v_dual_min_f32 v61, v13, v6
	v_min_f32_e32 v63, v24, v5
	s_delay_alu instid0(VALU_DEP_4) | instskip(SKIP_1) | instid1(VALU_DEP_4)
	v_dual_add_f32 v141, v62, v118 :: v_dual_min_f32 v62, v17, v33
	v_min_f32_e32 v24, v24, v44
	v_dual_add_f32 v90, v90, v61 :: v_dual_min_f32 v61, v17, v6
	v_dual_add_f32 v87, v87, v64 :: v_dual_max_f32 v22, v22, v22
	s_delay_alu instid0(VALU_DEP_4) | instskip(SKIP_1) | instid1(VALU_DEP_4)
	v_add_f32_e32 v105, v105, v62
	v_min_f32_e32 v62, v37, v33
	v_add_f32_e32 v89, v89, v61
	v_min_f32_e32 v61, v37, v6
	v_dual_min_f32 v33, v41, v33 :: v_dual_min_f32 v28, v28, v44
	s_delay_alu instid0(VALU_DEP_4) | instskip(SKIP_1) | instid1(VALU_DEP_4)
	v_add_f32_e32 v145, v122, v62
	v_min_f32_e32 v62, v29, v6
	v_add_f32_e32 v146, v124, v61
	v_dual_min_f32 v61, v136, v44 :: v_dual_max_f32 v30, v30, v30
	v_max_f32_e32 v10, v10, v10
	s_delay_alu instid0(VALU_DEP_4) | instskip(SKIP_3) | instid1(VALU_DEP_3)
	v_add_f32_e32 v97, v97, v62
	v_min_f32_e32 v62, v1, v5
	v_min_f32_e32 v1, v1, v44
	v_dual_max_f32 v3, v3, v3 :: v_dual_min_f32 v6, v41, v6
	v_dual_max_f32 v4, v4, v4 :: v_dual_add_f32 v93, v93, v62
	v_min_f32_e32 v62, v16, v5
	v_dual_min_f32 v16, v16, v44 :: v_dual_max_f32 v19, v19, v19
	v_dual_max_f32 v35, v35, v35 :: v_dual_max_f32 v14, v14, v14
	s_delay_alu instid0(VALU_DEP_3) | instskip(SKIP_4) | instid1(VALU_DEP_4)
	v_add_f32_e32 v88, v88, v62
	v_min_f32_e32 v62, v36, v5
	v_min_f32_e32 v5, v40, v5
	v_min_f32_e32 v36, v36, v44
	v_min_f32_e32 v40, v40, v44
	v_dual_min_f32 v44, v31, v23 :: v_dual_add_f32 v85, v85, v62
	s_delay_alu instid0(VALU_DEP_3) | instskip(NEXT) | instid1(VALU_DEP_3)
	v_dual_add_f32 v5, v82, v5 :: v_dual_add_f32 v36, v68, v36
	v_dual_min_f32 v29, v29, v45 :: v_dual_add_f32 v40, v126, v40
	s_delay_alu instid0(VALU_DEP_3) | instskip(NEXT) | instid1(VALU_DEP_2)
	v_dual_min_f32 v9, v9, v45 :: v_dual_add_f32 v126, v66, v44
	v_dual_min_f32 v44, v10, v22 :: v_dual_add_f32 v29, v80, v29
	v_min_f32_e32 v13, v13, v45
	s_delay_alu instid0(VALU_DEP_3)
	v_add_f32_e32 v9, v79, v9
	v_dual_min_f32 v25, v25, v45 :: v_dual_max_f32 v18, v18, v18
	v_min_f32_e32 v37, v37, v45
	v_dual_min_f32 v41, v41, v45 :: v_dual_add_f32 v124, v99, v44
	v_dual_add_f32 v13, v74, v13 :: v_dual_min_f32 v44, v3, v22
	v_min_f32_e32 v17, v17, v45
	v_min_f32_e32 v45, v30, v22
	v_add_f32_e32 v1, v77, v1
	v_add_f32_e32 v41, v125, v41
	v_max_f32_e32 v27, v27, v27
	v_max_f32_e32 v39, v39, v39
	v_dual_add_f32 v125, v67, v45 :: v_dual_max_f32 v42, v42, v42
	v_dual_min_f32 v45, v4, v23 :: v_dual_add_f32 v78, v78, v61
	v_max_f32_e32 v15, v15, v15
	v_add_f32_e32 v32, v123, v32
	s_delay_alu instid0(VALU_DEP_3) | instskip(SKIP_4) | instid1(VALU_DEP_4)
	v_dual_add_f32 v122, v106, v44 :: v_dual_add_f32 v121, v101, v45
	v_min_f32_e32 v45, v14, v22
	v_dual_max_f32 v34, v34, v34 :: v_dual_add_f32 v17, v73, v17
	v_max_f32_e32 v26, v26, v26
	v_add_f32_e32 v24, v71, v24
	v_dual_add_f32 v120, v108, v45 :: v_dual_min_f32 v45, v18, v22
	v_max_f32_e32 v11, v11, v11
	v_dual_min_f32 v44, v19, v23 :: v_dual_add_f32 v25, v70, v25
	v_add_f32_e32 v86, v86, v63
	s_delay_alu instid0(VALU_DEP_4) | instskip(NEXT) | instid1(VALU_DEP_4)
	v_dual_add_f32 v118, v110, v45 :: v_dual_min_f32 v45, v39, v23
	v_min_f32_e32 v61, v11, v23
	v_dual_add_f32 v37, v69, v37 :: v_dual_min_f32 v62, v26, v22
	v_dual_max_f32 v43, v43, v43 :: v_dual_max_f32 v8, v8, v8
	s_delay_alu instid0(VALU_DEP_4) | instskip(NEXT) | instid1(VALU_DEP_4)
	v_add_f32_e32 v64, v113, v45
	v_add_f32_e32 v123, v84, v61
	s_delay_alu instid0(VALU_DEP_4) | instskip(SKIP_2) | instid1(VALU_DEP_3)
	v_dual_min_f32 v61, v15, v23 :: v_dual_add_f32 v62, v112, v62
	v_max_f32_e32 v7, v7, v7
	v_dual_add_f32 v33, v98, v33 :: v_dual_add_f32 v28, v81, v28
	v_add_f32_e32 v119, v107, v61
	v_dual_add_f32 v61, v109, v44 :: v_dual_min_f32 v44, v27, v23
	v_min_f32_e32 v45, v30, v34
	v_add_f32_e32 v2, v76, v2
	v_add_f32_e32 v16, v72, v16
	;; [unrolled: 1-line block ×3, first 2 shown]
	v_dual_add_f32 v63, v111, v44 :: v_dual_min_f32 v44, v38, v22
	v_min_f32_e32 v22, v42, v22
	v_add_co_u32 v131, s3, v131, s8
	s_delay_alu instid0(VALU_DEP_1) | instskip(NEXT) | instid1(VALU_DEP_3)
	v_add_co_ci_u32_e64 v132, s3, s9, v132, s3
	v_add_f32_e32 v116, v20, v22
	v_min_f32_e32 v20, v10, v34
	v_min_f32_e32 v22, v3, v34
	v_add_co_u32 v52, s3, v52, 32
	s_delay_alu instid0(VALU_DEP_1) | instskip(NEXT) | instid1(VALU_DEP_4)
	v_add_co_ci_u32_e64 v53, s3, 0, v53, s3
	v_add_f32_e32 v112, v138, v20
	v_min_f32_e32 v20, v14, v34
	v_add_f32_e32 v109, v140, v22
	s_add_i32 s23, s23, 8
	s_waitcnt vmcnt(0)
	ds_store_b32 v127, v133
	ds_store_2addr_stride64_b32 v128, v134, v0 offset1:4
	s_cmp_ge_i32 s23, s12
	v_add_f32_e32 v108, v142, v20
	v_min_f32_e32 v20, v18, v34
	v_min_f32_e32 v22, v27, v35
	s_waitcnt lgkmcnt(0)
	s_barrier
	buffer_gl0_inv
	v_add_f32_e32 v106, v144, v20
	v_add_f32_e32 v104, v104, v22
	v_dual_min_f32 v20, v38, v34 :: v_dual_min_f32 v23, v43, v23
	v_min_f32_e32 v22, v42, v34
	v_dual_add_f32 v65, v114, v44 :: v_dual_min_f32 v44, v31, v35
	s_delay_alu instid0(VALU_DEP_3) | instskip(SKIP_1) | instid1(VALU_DEP_4)
	v_dual_add_f32 v102, v102, v20 :: v_dual_add_f32 v115, v21, v23
	v_min_f32_e32 v20, v31, v8
	v_add_f32_e32 v98, v32, v22
	v_dual_min_f32 v22, v4, v8 :: v_dual_min_f32 v21, v11, v35
	v_add_f32_e32 v114, v137, v44
	s_delay_alu instid0(VALU_DEP_4) | instskip(NEXT) | instid1(VALU_DEP_3)
	v_dual_add_f32 v97, v97, v20 :: v_dual_min_f32 v20, v10, v7
	v_dual_add_f32 v92, v92, v22 :: v_dual_add_f32 v111, v139, v21
	v_min_f32_e32 v21, v4, v35
	s_delay_alu instid0(VALU_DEP_3) | instskip(SKIP_1) | instid1(VALU_DEP_2)
	v_dual_min_f32 v22, v18, v7 :: v_dual_add_f32 v95, v95, v20
	v_min_f32_e32 v20, v14, v7
	v_add_f32_e32 v88, v88, v22
	v_max_f32_e32 v22, v47, v47
	s_delay_alu instid0(VALU_DEP_3) | instskip(SKIP_2) | instid1(VALU_DEP_2)
	v_add_f32_e32 v91, v91, v20
	v_min_f32_e32 v20, v27, v8
	v_dual_add_f32 v110, v141, v21 :: v_dual_min_f32 v21, v19, v35
	v_dual_min_f32 v4, v4, v22 :: v_dual_add_f32 v87, v87, v20
	s_delay_alu instid0(VALU_DEP_2) | instskip(NEXT) | instid1(VALU_DEP_2)
	v_add_f32_e32 v105, v105, v21
	v_dual_min_f32 v21, v39, v35 :: v_dual_add_f32 v76, v2, v4
	s_delay_alu instid0(VALU_DEP_1) | instskip(NEXT) | instid1(VALU_DEP_1)
	v_dual_min_f32 v2, v15, v22 :: v_dual_add_f32 v101, v145, v21
	v_dual_min_f32 v21, v43, v35 :: v_dual_add_f32 v74, v13, v2
	s_delay_alu instid0(VALU_DEP_1) | instskip(SKIP_1) | instid1(VALU_DEP_2)
	v_dual_min_f32 v2, v27, v22 :: v_dual_add_f32 v99, v33, v21
	v_min_f32_e32 v21, v11, v8
	v_dual_min_f32 v23, v15, v35 :: v_dual_add_f32 v70, v25, v2
	v_min_f32_e32 v2, v39, v22
	s_delay_alu instid0(VALU_DEP_2) | instskip(SKIP_2) | instid1(VALU_DEP_4)
	v_dual_add_f32 v94, v94, v21 :: v_dual_add_f32 v107, v143, v23
	v_min_f32_e32 v23, v26, v34
	v_min_f32_e32 v21, v3, v7
	v_add_f32_e32 v69, v37, v2
	s_delay_alu instid0(VALU_DEP_2) | instskip(SKIP_1) | instid1(VALU_DEP_1)
	v_add_f32_e32 v93, v93, v21
	v_min_f32_e32 v21, v19, v8
	v_add_f32_e32 v89, v89, v21
	v_min_f32_e32 v21, v39, v8
	s_delay_alu instid0(VALU_DEP_1) | instskip(SKIP_1) | instid1(VALU_DEP_1)
	v_dual_add_f32 v103, v103, v23 :: v_dual_add_f32 v84, v146, v21
	v_max_f32_e32 v21, v46, v46
	v_min_f32_e32 v4, v18, v21
	v_min_f32_e32 v23, v30, v7
	v_dual_add_f32 v113, v135, v45 :: v_dual_min_f32 v20, v38, v7
	s_delay_alu instid0(VALU_DEP_3) | instskip(NEXT) | instid1(VALU_DEP_3)
	v_dual_min_f32 v3, v3, v21 :: v_dual_add_f32 v72, v16, v4
	v_dual_add_f32 v96, v96, v23 :: v_dual_min_f32 v23, v15, v8
	s_delay_alu instid0(VALU_DEP_2) | instskip(SKIP_1) | instid1(VALU_DEP_3)
	v_dual_min_f32 v8, v43, v8 :: v_dual_add_f32 v77, v1, v3
	v_min_f32_e32 v1, v14, v21
	v_dual_min_f32 v3, v19, v22 :: v_dual_add_f32 v90, v90, v23
	v_min_f32_e32 v23, v26, v7
	v_min_f32_e32 v7, v42, v7
	v_dual_add_f32 v83, v6, v8 :: v_dual_min_f32 v6, v11, v22
	s_delay_alu instid0(VALU_DEP_3) | instskip(NEXT) | instid1(VALU_DEP_3)
	v_dual_add_f32 v75, v12, v1 :: v_dual_add_f32 v86, v86, v23
	v_dual_add_f32 v82, v5, v7 :: v_dual_min_f32 v5, v30, v21
	v_min_f32_e32 v23, v31, v22
	v_min_f32_e32 v7, v10, v21
	v_add_f32_e32 v73, v17, v3
	v_min_f32_e32 v1, v26, v21
	v_add_f32_e32 v81, v28, v5
	v_dual_min_f32 v3, v38, v21 :: v_dual_min_f32 v4, v43, v22
	v_min_f32_e32 v5, v42, v21
	v_add_f32_e32 v85, v85, v20
	v_add_f32_e32 v80, v29, v23
	v_dual_add_f32 v79, v9, v6 :: v_dual_add_f32 v78, v78, v7
	v_add_f32_e32 v71, v24, v1
	v_dual_add_f32 v68, v36, v3 :: v_dual_add_f32 v67, v41, v4
	v_add_f32_e32 v66, v40, v5
	s_cbranch_scc1 .LBB49_36
.LBB49_24:                              ; =>This Inner Loop Header: Depth=1
	v_dual_mov_b32 v134, 0 :: v_dual_add_nc_u32 v133, s23, v56
	s_delay_alu instid0(VALU_DEP_1) | instskip(NEXT) | instid1(VALU_DEP_1)
	v_add_nc_u32_e32 v0, 8, v133
	v_cmp_gt_i32_e64 s3, s18, v0
	s_delay_alu instid0(VALU_DEP_1) | instskip(NEXT) | instid1(SALU_CYCLE_1)
	s_and_b32 s4, s3, s22
	s_and_saveexec_b32 s3, s4
	s_cbranch_execz .LBB49_26
; %bb.25:                               ;   in Loop: Header=BB49_24 Depth=1
	flat_load_b32 v134, v[52:53]
.LBB49_26:                              ;   in Loop: Header=BB49_24 Depth=1
	s_or_b32 exec_lo, exec_lo, s3
	v_dual_mov_b32 v136, 0 :: v_dual_add_nc_u32 v135, s23, v57
	s_delay_alu instid0(VALU_DEP_1) | instskip(NEXT) | instid1(VALU_DEP_1)
	v_dual_mov_b32 v137, 0 :: v_dual_add_nc_u32 v0, 8, v135
	v_cmp_le_i32_e64 s3, s18, v0
	s_delay_alu instid0(VALU_DEP_1) | instskip(NEXT) | instid1(SALU_CYCLE_1)
	s_or_b32 s4, vcc_lo, s3
	s_xor_b32 s4, s4, -1
	s_delay_alu instid0(SALU_CYCLE_1)
	s_and_saveexec_b32 s13, s4
	s_cbranch_execz .LBB49_28
; %bb.27:                               ;   in Loop: Header=BB49_24 Depth=1
	v_add_co_u32 v0, s4, v131, v48
	s_delay_alu instid0(VALU_DEP_1)
	v_add_co_ci_u32_e64 v1, s4, v132, v49, s4
	flat_load_b32 v137, v[0:1]
.LBB49_28:                              ;   in Loop: Header=BB49_24 Depth=1
	s_or_b32 exec_lo, exec_lo, s13
	s_or_b32 s3, s2, s3
	s_delay_alu instid0(SALU_CYCLE_1) | instskip(NEXT) | instid1(SALU_CYCLE_1)
	s_xor_b32 s3, s3, -1
	s_and_saveexec_b32 s4, s3
	s_cbranch_execz .LBB49_30
; %bb.29:                               ;   in Loop: Header=BB49_24 Depth=1
	v_add_co_u32 v0, s3, v131, v48
	s_delay_alu instid0(VALU_DEP_1)
	v_add_co_ci_u32_e64 v1, s3, v132, v49, s3
	flat_load_b32 v136, v[0:1] offset:256
.LBB49_30:                              ;   in Loop: Header=BB49_24 Depth=1
	s_or_b32 exec_lo, exec_lo, s4
	ds_load_b128 v[40:43], v129
	ds_load_b128 v[36:39], v129 offset:128
	ds_load_b128 v[32:35], v129 offset:256
	;; [unrolled: 1-line block ×7, first 2 shown]
	ds_load_b128 v[44:47], v130
	ds_load_b128 v[8:11], v130 offset:512
	ds_load_b128 v[4:7], v130 offset:1024
	;; [unrolled: 1-line block ×3, first 2 shown]
	v_add_nc_u32_e32 v133, 12, v133
	s_waitcnt vmcnt(0) lgkmcnt(12)
	ds_store_b32 v100, v134
	ds_store_2addr_stride64_b32 v60, v137, v136 offset1:4
	v_mov_b32_e32 v134, 0
	s_waitcnt lgkmcnt(0)
	s_barrier
	v_cmp_gt_i32_e64 s3, s18, v133
	v_mov_b32_e32 v133, 0
	buffer_gl0_inv
	s_and_b32 s4, s3, s22
	s_delay_alu instid0(SALU_CYCLE_1)
	s_and_saveexec_b32 s3, s4
	s_cbranch_execz .LBB49_32
; %bb.31:                               ;   in Loop: Header=BB49_24 Depth=1
	flat_load_b32 v133, v[52:53] offset:16
.LBB49_32:                              ;   in Loop: Header=BB49_24 Depth=1
	s_or_b32 exec_lo, exec_lo, s3
	v_add_nc_u32_e32 v135, 12, v135
	s_delay_alu instid0(VALU_DEP_1) | instskip(NEXT) | instid1(VALU_DEP_1)
	v_cmp_le_i32_e64 s3, s18, v135
	s_or_b32 s4, vcc_lo, s3
	s_delay_alu instid0(SALU_CYCLE_1) | instskip(NEXT) | instid1(SALU_CYCLE_1)
	s_xor_b32 s4, s4, -1
	s_and_saveexec_b32 s13, s4
	s_cbranch_execz .LBB49_34
; %bb.33:                               ;   in Loop: Header=BB49_24 Depth=1
	v_add_co_u32 v134, s4, v131, v50
	s_delay_alu instid0(VALU_DEP_1)
	v_add_co_ci_u32_e64 v135, s4, v132, v51, s4
	flat_load_b32 v134, v[134:135]
.LBB49_34:                              ;   in Loop: Header=BB49_24 Depth=1
	s_or_b32 exec_lo, exec_lo, s13
	v_dual_max_f32 v44, v44, v44 :: v_dual_max_f32 v45, v45, v45
	v_dual_max_f32 v160, v40, v40 :: v_dual_max_f32 v161, v41, v41
	;; [unrolled: 1-line block ×4, first 2 shown]
	s_delay_alu instid0(VALU_DEP_3)
	v_dual_min_f32 v36, v160, v44 :: v_dual_max_f32 v165, v33, v33
	v_dual_max_f32 v164, v32, v32 :: v_dual_max_f32 v167, v29, v29
	v_max_f32_e32 v166, v28, v28
	v_dual_max_f32 v170, v20, v20 :: v_dual_max_f32 v171, v21, v21
	v_dual_max_f32 v172, v16, v16 :: v_dual_max_f32 v173, v17, v17
	v_dual_min_f32 v16, v168, v44 :: v_dual_max_f32 v175, v13, v13
	v_dual_max_f32 v174, v12, v12 :: v_dual_max_f32 v145, v9, v9
	v_max_f32_e32 v144, v8, v8
	v_dual_max_f32 v158, v4, v4 :: v_dual_max_f32 v159, v5, v5
	v_max_f32_e32 v0, v0, v0
	v_dual_min_f32 v40, v161, v45 :: v_dual_min_f32 v41, v162, v44
	v_dual_min_f32 v28, v163, v45 :: v_dual_min_f32 v29, v164, v44
	v_min_f32_e32 v37, v167, v45
	v_dual_min_f32 v32, v165, v45 :: v_dual_min_f32 v33, v166, v44
	v_dual_min_f32 v20, v169, v45 :: v_dual_min_f32 v21, v170, v44
	;; [unrolled: 1-line block ×4, first 2 shown]
	v_min_f32_e32 v17, v161, v145
	v_dual_min_f32 v12, v175, v45 :: v_dual_min_f32 v13, v160, v144
	v_dual_min_f32 v44, v162, v144 :: v_dual_min_f32 v45, v163, v145
	;; [unrolled: 1-line block ×9, first 2 shown]
	v_dual_min_f32 v157, v172, v158 :: v_dual_max_f32 v176, v1, v1
	v_dual_min_f32 v1, v173, v159 :: v_dual_min_f32 v160, v160, v0
	v_dual_max_f32 v177, v46, v46 :: v_dual_max_f32 v220, v27, v27
	v_max_f32_e32 v221, v22, v22
	v_dual_min_f32 v147, v162, v158 :: v_dual_min_f32 v148, v163, v159
	v_dual_min_f32 v149, v164, v158 :: v_dual_min_f32 v150, v165, v159
	;; [unrolled: 1-line block ×6, first 2 shown]
	v_dual_min_f32 v161, v161, v176 :: v_dual_max_f32 v210, v42, v42
	v_dual_min_f32 v162, v162, v0 :: v_dual_max_f32 v211, v43, v43
	;; [unrolled: 1-line block ×4, first 2 shown]
	v_min_f32_e32 v166, v166, v0
	v_min_f32_e32 v167, v167, v176
	v_dual_min_f32 v168, v168, v0 :: v_dual_max_f32 v217, v30, v30
	v_min_f32_e32 v172, v172, v0
	v_min_f32_e32 v173, v173, v176
	v_dual_min_f32 v43, v174, v0 :: v_dual_max_f32 v216, v35, v35
	v_min_f32_e32 v170, v170, v0
	v_max_f32_e32 v0, v39, v39
	v_max_f32_e32 v174, v34, v34
	v_dual_max_f32 v218, v31, v31 :: v_dual_max_f32 v219, v26, v26
	v_dual_max_f32 v222, v23, v23 :: v_dual_max_f32 v223, v18, v18
	v_dual_min_f32 v22, v221, v177 :: v_dual_max_f32 v19, v19, v19
	v_dual_max_f32 v224, v14, v14 :: v_dual_max_f32 v225, v15, v15
	v_dual_max_f32 v10, v10, v10 :: v_dual_max_f32 v11, v11, v11
	;; [unrolled: 1-line block ×4, first 2 shown]
	v_dual_min_f32 v163, v163, v176 :: v_dual_min_f32 v38, v210, v177
	v_dual_min_f32 v169, v169, v176 :: v_dual_min_f32 v42, v215, v177
	;; [unrolled: 1-line block ×5, first 2 shown]
	v_min_f32_e32 v175, v220, v178
	v_min_f32_e32 v35, v216, v178
	v_min_f32_e32 v31, v217, v177
	v_dual_min_f32 v18, v219, v177 :: v_dual_min_f32 v189, v216, v11
	v_dual_min_f32 v176, v222, v178 :: v_dual_min_f32 v23, v223, v177
	;; [unrolled: 1-line block ×18, first 2 shown]
	v_min_f32_e32 v200, v223, v6
	v_dual_min_f32 v209, v224, v6 :: v_dual_min_f32 v214, v211, v227
	v_dual_min_f32 v210, v210, v226 :: v_dual_min_f32 v15, v19, v227
	;; [unrolled: 1-line block ×4, first 2 shown]
	v_min_f32_e32 v19, v225, v227
	v_dual_min_f32 v11, v217, v226 :: v_dual_min_f32 v174, v220, v227
	v_dual_min_f32 v27, v218, v227 :: v_dual_min_f32 v2, v219, v226
	v_dual_min_f32 v3, v221, v226 :: v_dual_min_f32 v14, v222, v227
	v_min_f32_e32 v6, v223, v226
	v_dual_min_f32 v7, v224, v226 :: v_dual_mov_b32 v0, 0
	s_or_b32 s3, s2, s3
	s_delay_alu instid0(SALU_CYCLE_1) | instskip(NEXT) | instid1(SALU_CYCLE_1)
	s_xor_b32 s3, s3, -1
	s_and_saveexec_b32 s4, s3
	s_cbranch_execz .LBB49_23
; %bb.35:                               ;   in Loop: Header=BB49_24 Depth=1
	v_add_co_u32 v216, s3, v131, v50
	s_delay_alu instid0(VALU_DEP_1)
	v_add_co_ci_u32_e64 v217, s3, v132, v51, s3
	flat_load_b32 v0, v[216:217] offset:256
	s_branch .LBB49_23
.LBB49_36:
	s_clause 0x2
	s_load_b32 s12, s[0:1], 0x50
	s_load_b32 s9, s[0:1], 0x68
	s_load_b64 s[0:1], s[0:1], 0x70
	v_add_nc_u32_e32 v117, s21, v55
	ds_load_b128 v[32:35], v59 offset:5120
	ds_load_b128 v[28:31], v59 offset:5248
	;; [unrolled: 1-line block ×12, first 2 shown]
	v_add_nc_u32_e32 v48, s5, v54
	v_cmp_gt_i32_e64 s8, s17, v117
	v_cndmask_b32_e64 v100, 0, 1, s20
	s_waitcnt lgkmcnt(0)
	v_mad_i64_i32 v[49:50], null, v117, s12, 0
	v_mad_i64_i32 v[51:52], null, v117, s9, 0
	s_lshl_b64 s[0:1], s[0:1], 2
	s_delay_alu instid0(SALU_CYCLE_1) | instskip(SKIP_1) | instid1(VALU_DEP_2)
	s_add_u32 s13, s6, s0
	s_addc_u32 s14, s7, s1
	v_lshlrev_b64 v[49:50], 2, v[49:50]
	v_cmp_gt_i32_e64 s0, s16, v48
	s_delay_alu instid0(VALU_DEP_3) | instskip(NEXT) | instid1(VALU_DEP_2)
	v_lshlrev_b64 v[51:52], 2, v[51:52]
	s_and_b32 s2, s0, s8
	s_delay_alu instid0(VALU_DEP_3) | instskip(NEXT) | instid1(VALU_DEP_4)
	v_add_co_u32 v129, vcc_lo, s10, v49
	v_add_co_ci_u32_e32 v130, vcc_lo, s11, v50, vcc_lo
	s_delay_alu instid0(VALU_DEP_3) | instskip(NEXT) | instid1(VALU_DEP_4)
	v_add_co_u32 v127, vcc_lo, s13, v51
	v_add_co_ci_u32_e32 v128, vcc_lo, s14, v52, vcc_lo
	v_ashrrev_i32_e32 v49, 31, v48
	s_and_saveexec_b32 s1, s2
	s_cbranch_execz .LBB49_41
; %bb.37:
	s_delay_alu instid0(VALU_DEP_1)
	v_lshlrev_b64 v[50:51], 2, v[48:49]
	s_and_not1_b32 vcc_lo, exec_lo, s20
	s_cbranch_vccnz .LBB49_39
; %bb.38:
	s_delay_alu instid0(VALU_DEP_1) | instskip(NEXT) | instid1(VALU_DEP_2)
	v_add_co_u32 v52, vcc_lo, v129, v50
	v_add_co_ci_u32_e32 v53, vcc_lo, v130, v51, vcc_lo
	flat_load_b32 v52, v[52:53]
	s_waitcnt vmcnt(0) lgkmcnt(0)
	v_mul_f32_e32 v52, s19, v52
	s_branch .LBB49_40
.LBB49_39:
	v_mov_b32_e32 v52, 0
.LBB49_40:
	v_dual_max_f32 v53, v45, v45 :: v_dual_max_f32 v56, v32, v32
	v_dual_max_f32 v54, v33, v33 :: v_dual_max_f32 v55, v44, v44
	;; [unrolled: 1-line block ×3, first 2 shown]
	v_max_f32_e32 v59, v35, v35
	s_delay_alu instid0(VALU_DEP_3) | instskip(NEXT) | instid1(VALU_DEP_4)
	v_min_f32_e32 v53, v54, v53
	v_dual_max_f32 v54, v34, v34 :: v_dual_min_f32 v55, v56, v55
	v_add_co_u32 v50, vcc_lo, v127, v50
	v_add_co_ci_u32_e32 v51, vcc_lo, v128, v51, vcc_lo
	s_delay_alu instid0(VALU_DEP_3) | instskip(NEXT) | instid1(VALU_DEP_4)
	v_min_f32_e32 v54, v54, v57
	v_dual_min_f32 v56, v59, v58 :: v_dual_add_f32 v55, v125, v55
	s_delay_alu instid0(VALU_DEP_1) | instskip(NEXT) | instid1(VALU_DEP_1)
	v_dual_add_f32 v53, v126, v53 :: v_dual_add_f32 v54, v55, v54
	v_add_f32_e32 v53, v53, v56
	s_delay_alu instid0(VALU_DEP_1) | instskip(NEXT) | instid1(VALU_DEP_1)
	v_add_f32_e32 v53, v54, v53
	v_add_f32_e32 v52, v53, v52
	global_store_b32 v[50:51], v52, off
.LBB49_41:
	s_or_b32 exec_lo, exec_lo, s1
	v_add_nc_u32_e32 v50, 8, v48
	s_delay_alu instid0(VALU_DEP_1) | instskip(SKIP_1) | instid1(VALU_DEP_2)
	v_cmp_gt_i32_e64 s1, s16, v50
	v_ashrrev_i32_e32 v51, 31, v50
	s_and_b32 s3, s1, s8
	s_delay_alu instid0(SALU_CYCLE_1)
	s_and_saveexec_b32 s2, s3
	s_cbranch_execz .LBB49_46
; %bb.42:
	v_cmp_ne_u32_e32 vcc_lo, 1, v100
	v_lshlrev_b64 v[52:53], 2, v[50:51]
	s_cbranch_vccnz .LBB49_44
; %bb.43:
	s_delay_alu instid0(VALU_DEP_1) | instskip(NEXT) | instid1(VALU_DEP_2)
	v_add_co_u32 v54, vcc_lo, v129, v52
	v_add_co_ci_u32_e32 v55, vcc_lo, v130, v53, vcc_lo
	flat_load_b32 v54, v[54:55]
	s_waitcnt vmcnt(0) lgkmcnt(0)
	v_mul_f32_e32 v54, s19, v54
	s_branch .LBB49_45
.LBB49_44:
	v_mov_b32_e32 v54, 0
.LBB49_45:
	v_dual_max_f32 v55, v45, v45 :: v_dual_max_f32 v58, v28, v28
	v_dual_max_f32 v56, v29, v29 :: v_dual_max_f32 v57, v44, v44
	;; [unrolled: 1-line block ×3, first 2 shown]
	v_add_co_u32 v52, vcc_lo, v127, v52
	s_delay_alu instid0(VALU_DEP_3) | instskip(NEXT) | instid1(VALU_DEP_4)
	v_dual_min_f32 v55, v56, v55 :: v_dual_max_f32 v56, v30, v30
	v_min_f32_e32 v57, v58, v57
	v_add_co_ci_u32_e32 v53, vcc_lo, v128, v53, vcc_lo
	s_delay_alu instid0(VALU_DEP_3) | instskip(NEXT) | instid1(VALU_DEP_3)
	v_min_f32_e32 v56, v56, v59
	v_add_f32_e32 v57, v124, v57
	s_delay_alu instid0(VALU_DEP_1) | instskip(NEXT) | instid1(VALU_DEP_1)
	v_dual_max_f32 v125, v31, v31 :: v_dual_add_f32 v56, v57, v56
	v_dual_add_f32 v55, v123, v55 :: v_dual_min_f32 v58, v125, v60
	s_delay_alu instid0(VALU_DEP_1) | instskip(NEXT) | instid1(VALU_DEP_1)
	v_add_f32_e32 v55, v55, v58
	v_add_f32_e32 v55, v56, v55
	s_delay_alu instid0(VALU_DEP_1)
	v_add_f32_e32 v54, v55, v54
	global_store_b32 v[52:53], v54, off
.LBB49_46:
	s_or_b32 exec_lo, exec_lo, s2
	v_add_nc_u32_e32 v52, 16, v48
	s_delay_alu instid0(VALU_DEP_1) | instskip(SKIP_1) | instid1(VALU_DEP_2)
	v_cmp_gt_i32_e64 s2, s16, v52
	v_ashrrev_i32_e32 v53, 31, v52
	s_and_b32 s4, s2, s8
	s_delay_alu instid0(SALU_CYCLE_1)
	s_and_saveexec_b32 s3, s4
	s_cbranch_execz .LBB49_51
; %bb.47:
	v_cmp_ne_u32_e32 vcc_lo, 1, v100
	v_lshlrev_b64 v[54:55], 2, v[52:53]
	s_cbranch_vccnz .LBB49_49
; %bb.48:
	s_delay_alu instid0(VALU_DEP_1) | instskip(NEXT) | instid1(VALU_DEP_2)
	v_add_co_u32 v56, vcc_lo, v129, v54
	v_add_co_ci_u32_e32 v57, vcc_lo, v130, v55, vcc_lo
	flat_load_b32 v56, v[56:57]
	s_waitcnt vmcnt(0) lgkmcnt(0)
	v_mul_f32_e32 v56, s19, v56
	s_branch .LBB49_50
.LBB49_49:
	v_mov_b32_e32 v56, 0
.LBB49_50:
	v_dual_max_f32 v57, v45, v45 :: v_dual_max_f32 v60, v24, v24
	v_dual_max_f32 v58, v25, v25 :: v_dual_max_f32 v59, v44, v44
	v_dual_max_f32 v123, v46, v46 :: v_dual_max_f32 v124, v47, v47
	v_max_f32_e32 v125, v27, v27
	s_delay_alu instid0(VALU_DEP_3) | instskip(NEXT) | instid1(VALU_DEP_4)
	v_min_f32_e32 v57, v58, v57
	v_dual_max_f32 v58, v26, v26 :: v_dual_min_f32 v59, v60, v59
	v_add_co_u32 v54, vcc_lo, v127, v54
	s_delay_alu instid0(VALU_DEP_4) | instskip(NEXT) | instid1(VALU_DEP_3)
	v_min_f32_e32 v60, v125, v124
	v_dual_add_f32 v57, v121, v57 :: v_dual_min_f32 v58, v58, v123
	s_delay_alu instid0(VALU_DEP_4) | instskip(SKIP_1) | instid1(VALU_DEP_2)
	v_add_f32_e32 v59, v122, v59
	v_add_co_ci_u32_e32 v55, vcc_lo, v128, v55, vcc_lo
	v_dual_add_f32 v57, v57, v60 :: v_dual_add_f32 v58, v59, v58
	s_delay_alu instid0(VALU_DEP_1) | instskip(NEXT) | instid1(VALU_DEP_1)
	v_add_f32_e32 v57, v58, v57
	v_add_f32_e32 v56, v57, v56
	global_store_b32 v[54:55], v56, off
.LBB49_51:
	s_or_b32 exec_lo, exec_lo, s3
	v_add_nc_u32_e32 v54, 24, v48
	s_delay_alu instid0(VALU_DEP_1) | instskip(SKIP_1) | instid1(VALU_DEP_2)
	v_cmp_gt_i32_e64 s3, s16, v54
	v_ashrrev_i32_e32 v55, 31, v54
	s_and_b32 s5, s3, s8
	s_delay_alu instid0(SALU_CYCLE_1)
	s_and_saveexec_b32 s4, s5
	s_cbranch_execz .LBB49_56
; %bb.52:
	v_cmp_ne_u32_e32 vcc_lo, 1, v100
	v_lshlrev_b64 v[56:57], 2, v[54:55]
	s_cbranch_vccnz .LBB49_54
; %bb.53:
	s_delay_alu instid0(VALU_DEP_1) | instskip(NEXT) | instid1(VALU_DEP_2)
	v_add_co_u32 v58, vcc_lo, v129, v56
	v_add_co_ci_u32_e32 v59, vcc_lo, v130, v57, vcc_lo
	flat_load_b32 v58, v[58:59]
	s_waitcnt vmcnt(0) lgkmcnt(0)
	v_mul_f32_e32 v58, s19, v58
	s_branch .LBB49_55
.LBB49_54:
	v_mov_b32_e32 v58, 0
.LBB49_55:
	v_dual_max_f32 v59, v45, v45 :: v_dual_max_f32 v122, v20, v20
	v_dual_max_f32 v60, v21, v21 :: v_dual_max_f32 v121, v44, v44
	;; [unrolled: 1-line block ×3, first 2 shown]
	v_add_co_u32 v56, vcc_lo, v127, v56
	s_delay_alu instid0(VALU_DEP_3) | instskip(NEXT) | instid1(VALU_DEP_4)
	v_dual_min_f32 v59, v60, v59 :: v_dual_max_f32 v60, v22, v22
	v_min_f32_e32 v121, v122, v121
	v_add_co_ci_u32_e32 v57, vcc_lo, v128, v57, vcc_lo
	s_delay_alu instid0(VALU_DEP_3) | instskip(NEXT) | instid1(VALU_DEP_3)
	v_min_f32_e32 v60, v60, v123
	v_dual_max_f32 v125, v23, v23 :: v_dual_add_f32 v120, v120, v121
	v_add_f32_e32 v59, v119, v59
	s_delay_alu instid0(VALU_DEP_2) | instskip(NEXT) | instid1(VALU_DEP_1)
	v_min_f32_e32 v119, v125, v124
	v_dual_add_f32 v60, v120, v60 :: v_dual_add_f32 v59, v59, v119
	s_delay_alu instid0(VALU_DEP_1) | instskip(NEXT) | instid1(VALU_DEP_1)
	v_add_f32_e32 v59, v60, v59
	v_add_f32_e32 v58, v59, v58
	global_store_b32 v[56:57], v58, off
.LBB49_56:
	s_or_b32 exec_lo, exec_lo, s4
	v_add_nc_u32_e32 v56, 32, v48
	s_delay_alu instid0(VALU_DEP_1) | instskip(SKIP_1) | instid1(VALU_DEP_2)
	v_cmp_gt_i32_e64 s4, s16, v56
	v_ashrrev_i32_e32 v57, 31, v56
	s_and_b32 s6, s4, s8
	s_delay_alu instid0(SALU_CYCLE_1)
	s_and_saveexec_b32 s5, s6
	s_cbranch_execz .LBB49_61
; %bb.57:
	v_cmp_ne_u32_e32 vcc_lo, 1, v100
	v_lshlrev_b64 v[58:59], 2, v[56:57]
	s_cbranch_vccnz .LBB49_59
; %bb.58:
	s_delay_alu instid0(VALU_DEP_1) | instskip(NEXT) | instid1(VALU_DEP_2)
	v_add_co_u32 v119, vcc_lo, v129, v58
	v_add_co_ci_u32_e32 v120, vcc_lo, v130, v59, vcc_lo
	flat_load_b32 v60, v[119:120]
	s_waitcnt vmcnt(0) lgkmcnt(0)
	v_mul_f32_e32 v60, s19, v60
	s_branch .LBB49_60
.LBB49_59:
	v_mov_b32_e32 v60, 0
.LBB49_60:
	v_dual_max_f32 v119, v45, v45 :: v_dual_max_f32 v122, v16, v16
	v_dual_max_f32 v120, v17, v17 :: v_dual_max_f32 v121, v44, v44
	;; [unrolled: 1-line block ×3, first 2 shown]
	v_add_co_u32 v58, vcc_lo, v127, v58
	s_delay_alu instid0(VALU_DEP_3) | instskip(NEXT) | instid1(VALU_DEP_4)
	v_dual_min_f32 v119, v120, v119 :: v_dual_max_f32 v120, v18, v18
	v_min_f32_e32 v121, v122, v121
	v_max_f32_e32 v125, v19, v19
	v_add_co_ci_u32_e32 v59, vcc_lo, v128, v59, vcc_lo
	s_delay_alu instid0(VALU_DEP_3) | instskip(NEXT) | instid1(VALU_DEP_3)
	v_dual_add_f32 v61, v61, v119 :: v_dual_add_f32 v118, v118, v121
	v_dual_min_f32 v119, v120, v123 :: v_dual_min_f32 v120, v125, v124
	s_delay_alu instid0(VALU_DEP_1) | instskip(NEXT) | instid1(VALU_DEP_1)
	v_dual_add_f32 v118, v118, v119 :: v_dual_add_f32 v61, v61, v120
	v_add_f32_e32 v61, v118, v61
	s_delay_alu instid0(VALU_DEP_1)
	v_add_f32_e32 v60, v61, v60
	global_store_b32 v[58:59], v60, off
.LBB49_61:
	s_or_b32 exec_lo, exec_lo, s5
	v_add_nc_u32_e32 v58, 40, v48
	s_delay_alu instid0(VALU_DEP_1) | instskip(SKIP_1) | instid1(VALU_DEP_2)
	v_cmp_gt_i32_e64 s5, s16, v58
	v_ashrrev_i32_e32 v59, 31, v58
	s_and_b32 s7, s5, s8
	s_delay_alu instid0(SALU_CYCLE_1)
	s_and_saveexec_b32 s6, s7
	s_cbranch_execz .LBB49_66
; %bb.62:
	v_cmp_ne_u32_e32 vcc_lo, 1, v100
	v_lshlrev_b64 v[60:61], 2, v[58:59]
	s_cbranch_vccnz .LBB49_64
; %bb.63:
	s_delay_alu instid0(VALU_DEP_1) | instskip(NEXT) | instid1(VALU_DEP_2)
	v_add_co_u32 v118, vcc_lo, v129, v60
	v_add_co_ci_u32_e32 v119, vcc_lo, v130, v61, vcc_lo
	flat_load_b32 v118, v[118:119]
	s_waitcnt vmcnt(0) lgkmcnt(0)
	v_mul_f32_e32 v118, s19, v118
	s_branch .LBB49_65
.LBB49_64:
	v_mov_b32_e32 v118, 0
.LBB49_65:
	v_dual_max_f32 v119, v45, v45 :: v_dual_max_f32 v122, v12, v12
	v_dual_max_f32 v120, v13, v13 :: v_dual_max_f32 v121, v44, v44
	;; [unrolled: 1-line block ×3, first 2 shown]
	v_add_co_u32 v60, vcc_lo, v127, v60
	s_delay_alu instid0(VALU_DEP_3) | instskip(NEXT) | instid1(VALU_DEP_4)
	v_dual_min_f32 v119, v120, v119 :: v_dual_max_f32 v120, v14, v14
	v_min_f32_e32 v121, v122, v121
	v_max_f32_e32 v125, v15, v15
	v_add_co_ci_u32_e32 v61, vcc_lo, v128, v61, vcc_lo
	s_delay_alu instid0(VALU_DEP_4) | instskip(NEXT) | instid1(VALU_DEP_4)
	v_add_f32_e32 v63, v63, v119
	v_dual_min_f32 v119, v120, v123 :: v_dual_add_f32 v62, v62, v121
	s_delay_alu instid0(VALU_DEP_4) | instskip(NEXT) | instid1(VALU_DEP_1)
	v_min_f32_e32 v120, v125, v124
	v_dual_add_f32 v62, v62, v119 :: v_dual_add_f32 v63, v63, v120
	s_delay_alu instid0(VALU_DEP_1) | instskip(NEXT) | instid1(VALU_DEP_1)
	v_add_f32_e32 v62, v62, v63
	v_add_f32_e32 v62, v62, v118
	global_store_b32 v[60:61], v62, off
.LBB49_66:
	s_or_b32 exec_lo, exec_lo, s6
	v_add_nc_u32_e32 v60, 48, v48
	s_delay_alu instid0(VALU_DEP_1) | instskip(SKIP_1) | instid1(VALU_DEP_2)
	v_cmp_gt_i32_e64 s6, s16, v60
	v_ashrrev_i32_e32 v61, 31, v60
	s_and_b32 s15, s6, s8
	s_delay_alu instid0(SALU_CYCLE_1)
	s_and_saveexec_b32 s7, s15
	s_cbranch_execz .LBB49_71
; %bb.67:
	v_cmp_ne_u32_e32 vcc_lo, 1, v100
	v_lshlrev_b64 v[62:63], 2, v[60:61]
	s_cbranch_vccnz .LBB49_69
; %bb.68:
	s_delay_alu instid0(VALU_DEP_1) | instskip(NEXT) | instid1(VALU_DEP_2)
	v_add_co_u32 v118, vcc_lo, v129, v62
	v_add_co_ci_u32_e32 v119, vcc_lo, v130, v63, vcc_lo
	flat_load_b32 v118, v[118:119]
	s_waitcnt vmcnt(0) lgkmcnt(0)
	v_mul_f32_e32 v118, s19, v118
	s_branch .LBB49_70
.LBB49_69:
	v_mov_b32_e32 v118, 0
.LBB49_70:
	v_dual_max_f32 v119, v45, v45 :: v_dual_max_f32 v122, v8, v8
	v_dual_max_f32 v120, v9, v9 :: v_dual_max_f32 v121, v44, v44
	;; [unrolled: 1-line block ×3, first 2 shown]
	v_add_co_u32 v62, vcc_lo, v127, v62
	s_delay_alu instid0(VALU_DEP_3) | instskip(NEXT) | instid1(VALU_DEP_4)
	v_dual_min_f32 v119, v120, v119 :: v_dual_max_f32 v120, v10, v10
	v_min_f32_e32 v121, v122, v121
	v_add_co_ci_u32_e32 v63, vcc_lo, v128, v63, vcc_lo
	s_delay_alu instid0(VALU_DEP_3) | instskip(SKIP_3) | instid1(VALU_DEP_3)
	v_add_f32_e32 v64, v64, v119
	v_max_f32_e32 v125, v11, v11
	v_min_f32_e32 v119, v120, v123
	v_add_f32_e32 v65, v65, v121
	v_min_f32_e32 v120, v125, v124
	s_delay_alu instid0(VALU_DEP_1) | instskip(NEXT) | instid1(VALU_DEP_1)
	v_dual_add_f32 v65, v65, v119 :: v_dual_add_f32 v64, v64, v120
	v_add_f32_e32 v64, v65, v64
	s_delay_alu instid0(VALU_DEP_1)
	v_add_f32_e32 v64, v64, v118
	global_store_b32 v[62:63], v64, off
.LBB49_71:
	s_or_b32 exec_lo, exec_lo, s7
	v_add_nc_u32_e32 v62, 56, v48
	s_delay_alu instid0(VALU_DEP_1) | instskip(SKIP_1) | instid1(VALU_DEP_2)
	v_cmp_gt_i32_e64 s7, s16, v62
	v_ashrrev_i32_e32 v63, 31, v62
	s_and_b32 s15, s7, s8
	s_delay_alu instid0(SALU_CYCLE_1)
	s_and_saveexec_b32 s8, s15
	s_cbranch_execz .LBB49_76
; %bb.72:
	v_cmp_ne_u32_e32 vcc_lo, 1, v100
	v_lshlrev_b64 v[64:65], 2, v[62:63]
	s_cbranch_vccnz .LBB49_74
; %bb.73:
	s_delay_alu instid0(VALU_DEP_1) | instskip(NEXT) | instid1(VALU_DEP_2)
	v_add_co_u32 v118, vcc_lo, v129, v64
	v_add_co_ci_u32_e32 v119, vcc_lo, v130, v65, vcc_lo
	flat_load_b32 v118, v[118:119]
	s_waitcnt vmcnt(0) lgkmcnt(0)
	v_mul_f32_e32 v118, s19, v118
	s_branch .LBB49_75
.LBB49_74:
	v_mov_b32_e32 v118, 0
.LBB49_75:
	v_dual_max_f32 v45, v45, v45 :: v_dual_max_f32 v44, v44, v44
	v_dual_max_f32 v119, v1, v1 :: v_dual_max_f32 v120, v0, v0
	s_delay_alu instid0(VALU_DEP_1) | instskip(NEXT) | instid1(VALU_DEP_2)
	v_dual_max_f32 v46, v46, v46 :: v_dual_min_f32 v45, v119, v45
	v_dual_max_f32 v119, v2, v2 :: v_dual_min_f32 v44, v120, v44
	v_max_f32_e32 v47, v47, v47
	s_delay_alu instid0(VALU_DEP_2) | instskip(NEXT) | instid1(VALU_DEP_3)
	v_dual_add_f32 v45, v115, v45 :: v_dual_add_f32 v44, v116, v44
	v_min_f32_e32 v46, v119, v46
	s_delay_alu instid0(VALU_DEP_1) | instskip(NEXT) | instid1(VALU_DEP_1)
	v_dual_max_f32 v121, v3, v3 :: v_dual_add_f32 v44, v44, v46
	v_min_f32_e32 v47, v121, v47
	s_delay_alu instid0(VALU_DEP_1) | instskip(NEXT) | instid1(VALU_DEP_1)
	v_add_f32_e32 v45, v45, v47
	v_add_f32_e32 v44, v44, v45
	s_delay_alu instid0(VALU_DEP_1)
	v_add_f32_e32 v46, v44, v118
	v_add_co_u32 v44, vcc_lo, v127, v64
	v_add_co_ci_u32_e32 v45, vcc_lo, v128, v65, vcc_lo
	global_store_b32 v[44:45], v46, off
.LBB49_76:
	s_or_b32 exec_lo, exec_lo, s8
	v_add_nc_u32_e32 v64, 32, v117
	s_delay_alu instid0(VALU_DEP_1) | instskip(SKIP_2) | instid1(VALU_DEP_3)
	v_mad_i64_i32 v[44:45], null, v64, s12, 0
	v_mad_i64_i32 v[46:47], null, v64, s9, 0
	v_cmp_gt_i32_e64 s8, s17, v64
	v_lshlrev_b64 v[44:45], 2, v[44:45]
	s_delay_alu instid0(VALU_DEP_2) | instskip(NEXT) | instid1(VALU_DEP_3)
	s_and_b32 s16, s0, s8
	v_lshlrev_b64 v[46:47], 2, v[46:47]
	s_delay_alu instid0(VALU_DEP_2) | instskip(NEXT) | instid1(VALU_DEP_3)
	v_add_co_u32 v64, vcc_lo, s10, v44
	v_add_co_ci_u32_e32 v65, vcc_lo, s11, v45, vcc_lo
	s_delay_alu instid0(VALU_DEP_3) | instskip(NEXT) | instid1(VALU_DEP_4)
	v_add_co_u32 v46, vcc_lo, s13, v46
	v_add_co_ci_u32_e32 v47, vcc_lo, s14, v47, vcc_lo
	s_and_saveexec_b32 s15, s16
	s_cbranch_execnz .LBB49_84
; %bb.77:
	s_or_b32 exec_lo, exec_lo, s15
	s_and_b32 s16, s1, s8
	s_delay_alu instid0(SALU_CYCLE_1)
	s_and_saveexec_b32 s15, s16
	s_cbranch_execnz .LBB49_88
.LBB49_78:
	s_or_b32 exec_lo, exec_lo, s15
	s_and_b32 s16, s2, s8
	s_delay_alu instid0(SALU_CYCLE_1)
	s_and_saveexec_b32 s15, s16
	s_cbranch_execnz .LBB49_92
.LBB49_79:
	s_or_b32 exec_lo, exec_lo, s15
	s_and_b32 s16, s3, s8
	s_delay_alu instid0(SALU_CYCLE_1)
	s_and_saveexec_b32 s15, s16
	s_cbranch_execnz .LBB49_96
.LBB49_80:
	s_or_b32 exec_lo, exec_lo, s15
	s_and_b32 s16, s4, s8
	s_delay_alu instid0(SALU_CYCLE_1)
	s_and_saveexec_b32 s15, s16
	s_cbranch_execnz .LBB49_100
.LBB49_81:
	s_or_b32 exec_lo, exec_lo, s15
	s_and_b32 s16, s5, s8
	s_delay_alu instid0(SALU_CYCLE_1)
	s_and_saveexec_b32 s15, s16
	s_cbranch_execnz .LBB49_104
.LBB49_82:
	s_or_b32 exec_lo, exec_lo, s15
	s_and_b32 s16, s6, s8
	s_delay_alu instid0(SALU_CYCLE_1)
	s_and_saveexec_b32 s15, s16
	s_cbranch_execnz .LBB49_108
.LBB49_83:
	s_or_b32 exec_lo, exec_lo, s15
	s_and_b32 s15, s7, s8
	s_delay_alu instid0(SALU_CYCLE_1)
	s_and_saveexec_b32 s8, s15
	s_cbranch_execnz .LBB49_112
	s_branch .LBB49_116
.LBB49_84:
	v_cmp_ne_u32_e32 vcc_lo, 1, v100
	v_lshlrev_b64 v[44:45], 2, v[48:49]
	s_cbranch_vccnz .LBB49_86
; %bb.85:
	s_delay_alu instid0(VALU_DEP_1) | instskip(NEXT) | instid1(VALU_DEP_2)
	v_add_co_u32 v115, vcc_lo, v64, v44
	v_add_co_ci_u32_e32 v116, vcc_lo, v65, v45, vcc_lo
	flat_load_b32 v115, v[115:116]
	s_waitcnt vmcnt(0) lgkmcnt(0)
	v_mul_f32_e32 v115, s19, v115
	s_branch .LBB49_87
.LBB49_86:
	v_mov_b32_e32 v115, 0
.LBB49_87:
	v_dual_max_f32 v116, v41, v41 :: v_dual_max_f32 v119, v40, v40
	v_dual_max_f32 v118, v33, v33 :: v_dual_max_f32 v121, v42, v42
	;; [unrolled: 1-line block ×3, first 2 shown]
	v_add_co_u32 v44, vcc_lo, v46, v44
	s_delay_alu instid0(VALU_DEP_2) | instskip(SKIP_2) | instid1(VALU_DEP_3)
	v_dual_min_f32 v116, v118, v116 :: v_dual_min_f32 v119, v120, v119
	v_max_f32_e32 v118, v34, v34
	v_add_co_ci_u32_e32 v45, vcc_lo, v47, v45, vcc_lo
	v_dual_add_f32 v114, v114, v116 :: v_dual_add_f32 v113, v113, v119
	s_delay_alu instid0(VALU_DEP_3) | instskip(NEXT) | instid1(VALU_DEP_1)
	v_min_f32_e32 v116, v118, v121
	v_dual_max_f32 v122, v43, v43 :: v_dual_add_f32 v113, v113, v116
	s_delay_alu instid0(VALU_DEP_1) | instskip(NEXT) | instid1(VALU_DEP_1)
	v_min_f32_e32 v118, v123, v122
	v_add_f32_e32 v114, v114, v118
	s_delay_alu instid0(VALU_DEP_1) | instskip(NEXT) | instid1(VALU_DEP_1)
	v_add_f32_e32 v113, v113, v114
	v_add_f32_e32 v113, v113, v115
	global_store_b32 v[44:45], v113, off
	s_or_b32 exec_lo, exec_lo, s15
	s_and_b32 s16, s1, s8
	s_delay_alu instid0(SALU_CYCLE_1)
	s_and_saveexec_b32 s15, s16
	s_cbranch_execz .LBB49_78
.LBB49_88:
	v_cmp_ne_u32_e32 vcc_lo, 1, v100
	v_lshlrev_b64 v[44:45], 2, v[50:51]
	s_cbranch_vccnz .LBB49_90
; %bb.89:
	s_delay_alu instid0(VALU_DEP_1) | instskip(NEXT) | instid1(VALU_DEP_2)
	v_add_co_u32 v113, vcc_lo, v64, v44
	v_add_co_ci_u32_e32 v114, vcc_lo, v65, v45, vcc_lo
	flat_load_b32 v113, v[113:114]
	s_waitcnt vmcnt(0) lgkmcnt(0)
	v_mul_f32_e32 v113, s19, v113
	s_branch .LBB49_91
.LBB49_90:
	v_mov_b32_e32 v113, 0
.LBB49_91:
	v_dual_max_f32 v114, v41, v41 :: v_dual_max_f32 v119, v42, v42
	v_dual_max_f32 v115, v29, v29 :: v_dual_max_f32 v116, v40, v40
	v_max_f32_e32 v118, v28, v28
	v_max_f32_e32 v120, v43, v43
	;; [unrolled: 1-line block ×3, first 2 shown]
	s_delay_alu instid0(VALU_DEP_4) | instskip(SKIP_3) | instid1(VALU_DEP_4)
	v_min_f32_e32 v114, v115, v114
	v_max_f32_e32 v115, v30, v30
	v_min_f32_e32 v116, v118, v116
	v_add_co_u32 v44, vcc_lo, v46, v44
	v_add_f32_e32 v111, v111, v114
	s_delay_alu instid0(VALU_DEP_4) | instskip(NEXT) | instid1(VALU_DEP_4)
	v_min_f32_e32 v114, v115, v119
	v_add_f32_e32 v112, v112, v116
	v_min_f32_e32 v115, v121, v120
	v_add_co_ci_u32_e32 v45, vcc_lo, v47, v45, vcc_lo
	s_delay_alu instid0(VALU_DEP_2) | instskip(NEXT) | instid1(VALU_DEP_1)
	v_dual_add_f32 v112, v112, v114 :: v_dual_add_f32 v111, v111, v115
	v_add_f32_e32 v111, v112, v111
	s_delay_alu instid0(VALU_DEP_1) | instskip(SKIP_3) | instid1(SALU_CYCLE_1)
	v_add_f32_e32 v111, v111, v113
	global_store_b32 v[44:45], v111, off
	s_or_b32 exec_lo, exec_lo, s15
	s_and_b32 s16, s2, s8
	s_and_saveexec_b32 s15, s16
	s_cbranch_execz .LBB49_79
.LBB49_92:
	v_cmp_ne_u32_e32 vcc_lo, 1, v100
	v_lshlrev_b64 v[44:45], 2, v[52:53]
	s_cbranch_vccnz .LBB49_94
; %bb.93:
	s_delay_alu instid0(VALU_DEP_1) | instskip(NEXT) | instid1(VALU_DEP_2)
	v_add_co_u32 v111, vcc_lo, v64, v44
	v_add_co_ci_u32_e32 v112, vcc_lo, v65, v45, vcc_lo
	flat_load_b32 v111, v[111:112]
	s_waitcnt vmcnt(0) lgkmcnt(0)
	v_mul_f32_e32 v111, s19, v111
	s_branch .LBB49_95
.LBB49_94:
	v_mov_b32_e32 v111, 0
.LBB49_95:
	v_dual_max_f32 v112, v41, v41 :: v_dual_max_f32 v115, v24, v24
	v_dual_max_f32 v113, v25, v25 :: v_dual_max_f32 v114, v40, v40
	;; [unrolled: 1-line block ×3, first 2 shown]
	v_add_co_u32 v44, vcc_lo, v46, v44
	s_delay_alu instid0(VALU_DEP_3) | instskip(SKIP_1) | instid1(VALU_DEP_2)
	v_dual_min_f32 v112, v113, v112 :: v_dual_max_f32 v113, v26, v26
	v_add_co_ci_u32_e32 v45, vcc_lo, v47, v45, vcc_lo
	v_add_f32_e32 v110, v110, v112
	s_delay_alu instid0(VALU_DEP_3) | instskip(SKIP_1) | instid1(VALU_DEP_1)
	v_min_f32_e32 v112, v113, v116
	v_min_f32_e32 v114, v115, v114
	v_dual_max_f32 v118, v43, v43 :: v_dual_add_f32 v109, v109, v114
	s_delay_alu instid0(VALU_DEP_1) | instskip(NEXT) | instid1(VALU_DEP_1)
	v_min_f32_e32 v113, v119, v118
	v_dual_add_f32 v109, v109, v112 :: v_dual_add_f32 v110, v110, v113
	s_delay_alu instid0(VALU_DEP_1) | instskip(NEXT) | instid1(VALU_DEP_1)
	v_add_f32_e32 v109, v109, v110
	v_add_f32_e32 v109, v109, v111
	global_store_b32 v[44:45], v109, off
	s_or_b32 exec_lo, exec_lo, s15
	s_and_b32 s16, s3, s8
	s_delay_alu instid0(SALU_CYCLE_1)
	s_and_saveexec_b32 s15, s16
	s_cbranch_execz .LBB49_80
.LBB49_96:
	v_cmp_ne_u32_e32 vcc_lo, 1, v100
	v_lshlrev_b64 v[44:45], 2, v[54:55]
	s_cbranch_vccnz .LBB49_98
; %bb.97:
	s_delay_alu instid0(VALU_DEP_1) | instskip(NEXT) | instid1(VALU_DEP_2)
	v_add_co_u32 v109, vcc_lo, v64, v44
	v_add_co_ci_u32_e32 v110, vcc_lo, v65, v45, vcc_lo
	flat_load_b32 v109, v[109:110]
	s_waitcnt vmcnt(0) lgkmcnt(0)
	v_mul_f32_e32 v109, s19, v109
	s_branch .LBB49_99
.LBB49_98:
	v_mov_b32_e32 v109, 0
.LBB49_99:
	v_dual_max_f32 v110, v41, v41 :: v_dual_max_f32 v113, v20, v20
	v_dual_max_f32 v111, v21, v21 :: v_dual_max_f32 v112, v40, v40
	;; [unrolled: 1-line block ×3, first 2 shown]
	v_max_f32_e32 v116, v23, v23
	s_delay_alu instid0(VALU_DEP_3) | instskip(NEXT) | instid1(VALU_DEP_4)
	v_min_f32_e32 v110, v111, v110
	v_dual_max_f32 v111, v22, v22 :: v_dual_min_f32 v112, v113, v112
	v_add_co_u32 v44, vcc_lo, v46, v44
	s_delay_alu instid0(VALU_DEP_3) | instskip(NEXT) | instid1(VALU_DEP_3)
	v_add_f32_e32 v107, v107, v110
	v_dual_min_f32 v110, v111, v114 :: v_dual_min_f32 v111, v116, v115
	s_delay_alu instid0(VALU_DEP_4) | instskip(SKIP_1) | instid1(VALU_DEP_2)
	v_add_f32_e32 v108, v108, v112
	v_add_co_ci_u32_e32 v45, vcc_lo, v47, v45, vcc_lo
	v_dual_add_f32 v107, v107, v111 :: v_dual_add_f32 v108, v108, v110
	s_delay_alu instid0(VALU_DEP_1) | instskip(NEXT) | instid1(VALU_DEP_1)
	v_add_f32_e32 v107, v108, v107
	v_add_f32_e32 v107, v107, v109
	global_store_b32 v[44:45], v107, off
	s_or_b32 exec_lo, exec_lo, s15
	s_and_b32 s16, s4, s8
	s_delay_alu instid0(SALU_CYCLE_1)
	s_and_saveexec_b32 s15, s16
	s_cbranch_execz .LBB49_81
.LBB49_100:
	v_cmp_ne_u32_e32 vcc_lo, 1, v100
	v_lshlrev_b64 v[44:45], 2, v[56:57]
	s_cbranch_vccnz .LBB49_102
; %bb.101:
	s_delay_alu instid0(VALU_DEP_1) | instskip(NEXT) | instid1(VALU_DEP_2)
	v_add_co_u32 v107, vcc_lo, v64, v44
	v_add_co_ci_u32_e32 v108, vcc_lo, v65, v45, vcc_lo
	flat_load_b32 v107, v[107:108]
	s_waitcnt vmcnt(0) lgkmcnt(0)
	v_mul_f32_e32 v107, s19, v107
	s_branch .LBB49_103
.LBB49_102:
	v_mov_b32_e32 v107, 0
.LBB49_103:
	v_dual_max_f32 v108, v41, v41 :: v_dual_max_f32 v111, v16, v16
	v_dual_max_f32 v109, v17, v17 :: v_dual_max_f32 v110, v40, v40
	;; [unrolled: 1-line block ×3, first 2 shown]
	v_add_co_u32 v44, vcc_lo, v46, v44
	s_delay_alu instid0(VALU_DEP_3) | instskip(SKIP_2) | instid1(VALU_DEP_3)
	v_dual_min_f32 v108, v109, v108 :: v_dual_max_f32 v109, v18, v18
	v_max_f32_e32 v114, v19, v19
	v_add_co_ci_u32_e32 v45, vcc_lo, v47, v45, vcc_lo
	v_dual_add_f32 v105, v105, v108 :: v_dual_min_f32 v110, v111, v110
	s_delay_alu instid0(VALU_DEP_3) | instskip(NEXT) | instid1(VALU_DEP_1)
	v_dual_min_f32 v108, v109, v112 :: v_dual_min_f32 v109, v114, v113
	v_dual_add_f32 v106, v106, v110 :: v_dual_add_f32 v105, v105, v109
	s_delay_alu instid0(VALU_DEP_1) | instskip(NEXT) | instid1(VALU_DEP_1)
	v_add_f32_e32 v106, v106, v108
	v_add_f32_e32 v105, v106, v105
	s_delay_alu instid0(VALU_DEP_1) | instskip(SKIP_3) | instid1(SALU_CYCLE_1)
	v_add_f32_e32 v105, v105, v107
	global_store_b32 v[44:45], v105, off
	s_or_b32 exec_lo, exec_lo, s15
	s_and_b32 s16, s5, s8
	s_and_saveexec_b32 s15, s16
	s_cbranch_execz .LBB49_82
.LBB49_104:
	v_cmp_ne_u32_e32 vcc_lo, 1, v100
	v_lshlrev_b64 v[44:45], 2, v[58:59]
	s_cbranch_vccnz .LBB49_106
; %bb.105:
	s_delay_alu instid0(VALU_DEP_1) | instskip(NEXT) | instid1(VALU_DEP_2)
	v_add_co_u32 v105, vcc_lo, v64, v44
	v_add_co_ci_u32_e32 v106, vcc_lo, v65, v45, vcc_lo
	flat_load_b32 v105, v[105:106]
	s_waitcnt vmcnt(0) lgkmcnt(0)
	v_mul_f32_e32 v105, s19, v105
	s_branch .LBB49_107
.LBB49_106:
	v_mov_b32_e32 v105, 0
.LBB49_107:
	v_dual_max_f32 v106, v41, v41 :: v_dual_max_f32 v109, v12, v12
	v_dual_max_f32 v107, v13, v13 :: v_dual_max_f32 v108, v40, v40
	v_dual_max_f32 v110, v42, v42 :: v_dual_max_f32 v111, v43, v43
	v_max_f32_e32 v112, v15, v15
	s_delay_alu instid0(VALU_DEP_3) | instskip(NEXT) | instid1(VALU_DEP_4)
	v_min_f32_e32 v106, v107, v106
	v_dual_max_f32 v107, v14, v14 :: v_dual_min_f32 v108, v109, v108
	v_add_co_u32 v44, vcc_lo, v46, v44
	s_delay_alu instid0(VALU_DEP_3) | instskip(NEXT) | instid1(VALU_DEP_3)
	v_add_f32_e32 v104, v104, v106
	v_min_f32_e32 v106, v107, v110
	s_delay_alu instid0(VALU_DEP_4) | instskip(SKIP_2) | instid1(VALU_DEP_2)
	v_add_f32_e32 v103, v103, v108
	v_min_f32_e32 v107, v112, v111
	v_add_co_ci_u32_e32 v45, vcc_lo, v47, v45, vcc_lo
	v_dual_add_f32 v103, v103, v106 :: v_dual_add_f32 v104, v104, v107
	s_delay_alu instid0(VALU_DEP_1) | instskip(NEXT) | instid1(VALU_DEP_1)
	v_add_f32_e32 v103, v103, v104
	v_add_f32_e32 v103, v103, v105
	global_store_b32 v[44:45], v103, off
	s_or_b32 exec_lo, exec_lo, s15
	s_and_b32 s16, s6, s8
	s_delay_alu instid0(SALU_CYCLE_1)
	s_and_saveexec_b32 s15, s16
	s_cbranch_execz .LBB49_83
.LBB49_108:
	v_cmp_ne_u32_e32 vcc_lo, 1, v100
	v_lshlrev_b64 v[44:45], 2, v[60:61]
	s_cbranch_vccnz .LBB49_110
; %bb.109:
	s_delay_alu instid0(VALU_DEP_1) | instskip(NEXT) | instid1(VALU_DEP_2)
	v_add_co_u32 v103, vcc_lo, v64, v44
	v_add_co_ci_u32_e32 v104, vcc_lo, v65, v45, vcc_lo
	flat_load_b32 v103, v[103:104]
	s_waitcnt vmcnt(0) lgkmcnt(0)
	v_mul_f32_e32 v103, s19, v103
	s_branch .LBB49_111
.LBB49_110:
	v_mov_b32_e32 v103, 0
.LBB49_111:
	v_dual_max_f32 v104, v41, v41 :: v_dual_max_f32 v107, v8, v8
	v_dual_max_f32 v105, v9, v9 :: v_dual_max_f32 v106, v40, v40
	;; [unrolled: 1-line block ×3, first 2 shown]
	v_add_co_u32 v44, vcc_lo, v46, v44
	s_delay_alu instid0(VALU_DEP_3) | instskip(SKIP_2) | instid1(VALU_DEP_3)
	v_dual_min_f32 v104, v105, v104 :: v_dual_max_f32 v105, v10, v10
	v_max_f32_e32 v110, v11, v11
	v_add_co_ci_u32_e32 v45, vcc_lo, v47, v45, vcc_lo
	v_dual_add_f32 v101, v101, v104 :: v_dual_min_f32 v106, v107, v106
	s_delay_alu instid0(VALU_DEP_3) | instskip(NEXT) | instid1(VALU_DEP_1)
	v_dual_min_f32 v104, v105, v108 :: v_dual_min_f32 v105, v110, v109
	v_dual_add_f32 v102, v102, v106 :: v_dual_add_f32 v101, v101, v105
	s_delay_alu instid0(VALU_DEP_1) | instskip(NEXT) | instid1(VALU_DEP_1)
	v_add_f32_e32 v102, v102, v104
	v_add_f32_e32 v101, v102, v101
	s_delay_alu instid0(VALU_DEP_1) | instskip(SKIP_3) | instid1(SALU_CYCLE_1)
	v_add_f32_e32 v101, v101, v103
	global_store_b32 v[44:45], v101, off
	s_or_b32 exec_lo, exec_lo, s15
	s_and_b32 s15, s7, s8
	s_and_saveexec_b32 s8, s15
	s_cbranch_execz .LBB49_116
.LBB49_112:
	v_cmp_ne_u32_e32 vcc_lo, 1, v100
	v_lshlrev_b64 v[44:45], 2, v[62:63]
	s_cbranch_vccnz .LBB49_114
; %bb.113:
	s_delay_alu instid0(VALU_DEP_1) | instskip(NEXT) | instid1(VALU_DEP_2)
	v_add_co_u32 v64, vcc_lo, v64, v44
	v_add_co_ci_u32_e32 v65, vcc_lo, v65, v45, vcc_lo
	flat_load_b32 v64, v[64:65]
	s_waitcnt vmcnt(0) lgkmcnt(0)
	v_mul_f32_e32 v64, s19, v64
	s_branch .LBB49_115
.LBB49_114:
	v_mov_b32_e32 v64, 0
.LBB49_115:
	v_dual_max_f32 v41, v41, v41 :: v_dual_max_f32 v40, v40, v40
	v_dual_max_f32 v65, v1, v1 :: v_dual_max_f32 v42, v42, v42
	v_dual_max_f32 v101, v0, v0 :: v_dual_max_f32 v102, v3, v3
	s_delay_alu instid0(VALU_DEP_1) | instskip(NEXT) | instid1(VALU_DEP_1)
	v_dual_max_f32 v43, v43, v43 :: v_dual_min_f32 v40, v101, v40
	v_dual_min_f32 v41, v65, v41 :: v_dual_add_f32 v40, v98, v40
	s_delay_alu instid0(VALU_DEP_1) | instskip(NEXT) | instid1(VALU_DEP_3)
	v_add_f32_e32 v41, v99, v41
	v_min_f32_e32 v43, v102, v43
	s_delay_alu instid0(VALU_DEP_1) | instskip(SKIP_1) | instid1(VALU_DEP_1)
	v_add_f32_e32 v41, v41, v43
	v_max_f32_e32 v65, v2, v2
	v_min_f32_e32 v42, v65, v42
	s_delay_alu instid0(VALU_DEP_1) | instskip(NEXT) | instid1(VALU_DEP_1)
	v_add_f32_e32 v40, v40, v42
	v_add_f32_e32 v40, v40, v41
	s_delay_alu instid0(VALU_DEP_1)
	v_add_f32_e32 v42, v40, v64
	v_add_co_u32 v40, vcc_lo, v46, v44
	v_add_co_ci_u32_e32 v41, vcc_lo, v47, v45, vcc_lo
	global_store_b32 v[40:41], v42, off
.LBB49_116:
	s_or_b32 exec_lo, exec_lo, s8
	v_add_nc_u32_e32 v44, 64, v117
	s_delay_alu instid0(VALU_DEP_1) | instskip(SKIP_2) | instid1(VALU_DEP_3)
	v_mad_i64_i32 v[40:41], null, v44, s12, 0
	v_mad_i64_i32 v[42:43], null, v44, s9, 0
	v_cmp_gt_i32_e64 s8, s17, v44
	v_lshlrev_b64 v[40:41], 2, v[40:41]
	s_delay_alu instid0(VALU_DEP_2) | instskip(NEXT) | instid1(VALU_DEP_3)
	s_and_b32 s16, s0, s8
	v_lshlrev_b64 v[42:43], 2, v[42:43]
	s_delay_alu instid0(VALU_DEP_2) | instskip(NEXT) | instid1(VALU_DEP_3)
	v_add_co_u32 v44, vcc_lo, s10, v40
	v_add_co_ci_u32_e32 v45, vcc_lo, s11, v41, vcc_lo
	s_delay_alu instid0(VALU_DEP_3) | instskip(NEXT) | instid1(VALU_DEP_4)
	v_add_co_u32 v42, vcc_lo, s13, v42
	v_add_co_ci_u32_e32 v43, vcc_lo, s14, v43, vcc_lo
	s_and_saveexec_b32 s15, s16
	s_cbranch_execnz .LBB49_124
; %bb.117:
	s_or_b32 exec_lo, exec_lo, s15
	s_and_b32 s16, s1, s8
	s_delay_alu instid0(SALU_CYCLE_1)
	s_and_saveexec_b32 s15, s16
	s_cbranch_execnz .LBB49_128
.LBB49_118:
	s_or_b32 exec_lo, exec_lo, s15
	s_and_b32 s16, s2, s8
	s_delay_alu instid0(SALU_CYCLE_1)
	s_and_saveexec_b32 s15, s16
	s_cbranch_execnz .LBB49_132
.LBB49_119:
	s_or_b32 exec_lo, exec_lo, s15
	s_and_b32 s16, s3, s8
	s_delay_alu instid0(SALU_CYCLE_1)
	s_and_saveexec_b32 s15, s16
	s_cbranch_execnz .LBB49_136
.LBB49_120:
	s_or_b32 exec_lo, exec_lo, s15
	s_and_b32 s16, s4, s8
	s_delay_alu instid0(SALU_CYCLE_1)
	s_and_saveexec_b32 s15, s16
	s_cbranch_execnz .LBB49_140
.LBB49_121:
	s_or_b32 exec_lo, exec_lo, s15
	s_and_b32 s16, s5, s8
	s_delay_alu instid0(SALU_CYCLE_1)
	s_and_saveexec_b32 s15, s16
	s_cbranch_execnz .LBB49_144
.LBB49_122:
	s_or_b32 exec_lo, exec_lo, s15
	s_and_b32 s16, s6, s8
	s_delay_alu instid0(SALU_CYCLE_1)
	s_and_saveexec_b32 s15, s16
	s_cbranch_execnz .LBB49_148
.LBB49_123:
	s_or_b32 exec_lo, exec_lo, s15
	s_and_b32 s15, s7, s8
	s_delay_alu instid0(SALU_CYCLE_1)
	s_and_saveexec_b32 s8, s15
	s_cbranch_execnz .LBB49_152
	s_branch .LBB49_156
.LBB49_124:
	v_cmp_ne_u32_e32 vcc_lo, 1, v100
	v_lshlrev_b64 v[40:41], 2, v[48:49]
	s_cbranch_vccnz .LBB49_126
; %bb.125:
	s_delay_alu instid0(VALU_DEP_1) | instskip(NEXT) | instid1(VALU_DEP_2)
	v_add_co_u32 v46, vcc_lo, v44, v40
	v_add_co_ci_u32_e32 v47, vcc_lo, v45, v41, vcc_lo
	flat_load_b32 v46, v[46:47]
	s_waitcnt vmcnt(0) lgkmcnt(0)
	v_mul_f32_e32 v46, s19, v46
	s_branch .LBB49_127
.LBB49_126:
	v_mov_b32_e32 v46, 0
.LBB49_127:
	v_dual_max_f32 v47, v37, v37 :: v_dual_max_f32 v98, v32, v32
	v_dual_max_f32 v64, v33, v33 :: v_dual_max_f32 v65, v36, v36
	;; [unrolled: 1-line block ×3, first 2 shown]
	v_add_co_u32 v40, vcc_lo, v42, v40
	s_delay_alu instid0(VALU_DEP_3) | instskip(NEXT) | instid1(VALU_DEP_4)
	v_dual_min_f32 v47, v64, v47 :: v_dual_max_f32 v64, v34, v34
	v_min_f32_e32 v65, v98, v65
	v_add_co_ci_u32_e32 v41, vcc_lo, v43, v41, vcc_lo
	s_delay_alu instid0(VALU_DEP_3) | instskip(NEXT) | instid1(VALU_DEP_4)
	v_add_f32_e32 v47, v97, v47
	v_min_f32_e32 v64, v64, v99
	s_delay_alu instid0(VALU_DEP_4) | instskip(NEXT) | instid1(VALU_DEP_1)
	v_add_f32_e32 v65, v96, v65
	v_dual_max_f32 v101, v39, v39 :: v_dual_add_f32 v64, v65, v64
	s_delay_alu instid0(VALU_DEP_1) | instskip(NEXT) | instid1(VALU_DEP_1)
	v_min_f32_e32 v97, v102, v101
	v_add_f32_e32 v47, v47, v97
	s_delay_alu instid0(VALU_DEP_1) | instskip(NEXT) | instid1(VALU_DEP_1)
	v_add_f32_e32 v47, v64, v47
	v_add_f32_e32 v46, v47, v46
	global_store_b32 v[40:41], v46, off
	s_or_b32 exec_lo, exec_lo, s15
	s_and_b32 s16, s1, s8
	s_delay_alu instid0(SALU_CYCLE_1)
	s_and_saveexec_b32 s15, s16
	s_cbranch_execz .LBB49_118
.LBB49_128:
	v_cmp_ne_u32_e32 vcc_lo, 1, v100
	v_lshlrev_b64 v[40:41], 2, v[50:51]
	s_cbranch_vccnz .LBB49_130
; %bb.129:
	s_delay_alu instid0(VALU_DEP_1) | instskip(NEXT) | instid1(VALU_DEP_2)
	v_add_co_u32 v46, vcc_lo, v44, v40
	v_add_co_ci_u32_e32 v47, vcc_lo, v45, v41, vcc_lo
	flat_load_b32 v46, v[46:47]
	s_waitcnt vmcnt(0) lgkmcnt(0)
	v_mul_f32_e32 v46, s19, v46
	s_branch .LBB49_131
.LBB49_130:
	v_mov_b32_e32 v46, 0
.LBB49_131:
	v_dual_max_f32 v47, v37, v37 :: v_dual_max_f32 v96, v28, v28
	v_dual_max_f32 v64, v29, v29 :: v_dual_max_f32 v65, v36, v36
	;; [unrolled: 1-line block ×3, first 2 shown]
	v_add_co_u32 v40, vcc_lo, v42, v40
	s_delay_alu instid0(VALU_DEP_3) | instskip(SKIP_2) | instid1(VALU_DEP_3)
	v_dual_min_f32 v47, v64, v47 :: v_dual_max_f32 v64, v30, v30
	v_max_f32_e32 v99, v31, v31
	v_add_co_ci_u32_e32 v41, vcc_lo, v43, v41, vcc_lo
	v_min_f32_e32 v64, v64, v97
	v_min_f32_e32 v65, v96, v65
	s_delay_alu instid0(VALU_DEP_4) | instskip(NEXT) | instid1(VALU_DEP_2)
	v_dual_add_f32 v47, v94, v47 :: v_dual_min_f32 v94, v99, v98
	v_add_f32_e32 v65, v95, v65
	s_delay_alu instid0(VALU_DEP_1) | instskip(NEXT) | instid1(VALU_DEP_1)
	v_dual_add_f32 v64, v65, v64 :: v_dual_add_f32 v47, v47, v94
	v_add_f32_e32 v47, v64, v47
	s_delay_alu instid0(VALU_DEP_1) | instskip(SKIP_3) | instid1(SALU_CYCLE_1)
	v_add_f32_e32 v46, v47, v46
	global_store_b32 v[40:41], v46, off
	s_or_b32 exec_lo, exec_lo, s15
	s_and_b32 s16, s2, s8
	s_and_saveexec_b32 s15, s16
	s_cbranch_execz .LBB49_119
.LBB49_132:
	v_cmp_ne_u32_e32 vcc_lo, 1, v100
	v_lshlrev_b64 v[40:41], 2, v[52:53]
	s_cbranch_vccnz .LBB49_134
; %bb.133:
	s_delay_alu instid0(VALU_DEP_1) | instskip(NEXT) | instid1(VALU_DEP_2)
	v_add_co_u32 v46, vcc_lo, v44, v40
	v_add_co_ci_u32_e32 v47, vcc_lo, v45, v41, vcc_lo
	flat_load_b32 v46, v[46:47]
	s_waitcnt vmcnt(0) lgkmcnt(0)
	v_mul_f32_e32 v46, s19, v46
	s_branch .LBB49_135
.LBB49_134:
	v_mov_b32_e32 v46, 0
.LBB49_135:
	v_dual_max_f32 v47, v37, v37 :: v_dual_max_f32 v94, v24, v24
	v_dual_max_f32 v64, v25, v25 :: v_dual_max_f32 v65, v36, v36
	;; [unrolled: 1-line block ×3, first 2 shown]
	v_add_co_u32 v40, vcc_lo, v42, v40
	s_delay_alu instid0(VALU_DEP_3) | instskip(NEXT) | instid1(VALU_DEP_4)
	v_dual_min_f32 v47, v64, v47 :: v_dual_max_f32 v64, v26, v26
	v_min_f32_e32 v65, v94, v65
	v_add_co_ci_u32_e32 v41, vcc_lo, v43, v41, vcc_lo
	s_delay_alu instid0(VALU_DEP_2) | instskip(NEXT) | instid1(VALU_DEP_1)
	v_dual_min_f32 v64, v64, v95 :: v_dual_add_f32 v65, v93, v65
	v_dual_max_f32 v97, v27, v27 :: v_dual_add_f32 v64, v65, v64
	s_delay_alu instid0(VALU_DEP_1) | instskip(NEXT) | instid1(VALU_DEP_1)
	v_dual_add_f32 v47, v92, v47 :: v_dual_min_f32 v92, v97, v96
	v_add_f32_e32 v47, v47, v92
	s_delay_alu instid0(VALU_DEP_1) | instskip(NEXT) | instid1(VALU_DEP_1)
	v_add_f32_e32 v47, v64, v47
	v_add_f32_e32 v46, v47, v46
	global_store_b32 v[40:41], v46, off
	s_or_b32 exec_lo, exec_lo, s15
	s_and_b32 s16, s3, s8
	s_delay_alu instid0(SALU_CYCLE_1)
	s_and_saveexec_b32 s15, s16
	s_cbranch_execz .LBB49_120
.LBB49_136:
	v_cmp_ne_u32_e32 vcc_lo, 1, v100
	v_lshlrev_b64 v[40:41], 2, v[54:55]
	s_cbranch_vccnz .LBB49_138
; %bb.137:
	s_delay_alu instid0(VALU_DEP_1) | instskip(NEXT) | instid1(VALU_DEP_2)
	v_add_co_u32 v46, vcc_lo, v44, v40
	v_add_co_ci_u32_e32 v47, vcc_lo, v45, v41, vcc_lo
	flat_load_b32 v46, v[46:47]
	s_waitcnt vmcnt(0) lgkmcnt(0)
	v_mul_f32_e32 v46, s19, v46
	s_branch .LBB49_139
.LBB49_138:
	v_mov_b32_e32 v46, 0
.LBB49_139:
	v_dual_max_f32 v47, v37, v37 :: v_dual_max_f32 v92, v20, v20
	v_dual_max_f32 v64, v21, v21 :: v_dual_max_f32 v65, v36, v36
	;; [unrolled: 1-line block ×3, first 2 shown]
	v_add_co_u32 v40, vcc_lo, v42, v40
	s_delay_alu instid0(VALU_DEP_3) | instskip(SKIP_2) | instid1(VALU_DEP_3)
	v_dual_min_f32 v47, v64, v47 :: v_dual_max_f32 v64, v22, v22
	v_max_f32_e32 v95, v23, v23
	v_add_co_ci_u32_e32 v41, vcc_lo, v43, v41, vcc_lo
	v_min_f32_e32 v64, v64, v93
	v_min_f32_e32 v65, v92, v65
	s_delay_alu instid0(VALU_DEP_4) | instskip(NEXT) | instid1(VALU_DEP_2)
	v_dual_add_f32 v47, v90, v47 :: v_dual_min_f32 v90, v95, v94
	v_add_f32_e32 v65, v91, v65
	s_delay_alu instid0(VALU_DEP_1) | instskip(NEXT) | instid1(VALU_DEP_1)
	v_dual_add_f32 v64, v65, v64 :: v_dual_add_f32 v47, v47, v90
	v_add_f32_e32 v47, v64, v47
	s_delay_alu instid0(VALU_DEP_1) | instskip(SKIP_3) | instid1(SALU_CYCLE_1)
	v_add_f32_e32 v46, v47, v46
	global_store_b32 v[40:41], v46, off
	s_or_b32 exec_lo, exec_lo, s15
	s_and_b32 s16, s4, s8
	s_and_saveexec_b32 s15, s16
	s_cbranch_execz .LBB49_121
.LBB49_140:
	v_cmp_ne_u32_e32 vcc_lo, 1, v100
	v_lshlrev_b64 v[40:41], 2, v[56:57]
	s_cbranch_vccnz .LBB49_142
; %bb.141:
	s_delay_alu instid0(VALU_DEP_1) | instskip(NEXT) | instid1(VALU_DEP_2)
	v_add_co_u32 v46, vcc_lo, v44, v40
	v_add_co_ci_u32_e32 v47, vcc_lo, v45, v41, vcc_lo
	flat_load_b32 v46, v[46:47]
	s_waitcnt vmcnt(0) lgkmcnt(0)
	v_mul_f32_e32 v46, s19, v46
	s_branch .LBB49_143
.LBB49_142:
	v_mov_b32_e32 v46, 0
.LBB49_143:
	v_dual_max_f32 v47, v37, v37 :: v_dual_max_f32 v90, v16, v16
	v_dual_max_f32 v64, v17, v17 :: v_dual_max_f32 v65, v36, v36
	v_dual_max_f32 v91, v38, v38 :: v_dual_max_f32 v92, v39, v39
	v_add_co_u32 v40, vcc_lo, v42, v40
	s_delay_alu instid0(VALU_DEP_3) | instskip(NEXT) | instid1(VALU_DEP_4)
	v_dual_min_f32 v47, v64, v47 :: v_dual_max_f32 v64, v18, v18
	v_min_f32_e32 v65, v90, v65
	v_add_co_ci_u32_e32 v41, vcc_lo, v43, v41, vcc_lo
	s_delay_alu instid0(VALU_DEP_3) | instskip(NEXT) | instid1(VALU_DEP_4)
	v_add_f32_e32 v47, v89, v47
	v_min_f32_e32 v64, v64, v91
	s_delay_alu instid0(VALU_DEP_4) | instskip(NEXT) | instid1(VALU_DEP_1)
	v_add_f32_e32 v65, v88, v65
	v_dual_max_f32 v93, v19, v19 :: v_dual_add_f32 v64, v65, v64
	s_delay_alu instid0(VALU_DEP_1) | instskip(NEXT) | instid1(VALU_DEP_1)
	v_min_f32_e32 v89, v93, v92
	v_add_f32_e32 v47, v47, v89
	s_delay_alu instid0(VALU_DEP_1) | instskip(NEXT) | instid1(VALU_DEP_1)
	v_add_f32_e32 v47, v64, v47
	v_add_f32_e32 v46, v47, v46
	global_store_b32 v[40:41], v46, off
	s_or_b32 exec_lo, exec_lo, s15
	s_and_b32 s16, s5, s8
	s_delay_alu instid0(SALU_CYCLE_1)
	s_and_saveexec_b32 s15, s16
	s_cbranch_execz .LBB49_122
.LBB49_144:
	v_cmp_ne_u32_e32 vcc_lo, 1, v100
	v_lshlrev_b64 v[40:41], 2, v[58:59]
	s_cbranch_vccnz .LBB49_146
; %bb.145:
	s_delay_alu instid0(VALU_DEP_1) | instskip(NEXT) | instid1(VALU_DEP_2)
	v_add_co_u32 v46, vcc_lo, v44, v40
	v_add_co_ci_u32_e32 v47, vcc_lo, v45, v41, vcc_lo
	flat_load_b32 v46, v[46:47]
	s_waitcnt vmcnt(0) lgkmcnt(0)
	v_mul_f32_e32 v46, s19, v46
	s_branch .LBB49_147
.LBB49_146:
	v_mov_b32_e32 v46, 0
.LBB49_147:
	v_dual_max_f32 v47, v37, v37 :: v_dual_max_f32 v88, v12, v12
	v_dual_max_f32 v64, v13, v13 :: v_dual_max_f32 v65, v36, v36
	;; [unrolled: 1-line block ×3, first 2 shown]
	v_add_co_u32 v40, vcc_lo, v42, v40
	s_delay_alu instid0(VALU_DEP_3) | instskip(SKIP_3) | instid1(VALU_DEP_4)
	v_dual_min_f32 v47, v64, v47 :: v_dual_max_f32 v64, v14, v14
	v_max_f32_e32 v91, v15, v15
	v_min_f32_e32 v65, v88, v65
	v_add_co_ci_u32_e32 v41, vcc_lo, v43, v41, vcc_lo
	v_min_f32_e32 v64, v64, v89
	s_delay_alu instid0(VALU_DEP_3) | instskip(SKIP_1) | instid1(VALU_DEP_2)
	v_add_f32_e32 v65, v86, v65
	v_add_f32_e32 v47, v87, v47
	v_dual_min_f32 v87, v91, v90 :: v_dual_add_f32 v64, v65, v64
	s_delay_alu instid0(VALU_DEP_1) | instskip(NEXT) | instid1(VALU_DEP_1)
	v_add_f32_e32 v47, v47, v87
	v_add_f32_e32 v47, v64, v47
	s_delay_alu instid0(VALU_DEP_1) | instskip(SKIP_3) | instid1(SALU_CYCLE_1)
	v_add_f32_e32 v46, v47, v46
	global_store_b32 v[40:41], v46, off
	s_or_b32 exec_lo, exec_lo, s15
	s_and_b32 s16, s6, s8
	s_and_saveexec_b32 s15, s16
	s_cbranch_execz .LBB49_123
.LBB49_148:
	v_cmp_ne_u32_e32 vcc_lo, 1, v100
	v_lshlrev_b64 v[40:41], 2, v[60:61]
	s_cbranch_vccnz .LBB49_150
; %bb.149:
	s_delay_alu instid0(VALU_DEP_1) | instskip(NEXT) | instid1(VALU_DEP_2)
	v_add_co_u32 v46, vcc_lo, v44, v40
	v_add_co_ci_u32_e32 v47, vcc_lo, v45, v41, vcc_lo
	flat_load_b32 v46, v[46:47]
	s_waitcnt vmcnt(0) lgkmcnt(0)
	v_mul_f32_e32 v46, s19, v46
	s_branch .LBB49_151
.LBB49_150:
	v_mov_b32_e32 v46, 0
.LBB49_151:
	v_dual_max_f32 v47, v37, v37 :: v_dual_max_f32 v86, v8, v8
	v_dual_max_f32 v64, v9, v9 :: v_dual_max_f32 v65, v36, v36
	;; [unrolled: 1-line block ×3, first 2 shown]
	v_add_co_u32 v40, vcc_lo, v42, v40
	s_delay_alu instid0(VALU_DEP_3) | instskip(NEXT) | instid1(VALU_DEP_4)
	v_dual_min_f32 v47, v64, v47 :: v_dual_max_f32 v64, v10, v10
	v_min_f32_e32 v65, v86, v65
	v_add_co_ci_u32_e32 v41, vcc_lo, v43, v41, vcc_lo
	s_delay_alu instid0(VALU_DEP_2) | instskip(NEXT) | instid1(VALU_DEP_1)
	v_dual_min_f32 v64, v64, v87 :: v_dual_add_f32 v65, v85, v65
	v_dual_max_f32 v89, v11, v11 :: v_dual_add_f32 v64, v65, v64
	s_delay_alu instid0(VALU_DEP_1) | instskip(NEXT) | instid1(VALU_DEP_1)
	v_dual_add_f32 v47, v84, v47 :: v_dual_min_f32 v84, v89, v88
	v_add_f32_e32 v47, v47, v84
	s_delay_alu instid0(VALU_DEP_1) | instskip(NEXT) | instid1(VALU_DEP_1)
	v_add_f32_e32 v47, v64, v47
	v_add_f32_e32 v46, v47, v46
	global_store_b32 v[40:41], v46, off
	s_or_b32 exec_lo, exec_lo, s15
	s_and_b32 s15, s7, s8
	s_delay_alu instid0(SALU_CYCLE_1)
	s_and_saveexec_b32 s8, s15
	s_cbranch_execz .LBB49_156
.LBB49_152:
	v_cmp_ne_u32_e32 vcc_lo, 1, v100
	v_lshlrev_b64 v[40:41], 2, v[62:63]
	s_cbranch_vccnz .LBB49_154
; %bb.153:
	s_delay_alu instid0(VALU_DEP_1) | instskip(NEXT) | instid1(VALU_DEP_2)
	v_add_co_u32 v44, vcc_lo, v44, v40
	v_add_co_ci_u32_e32 v45, vcc_lo, v45, v41, vcc_lo
	flat_load_b32 v44, v[44:45]
	s_waitcnt vmcnt(0) lgkmcnt(0)
	v_mul_f32_e32 v44, s19, v44
	s_branch .LBB49_155
.LBB49_154:
	v_mov_b32_e32 v44, 0
.LBB49_155:
	v_dual_max_f32 v37, v37, v37 :: v_dual_max_f32 v36, v36, v36
	v_dual_max_f32 v45, v1, v1 :: v_dual_max_f32 v46, v0, v0
	;; [unrolled: 1-line block ×3, first 2 shown]
	s_delay_alu instid0(VALU_DEP_2) | instskip(SKIP_1) | instid1(VALU_DEP_2)
	v_dual_min_f32 v37, v45, v37 :: v_dual_min_f32 v36, v46, v36
	v_max_f32_e32 v47, v3, v3
	v_dual_add_f32 v37, v83, v37 :: v_dual_add_f32 v36, v82, v36
	s_delay_alu instid0(VALU_DEP_2) | instskip(NEXT) | instid1(VALU_DEP_1)
	v_min_f32_e32 v39, v47, v39
	v_add_f32_e32 v37, v37, v39
	v_max_f32_e32 v45, v2, v2
	s_delay_alu instid0(VALU_DEP_1) | instskip(NEXT) | instid1(VALU_DEP_1)
	v_min_f32_e32 v38, v45, v38
	v_add_f32_e32 v36, v36, v38
	s_delay_alu instid0(VALU_DEP_1) | instskip(NEXT) | instid1(VALU_DEP_1)
	v_add_f32_e32 v36, v36, v37
	v_add_f32_e32 v38, v36, v44
	v_add_co_u32 v36, vcc_lo, v42, v40
	v_add_co_ci_u32_e32 v37, vcc_lo, v43, v41, vcc_lo
	global_store_b32 v[36:37], v38, off
.LBB49_156:
	s_or_b32 exec_lo, exec_lo, s8
	v_add_nc_u32_e32 v40, 0x60, v117
	s_delay_alu instid0(VALU_DEP_1) | instskip(SKIP_2) | instid1(VALU_DEP_3)
	v_mad_i64_i32 v[36:37], null, v40, s12, 0
	v_mad_i64_i32 v[38:39], null, v40, s9, 0
	v_cmp_gt_i32_e64 s8, s17, v40
	v_lshlrev_b64 v[36:37], 2, v[36:37]
	s_delay_alu instid0(VALU_DEP_2) | instskip(NEXT) | instid1(VALU_DEP_3)
	s_and_b32 s9, s0, s8
	v_lshlrev_b64 v[38:39], 2, v[38:39]
	s_delay_alu instid0(VALU_DEP_2) | instskip(NEXT) | instid1(VALU_DEP_3)
	v_add_co_u32 v40, vcc_lo, s10, v36
	v_add_co_ci_u32_e32 v41, vcc_lo, s11, v37, vcc_lo
	s_delay_alu instid0(VALU_DEP_3) | instskip(NEXT) | instid1(VALU_DEP_4)
	v_add_co_u32 v38, vcc_lo, s13, v38
	v_add_co_ci_u32_e32 v39, vcc_lo, s14, v39, vcc_lo
	s_and_saveexec_b32 s0, s9
	s_cbranch_execnz .LBB49_165
; %bb.157:
	s_or_b32 exec_lo, exec_lo, s0
	s_and_b32 s1, s1, s8
	s_delay_alu instid0(SALU_CYCLE_1)
	s_and_saveexec_b32 s0, s1
	s_cbranch_execnz .LBB49_169
.LBB49_158:
	s_or_b32 exec_lo, exec_lo, s0
	s_and_b32 s1, s2, s8
	s_delay_alu instid0(SALU_CYCLE_1)
	s_and_saveexec_b32 s0, s1
	s_cbranch_execnz .LBB49_173
.LBB49_159:
	s_or_b32 exec_lo, exec_lo, s0
	s_and_b32 s1, s3, s8
	s_delay_alu instid0(SALU_CYCLE_1)
	s_and_saveexec_b32 s0, s1
	s_cbranch_execnz .LBB49_177
.LBB49_160:
	s_or_b32 exec_lo, exec_lo, s0
	s_and_b32 s1, s4, s8
	s_delay_alu instid0(SALU_CYCLE_1)
	s_and_saveexec_b32 s0, s1
	s_cbranch_execnz .LBB49_181
.LBB49_161:
	s_or_b32 exec_lo, exec_lo, s0
	s_and_b32 s1, s5, s8
	s_delay_alu instid0(SALU_CYCLE_1)
	s_and_saveexec_b32 s0, s1
	s_cbranch_execnz .LBB49_185
.LBB49_162:
	s_or_b32 exec_lo, exec_lo, s0
	s_and_b32 s1, s6, s8
	s_delay_alu instid0(SALU_CYCLE_1)
	s_and_saveexec_b32 s0, s1
	s_cbranch_execnz .LBB49_189
.LBB49_163:
	s_or_b32 exec_lo, exec_lo, s0
	s_and_b32 s0, s7, s8
	s_delay_alu instid0(SALU_CYCLE_1)
	s_and_saveexec_b32 s1, s0
	s_cbranch_execnz .LBB49_193
.LBB49_164:
	s_nop 0
	s_sendmsg sendmsg(MSG_DEALLOC_VGPRS)
	s_endpgm
.LBB49_165:
	v_cmp_ne_u32_e32 vcc_lo, 1, v100
	v_lshlrev_b64 v[36:37], 2, v[48:49]
	s_cbranch_vccnz .LBB49_167
; %bb.166:
	s_delay_alu instid0(VALU_DEP_1) | instskip(NEXT) | instid1(VALU_DEP_2)
	v_add_co_u32 v42, vcc_lo, v40, v36
	v_add_co_ci_u32_e32 v43, vcc_lo, v41, v37, vcc_lo
	flat_load_b32 v42, v[42:43]
	s_waitcnt vmcnt(0) lgkmcnt(0)
	v_mul_f32_e32 v42, s19, v42
	s_branch .LBB49_168
.LBB49_167:
	v_mov_b32_e32 v42, 0
.LBB49_168:
	v_dual_max_f32 v43, v5, v5 :: v_dual_max_f32 v44, v4, v4
	v_dual_max_f32 v33, v33, v33 :: v_dual_max_f32 v32, v32, v32
	v_max_f32_e32 v45, v6, v6
	s_delay_alu instid0(VALU_DEP_2) | instskip(NEXT) | instid1(VALU_DEP_3)
	v_dual_max_f32 v34, v34, v34 :: v_dual_min_f32 v33, v33, v43
	v_dual_min_f32 v32, v32, v44 :: v_dual_max_f32 v43, v7, v7
	s_delay_alu instid0(VALU_DEP_2) | instskip(NEXT) | instid1(VALU_DEP_2)
	v_dual_min_f32 v34, v34, v45 :: v_dual_max_f32 v35, v35, v35
	v_dual_add_f32 v33, v80, v33 :: v_dual_add_f32 v32, v81, v32
	s_delay_alu instid0(VALU_DEP_1) | instskip(NEXT) | instid1(VALU_DEP_1)
	v_dual_min_f32 v35, v35, v43 :: v_dual_add_f32 v32, v32, v34
	v_add_f32_e32 v33, v33, v35
	s_delay_alu instid0(VALU_DEP_1) | instskip(NEXT) | instid1(VALU_DEP_1)
	v_add_f32_e32 v32, v32, v33
	v_add_f32_e32 v34, v32, v42
	v_add_co_u32 v32, vcc_lo, v38, v36
	v_add_co_ci_u32_e32 v33, vcc_lo, v39, v37, vcc_lo
	global_store_b32 v[32:33], v34, off
	s_or_b32 exec_lo, exec_lo, s0
	s_and_b32 s1, s1, s8
	s_delay_alu instid0(SALU_CYCLE_1)
	s_and_saveexec_b32 s0, s1
	s_cbranch_execz .LBB49_158
.LBB49_169:
	v_cmp_ne_u32_e32 vcc_lo, 1, v100
	v_lshlrev_b64 v[32:33], 2, v[50:51]
	s_cbranch_vccnz .LBB49_171
; %bb.170:
	s_delay_alu instid0(VALU_DEP_1) | instskip(NEXT) | instid1(VALU_DEP_2)
	v_add_co_u32 v34, vcc_lo, v40, v32
	v_add_co_ci_u32_e32 v35, vcc_lo, v41, v33, vcc_lo
	flat_load_b32 v34, v[34:35]
	s_waitcnt vmcnt(0) lgkmcnt(0)
	v_mul_f32_e32 v34, s19, v34
	s_branch .LBB49_172
.LBB49_171:
	v_mov_b32_e32 v34, 0
.LBB49_172:
	v_dual_max_f32 v35, v5, v5 :: v_dual_max_f32 v36, v4, v4
	v_dual_max_f32 v29, v29, v29 :: v_dual_max_f32 v28, v28, v28
	v_max_f32_e32 v37, v6, v6
	s_delay_alu instid0(VALU_DEP_2) | instskip(NEXT) | instid1(VALU_DEP_3)
	v_dual_max_f32 v30, v30, v30 :: v_dual_min_f32 v29, v29, v35
	v_dual_min_f32 v28, v28, v36 :: v_dual_max_f32 v35, v7, v7
	s_delay_alu instid0(VALU_DEP_2) | instskip(NEXT) | instid1(VALU_DEP_2)
	v_dual_min_f32 v30, v30, v37 :: v_dual_max_f32 v31, v31, v31
	v_dual_add_f32 v28, v78, v28 :: v_dual_add_f32 v29, v79, v29
	s_delay_alu instid0(VALU_DEP_1) | instskip(NEXT) | instid1(VALU_DEP_1)
	v_dual_add_f32 v28, v28, v30 :: v_dual_min_f32 v31, v31, v35
	v_add_f32_e32 v29, v29, v31
	s_delay_alu instid0(VALU_DEP_1) | instskip(NEXT) | instid1(VALU_DEP_1)
	v_add_f32_e32 v28, v28, v29
	v_add_f32_e32 v30, v28, v34
	v_add_co_u32 v28, vcc_lo, v38, v32
	v_add_co_ci_u32_e32 v29, vcc_lo, v39, v33, vcc_lo
	global_store_b32 v[28:29], v30, off
	s_or_b32 exec_lo, exec_lo, s0
	s_and_b32 s1, s2, s8
	s_delay_alu instid0(SALU_CYCLE_1)
	s_and_saveexec_b32 s0, s1
	s_cbranch_execz .LBB49_159
.LBB49_173:
	v_cmp_ne_u32_e32 vcc_lo, 1, v100
	v_lshlrev_b64 v[28:29], 2, v[52:53]
	s_cbranch_vccnz .LBB49_175
; %bb.174:
	s_delay_alu instid0(VALU_DEP_1) | instskip(NEXT) | instid1(VALU_DEP_2)
	v_add_co_u32 v30, vcc_lo, v40, v28
	v_add_co_ci_u32_e32 v31, vcc_lo, v41, v29, vcc_lo
	flat_load_b32 v30, v[30:31]
	s_waitcnt vmcnt(0) lgkmcnt(0)
	v_mul_f32_e32 v30, s19, v30
	s_branch .LBB49_176
.LBB49_175:
	v_mov_b32_e32 v30, 0
.LBB49_176:
	v_dual_max_f32 v31, v5, v5 :: v_dual_max_f32 v32, v4, v4
	v_dual_max_f32 v25, v25, v25 :: v_dual_max_f32 v24, v24, v24
	v_max_f32_e32 v33, v6, v6
	s_delay_alu instid0(VALU_DEP_2) | instskip(NEXT) | instid1(VALU_DEP_3)
	v_dual_max_f32 v26, v26, v26 :: v_dual_min_f32 v25, v25, v31
	v_dual_min_f32 v24, v24, v32 :: v_dual_max_f32 v31, v7, v7
	s_delay_alu instid0(VALU_DEP_2) | instskip(NEXT) | instid1(VALU_DEP_2)
	v_dual_min_f32 v26, v26, v33 :: v_dual_max_f32 v27, v27, v27
	v_dual_add_f32 v25, v76, v25 :: v_dual_add_f32 v24, v77, v24
	s_delay_alu instid0(VALU_DEP_1) | instskip(NEXT) | instid1(VALU_DEP_1)
	v_dual_min_f32 v27, v27, v31 :: v_dual_add_f32 v24, v24, v26
	v_add_f32_e32 v25, v25, v27
	s_delay_alu instid0(VALU_DEP_1) | instskip(NEXT) | instid1(VALU_DEP_1)
	v_add_f32_e32 v24, v24, v25
	v_add_f32_e32 v26, v24, v30
	v_add_co_u32 v24, vcc_lo, v38, v28
	v_add_co_ci_u32_e32 v25, vcc_lo, v39, v29, vcc_lo
	global_store_b32 v[24:25], v26, off
	s_or_b32 exec_lo, exec_lo, s0
	s_and_b32 s1, s3, s8
	s_delay_alu instid0(SALU_CYCLE_1)
	s_and_saveexec_b32 s0, s1
	s_cbranch_execz .LBB49_160
.LBB49_177:
	v_cmp_ne_u32_e32 vcc_lo, 1, v100
	v_lshlrev_b64 v[24:25], 2, v[54:55]
	s_cbranch_vccnz .LBB49_179
; %bb.178:
	s_delay_alu instid0(VALU_DEP_1) | instskip(NEXT) | instid1(VALU_DEP_2)
	v_add_co_u32 v26, vcc_lo, v40, v24
	v_add_co_ci_u32_e32 v27, vcc_lo, v41, v25, vcc_lo
	flat_load_b32 v26, v[26:27]
	s_waitcnt vmcnt(0) lgkmcnt(0)
	v_mul_f32_e32 v26, s19, v26
	s_branch .LBB49_180
.LBB49_179:
	v_mov_b32_e32 v26, 0
.LBB49_180:
	v_dual_max_f32 v27, v5, v5 :: v_dual_max_f32 v28, v4, v4
	v_dual_max_f32 v21, v21, v21 :: v_dual_max_f32 v20, v20, v20
	v_max_f32_e32 v29, v6, v6
	s_delay_alu instid0(VALU_DEP_2) | instskip(NEXT) | instid1(VALU_DEP_3)
	v_dual_max_f32 v22, v22, v22 :: v_dual_min_f32 v21, v21, v27
	v_dual_min_f32 v20, v20, v28 :: v_dual_max_f32 v27, v7, v7
	s_delay_alu instid0(VALU_DEP_2) | instskip(NEXT) | instid1(VALU_DEP_2)
	v_min_f32_e32 v22, v22, v29
	v_dual_add_f32 v21, v74, v21 :: v_dual_add_f32 v20, v75, v20
	s_delay_alu instid0(VALU_DEP_1) | instskip(NEXT) | instid1(VALU_DEP_1)
	v_dual_max_f32 v23, v23, v23 :: v_dual_add_f32 v20, v20, v22
	v_min_f32_e32 v23, v23, v27
	s_delay_alu instid0(VALU_DEP_1) | instskip(NEXT) | instid1(VALU_DEP_1)
	v_add_f32_e32 v21, v21, v23
	v_add_f32_e32 v20, v20, v21
	s_delay_alu instid0(VALU_DEP_1)
	v_add_f32_e32 v22, v20, v26
	v_add_co_u32 v20, vcc_lo, v38, v24
	v_add_co_ci_u32_e32 v21, vcc_lo, v39, v25, vcc_lo
	global_store_b32 v[20:21], v22, off
	s_or_b32 exec_lo, exec_lo, s0
	s_and_b32 s1, s4, s8
	s_delay_alu instid0(SALU_CYCLE_1)
	s_and_saveexec_b32 s0, s1
	s_cbranch_execz .LBB49_161
.LBB49_181:
	v_cmp_ne_u32_e32 vcc_lo, 1, v100
	v_lshlrev_b64 v[20:21], 2, v[56:57]
	s_cbranch_vccnz .LBB49_183
; %bb.182:
	s_delay_alu instid0(VALU_DEP_1) | instskip(NEXT) | instid1(VALU_DEP_2)
	v_add_co_u32 v22, vcc_lo, v40, v20
	v_add_co_ci_u32_e32 v23, vcc_lo, v41, v21, vcc_lo
	flat_load_b32 v22, v[22:23]
	s_waitcnt vmcnt(0) lgkmcnt(0)
	v_mul_f32_e32 v22, s19, v22
	s_branch .LBB49_184
.LBB49_183:
	v_mov_b32_e32 v22, 0
.LBB49_184:
	v_dual_max_f32 v23, v5, v5 :: v_dual_max_f32 v24, v4, v4
	v_dual_max_f32 v17, v17, v17 :: v_dual_max_f32 v16, v16, v16
	v_max_f32_e32 v25, v6, v6
	s_delay_alu instid0(VALU_DEP_2) | instskip(NEXT) | instid1(VALU_DEP_3)
	v_dual_max_f32 v18, v18, v18 :: v_dual_min_f32 v17, v17, v23
	v_dual_min_f32 v16, v16, v24 :: v_dual_max_f32 v23, v7, v7
	s_delay_alu instid0(VALU_DEP_2) | instskip(NEXT) | instid1(VALU_DEP_2)
	v_dual_min_f32 v18, v18, v25 :: v_dual_max_f32 v19, v19, v19
	v_dual_add_f32 v16, v72, v16 :: v_dual_add_f32 v17, v73, v17
	s_delay_alu instid0(VALU_DEP_1) | instskip(NEXT) | instid1(VALU_DEP_1)
	v_dual_add_f32 v16, v16, v18 :: v_dual_min_f32 v19, v19, v23
	v_add_f32_e32 v17, v17, v19
	s_delay_alu instid0(VALU_DEP_1) | instskip(NEXT) | instid1(VALU_DEP_1)
	v_add_f32_e32 v16, v16, v17
	v_add_f32_e32 v18, v16, v22
	v_add_co_u32 v16, vcc_lo, v38, v20
	v_add_co_ci_u32_e32 v17, vcc_lo, v39, v21, vcc_lo
	global_store_b32 v[16:17], v18, off
	s_or_b32 exec_lo, exec_lo, s0
	s_and_b32 s1, s5, s8
	s_delay_alu instid0(SALU_CYCLE_1)
	s_and_saveexec_b32 s0, s1
	s_cbranch_execz .LBB49_162
.LBB49_185:
	v_cmp_ne_u32_e32 vcc_lo, 1, v100
	v_lshlrev_b64 v[16:17], 2, v[58:59]
	s_cbranch_vccnz .LBB49_187
; %bb.186:
	s_delay_alu instid0(VALU_DEP_1) | instskip(NEXT) | instid1(VALU_DEP_2)
	v_add_co_u32 v18, vcc_lo, v40, v16
	v_add_co_ci_u32_e32 v19, vcc_lo, v41, v17, vcc_lo
	flat_load_b32 v18, v[18:19]
	s_waitcnt vmcnt(0) lgkmcnt(0)
	v_mul_f32_e32 v18, s19, v18
	s_branch .LBB49_188
.LBB49_187:
	v_mov_b32_e32 v18, 0
.LBB49_188:
	v_dual_max_f32 v19, v5, v5 :: v_dual_max_f32 v20, v4, v4
	v_dual_max_f32 v13, v13, v13 :: v_dual_max_f32 v12, v12, v12
	v_max_f32_e32 v21, v6, v6
	s_delay_alu instid0(VALU_DEP_2) | instskip(NEXT) | instid1(VALU_DEP_3)
	v_dual_max_f32 v14, v14, v14 :: v_dual_min_f32 v13, v13, v19
	v_dual_min_f32 v12, v12, v20 :: v_dual_max_f32 v19, v7, v7
	s_delay_alu instid0(VALU_DEP_2) | instskip(NEXT) | instid1(VALU_DEP_2)
	v_min_f32_e32 v14, v14, v21
	v_dual_add_f32 v13, v70, v13 :: v_dual_add_f32 v12, v71, v12
	s_delay_alu instid0(VALU_DEP_1) | instskip(NEXT) | instid1(VALU_DEP_1)
	v_dual_max_f32 v15, v15, v15 :: v_dual_add_f32 v12, v12, v14
	v_min_f32_e32 v15, v15, v19
	s_delay_alu instid0(VALU_DEP_1) | instskip(NEXT) | instid1(VALU_DEP_1)
	v_add_f32_e32 v13, v13, v15
	v_add_f32_e32 v12, v12, v13
	s_delay_alu instid0(VALU_DEP_1)
	v_add_f32_e32 v14, v12, v18
	v_add_co_u32 v12, vcc_lo, v38, v16
	v_add_co_ci_u32_e32 v13, vcc_lo, v39, v17, vcc_lo
	global_store_b32 v[12:13], v14, off
	s_or_b32 exec_lo, exec_lo, s0
	s_and_b32 s1, s6, s8
	s_delay_alu instid0(SALU_CYCLE_1)
	s_and_saveexec_b32 s0, s1
	s_cbranch_execz .LBB49_163
.LBB49_189:
	v_cmp_ne_u32_e32 vcc_lo, 1, v100
	v_lshlrev_b64 v[12:13], 2, v[60:61]
	s_cbranch_vccnz .LBB49_191
; %bb.190:
	s_delay_alu instid0(VALU_DEP_1) | instskip(NEXT) | instid1(VALU_DEP_2)
	v_add_co_u32 v14, vcc_lo, v40, v12
	v_add_co_ci_u32_e32 v15, vcc_lo, v41, v13, vcc_lo
	flat_load_b32 v14, v[14:15]
	s_waitcnt vmcnt(0) lgkmcnt(0)
	v_mul_f32_e32 v14, s19, v14
	s_branch .LBB49_192
.LBB49_191:
	v_mov_b32_e32 v14, 0
.LBB49_192:
	v_dual_max_f32 v15, v5, v5 :: v_dual_max_f32 v16, v4, v4
	v_dual_max_f32 v9, v9, v9 :: v_dual_max_f32 v8, v8, v8
	v_max_f32_e32 v17, v6, v6
	s_delay_alu instid0(VALU_DEP_2) | instskip(NEXT) | instid1(VALU_DEP_3)
	v_dual_max_f32 v10, v10, v10 :: v_dual_min_f32 v9, v9, v15
	v_dual_min_f32 v8, v8, v16 :: v_dual_max_f32 v15, v7, v7
	s_delay_alu instid0(VALU_DEP_2) | instskip(NEXT) | instid1(VALU_DEP_2)
	v_dual_min_f32 v10, v10, v17 :: v_dual_max_f32 v11, v11, v11
	v_dual_add_f32 v8, v68, v8 :: v_dual_add_f32 v9, v69, v9
	s_delay_alu instid0(VALU_DEP_1) | instskip(NEXT) | instid1(VALU_DEP_1)
	v_dual_add_f32 v8, v8, v10 :: v_dual_min_f32 v11, v11, v15
	v_add_f32_e32 v9, v9, v11
	s_delay_alu instid0(VALU_DEP_1) | instskip(NEXT) | instid1(VALU_DEP_1)
	v_add_f32_e32 v8, v8, v9
	v_add_f32_e32 v10, v8, v14
	v_add_co_u32 v8, vcc_lo, v38, v12
	v_add_co_ci_u32_e32 v9, vcc_lo, v39, v13, vcc_lo
	global_store_b32 v[8:9], v10, off
	s_or_b32 exec_lo, exec_lo, s0
	s_and_b32 s0, s7, s8
	s_delay_alu instid0(SALU_CYCLE_1)
	s_and_saveexec_b32 s1, s0
	s_cbranch_execz .LBB49_164
.LBB49_193:
	v_cmp_ne_u32_e32 vcc_lo, 1, v100
	v_lshlrev_b64 v[8:9], 2, v[62:63]
	s_cbranch_vccnz .LBB49_195
; %bb.194:
	s_delay_alu instid0(VALU_DEP_1) | instskip(NEXT) | instid1(VALU_DEP_2)
	v_add_co_u32 v10, vcc_lo, v40, v8
	v_add_co_ci_u32_e32 v11, vcc_lo, v41, v9, vcc_lo
	flat_load_b32 v10, v[10:11]
	s_waitcnt vmcnt(0) lgkmcnt(0)
	v_mul_f32_e32 v10, s19, v10
	s_branch .LBB49_196
.LBB49_195:
	v_mov_b32_e32 v10, 0
.LBB49_196:
	v_dual_max_f32 v5, v5, v5 :: v_dual_max_f32 v4, v4, v4
	v_dual_max_f32 v1, v1, v1 :: v_dual_max_f32 v0, v0, v0
	v_max_f32_e32 v6, v6, v6
	v_dual_max_f32 v2, v2, v2 :: v_dual_max_f32 v3, v3, v3
	s_delay_alu instid0(VALU_DEP_3) | instskip(NEXT) | instid1(VALU_DEP_2)
	v_dual_min_f32 v1, v1, v5 :: v_dual_min_f32 v0, v0, v4
	v_dual_max_f32 v5, v7, v7 :: v_dual_min_f32 v2, v2, v6
	s_delay_alu instid0(VALU_DEP_2) | instskip(NEXT) | instid1(VALU_DEP_1)
	v_dual_add_f32 v1, v67, v1 :: v_dual_add_f32 v0, v66, v0
	v_dual_min_f32 v3, v3, v5 :: v_dual_add_f32 v0, v0, v2
	s_delay_alu instid0(VALU_DEP_1) | instskip(NEXT) | instid1(VALU_DEP_1)
	v_add_f32_e32 v1, v1, v3
	v_add_f32_e32 v0, v0, v1
	s_delay_alu instid0(VALU_DEP_1)
	v_add_f32_e32 v2, v0, v10
	v_add_co_u32 v0, vcc_lo, v38, v8
	v_add_co_ci_u32_e32 v1, vcc_lo, v39, v9, vcc_lo
	global_store_b32 v[0:1], v2, off
	s_nop 0
	s_sendmsg sendmsg(MSG_DEALLOC_VGPRS)
	s_endpgm
	.section	.rodata,"a",@progbits
	.p2align	6, 0x0
	.amdhsa_kernel _ZN12_GLOBAL__N_120geam_min_plus_kernelIf15HIP_vector_typeIfLj2EES2_Li8ELi32ELi64ELi128ELi4ELi4ELi64ELi64ELi4ELc84ELc84ELb1ELb1ELb0EfKPKfKPfEEviiiT16_PT17_ilSA_ilS8_SA_ilPT18_ili26rocblas_geam_ex_operation_
		.amdhsa_group_segment_fixed_size 6144
		.amdhsa_private_segment_fixed_size 0
		.amdhsa_kernarg_size 128
		.amdhsa_user_sgpr_count 14
		.amdhsa_user_sgpr_dispatch_ptr 0
		.amdhsa_user_sgpr_queue_ptr 0
		.amdhsa_user_sgpr_kernarg_segment_ptr 1
		.amdhsa_user_sgpr_dispatch_id 0
		.amdhsa_user_sgpr_private_segment_size 0
		.amdhsa_wavefront_size32 1
		.amdhsa_uses_dynamic_stack 0
		.amdhsa_enable_private_segment 0
		.amdhsa_system_sgpr_workgroup_id_x 1
		.amdhsa_system_sgpr_workgroup_id_y 0
		.amdhsa_system_sgpr_workgroup_id_z 1
		.amdhsa_system_sgpr_workgroup_info 0
		.amdhsa_system_vgpr_workitem_id 1
		.amdhsa_next_free_vgpr 228
		.amdhsa_next_free_sgpr 25
		.amdhsa_reserve_vcc 1
		.amdhsa_float_round_mode_32 0
		.amdhsa_float_round_mode_16_64 0
		.amdhsa_float_denorm_mode_32 3
		.amdhsa_float_denorm_mode_16_64 3
		.amdhsa_dx10_clamp 1
		.amdhsa_ieee_mode 1
		.amdhsa_fp16_overflow 0
		.amdhsa_workgroup_processor_mode 1
		.amdhsa_memory_ordered 1
		.amdhsa_forward_progress 0
		.amdhsa_shared_vgpr_count 0
		.amdhsa_exception_fp_ieee_invalid_op 0
		.amdhsa_exception_fp_denorm_src 0
		.amdhsa_exception_fp_ieee_div_zero 0
		.amdhsa_exception_fp_ieee_overflow 0
		.amdhsa_exception_fp_ieee_underflow 0
		.amdhsa_exception_fp_ieee_inexact 0
		.amdhsa_exception_int_div_zero 0
	.end_amdhsa_kernel
	.section	.text._ZN12_GLOBAL__N_120geam_min_plus_kernelIf15HIP_vector_typeIfLj2EES2_Li8ELi32ELi64ELi128ELi4ELi4ELi64ELi64ELi4ELc84ELc84ELb1ELb1ELb0EfKPKfKPfEEviiiT16_PT17_ilSA_ilS8_SA_ilPT18_ili26rocblas_geam_ex_operation_,"axG",@progbits,_ZN12_GLOBAL__N_120geam_min_plus_kernelIf15HIP_vector_typeIfLj2EES2_Li8ELi32ELi64ELi128ELi4ELi4ELi64ELi64ELi4ELc84ELc84ELb1ELb1ELb0EfKPKfKPfEEviiiT16_PT17_ilSA_ilS8_SA_ilPT18_ili26rocblas_geam_ex_operation_,comdat
.Lfunc_end49:
	.size	_ZN12_GLOBAL__N_120geam_min_plus_kernelIf15HIP_vector_typeIfLj2EES2_Li8ELi32ELi64ELi128ELi4ELi4ELi64ELi64ELi4ELc84ELc84ELb1ELb1ELb0EfKPKfKPfEEviiiT16_PT17_ilSA_ilS8_SA_ilPT18_ili26rocblas_geam_ex_operation_, .Lfunc_end49-_ZN12_GLOBAL__N_120geam_min_plus_kernelIf15HIP_vector_typeIfLj2EES2_Li8ELi32ELi64ELi128ELi4ELi4ELi64ELi64ELi4ELc84ELc84ELb1ELb1ELb0EfKPKfKPfEEviiiT16_PT17_ilSA_ilS8_SA_ilPT18_ili26rocblas_geam_ex_operation_
                                        ; -- End function
	.section	.AMDGPU.csdata,"",@progbits
; Kernel info:
; codeLenInByte = 13128
; NumSgprs: 27
; NumVgprs: 228
; ScratchSize: 0
; MemoryBound: 0
; FloatMode: 240
; IeeeMode: 1
; LDSByteSize: 6144 bytes/workgroup (compile time only)
; SGPRBlocks: 3
; VGPRBlocks: 28
; NumSGPRsForWavesPerEU: 27
; NumVGPRsForWavesPerEU: 228
; Occupancy: 6
; WaveLimiterHint : 1
; COMPUTE_PGM_RSRC2:SCRATCH_EN: 0
; COMPUTE_PGM_RSRC2:USER_SGPR: 14
; COMPUTE_PGM_RSRC2:TRAP_HANDLER: 0
; COMPUTE_PGM_RSRC2:TGID_X_EN: 1
; COMPUTE_PGM_RSRC2:TGID_Y_EN: 0
; COMPUTE_PGM_RSRC2:TGID_Z_EN: 1
; COMPUTE_PGM_RSRC2:TIDIG_COMP_CNT: 1
	.section	.text._ZN12_GLOBAL__N_120geam_min_plus_kernelIf15HIP_vector_typeIfLj2EES2_Li8ELi32ELi64ELi128ELi4ELi4ELi64ELi64ELi4ELc84ELc84ELb0ELb1ELb0EfKPKfKPfEEviiiT16_PT17_ilSA_ilS8_SA_ilPT18_ili26rocblas_geam_ex_operation_,"axG",@progbits,_ZN12_GLOBAL__N_120geam_min_plus_kernelIf15HIP_vector_typeIfLj2EES2_Li8ELi32ELi64ELi128ELi4ELi4ELi64ELi64ELi4ELc84ELc84ELb0ELb1ELb0EfKPKfKPfEEviiiT16_PT17_ilSA_ilS8_SA_ilPT18_ili26rocblas_geam_ex_operation_,comdat
	.globl	_ZN12_GLOBAL__N_120geam_min_plus_kernelIf15HIP_vector_typeIfLj2EES2_Li8ELi32ELi64ELi128ELi4ELi4ELi64ELi64ELi4ELc84ELc84ELb0ELb1ELb0EfKPKfKPfEEviiiT16_PT17_ilSA_ilS8_SA_ilPT18_ili26rocblas_geam_ex_operation_ ; -- Begin function _ZN12_GLOBAL__N_120geam_min_plus_kernelIf15HIP_vector_typeIfLj2EES2_Li8ELi32ELi64ELi128ELi4ELi4ELi64ELi64ELi4ELc84ELc84ELb0ELb1ELb0EfKPKfKPfEEviiiT16_PT17_ilSA_ilS8_SA_ilPT18_ili26rocblas_geam_ex_operation_
	.p2align	8
	.type	_ZN12_GLOBAL__N_120geam_min_plus_kernelIf15HIP_vector_typeIfLj2EES2_Li8ELi32ELi64ELi128ELi4ELi4ELi64ELi64ELi4ELc84ELc84ELb0ELb1ELb0EfKPKfKPfEEviiiT16_PT17_ilSA_ilS8_SA_ilPT18_ili26rocblas_geam_ex_operation_,@function
_ZN12_GLOBAL__N_120geam_min_plus_kernelIf15HIP_vector_typeIfLj2EES2_Li8ELi32ELi64ELi128ELi4ELi4ELi64ELi64ELi4ELc84ELc84ELb0ELb1ELb0EfKPKfKPfEEviiiT16_PT17_ilSA_ilS8_SA_ilPT18_ili26rocblas_geam_ex_operation_: ; @_ZN12_GLOBAL__N_120geam_min_plus_kernelIf15HIP_vector_typeIfLj2EES2_Li8ELi32ELi64ELi128ELi4ELi4ELi64ELi64ELi4ELc84ELc84ELb0ELb1ELb0EfKPKfKPfEEviiiT16_PT17_ilSA_ilS8_SA_ilPT18_ili26rocblas_geam_ex_operation_
; %bb.0:
	s_clause 0x1
	s_load_b128 s[16:19], s[0:1], 0x0
	s_load_b128 s[4:7], s[0:1], 0x20
	s_mov_b32 s2, s15
	s_mov_b32 s3, 0
	s_waitcnt lgkmcnt(0)
	v_cmp_eq_f32_e64 s8, s19, 0
	v_cmp_neq_f32_e64 s21, s19, 0
	s_delay_alu instid0(VALU_DEP_2)
	s_and_b32 vcc_lo, exec_lo, s8
	s_cbranch_vccnz .LBB50_3
; %bb.1:
	s_load_b64 s[10:11], s[0:1], 0x10
	s_lshl_b64 s[12:13], s[2:3], 3
	s_waitcnt lgkmcnt(0)
	s_add_u32 s10, s10, s12
	s_addc_u32 s11, s11, s13
	s_lshl_b64 s[4:5], s[4:5], 2
	s_load_b64 s[10:11], s[10:11], 0x0
	s_waitcnt lgkmcnt(0)
	s_add_u32 s12, s10, s4
	s_addc_u32 s13, s11, s5
	s_and_not1_b32 vcc_lo, exec_lo, s8
	s_cbranch_vccnz .LBB50_4
.LBB50_2:
	s_mov_b64 s[8:9], 0
	s_and_not1_b32 vcc_lo, exec_lo, s3
	s_cbranch_vccz .LBB50_5
	s_branch .LBB50_6
.LBB50_3:
	s_mov_b64 s[12:13], 0
	s_and_not1_b32 vcc_lo, exec_lo, s8
	s_cbranch_vccz .LBB50_2
.LBB50_4:
	s_mov_b32 s3, -1
                                        ; implicit-def: $sgpr8_sgpr9
.LBB50_5:
	s_mov_b32 s3, 0
	s_load_b64 s[8:9], s[0:1], 0x38
	s_lshl_b64 s[4:5], s[2:3], 3
	s_delay_alu instid0(SALU_CYCLE_1) | instskip(SKIP_4) | instid1(SALU_CYCLE_1)
	s_add_u32 s4, s6, s4
	s_addc_u32 s5, s7, s5
	s_load_b64 s[4:5], s[4:5], 0x0
	s_waitcnt lgkmcnt(0)
	s_lshl_b64 s[6:7], s[8:9], 2
	s_add_u32 s8, s4, s6
	s_addc_u32 s9, s5, s7
.LBB50_6:
	s_clause 0x1
	s_load_b32 s15, s[0:1], 0x40
	s_load_b128 s[4:7], s[0:1], 0x58
	s_waitcnt lgkmcnt(0)
	v_cmp_eq_f32_e64 s10, s15, 0
	v_cmp_neq_f32_e64 s20, s15, 0
	s_delay_alu instid0(VALU_DEP_2)
	s_and_b32 vcc_lo, exec_lo, s10
	s_cbranch_vccnz .LBB50_8
; %bb.7:
	s_load_b64 s[10:11], s[0:1], 0x48
	s_lshl_b64 s[22:23], s[2:3], 3
	s_waitcnt lgkmcnt(0)
	s_add_u32 s10, s10, s22
	s_addc_u32 s11, s11, s23
	s_lshl_b64 s[4:5], s[4:5], 2
	s_load_b64 s[10:11], s[10:11], 0x0
	s_waitcnt lgkmcnt(0)
	s_add_u32 s10, s10, s4
	s_addc_u32 s11, s11, s5
	s_branch .LBB50_9
.LBB50_8:
	s_mov_b64 s[10:11], 0
.LBB50_9:
	s_lshl_b64 s[2:3], s[2:3], 3
	v_dual_mov_b32 v9, 0 :: v_dual_and_b32 v52, 0x3ff, v0
	s_add_u32 s4, s6, s2
	s_addc_u32 s5, s7, s3
	s_add_i32 s2, s16, -1
	v_bfe_u32 v53, v0, 10, 10
	s_ashr_i32 s3, s2, 31
	s_load_b32 s27, s[0:1], 0x18
	s_lshr_b32 s3, s3, 26
	v_and_b32_e32 v54, 3, v52
	s_add_i32 s2, s2, s3
	v_lshl_add_u32 v0, v53, 3, v52
	s_ashr_i32 s2, s2, 6
	v_mov_b32_e32 v8, 0
	s_add_i32 s22, s2, 1
	s_not_b32 s2, s2
	v_cvt_f32_u32_e32 v1, s22
	v_lshrrev_b32_e32 v7, 2, v0
	v_lshlrev_b32_e32 v2, 2, v54
	s_delay_alu instid0(VALU_DEP_3) | instskip(SKIP_2) | instid1(VALU_DEP_1)
	v_rcp_iflag_f32_e32 v1, v1
	s_waitcnt_depctr 0xfff
	v_mul_f32_e32 v1, 0x4f7ffffe, v1
	v_cvt_u32_f32_e32 v1, v1
	s_delay_alu instid0(VALU_DEP_1) | instskip(NEXT) | instid1(VALU_DEP_1)
	v_readfirstlane_b32 s3, v1
	s_mul_i32 s2, s2, s3
	s_delay_alu instid0(SALU_CYCLE_1) | instskip(NEXT) | instid1(SALU_CYCLE_1)
	s_mul_hi_u32 s2, s3, s2
	s_add_i32 s3, s3, s2
	s_delay_alu instid0(SALU_CYCLE_1) | instskip(NEXT) | instid1(SALU_CYCLE_1)
	s_mul_hi_u32 s2, s14, s3
	s_mul_i32 s3, s2, s22
	s_add_i32 s6, s2, 1
	s_sub_i32 s3, s14, s3
	s_delay_alu instid0(SALU_CYCLE_1)
	s_sub_i32 s7, s3, s22
	s_cmp_ge_u32 s3, s22
	s_cselect_b32 s2, s6, s2
	s_cselect_b32 s3, s7, s3
	s_add_i32 s6, s2, 1
	s_cmp_ge_u32 s3, s22
	s_cselect_b32 s3, s6, s2
	s_load_b64 s[6:7], s[4:5], 0x0
	s_mul_i32 s2, s3, s22
	s_delay_alu instid0(SALU_CYCLE_1) | instskip(NEXT) | instid1(SALU_CYCLE_1)
	s_sub_i32 s2, s14, s2
	s_lshl_b32 s14, s2, 6
	v_cmp_gt_i32_e64 s2, s18, v54
	v_add_nc_u32_e32 v3, s14, v7
	s_delay_alu instid0(VALU_DEP_1) | instskip(NEXT) | instid1(VALU_DEP_3)
	v_cmp_gt_i32_e32 vcc_lo, s16, v3
	s_and_b32 s2, s2, vcc_lo
	s_delay_alu instid0(SALU_CYCLE_1) | instskip(NEXT) | instid1(SALU_CYCLE_1)
	s_and_b32 s2, s21, s2
	s_and_saveexec_b32 s4, s2
	s_cbranch_execz .LBB50_11
; %bb.10:
	s_waitcnt lgkmcnt(0)
	v_mad_i64_i32 v[4:5], null, v3, s27, 0
	s_delay_alu instid0(VALU_DEP_1) | instskip(NEXT) | instid1(VALU_DEP_1)
	v_lshlrev_b64 v[4:5], 2, v[4:5]
	v_add_co_u32 v1, s2, s12, v4
	s_delay_alu instid0(VALU_DEP_1) | instskip(NEXT) | instid1(VALU_DEP_2)
	v_add_co_ci_u32_e64 v5, s2, s13, v5, s2
	v_add_co_u32 v4, s2, v1, v2
	s_delay_alu instid0(VALU_DEP_1)
	v_add_co_ci_u32_e64 v5, s2, 0, v5, s2
	flat_load_b32 v1, v[4:5]
	s_waitcnt vmcnt(0) lgkmcnt(0)
	v_mul_f32_e32 v9, s19, v1
.LBB50_11:
	s_or_b32 exec_lo, exec_lo, s4
	s_load_b32 s23, s[0:1], 0x30
	v_lshrrev_b32_e32 v55, 6, v0
	s_add_i32 s24, s18, -1
	v_and_b32_e32 v10, 63, v0
	s_lshl_b32 s22, s3, 7
	s_xor_b32 s25, s21, -1
	v_min_i32_e32 v1, s24, v55
	v_cmp_le_i32_e64 s4, s18, v55
	v_or_b32_e32 v0, s22, v10
	s_delay_alu instid0(VALU_DEP_1) | instskip(NEXT) | instid1(VALU_DEP_1)
	v_cmp_le_i32_e64 s2, s17, v0
	s_or_b32 s5, s2, s4
	s_waitcnt lgkmcnt(0)
	v_mad_i64_i32 v[4:5], null, s23, v1, 0
	v_ashrrev_i32_e32 v1, 31, v0
	s_delay_alu instid0(VALU_DEP_2) | instskip(NEXT) | instid1(VALU_DEP_1)
	v_lshlrev_b64 v[5:6], 2, v[4:5]
	v_add_co_u32 v5, s3, s8, v5
	s_delay_alu instid0(VALU_DEP_1) | instskip(SKIP_1) | instid1(SALU_CYCLE_1)
	v_add_co_ci_u32_e64 v6, s3, s9, v6, s3
	s_or_b32 s3, s5, s25
	s_xor_b32 s3, s3, -1
	s_delay_alu instid0(SALU_CYCLE_1)
	s_and_saveexec_b32 s5, s3
	s_cbranch_execz .LBB50_13
; %bb.12:
	v_lshlrev_b64 v[11:12], 2, v[0:1]
	s_delay_alu instid0(VALU_DEP_1) | instskip(NEXT) | instid1(VALU_DEP_1)
	v_add_co_u32 v11, s3, v5, v11
	v_add_co_ci_u32_e64 v12, s3, v6, v12, s3
	flat_load_b32 v4, v[11:12]
	s_waitcnt vmcnt(0) lgkmcnt(0)
	v_mul_f32_e32 v8, s19, v4
.LBB50_13:
	s_or_b32 exec_lo, exec_lo, s5
	v_or_b32_e32 v4, 64, v0
	v_mov_b32_e32 v11, 0
	s_delay_alu instid0(VALU_DEP_2) | instskip(SKIP_1) | instid1(VALU_DEP_2)
	v_cmp_le_i32_e64 s3, s17, v4
	v_mov_b32_e32 v4, 0
	s_or_b32 s4, s3, s4
	s_delay_alu instid0(SALU_CYCLE_1) | instskip(NEXT) | instid1(SALU_CYCLE_1)
	s_or_b32 s4, s4, s25
	s_xor_b32 s4, s4, -1
	s_delay_alu instid0(SALU_CYCLE_1)
	s_and_saveexec_b32 s5, s4
	s_cbranch_execz .LBB50_15
; %bb.14:
	v_lshlrev_b64 v[11:12], 2, v[0:1]
	s_delay_alu instid0(VALU_DEP_1) | instskip(NEXT) | instid1(VALU_DEP_1)
	v_add_co_u32 v5, s4, v5, v11
	v_add_co_ci_u32_e64 v6, s4, v6, v12, s4
	flat_load_b32 v5, v[5:6] offset:256
	s_waitcnt vmcnt(0) lgkmcnt(0)
	v_mul_f32_e32 v11, s19, v5
.LBB50_15:
	s_or_b32 exec_lo, exec_lo, s5
	v_or_b32_e32 v5, 4, v54
	s_delay_alu instid0(VALU_DEP_1) | instskip(NEXT) | instid1(VALU_DEP_1)
	v_cmp_gt_i32_e64 s4, s18, v5
	s_and_b32 s4, s4, vcc_lo
	s_delay_alu instid0(SALU_CYCLE_1) | instskip(NEXT) | instid1(SALU_CYCLE_1)
	s_and_b32 s4, s21, s4
	s_and_saveexec_b32 s5, s4
	s_cbranch_execz .LBB50_17
; %bb.16:
	v_mad_i64_i32 v[4:5], null, v3, s27, 0
	s_delay_alu instid0(VALU_DEP_1) | instskip(NEXT) | instid1(VALU_DEP_1)
	v_lshlrev_b64 v[4:5], 2, v[4:5]
	v_add_co_u32 v4, s4, s12, v4
	s_delay_alu instid0(VALU_DEP_1) | instskip(NEXT) | instid1(VALU_DEP_2)
	v_add_co_ci_u32_e64 v5, s4, s13, v5, s4
	v_add_co_u32 v4, s4, v4, v2
	s_delay_alu instid0(VALU_DEP_1)
	v_add_co_ci_u32_e64 v5, s4, 0, v5, s4
	flat_load_b32 v4, v[4:5] offset:16
	s_waitcnt vmcnt(0) lgkmcnt(0)
	v_mul_f32_e32 v4, s19, v4
.LBB50_17:
	s_or_b32 exec_lo, exec_lo, s5
	v_add_nc_u32_e32 v12, 4, v55
	s_delay_alu instid0(VALU_DEP_1) | instskip(SKIP_1) | instid1(VALU_DEP_2)
	v_min_i32_e32 v13, s24, v12
	v_cmp_le_i32_e64 s4, s18, v12
	v_mad_i64_i32 v[5:6], null, s23, v13, 0
	s_delay_alu instid0(VALU_DEP_2) | instskip(NEXT) | instid1(VALU_DEP_1)
	s_or_b32 s26, s2, s4
	v_lshlrev_b64 v[12:13], 2, v[5:6]
	v_dual_mov_b32 v5, 0 :: v_dual_mov_b32 v6, 0
	s_delay_alu instid0(VALU_DEP_2) | instskip(NEXT) | instid1(VALU_DEP_1)
	v_add_co_u32 v12, s5, s8, v12
	v_add_co_ci_u32_e64 v13, s5, s9, v13, s5
	s_or_b32 s5, s26, s25
	s_delay_alu instid0(SALU_CYCLE_1) | instskip(NEXT) | instid1(SALU_CYCLE_1)
	s_xor_b32 s5, s5, -1
	s_and_saveexec_b32 s26, s5
	s_cbranch_execz .LBB50_19
; %bb.18:
	v_lshlrev_b64 v[14:15], 2, v[0:1]
	s_delay_alu instid0(VALU_DEP_1) | instskip(NEXT) | instid1(VALU_DEP_1)
	v_add_co_u32 v14, s5, v12, v14
	v_add_co_ci_u32_e64 v15, s5, v13, v15, s5
	flat_load_b32 v6, v[14:15]
	s_waitcnt vmcnt(0) lgkmcnt(0)
	v_mul_f32_e32 v6, s19, v6
.LBB50_19:
	s_or_b32 exec_lo, exec_lo, s26
	s_or_b32 s4, s3, s4
	s_delay_alu instid0(SALU_CYCLE_1) | instskip(NEXT) | instid1(SALU_CYCLE_1)
	s_or_b32 s4, s4, s25
	s_xor_b32 s4, s4, -1
	s_delay_alu instid0(SALU_CYCLE_1)
	s_and_saveexec_b32 s5, s4
	s_cbranch_execz .LBB50_21
; %bb.20:
	v_lshlrev_b64 v[14:15], 2, v[0:1]
	s_delay_alu instid0(VALU_DEP_1) | instskip(NEXT) | instid1(VALU_DEP_1)
	v_add_co_u32 v12, s4, v12, v14
	v_add_co_ci_u32_e64 v13, s4, v13, v15, s4
	flat_load_b32 v5, v[12:13] offset:256
	s_waitcnt vmcnt(0) lgkmcnt(0)
	v_mul_f32_e32 v5, s19, v5
.LBB50_21:
	s_or_b32 exec_lo, exec_lo, s5
	v_lshlrev_b32_e32 v12, 2, v55
	v_lshl_or_b32 v7, v7, 4, v2
	v_lshlrev_b32_e32 v56, 4, v53
	v_lshlrev_b32_e32 v57, 4, v52
	s_mov_b32 s26, 0
	v_lshl_add_u32 v58, v10, 4, v12
	s_cmp_lt_i32 s18, 9
	ds_store_b32 v7, v9 offset:4096
	ds_store_2addr_stride64_b32 v58, v8, v11 offset1:4
	s_waitcnt lgkmcnt(0)
	s_barrier
	buffer_gl0_inv
	ds_load_b128 v[8:11], v56
	ds_load_b128 v[12:15], v57 offset:4096
	ds_load_b128 v[16:19], v57 offset:4224
	;; [unrolled: 1-line block ×11, first 2 shown]
	ds_store_b32 v7, v4 offset:5120
	ds_store_2addr_stride64_b32 v58, v6, v5 offset0:8 offset1:12
	s_waitcnt lgkmcnt(0)
	s_barrier
	buffer_gl0_inv
	v_dual_max_f32 v8, v8, v8 :: v_dual_max_f32 v13, v13, v13
	v_dual_max_f32 v12, v12, v12 :: v_dual_max_f32 v17, v17, v17
	;; [unrolled: 1-line block ×9, first 2 shown]
	v_max_f32_e32 v9, v9, v9
	v_min_f32_e32 v63, v12, v8
	v_min_f32_e32 v65, v16, v8
	v_min_f32_e32 v67, v20, v8
	s_delay_alu instid0(VALU_DEP_4)
	v_dual_min_f32 v69, v24, v8 :: v_dual_min_f32 v70, v25, v9
	v_dual_min_f32 v71, v28, v8 :: v_dual_min_f32 v72, v29, v9
	;; [unrolled: 1-line block ×4, first 2 shown]
	v_dual_min_f32 v8, v40, v8 :: v_dual_max_f32 v45, v45, v45
	v_dual_max_f32 v44, v44, v44 :: v_dual_max_f32 v15, v15, v15
	v_dual_max_f32 v48, v48, v48 :: v_dual_max_f32 v39, v39, v39
	v_min_f32_e32 v64, v13, v9
	v_min_f32_e32 v66, v17, v9
	v_max_f32_e32 v10, v10, v10
	v_dual_max_f32 v14, v14, v14 :: v_dual_min_f32 v77, v12, v44
	v_dual_min_f32 v78, v13, v45 :: v_dual_max_f32 v19, v19, v19
	v_dual_max_f32 v18, v18, v18 :: v_dual_min_f32 v79, v16, v44
	v_dual_max_f32 v22, v22, v22 :: v_dual_min_f32 v81, v20, v44
	;; [unrolled: 1-line block ×5, first 2 shown]
	v_dual_min_f32 v88, v36, v44 :: v_dual_max_f32 v43, v43, v43
	v_dual_min_f32 v44, v40, v44 :: v_dual_max_f32 v49, v49, v49
	;; [unrolled: 1-line block ×3, first 2 shown]
	v_dual_max_f32 v60, v60, v60 :: v_dual_max_f32 v125, v62, v62
	v_min_f32_e32 v68, v21, v9
	v_min_f32_e32 v9, v41, v9
	v_dual_min_f32 v80, v17, v45 :: v_dual_max_f32 v23, v23, v23
	v_dual_min_f32 v82, v21, v45 :: v_dual_max_f32 v27, v27, v27
	;; [unrolled: 1-line block ×4, first 2 shown]
	v_dual_max_f32 v38, v38, v38 :: v_dual_min_f32 v89, v12, v48
	v_dual_min_f32 v90, v16, v48 :: v_dual_max_f32 v51, v51, v51
	v_dual_max_f32 v46, v46, v46 :: v_dual_min_f32 v91, v20, v48
	v_dual_max_f32 v50, v50, v50 :: v_dual_max_f32 v117, v61, v61
	v_dual_min_f32 v126, v28, v48 :: v_dual_min_f32 v93, v37, v45
	v_dual_min_f32 v127, v32, v48 :: v_dual_min_f32 v92, v33, v45
	;; [unrolled: 1-line block ×7, first 2 shown]
	v_min_f32_e32 v24, v24, v59
	v_min_f32_e32 v28, v28, v59
	v_dual_min_f32 v32, v32, v59 :: v_dual_min_f32 v17, v17, v60
	v_dual_min_f32 v36, v36, v59 :: v_dual_min_f32 v21, v21, v60
	v_min_f32_e32 v40, v40, v59
	v_dual_min_f32 v94, v13, v49 :: v_dual_add_f32 v59, 0, v64
	v_dual_min_f32 v130, v25, v49 :: v_dual_min_f32 v61, v15, v11
	v_min_f32_e32 v132, v33, v49
	v_dual_min_f32 v29, v29, v60 :: v_dual_add_f32 v62, 0, v63
	v_dual_min_f32 v33, v33, v60 :: v_dual_add_f32 v64, 0, v66
	v_dual_min_f32 v37, v37, v60 :: v_dual_min_f32 v66, v19, v11
	v_min_f32_e32 v63, v14, v10
	v_dual_add_f32 v65, 0, v65 :: v_dual_min_f32 v96, v18, v10
	v_min_f32_e32 v49, v41, v49
	v_min_f32_e32 v13, v13, v60
	;; [unrolled: 1-line block ×3, first 2 shown]
	v_dual_min_f32 v41, v41, v60 :: v_dual_add_f32 v124, v59, v61
	v_dual_add_f32 v123, v62, v63 :: v_dual_add_f32 v122, v65, v96
	v_dual_add_f32 v121, v64, v66 :: v_dual_min_f32 v60, v23, v11
	v_dual_add_f32 v59, 0, v68 :: v_dual_min_f32 v62, v22, v10
	v_dual_add_f32 v61, 0, v67 :: v_dual_min_f32 v66, v26, v10
	v_dual_add_f32 v63, 0, v70 :: v_dual_min_f32 v64, v27, v11
	v_dual_add_f32 v65, 0, v69 :: v_dual_min_f32 v68, v31, v11
	s_delay_alu instid0(VALU_DEP_3) | instskip(SKIP_1) | instid1(VALU_DEP_3)
	v_dual_add_f32 v67, 0, v72 :: v_dual_add_f32 v120, v61, v62
	v_dual_max_f32 v42, v42, v42 :: v_dual_max_f32 v47, v47, v47
	v_dual_add_f32 v119, v59, v60 :: v_dual_add_f32 v118, v65, v66
	v_dual_add_f32 v59, v63, v64 :: v_dual_min_f32 v62, v30, v10
	s_delay_alu instid0(VALU_DEP_4)
	v_dual_add_f32 v60, v67, v68 :: v_dual_add_f32 v61, 0, v71
	v_dual_add_f32 v63, 0, v74 :: v_dual_min_f32 v64, v35, v11
	v_dual_add_f32 v65, 0, v73 :: v_dual_min_f32 v66, v34, v10
	;; [unrolled: 1-line block ×4, first 2 shown]
	v_add_f32_e32 v61, v61, v62
	s_delay_alu instid0(VALU_DEP_4) | instskip(NEXT) | instid1(VALU_DEP_3)
	v_dual_add_f32 v63, v63, v64 :: v_dual_add_f32 v62, v65, v66
	v_dual_add_f32 v64, v67, v68 :: v_dual_add_f32 v65, v69, v70
	;; [unrolled: 1-line block ×3, first 2 shown]
	v_dual_min_f32 v10, v42, v10 :: v_dual_min_f32 v11, v43, v11
	v_dual_add_f32 v66, 0, v78 :: v_dual_min_f32 v67, v15, v47
	v_dual_add_f32 v68, 0, v77 :: v_dual_min_f32 v69, v14, v46
	;; [unrolled: 1-line block ×3, first 2 shown]
	s_delay_alu instid0(VALU_DEP_4) | instskip(SKIP_1) | instid1(VALU_DEP_4)
	v_dual_add_f32 v116, v8, v10 :: v_dual_add_f32 v115, v9, v11
	v_add_f32_e32 v10, 0, v82
	v_dual_add_f32 v114, v66, v67 :: v_dual_add_f32 v113, v68, v69
	s_delay_alu instid0(VALU_DEP_4) | instskip(SKIP_4) | instid1(VALU_DEP_4)
	v_dual_add_f32 v111, v70, v71 :: v_dual_add_f32 v66, 0, v81
	v_dual_add_f32 v8, 0, v79 :: v_dual_min_f32 v9, v18, v46
	v_dual_min_f32 v11, v23, v47 :: v_dual_add_f32 v68, 0, v84
	v_dual_min_f32 v67, v22, v46 :: v_dual_add_f32 v70, 0, v83
	v_min_f32_e32 v71, v26, v46
	v_dual_min_f32 v69, v27, v47 :: v_dual_add_f32 v112, v8, v9
	s_delay_alu instid0(VALU_DEP_4) | instskip(NEXT) | instid1(VALU_DEP_4)
	v_add_f32_e32 v110, v10, v11
	v_dual_add_f32 v109, v66, v67 :: v_dual_add_f32 v8, 0, v86
	v_dual_min_f32 v9, v31, v47 :: v_dual_add_f32 v66, 0, v92
	v_add_f32_e32 v10, 0, v85
	v_add_f32_e32 v108, v70, v71
	v_min_f32_e32 v11, v30, v46
	v_dual_min_f32 v67, v35, v47 :: v_dual_add_f32 v70, 0, v93
	v_min_f32_e32 v71, v39, v47
	v_dual_add_f32 v107, v68, v69 :: v_dual_add_f32 v68, 0, v87
	v_min_f32_e32 v69, v34, v46
	v_dual_add_f32 v105, v8, v9 :: v_dual_add_f32 v8, 0, v88
	v_add_f32_e32 v106, v10, v11
	v_dual_min_f32 v9, v38, v46 :: v_dual_add_f32 v10, 0, v45
	v_dual_add_f32 v101, v70, v71 :: v_dual_add_f32 v44, 0, v44
	v_min_f32_e32 v11, v43, v47
	s_delay_alu instid0(VALU_DEP_3) | instskip(SKIP_1) | instid1(VALU_DEP_3)
	v_dual_min_f32 v45, v42, v46 :: v_dual_add_f32 v102, v8, v9
	v_dual_add_f32 v46, 0, v94 :: v_dual_min_f32 v47, v15, v51
	v_dual_add_f32 v99, v10, v11 :: v_dual_add_f32 v10, 0, v90
	s_delay_alu instid0(VALU_DEP_3) | instskip(SKIP_4) | instid1(VALU_DEP_4)
	v_add_f32_e32 v98, v44, v45
	v_dual_add_f32 v8, 0, v95 :: v_dual_min_f32 v11, v18, v50
	v_min_f32_e32 v45, v23, v51
	v_min_f32_e32 v9, v19, v51
	v_dual_add_f32 v97, v46, v47 :: v_dual_add_f32 v44, 0, v129
	v_add_f32_e32 v95, v10, v11
	v_add_f32_e32 v10, 0, v131
	s_delay_alu instid0(VALU_DEP_4)
	v_add_f32_e32 v94, v8, v9
	v_dual_add_f32 v8, 0, v100 :: v_dual_min_f32 v9, v26, v50
	v_add_f32_e32 v104, v66, v67
	v_dual_add_f32 v66, 0, v89 :: v_dual_min_f32 v67, v14, v50
	v_dual_add_f32 v46, 0, v91 :: v_dual_min_f32 v47, v22, v50
	v_add_f32_e32 v92, v44, v45
	v_add_f32_e32 v44, 0, v126
	s_delay_alu instid0(VALU_DEP_4) | instskip(SKIP_4) | instid1(VALU_DEP_4)
	v_dual_add_f32 v96, v66, v67 :: v_dual_add_f32 v13, 0, v13
	v_dual_add_f32 v66, 0, v130 :: v_dual_min_f32 v67, v27, v51
	v_min_f32_e32 v45, v30, v50
	v_dual_add_f32 v93, v46, v47 :: v_dual_add_f32 v46, 0, v132
	v_min_f32_e32 v47, v35, v51
	v_dual_add_f32 v90, v66, v67 :: v_dual_min_f32 v15, v15, v125
	v_add_f32_e32 v66, 0, v127
	v_dual_min_f32 v11, v31, v51 :: v_dual_add_f32 v88, v44, v45
	v_min_f32_e32 v67, v34, v50
	v_add_f32_e32 v91, v8, v9
	s_delay_alu instid0(VALU_DEP_3) | instskip(SKIP_4) | instid1(VALU_DEP_3)
	v_dual_add_f32 v8, 0, v133 :: v_dual_add_f32 v89, v10, v11
	v_dual_add_f32 v44, 0, v49 :: v_dual_min_f32 v9, v39, v51
	v_dual_add_f32 v10, 0, v128 :: v_dual_min_f32 v11, v38, v50
	v_min_f32_e32 v14, v14, v117
	v_dual_add_f32 v87, v46, v47 :: v_dual_add_f32 v46, 0, v48
	v_dual_add_f32 v84, v8, v9 :: v_dual_add_f32 v85, v10, v11
	v_add_f32_e32 v8, 0, v12
	v_dual_add_f32 v12, 0, v21 :: v_dual_add_f32 v11, 0, v20
	v_dual_min_f32 v47, v42, v50 :: v_dual_add_f32 v80, v13, v15
	s_delay_alu instid0(VALU_DEP_3) | instskip(NEXT) | instid1(VALU_DEP_2)
	v_dual_add_f32 v81, v8, v14 :: v_dual_min_f32 v8, v22, v117
	v_dual_add_f32 v9, 0, v16 :: v_dual_add_f32 v82, v46, v47
	v_dual_add_f32 v15, 0, v25 :: v_dual_add_f32 v16, 0, v28
	v_dual_add_f32 v25, 0, v37 :: v_dual_add_f32 v28, 0, v40
	s_delay_alu instid0(VALU_DEP_4) | instskip(SKIP_4) | instid1(VALU_DEP_4)
	v_dual_add_f32 v77, v11, v8 :: v_dual_min_f32 v8, v26, v117
	v_min_f32_e32 v11, v30, v117
	v_dual_min_f32 v45, v43, v51 :: v_dual_add_f32 v10, 0, v17
	v_min_f32_e32 v23, v23, v125
	v_dual_add_f32 v13, 0, v24 :: v_dual_min_f32 v18, v18, v117
	v_dual_add_f32 v72, v16, v11 :: v_dual_min_f32 v19, v19, v125
	s_delay_alu instid0(VALU_DEP_3) | instskip(SKIP_1) | instid1(VALU_DEP_3)
	v_dual_add_f32 v76, v12, v23 :: v_dual_add_f32 v17, 0, v29
	v_dual_add_f32 v20, 0, v32 :: v_dual_add_f32 v29, 0, v41
	;; [unrolled: 1-line block ×3, first 2 shown]
	v_min_f32_e32 v10, v31, v125
	v_dual_min_f32 v11, v43, v125 :: v_dual_add_f32 v86, v66, v67
	v_add_f32_e32 v83, v44, v45
	v_dual_add_f32 v21, 0, v33 :: v_dual_add_f32 v24, 0, v36
	s_delay_alu instid0(VALU_DEP_4) | instskip(NEXT) | instid1(VALU_DEP_4)
	v_dual_add_f32 v73, v17, v10 :: v_dual_min_f32 v10, v38, v117
	v_add_f32_e32 v67, v29, v11
	v_min_f32_e32 v9, v27, v125
	v_add_f32_e32 v103, v68, v69
	s_delay_alu instid0(VALU_DEP_4) | instskip(SKIP_1) | instid1(VALU_DEP_4)
	v_dual_add_f32 v75, v13, v8 :: v_dual_add_f32 v68, v24, v10
	v_min_f32_e32 v8, v34, v117
	v_add_f32_e32 v74, v15, v9
	v_min_f32_e32 v9, v35, v125
	s_delay_alu instid0(VALU_DEP_3) | instskip(NEXT) | instid1(VALU_DEP_2)
	v_dual_min_f32 v12, v42, v117 :: v_dual_add_f32 v71, v20, v8
	v_add_f32_e32 v70, v21, v9
	s_delay_alu instid0(VALU_DEP_2) | instskip(NEXT) | instid1(VALU_DEP_1)
	v_dual_min_f32 v9, v39, v125 :: v_dual_add_f32 v66, v28, v12
	v_add_f32_e32 v69, v25, v9
	s_cbranch_scc1 .LBB50_36
; %bb.22:
	v_mad_i64_i32 v[4:5], null, s27, v3, 0
	v_lshlrev_b64 v[48:49], 2, v[0:1]
	v_add_nc_u32_e32 v100, 0x1000, v7
	v_add_nc_u32_e32 v117, 0x1000, v57
	;; [unrolled: 1-line block ×3, first 2 shown]
	v_or_b32_e32 v126, 0x800, v58
	v_lshl_add_u32 v127, v52, 4, 0x1400
	v_lshlrev_b64 v[3:4], 2, v[4:5]
	v_lshl_add_u32 v128, v53, 4, 0x800
	s_delay_alu instid0(VALU_DEP_2) | instskip(NEXT) | instid1(VALU_DEP_1)
	v_add_co_u32 v2, s4, v3, v2
	v_add_co_ci_u32_e64 v3, s4, 0, v4, s4
	s_delay_alu instid0(VALU_DEP_2) | instskip(NEXT) | instid1(VALU_DEP_1)
	v_add_co_u32 v2, s4, v2, s12
	v_add_co_ci_u32_e64 v3, s4, s13, v3, s4
	s_add_i32 s12, s18, -8
	s_delay_alu instid0(VALU_DEP_2) | instskip(NEXT) | instid1(VALU_DEP_1)
	v_add_co_u32 v50, s4, v2, 48
	v_add_co_ci_u32_e64 v51, s4, 0, v3, s4
	s_branch .LBB50_24
.LBB50_23:                              ;   in Loop: Header=BB50_24 Depth=1
	s_or_b32 exec_lo, exec_lo, s5
	v_dual_add_f32 v36, v123, v36 :: v_dual_add_f32 v41, v122, v41
	v_dual_add_f32 v40, v124, v40 :: v_dual_add_f32 v33, v118, v33
	;; [unrolled: 1-line block ×16, first 2 shown]
	v_add_f32_e32 v103, v104, v140
	v_dual_add_f32 v4, v101, v4 :: v_dual_add_f32 v5, v98, v5
	v_dual_add_f32 v1, v84, v1 :: v_dual_add_f32 v78, v78, v160
	;; [unrolled: 1-line block ×11, first 2 shown]
	ds_load_b128 v[20:23], v56
	ds_load_b128 v[28:31], v117
	v_dual_add_f32 v77, v77, v10 :: v_dual_add_f32 v124, v43, v7
	v_dual_add_f32 v75, v75, v11 :: v_dual_add_f32 v72, v72, v2
	ds_load_b128 v[8:11], v117 offset:128
	v_dual_add_f32 v81, v81, v158 :: v_dual_add_f32 v76, v76, v163
	v_dual_add_f32 v73, v73, v167 :: v_dual_add_f32 v68, v68, v170
	;; [unrolled: 1-line block ×7, first 2 shown]
	s_delay_alu instid0(VALU_DEP_4)
	v_dual_add_f32 v122, v1, v210 :: v_dual_add_f32 v83, v83, v211
	v_dual_add_f32 v81, v81, v208 :: v_dual_add_f32 v76, v76, v26
	;; [unrolled: 1-line block ×5, first 2 shown]
	s_waitcnt lgkmcnt(2)
	v_dual_add_f32 v69, v69, v15 :: v_dual_max_f32 v20, v20, v20
	s_waitcnt lgkmcnt(1)
	v_dual_add_f32 v123, v46, v19 :: v_dual_max_f32 v28, v28, v28
	ds_load_b128 v[1:4], v117 offset:256
	ds_load_b128 v[12:15], v117 offset:384
	;; [unrolled: 1-line block ×5, first 2 shown]
	v_add_f32_e32 v98, v99, v142
	v_dual_add_f32 v99, v41, v42 :: v_dual_add_f32 v60, v60, v187
	s_waitcnt lgkmcnt(5)
	v_dual_max_f32 v21, v21, v21 :: v_dual_max_f32 v132, v8, v8
	v_max_f32_e32 v29, v29, v29
	ds_load_b128 v[36:39], v117 offset:768
	ds_load_b128 v[40:43], v117 offset:896
	v_max_f32_e32 v9, v9, v9
	v_dual_add_f32 v59, v59, v178 :: v_dual_add_f32 v64, v64, v189
	v_dual_min_f32 v134, v132, v20 :: v_dual_min_f32 v133, v29, v21
	v_dual_add_f32 v118, v45, v186 :: v_dual_add_f32 v119, v44, v177
	v_dual_add_f32 v61, v61, v179 :: v_dual_add_f32 v102, v102, v182
	s_waitcnt lgkmcnt(6)
	v_dual_max_f32 v2, v2, v2 :: v_dual_min_f32 v131, v28, v20
	v_add_f32_e32 v66, v66, v133
	s_waitcnt lgkmcnt(5)
	v_max_f32_e32 v12, v12, v12
	s_waitcnt lgkmcnt(4)
	v_dual_max_f32 v16, v16, v16 :: v_dual_max_f32 v13, v13, v13
	s_waitcnt lgkmcnt(3)
	v_dual_max_f32 v24, v24, v24 :: v_dual_add_f32 v67, v67, v131
	v_min_f32_e32 v131, v9, v21
	s_waitcnt lgkmcnt(1)
	v_dual_max_f32 v1, v1, v1 :: v_dual_max_f32 v36, v36, v36
	s_waitcnt lgkmcnt(0)
	v_dual_max_f32 v40, v40, v40 :: v_dual_max_f32 v25, v25, v25
	v_dual_add_f32 v84, v84, v131 :: v_dual_min_f32 v131, v2, v21
	s_delay_alu instid0(VALU_DEP_3) | instskip(SKIP_2) | instid1(VALU_DEP_4)
	v_min_f32_e32 v133, v1, v20
	v_dual_add_f32 v99, v99, v134 :: v_dual_min_f32 v134, v12, v20
	v_max_f32_e32 v33, v33, v33
	v_add_f32_e32 v101, v101, v131
	v_min_f32_e32 v131, v16, v20
	v_max_f32_e32 v32, v32, v32
	v_add_f32_e32 v106, v106, v134
	v_min_f32_e32 v134, v25, v21
	v_add_f32_e32 v104, v104, v133
	v_dual_min_f32 v133, v13, v21 :: v_dual_add_f32 v108, v108, v131
	v_min_f32_e32 v131, v24, v20
	v_max_f32_e32 v17, v17, v17
	v_max_f32_e32 v37, v37, v37
	s_delay_alu instid0(VALU_DEP_4) | instskip(NEXT) | instid1(VALU_DEP_4)
	v_add_f32_e32 v105, v105, v133
	v_dual_max_f32 v41, v41, v41 :: v_dual_add_f32 v110, v110, v131
	s_delay_alu instid0(VALU_DEP_4)
	v_min_f32_e32 v133, v17, v21
	v_dual_add_f32 v95, v95, v145 :: v_dual_add_f32 v94, v94, v146
	v_add_f32_e32 v121, v5, v191
	ds_load_b128 v[5:8], v56 offset:1024
	ds_load_b128 v[44:47], v56 offset:1536
	v_add_f32_e32 v107, v107, v133
	v_min_f32_e32 v133, v36, v20
	v_dual_min_f32 v20, v40, v20 :: v_dual_add_f32 v109, v109, v134
	v_add_f32_e32 v94, v94, v202
	v_dual_add_f32 v96, v96, v143 :: v_dual_add_f32 v97, v97, v144
	s_delay_alu instid0(VALU_DEP_3) | instskip(SKIP_3) | instid1(VALU_DEP_3)
	v_add_f32_e32 v20, v114, v20
	v_dual_min_f32 v114, v132, v32 :: v_dual_min_f32 v131, v37, v21
	v_min_f32_e32 v21, v41, v21
	v_dual_add_f32 v112, v112, v133 :: v_dual_add_f32 v93, v93, v147
	v_dual_add_f32 v92, v92, v148 :: v_dual_add_f32 v111, v111, v131
	v_min_f32_e32 v131, v28, v32
	s_delay_alu instid0(VALU_DEP_4) | instskip(SKIP_2) | instid1(VALU_DEP_3)
	v_add_f32_e32 v21, v113, v21
	v_dual_add_f32 v91, v91, v149 :: v_dual_add_f32 v90, v90, v150
	s_waitcnt lgkmcnt(1)
	v_dual_max_f32 v6, v6, v6 :: v_dual_add_f32 v113, v116, v131
	v_min_f32_e32 v116, v2, v33
	v_dual_add_f32 v86, v86, v153 :: v_dual_add_f32 v87, v87, v154
	s_waitcnt lgkmcnt(0)
	v_dual_max_f32 v5, v5, v5 :: v_dual_max_f32 v44, v44, v44
	s_delay_alu instid0(VALU_DEP_3) | instskip(SKIP_3) | instid1(VALU_DEP_3)
	v_add_f32_e32 v136, v60, v116
	v_min_f32_e32 v60, v17, v33
	v_dual_add_f32 v97, v97, v201 :: v_dual_add_f32 v92, v92, v203
	v_dual_add_f32 v91, v91, v195 :: v_dual_add_f32 v86, v86, v197
	v_dual_add_f32 v140, v64, v60 :: v_dual_min_f32 v133, v29, v33
	v_min_f32_e32 v60, v37, v33
	v_dual_add_f32 v65, v65, v181 :: v_dual_add_f32 v96, v96, v192
	v_max_f32_e32 v45, v45, v45
	s_delay_alu instid0(VALU_DEP_3) | instskip(SKIP_3) | instid1(VALU_DEP_3)
	v_dual_add_f32 v131, v115, v133 :: v_dual_add_f32 v142, v120, v60
	v_dual_add_f32 v133, v119, v114 :: v_dual_min_f32 v114, v1, v32
	v_dual_add_f32 v103, v103, v190 :: v_dual_add_f32 v98, v98, v200
	v_dual_min_f32 v119, v12, v32 :: v_dual_min_f32 v60, v29, v6
	v_add_f32_e32 v135, v59, v114
	v_min_f32_e32 v59, v16, v32
	v_dual_add_f32 v88, v88, v151 :: v_dual_add_f32 v89, v89, v152
	v_dual_add_f32 v95, v95, v193 :: v_dual_add_f32 v90, v90, v204
	s_delay_alu instid0(VALU_DEP_3) | instskip(SKIP_1) | instid1(VALU_DEP_4)
	v_add_f32_e32 v139, v63, v59
	v_min_f32_e32 v59, v36, v32
	v_dual_add_f32 v93, v93, v194 :: v_dual_add_f32 v88, v88, v196
	v_add_f32_e32 v137, v61, v119
	s_delay_alu instid0(VALU_DEP_3) | instskip(SKIP_4) | instid1(VALU_DEP_4)
	v_dual_add_f32 v97, v97, v60 :: v_dual_add_f32 v102, v102, v59
	v_min_f32_e32 v59, v28, v5
	v_min_f32_e32 v115, v9, v33
	v_min_f32_e32 v60, v1, v5
	v_dual_add_f32 v85, v85, v155 :: v_dual_add_f32 v82, v82, v156
	v_add_f32_e32 v96, v96, v59
	s_delay_alu instid0(VALU_DEP_4) | instskip(SKIP_1) | instid1(VALU_DEP_4)
	v_dual_add_f32 v134, v118, v115 :: v_dual_min_f32 v59, v9, v6
	v_min_f32_e32 v115, v13, v33
	v_dual_add_f32 v89, v89, v205 :: v_dual_add_f32 v82, v82, v207
	v_dual_add_f32 v87, v87, v206 :: v_dual_add_f32 v80, v80, v212
	s_delay_alu instid0(VALU_DEP_4) | instskip(NEXT) | instid1(VALU_DEP_4)
	v_add_f32_e32 v94, v94, v59
	v_add_f32_e32 v138, v62, v115
	v_min_f32_e32 v62, v25, v33
	v_min_f32_e32 v59, v13, v6
	v_dual_add_f32 v93, v93, v60 :: v_dual_min_f32 v60, v16, v5
	s_delay_alu instid0(VALU_DEP_3) | instskip(SKIP_1) | instid1(VALU_DEP_4)
	v_dual_min_f32 v16, v16, v44 :: v_dual_add_f32 v103, v103, v62
	v_min_f32_e32 v62, v12, v5
	v_dual_min_f32 v61, v24, v32 :: v_dual_add_f32 v90, v90, v59
	v_min_f32_e32 v59, v17, v6
	v_dual_add_f32 v85, v85, v198 :: v_dual_add_f32 v78, v78, v209
	s_delay_alu instid0(VALU_DEP_4) | instskip(SKIP_4) | instid1(VALU_DEP_4)
	v_dual_add_f32 v91, v91, v62 :: v_dual_add_f32 v16, v72, v16
	v_min_f32_e32 v62, v25, v6
	v_dual_add_f32 v141, v65, v61 :: v_dual_add_f32 v88, v88, v60
	v_min_f32_e32 v61, v132, v5
	v_dual_min_f32 v60, v36, v5 :: v_dual_add_f32 v89, v89, v59
	v_dual_add_f32 v87, v87, v62 :: v_dual_min_f32 v36, v36, v44
	v_min_f32_e32 v59, v37, v6
	s_delay_alu instid0(VALU_DEP_3) | instskip(SKIP_1) | instid1(VALU_DEP_3)
	v_dual_add_f32 v85, v85, v60 :: v_dual_max_f32 v22, v22, v22
	v_min_f32_e32 v12, v12, v44
	v_dual_add_f32 v36, v68, v36 :: v_dual_add_f32 v143, v122, v59
	v_min_f32_e32 v59, v132, v44
	v_add_f32_e32 v95, v95, v61
	v_min_f32_e32 v61, v2, v6
	v_max_f32_e32 v23, v23, v23
	v_dual_max_f32 v31, v31, v31 :: v_dual_max_f32 v38, v38, v38
	v_min_f32_e32 v32, v40, v32
	s_delay_alu instid0(VALU_DEP_4) | instskip(SKIP_4) | instid1(VALU_DEP_3)
	v_add_f32_e32 v92, v92, v61
	v_min_f32_e32 v61, v24, v5
	v_dual_min_f32 v5, v40, v5 :: v_dual_max_f32 v30, v30, v30
	v_dual_min_f32 v33, v41, v33 :: v_dual_min_f32 v28, v28, v44
	v_dual_min_f32 v1, v1, v44 :: v_dual_max_f32 v14, v14, v14
	v_dual_add_f32 v5, v82, v5 :: v_dual_min_f32 v24, v24, v44
	v_min_f32_e32 v40, v40, v44
	v_dual_min_f32 v44, v31, v23 :: v_dual_min_f32 v29, v29, v45
	v_dual_max_f32 v10, v10, v10 :: v_dual_min_f32 v9, v9, v45
	s_delay_alu instid0(VALU_DEP_3) | instskip(NEXT) | instid1(VALU_DEP_3)
	v_add_f32_e32 v40, v124, v40
	v_dual_add_f32 v124, v66, v44 :: v_dual_max_f32 v3, v3, v3
	s_delay_alu instid0(VALU_DEP_3) | instskip(SKIP_3) | instid1(VALU_DEP_4)
	v_dual_min_f32 v44, v10, v22 :: v_dual_add_f32 v29, v80, v29
	v_min_f32_e32 v13, v13, v45
	v_max_f32_e32 v19, v19, v19
	v_dual_min_f32 v25, v25, v45 :: v_dual_max_f32 v26, v26, v26
	v_add_f32_e32 v122, v99, v44
	v_dual_min_f32 v44, v3, v22 :: v_dual_add_f32 v1, v77, v1
	v_dual_add_f32 v13, v74, v13 :: v_dual_min_f32 v6, v41, v6
	v_dual_add_f32 v9, v79, v9 :: v_dual_max_f32 v4, v4, v4
	s_delay_alu instid0(VALU_DEP_3) | instskip(SKIP_3) | instid1(VALU_DEP_3)
	v_add_f32_e32 v120, v104, v44
	v_dual_min_f32 v44, v19, v23 :: v_dual_min_f32 v37, v37, v45
	v_min_f32_e32 v2, v2, v45
	v_dual_min_f32 v17, v17, v45 :: v_dual_max_f32 v18, v18, v18
	v_dual_add_f32 v60, v107, v44 :: v_dual_add_f32 v37, v69, v37
	v_dual_min_f32 v62, v26, v22 :: v_dual_min_f32 v41, v41, v45
	v_min_f32_e32 v45, v30, v22
	v_dual_max_f32 v42, v42, v42 :: v_dual_max_f32 v27, v27, v27
	s_delay_alu instid0(VALU_DEP_3) | instskip(NEXT) | instid1(VALU_DEP_3)
	v_dual_add_f32 v62, v110, v62 :: v_dual_add_f32 v41, v123, v41
	v_add_f32_e32 v123, v67, v45
	v_min_f32_e32 v45, v4, v23
	v_dual_max_f32 v11, v11, v11 :: v_dual_add_f32 v32, v121, v32
	v_add_f32_e32 v78, v78, v59
	v_max_f32_e32 v35, v35, v35
	s_delay_alu instid0(VALU_DEP_4) | instskip(SKIP_3) | instid1(VALU_DEP_3)
	v_add_f32_e32 v119, v101, v45
	v_min_f32_e32 v45, v14, v22
	v_dual_max_f32 v34, v34, v34 :: v_dual_max_f32 v15, v15, v15
	v_dual_max_f32 v39, v39, v39 :: v_dual_max_f32 v8, v8, v8
	v_add_f32_e32 v118, v106, v45
	v_dual_add_f32 v17, v73, v17 :: v_dual_min_f32 v44, v27, v23
	v_dual_min_f32 v45, v18, v22 :: v_dual_add_f32 v24, v71, v24
	v_dual_add_f32 v86, v86, v61 :: v_dual_max_f32 v7, v7, v7
	s_delay_alu instid0(VALU_DEP_3) | instskip(SKIP_1) | instid1(VALU_DEP_4)
	v_dual_add_f32 v63, v109, v44 :: v_dual_min_f32 v44, v38, v22
	v_dual_min_f32 v59, v11, v23 :: v_dual_min_f32 v22, v42, v22
	v_add_f32_e32 v61, v108, v45
	v_min_f32_e32 v45, v39, v23
	s_delay_alu instid0(VALU_DEP_4) | instskip(NEXT) | instid1(VALU_DEP_4)
	v_add_f32_e32 v65, v112, v44
	v_add_f32_e32 v121, v84, v59
	;; [unrolled: 1-line block ×3, first 2 shown]
	v_dual_min_f32 v20, v10, v34 :: v_dual_min_f32 v59, v15, v23
	v_dual_min_f32 v22, v3, v34 :: v_dual_add_f32 v33, v98, v33
	v_add_f32_e32 v28, v81, v28
	s_delay_alu instid0(VALU_DEP_3) | instskip(NEXT) | instid1(VALU_DEP_4)
	v_add_f32_e32 v112, v133, v20
	v_dual_min_f32 v20, v14, v34 :: v_dual_add_f32 v59, v105, v59
	s_delay_alu instid0(VALU_DEP_4) | instskip(SKIP_2) | instid1(VALU_DEP_4)
	v_add_f32_e32 v109, v135, v22
	v_add_f32_e32 v2, v76, v2
	;; [unrolled: 1-line block ×4, first 2 shown]
	v_min_f32_e32 v20, v18, v34
	v_add_f32_e32 v12, v75, v12
	v_add_co_u32 v50, s4, v50, 32
	s_delay_alu instid0(VALU_DEP_1) | instskip(NEXT) | instid1(VALU_DEP_4)
	v_add_co_ci_u32_e64 v51, s4, 0, v51, s4
	v_add_f32_e32 v106, v139, v20
	v_dual_min_f32 v20, v38, v34 :: v_dual_max_f32 v43, v43, v43
	v_min_f32_e32 v22, v27, v35
	s_add_i32 s26, s26, 8
	ds_store_b32 v125, v129
	ds_store_2addr_stride64_b32 v126, v130, v0 offset1:4
	v_dual_add_f32 v102, v102, v20 :: v_dual_min_f32 v23, v43, v23
	v_add_f32_e32 v104, v103, v22
	v_min_f32_e32 v22, v42, v34
	v_dual_add_f32 v64, v111, v45 :: v_dual_min_f32 v45, v30, v34
	v_min_f32_e32 v20, v31, v8
	s_cmp_ge_i32 s26, s12
	s_delay_alu instid0(VALU_DEP_3) | instskip(SKIP_4) | instid1(VALU_DEP_3)
	v_add_f32_e32 v98, v32, v22
	v_dual_min_f32 v22, v4, v8 :: v_dual_add_f32 v115, v21, v23
	v_min_f32_e32 v21, v11, v35
	v_add_f32_e32 v97, v97, v20
	v_dual_add_f32 v25, v70, v25 :: v_dual_min_f32 v44, v31, v35
	v_dual_add_f32 v92, v92, v22 :: v_dual_add_f32 v111, v134, v21
	v_min_f32_e32 v21, v4, v35
	v_min_f32_e32 v22, v18, v7
	;; [unrolled: 1-line block ×3, first 2 shown]
	v_add_f32_e32 v114, v131, v44
	s_waitcnt lgkmcnt(0)
	v_add_f32_e32 v110, v136, v21
	v_add_f32_e32 v88, v88, v22
	v_max_f32_e32 v22, v47, v47
	v_min_f32_e32 v21, v19, v35
	s_barrier
	buffer_gl0_inv
	v_min_f32_e32 v4, v4, v22
	v_add_f32_e32 v105, v140, v21
	s_delay_alu instid0(VALU_DEP_2) | instskip(NEXT) | instid1(VALU_DEP_1)
	v_dual_min_f32 v21, v39, v35 :: v_dual_add_f32 v76, v2, v4
	v_dual_min_f32 v2, v15, v22 :: v_dual_add_f32 v101, v142, v21
	s_delay_alu instid0(VALU_DEP_1) | instskip(NEXT) | instid1(VALU_DEP_1)
	v_dual_min_f32 v21, v43, v35 :: v_dual_add_f32 v74, v13, v2
	v_add_f32_e32 v99, v33, v21
	v_min_f32_e32 v21, v11, v8
	s_delay_alu instid0(VALU_DEP_1) | instskip(NEXT) | instid1(VALU_DEP_1)
	v_dual_add_f32 v94, v94, v21 :: v_dual_min_f32 v21, v3, v7
	v_add_f32_e32 v93, v93, v21
	v_min_f32_e32 v21, v19, v8
	s_delay_alu instid0(VALU_DEP_1) | instskip(SKIP_2) | instid1(VALU_DEP_2)
	v_add_f32_e32 v89, v89, v21
	v_min_f32_e32 v21, v39, v8
	v_add_f32_e32 v107, v138, v23
	v_dual_min_f32 v23, v26, v34 :: v_dual_add_f32 v84, v143, v21
	v_max_f32_e32 v21, v46, v46
	s_delay_alu instid0(VALU_DEP_2) | instskip(NEXT) | instid1(VALU_DEP_2)
	v_dual_add_f32 v103, v141, v23 :: v_dual_min_f32 v2, v27, v22
	v_min_f32_e32 v4, v18, v21
	v_min_f32_e32 v20, v10, v7
	;; [unrolled: 1-line block ×3, first 2 shown]
	v_add_f32_e32 v113, v113, v45
	s_delay_alu instid0(VALU_DEP_4) | instskip(NEXT) | instid1(VALU_DEP_4)
	v_dual_min_f32 v3, v3, v21 :: v_dual_add_f32 v72, v16, v4
	v_dual_add_f32 v95, v95, v20 :: v_dual_add_f32 v70, v25, v2
	v_min_f32_e32 v20, v14, v7
	v_dual_add_f32 v96, v96, v23 :: v_dual_min_f32 v23, v15, v8
	s_delay_alu instid0(VALU_DEP_4) | instskip(SKIP_1) | instid1(VALU_DEP_4)
	v_add_f32_e32 v77, v1, v3
	v_min_f32_e32 v1, v14, v21
	v_add_f32_e32 v91, v91, v20
	v_min_f32_e32 v20, v27, v8
	v_add_f32_e32 v90, v90, v23
	v_dual_min_f32 v23, v26, v7 :: v_dual_min_f32 v4, v43, v22
	v_min_f32_e32 v8, v43, v8
	s_delay_alu instid0(VALU_DEP_4) | instskip(SKIP_1) | instid1(VALU_DEP_4)
	v_dual_add_f32 v87, v87, v20 :: v_dual_min_f32 v20, v38, v7
	v_min_f32_e32 v7, v42, v7
	v_dual_min_f32 v3, v19, v22 :: v_dual_add_f32 v86, v86, v23
	v_min_f32_e32 v23, v31, v22
	s_delay_alu instid0(VALU_DEP_3) | instskip(SKIP_4) | instid1(VALU_DEP_4)
	v_dual_add_f32 v83, v6, v8 :: v_dual_add_f32 v82, v5, v7
	v_dual_min_f32 v5, v30, v21 :: v_dual_min_f32 v6, v11, v22
	v_min_f32_e32 v7, v10, v21
	v_add_f32_e32 v75, v12, v1
	v_add_f32_e32 v73, v17, v3
	;; [unrolled: 1-line block ×3, first 2 shown]
	v_dual_min_f32 v1, v26, v21 :: v_dual_min_f32 v2, v39, v22
	v_min_f32_e32 v3, v38, v21
	v_min_f32_e32 v5, v42, v21
	v_add_f32_e32 v85, v85, v20
	v_add_f32_e32 v80, v29, v23
	v_dual_add_f32 v79, v9, v6 :: v_dual_add_f32 v78, v78, v7
	v_add_f32_e32 v71, v24, v1
	v_dual_add_f32 v69, v37, v2 :: v_dual_add_f32 v68, v36, v3
	v_dual_add_f32 v67, v41, v4 :: v_dual_add_f32 v66, v40, v5
	s_cbranch_scc1 .LBB50_36
.LBB50_24:                              ; =>This Inner Loop Header: Depth=1
	v_dual_mov_b32 v130, 0 :: v_dual_add_nc_u32 v129, s26, v54
	s_delay_alu instid0(VALU_DEP_1) | instskip(NEXT) | instid1(VALU_DEP_1)
	v_add_nc_u32_e32 v0, 8, v129
	v_cmp_gt_i32_e64 s4, s18, v0
	s_delay_alu instid0(VALU_DEP_1) | instskip(NEXT) | instid1(SALU_CYCLE_1)
	s_and_b32 s4, s4, vcc_lo
	s_and_b32 s4, s21, s4
	s_delay_alu instid0(SALU_CYCLE_1)
	s_and_saveexec_b32 s5, s4
	s_cbranch_execz .LBB50_26
; %bb.25:                               ;   in Loop: Header=BB50_24 Depth=1
	v_add_co_u32 v0, s4, -16, v50
	s_delay_alu instid0(VALU_DEP_1)
	v_add_co_ci_u32_e64 v1, s4, -1, v51, s4
	flat_load_b32 v0, v[0:1]
	s_waitcnt vmcnt(0) lgkmcnt(0)
	v_mul_f32_e32 v130, s19, v0
.LBB50_26:                              ;   in Loop: Header=BB50_24 Depth=1
	s_or_b32 exec_lo, exec_lo, s5
	v_dual_mov_b32 v132, 0 :: v_dual_add_nc_u32 v131, s26, v55
	s_delay_alu instid0(VALU_DEP_1) | instskip(NEXT) | instid1(VALU_DEP_1)
	v_dual_mov_b32 v133, 0 :: v_dual_add_nc_u32 v2, 8, v131
	v_min_i32_e32 v3, s24, v2
	v_cmp_le_i32_e64 s4, s18, v2
	s_delay_alu instid0(VALU_DEP_2) | instskip(NEXT) | instid1(VALU_DEP_2)
	v_mad_i64_i32 v[0:1], null, v3, s23, 0
	s_or_b32 s13, s2, s4
	s_delay_alu instid0(VALU_DEP_1) | instskip(NEXT) | instid1(VALU_DEP_1)
	v_lshlrev_b64 v[0:1], 2, v[0:1]
	v_add_co_u32 v0, s5, s8, v0
	s_delay_alu instid0(VALU_DEP_1) | instskip(SKIP_1) | instid1(SALU_CYCLE_1)
	v_add_co_ci_u32_e64 v1, s5, s9, v1, s5
	s_or_b32 s5, s13, s25
	s_xor_b32 s5, s5, -1
	s_delay_alu instid0(SALU_CYCLE_1)
	s_and_saveexec_b32 s13, s5
	s_cbranch_execz .LBB50_28
; %bb.27:                               ;   in Loop: Header=BB50_24 Depth=1
	v_add_co_u32 v2, s5, v0, v48
	s_delay_alu instid0(VALU_DEP_1)
	v_add_co_ci_u32_e64 v3, s5, v1, v49, s5
	flat_load_b32 v2, v[2:3]
	s_waitcnt vmcnt(0) lgkmcnt(0)
	v_mul_f32_e32 v133, s19, v2
.LBB50_28:                              ;   in Loop: Header=BB50_24 Depth=1
	s_or_b32 exec_lo, exec_lo, s13
	s_or_b32 s4, s3, s4
	s_delay_alu instid0(SALU_CYCLE_1) | instskip(NEXT) | instid1(SALU_CYCLE_1)
	s_or_b32 s4, s4, s25
	s_xor_b32 s4, s4, -1
	s_delay_alu instid0(SALU_CYCLE_1)
	s_and_saveexec_b32 s5, s4
	s_cbranch_execz .LBB50_30
; %bb.29:                               ;   in Loop: Header=BB50_24 Depth=1
	v_add_co_u32 v0, s4, v0, v48
	s_delay_alu instid0(VALU_DEP_1)
	v_add_co_ci_u32_e64 v1, s4, v1, v49, s4
	flat_load_b32 v0, v[0:1] offset:256
	s_waitcnt vmcnt(0) lgkmcnt(0)
	v_mul_f32_e32 v132, s19, v0
.LBB50_30:                              ;   in Loop: Header=BB50_24 Depth=1
	s_or_b32 exec_lo, exec_lo, s5
	ds_load_b128 v[40:43], v127
	ds_load_b128 v[36:39], v127 offset:128
	ds_load_b128 v[32:35], v127 offset:256
	ds_load_b128 v[28:31], v127 offset:384
	ds_load_b128 v[24:27], v127 offset:512
	ds_load_b128 v[20:23], v127 offset:640
	ds_load_b128 v[16:19], v127 offset:768
	ds_load_b128 v[12:15], v127 offset:896
	ds_load_b128 v[44:47], v128
	ds_load_b128 v[8:11], v128 offset:512
	ds_load_b128 v[4:7], v128 offset:1024
	;; [unrolled: 1-line block ×3, first 2 shown]
	v_add_nc_u32_e32 v129, 12, v129
	ds_store_b32 v100, v130
	v_mov_b32_e32 v130, 0
	ds_store_2addr_stride64_b32 v58, v133, v132 offset1:4
	s_waitcnt lgkmcnt(0)
	v_cmp_gt_i32_e64 s4, s18, v129
	v_mov_b32_e32 v129, 0
	s_barrier
	buffer_gl0_inv
	s_and_b32 s4, s4, vcc_lo
	s_delay_alu instid0(SALU_CYCLE_1) | instskip(NEXT) | instid1(SALU_CYCLE_1)
	s_and_b32 s5, s21, s4
	s_and_saveexec_b32 s4, s5
	s_cbranch_execz .LBB50_32
; %bb.31:                               ;   in Loop: Header=BB50_24 Depth=1
	flat_load_b32 v129, v[50:51]
	s_waitcnt vmcnt(0) lgkmcnt(0)
	v_mul_f32_e32 v129, s19, v129
.LBB50_32:                              ;   in Loop: Header=BB50_24 Depth=1
	s_or_b32 exec_lo, exec_lo, s4
	v_add_nc_u32_e32 v133, 12, v131
	s_delay_alu instid0(VALU_DEP_1) | instskip(SKIP_1) | instid1(VALU_DEP_2)
	v_min_i32_e32 v134, s24, v133
	v_cmp_le_i32_e64 s4, s18, v133
	v_mad_i64_i32 v[131:132], null, v134, s23, 0
	s_delay_alu instid0(VALU_DEP_2) | instskip(NEXT) | instid1(VALU_DEP_1)
	s_or_b32 s13, s2, s4
	v_lshlrev_b64 v[131:132], 2, v[131:132]
	s_delay_alu instid0(VALU_DEP_1) | instskip(NEXT) | instid1(VALU_DEP_1)
	v_add_co_u32 v131, s5, s8, v131
	v_add_co_ci_u32_e64 v132, s5, s9, v132, s5
	s_or_b32 s5, s13, s25
	s_delay_alu instid0(SALU_CYCLE_1) | instskip(NEXT) | instid1(SALU_CYCLE_1)
	s_xor_b32 s5, s5, -1
	s_and_saveexec_b32 s13, s5
	s_cbranch_execz .LBB50_34
; %bb.33:                               ;   in Loop: Header=BB50_24 Depth=1
	v_add_co_u32 v133, s5, v131, v48
	s_delay_alu instid0(VALU_DEP_1)
	v_add_co_ci_u32_e64 v134, s5, v132, v49, s5
	flat_load_b32 v130, v[133:134]
	s_waitcnt vmcnt(0) lgkmcnt(0)
	v_mul_f32_e32 v130, s19, v130
.LBB50_34:                              ;   in Loop: Header=BB50_24 Depth=1
	s_or_b32 exec_lo, exec_lo, s13
	v_dual_max_f32 v44, v44, v44 :: v_dual_max_f32 v45, v45, v45
	v_dual_max_f32 v158, v40, v40 :: v_dual_max_f32 v159, v41, v41
	;; [unrolled: 1-line block ×5, first 2 shown]
	v_max_f32_e32 v142, v8, v8
	v_dual_max_f32 v160, v36, v36 :: v_dual_max_f32 v161, v37, v37
	v_dual_min_f32 v36, v158, v44 :: v_dual_max_f32 v163, v33, v33
	v_dual_max_f32 v162, v32, v32 :: v_dual_max_f32 v165, v29, v29
	v_max_f32_e32 v164, v28, v28
	v_dual_max_f32 v168, v20, v20 :: v_dual_max_f32 v169, v21, v21
	v_dual_min_f32 v16, v166, v44 :: v_dual_max_f32 v173, v13, v13
	v_min_f32_e32 v17, v159, v143
	v_dual_min_f32 v141, v170, v142 :: v_dual_max_f32 v156, v4, v4
	v_dual_max_f32 v157, v5, v5 :: v_dual_min_f32 v4, v171, v143
	v_dual_max_f32 v0, v0, v0 :: v_dual_max_f32 v175, v46, v46
	v_max_f32_e32 v176, v47, v47
	v_dual_max_f32 v208, v42, v42 :: v_dual_max_f32 v209, v43, v43
	v_dual_max_f32 v213, v38, v38 :: v_dual_min_f32 v40, v159, v45
	v_dual_min_f32 v41, v160, v44 :: v_dual_min_f32 v28, v161, v45
	v_min_f32_e32 v29, v162, v44
	v_min_f32_e32 v37, v165, v45
	v_dual_min_f32 v32, v163, v45 :: v_dual_min_f32 v33, v164, v44
	v_dual_min_f32 v20, v167, v45 :: v_dual_min_f32 v21, v168, v44
	;; [unrolled: 1-line block ×17, first 2 shown]
	v_dual_min_f32 v155, v170, v156 :: v_dual_max_f32 v174, v1, v1
	v_dual_min_f32 v1, v171, v157 :: v_dual_min_f32 v156, v172, v156
	v_dual_min_f32 v157, v173, v157 :: v_dual_min_f32 v158, v158, v0
	s_delay_alu instid0(VALU_DEP_3)
	v_dual_min_f32 v159, v159, v174 :: v_dual_min_f32 v160, v160, v0
	v_dual_min_f32 v161, v161, v174 :: v_dual_min_f32 v162, v162, v0
	;; [unrolled: 1-line block ×6, first 2 shown]
	v_min_f32_e32 v171, v171, v174
	v_dual_min_f32 v43, v172, v0 :: v_dual_min_f32 v46, v173, v174
	v_dual_min_f32 v38, v208, v175 :: v_dual_min_f32 v47, v209, v176
	v_max_f32_e32 v0, v39, v39
	v_dual_min_f32 v42, v213, v175 :: v_dual_max_f32 v215, v30, v30
	v_max_f32_e32 v172, v34, v34
	v_max_f32_e32 v216, v31, v31
	;; [unrolled: 1-line block ×3, first 2 shown]
	v_dual_min_f32 v34, v0, v176 :: v_dual_max_f32 v217, v26, v26
	v_min_f32_e32 v31, v215, v175
	v_dual_min_f32 v30, v172, v175 :: v_dual_max_f32 v219, v22, v22
	v_dual_max_f32 v218, v27, v27 :: v_dual_max_f32 v221, v18, v18
	v_max_f32_e32 v220, v23, v23
	v_dual_max_f32 v19, v19, v19 :: v_dual_max_f32 v222, v14, v14
	v_dual_max_f32 v223, v15, v15 :: v_dual_max_f32 v10, v10, v10
	;; [unrolled: 1-line block ×4, first 2 shown]
	v_max_f32_e32 v225, v3, v3
	s_or_b32 s4, s3, s4
	v_min_f32_e32 v39, v216, v176
	v_dual_min_f32 v35, v214, v176 :: v_dual_min_f32 v18, v217, v175
	v_min_f32_e32 v183, v19, v176
	v_dual_min_f32 v173, v218, v176 :: v_dual_min_f32 v22, v219, v175
	v_dual_min_f32 v177, v213, v10 :: v_dual_min_f32 v174, v220, v176
	v_min_f32_e32 v23, v221, v175
	v_dual_min_f32 v175, v222, v175 :: v_dual_min_f32 v184, v223, v176
	;; [unrolled: 3-line block ×3, first 2 shown]
	v_dual_min_f32 v187, v214, v11 :: v_dual_min_f32 v180, v217, v10
	v_dual_min_f32 v188, v216, v11 :: v_dual_min_f32 v181, v219, v10
	;; [unrolled: 1-line block ×12, first 2 shown]
	v_min_f32_e32 v210, v19, v7
	v_dual_min_f32 v211, v223, v7 :: v_dual_min_f32 v208, v208, v224
	v_dual_min_f32 v212, v209, v225 :: v_dual_min_f32 v11, v215, v224
	v_min_f32_e32 v209, v213, v224
	v_dual_min_f32 v213, v0, v225 :: v_dual_min_f32 v2, v217, v224
	v_dual_min_f32 v10, v172, v224 :: v_dual_min_f32 v15, v19, v225
	v_dual_min_f32 v26, v214, v225 :: v_dual_min_f32 v3, v219, v224
	v_dual_min_f32 v27, v216, v225 :: v_dual_min_f32 v6, v221, v224
	v_min_f32_e32 v172, v218, v225
	v_dual_min_f32 v14, v220, v225 :: v_dual_min_f32 v7, v222, v224
	v_dual_min_f32 v19, v223, v225 :: v_dual_mov_b32 v0, 0
	s_or_b32 s4, s4, s25
	s_delay_alu instid0(SALU_CYCLE_1) | instskip(NEXT) | instid1(SALU_CYCLE_1)
	s_xor_b32 s4, s4, -1
	s_and_saveexec_b32 s5, s4
	s_cbranch_execz .LBB50_23
; %bb.35:                               ;   in Loop: Header=BB50_24 Depth=1
	v_add_co_u32 v131, s4, v131, v48
	s_delay_alu instid0(VALU_DEP_1)
	v_add_co_ci_u32_e64 v132, s4, v132, v49, s4
	flat_load_b32 v0, v[131:132] offset:256
	s_waitcnt vmcnt(0) lgkmcnt(0)
	v_mul_f32_e32 v0, s19, v0
	s_branch .LBB50_23
.LBB50_36:
	s_clause 0x2
	s_load_b32 s12, s[0:1], 0x50
	s_load_b32 s9, s[0:1], 0x68
	s_load_b64 s[0:1], s[0:1], 0x70
	v_add_nc_u32_e32 v117, s22, v53
	ds_load_b128 v[32:35], v57 offset:5120
	ds_load_b128 v[28:31], v57 offset:5248
	;; [unrolled: 1-line block ×12, first 2 shown]
	v_add_nc_u32_e32 v48, s14, v52
	v_cmp_gt_i32_e64 s8, s17, v117
	v_cndmask_b32_e64 v100, 0, 1, s20
	s_waitcnt lgkmcnt(0)
	v_mad_i64_i32 v[49:50], null, v117, s12, 0
	v_mad_i64_i32 v[53:54], null, v117, s9, 0
	s_lshl_b64 s[0:1], s[0:1], 2
	s_delay_alu instid0(SALU_CYCLE_1) | instskip(SKIP_1) | instid1(VALU_DEP_2)
	s_add_u32 s13, s6, s0
	s_addc_u32 s14, s7, s1
	v_lshlrev_b64 v[49:50], 2, v[49:50]
	v_cmp_gt_i32_e64 s0, s16, v48
	s_delay_alu instid0(VALU_DEP_3) | instskip(NEXT) | instid1(VALU_DEP_2)
	v_lshlrev_b64 v[51:52], 2, v[53:54]
	s_and_b32 s2, s0, s8
	s_delay_alu instid0(VALU_DEP_3) | instskip(NEXT) | instid1(VALU_DEP_4)
	v_add_co_u32 v127, vcc_lo, s10, v49
	v_add_co_ci_u32_e32 v128, vcc_lo, s11, v50, vcc_lo
	s_delay_alu instid0(VALU_DEP_3) | instskip(NEXT) | instid1(VALU_DEP_4)
	v_add_co_u32 v125, vcc_lo, s13, v51
	v_add_co_ci_u32_e32 v126, vcc_lo, s14, v52, vcc_lo
	v_ashrrev_i32_e32 v49, 31, v48
	s_and_saveexec_b32 s1, s2
	s_cbranch_execz .LBB50_41
; %bb.37:
	s_delay_alu instid0(VALU_DEP_1)
	v_lshlrev_b64 v[50:51], 2, v[48:49]
	s_and_not1_b32 vcc_lo, exec_lo, s20
	s_cbranch_vccnz .LBB50_39
; %bb.38:
	s_delay_alu instid0(VALU_DEP_1) | instskip(NEXT) | instid1(VALU_DEP_2)
	v_add_co_u32 v52, vcc_lo, v127, v50
	v_add_co_ci_u32_e32 v53, vcc_lo, v128, v51, vcc_lo
	flat_load_b32 v52, v[52:53]
	s_waitcnt vmcnt(0) lgkmcnt(0)
	v_mul_f32_e32 v52, s15, v52
	s_branch .LBB50_40
.LBB50_39:
	v_mov_b32_e32 v52, 0
.LBB50_40:
	v_dual_max_f32 v53, v45, v45 :: v_dual_max_f32 v56, v32, v32
	v_dual_max_f32 v54, v33, v33 :: v_dual_max_f32 v55, v44, v44
	v_dual_max_f32 v57, v46, v46 :: v_dual_max_f32 v58, v47, v47
	v_max_f32_e32 v129, v35, v35
	s_delay_alu instid0(VALU_DEP_3) | instskip(NEXT) | instid1(VALU_DEP_4)
	v_min_f32_e32 v53, v54, v53
	v_dual_max_f32 v54, v34, v34 :: v_dual_min_f32 v55, v56, v55
	v_add_co_u32 v50, vcc_lo, v125, v50
	v_add_co_ci_u32_e32 v51, vcc_lo, v126, v51, vcc_lo
	s_delay_alu instid0(VALU_DEP_3) | instskip(NEXT) | instid1(VALU_DEP_4)
	v_min_f32_e32 v54, v54, v57
	v_dual_min_f32 v56, v129, v58 :: v_dual_add_f32 v55, v123, v55
	s_delay_alu instid0(VALU_DEP_1) | instskip(NEXT) | instid1(VALU_DEP_1)
	v_dual_add_f32 v53, v124, v53 :: v_dual_add_f32 v54, v55, v54
	v_add_f32_e32 v53, v53, v56
	s_delay_alu instid0(VALU_DEP_1) | instskip(NEXT) | instid1(VALU_DEP_1)
	v_add_f32_e32 v53, v54, v53
	v_add_f32_e32 v52, v53, v52
	global_store_b32 v[50:51], v52, off
.LBB50_41:
	s_or_b32 exec_lo, exec_lo, s1
	v_add_nc_u32_e32 v50, 8, v48
	s_delay_alu instid0(VALU_DEP_1) | instskip(SKIP_1) | instid1(VALU_DEP_2)
	v_cmp_gt_i32_e64 s1, s16, v50
	v_ashrrev_i32_e32 v51, 31, v50
	s_and_b32 s3, s1, s8
	s_delay_alu instid0(SALU_CYCLE_1)
	s_and_saveexec_b32 s2, s3
	s_cbranch_execz .LBB50_46
; %bb.42:
	v_cmp_ne_u32_e32 vcc_lo, 1, v100
	v_lshlrev_b64 v[52:53], 2, v[50:51]
	s_cbranch_vccnz .LBB50_44
; %bb.43:
	s_delay_alu instid0(VALU_DEP_1) | instskip(NEXT) | instid1(VALU_DEP_2)
	v_add_co_u32 v54, vcc_lo, v127, v52
	v_add_co_ci_u32_e32 v55, vcc_lo, v128, v53, vcc_lo
	flat_load_b32 v54, v[54:55]
	s_waitcnt vmcnt(0) lgkmcnt(0)
	v_mul_f32_e32 v54, s15, v54
	s_branch .LBB50_45
.LBB50_44:
	v_mov_b32_e32 v54, 0
.LBB50_45:
	v_dual_max_f32 v55, v45, v45 :: v_dual_max_f32 v58, v28, v28
	v_dual_max_f32 v56, v29, v29 :: v_dual_max_f32 v57, v44, v44
	;; [unrolled: 1-line block ×3, first 2 shown]
	v_add_co_u32 v52, vcc_lo, v125, v52
	s_delay_alu instid0(VALU_DEP_3) | instskip(NEXT) | instid1(VALU_DEP_4)
	v_dual_min_f32 v55, v56, v55 :: v_dual_max_f32 v56, v30, v30
	v_min_f32_e32 v57, v58, v57
	v_add_co_ci_u32_e32 v53, vcc_lo, v126, v53, vcc_lo
	s_delay_alu instid0(VALU_DEP_3) | instskip(NEXT) | instid1(VALU_DEP_3)
	v_add_f32_e32 v55, v121, v55
	v_dual_min_f32 v56, v56, v123 :: v_dual_add_f32 v57, v122, v57
	s_delay_alu instid0(VALU_DEP_1) | instskip(NEXT) | instid1(VALU_DEP_1)
	v_dual_max_f32 v129, v31, v31 :: v_dual_add_f32 v56, v57, v56
	v_min_f32_e32 v58, v129, v124
	s_delay_alu instid0(VALU_DEP_1) | instskip(NEXT) | instid1(VALU_DEP_1)
	v_add_f32_e32 v55, v55, v58
	v_add_f32_e32 v55, v56, v55
	s_delay_alu instid0(VALU_DEP_1)
	v_add_f32_e32 v54, v55, v54
	global_store_b32 v[52:53], v54, off
.LBB50_46:
	s_or_b32 exec_lo, exec_lo, s2
	v_add_nc_u32_e32 v52, 16, v48
	s_delay_alu instid0(VALU_DEP_1) | instskip(SKIP_1) | instid1(VALU_DEP_2)
	v_cmp_gt_i32_e64 s2, s16, v52
	v_ashrrev_i32_e32 v53, 31, v52
	s_and_b32 s4, s2, s8
	s_delay_alu instid0(SALU_CYCLE_1)
	s_and_saveexec_b32 s3, s4
	s_cbranch_execz .LBB50_51
; %bb.47:
	v_cmp_ne_u32_e32 vcc_lo, 1, v100
	v_lshlrev_b64 v[54:55], 2, v[52:53]
	s_cbranch_vccnz .LBB50_49
; %bb.48:
	s_delay_alu instid0(VALU_DEP_1) | instskip(NEXT) | instid1(VALU_DEP_2)
	v_add_co_u32 v56, vcc_lo, v127, v54
	v_add_co_ci_u32_e32 v57, vcc_lo, v128, v55, vcc_lo
	flat_load_b32 v56, v[56:57]
	s_waitcnt vmcnt(0) lgkmcnt(0)
	v_mul_f32_e32 v56, s15, v56
	s_branch .LBB50_50
.LBB50_49:
	v_mov_b32_e32 v56, 0
.LBB50_50:
	v_dual_max_f32 v57, v45, v45 :: v_dual_max_f32 v122, v24, v24
	v_dual_max_f32 v58, v25, v25 :: v_dual_max_f32 v121, v44, v44
	;; [unrolled: 1-line block ×3, first 2 shown]
	v_add_co_u32 v54, vcc_lo, v125, v54
	s_delay_alu instid0(VALU_DEP_3) | instskip(SKIP_1) | instid1(VALU_DEP_2)
	v_min_f32_e32 v121, v122, v121
	v_add_co_ci_u32_e32 v55, vcc_lo, v126, v55, vcc_lo
	v_dual_max_f32 v129, v27, v27 :: v_dual_add_f32 v120, v120, v121
	v_min_f32_e32 v57, v58, v57
	v_max_f32_e32 v58, v26, v26
	s_delay_alu instid0(VALU_DEP_1) | instskip(NEXT) | instid1(VALU_DEP_1)
	v_min_f32_e32 v58, v58, v123
	v_dual_add_f32 v58, v120, v58 :: v_dual_add_f32 v57, v119, v57
	v_min_f32_e32 v119, v129, v124
	s_delay_alu instid0(VALU_DEP_1) | instskip(NEXT) | instid1(VALU_DEP_1)
	v_add_f32_e32 v57, v57, v119
	v_add_f32_e32 v57, v58, v57
	s_delay_alu instid0(VALU_DEP_1)
	v_add_f32_e32 v56, v57, v56
	global_store_b32 v[54:55], v56, off
.LBB50_51:
	s_or_b32 exec_lo, exec_lo, s3
	v_add_nc_u32_e32 v54, 24, v48
	s_delay_alu instid0(VALU_DEP_1) | instskip(SKIP_1) | instid1(VALU_DEP_2)
	v_cmp_gt_i32_e64 s3, s16, v54
	v_ashrrev_i32_e32 v55, 31, v54
	s_and_b32 s5, s3, s8
	s_delay_alu instid0(SALU_CYCLE_1)
	s_and_saveexec_b32 s4, s5
	s_cbranch_execz .LBB50_56
; %bb.52:
	v_cmp_ne_u32_e32 vcc_lo, 1, v100
	v_lshlrev_b64 v[56:57], 2, v[54:55]
	s_cbranch_vccnz .LBB50_54
; %bb.53:
	s_delay_alu instid0(VALU_DEP_1) | instskip(NEXT) | instid1(VALU_DEP_2)
	v_add_co_u32 v119, vcc_lo, v127, v56
	v_add_co_ci_u32_e32 v120, vcc_lo, v128, v57, vcc_lo
	flat_load_b32 v58, v[119:120]
	s_waitcnt vmcnt(0) lgkmcnt(0)
	v_mul_f32_e32 v58, s15, v58
	s_branch .LBB50_55
.LBB50_54:
	v_mov_b32_e32 v58, 0
.LBB50_55:
	v_dual_max_f32 v119, v45, v45 :: v_dual_max_f32 v122, v20, v20
	v_dual_max_f32 v120, v21, v21 :: v_dual_max_f32 v121, v44, v44
	;; [unrolled: 1-line block ×3, first 2 shown]
	v_add_co_u32 v56, vcc_lo, v125, v56
	s_delay_alu instid0(VALU_DEP_3) | instskip(NEXT) | instid1(VALU_DEP_4)
	v_dual_min_f32 v119, v120, v119 :: v_dual_max_f32 v120, v22, v22
	v_min_f32_e32 v121, v122, v121
	v_max_f32_e32 v129, v23, v23
	v_add_co_ci_u32_e32 v57, vcc_lo, v126, v57, vcc_lo
	s_delay_alu instid0(VALU_DEP_3) | instskip(NEXT) | instid1(VALU_DEP_3)
	v_dual_add_f32 v59, v59, v119 :: v_dual_add_f32 v118, v118, v121
	v_dual_min_f32 v119, v120, v123 :: v_dual_min_f32 v120, v129, v124
	s_delay_alu instid0(VALU_DEP_1) | instskip(NEXT) | instid1(VALU_DEP_1)
	v_dual_add_f32 v118, v118, v119 :: v_dual_add_f32 v59, v59, v120
	v_add_f32_e32 v59, v118, v59
	s_delay_alu instid0(VALU_DEP_1)
	v_add_f32_e32 v58, v59, v58
	global_store_b32 v[56:57], v58, off
.LBB50_56:
	s_or_b32 exec_lo, exec_lo, s4
	v_add_nc_u32_e32 v56, 32, v48
	s_delay_alu instid0(VALU_DEP_1) | instskip(SKIP_1) | instid1(VALU_DEP_2)
	v_cmp_gt_i32_e64 s4, s16, v56
	v_ashrrev_i32_e32 v57, 31, v56
	s_and_b32 s6, s4, s8
	s_delay_alu instid0(SALU_CYCLE_1)
	s_and_saveexec_b32 s5, s6
	s_cbranch_execz .LBB50_61
; %bb.57:
	v_cmp_ne_u32_e32 vcc_lo, 1, v100
	v_lshlrev_b64 v[58:59], 2, v[56:57]
	s_cbranch_vccnz .LBB50_59
; %bb.58:
	s_delay_alu instid0(VALU_DEP_1) | instskip(NEXT) | instid1(VALU_DEP_2)
	v_add_co_u32 v118, vcc_lo, v127, v58
	v_add_co_ci_u32_e32 v119, vcc_lo, v128, v59, vcc_lo
	flat_load_b32 v118, v[118:119]
	s_waitcnt vmcnt(0) lgkmcnt(0)
	v_mul_f32_e32 v118, s15, v118
	s_branch .LBB50_60
.LBB50_59:
	v_mov_b32_e32 v118, 0
.LBB50_60:
	v_dual_max_f32 v119, v45, v45 :: v_dual_max_f32 v122, v16, v16
	v_dual_max_f32 v120, v17, v17 :: v_dual_max_f32 v121, v44, v44
	;; [unrolled: 1-line block ×3, first 2 shown]
	v_add_co_u32 v58, vcc_lo, v125, v58
	s_delay_alu instid0(VALU_DEP_3) | instskip(NEXT) | instid1(VALU_DEP_4)
	v_dual_min_f32 v119, v120, v119 :: v_dual_max_f32 v120, v18, v18
	v_min_f32_e32 v121, v122, v121
	v_add_co_ci_u32_e32 v59, vcc_lo, v126, v59, vcc_lo
	s_delay_alu instid0(VALU_DEP_3) | instskip(SKIP_3) | instid1(VALU_DEP_3)
	v_add_f32_e32 v60, v60, v119
	v_max_f32_e32 v129, v19, v19
	v_min_f32_e32 v119, v120, v123
	v_add_f32_e32 v61, v61, v121
	v_min_f32_e32 v120, v129, v124
	s_delay_alu instid0(VALU_DEP_1) | instskip(NEXT) | instid1(VALU_DEP_1)
	v_dual_add_f32 v61, v61, v119 :: v_dual_add_f32 v60, v60, v120
	v_add_f32_e32 v60, v61, v60
	s_delay_alu instid0(VALU_DEP_1)
	v_add_f32_e32 v60, v60, v118
	global_store_b32 v[58:59], v60, off
.LBB50_61:
	s_or_b32 exec_lo, exec_lo, s5
	v_add_nc_u32_e32 v58, 40, v48
	s_delay_alu instid0(VALU_DEP_1) | instskip(SKIP_1) | instid1(VALU_DEP_2)
	v_cmp_gt_i32_e64 s5, s16, v58
	v_ashrrev_i32_e32 v59, 31, v58
	s_and_b32 s7, s5, s8
	s_delay_alu instid0(SALU_CYCLE_1)
	s_and_saveexec_b32 s6, s7
	s_cbranch_execz .LBB50_66
; %bb.62:
	v_cmp_ne_u32_e32 vcc_lo, 1, v100
	v_lshlrev_b64 v[60:61], 2, v[58:59]
	s_cbranch_vccnz .LBB50_64
; %bb.63:
	s_delay_alu instid0(VALU_DEP_1) | instskip(NEXT) | instid1(VALU_DEP_2)
	v_add_co_u32 v118, vcc_lo, v127, v60
	v_add_co_ci_u32_e32 v119, vcc_lo, v128, v61, vcc_lo
	flat_load_b32 v118, v[118:119]
	s_waitcnt vmcnt(0) lgkmcnt(0)
	v_mul_f32_e32 v118, s15, v118
	s_branch .LBB50_65
.LBB50_64:
	v_mov_b32_e32 v118, 0
.LBB50_65:
	v_dual_max_f32 v119, v45, v45 :: v_dual_max_f32 v122, v12, v12
	v_dual_max_f32 v120, v13, v13 :: v_dual_max_f32 v121, v44, v44
	;; [unrolled: 1-line block ×3, first 2 shown]
	v_add_co_u32 v60, vcc_lo, v125, v60
	s_delay_alu instid0(VALU_DEP_3) | instskip(NEXT) | instid1(VALU_DEP_4)
	v_dual_min_f32 v119, v120, v119 :: v_dual_max_f32 v120, v14, v14
	v_min_f32_e32 v121, v122, v121
	v_max_f32_e32 v129, v15, v15
	v_add_co_ci_u32_e32 v61, vcc_lo, v126, v61, vcc_lo
	s_delay_alu instid0(VALU_DEP_4) | instskip(NEXT) | instid1(VALU_DEP_4)
	v_add_f32_e32 v63, v63, v119
	v_dual_min_f32 v119, v120, v123 :: v_dual_add_f32 v62, v62, v121
	s_delay_alu instid0(VALU_DEP_4) | instskip(NEXT) | instid1(VALU_DEP_1)
	v_min_f32_e32 v120, v129, v124
	v_dual_add_f32 v62, v62, v119 :: v_dual_add_f32 v63, v63, v120
	s_delay_alu instid0(VALU_DEP_1) | instskip(NEXT) | instid1(VALU_DEP_1)
	v_add_f32_e32 v62, v62, v63
	v_add_f32_e32 v62, v62, v118
	global_store_b32 v[60:61], v62, off
.LBB50_66:
	s_or_b32 exec_lo, exec_lo, s6
	v_add_nc_u32_e32 v60, 48, v48
	s_delay_alu instid0(VALU_DEP_1) | instskip(SKIP_1) | instid1(VALU_DEP_2)
	v_cmp_gt_i32_e64 s6, s16, v60
	v_ashrrev_i32_e32 v61, 31, v60
	s_and_b32 s18, s6, s8
	s_delay_alu instid0(SALU_CYCLE_1)
	s_and_saveexec_b32 s7, s18
	s_cbranch_execz .LBB50_71
; %bb.67:
	v_cmp_ne_u32_e32 vcc_lo, 1, v100
	v_lshlrev_b64 v[62:63], 2, v[60:61]
	s_cbranch_vccnz .LBB50_69
; %bb.68:
	s_delay_alu instid0(VALU_DEP_1) | instskip(NEXT) | instid1(VALU_DEP_2)
	v_add_co_u32 v118, vcc_lo, v127, v62
	v_add_co_ci_u32_e32 v119, vcc_lo, v128, v63, vcc_lo
	flat_load_b32 v118, v[118:119]
	s_waitcnt vmcnt(0) lgkmcnt(0)
	v_mul_f32_e32 v118, s15, v118
	s_branch .LBB50_70
.LBB50_69:
	v_mov_b32_e32 v118, 0
.LBB50_70:
	v_dual_max_f32 v119, v45, v45 :: v_dual_max_f32 v122, v8, v8
	v_dual_max_f32 v120, v9, v9 :: v_dual_max_f32 v121, v44, v44
	;; [unrolled: 1-line block ×3, first 2 shown]
	v_add_co_u32 v62, vcc_lo, v125, v62
	s_delay_alu instid0(VALU_DEP_3) | instskip(NEXT) | instid1(VALU_DEP_4)
	v_dual_min_f32 v119, v120, v119 :: v_dual_max_f32 v120, v10, v10
	v_min_f32_e32 v121, v122, v121
	v_add_co_ci_u32_e32 v63, vcc_lo, v126, v63, vcc_lo
	s_delay_alu instid0(VALU_DEP_3) | instskip(SKIP_3) | instid1(VALU_DEP_3)
	v_add_f32_e32 v64, v64, v119
	v_max_f32_e32 v129, v11, v11
	v_min_f32_e32 v119, v120, v123
	v_add_f32_e32 v65, v65, v121
	v_min_f32_e32 v120, v129, v124
	s_delay_alu instid0(VALU_DEP_1) | instskip(NEXT) | instid1(VALU_DEP_1)
	v_dual_add_f32 v65, v65, v119 :: v_dual_add_f32 v64, v64, v120
	v_add_f32_e32 v64, v65, v64
	s_delay_alu instid0(VALU_DEP_1)
	v_add_f32_e32 v64, v64, v118
	global_store_b32 v[62:63], v64, off
.LBB50_71:
	s_or_b32 exec_lo, exec_lo, s7
	v_add_nc_u32_e32 v62, 56, v48
	s_delay_alu instid0(VALU_DEP_1) | instskip(SKIP_1) | instid1(VALU_DEP_2)
	v_cmp_gt_i32_e64 s7, s16, v62
	v_ashrrev_i32_e32 v63, 31, v62
	s_and_b32 s16, s7, s8
	s_delay_alu instid0(SALU_CYCLE_1)
	s_and_saveexec_b32 s8, s16
	s_cbranch_execz .LBB50_76
; %bb.72:
	v_cmp_ne_u32_e32 vcc_lo, 1, v100
	v_lshlrev_b64 v[64:65], 2, v[62:63]
	s_cbranch_vccnz .LBB50_74
; %bb.73:
	s_delay_alu instid0(VALU_DEP_1) | instskip(NEXT) | instid1(VALU_DEP_2)
	v_add_co_u32 v118, vcc_lo, v127, v64
	v_add_co_ci_u32_e32 v119, vcc_lo, v128, v65, vcc_lo
	flat_load_b32 v118, v[118:119]
	s_waitcnt vmcnt(0) lgkmcnt(0)
	v_mul_f32_e32 v118, s15, v118
	s_branch .LBB50_75
.LBB50_74:
	v_mov_b32_e32 v118, 0
.LBB50_75:
	v_dual_max_f32 v45, v45, v45 :: v_dual_max_f32 v44, v44, v44
	v_dual_max_f32 v119, v1, v1 :: v_dual_max_f32 v120, v0, v0
	s_delay_alu instid0(VALU_DEP_1) | instskip(NEXT) | instid1(VALU_DEP_2)
	v_dual_max_f32 v46, v46, v46 :: v_dual_min_f32 v45, v119, v45
	v_dual_max_f32 v119, v2, v2 :: v_dual_min_f32 v44, v120, v44
	v_max_f32_e32 v47, v47, v47
	s_delay_alu instid0(VALU_DEP_2) | instskip(NEXT) | instid1(VALU_DEP_3)
	v_dual_add_f32 v45, v115, v45 :: v_dual_add_f32 v44, v116, v44
	v_min_f32_e32 v46, v119, v46
	s_delay_alu instid0(VALU_DEP_1) | instskip(NEXT) | instid1(VALU_DEP_1)
	v_dual_max_f32 v121, v3, v3 :: v_dual_add_f32 v44, v44, v46
	v_min_f32_e32 v47, v121, v47
	s_delay_alu instid0(VALU_DEP_1) | instskip(NEXT) | instid1(VALU_DEP_1)
	v_add_f32_e32 v45, v45, v47
	v_add_f32_e32 v44, v44, v45
	s_delay_alu instid0(VALU_DEP_1)
	v_add_f32_e32 v46, v44, v118
	v_add_co_u32 v44, vcc_lo, v125, v64
	v_add_co_ci_u32_e32 v45, vcc_lo, v126, v65, vcc_lo
	global_store_b32 v[44:45], v46, off
.LBB50_76:
	s_or_b32 exec_lo, exec_lo, s8
	v_add_nc_u32_e32 v64, 32, v117
	s_delay_alu instid0(VALU_DEP_1) | instskip(SKIP_2) | instid1(VALU_DEP_3)
	v_mad_i64_i32 v[44:45], null, v64, s12, 0
	v_mad_i64_i32 v[46:47], null, v64, s9, 0
	v_cmp_gt_i32_e64 s8, s17, v64
	v_lshlrev_b64 v[44:45], 2, v[44:45]
	s_delay_alu instid0(VALU_DEP_2) | instskip(NEXT) | instid1(VALU_DEP_3)
	s_and_b32 s18, s0, s8
	v_lshlrev_b64 v[46:47], 2, v[46:47]
	s_delay_alu instid0(VALU_DEP_2) | instskip(NEXT) | instid1(VALU_DEP_3)
	v_add_co_u32 v64, vcc_lo, s10, v44
	v_add_co_ci_u32_e32 v65, vcc_lo, s11, v45, vcc_lo
	s_delay_alu instid0(VALU_DEP_3) | instskip(NEXT) | instid1(VALU_DEP_4)
	v_add_co_u32 v46, vcc_lo, s13, v46
	v_add_co_ci_u32_e32 v47, vcc_lo, s14, v47, vcc_lo
	s_and_saveexec_b32 s16, s18
	s_cbranch_execnz .LBB50_84
; %bb.77:
	s_or_b32 exec_lo, exec_lo, s16
	s_and_b32 s18, s1, s8
	s_delay_alu instid0(SALU_CYCLE_1)
	s_and_saveexec_b32 s16, s18
	s_cbranch_execnz .LBB50_88
.LBB50_78:
	s_or_b32 exec_lo, exec_lo, s16
	s_and_b32 s18, s2, s8
	s_delay_alu instid0(SALU_CYCLE_1)
	s_and_saveexec_b32 s16, s18
	s_cbranch_execnz .LBB50_92
.LBB50_79:
	s_or_b32 exec_lo, exec_lo, s16
	s_and_b32 s18, s3, s8
	s_delay_alu instid0(SALU_CYCLE_1)
	s_and_saveexec_b32 s16, s18
	s_cbranch_execnz .LBB50_96
.LBB50_80:
	s_or_b32 exec_lo, exec_lo, s16
	s_and_b32 s18, s4, s8
	s_delay_alu instid0(SALU_CYCLE_1)
	s_and_saveexec_b32 s16, s18
	s_cbranch_execnz .LBB50_100
.LBB50_81:
	s_or_b32 exec_lo, exec_lo, s16
	s_and_b32 s18, s5, s8
	s_delay_alu instid0(SALU_CYCLE_1)
	s_and_saveexec_b32 s16, s18
	s_cbranch_execnz .LBB50_104
.LBB50_82:
	s_or_b32 exec_lo, exec_lo, s16
	s_and_b32 s18, s6, s8
	s_delay_alu instid0(SALU_CYCLE_1)
	s_and_saveexec_b32 s16, s18
	s_cbranch_execnz .LBB50_108
.LBB50_83:
	s_or_b32 exec_lo, exec_lo, s16
	s_and_b32 s16, s7, s8
	s_delay_alu instid0(SALU_CYCLE_1)
	s_and_saveexec_b32 s8, s16
	s_cbranch_execnz .LBB50_112
	s_branch .LBB50_116
.LBB50_84:
	v_cmp_ne_u32_e32 vcc_lo, 1, v100
	v_lshlrev_b64 v[44:45], 2, v[48:49]
	s_cbranch_vccnz .LBB50_86
; %bb.85:
	s_delay_alu instid0(VALU_DEP_1) | instskip(NEXT) | instid1(VALU_DEP_2)
	v_add_co_u32 v115, vcc_lo, v64, v44
	v_add_co_ci_u32_e32 v116, vcc_lo, v65, v45, vcc_lo
	flat_load_b32 v115, v[115:116]
	s_waitcnt vmcnt(0) lgkmcnt(0)
	v_mul_f32_e32 v115, s15, v115
	s_branch .LBB50_87
.LBB50_86:
	v_mov_b32_e32 v115, 0
.LBB50_87:
	v_dual_max_f32 v116, v41, v41 :: v_dual_max_f32 v119, v40, v40
	v_dual_max_f32 v118, v33, v33 :: v_dual_max_f32 v121, v42, v42
	;; [unrolled: 1-line block ×3, first 2 shown]
	v_add_co_u32 v44, vcc_lo, v46, v44
	s_delay_alu instid0(VALU_DEP_2) | instskip(SKIP_2) | instid1(VALU_DEP_3)
	v_dual_min_f32 v116, v118, v116 :: v_dual_min_f32 v119, v120, v119
	v_max_f32_e32 v118, v34, v34
	v_add_co_ci_u32_e32 v45, vcc_lo, v47, v45, vcc_lo
	v_dual_add_f32 v114, v114, v116 :: v_dual_add_f32 v113, v113, v119
	s_delay_alu instid0(VALU_DEP_3) | instskip(NEXT) | instid1(VALU_DEP_1)
	v_min_f32_e32 v116, v118, v121
	v_dual_max_f32 v122, v43, v43 :: v_dual_add_f32 v113, v113, v116
	s_delay_alu instid0(VALU_DEP_1) | instskip(NEXT) | instid1(VALU_DEP_1)
	v_min_f32_e32 v118, v123, v122
	v_add_f32_e32 v114, v114, v118
	s_delay_alu instid0(VALU_DEP_1) | instskip(NEXT) | instid1(VALU_DEP_1)
	v_add_f32_e32 v113, v113, v114
	v_add_f32_e32 v113, v113, v115
	global_store_b32 v[44:45], v113, off
	s_or_b32 exec_lo, exec_lo, s16
	s_and_b32 s18, s1, s8
	s_delay_alu instid0(SALU_CYCLE_1)
	s_and_saveexec_b32 s16, s18
	s_cbranch_execz .LBB50_78
.LBB50_88:
	v_cmp_ne_u32_e32 vcc_lo, 1, v100
	v_lshlrev_b64 v[44:45], 2, v[50:51]
	s_cbranch_vccnz .LBB50_90
; %bb.89:
	s_delay_alu instid0(VALU_DEP_1) | instskip(NEXT) | instid1(VALU_DEP_2)
	v_add_co_u32 v113, vcc_lo, v64, v44
	v_add_co_ci_u32_e32 v114, vcc_lo, v65, v45, vcc_lo
	flat_load_b32 v113, v[113:114]
	s_waitcnt vmcnt(0) lgkmcnt(0)
	v_mul_f32_e32 v113, s15, v113
	s_branch .LBB50_91
.LBB50_90:
	v_mov_b32_e32 v113, 0
.LBB50_91:
	v_dual_max_f32 v114, v41, v41 :: v_dual_max_f32 v119, v42, v42
	v_dual_max_f32 v115, v29, v29 :: v_dual_max_f32 v116, v40, v40
	v_max_f32_e32 v118, v28, v28
	v_max_f32_e32 v120, v43, v43
	;; [unrolled: 1-line block ×3, first 2 shown]
	s_delay_alu instid0(VALU_DEP_4) | instskip(SKIP_3) | instid1(VALU_DEP_4)
	v_min_f32_e32 v114, v115, v114
	v_max_f32_e32 v115, v30, v30
	v_min_f32_e32 v116, v118, v116
	v_add_co_u32 v44, vcc_lo, v46, v44
	v_add_f32_e32 v111, v111, v114
	s_delay_alu instid0(VALU_DEP_4) | instskip(NEXT) | instid1(VALU_DEP_4)
	v_min_f32_e32 v114, v115, v119
	v_add_f32_e32 v112, v112, v116
	v_min_f32_e32 v115, v121, v120
	v_add_co_ci_u32_e32 v45, vcc_lo, v47, v45, vcc_lo
	s_delay_alu instid0(VALU_DEP_2) | instskip(NEXT) | instid1(VALU_DEP_1)
	v_dual_add_f32 v112, v112, v114 :: v_dual_add_f32 v111, v111, v115
	v_add_f32_e32 v111, v112, v111
	s_delay_alu instid0(VALU_DEP_1) | instskip(SKIP_3) | instid1(SALU_CYCLE_1)
	v_add_f32_e32 v111, v111, v113
	global_store_b32 v[44:45], v111, off
	s_or_b32 exec_lo, exec_lo, s16
	s_and_b32 s18, s2, s8
	s_and_saveexec_b32 s16, s18
	s_cbranch_execz .LBB50_79
.LBB50_92:
	v_cmp_ne_u32_e32 vcc_lo, 1, v100
	v_lshlrev_b64 v[44:45], 2, v[52:53]
	s_cbranch_vccnz .LBB50_94
; %bb.93:
	s_delay_alu instid0(VALU_DEP_1) | instskip(NEXT) | instid1(VALU_DEP_2)
	v_add_co_u32 v111, vcc_lo, v64, v44
	v_add_co_ci_u32_e32 v112, vcc_lo, v65, v45, vcc_lo
	flat_load_b32 v111, v[111:112]
	s_waitcnt vmcnt(0) lgkmcnt(0)
	v_mul_f32_e32 v111, s15, v111
	s_branch .LBB50_95
.LBB50_94:
	v_mov_b32_e32 v111, 0
.LBB50_95:
	v_dual_max_f32 v112, v41, v41 :: v_dual_max_f32 v115, v24, v24
	v_dual_max_f32 v113, v25, v25 :: v_dual_max_f32 v114, v40, v40
	;; [unrolled: 1-line block ×3, first 2 shown]
	v_add_co_u32 v44, vcc_lo, v46, v44
	s_delay_alu instid0(VALU_DEP_3) | instskip(SKIP_1) | instid1(VALU_DEP_2)
	v_dual_min_f32 v112, v113, v112 :: v_dual_max_f32 v113, v26, v26
	v_add_co_ci_u32_e32 v45, vcc_lo, v47, v45, vcc_lo
	v_add_f32_e32 v110, v110, v112
	s_delay_alu instid0(VALU_DEP_3) | instskip(SKIP_1) | instid1(VALU_DEP_1)
	v_min_f32_e32 v112, v113, v116
	v_min_f32_e32 v114, v115, v114
	v_dual_max_f32 v118, v43, v43 :: v_dual_add_f32 v109, v109, v114
	s_delay_alu instid0(VALU_DEP_1) | instskip(NEXT) | instid1(VALU_DEP_1)
	v_min_f32_e32 v113, v119, v118
	v_dual_add_f32 v109, v109, v112 :: v_dual_add_f32 v110, v110, v113
	s_delay_alu instid0(VALU_DEP_1) | instskip(NEXT) | instid1(VALU_DEP_1)
	v_add_f32_e32 v109, v109, v110
	v_add_f32_e32 v109, v109, v111
	global_store_b32 v[44:45], v109, off
	s_or_b32 exec_lo, exec_lo, s16
	s_and_b32 s18, s3, s8
	s_delay_alu instid0(SALU_CYCLE_1)
	s_and_saveexec_b32 s16, s18
	s_cbranch_execz .LBB50_80
.LBB50_96:
	v_cmp_ne_u32_e32 vcc_lo, 1, v100
	v_lshlrev_b64 v[44:45], 2, v[54:55]
	s_cbranch_vccnz .LBB50_98
; %bb.97:
	s_delay_alu instid0(VALU_DEP_1) | instskip(NEXT) | instid1(VALU_DEP_2)
	v_add_co_u32 v109, vcc_lo, v64, v44
	v_add_co_ci_u32_e32 v110, vcc_lo, v65, v45, vcc_lo
	flat_load_b32 v109, v[109:110]
	s_waitcnt vmcnt(0) lgkmcnt(0)
	v_mul_f32_e32 v109, s15, v109
	s_branch .LBB50_99
.LBB50_98:
	v_mov_b32_e32 v109, 0
.LBB50_99:
	v_dual_max_f32 v110, v41, v41 :: v_dual_max_f32 v113, v20, v20
	v_dual_max_f32 v111, v21, v21 :: v_dual_max_f32 v112, v40, v40
	;; [unrolled: 1-line block ×3, first 2 shown]
	v_max_f32_e32 v116, v23, v23
	s_delay_alu instid0(VALU_DEP_3) | instskip(NEXT) | instid1(VALU_DEP_4)
	v_min_f32_e32 v110, v111, v110
	v_dual_max_f32 v111, v22, v22 :: v_dual_min_f32 v112, v113, v112
	v_add_co_u32 v44, vcc_lo, v46, v44
	s_delay_alu instid0(VALU_DEP_3) | instskip(NEXT) | instid1(VALU_DEP_3)
	v_add_f32_e32 v107, v107, v110
	v_dual_min_f32 v110, v111, v114 :: v_dual_min_f32 v111, v116, v115
	s_delay_alu instid0(VALU_DEP_4) | instskip(SKIP_1) | instid1(VALU_DEP_2)
	v_add_f32_e32 v108, v108, v112
	v_add_co_ci_u32_e32 v45, vcc_lo, v47, v45, vcc_lo
	v_dual_add_f32 v107, v107, v111 :: v_dual_add_f32 v108, v108, v110
	s_delay_alu instid0(VALU_DEP_1) | instskip(NEXT) | instid1(VALU_DEP_1)
	v_add_f32_e32 v107, v108, v107
	v_add_f32_e32 v107, v107, v109
	global_store_b32 v[44:45], v107, off
	s_or_b32 exec_lo, exec_lo, s16
	s_and_b32 s18, s4, s8
	s_delay_alu instid0(SALU_CYCLE_1)
	s_and_saveexec_b32 s16, s18
	s_cbranch_execz .LBB50_81
.LBB50_100:
	v_cmp_ne_u32_e32 vcc_lo, 1, v100
	v_lshlrev_b64 v[44:45], 2, v[56:57]
	s_cbranch_vccnz .LBB50_102
; %bb.101:
	s_delay_alu instid0(VALU_DEP_1) | instskip(NEXT) | instid1(VALU_DEP_2)
	v_add_co_u32 v107, vcc_lo, v64, v44
	v_add_co_ci_u32_e32 v108, vcc_lo, v65, v45, vcc_lo
	flat_load_b32 v107, v[107:108]
	s_waitcnt vmcnt(0) lgkmcnt(0)
	v_mul_f32_e32 v107, s15, v107
	s_branch .LBB50_103
.LBB50_102:
	v_mov_b32_e32 v107, 0
.LBB50_103:
	v_dual_max_f32 v108, v41, v41 :: v_dual_max_f32 v111, v16, v16
	v_dual_max_f32 v109, v17, v17 :: v_dual_max_f32 v110, v40, v40
	;; [unrolled: 1-line block ×3, first 2 shown]
	v_add_co_u32 v44, vcc_lo, v46, v44
	s_delay_alu instid0(VALU_DEP_3) | instskip(SKIP_2) | instid1(VALU_DEP_3)
	v_dual_min_f32 v108, v109, v108 :: v_dual_max_f32 v109, v18, v18
	v_max_f32_e32 v114, v19, v19
	v_add_co_ci_u32_e32 v45, vcc_lo, v47, v45, vcc_lo
	v_dual_add_f32 v105, v105, v108 :: v_dual_min_f32 v110, v111, v110
	s_delay_alu instid0(VALU_DEP_3) | instskip(NEXT) | instid1(VALU_DEP_1)
	v_dual_min_f32 v108, v109, v112 :: v_dual_min_f32 v109, v114, v113
	v_dual_add_f32 v106, v106, v110 :: v_dual_add_f32 v105, v105, v109
	s_delay_alu instid0(VALU_DEP_1) | instskip(NEXT) | instid1(VALU_DEP_1)
	v_add_f32_e32 v106, v106, v108
	v_add_f32_e32 v105, v106, v105
	s_delay_alu instid0(VALU_DEP_1) | instskip(SKIP_3) | instid1(SALU_CYCLE_1)
	v_add_f32_e32 v105, v105, v107
	global_store_b32 v[44:45], v105, off
	s_or_b32 exec_lo, exec_lo, s16
	s_and_b32 s18, s5, s8
	s_and_saveexec_b32 s16, s18
	s_cbranch_execz .LBB50_82
.LBB50_104:
	v_cmp_ne_u32_e32 vcc_lo, 1, v100
	v_lshlrev_b64 v[44:45], 2, v[58:59]
	s_cbranch_vccnz .LBB50_106
; %bb.105:
	s_delay_alu instid0(VALU_DEP_1) | instskip(NEXT) | instid1(VALU_DEP_2)
	v_add_co_u32 v105, vcc_lo, v64, v44
	v_add_co_ci_u32_e32 v106, vcc_lo, v65, v45, vcc_lo
	flat_load_b32 v105, v[105:106]
	s_waitcnt vmcnt(0) lgkmcnt(0)
	v_mul_f32_e32 v105, s15, v105
	s_branch .LBB50_107
.LBB50_106:
	v_mov_b32_e32 v105, 0
.LBB50_107:
	v_dual_max_f32 v106, v41, v41 :: v_dual_max_f32 v109, v12, v12
	v_dual_max_f32 v107, v13, v13 :: v_dual_max_f32 v108, v40, v40
	;; [unrolled: 1-line block ×3, first 2 shown]
	v_max_f32_e32 v112, v15, v15
	s_delay_alu instid0(VALU_DEP_3) | instskip(NEXT) | instid1(VALU_DEP_4)
	v_min_f32_e32 v106, v107, v106
	v_dual_max_f32 v107, v14, v14 :: v_dual_min_f32 v108, v109, v108
	v_add_co_u32 v44, vcc_lo, v46, v44
	s_delay_alu instid0(VALU_DEP_3) | instskip(NEXT) | instid1(VALU_DEP_3)
	v_add_f32_e32 v104, v104, v106
	v_min_f32_e32 v106, v107, v110
	s_delay_alu instid0(VALU_DEP_4) | instskip(SKIP_2) | instid1(VALU_DEP_2)
	v_add_f32_e32 v103, v103, v108
	v_min_f32_e32 v107, v112, v111
	v_add_co_ci_u32_e32 v45, vcc_lo, v47, v45, vcc_lo
	v_dual_add_f32 v103, v103, v106 :: v_dual_add_f32 v104, v104, v107
	s_delay_alu instid0(VALU_DEP_1) | instskip(NEXT) | instid1(VALU_DEP_1)
	v_add_f32_e32 v103, v103, v104
	v_add_f32_e32 v103, v103, v105
	global_store_b32 v[44:45], v103, off
	s_or_b32 exec_lo, exec_lo, s16
	s_and_b32 s18, s6, s8
	s_delay_alu instid0(SALU_CYCLE_1)
	s_and_saveexec_b32 s16, s18
	s_cbranch_execz .LBB50_83
.LBB50_108:
	v_cmp_ne_u32_e32 vcc_lo, 1, v100
	v_lshlrev_b64 v[44:45], 2, v[60:61]
	s_cbranch_vccnz .LBB50_110
; %bb.109:
	s_delay_alu instid0(VALU_DEP_1) | instskip(NEXT) | instid1(VALU_DEP_2)
	v_add_co_u32 v103, vcc_lo, v64, v44
	v_add_co_ci_u32_e32 v104, vcc_lo, v65, v45, vcc_lo
	flat_load_b32 v103, v[103:104]
	s_waitcnt vmcnt(0) lgkmcnt(0)
	v_mul_f32_e32 v103, s15, v103
	s_branch .LBB50_111
.LBB50_110:
	v_mov_b32_e32 v103, 0
.LBB50_111:
	v_dual_max_f32 v104, v41, v41 :: v_dual_max_f32 v107, v8, v8
	v_dual_max_f32 v105, v9, v9 :: v_dual_max_f32 v106, v40, v40
	;; [unrolled: 1-line block ×3, first 2 shown]
	v_add_co_u32 v44, vcc_lo, v46, v44
	s_delay_alu instid0(VALU_DEP_3) | instskip(SKIP_2) | instid1(VALU_DEP_3)
	v_dual_min_f32 v104, v105, v104 :: v_dual_max_f32 v105, v10, v10
	v_max_f32_e32 v110, v11, v11
	v_add_co_ci_u32_e32 v45, vcc_lo, v47, v45, vcc_lo
	v_dual_add_f32 v101, v101, v104 :: v_dual_min_f32 v106, v107, v106
	s_delay_alu instid0(VALU_DEP_3) | instskip(NEXT) | instid1(VALU_DEP_1)
	v_dual_min_f32 v104, v105, v108 :: v_dual_min_f32 v105, v110, v109
	v_dual_add_f32 v102, v102, v106 :: v_dual_add_f32 v101, v101, v105
	s_delay_alu instid0(VALU_DEP_1) | instskip(NEXT) | instid1(VALU_DEP_1)
	v_add_f32_e32 v102, v102, v104
	v_add_f32_e32 v101, v102, v101
	s_delay_alu instid0(VALU_DEP_1) | instskip(SKIP_3) | instid1(SALU_CYCLE_1)
	v_add_f32_e32 v101, v101, v103
	global_store_b32 v[44:45], v101, off
	s_or_b32 exec_lo, exec_lo, s16
	s_and_b32 s16, s7, s8
	s_and_saveexec_b32 s8, s16
	s_cbranch_execz .LBB50_116
.LBB50_112:
	v_cmp_ne_u32_e32 vcc_lo, 1, v100
	v_lshlrev_b64 v[44:45], 2, v[62:63]
	s_cbranch_vccnz .LBB50_114
; %bb.113:
	s_delay_alu instid0(VALU_DEP_1) | instskip(NEXT) | instid1(VALU_DEP_2)
	v_add_co_u32 v64, vcc_lo, v64, v44
	v_add_co_ci_u32_e32 v65, vcc_lo, v65, v45, vcc_lo
	flat_load_b32 v64, v[64:65]
	s_waitcnt vmcnt(0) lgkmcnt(0)
	v_mul_f32_e32 v64, s15, v64
	s_branch .LBB50_115
.LBB50_114:
	v_mov_b32_e32 v64, 0
.LBB50_115:
	v_dual_max_f32 v41, v41, v41 :: v_dual_max_f32 v40, v40, v40
	v_dual_max_f32 v65, v1, v1 :: v_dual_max_f32 v42, v42, v42
	;; [unrolled: 1-line block ×3, first 2 shown]
	s_delay_alu instid0(VALU_DEP_1) | instskip(NEXT) | instid1(VALU_DEP_1)
	v_dual_max_f32 v43, v43, v43 :: v_dual_min_f32 v40, v101, v40
	v_dual_min_f32 v41, v65, v41 :: v_dual_add_f32 v40, v98, v40
	s_delay_alu instid0(VALU_DEP_1) | instskip(NEXT) | instid1(VALU_DEP_3)
	v_add_f32_e32 v41, v99, v41
	v_min_f32_e32 v43, v102, v43
	s_delay_alu instid0(VALU_DEP_1) | instskip(SKIP_1) | instid1(VALU_DEP_1)
	v_add_f32_e32 v41, v41, v43
	v_max_f32_e32 v65, v2, v2
	v_min_f32_e32 v42, v65, v42
	s_delay_alu instid0(VALU_DEP_1) | instskip(NEXT) | instid1(VALU_DEP_1)
	v_add_f32_e32 v40, v40, v42
	v_add_f32_e32 v40, v40, v41
	s_delay_alu instid0(VALU_DEP_1)
	v_add_f32_e32 v42, v40, v64
	v_add_co_u32 v40, vcc_lo, v46, v44
	v_add_co_ci_u32_e32 v41, vcc_lo, v47, v45, vcc_lo
	global_store_b32 v[40:41], v42, off
.LBB50_116:
	s_or_b32 exec_lo, exec_lo, s8
	v_add_nc_u32_e32 v44, 64, v117
	s_delay_alu instid0(VALU_DEP_1) | instskip(SKIP_2) | instid1(VALU_DEP_3)
	v_mad_i64_i32 v[40:41], null, v44, s12, 0
	v_mad_i64_i32 v[42:43], null, v44, s9, 0
	v_cmp_gt_i32_e64 s8, s17, v44
	v_lshlrev_b64 v[40:41], 2, v[40:41]
	s_delay_alu instid0(VALU_DEP_2) | instskip(NEXT) | instid1(VALU_DEP_3)
	s_and_b32 s18, s0, s8
	v_lshlrev_b64 v[42:43], 2, v[42:43]
	s_delay_alu instid0(VALU_DEP_2) | instskip(NEXT) | instid1(VALU_DEP_3)
	v_add_co_u32 v44, vcc_lo, s10, v40
	v_add_co_ci_u32_e32 v45, vcc_lo, s11, v41, vcc_lo
	s_delay_alu instid0(VALU_DEP_3) | instskip(NEXT) | instid1(VALU_DEP_4)
	v_add_co_u32 v42, vcc_lo, s13, v42
	v_add_co_ci_u32_e32 v43, vcc_lo, s14, v43, vcc_lo
	s_and_saveexec_b32 s16, s18
	s_cbranch_execnz .LBB50_124
; %bb.117:
	s_or_b32 exec_lo, exec_lo, s16
	s_and_b32 s18, s1, s8
	s_delay_alu instid0(SALU_CYCLE_1)
	s_and_saveexec_b32 s16, s18
	s_cbranch_execnz .LBB50_128
.LBB50_118:
	s_or_b32 exec_lo, exec_lo, s16
	s_and_b32 s18, s2, s8
	s_delay_alu instid0(SALU_CYCLE_1)
	s_and_saveexec_b32 s16, s18
	s_cbranch_execnz .LBB50_132
.LBB50_119:
	s_or_b32 exec_lo, exec_lo, s16
	s_and_b32 s18, s3, s8
	s_delay_alu instid0(SALU_CYCLE_1)
	s_and_saveexec_b32 s16, s18
	s_cbranch_execnz .LBB50_136
.LBB50_120:
	s_or_b32 exec_lo, exec_lo, s16
	s_and_b32 s18, s4, s8
	s_delay_alu instid0(SALU_CYCLE_1)
	s_and_saveexec_b32 s16, s18
	s_cbranch_execnz .LBB50_140
.LBB50_121:
	s_or_b32 exec_lo, exec_lo, s16
	s_and_b32 s18, s5, s8
	s_delay_alu instid0(SALU_CYCLE_1)
	s_and_saveexec_b32 s16, s18
	s_cbranch_execnz .LBB50_144
.LBB50_122:
	s_or_b32 exec_lo, exec_lo, s16
	s_and_b32 s18, s6, s8
	s_delay_alu instid0(SALU_CYCLE_1)
	s_and_saveexec_b32 s16, s18
	s_cbranch_execnz .LBB50_148
.LBB50_123:
	s_or_b32 exec_lo, exec_lo, s16
	s_and_b32 s16, s7, s8
	s_delay_alu instid0(SALU_CYCLE_1)
	s_and_saveexec_b32 s8, s16
	s_cbranch_execnz .LBB50_152
	s_branch .LBB50_156
.LBB50_124:
	v_cmp_ne_u32_e32 vcc_lo, 1, v100
	v_lshlrev_b64 v[40:41], 2, v[48:49]
	s_cbranch_vccnz .LBB50_126
; %bb.125:
	s_delay_alu instid0(VALU_DEP_1) | instskip(NEXT) | instid1(VALU_DEP_2)
	v_add_co_u32 v46, vcc_lo, v44, v40
	v_add_co_ci_u32_e32 v47, vcc_lo, v45, v41, vcc_lo
	flat_load_b32 v46, v[46:47]
	s_waitcnt vmcnt(0) lgkmcnt(0)
	v_mul_f32_e32 v46, s15, v46
	s_branch .LBB50_127
.LBB50_126:
	v_mov_b32_e32 v46, 0
.LBB50_127:
	v_dual_max_f32 v47, v37, v37 :: v_dual_max_f32 v98, v32, v32
	v_dual_max_f32 v64, v33, v33 :: v_dual_max_f32 v65, v36, v36
	;; [unrolled: 1-line block ×3, first 2 shown]
	v_add_co_u32 v40, vcc_lo, v42, v40
	s_delay_alu instid0(VALU_DEP_3) | instskip(NEXT) | instid1(VALU_DEP_4)
	v_dual_min_f32 v47, v64, v47 :: v_dual_max_f32 v64, v34, v34
	v_min_f32_e32 v65, v98, v65
	v_add_co_ci_u32_e32 v41, vcc_lo, v43, v41, vcc_lo
	s_delay_alu instid0(VALU_DEP_3) | instskip(NEXT) | instid1(VALU_DEP_4)
	v_add_f32_e32 v47, v97, v47
	v_min_f32_e32 v64, v64, v99
	s_delay_alu instid0(VALU_DEP_4) | instskip(NEXT) | instid1(VALU_DEP_1)
	v_add_f32_e32 v65, v96, v65
	v_dual_max_f32 v101, v39, v39 :: v_dual_add_f32 v64, v65, v64
	s_delay_alu instid0(VALU_DEP_1) | instskip(NEXT) | instid1(VALU_DEP_1)
	v_min_f32_e32 v97, v102, v101
	v_add_f32_e32 v47, v47, v97
	s_delay_alu instid0(VALU_DEP_1) | instskip(NEXT) | instid1(VALU_DEP_1)
	v_add_f32_e32 v47, v64, v47
	v_add_f32_e32 v46, v47, v46
	global_store_b32 v[40:41], v46, off
	s_or_b32 exec_lo, exec_lo, s16
	s_and_b32 s18, s1, s8
	s_delay_alu instid0(SALU_CYCLE_1)
	s_and_saveexec_b32 s16, s18
	s_cbranch_execz .LBB50_118
.LBB50_128:
	v_cmp_ne_u32_e32 vcc_lo, 1, v100
	v_lshlrev_b64 v[40:41], 2, v[50:51]
	s_cbranch_vccnz .LBB50_130
; %bb.129:
	s_delay_alu instid0(VALU_DEP_1) | instskip(NEXT) | instid1(VALU_DEP_2)
	v_add_co_u32 v46, vcc_lo, v44, v40
	v_add_co_ci_u32_e32 v47, vcc_lo, v45, v41, vcc_lo
	flat_load_b32 v46, v[46:47]
	s_waitcnt vmcnt(0) lgkmcnt(0)
	v_mul_f32_e32 v46, s15, v46
	s_branch .LBB50_131
.LBB50_130:
	v_mov_b32_e32 v46, 0
.LBB50_131:
	v_dual_max_f32 v47, v37, v37 :: v_dual_max_f32 v96, v28, v28
	v_dual_max_f32 v64, v29, v29 :: v_dual_max_f32 v65, v36, v36
	;; [unrolled: 1-line block ×3, first 2 shown]
	v_add_co_u32 v40, vcc_lo, v42, v40
	s_delay_alu instid0(VALU_DEP_3) | instskip(SKIP_2) | instid1(VALU_DEP_3)
	v_dual_min_f32 v47, v64, v47 :: v_dual_max_f32 v64, v30, v30
	v_max_f32_e32 v99, v31, v31
	v_add_co_ci_u32_e32 v41, vcc_lo, v43, v41, vcc_lo
	v_min_f32_e32 v64, v64, v97
	v_min_f32_e32 v65, v96, v65
	s_delay_alu instid0(VALU_DEP_4) | instskip(NEXT) | instid1(VALU_DEP_2)
	v_dual_add_f32 v47, v94, v47 :: v_dual_min_f32 v94, v99, v98
	v_add_f32_e32 v65, v95, v65
	s_delay_alu instid0(VALU_DEP_1) | instskip(NEXT) | instid1(VALU_DEP_1)
	v_dual_add_f32 v64, v65, v64 :: v_dual_add_f32 v47, v47, v94
	v_add_f32_e32 v47, v64, v47
	s_delay_alu instid0(VALU_DEP_1) | instskip(SKIP_3) | instid1(SALU_CYCLE_1)
	v_add_f32_e32 v46, v47, v46
	global_store_b32 v[40:41], v46, off
	s_or_b32 exec_lo, exec_lo, s16
	s_and_b32 s18, s2, s8
	s_and_saveexec_b32 s16, s18
	s_cbranch_execz .LBB50_119
.LBB50_132:
	v_cmp_ne_u32_e32 vcc_lo, 1, v100
	v_lshlrev_b64 v[40:41], 2, v[52:53]
	s_cbranch_vccnz .LBB50_134
; %bb.133:
	s_delay_alu instid0(VALU_DEP_1) | instskip(NEXT) | instid1(VALU_DEP_2)
	v_add_co_u32 v46, vcc_lo, v44, v40
	v_add_co_ci_u32_e32 v47, vcc_lo, v45, v41, vcc_lo
	flat_load_b32 v46, v[46:47]
	s_waitcnt vmcnt(0) lgkmcnt(0)
	v_mul_f32_e32 v46, s15, v46
	s_branch .LBB50_135
.LBB50_134:
	v_mov_b32_e32 v46, 0
.LBB50_135:
	v_dual_max_f32 v47, v37, v37 :: v_dual_max_f32 v94, v24, v24
	v_dual_max_f32 v64, v25, v25 :: v_dual_max_f32 v65, v36, v36
	;; [unrolled: 1-line block ×3, first 2 shown]
	v_add_co_u32 v40, vcc_lo, v42, v40
	s_delay_alu instid0(VALU_DEP_3) | instskip(NEXT) | instid1(VALU_DEP_4)
	v_dual_min_f32 v47, v64, v47 :: v_dual_max_f32 v64, v26, v26
	v_min_f32_e32 v65, v94, v65
	v_add_co_ci_u32_e32 v41, vcc_lo, v43, v41, vcc_lo
	s_delay_alu instid0(VALU_DEP_2) | instskip(NEXT) | instid1(VALU_DEP_1)
	v_dual_min_f32 v64, v64, v95 :: v_dual_add_f32 v65, v93, v65
	v_dual_max_f32 v97, v27, v27 :: v_dual_add_f32 v64, v65, v64
	s_delay_alu instid0(VALU_DEP_1) | instskip(NEXT) | instid1(VALU_DEP_1)
	v_dual_add_f32 v47, v92, v47 :: v_dual_min_f32 v92, v97, v96
	v_add_f32_e32 v47, v47, v92
	s_delay_alu instid0(VALU_DEP_1) | instskip(NEXT) | instid1(VALU_DEP_1)
	v_add_f32_e32 v47, v64, v47
	v_add_f32_e32 v46, v47, v46
	global_store_b32 v[40:41], v46, off
	s_or_b32 exec_lo, exec_lo, s16
	s_and_b32 s18, s3, s8
	s_delay_alu instid0(SALU_CYCLE_1)
	s_and_saveexec_b32 s16, s18
	s_cbranch_execz .LBB50_120
.LBB50_136:
	v_cmp_ne_u32_e32 vcc_lo, 1, v100
	v_lshlrev_b64 v[40:41], 2, v[54:55]
	s_cbranch_vccnz .LBB50_138
; %bb.137:
	s_delay_alu instid0(VALU_DEP_1) | instskip(NEXT) | instid1(VALU_DEP_2)
	v_add_co_u32 v46, vcc_lo, v44, v40
	v_add_co_ci_u32_e32 v47, vcc_lo, v45, v41, vcc_lo
	flat_load_b32 v46, v[46:47]
	s_waitcnt vmcnt(0) lgkmcnt(0)
	v_mul_f32_e32 v46, s15, v46
	s_branch .LBB50_139
.LBB50_138:
	v_mov_b32_e32 v46, 0
.LBB50_139:
	v_dual_max_f32 v47, v37, v37 :: v_dual_max_f32 v92, v20, v20
	v_dual_max_f32 v64, v21, v21 :: v_dual_max_f32 v65, v36, v36
	;; [unrolled: 1-line block ×3, first 2 shown]
	v_add_co_u32 v40, vcc_lo, v42, v40
	s_delay_alu instid0(VALU_DEP_3) | instskip(SKIP_2) | instid1(VALU_DEP_3)
	v_dual_min_f32 v47, v64, v47 :: v_dual_max_f32 v64, v22, v22
	v_max_f32_e32 v95, v23, v23
	v_add_co_ci_u32_e32 v41, vcc_lo, v43, v41, vcc_lo
	v_min_f32_e32 v64, v64, v93
	v_min_f32_e32 v65, v92, v65
	s_delay_alu instid0(VALU_DEP_4) | instskip(NEXT) | instid1(VALU_DEP_2)
	v_dual_add_f32 v47, v90, v47 :: v_dual_min_f32 v90, v95, v94
	v_add_f32_e32 v65, v91, v65
	s_delay_alu instid0(VALU_DEP_1) | instskip(NEXT) | instid1(VALU_DEP_1)
	v_dual_add_f32 v64, v65, v64 :: v_dual_add_f32 v47, v47, v90
	v_add_f32_e32 v47, v64, v47
	s_delay_alu instid0(VALU_DEP_1) | instskip(SKIP_3) | instid1(SALU_CYCLE_1)
	v_add_f32_e32 v46, v47, v46
	global_store_b32 v[40:41], v46, off
	s_or_b32 exec_lo, exec_lo, s16
	s_and_b32 s18, s4, s8
	s_and_saveexec_b32 s16, s18
	s_cbranch_execz .LBB50_121
.LBB50_140:
	v_cmp_ne_u32_e32 vcc_lo, 1, v100
	v_lshlrev_b64 v[40:41], 2, v[56:57]
	s_cbranch_vccnz .LBB50_142
; %bb.141:
	s_delay_alu instid0(VALU_DEP_1) | instskip(NEXT) | instid1(VALU_DEP_2)
	v_add_co_u32 v46, vcc_lo, v44, v40
	v_add_co_ci_u32_e32 v47, vcc_lo, v45, v41, vcc_lo
	flat_load_b32 v46, v[46:47]
	s_waitcnt vmcnt(0) lgkmcnt(0)
	v_mul_f32_e32 v46, s15, v46
	s_branch .LBB50_143
.LBB50_142:
	v_mov_b32_e32 v46, 0
.LBB50_143:
	v_dual_max_f32 v47, v37, v37 :: v_dual_max_f32 v90, v16, v16
	v_dual_max_f32 v64, v17, v17 :: v_dual_max_f32 v65, v36, v36
	;; [unrolled: 1-line block ×3, first 2 shown]
	v_add_co_u32 v40, vcc_lo, v42, v40
	s_delay_alu instid0(VALU_DEP_3) | instskip(NEXT) | instid1(VALU_DEP_4)
	v_dual_min_f32 v47, v64, v47 :: v_dual_max_f32 v64, v18, v18
	v_min_f32_e32 v65, v90, v65
	v_add_co_ci_u32_e32 v41, vcc_lo, v43, v41, vcc_lo
	s_delay_alu instid0(VALU_DEP_3) | instskip(NEXT) | instid1(VALU_DEP_4)
	v_add_f32_e32 v47, v89, v47
	v_min_f32_e32 v64, v64, v91
	s_delay_alu instid0(VALU_DEP_4) | instskip(NEXT) | instid1(VALU_DEP_1)
	v_add_f32_e32 v65, v88, v65
	v_dual_max_f32 v93, v19, v19 :: v_dual_add_f32 v64, v65, v64
	s_delay_alu instid0(VALU_DEP_1) | instskip(NEXT) | instid1(VALU_DEP_1)
	v_min_f32_e32 v89, v93, v92
	v_add_f32_e32 v47, v47, v89
	s_delay_alu instid0(VALU_DEP_1) | instskip(NEXT) | instid1(VALU_DEP_1)
	v_add_f32_e32 v47, v64, v47
	v_add_f32_e32 v46, v47, v46
	global_store_b32 v[40:41], v46, off
	s_or_b32 exec_lo, exec_lo, s16
	s_and_b32 s18, s5, s8
	s_delay_alu instid0(SALU_CYCLE_1)
	s_and_saveexec_b32 s16, s18
	s_cbranch_execz .LBB50_122
.LBB50_144:
	v_cmp_ne_u32_e32 vcc_lo, 1, v100
	v_lshlrev_b64 v[40:41], 2, v[58:59]
	s_cbranch_vccnz .LBB50_146
; %bb.145:
	s_delay_alu instid0(VALU_DEP_1) | instskip(NEXT) | instid1(VALU_DEP_2)
	v_add_co_u32 v46, vcc_lo, v44, v40
	v_add_co_ci_u32_e32 v47, vcc_lo, v45, v41, vcc_lo
	flat_load_b32 v46, v[46:47]
	s_waitcnt vmcnt(0) lgkmcnt(0)
	v_mul_f32_e32 v46, s15, v46
	s_branch .LBB50_147
.LBB50_146:
	v_mov_b32_e32 v46, 0
.LBB50_147:
	v_dual_max_f32 v47, v37, v37 :: v_dual_max_f32 v88, v12, v12
	v_dual_max_f32 v64, v13, v13 :: v_dual_max_f32 v65, v36, v36
	;; [unrolled: 1-line block ×3, first 2 shown]
	v_add_co_u32 v40, vcc_lo, v42, v40
	s_delay_alu instid0(VALU_DEP_3) | instskip(SKIP_3) | instid1(VALU_DEP_4)
	v_dual_min_f32 v47, v64, v47 :: v_dual_max_f32 v64, v14, v14
	v_max_f32_e32 v91, v15, v15
	v_min_f32_e32 v65, v88, v65
	v_add_co_ci_u32_e32 v41, vcc_lo, v43, v41, vcc_lo
	v_min_f32_e32 v64, v64, v89
	s_delay_alu instid0(VALU_DEP_3) | instskip(SKIP_1) | instid1(VALU_DEP_2)
	v_add_f32_e32 v65, v86, v65
	v_add_f32_e32 v47, v87, v47
	v_dual_min_f32 v87, v91, v90 :: v_dual_add_f32 v64, v65, v64
	s_delay_alu instid0(VALU_DEP_1) | instskip(NEXT) | instid1(VALU_DEP_1)
	v_add_f32_e32 v47, v47, v87
	v_add_f32_e32 v47, v64, v47
	s_delay_alu instid0(VALU_DEP_1) | instskip(SKIP_3) | instid1(SALU_CYCLE_1)
	v_add_f32_e32 v46, v47, v46
	global_store_b32 v[40:41], v46, off
	s_or_b32 exec_lo, exec_lo, s16
	s_and_b32 s18, s6, s8
	s_and_saveexec_b32 s16, s18
	s_cbranch_execz .LBB50_123
.LBB50_148:
	v_cmp_ne_u32_e32 vcc_lo, 1, v100
	v_lshlrev_b64 v[40:41], 2, v[60:61]
	s_cbranch_vccnz .LBB50_150
; %bb.149:
	s_delay_alu instid0(VALU_DEP_1) | instskip(NEXT) | instid1(VALU_DEP_2)
	v_add_co_u32 v46, vcc_lo, v44, v40
	v_add_co_ci_u32_e32 v47, vcc_lo, v45, v41, vcc_lo
	flat_load_b32 v46, v[46:47]
	s_waitcnt vmcnt(0) lgkmcnt(0)
	v_mul_f32_e32 v46, s15, v46
	s_branch .LBB50_151
.LBB50_150:
	v_mov_b32_e32 v46, 0
.LBB50_151:
	v_dual_max_f32 v47, v37, v37 :: v_dual_max_f32 v86, v8, v8
	v_dual_max_f32 v64, v9, v9 :: v_dual_max_f32 v65, v36, v36
	;; [unrolled: 1-line block ×3, first 2 shown]
	v_add_co_u32 v40, vcc_lo, v42, v40
	s_delay_alu instid0(VALU_DEP_3) | instskip(NEXT) | instid1(VALU_DEP_4)
	v_dual_min_f32 v47, v64, v47 :: v_dual_max_f32 v64, v10, v10
	v_min_f32_e32 v65, v86, v65
	v_add_co_ci_u32_e32 v41, vcc_lo, v43, v41, vcc_lo
	s_delay_alu instid0(VALU_DEP_2) | instskip(NEXT) | instid1(VALU_DEP_1)
	v_dual_min_f32 v64, v64, v87 :: v_dual_add_f32 v65, v85, v65
	v_dual_max_f32 v89, v11, v11 :: v_dual_add_f32 v64, v65, v64
	s_delay_alu instid0(VALU_DEP_1) | instskip(NEXT) | instid1(VALU_DEP_1)
	v_dual_add_f32 v47, v84, v47 :: v_dual_min_f32 v84, v89, v88
	v_add_f32_e32 v47, v47, v84
	s_delay_alu instid0(VALU_DEP_1) | instskip(NEXT) | instid1(VALU_DEP_1)
	v_add_f32_e32 v47, v64, v47
	v_add_f32_e32 v46, v47, v46
	global_store_b32 v[40:41], v46, off
	s_or_b32 exec_lo, exec_lo, s16
	s_and_b32 s16, s7, s8
	s_delay_alu instid0(SALU_CYCLE_1)
	s_and_saveexec_b32 s8, s16
	s_cbranch_execz .LBB50_156
.LBB50_152:
	v_cmp_ne_u32_e32 vcc_lo, 1, v100
	v_lshlrev_b64 v[40:41], 2, v[62:63]
	s_cbranch_vccnz .LBB50_154
; %bb.153:
	s_delay_alu instid0(VALU_DEP_1) | instskip(NEXT) | instid1(VALU_DEP_2)
	v_add_co_u32 v44, vcc_lo, v44, v40
	v_add_co_ci_u32_e32 v45, vcc_lo, v45, v41, vcc_lo
	flat_load_b32 v44, v[44:45]
	s_waitcnt vmcnt(0) lgkmcnt(0)
	v_mul_f32_e32 v44, s15, v44
	s_branch .LBB50_155
.LBB50_154:
	v_mov_b32_e32 v44, 0
.LBB50_155:
	v_dual_max_f32 v37, v37, v37 :: v_dual_max_f32 v36, v36, v36
	v_dual_max_f32 v45, v1, v1 :: v_dual_max_f32 v46, v0, v0
	;; [unrolled: 1-line block ×3, first 2 shown]
	s_delay_alu instid0(VALU_DEP_2) | instskip(SKIP_1) | instid1(VALU_DEP_2)
	v_dual_min_f32 v37, v45, v37 :: v_dual_min_f32 v36, v46, v36
	v_max_f32_e32 v47, v3, v3
	v_dual_add_f32 v37, v83, v37 :: v_dual_add_f32 v36, v82, v36
	s_delay_alu instid0(VALU_DEP_2) | instskip(NEXT) | instid1(VALU_DEP_1)
	v_min_f32_e32 v39, v47, v39
	v_add_f32_e32 v37, v37, v39
	v_max_f32_e32 v45, v2, v2
	s_delay_alu instid0(VALU_DEP_1) | instskip(NEXT) | instid1(VALU_DEP_1)
	v_min_f32_e32 v38, v45, v38
	v_add_f32_e32 v36, v36, v38
	s_delay_alu instid0(VALU_DEP_1) | instskip(NEXT) | instid1(VALU_DEP_1)
	v_add_f32_e32 v36, v36, v37
	v_add_f32_e32 v38, v36, v44
	v_add_co_u32 v36, vcc_lo, v42, v40
	v_add_co_ci_u32_e32 v37, vcc_lo, v43, v41, vcc_lo
	global_store_b32 v[36:37], v38, off
.LBB50_156:
	s_or_b32 exec_lo, exec_lo, s8
	v_add_nc_u32_e32 v40, 0x60, v117
	s_delay_alu instid0(VALU_DEP_1) | instskip(SKIP_2) | instid1(VALU_DEP_3)
	v_mad_i64_i32 v[36:37], null, v40, s12, 0
	v_mad_i64_i32 v[38:39], null, v40, s9, 0
	v_cmp_gt_i32_e64 s8, s17, v40
	v_lshlrev_b64 v[36:37], 2, v[36:37]
	s_delay_alu instid0(VALU_DEP_2) | instskip(NEXT) | instid1(VALU_DEP_3)
	s_and_b32 s9, s0, s8
	v_lshlrev_b64 v[38:39], 2, v[38:39]
	s_delay_alu instid0(VALU_DEP_2) | instskip(NEXT) | instid1(VALU_DEP_3)
	v_add_co_u32 v40, vcc_lo, s10, v36
	v_add_co_ci_u32_e32 v41, vcc_lo, s11, v37, vcc_lo
	s_delay_alu instid0(VALU_DEP_3) | instskip(NEXT) | instid1(VALU_DEP_4)
	v_add_co_u32 v38, vcc_lo, s13, v38
	v_add_co_ci_u32_e32 v39, vcc_lo, s14, v39, vcc_lo
	s_and_saveexec_b32 s0, s9
	s_cbranch_execnz .LBB50_165
; %bb.157:
	s_or_b32 exec_lo, exec_lo, s0
	s_and_b32 s1, s1, s8
	s_delay_alu instid0(SALU_CYCLE_1)
	s_and_saveexec_b32 s0, s1
	s_cbranch_execnz .LBB50_169
.LBB50_158:
	s_or_b32 exec_lo, exec_lo, s0
	s_and_b32 s1, s2, s8
	s_delay_alu instid0(SALU_CYCLE_1)
	s_and_saveexec_b32 s0, s1
	s_cbranch_execnz .LBB50_173
.LBB50_159:
	s_or_b32 exec_lo, exec_lo, s0
	s_and_b32 s1, s3, s8
	s_delay_alu instid0(SALU_CYCLE_1)
	s_and_saveexec_b32 s0, s1
	s_cbranch_execnz .LBB50_177
.LBB50_160:
	s_or_b32 exec_lo, exec_lo, s0
	s_and_b32 s1, s4, s8
	s_delay_alu instid0(SALU_CYCLE_1)
	s_and_saveexec_b32 s0, s1
	s_cbranch_execnz .LBB50_181
.LBB50_161:
	s_or_b32 exec_lo, exec_lo, s0
	s_and_b32 s1, s5, s8
	s_delay_alu instid0(SALU_CYCLE_1)
	s_and_saveexec_b32 s0, s1
	s_cbranch_execnz .LBB50_185
.LBB50_162:
	s_or_b32 exec_lo, exec_lo, s0
	s_and_b32 s1, s6, s8
	s_delay_alu instid0(SALU_CYCLE_1)
	s_and_saveexec_b32 s0, s1
	s_cbranch_execnz .LBB50_189
.LBB50_163:
	s_or_b32 exec_lo, exec_lo, s0
	s_and_b32 s0, s7, s8
	s_delay_alu instid0(SALU_CYCLE_1)
	s_and_saveexec_b32 s1, s0
	s_cbranch_execnz .LBB50_193
.LBB50_164:
	s_nop 0
	s_sendmsg sendmsg(MSG_DEALLOC_VGPRS)
	s_endpgm
.LBB50_165:
	v_cmp_ne_u32_e32 vcc_lo, 1, v100
	v_lshlrev_b64 v[36:37], 2, v[48:49]
	s_cbranch_vccnz .LBB50_167
; %bb.166:
	s_delay_alu instid0(VALU_DEP_1) | instskip(NEXT) | instid1(VALU_DEP_2)
	v_add_co_u32 v42, vcc_lo, v40, v36
	v_add_co_ci_u32_e32 v43, vcc_lo, v41, v37, vcc_lo
	flat_load_b32 v42, v[42:43]
	s_waitcnt vmcnt(0) lgkmcnt(0)
	v_mul_f32_e32 v42, s15, v42
	s_branch .LBB50_168
.LBB50_167:
	v_mov_b32_e32 v42, 0
.LBB50_168:
	v_dual_max_f32 v43, v5, v5 :: v_dual_max_f32 v44, v4, v4
	v_dual_max_f32 v33, v33, v33 :: v_dual_max_f32 v32, v32, v32
	v_max_f32_e32 v45, v6, v6
	s_delay_alu instid0(VALU_DEP_2) | instskip(NEXT) | instid1(VALU_DEP_3)
	v_dual_max_f32 v34, v34, v34 :: v_dual_min_f32 v33, v33, v43
	v_dual_min_f32 v32, v32, v44 :: v_dual_max_f32 v43, v7, v7
	s_delay_alu instid0(VALU_DEP_2) | instskip(NEXT) | instid1(VALU_DEP_2)
	v_dual_min_f32 v34, v34, v45 :: v_dual_max_f32 v35, v35, v35
	v_dual_add_f32 v33, v80, v33 :: v_dual_add_f32 v32, v81, v32
	s_delay_alu instid0(VALU_DEP_1) | instskip(NEXT) | instid1(VALU_DEP_1)
	v_dual_min_f32 v35, v35, v43 :: v_dual_add_f32 v32, v32, v34
	v_add_f32_e32 v33, v33, v35
	s_delay_alu instid0(VALU_DEP_1) | instskip(NEXT) | instid1(VALU_DEP_1)
	v_add_f32_e32 v32, v32, v33
	v_add_f32_e32 v34, v32, v42
	v_add_co_u32 v32, vcc_lo, v38, v36
	v_add_co_ci_u32_e32 v33, vcc_lo, v39, v37, vcc_lo
	global_store_b32 v[32:33], v34, off
	s_or_b32 exec_lo, exec_lo, s0
	s_and_b32 s1, s1, s8
	s_delay_alu instid0(SALU_CYCLE_1)
	s_and_saveexec_b32 s0, s1
	s_cbranch_execz .LBB50_158
.LBB50_169:
	v_cmp_ne_u32_e32 vcc_lo, 1, v100
	v_lshlrev_b64 v[32:33], 2, v[50:51]
	s_cbranch_vccnz .LBB50_171
; %bb.170:
	s_delay_alu instid0(VALU_DEP_1) | instskip(NEXT) | instid1(VALU_DEP_2)
	v_add_co_u32 v34, vcc_lo, v40, v32
	v_add_co_ci_u32_e32 v35, vcc_lo, v41, v33, vcc_lo
	flat_load_b32 v34, v[34:35]
	s_waitcnt vmcnt(0) lgkmcnt(0)
	v_mul_f32_e32 v34, s15, v34
	s_branch .LBB50_172
.LBB50_171:
	v_mov_b32_e32 v34, 0
.LBB50_172:
	v_dual_max_f32 v35, v5, v5 :: v_dual_max_f32 v36, v4, v4
	v_dual_max_f32 v29, v29, v29 :: v_dual_max_f32 v28, v28, v28
	v_max_f32_e32 v37, v6, v6
	s_delay_alu instid0(VALU_DEP_2) | instskip(NEXT) | instid1(VALU_DEP_3)
	v_dual_max_f32 v30, v30, v30 :: v_dual_min_f32 v29, v29, v35
	v_dual_min_f32 v28, v28, v36 :: v_dual_max_f32 v35, v7, v7
	s_delay_alu instid0(VALU_DEP_2) | instskip(NEXT) | instid1(VALU_DEP_2)
	v_dual_min_f32 v30, v30, v37 :: v_dual_max_f32 v31, v31, v31
	v_dual_add_f32 v28, v78, v28 :: v_dual_add_f32 v29, v79, v29
	s_delay_alu instid0(VALU_DEP_1) | instskip(NEXT) | instid1(VALU_DEP_1)
	v_dual_add_f32 v28, v28, v30 :: v_dual_min_f32 v31, v31, v35
	v_add_f32_e32 v29, v29, v31
	s_delay_alu instid0(VALU_DEP_1) | instskip(NEXT) | instid1(VALU_DEP_1)
	v_add_f32_e32 v28, v28, v29
	v_add_f32_e32 v30, v28, v34
	v_add_co_u32 v28, vcc_lo, v38, v32
	v_add_co_ci_u32_e32 v29, vcc_lo, v39, v33, vcc_lo
	global_store_b32 v[28:29], v30, off
	s_or_b32 exec_lo, exec_lo, s0
	s_and_b32 s1, s2, s8
	s_delay_alu instid0(SALU_CYCLE_1)
	s_and_saveexec_b32 s0, s1
	s_cbranch_execz .LBB50_159
.LBB50_173:
	v_cmp_ne_u32_e32 vcc_lo, 1, v100
	v_lshlrev_b64 v[28:29], 2, v[52:53]
	s_cbranch_vccnz .LBB50_175
; %bb.174:
	s_delay_alu instid0(VALU_DEP_1) | instskip(NEXT) | instid1(VALU_DEP_2)
	v_add_co_u32 v30, vcc_lo, v40, v28
	v_add_co_ci_u32_e32 v31, vcc_lo, v41, v29, vcc_lo
	flat_load_b32 v30, v[30:31]
	s_waitcnt vmcnt(0) lgkmcnt(0)
	v_mul_f32_e32 v30, s15, v30
	s_branch .LBB50_176
.LBB50_175:
	v_mov_b32_e32 v30, 0
.LBB50_176:
	v_dual_max_f32 v31, v5, v5 :: v_dual_max_f32 v32, v4, v4
	v_dual_max_f32 v25, v25, v25 :: v_dual_max_f32 v24, v24, v24
	v_max_f32_e32 v33, v6, v6
	s_delay_alu instid0(VALU_DEP_2) | instskip(NEXT) | instid1(VALU_DEP_3)
	v_dual_max_f32 v26, v26, v26 :: v_dual_min_f32 v25, v25, v31
	v_dual_min_f32 v24, v24, v32 :: v_dual_max_f32 v31, v7, v7
	s_delay_alu instid0(VALU_DEP_2) | instskip(NEXT) | instid1(VALU_DEP_2)
	v_dual_min_f32 v26, v26, v33 :: v_dual_max_f32 v27, v27, v27
	v_dual_add_f32 v25, v76, v25 :: v_dual_add_f32 v24, v77, v24
	s_delay_alu instid0(VALU_DEP_1) | instskip(NEXT) | instid1(VALU_DEP_1)
	v_dual_min_f32 v27, v27, v31 :: v_dual_add_f32 v24, v24, v26
	v_add_f32_e32 v25, v25, v27
	s_delay_alu instid0(VALU_DEP_1) | instskip(NEXT) | instid1(VALU_DEP_1)
	v_add_f32_e32 v24, v24, v25
	v_add_f32_e32 v26, v24, v30
	v_add_co_u32 v24, vcc_lo, v38, v28
	v_add_co_ci_u32_e32 v25, vcc_lo, v39, v29, vcc_lo
	global_store_b32 v[24:25], v26, off
	s_or_b32 exec_lo, exec_lo, s0
	s_and_b32 s1, s3, s8
	s_delay_alu instid0(SALU_CYCLE_1)
	s_and_saveexec_b32 s0, s1
	s_cbranch_execz .LBB50_160
.LBB50_177:
	v_cmp_ne_u32_e32 vcc_lo, 1, v100
	v_lshlrev_b64 v[24:25], 2, v[54:55]
	s_cbranch_vccnz .LBB50_179
; %bb.178:
	s_delay_alu instid0(VALU_DEP_1) | instskip(NEXT) | instid1(VALU_DEP_2)
	v_add_co_u32 v26, vcc_lo, v40, v24
	v_add_co_ci_u32_e32 v27, vcc_lo, v41, v25, vcc_lo
	flat_load_b32 v26, v[26:27]
	s_waitcnt vmcnt(0) lgkmcnt(0)
	v_mul_f32_e32 v26, s15, v26
	s_branch .LBB50_180
.LBB50_179:
	v_mov_b32_e32 v26, 0
.LBB50_180:
	v_dual_max_f32 v27, v5, v5 :: v_dual_max_f32 v28, v4, v4
	v_dual_max_f32 v21, v21, v21 :: v_dual_max_f32 v20, v20, v20
	v_max_f32_e32 v29, v6, v6
	s_delay_alu instid0(VALU_DEP_2) | instskip(NEXT) | instid1(VALU_DEP_3)
	v_dual_max_f32 v22, v22, v22 :: v_dual_min_f32 v21, v21, v27
	v_dual_min_f32 v20, v20, v28 :: v_dual_max_f32 v27, v7, v7
	s_delay_alu instid0(VALU_DEP_2) | instskip(NEXT) | instid1(VALU_DEP_2)
	v_min_f32_e32 v22, v22, v29
	v_dual_add_f32 v21, v74, v21 :: v_dual_add_f32 v20, v75, v20
	s_delay_alu instid0(VALU_DEP_1) | instskip(NEXT) | instid1(VALU_DEP_1)
	v_dual_max_f32 v23, v23, v23 :: v_dual_add_f32 v20, v20, v22
	v_min_f32_e32 v23, v23, v27
	s_delay_alu instid0(VALU_DEP_1) | instskip(NEXT) | instid1(VALU_DEP_1)
	v_add_f32_e32 v21, v21, v23
	v_add_f32_e32 v20, v20, v21
	s_delay_alu instid0(VALU_DEP_1)
	v_add_f32_e32 v22, v20, v26
	v_add_co_u32 v20, vcc_lo, v38, v24
	v_add_co_ci_u32_e32 v21, vcc_lo, v39, v25, vcc_lo
	global_store_b32 v[20:21], v22, off
	s_or_b32 exec_lo, exec_lo, s0
	s_and_b32 s1, s4, s8
	s_delay_alu instid0(SALU_CYCLE_1)
	s_and_saveexec_b32 s0, s1
	s_cbranch_execz .LBB50_161
.LBB50_181:
	v_cmp_ne_u32_e32 vcc_lo, 1, v100
	v_lshlrev_b64 v[20:21], 2, v[56:57]
	s_cbranch_vccnz .LBB50_183
; %bb.182:
	s_delay_alu instid0(VALU_DEP_1) | instskip(NEXT) | instid1(VALU_DEP_2)
	v_add_co_u32 v22, vcc_lo, v40, v20
	v_add_co_ci_u32_e32 v23, vcc_lo, v41, v21, vcc_lo
	flat_load_b32 v22, v[22:23]
	s_waitcnt vmcnt(0) lgkmcnt(0)
	v_mul_f32_e32 v22, s15, v22
	s_branch .LBB50_184
.LBB50_183:
	v_mov_b32_e32 v22, 0
.LBB50_184:
	v_dual_max_f32 v23, v5, v5 :: v_dual_max_f32 v24, v4, v4
	v_dual_max_f32 v17, v17, v17 :: v_dual_max_f32 v16, v16, v16
	v_max_f32_e32 v25, v6, v6
	s_delay_alu instid0(VALU_DEP_2) | instskip(NEXT) | instid1(VALU_DEP_3)
	v_dual_max_f32 v18, v18, v18 :: v_dual_min_f32 v17, v17, v23
	v_dual_min_f32 v16, v16, v24 :: v_dual_max_f32 v23, v7, v7
	s_delay_alu instid0(VALU_DEP_2) | instskip(NEXT) | instid1(VALU_DEP_2)
	v_dual_min_f32 v18, v18, v25 :: v_dual_max_f32 v19, v19, v19
	v_dual_add_f32 v16, v72, v16 :: v_dual_add_f32 v17, v73, v17
	s_delay_alu instid0(VALU_DEP_1) | instskip(NEXT) | instid1(VALU_DEP_1)
	v_dual_add_f32 v16, v16, v18 :: v_dual_min_f32 v19, v19, v23
	v_add_f32_e32 v17, v17, v19
	s_delay_alu instid0(VALU_DEP_1) | instskip(NEXT) | instid1(VALU_DEP_1)
	v_add_f32_e32 v16, v16, v17
	v_add_f32_e32 v18, v16, v22
	v_add_co_u32 v16, vcc_lo, v38, v20
	v_add_co_ci_u32_e32 v17, vcc_lo, v39, v21, vcc_lo
	global_store_b32 v[16:17], v18, off
	s_or_b32 exec_lo, exec_lo, s0
	s_and_b32 s1, s5, s8
	s_delay_alu instid0(SALU_CYCLE_1)
	s_and_saveexec_b32 s0, s1
	s_cbranch_execz .LBB50_162
.LBB50_185:
	v_cmp_ne_u32_e32 vcc_lo, 1, v100
	v_lshlrev_b64 v[16:17], 2, v[58:59]
	s_cbranch_vccnz .LBB50_187
; %bb.186:
	s_delay_alu instid0(VALU_DEP_1) | instskip(NEXT) | instid1(VALU_DEP_2)
	v_add_co_u32 v18, vcc_lo, v40, v16
	v_add_co_ci_u32_e32 v19, vcc_lo, v41, v17, vcc_lo
	flat_load_b32 v18, v[18:19]
	s_waitcnt vmcnt(0) lgkmcnt(0)
	v_mul_f32_e32 v18, s15, v18
	s_branch .LBB50_188
.LBB50_187:
	v_mov_b32_e32 v18, 0
.LBB50_188:
	v_dual_max_f32 v19, v5, v5 :: v_dual_max_f32 v20, v4, v4
	v_dual_max_f32 v13, v13, v13 :: v_dual_max_f32 v12, v12, v12
	v_max_f32_e32 v21, v6, v6
	s_delay_alu instid0(VALU_DEP_2) | instskip(NEXT) | instid1(VALU_DEP_3)
	v_dual_max_f32 v14, v14, v14 :: v_dual_min_f32 v13, v13, v19
	v_dual_min_f32 v12, v12, v20 :: v_dual_max_f32 v19, v7, v7
	s_delay_alu instid0(VALU_DEP_2) | instskip(NEXT) | instid1(VALU_DEP_2)
	v_min_f32_e32 v14, v14, v21
	v_dual_add_f32 v13, v70, v13 :: v_dual_add_f32 v12, v71, v12
	s_delay_alu instid0(VALU_DEP_1) | instskip(NEXT) | instid1(VALU_DEP_1)
	v_dual_max_f32 v15, v15, v15 :: v_dual_add_f32 v12, v12, v14
	v_min_f32_e32 v15, v15, v19
	s_delay_alu instid0(VALU_DEP_1) | instskip(NEXT) | instid1(VALU_DEP_1)
	v_add_f32_e32 v13, v13, v15
	v_add_f32_e32 v12, v12, v13
	s_delay_alu instid0(VALU_DEP_1)
	v_add_f32_e32 v14, v12, v18
	v_add_co_u32 v12, vcc_lo, v38, v16
	v_add_co_ci_u32_e32 v13, vcc_lo, v39, v17, vcc_lo
	global_store_b32 v[12:13], v14, off
	s_or_b32 exec_lo, exec_lo, s0
	s_and_b32 s1, s6, s8
	s_delay_alu instid0(SALU_CYCLE_1)
	s_and_saveexec_b32 s0, s1
	s_cbranch_execz .LBB50_163
.LBB50_189:
	v_cmp_ne_u32_e32 vcc_lo, 1, v100
	v_lshlrev_b64 v[12:13], 2, v[60:61]
	s_cbranch_vccnz .LBB50_191
; %bb.190:
	s_delay_alu instid0(VALU_DEP_1) | instskip(NEXT) | instid1(VALU_DEP_2)
	v_add_co_u32 v14, vcc_lo, v40, v12
	v_add_co_ci_u32_e32 v15, vcc_lo, v41, v13, vcc_lo
	flat_load_b32 v14, v[14:15]
	s_waitcnt vmcnt(0) lgkmcnt(0)
	v_mul_f32_e32 v14, s15, v14
	s_branch .LBB50_192
.LBB50_191:
	v_mov_b32_e32 v14, 0
.LBB50_192:
	v_dual_max_f32 v15, v5, v5 :: v_dual_max_f32 v16, v4, v4
	v_dual_max_f32 v9, v9, v9 :: v_dual_max_f32 v8, v8, v8
	v_max_f32_e32 v17, v6, v6
	s_delay_alu instid0(VALU_DEP_2) | instskip(NEXT) | instid1(VALU_DEP_3)
	v_dual_max_f32 v10, v10, v10 :: v_dual_min_f32 v9, v9, v15
	v_dual_min_f32 v8, v8, v16 :: v_dual_max_f32 v15, v7, v7
	s_delay_alu instid0(VALU_DEP_2) | instskip(NEXT) | instid1(VALU_DEP_2)
	v_dual_min_f32 v10, v10, v17 :: v_dual_max_f32 v11, v11, v11
	v_dual_add_f32 v8, v68, v8 :: v_dual_add_f32 v9, v69, v9
	s_delay_alu instid0(VALU_DEP_1) | instskip(NEXT) | instid1(VALU_DEP_1)
	v_dual_add_f32 v8, v8, v10 :: v_dual_min_f32 v11, v11, v15
	v_add_f32_e32 v9, v9, v11
	s_delay_alu instid0(VALU_DEP_1) | instskip(NEXT) | instid1(VALU_DEP_1)
	v_add_f32_e32 v8, v8, v9
	v_add_f32_e32 v10, v8, v14
	v_add_co_u32 v8, vcc_lo, v38, v12
	v_add_co_ci_u32_e32 v9, vcc_lo, v39, v13, vcc_lo
	global_store_b32 v[8:9], v10, off
	s_or_b32 exec_lo, exec_lo, s0
	s_and_b32 s0, s7, s8
	s_delay_alu instid0(SALU_CYCLE_1)
	s_and_saveexec_b32 s1, s0
	s_cbranch_execz .LBB50_164
.LBB50_193:
	v_cmp_ne_u32_e32 vcc_lo, 1, v100
	v_lshlrev_b64 v[8:9], 2, v[62:63]
	s_cbranch_vccnz .LBB50_195
; %bb.194:
	s_delay_alu instid0(VALU_DEP_1) | instskip(NEXT) | instid1(VALU_DEP_2)
	v_add_co_u32 v10, vcc_lo, v40, v8
	v_add_co_ci_u32_e32 v11, vcc_lo, v41, v9, vcc_lo
	flat_load_b32 v10, v[10:11]
	s_waitcnt vmcnt(0) lgkmcnt(0)
	v_mul_f32_e32 v10, s15, v10
	s_branch .LBB50_196
.LBB50_195:
	v_mov_b32_e32 v10, 0
.LBB50_196:
	v_dual_max_f32 v5, v5, v5 :: v_dual_max_f32 v4, v4, v4
	v_dual_max_f32 v1, v1, v1 :: v_dual_max_f32 v0, v0, v0
	v_max_f32_e32 v6, v6, v6
	v_dual_max_f32 v2, v2, v2 :: v_dual_max_f32 v3, v3, v3
	s_delay_alu instid0(VALU_DEP_3) | instskip(NEXT) | instid1(VALU_DEP_2)
	v_dual_min_f32 v1, v1, v5 :: v_dual_min_f32 v0, v0, v4
	v_dual_max_f32 v5, v7, v7 :: v_dual_min_f32 v2, v2, v6
	s_delay_alu instid0(VALU_DEP_2) | instskip(NEXT) | instid1(VALU_DEP_1)
	v_dual_add_f32 v1, v67, v1 :: v_dual_add_f32 v0, v66, v0
	v_dual_min_f32 v3, v3, v5 :: v_dual_add_f32 v0, v0, v2
	s_delay_alu instid0(VALU_DEP_1) | instskip(NEXT) | instid1(VALU_DEP_1)
	v_add_f32_e32 v1, v1, v3
	v_add_f32_e32 v0, v0, v1
	s_delay_alu instid0(VALU_DEP_1)
	v_add_f32_e32 v2, v0, v10
	v_add_co_u32 v0, vcc_lo, v38, v8
	v_add_co_ci_u32_e32 v1, vcc_lo, v39, v9, vcc_lo
	global_store_b32 v[0:1], v2, off
	s_nop 0
	s_sendmsg sendmsg(MSG_DEALLOC_VGPRS)
	s_endpgm
	.section	.rodata,"a",@progbits
	.p2align	6, 0x0
	.amdhsa_kernel _ZN12_GLOBAL__N_120geam_min_plus_kernelIf15HIP_vector_typeIfLj2EES2_Li8ELi32ELi64ELi128ELi4ELi4ELi64ELi64ELi4ELc84ELc84ELb0ELb1ELb0EfKPKfKPfEEviiiT16_PT17_ilSA_ilS8_SA_ilPT18_ili26rocblas_geam_ex_operation_
		.amdhsa_group_segment_fixed_size 6144
		.amdhsa_private_segment_fixed_size 0
		.amdhsa_kernarg_size 128
		.amdhsa_user_sgpr_count 14
		.amdhsa_user_sgpr_dispatch_ptr 0
		.amdhsa_user_sgpr_queue_ptr 0
		.amdhsa_user_sgpr_kernarg_segment_ptr 1
		.amdhsa_user_sgpr_dispatch_id 0
		.amdhsa_user_sgpr_private_segment_size 0
		.amdhsa_wavefront_size32 1
		.amdhsa_uses_dynamic_stack 0
		.amdhsa_enable_private_segment 0
		.amdhsa_system_sgpr_workgroup_id_x 1
		.amdhsa_system_sgpr_workgroup_id_y 0
		.amdhsa_system_sgpr_workgroup_id_z 1
		.amdhsa_system_sgpr_workgroup_info 0
		.amdhsa_system_vgpr_workitem_id 1
		.amdhsa_next_free_vgpr 226
		.amdhsa_next_free_sgpr 28
		.amdhsa_reserve_vcc 1
		.amdhsa_float_round_mode_32 0
		.amdhsa_float_round_mode_16_64 0
		.amdhsa_float_denorm_mode_32 3
		.amdhsa_float_denorm_mode_16_64 3
		.amdhsa_dx10_clamp 1
		.amdhsa_ieee_mode 1
		.amdhsa_fp16_overflow 0
		.amdhsa_workgroup_processor_mode 1
		.amdhsa_memory_ordered 1
		.amdhsa_forward_progress 0
		.amdhsa_shared_vgpr_count 0
		.amdhsa_exception_fp_ieee_invalid_op 0
		.amdhsa_exception_fp_denorm_src 0
		.amdhsa_exception_fp_ieee_div_zero 0
		.amdhsa_exception_fp_ieee_overflow 0
		.amdhsa_exception_fp_ieee_underflow 0
		.amdhsa_exception_fp_ieee_inexact 0
		.amdhsa_exception_int_div_zero 0
	.end_amdhsa_kernel
	.section	.text._ZN12_GLOBAL__N_120geam_min_plus_kernelIf15HIP_vector_typeIfLj2EES2_Li8ELi32ELi64ELi128ELi4ELi4ELi64ELi64ELi4ELc84ELc84ELb0ELb1ELb0EfKPKfKPfEEviiiT16_PT17_ilSA_ilS8_SA_ilPT18_ili26rocblas_geam_ex_operation_,"axG",@progbits,_ZN12_GLOBAL__N_120geam_min_plus_kernelIf15HIP_vector_typeIfLj2EES2_Li8ELi32ELi64ELi128ELi4ELi4ELi64ELi64ELi4ELc84ELc84ELb0ELb1ELb0EfKPKfKPfEEviiiT16_PT17_ilSA_ilS8_SA_ilPT18_ili26rocblas_geam_ex_operation_,comdat
.Lfunc_end50:
	.size	_ZN12_GLOBAL__N_120geam_min_plus_kernelIf15HIP_vector_typeIfLj2EES2_Li8ELi32ELi64ELi128ELi4ELi4ELi64ELi64ELi4ELc84ELc84ELb0ELb1ELb0EfKPKfKPfEEviiiT16_PT17_ilSA_ilS8_SA_ilPT18_ili26rocblas_geam_ex_operation_, .Lfunc_end50-_ZN12_GLOBAL__N_120geam_min_plus_kernelIf15HIP_vector_typeIfLj2EES2_Li8ELi32ELi64ELi128ELi4ELi4ELi64ELi64ELi4ELc84ELc84ELb0ELb1ELb0EfKPKfKPfEEviiiT16_PT17_ilSA_ilS8_SA_ilPT18_ili26rocblas_geam_ex_operation_
                                        ; -- End function
	.section	.AMDGPU.csdata,"",@progbits
; Kernel info:
; codeLenInByte = 13332
; NumSgprs: 30
; NumVgprs: 226
; ScratchSize: 0
; MemoryBound: 0
; FloatMode: 240
; IeeeMode: 1
; LDSByteSize: 6144 bytes/workgroup (compile time only)
; SGPRBlocks: 3
; VGPRBlocks: 28
; NumSGPRsForWavesPerEU: 30
; NumVGPRsForWavesPerEU: 226
; Occupancy: 6
; WaveLimiterHint : 1
; COMPUTE_PGM_RSRC2:SCRATCH_EN: 0
; COMPUTE_PGM_RSRC2:USER_SGPR: 14
; COMPUTE_PGM_RSRC2:TRAP_HANDLER: 0
; COMPUTE_PGM_RSRC2:TGID_X_EN: 1
; COMPUTE_PGM_RSRC2:TGID_Y_EN: 0
; COMPUTE_PGM_RSRC2:TGID_Z_EN: 1
; COMPUTE_PGM_RSRC2:TIDIG_COMP_CNT: 1
	.section	.text._ZN12_GLOBAL__N_120geam_ex_scale_kernelILi32ELi32EffPKfPfEEviiT2_T3_lilT4_lil,"axG",@progbits,_ZN12_GLOBAL__N_120geam_ex_scale_kernelILi32ELi32EffPKfPfEEviiT2_T3_lilT4_lil,comdat
	.globl	_ZN12_GLOBAL__N_120geam_ex_scale_kernelILi32ELi32EffPKfPfEEviiT2_T3_lilT4_lil ; -- Begin function _ZN12_GLOBAL__N_120geam_ex_scale_kernelILi32ELi32EffPKfPfEEviiT2_T3_lilT4_lil
	.p2align	8
	.type	_ZN12_GLOBAL__N_120geam_ex_scale_kernelILi32ELi32EffPKfPfEEviiT2_T3_lilT4_lil,@function
_ZN12_GLOBAL__N_120geam_ex_scale_kernelILi32ELi32EffPKfPfEEviiT2_T3_lilT4_lil: ; @_ZN12_GLOBAL__N_120geam_ex_scale_kernelILi32ELi32EffPKfPfEEviiT2_T3_lilT4_lil
; %bb.0:
	s_clause 0x2
	s_load_b128 s[8:11], s[0:1], 0x0
	s_load_b128 s[4:7], s[0:1], 0x28
	s_load_b64 s[12:13], s[0:1], 0x38
	s_waitcnt lgkmcnt(0)
	v_cmp_eq_f32_e64 s3, s10, 0
	s_delay_alu instid0(VALU_DEP_1)
	s_and_b32 vcc_lo, exec_lo, s3
	s_cbranch_vccnz .LBB51_2
; %bb.1:
	s_load_b128 s[16:19], s[0:1], 0x10
	s_mul_i32 s2, s15, s5
	s_mul_hi_u32 s5, s15, s4
	s_mul_i32 s4, s15, s4
	s_add_i32 s5, s5, s2
	s_delay_alu instid0(SALU_CYCLE_1) | instskip(SKIP_4) | instid1(SALU_CYCLE_1)
	s_lshl_b64 s[4:5], s[4:5], 2
	s_waitcnt lgkmcnt(0)
	s_add_u32 s2, s16, s4
	s_addc_u32 s11, s17, s5
	s_lshl_b64 s[4:5], s[18:19], 2
	s_add_u32 s4, s2, s4
	s_addc_u32 s5, s11, s5
	s_branch .LBB51_3
.LBB51_2:
	s_mov_b64 s[4:5], 0
.LBB51_3:
	s_add_i32 s2, s8, -1
	v_bfe_u32 v2, v0, 10, 10
	s_ashr_i32 s11, s2, 31
	s_delay_alu instid0(SALU_CYCLE_1) | instskip(NEXT) | instid1(SALU_CYCLE_1)
	s_lshr_b32 s11, s11, 27
	s_add_i32 s2, s2, s11
	s_delay_alu instid0(SALU_CYCLE_1) | instskip(NEXT) | instid1(SALU_CYCLE_1)
	s_ashr_i32 s2, s2, 5
	s_add_i32 s11, s2, 1
	s_not_b32 s2, s2
	v_cvt_f32_u32_e32 v1, s11
	s_delay_alu instid0(VALU_DEP_1) | instskip(SKIP_2) | instid1(VALU_DEP_1)
	v_rcp_iflag_f32_e32 v1, v1
	s_waitcnt_depctr 0xfff
	v_mul_f32_e32 v1, 0x4f7ffffe, v1
	v_cvt_u32_f32_e32 v1, v1
	s_delay_alu instid0(VALU_DEP_1) | instskip(SKIP_1) | instid1(VALU_DEP_2)
	v_readfirstlane_b32 s16, v1
	v_and_b32_e32 v1, 0x3ff, v0
	s_mul_i32 s2, s2, s16
	s_delay_alu instid0(SALU_CYCLE_1) | instskip(NEXT) | instid1(SALU_CYCLE_1)
	s_mul_hi_u32 s2, s16, s2
	s_add_i32 s16, s16, s2
	s_delay_alu instid0(SALU_CYCLE_1) | instskip(NEXT) | instid1(SALU_CYCLE_1)
	s_mul_hi_u32 s2, s14, s16
	s_mul_i32 s16, s2, s11
	s_add_i32 s17, s2, 1
	s_sub_i32 s16, s14, s16
	s_delay_alu instid0(SALU_CYCLE_1)
	s_sub_i32 s18, s16, s11
	s_cmp_ge_u32 s16, s11
	s_cselect_b32 s2, s17, s2
	s_cselect_b32 s16, s18, s16
	s_add_i32 s17, s2, 1
	s_cmp_ge_u32 s16, s11
	s_cselect_b32 s2, s17, s2
	s_delay_alu instid0(SALU_CYCLE_1) | instskip(SKIP_2) | instid1(SALU_CYCLE_1)
	s_mul_i32 s11, s2, s11
	v_lshl_add_u32 v2, s2, 5, v2
	s_sub_i32 s11, s14, s11
	v_lshl_add_u32 v0, s11, 5, v1
	s_delay_alu instid0(VALU_DEP_2) | instskip(NEXT) | instid1(VALU_DEP_2)
	v_cmp_gt_u32_e64 s2, s9, v2
	v_cmp_gt_u32_e32 vcc_lo, s8, v0
	s_mov_b32 s8, -1
	s_delay_alu instid0(VALU_DEP_2) | instskip(NEXT) | instid1(SALU_CYCLE_1)
	s_and_b32 s2, vcc_lo, s2
	s_and_saveexec_b32 s9, s2
	s_cbranch_execz .LBB51_9
; %bb.4:
	s_and_not1_b32 vcc_lo, exec_lo, s3
	s_cbranch_vccnz .LBB51_6
; %bb.5:
	v_mov_b32_e32 v1, 0
	s_mov_b32 s8, 0
.LBB51_6:
	s_delay_alu instid0(SALU_CYCLE_1) | instskip(NEXT) | instid1(VALU_DEP_1)
	v_cndmask_b32_e64 v3, 0, 1, s8
	v_cmp_ne_u32_e32 vcc_lo, 1, v3
	v_mov_b32_e32 v3, s8
	s_cbranch_vccnz .LBB51_8
; %bb.7:
	s_load_b32 s2, s[0:1], 0x20
	v_mov_b32_e32 v1, 0
	s_waitcnt lgkmcnt(0)
	s_delay_alu instid0(VALU_DEP_1)
	v_mad_u64_u32 v[3:4], null, v2, s2, v[0:1]
	s_ashr_i32 s2, s2, 31
	s_delay_alu instid0(VALU_DEP_1) | instid1(SALU_CYCLE_1)
	v_mad_u64_u32 v[5:6], null, v2, s2, v[4:5]
	s_delay_alu instid0(VALU_DEP_1) | instskip(NEXT) | instid1(VALU_DEP_1)
	v_mov_b32_e32 v4, v5
	v_lshlrev_b64 v[3:4], 2, v[3:4]
	s_delay_alu instid0(VALU_DEP_1) | instskip(NEXT) | instid1(VALU_DEP_2)
	v_add_co_u32 v3, vcc_lo, s4, v3
	v_add_co_ci_u32_e32 v4, vcc_lo, s5, v4, vcc_lo
	flat_load_b32 v3, v[3:4]
	s_waitcnt vmcnt(0) lgkmcnt(0)
	v_mul_f32_e32 v3, s10, v3
.LBB51_8:
	s_clause 0x1
	s_load_b64 s[2:3], s[0:1], 0x48
	s_load_b32 s4, s[0:1], 0x40
	v_lshlrev_b64 v[0:1], 2, v[0:1]
	s_waitcnt lgkmcnt(0)
	s_mul_i32 s1, s15, s3
	s_mul_hi_u32 s3, s15, s2
	s_mul_i32 s0, s15, s2
	s_add_i32 s1, s3, s1
	v_mad_u64_u32 v[4:5], null, v2, s4, 0
	s_lshl_b64 s[0:1], s[0:1], 2
	s_delay_alu instid0(SALU_CYCLE_1) | instskip(SKIP_2) | instid1(SALU_CYCLE_1)
	s_add_u32 s2, s6, s0
	s_addc_u32 s3, s7, s1
	s_lshl_b64 s[0:1], s[12:13], 2
	s_add_u32 s0, s2, s0
	s_addc_u32 s1, s3, s1
	s_ashr_i32 s2, s4, 31
	s_delay_alu instid0(SALU_CYCLE_1) | instskip(NEXT) | instid1(VALU_DEP_1)
	v_mad_u64_u32 v[6:7], null, v2, s2, v[5:6]
	v_mov_b32_e32 v5, v6
	s_delay_alu instid0(VALU_DEP_1) | instskip(NEXT) | instid1(VALU_DEP_1)
	v_lshlrev_b64 v[4:5], 2, v[4:5]
	v_add_co_u32 v2, vcc_lo, s0, v4
	s_delay_alu instid0(VALU_DEP_2) | instskip(NEXT) | instid1(VALU_DEP_2)
	v_add_co_ci_u32_e32 v4, vcc_lo, s1, v5, vcc_lo
	v_add_co_u32 v0, vcc_lo, v2, v0
	s_delay_alu instid0(VALU_DEP_2)
	v_add_co_ci_u32_e32 v1, vcc_lo, v4, v1, vcc_lo
	global_store_b32 v[0:1], v3, off
.LBB51_9:
	s_nop 0
	s_sendmsg sendmsg(MSG_DEALLOC_VGPRS)
	s_endpgm
	.section	.rodata,"a",@progbits
	.p2align	6, 0x0
	.amdhsa_kernel _ZN12_GLOBAL__N_120geam_ex_scale_kernelILi32ELi32EffPKfPfEEviiT2_T3_lilT4_lil
		.amdhsa_group_segment_fixed_size 0
		.amdhsa_private_segment_fixed_size 0
		.amdhsa_kernarg_size 80
		.amdhsa_user_sgpr_count 14
		.amdhsa_user_sgpr_dispatch_ptr 0
		.amdhsa_user_sgpr_queue_ptr 0
		.amdhsa_user_sgpr_kernarg_segment_ptr 1
		.amdhsa_user_sgpr_dispatch_id 0
		.amdhsa_user_sgpr_private_segment_size 0
		.amdhsa_wavefront_size32 1
		.amdhsa_uses_dynamic_stack 0
		.amdhsa_enable_private_segment 0
		.amdhsa_system_sgpr_workgroup_id_x 1
		.amdhsa_system_sgpr_workgroup_id_y 0
		.amdhsa_system_sgpr_workgroup_id_z 1
		.amdhsa_system_sgpr_workgroup_info 0
		.amdhsa_system_vgpr_workitem_id 1
		.amdhsa_next_free_vgpr 8
		.amdhsa_next_free_sgpr 20
		.amdhsa_reserve_vcc 1
		.amdhsa_float_round_mode_32 0
		.amdhsa_float_round_mode_16_64 0
		.amdhsa_float_denorm_mode_32 3
		.amdhsa_float_denorm_mode_16_64 3
		.amdhsa_dx10_clamp 1
		.amdhsa_ieee_mode 1
		.amdhsa_fp16_overflow 0
		.amdhsa_workgroup_processor_mode 1
		.amdhsa_memory_ordered 1
		.amdhsa_forward_progress 0
		.amdhsa_shared_vgpr_count 0
		.amdhsa_exception_fp_ieee_invalid_op 0
		.amdhsa_exception_fp_denorm_src 0
		.amdhsa_exception_fp_ieee_div_zero 0
		.amdhsa_exception_fp_ieee_overflow 0
		.amdhsa_exception_fp_ieee_underflow 0
		.amdhsa_exception_fp_ieee_inexact 0
		.amdhsa_exception_int_div_zero 0
	.end_amdhsa_kernel
	.section	.text._ZN12_GLOBAL__N_120geam_ex_scale_kernelILi32ELi32EffPKfPfEEviiT2_T3_lilT4_lil,"axG",@progbits,_ZN12_GLOBAL__N_120geam_ex_scale_kernelILi32ELi32EffPKfPfEEviiT2_T3_lilT4_lil,comdat
.Lfunc_end51:
	.size	_ZN12_GLOBAL__N_120geam_ex_scale_kernelILi32ELi32EffPKfPfEEviiT2_T3_lilT4_lil, .Lfunc_end51-_ZN12_GLOBAL__N_120geam_ex_scale_kernelILi32ELi32EffPKfPfEEviiT2_T3_lilT4_lil
                                        ; -- End function
	.section	.AMDGPU.csdata,"",@progbits
; Kernel info:
; codeLenInByte = 636
; NumSgprs: 22
; NumVgprs: 8
; ScratchSize: 0
; MemoryBound: 0
; FloatMode: 240
; IeeeMode: 1
; LDSByteSize: 0 bytes/workgroup (compile time only)
; SGPRBlocks: 2
; VGPRBlocks: 0
; NumSGPRsForWavesPerEU: 22
; NumVGPRsForWavesPerEU: 8
; Occupancy: 16
; WaveLimiterHint : 0
; COMPUTE_PGM_RSRC2:SCRATCH_EN: 0
; COMPUTE_PGM_RSRC2:USER_SGPR: 14
; COMPUTE_PGM_RSRC2:TRAP_HANDLER: 0
; COMPUTE_PGM_RSRC2:TGID_X_EN: 1
; COMPUTE_PGM_RSRC2:TGID_Y_EN: 0
; COMPUTE_PGM_RSRC2:TGID_Z_EN: 1
; COMPUTE_PGM_RSRC2:TIDIG_COMP_CNT: 1
	.section	.text._ZN12_GLOBAL__N_120geam_ex_scale_kernelILi32ELi32EfPKfS2_PfEEviiT2_T3_lilT4_lil,"axG",@progbits,_ZN12_GLOBAL__N_120geam_ex_scale_kernelILi32ELi32EfPKfS2_PfEEviiT2_T3_lilT4_lil,comdat
	.globl	_ZN12_GLOBAL__N_120geam_ex_scale_kernelILi32ELi32EfPKfS2_PfEEviiT2_T3_lilT4_lil ; -- Begin function _ZN12_GLOBAL__N_120geam_ex_scale_kernelILi32ELi32EfPKfS2_PfEEviiT2_T3_lilT4_lil
	.p2align	8
	.type	_ZN12_GLOBAL__N_120geam_ex_scale_kernelILi32ELi32EfPKfS2_PfEEviiT2_T3_lilT4_lil,@function
_ZN12_GLOBAL__N_120geam_ex_scale_kernelILi32ELi32EfPKfS2_PfEEviiT2_T3_lilT4_lil: ; @_ZN12_GLOBAL__N_120geam_ex_scale_kernelILi32ELi32EfPKfS2_PfEEviiT2_T3_lilT4_lil
; %bb.0:
	s_clause 0x1
	s_load_b128 s[8:11], s[0:1], 0x8
	s_load_b128 s[4:7], s[0:1], 0x28
	s_waitcnt lgkmcnt(0)
	s_load_b32 s3, s[8:9], 0x0
	s_load_b64 s[8:9], s[0:1], 0x38
	s_waitcnt lgkmcnt(0)
	v_cmp_eq_f32_e64 s12, s3, 0
	s_delay_alu instid0(VALU_DEP_1)
	s_and_b32 vcc_lo, exec_lo, s12
	s_cbranch_vccnz .LBB52_2
; %bb.1:
	s_load_b64 s[16:17], s[0:1], 0x18
	s_mul_i32 s2, s15, s5
	s_mul_hi_u32 s5, s15, s4
	s_mul_i32 s4, s15, s4
	s_add_i32 s5, s5, s2
	s_delay_alu instid0(SALU_CYCLE_1) | instskip(NEXT) | instid1(SALU_CYCLE_1)
	s_lshl_b64 s[4:5], s[4:5], 2
	s_add_u32 s2, s10, s4
	s_addc_u32 s10, s11, s5
	s_waitcnt lgkmcnt(0)
	s_lshl_b64 s[4:5], s[16:17], 2
	s_delay_alu instid0(SALU_CYCLE_1)
	s_add_u32 s4, s2, s4
	s_addc_u32 s5, s10, s5
	s_branch .LBB52_3
.LBB52_2:
	s_mov_b64 s[4:5], 0
.LBB52_3:
	s_load_b64 s[10:11], s[0:1], 0x0
	v_bfe_u32 v2, v0, 10, 10
	s_waitcnt lgkmcnt(0)
	s_add_i32 s2, s10, -1
	s_delay_alu instid0(SALU_CYCLE_1) | instskip(NEXT) | instid1(SALU_CYCLE_1)
	s_ashr_i32 s13, s2, 31
	s_lshr_b32 s13, s13, 27
	s_delay_alu instid0(SALU_CYCLE_1) | instskip(NEXT) | instid1(SALU_CYCLE_1)
	s_add_i32 s2, s2, s13
	s_ashr_i32 s2, s2, 5
	s_delay_alu instid0(SALU_CYCLE_1) | instskip(SKIP_2) | instid1(VALU_DEP_1)
	s_add_i32 s13, s2, 1
	s_not_b32 s2, s2
	v_cvt_f32_u32_e32 v1, s13
	v_rcp_iflag_f32_e32 v1, v1
	s_waitcnt_depctr 0xfff
	v_mul_f32_e32 v1, 0x4f7ffffe, v1
	s_delay_alu instid0(VALU_DEP_1) | instskip(NEXT) | instid1(VALU_DEP_1)
	v_cvt_u32_f32_e32 v1, v1
	v_readfirstlane_b32 s16, v1
	v_and_b32_e32 v1, 0x3ff, v0
	s_delay_alu instid0(VALU_DEP_2) | instskip(NEXT) | instid1(SALU_CYCLE_1)
	s_mul_i32 s2, s2, s16
	s_mul_hi_u32 s2, s16, s2
	s_delay_alu instid0(SALU_CYCLE_1) | instskip(NEXT) | instid1(SALU_CYCLE_1)
	s_add_i32 s16, s16, s2
	s_mul_hi_u32 s2, s14, s16
	s_delay_alu instid0(SALU_CYCLE_1) | instskip(SKIP_2) | instid1(SALU_CYCLE_1)
	s_mul_i32 s16, s2, s13
	s_add_i32 s17, s2, 1
	s_sub_i32 s16, s14, s16
	s_sub_i32 s18, s16, s13
	s_cmp_ge_u32 s16, s13
	s_cselect_b32 s2, s17, s2
	s_cselect_b32 s16, s18, s16
	s_add_i32 s17, s2, 1
	s_cmp_ge_u32 s16, s13
	s_cselect_b32 s2, s17, s2
	s_delay_alu instid0(SALU_CYCLE_1) | instskip(SKIP_2) | instid1(SALU_CYCLE_1)
	s_mul_i32 s13, s2, s13
	v_lshl_add_u32 v2, s2, 5, v2
	s_sub_i32 s13, s14, s13
	v_lshl_add_u32 v0, s13, 5, v1
	s_delay_alu instid0(VALU_DEP_2) | instskip(NEXT) | instid1(VALU_DEP_2)
	v_cmp_gt_u32_e64 s2, s11, v2
	v_cmp_gt_u32_e32 vcc_lo, s10, v0
	s_mov_b32 s10, -1
	s_delay_alu instid0(VALU_DEP_2) | instskip(NEXT) | instid1(SALU_CYCLE_1)
	s_and_b32 s2, vcc_lo, s2
	s_and_saveexec_b32 s11, s2
	s_cbranch_execz .LBB52_9
; %bb.4:
	s_and_not1_b32 vcc_lo, exec_lo, s12
	s_cbranch_vccnz .LBB52_6
; %bb.5:
	v_mov_b32_e32 v1, 0
	s_mov_b32 s10, 0
.LBB52_6:
	s_delay_alu instid0(SALU_CYCLE_1) | instskip(NEXT) | instid1(VALU_DEP_1)
	v_cndmask_b32_e64 v3, 0, 1, s10
	v_cmp_ne_u32_e32 vcc_lo, 1, v3
	v_mov_b32_e32 v3, s10
	s_cbranch_vccnz .LBB52_8
; %bb.7:
	s_load_b32 s2, s[0:1], 0x20
	v_mov_b32_e32 v1, 0
	s_waitcnt lgkmcnt(0)
	s_delay_alu instid0(VALU_DEP_1)
	v_mad_u64_u32 v[3:4], null, v2, s2, v[0:1]
	s_ashr_i32 s2, s2, 31
	s_delay_alu instid0(VALU_DEP_1) | instid1(SALU_CYCLE_1)
	v_mad_u64_u32 v[5:6], null, v2, s2, v[4:5]
	s_delay_alu instid0(VALU_DEP_1) | instskip(NEXT) | instid1(VALU_DEP_1)
	v_mov_b32_e32 v4, v5
	v_lshlrev_b64 v[3:4], 2, v[3:4]
	s_delay_alu instid0(VALU_DEP_1) | instskip(NEXT) | instid1(VALU_DEP_2)
	v_add_co_u32 v3, vcc_lo, s4, v3
	v_add_co_ci_u32_e32 v4, vcc_lo, s5, v4, vcc_lo
	flat_load_b32 v3, v[3:4]
	s_waitcnt vmcnt(0) lgkmcnt(0)
	v_mul_f32_e32 v3, s3, v3
.LBB52_8:
	s_clause 0x1
	s_load_b64 s[2:3], s[0:1], 0x48
	s_load_b32 s4, s[0:1], 0x40
	v_lshlrev_b64 v[0:1], 2, v[0:1]
	s_waitcnt lgkmcnt(0)
	s_mul_i32 s1, s15, s3
	s_mul_hi_u32 s3, s15, s2
	s_mul_i32 s0, s15, s2
	s_add_i32 s1, s3, s1
	v_mad_u64_u32 v[4:5], null, v2, s4, 0
	s_lshl_b64 s[0:1], s[0:1], 2
	s_delay_alu instid0(SALU_CYCLE_1) | instskip(SKIP_2) | instid1(SALU_CYCLE_1)
	s_add_u32 s2, s6, s0
	s_addc_u32 s3, s7, s1
	s_lshl_b64 s[0:1], s[8:9], 2
	s_add_u32 s0, s2, s0
	s_addc_u32 s1, s3, s1
	s_ashr_i32 s2, s4, 31
	s_delay_alu instid0(SALU_CYCLE_1) | instskip(NEXT) | instid1(VALU_DEP_1)
	v_mad_u64_u32 v[6:7], null, v2, s2, v[5:6]
	v_mov_b32_e32 v5, v6
	s_delay_alu instid0(VALU_DEP_1) | instskip(NEXT) | instid1(VALU_DEP_1)
	v_lshlrev_b64 v[4:5], 2, v[4:5]
	v_add_co_u32 v2, vcc_lo, s0, v4
	s_delay_alu instid0(VALU_DEP_2) | instskip(NEXT) | instid1(VALU_DEP_2)
	v_add_co_ci_u32_e32 v4, vcc_lo, s1, v5, vcc_lo
	v_add_co_u32 v0, vcc_lo, v2, v0
	s_delay_alu instid0(VALU_DEP_2)
	v_add_co_ci_u32_e32 v1, vcc_lo, v4, v1, vcc_lo
	global_store_b32 v[0:1], v3, off
.LBB52_9:
	s_nop 0
	s_sendmsg sendmsg(MSG_DEALLOC_VGPRS)
	s_endpgm
	.section	.rodata,"a",@progbits
	.p2align	6, 0x0
	.amdhsa_kernel _ZN12_GLOBAL__N_120geam_ex_scale_kernelILi32ELi32EfPKfS2_PfEEviiT2_T3_lilT4_lil
		.amdhsa_group_segment_fixed_size 0
		.amdhsa_private_segment_fixed_size 0
		.amdhsa_kernarg_size 80
		.amdhsa_user_sgpr_count 14
		.amdhsa_user_sgpr_dispatch_ptr 0
		.amdhsa_user_sgpr_queue_ptr 0
		.amdhsa_user_sgpr_kernarg_segment_ptr 1
		.amdhsa_user_sgpr_dispatch_id 0
		.amdhsa_user_sgpr_private_segment_size 0
		.amdhsa_wavefront_size32 1
		.amdhsa_uses_dynamic_stack 0
		.amdhsa_enable_private_segment 0
		.amdhsa_system_sgpr_workgroup_id_x 1
		.amdhsa_system_sgpr_workgroup_id_y 0
		.amdhsa_system_sgpr_workgroup_id_z 1
		.amdhsa_system_sgpr_workgroup_info 0
		.amdhsa_system_vgpr_workitem_id 1
		.amdhsa_next_free_vgpr 8
		.amdhsa_next_free_sgpr 19
		.amdhsa_reserve_vcc 1
		.amdhsa_float_round_mode_32 0
		.amdhsa_float_round_mode_16_64 0
		.amdhsa_float_denorm_mode_32 3
		.amdhsa_float_denorm_mode_16_64 3
		.amdhsa_dx10_clamp 1
		.amdhsa_ieee_mode 1
		.amdhsa_fp16_overflow 0
		.amdhsa_workgroup_processor_mode 1
		.amdhsa_memory_ordered 1
		.amdhsa_forward_progress 0
		.amdhsa_shared_vgpr_count 0
		.amdhsa_exception_fp_ieee_invalid_op 0
		.amdhsa_exception_fp_denorm_src 0
		.amdhsa_exception_fp_ieee_div_zero 0
		.amdhsa_exception_fp_ieee_overflow 0
		.amdhsa_exception_fp_ieee_underflow 0
		.amdhsa_exception_fp_ieee_inexact 0
		.amdhsa_exception_int_div_zero 0
	.end_amdhsa_kernel
	.section	.text._ZN12_GLOBAL__N_120geam_ex_scale_kernelILi32ELi32EfPKfS2_PfEEviiT2_T3_lilT4_lil,"axG",@progbits,_ZN12_GLOBAL__N_120geam_ex_scale_kernelILi32ELi32EfPKfS2_PfEEviiT2_T3_lilT4_lil,comdat
.Lfunc_end52:
	.size	_ZN12_GLOBAL__N_120geam_ex_scale_kernelILi32ELi32EfPKfS2_PfEEviiT2_T3_lilT4_lil, .Lfunc_end52-_ZN12_GLOBAL__N_120geam_ex_scale_kernelILi32ELi32EfPKfS2_PfEEviiT2_T3_lilT4_lil
                                        ; -- End function
	.section	.AMDGPU.csdata,"",@progbits
; Kernel info:
; codeLenInByte = 664
; NumSgprs: 21
; NumVgprs: 8
; ScratchSize: 0
; MemoryBound: 0
; FloatMode: 240
; IeeeMode: 1
; LDSByteSize: 0 bytes/workgroup (compile time only)
; SGPRBlocks: 2
; VGPRBlocks: 0
; NumSGPRsForWavesPerEU: 21
; NumVGPRsForWavesPerEU: 8
; Occupancy: 16
; WaveLimiterHint : 0
; COMPUTE_PGM_RSRC2:SCRATCH_EN: 0
; COMPUTE_PGM_RSRC2:USER_SGPR: 14
; COMPUTE_PGM_RSRC2:TRAP_HANDLER: 0
; COMPUTE_PGM_RSRC2:TGID_X_EN: 1
; COMPUTE_PGM_RSRC2:TGID_Y_EN: 0
; COMPUTE_PGM_RSRC2:TGID_Z_EN: 1
; COMPUTE_PGM_RSRC2:TIDIG_COMP_CNT: 1
	.section	.text._ZN12_GLOBAL__N_120geam_ex_round_kernelILi32ELi32EffPKfPfEEviiT2_T3_lilT4_lil,"axG",@progbits,_ZN12_GLOBAL__N_120geam_ex_round_kernelILi32ELi32EffPKfPfEEviiT2_T3_lilT4_lil,comdat
	.globl	_ZN12_GLOBAL__N_120geam_ex_round_kernelILi32ELi32EffPKfPfEEviiT2_T3_lilT4_lil ; -- Begin function _ZN12_GLOBAL__N_120geam_ex_round_kernelILi32ELi32EffPKfPfEEviiT2_T3_lilT4_lil
	.p2align	8
	.type	_ZN12_GLOBAL__N_120geam_ex_round_kernelILi32ELi32EffPKfPfEEviiT2_T3_lilT4_lil,@function
_ZN12_GLOBAL__N_120geam_ex_round_kernelILi32ELi32EffPKfPfEEviiT2_T3_lilT4_lil: ; @_ZN12_GLOBAL__N_120geam_ex_round_kernelILi32ELi32EffPKfPfEEviiT2_T3_lilT4_lil
; %bb.0:
	s_clause 0x2
	s_load_b128 s[8:11], s[0:1], 0x0
	s_load_b128 s[4:7], s[0:1], 0x28
	s_load_b64 s[12:13], s[0:1], 0x38
	s_waitcnt lgkmcnt(0)
	v_cmp_eq_f32_e64 s3, s10, 0
	s_delay_alu instid0(VALU_DEP_1)
	s_and_b32 vcc_lo, exec_lo, s3
	s_cbranch_vccnz .LBB53_2
; %bb.1:
	s_load_b128 s[16:19], s[0:1], 0x10
	s_mul_i32 s2, s15, s5
	s_mul_hi_u32 s5, s15, s4
	s_mul_i32 s4, s15, s4
	s_add_i32 s5, s5, s2
	s_delay_alu instid0(SALU_CYCLE_1) | instskip(SKIP_4) | instid1(SALU_CYCLE_1)
	s_lshl_b64 s[4:5], s[4:5], 2
	s_waitcnt lgkmcnt(0)
	s_add_u32 s2, s16, s4
	s_addc_u32 s11, s17, s5
	s_lshl_b64 s[4:5], s[18:19], 2
	s_add_u32 s4, s2, s4
	s_addc_u32 s5, s11, s5
	s_branch .LBB53_3
.LBB53_2:
	s_mov_b64 s[4:5], 0
.LBB53_3:
	s_add_i32 s2, s8, -1
	v_bfe_u32 v2, v0, 10, 10
	s_ashr_i32 s11, s2, 31
	s_delay_alu instid0(SALU_CYCLE_1) | instskip(NEXT) | instid1(SALU_CYCLE_1)
	s_lshr_b32 s11, s11, 27
	s_add_i32 s2, s2, s11
	s_delay_alu instid0(SALU_CYCLE_1) | instskip(NEXT) | instid1(SALU_CYCLE_1)
	s_ashr_i32 s2, s2, 5
	s_add_i32 s11, s2, 1
	s_not_b32 s2, s2
	v_cvt_f32_u32_e32 v1, s11
	s_delay_alu instid0(VALU_DEP_1) | instskip(SKIP_2) | instid1(VALU_DEP_1)
	v_rcp_iflag_f32_e32 v1, v1
	s_waitcnt_depctr 0xfff
	v_mul_f32_e32 v1, 0x4f7ffffe, v1
	v_cvt_u32_f32_e32 v1, v1
	s_delay_alu instid0(VALU_DEP_1) | instskip(SKIP_1) | instid1(VALU_DEP_2)
	v_readfirstlane_b32 s16, v1
	v_and_b32_e32 v1, 0x3ff, v0
	s_mul_i32 s2, s2, s16
	s_delay_alu instid0(SALU_CYCLE_1) | instskip(NEXT) | instid1(SALU_CYCLE_1)
	s_mul_hi_u32 s2, s16, s2
	s_add_i32 s16, s16, s2
	s_delay_alu instid0(SALU_CYCLE_1) | instskip(NEXT) | instid1(SALU_CYCLE_1)
	s_mul_hi_u32 s2, s14, s16
	s_mul_i32 s16, s2, s11
	s_add_i32 s17, s2, 1
	s_sub_i32 s16, s14, s16
	s_delay_alu instid0(SALU_CYCLE_1)
	s_sub_i32 s18, s16, s11
	s_cmp_ge_u32 s16, s11
	s_cselect_b32 s2, s17, s2
	s_cselect_b32 s16, s18, s16
	s_add_i32 s17, s2, 1
	s_cmp_ge_u32 s16, s11
	s_cselect_b32 s2, s17, s2
	s_delay_alu instid0(SALU_CYCLE_1) | instskip(SKIP_2) | instid1(SALU_CYCLE_1)
	s_mul_i32 s11, s2, s11
	v_lshl_add_u32 v3, s2, 5, v2
	s_sub_i32 s11, s14, s11
	v_lshl_add_u32 v0, s11, 5, v1
	s_delay_alu instid0(VALU_DEP_2) | instskip(NEXT) | instid1(VALU_DEP_2)
	v_cmp_gt_u32_e64 s2, s9, v3
	v_cmp_gt_u32_e32 vcc_lo, s8, v0
	s_mov_b32 s8, -1
	s_delay_alu instid0(VALU_DEP_2) | instskip(NEXT) | instid1(SALU_CYCLE_1)
	s_and_b32 s2, vcc_lo, s2
	s_and_saveexec_b32 s9, s2
	s_cbranch_execz .LBB53_10
; %bb.4:
	s_and_not1_b32 vcc_lo, exec_lo, s3
	s_cbranch_vccnz .LBB53_6
; %bb.5:
	v_mov_b32_e32 v2, 0
	s_mov_b32 s8, 0
	s_delay_alu instid0(VALU_DEP_1)
	v_mov_b32_e32 v1, v2
	s_branch .LBB53_7
.LBB53_6:
                                        ; implicit-def: $vgpr1_vgpr2
.LBB53_7:
	v_cndmask_b32_e64 v4, 0, 1, s8
	s_delay_alu instid0(VALU_DEP_1)
	v_cmp_ne_u32_e32 vcc_lo, 1, v4
	v_mov_b32_e32 v4, s8
	s_cbranch_vccnz .LBB53_9
; %bb.8:
	s_load_b32 s2, s[0:1], 0x20
	v_mov_b32_e32 v2, 0
	s_delay_alu instid0(VALU_DEP_1) | instskip(SKIP_1) | instid1(VALU_DEP_1)
	v_mov_b32_e32 v1, v2
	s_waitcnt lgkmcnt(0)
	v_mad_u64_u32 v[4:5], null, v3, s2, v[0:1]
	s_ashr_i32 s2, s2, 31
	s_delay_alu instid0(VALU_DEP_1) | instid1(SALU_CYCLE_1)
	v_mad_u64_u32 v[6:7], null, v3, s2, v[5:6]
	s_delay_alu instid0(VALU_DEP_1) | instskip(NEXT) | instid1(VALU_DEP_1)
	v_mov_b32_e32 v5, v6
	v_lshlrev_b64 v[4:5], 2, v[4:5]
	s_delay_alu instid0(VALU_DEP_1) | instskip(NEXT) | instid1(VALU_DEP_2)
	v_add_co_u32 v4, vcc_lo, s4, v4
	v_add_co_ci_u32_e32 v5, vcc_lo, s5, v5, vcc_lo
	flat_load_b32 v4, v[4:5]
	s_waitcnt vmcnt(0) lgkmcnt(0)
	v_mul_f32_e32 v4, s10, v4
.LBB53_9:
	s_clause 0x1
	s_load_b64 s[2:3], s[0:1], 0x48
	s_load_b32 s4, s[0:1], 0x40
	v_lshlrev_b64 v[0:1], 2, v[0:1]
	s_waitcnt lgkmcnt(0)
	s_mul_i32 s1, s15, s3
	s_mul_hi_u32 s3, s15, s2
	s_mul_i32 s0, s15, s2
	s_add_i32 s1, s3, s1
	v_mul_lo_u32 v2, v2, s4
	s_lshl_b64 s[0:1], s[0:1], 2
	v_mad_u64_u32 v[5:6], null, v3, s4, 0
	s_add_u32 s2, s6, s0
	s_addc_u32 s3, s7, s1
	s_lshl_b64 s[0:1], s[12:13], 2
	s_delay_alu instid0(SALU_CYCLE_1) | instskip(SKIP_2) | instid1(SALU_CYCLE_1)
	s_add_u32 s0, s2, s0
	s_addc_u32 s1, s3, s1
	s_ashr_i32 s2, s4, 31
	v_mul_lo_u32 v3, v3, s2
	s_delay_alu instid0(VALU_DEP_1) | instskip(NEXT) | instid1(VALU_DEP_1)
	v_add3_u32 v6, v6, v3, v2
	v_lshlrev_b64 v[2:3], 2, v[5:6]
	s_delay_alu instid0(VALU_DEP_1) | instskip(NEXT) | instid1(VALU_DEP_2)
	v_add_co_u32 v2, vcc_lo, s0, v2
	v_add_co_ci_u32_e32 v3, vcc_lo, s1, v3, vcc_lo
	s_delay_alu instid0(VALU_DEP_2) | instskip(NEXT) | instid1(VALU_DEP_2)
	v_add_co_u32 v0, vcc_lo, v2, v0
	v_add_co_ci_u32_e32 v1, vcc_lo, v3, v1, vcc_lo
	v_cmp_nlt_f32_e32 vcc_lo, 0, v4
	v_cndmask_b32_e32 v2, 0, v4, vcc_lo
	global_store_b32 v[0:1], v2, off
.LBB53_10:
	s_nop 0
	s_sendmsg sendmsg(MSG_DEALLOC_VGPRS)
	s_endpgm
	.section	.rodata,"a",@progbits
	.p2align	6, 0x0
	.amdhsa_kernel _ZN12_GLOBAL__N_120geam_ex_round_kernelILi32ELi32EffPKfPfEEviiT2_T3_lilT4_lil
		.amdhsa_group_segment_fixed_size 0
		.amdhsa_private_segment_fixed_size 0
		.amdhsa_kernarg_size 80
		.amdhsa_user_sgpr_count 14
		.amdhsa_user_sgpr_dispatch_ptr 0
		.amdhsa_user_sgpr_queue_ptr 0
		.amdhsa_user_sgpr_kernarg_segment_ptr 1
		.amdhsa_user_sgpr_dispatch_id 0
		.amdhsa_user_sgpr_private_segment_size 0
		.amdhsa_wavefront_size32 1
		.amdhsa_uses_dynamic_stack 0
		.amdhsa_enable_private_segment 0
		.amdhsa_system_sgpr_workgroup_id_x 1
		.amdhsa_system_sgpr_workgroup_id_y 0
		.amdhsa_system_sgpr_workgroup_id_z 1
		.amdhsa_system_sgpr_workgroup_info 0
		.amdhsa_system_vgpr_workitem_id 1
		.amdhsa_next_free_vgpr 8
		.amdhsa_next_free_sgpr 20
		.amdhsa_reserve_vcc 1
		.amdhsa_float_round_mode_32 0
		.amdhsa_float_round_mode_16_64 0
		.amdhsa_float_denorm_mode_32 3
		.amdhsa_float_denorm_mode_16_64 3
		.amdhsa_dx10_clamp 1
		.amdhsa_ieee_mode 1
		.amdhsa_fp16_overflow 0
		.amdhsa_workgroup_processor_mode 1
		.amdhsa_memory_ordered 1
		.amdhsa_forward_progress 0
		.amdhsa_shared_vgpr_count 0
		.amdhsa_exception_fp_ieee_invalid_op 0
		.amdhsa_exception_fp_denorm_src 0
		.amdhsa_exception_fp_ieee_div_zero 0
		.amdhsa_exception_fp_ieee_overflow 0
		.amdhsa_exception_fp_ieee_underflow 0
		.amdhsa_exception_fp_ieee_inexact 0
		.amdhsa_exception_int_div_zero 0
	.end_amdhsa_kernel
	.section	.text._ZN12_GLOBAL__N_120geam_ex_round_kernelILi32ELi32EffPKfPfEEviiT2_T3_lilT4_lil,"axG",@progbits,_ZN12_GLOBAL__N_120geam_ex_round_kernelILi32ELi32EffPKfPfEEviiT2_T3_lilT4_lil,comdat
.Lfunc_end53:
	.size	_ZN12_GLOBAL__N_120geam_ex_round_kernelILi32ELi32EffPKfPfEEviiT2_T3_lilT4_lil, .Lfunc_end53-_ZN12_GLOBAL__N_120geam_ex_round_kernelILi32ELi32EffPKfPfEEviiT2_T3_lilT4_lil
                                        ; -- End function
	.section	.AMDGPU.csdata,"",@progbits
; Kernel info:
; codeLenInByte = 668
; NumSgprs: 22
; NumVgprs: 8
; ScratchSize: 0
; MemoryBound: 0
; FloatMode: 240
; IeeeMode: 1
; LDSByteSize: 0 bytes/workgroup (compile time only)
; SGPRBlocks: 2
; VGPRBlocks: 0
; NumSGPRsForWavesPerEU: 22
; NumVGPRsForWavesPerEU: 8
; Occupancy: 16
; WaveLimiterHint : 0
; COMPUTE_PGM_RSRC2:SCRATCH_EN: 0
; COMPUTE_PGM_RSRC2:USER_SGPR: 14
; COMPUTE_PGM_RSRC2:TRAP_HANDLER: 0
; COMPUTE_PGM_RSRC2:TGID_X_EN: 1
; COMPUTE_PGM_RSRC2:TGID_Y_EN: 0
; COMPUTE_PGM_RSRC2:TGID_Z_EN: 1
; COMPUTE_PGM_RSRC2:TIDIG_COMP_CNT: 1
	.section	.text._ZN12_GLOBAL__N_120geam_min_plus_kernelIf15HIP_vector_typeIfLj2EEfLi32ELi8ELi256ELi64ELi4ELi64ELi4ELi4ELi64ELc78ELc78ELb0ELb0ELb1EPKfS3_fEEviiiT16_PT17_ilS7_ilS5_S7_ilPT18_ili26rocblas_geam_ex_operation_,"axG",@progbits,_ZN12_GLOBAL__N_120geam_min_plus_kernelIf15HIP_vector_typeIfLj2EEfLi32ELi8ELi256ELi64ELi4ELi64ELi4ELi4ELi64ELc78ELc78ELb0ELb0ELb1EPKfS3_fEEviiiT16_PT17_ilS7_ilS5_S7_ilPT18_ili26rocblas_geam_ex_operation_,comdat
	.globl	_ZN12_GLOBAL__N_120geam_min_plus_kernelIf15HIP_vector_typeIfLj2EEfLi32ELi8ELi256ELi64ELi4ELi64ELi4ELi4ELi64ELc78ELc78ELb0ELb0ELb1EPKfS3_fEEviiiT16_PT17_ilS7_ilS5_S7_ilPT18_ili26rocblas_geam_ex_operation_ ; -- Begin function _ZN12_GLOBAL__N_120geam_min_plus_kernelIf15HIP_vector_typeIfLj2EEfLi32ELi8ELi256ELi64ELi4ELi64ELi4ELi4ELi64ELc78ELc78ELb0ELb0ELb1EPKfS3_fEEviiiT16_PT17_ilS7_ilS5_S7_ilPT18_ili26rocblas_geam_ex_operation_
	.p2align	8
	.type	_ZN12_GLOBAL__N_120geam_min_plus_kernelIf15HIP_vector_typeIfLj2EEfLi32ELi8ELi256ELi64ELi4ELi64ELi4ELi4ELi64ELc78ELc78ELb0ELb0ELb1EPKfS3_fEEviiiT16_PT17_ilS7_ilS5_S7_ilPT18_ili26rocblas_geam_ex_operation_,@function
_ZN12_GLOBAL__N_120geam_min_plus_kernelIf15HIP_vector_typeIfLj2EEfLi32ELi8ELi256ELi64ELi4ELi64ELi4ELi4ELi64ELc78ELc78ELb0ELb0ELb1EPKfS3_fEEviiiT16_PT17_ilS7_ilS5_S7_ilPT18_ili26rocblas_geam_ex_operation_: ; @_ZN12_GLOBAL__N_120geam_min_plus_kernelIf15HIP_vector_typeIfLj2EEfLi32ELi8ELi256ELi64ELi4ELi64ELi4ELi4ELi64ELc78ELc78ELb0ELb0ELb1EPKfS3_fEEviiiT16_PT17_ilS7_ilS5_S7_ilPT18_ili26rocblas_geam_ex_operation_
; %bb.0:
	s_clause 0x1
	s_load_b128 s[16:19], s[0:1], 0x10
	s_load_b128 s[4:7], s[0:1], 0x28
	s_mov_b32 s12, s15
	s_mov_b32 s13, 0
	s_delay_alu instid0(SALU_CYCLE_1)
	s_lshl_b64 s[2:3], s[12:13], 2
	s_waitcnt lgkmcnt(0)
	s_add_u32 s8, s16, s2
	s_addc_u32 s9, s17, s3
	s_mov_b64 s[16:17], 0
	s_load_b32 s22, s[8:9], 0x0
	s_clause 0x1
	s_load_b128 s[8:11], s[0:1], 0x40
	s_load_b64 s[20:21], s[0:1], 0x50
	s_waitcnt lgkmcnt(0)
	v_cmp_eq_f32_e64 s13, s22, 0
	v_cmp_neq_f32_e64 s15, s22, 0
	s_add_u32 s2, s10, s2
	s_addc_u32 s3, s11, s3
	s_mov_b64 s[10:11], 0
	s_and_b32 vcc_lo, exec_lo, s13
	s_cbranch_vccnz .LBB54_2
; %bb.1:
	s_mul_i32 s5, s12, s5
	s_mul_hi_u32 s10, s12, s4
	s_mul_i32 s4, s12, s4
	s_add_i32 s5, s10, s5
	s_delay_alu instid0(SALU_CYCLE_1) | instskip(NEXT) | instid1(SALU_CYCLE_1)
	s_lshl_b64 s[4:5], s[4:5], 2
	s_add_u32 s10, s18, s4
	s_addc_u32 s11, s19, s5
.LBB54_2:
	s_load_b32 s13, s[2:3], 0x0
	v_cndmask_b32_e64 v1, 0, 1, s15
	s_and_not1_b32 vcc_lo, exec_lo, s15
	s_delay_alu instid0(VALU_DEP_1)
	v_cmp_ne_u32_e64 s3, 1, v1
	s_cbranch_vccnz .LBB54_4
; %bb.3:
	s_mul_i32 s2, s12, s9
	s_mul_hi_u32 s4, s12, s8
	s_delay_alu instid0(SALU_CYCLE_1) | instskip(SKIP_1) | instid1(SALU_CYCLE_1)
	s_add_i32 s5, s4, s2
	s_mul_i32 s4, s12, s8
	s_lshl_b64 s[4:5], s[4:5], 2
	s_delay_alu instid0(SALU_CYCLE_1)
	s_add_u32 s16, s6, s4
	s_addc_u32 s17, s7, s5
.LBB54_4:
	s_load_b128 s[4:7], s[0:1], 0x60
	s_waitcnt lgkmcnt(0)
	v_cmp_eq_f32_e64 s2, s13, 0
	s_delay_alu instid0(VALU_DEP_1) | instskip(NEXT) | instid1(SALU_CYCLE_1)
	s_and_b32 s2, exec_lo, s2
	s_mov_b32 vcc_lo, s2
	s_cbranch_vccnz .LBB54_6
; %bb.5:
	s_mul_i32 s5, s12, s5
	s_mul_hi_u32 s8, s12, s4
	s_mul_i32 s4, s12, s4
	s_add_i32 s5, s8, s5
	s_delay_alu instid0(SALU_CYCLE_1) | instskip(NEXT) | instid1(SALU_CYCLE_1)
	s_lshl_b64 s[4:5], s[4:5], 2
	s_add_u32 s4, s20, s4
	s_addc_u32 s5, s21, s5
	s_branch .LBB54_7
.LBB54_6:
	s_mov_b64 s[4:5], 0
.LBB54_7:
	s_clause 0x1
	s_load_b32 s9, s[0:1], 0x0
	s_load_b32 s8, s[0:1], 0x20
	v_and_b32_e32 v17, 0x3ff, v0
	v_bfe_u32 v150, v0, 10, 10
	s_delay_alu instid0(VALU_DEP_1) | instskip(NEXT) | instid1(VALU_DEP_1)
	v_lshl_add_u32 v6, v150, 5, v17
	v_lshrrev_b32_e32 v13, 6, v6
	v_and_b32_e32 v14, 63, v6
	s_waitcnt lgkmcnt(0)
	s_add_i32 s9, s9, -1
	s_delay_alu instid0(SALU_CYCLE_1) | instskip(NEXT) | instid1(SALU_CYCLE_1)
	s_ashr_i32 s15, s9, 31
	s_lshr_b32 s15, s15, 24
	s_delay_alu instid0(SALU_CYCLE_1) | instskip(NEXT) | instid1(SALU_CYCLE_1)
	s_add_i32 s9, s9, s15
	s_ashr_i32 s9, s9, 8
	s_delay_alu instid0(SALU_CYCLE_1) | instskip(SKIP_2) | instid1(VALU_DEP_1)
	s_add_i32 s15, s9, 1
	s_not_b32 s9, s9
	v_cvt_f32_u32_e32 v1, s15
	v_rcp_iflag_f32_e32 v1, v1
	s_waitcnt_depctr 0xfff
	v_mul_f32_e32 v1, 0x4f7ffffe, v1
	s_delay_alu instid0(VALU_DEP_1) | instskip(NEXT) | instid1(VALU_DEP_1)
	v_cvt_u32_f32_e32 v1, v1
	v_readfirstlane_b32 s18, v1
	v_mad_i64_i32 v[0:1], null, s8, v13, 0
	s_delay_alu instid0(VALU_DEP_2) | instskip(NEXT) | instid1(SALU_CYCLE_1)
	s_mul_i32 s9, s9, s18
	s_mul_hi_u32 s9, s18, s9
	s_delay_alu instid0(VALU_DEP_1) | instskip(SKIP_3) | instid1(SALU_CYCLE_1)
	v_lshlrev_b64 v[1:2], 2, v[0:1]
	s_add_i32 s18, s18, s9
	s_ashr_i32 s9, s8, 31
	s_mul_hi_u32 s18, s14, s18
	s_mul_i32 s19, s18, s15
	s_add_i32 s20, s18, 1
	s_sub_i32 s19, s14, s19
	v_add_co_u32 v4, vcc_lo, s10, v1
	s_sub_i32 s21, s19, s15
	s_cmp_ge_u32 s19, s15
	v_add_co_ci_u32_e32 v5, vcc_lo, s11, v2, vcc_lo
	s_cselect_b32 s18, s20, s18
	s_cselect_b32 s19, s21, s19
	s_add_i32 s20, s18, 1
	s_cmp_ge_u32 s19, s15
	s_cselect_b32 s18, s20, s18
	s_and_b32 vcc_lo, exec_lo, s3
	s_mul_i32 s19, s18, s15
	s_delay_alu instid0(SALU_CYCLE_1) | instskip(NEXT) | instid1(SALU_CYCLE_1)
	s_sub_i32 s15, s14, s19
	s_lshl_b32 s15, s15, 8
	s_delay_alu instid0(SALU_CYCLE_1) | instskip(NEXT) | instid1(VALU_DEP_1)
	v_or_b32_e32 v0, s15, v14
	v_ashrrev_i32_e32 v1, 31, v0
	s_cbranch_vccnz .LBB54_10
; %bb.8:
	s_delay_alu instid0(VALU_DEP_1) | instskip(NEXT) | instid1(VALU_DEP_1)
	v_lshlrev_b64 v[2:3], 2, v[0:1]
	v_add_co_u32 v2, vcc_lo, v4, v2
	s_delay_alu instid0(VALU_DEP_2)
	v_add_co_ci_u32_e32 v3, vcc_lo, v5, v3, vcc_lo
	s_clause 0x1
	flat_load_b32 v7, v[2:3]
	flat_load_b32 v3, v[2:3] offset:256
	s_waitcnt vmcnt(1) lgkmcnt(1)
	v_mul_f32_e32 v2, s22, v7
	s_waitcnt vmcnt(0) lgkmcnt(0)
	v_mul_f32_e32 v3, s22, v3
	s_and_b32 vcc_lo, exec_lo, s3
	s_cbranch_vccnz .LBB54_11
.LBB54_9:
	v_lshlrev_b64 v[7:8], 2, v[0:1]
	s_delay_alu instid0(VALU_DEP_1) | instskip(NEXT) | instid1(VALU_DEP_2)
	v_add_co_u32 v4, vcc_lo, v4, v7
	v_add_co_ci_u32_e32 v5, vcc_lo, v5, v8, vcc_lo
	s_clause 0x1
	flat_load_b32 v7, v[4:5] offset:512
	flat_load_b32 v5, v[4:5] offset:768
	s_waitcnt vmcnt(0) lgkmcnt(0)
	v_dual_mul_f32 v4, s22, v7 :: v_dual_mul_f32 v5, s22, v5
	s_branch .LBB54_12
.LBB54_10:
	v_dual_mov_b32 v2, 0 :: v_dual_mov_b32 v3, 0
	s_and_b32 vcc_lo, exec_lo, s3
	s_cbranch_vccz .LBB54_9
.LBB54_11:
	v_dual_mov_b32 v4, 0 :: v_dual_mov_b32 v5, 0
.LBB54_12:
	s_load_b32 s20, s[0:1], 0x38
	v_lshrrev_b32_e32 v6, 2, v6
	v_and_b32_e32 v7, 3, v17
	s_lshl_b32 s18, s18, 6
	s_and_b32 vcc_lo, exec_lo, s3
	s_delay_alu instid0(VALU_DEP_2) | instskip(NEXT) | instid1(VALU_DEP_2)
	v_add_nc_u32_e32 v18, s18, v6
	v_lshlrev_b32_e32 v15, 2, v7
	s_cbranch_vccnz .LBB54_14
; %bb.13:
	s_waitcnt lgkmcnt(0)
	s_delay_alu instid0(VALU_DEP_2) | instskip(NEXT) | instid1(VALU_DEP_1)
	v_mad_i64_i32 v[7:8], null, v18, s20, 0
	v_lshlrev_b64 v[7:8], 2, v[7:8]
	s_delay_alu instid0(VALU_DEP_1) | instskip(NEXT) | instid1(VALU_DEP_2)
	v_add_co_u32 v7, vcc_lo, s16, v7
	v_add_co_ci_u32_e32 v8, vcc_lo, s17, v8, vcc_lo
	s_delay_alu instid0(VALU_DEP_2) | instskip(NEXT) | instid1(VALU_DEP_2)
	v_add_co_u32 v7, vcc_lo, v7, v15
	v_add_co_ci_u32_e32 v8, vcc_lo, 0, v8, vcc_lo
	flat_load_b32 v7, v[7:8]
	s_waitcnt vmcnt(0) lgkmcnt(0)
	v_mul_f32_e32 v7, s22, v7
	s_branch .LBB54_15
.LBB54_14:
	v_mov_b32_e32 v7, 0
.LBB54_15:
	v_add_nc_u32_e32 v10, 4, v13
	s_delay_alu instid0(VALU_DEP_1) | instskip(NEXT) | instid1(VALU_DEP_1)
	v_mad_i64_i32 v[8:9], null, s8, v10, 0
	v_lshlrev_b64 v[8:9], 2, v[8:9]
	s_delay_alu instid0(VALU_DEP_1) | instskip(NEXT) | instid1(VALU_DEP_2)
	v_add_co_u32 v8, vcc_lo, s10, v8
	v_add_co_ci_u32_e32 v9, vcc_lo, s11, v9, vcc_lo
	s_and_b32 vcc_lo, exec_lo, s3
	s_cbranch_vccnz .LBB54_19
; %bb.16:
	v_lshlrev_b64 v[10:11], 2, v[0:1]
	s_delay_alu instid0(VALU_DEP_1) | instskip(NEXT) | instid1(VALU_DEP_2)
	v_add_co_u32 v10, vcc_lo, v8, v10
	v_add_co_ci_u32_e32 v11, vcc_lo, v9, v11, vcc_lo
	s_clause 0x1
	flat_load_b32 v12, v[10:11]
	flat_load_b32 v10, v[10:11] offset:256
	s_waitcnt vmcnt(0) lgkmcnt(0)
	v_dual_mul_f32 v11, s22, v12 :: v_dual_mul_f32 v10, s22, v10
	scratch_store_b32 off, v11, off         ; 4-byte Folded Spill
	s_and_b32 vcc_lo, exec_lo, s3
	scratch_store_b32 off, v10, off offset:4 ; 4-byte Folded Spill
	s_cbranch_vccnz .LBB54_20
.LBB54_17:
	v_lshlrev_b64 v[0:1], 2, v[0:1]
	s_delay_alu instid0(VALU_DEP_1) | instskip(NEXT) | instid1(VALU_DEP_2)
	v_add_co_u32 v0, vcc_lo, v8, v0
	v_add_co_ci_u32_e32 v1, vcc_lo, v9, v1, vcc_lo
	s_clause 0x1
	flat_load_b32 v8, v[0:1] offset:512
	flat_load_b32 v0, v[0:1] offset:768
	s_waitcnt vmcnt(1) lgkmcnt(0)
	v_mul_f32_e32 v1, s22, v8
	s_waitcnt vmcnt(0)
	v_mul_f32_e32 v0, s22, v0
	scratch_store_b32 off, v1, off offset:8 ; 4-byte Folded Spill
	s_and_b32 vcc_lo, exec_lo, s3
	s_clause 0x1
	scratch_store_b32 off, v0, off offset:12
	scratch_store_b32 off, v18, off offset:60
	s_cbranch_vccnz .LBB54_21
.LBB54_18:
	s_waitcnt lgkmcnt(0)
	v_mad_i64_i32 v[0:1], null, v18, s20, 0
	s_delay_alu instid0(VALU_DEP_1) | instskip(NEXT) | instid1(VALU_DEP_1)
	v_lshlrev_b64 v[0:1], 2, v[0:1]
	v_add_co_u32 v0, vcc_lo, s16, v0
	s_delay_alu instid0(VALU_DEP_2) | instskip(NEXT) | instid1(VALU_DEP_2)
	v_add_co_ci_u32_e32 v1, vcc_lo, s17, v1, vcc_lo
	v_add_co_u32 v0, vcc_lo, v0, v15
	s_delay_alu instid0(VALU_DEP_2)
	v_add_co_ci_u32_e32 v1, vcc_lo, 0, v1, vcc_lo
	flat_load_b32 v0, v[0:1] offset:16
	s_waitcnt vmcnt(0) lgkmcnt(0)
	v_mul_f32_e32 v0, s22, v0
	s_branch .LBB54_22
.LBB54_19:
	v_mov_b32_e32 v10, 0
	scratch_store_b32 off, v10, off         ; 4-byte Folded Spill
	v_mov_b32_e32 v10, 0
	s_and_b32 vcc_lo, exec_lo, s3
	scratch_store_b32 off, v10, off offset:4 ; 4-byte Folded Spill
	s_cbranch_vccz .LBB54_17
.LBB54_20:
	v_mov_b32_e32 v0, 0
	scratch_store_b32 off, v0, off offset:8 ; 4-byte Folded Spill
	v_mov_b32_e32 v0, 0
	s_and_b32 vcc_lo, exec_lo, s3
	s_clause 0x1
	scratch_store_b32 off, v0, off offset:12
	scratch_store_b32 off, v18, off offset:60
	s_cbranch_vccz .LBB54_18
.LBB54_21:
	v_mov_b32_e32 v0, 0
.LBB54_22:
	v_lshl_or_b32 v1, v6, 4, v15
	scratch_store_b32 off, v0, off offset:16 ; 4-byte Folded Spill
	v_lshlrev_b32_e32 v0, 2, v13
	v_lshlrev_b32_e32 v201, 4, v150
	v_lshlrev_b32_e32 v73, 4, v17
	scratch_store_b32 off, v1, off offset:20 ; 4-byte Folded Spill
	s_load_b32 s21, s[0:1], 0x8
	v_lshl_add_u32 v74, v14, 4, v0
	ds_store_b32 v1, v7 offset:8192
	ds_store_2addr_stride64_b32 v74, v2, v3 offset1:4
	ds_store_2addr_stride64_b32 v74, v4, v5 offset0:8 offset1:12
	s_waitcnt lgkmcnt(0)
	s_waitcnt_vscnt null, 0x0
	s_barrier
	buffer_gl0_inv
	ds_load_b128 v[26:29], v201 offset:8192
	ds_load_b128 v[0:3], v73
	s_clause 0x2
	scratch_store_b32 off, v13, off offset:64
	scratch_store_b32 off, v14, off offset:72
	;; [unrolled: 1-line block ×3, first 2 shown]
	s_cmp_lt_i32 s21, 9
	s_waitcnt lgkmcnt(0)
	v_add_f32_e32 v144, v0, v26
	v_add_f32_e32 v18, v1, v27
	ds_load_b128 v[12:15], v73 offset:512
	ds_load_b128 v[8:11], v73 offset:1024
	;; [unrolled: 1-line block ×4, first 2 shown]
	v_add_f32_e32 v146, v3, v29
	v_add_f32_e32 v128, v2, v28
	scratch_store_b32 off, v18, off offset:28 ; 4-byte Folded Spill
	s_waitcnt lgkmcnt(3)
	v_dual_add_f32 v18, v13, v27 :: v_dual_add_f32 v135, v15, v29
	v_add_f32_e32 v83, v14, v28
	s_waitcnt lgkmcnt(1)
	v_dual_add_f32 v145, v8, v26 :: v_dual_add_f32 v130, v7, v29
	s_waitcnt lgkmcnt(0)
	v_add_f32_e32 v91, v9, v31
	scratch_store_b32 off, v18, off offset:32 ; 4-byte Folded Spill
	v_add_f32_e32 v18, v9, v27
	v_dual_add_f32 v87, v1, v31 :: v_dual_add_f32 v88, v0, v30
	v_add_f32_e32 v105, v15, v33
	v_add_f32_e32 v89, v13, v31
	scratch_store_b32 off, v18, off offset:36 ; 4-byte Folded Spill
	v_add_f32_e32 v18, v5, v27
	v_dual_add_f32 v90, v12, v30 :: v_dual_add_f32 v107, v11, v33
	v_dual_add_f32 v92, v8, v30 :: v_dual_add_f32 v109, v7, v33
	scratch_store_b32 off, v18, off offset:40 ; 4-byte Folded Spill
	v_add_f32_e32 v18, v4, v26
	v_add_f32_e32 v104, v2, v32
	;; [unrolled: 1-line block ×3, first 2 shown]
	v_dual_add_f32 v108, v10, v32 :: v_dual_add_f32 v129, v11, v29
	scratch_store_b32 off, v18, off offset:44 ; 4-byte Folded Spill
	ds_load_b128 v[34:37], v73 offset:2048
	ds_load_b128 v[38:41], v73 offset:2560
	v_dual_add_f32 v142, v12, v26 :: v_dual_add_f32 v93, v5, v31
	v_add_f32_e32 v94, v4, v30
	v_add_f32_e32 v110, v6, v32
	v_add_f32_e32 v81, v10, v28
	v_add_f32_e32 v85, v6, v28
	v_add_f32_e32 v103, v3, v33
	s_waitcnt lgkmcnt(0)
	v_dual_add_f32 v131, v37, v29 :: v_dual_add_f32 v18, v39, v27
	v_dual_add_f32 v143, v35, v27 :: v_dual_add_f32 v140, v34, v26
	v_add_f32_e32 v80, v36, v28
	v_dual_add_f32 v132, v41, v29 :: v_dual_add_f32 v95, v35, v31
	scratch_store_b32 off, v18, off offset:48 ; 4-byte Folded Spill
	v_add_f32_e32 v18, v38, v26
	v_dual_add_f32 v82, v40, v28 :: v_dual_add_f32 v97, v39, v31
	v_dual_add_f32 v96, v34, v30 :: v_dual_add_f32 v113, v41, v33
	scratch_store_b32 off, v18, off offset:52 ; 4-byte Folded Spill
	ds_load_b128 v[42:45], v73 offset:3072
	ds_load_b128 v[46:49], v73 offset:3584
	v_dual_add_f32 v98, v38, v30 :: v_dual_add_f32 v111, v37, v33
	v_add_f32_e32 v112, v36, v32
	s_waitcnt lgkmcnt(1)
	v_dual_add_f32 v114, v40, v32 :: v_dual_add_f32 v141, v43, v27
	s_waitcnt lgkmcnt(0)
	v_dual_add_f32 v18, v47, v27 :: v_dual_add_f32 v137, v42, v26
	v_dual_add_f32 v136, v46, v26 :: v_dual_add_f32 v133, v45, v29
	;; [unrolled: 1-line block ×3, first 2 shown]
	scratch_store_b32 off, v18, off offset:56 ; 4-byte Folded Spill
	v_dual_add_f32 v134, v49, v29 :: v_dual_add_f32 v101, v47, v31
	v_add_f32_e32 v86, v48, v28
	v_dual_add_f32 v100, v42, v30 :: v_dual_add_f32 v117, v49, v33
	v_dual_add_f32 v102, v46, v30 :: v_dual_add_f32 v115, v45, v33
	v_add_f32_e32 v116, v44, v32
	v_add_f32_e32 v118, v48, v32
	ds_load_b128 v[26:29], v201 offset:8448
	ds_load_b128 v[30:33], v201 offset:8576
	s_waitcnt lgkmcnt(1)
	v_add_f32_e32 v151, v42, v26
	v_dual_add_f32 v119, v1, v27 :: v_dual_add_f32 v120, v0, v26
	v_add_f32_e32 v127, v2, v28
	v_dual_add_f32 v121, v13, v27 :: v_dual_add_f32 v122, v12, v26
	;; [unrolled: 2-line block ×4, first 2 shown]
	v_add_f32_e32 v159, v6, v28
	v_add_f32_e32 v139, v35, v27
	v_dual_add_f32 v147, v34, v26 :: v_dual_add_f32 v78, v39, v27
	v_add_f32_e32 v153, v46, v26
	v_add_f32_e32 v149, v38, v26
	;; [unrolled: 1-line block ×3, first 2 shown]
	v_dual_add_f32 v152, v47, v27 :: v_dual_add_f32 v161, v36, v28
	v_dual_add_f32 v126, v3, v29 :: v_dual_add_f32 v163, v40, v28
	;; [unrolled: 1-line block ×4, first 2 shown]
	s_waitcnt lgkmcnt(0)
	v_dual_add_f32 v158, v7, v29 :: v_dual_add_f32 v169, v0, v30
	v_dual_add_f32 v160, v37, v29 :: v_dual_add_f32 v171, v12, v30
	;; [unrolled: 1-line block ×16, first 2 shown]
	v_add_f32_e32 v190, v7, v33
	v_add_f32_e32 v192, v37, v33
	;; [unrolled: 1-line block ×5, first 2 shown]
	ds_load_b128 v[26:29], v201 offset:8704
	ds_load_b128 v[30:33], v201 offset:8832
	scratch_store_b32 off, v17, off offset:24 ; 4-byte Folded Spill
	s_waitcnt lgkmcnt(1)
	v_dual_add_f32 v211, v38, v26 :: v_dual_add_f32 v200, v1, v27
	v_add_f32_e32 v213, v42, v26
	v_dual_add_f32 v148, v0, v26 :: v_dual_add_f32 v217, v2, v28
	v_dual_add_f32 v202, v13, v27 :: v_dual_add_f32 v215, v46, v26
	;; [unrolled: 1-line block ×3, first 2 shown]
	v_add_f32_e32 v219, v14, v28
	v_dual_add_f32 v205, v8, v26 :: v_dual_add_f32 v206, v5, v27
	v_add_f32_e32 v221, v10, v28
	v_dual_add_f32 v207, v4, v26 :: v_dual_add_f32 v208, v35, v27
	;; [unrolled: 2-line block ×3, first 2 shown]
	v_dual_add_f32 v225, v36, v28 :: v_dual_add_f32 v212, v43, v27
	v_dual_add_f32 v227, v40, v28 :: v_dual_add_f32 v214, v47, v27
	v_dual_add_f32 v229, v44, v28 :: v_dual_add_f32 v216, v3, v29
	v_dual_add_f32 v231, v48, v28 :: v_dual_add_f32 v218, v15, v29
	s_waitcnt lgkmcnt(0)
	v_dual_add_f32 v233, v0, v30 :: v_dual_add_f32 v220, v11, v29
	v_dual_add_f32 v235, v12, v30 :: v_dual_add_f32 v222, v7, v29
	;; [unrolled: 1-line block ×14, first 2 shown]
	v_add_f32_e32 v69, v45, v33
	v_dual_add_f32 v248, v3, v33 :: v_dual_add_f32 v67, v44, v32
	v_add_f32_e32 v250, v15, v33
	v_add_f32_e32 v252, v11, v33
	;; [unrolled: 1-line block ×7, first 2 shown]
	ds_load_b128 v[26:29], v201 offset:8960
	ds_load_b128 v[30:33], v201 offset:9088
	s_waitcnt lgkmcnt(1)
	v_add_f32_e32 v61, v43, v27
	v_dual_add_f32 v52, v1, v27 :: v_dual_add_f32 v21, v42, v26
	v_add_f32_e32 v54, v0, v26
	v_dual_add_f32 v22, v12, v26 :: v_dual_add_f32 v65, v11, v29
	v_add_f32_e32 v53, v8, v26
	v_add_f32_e32 v57, v4, v26
	v_dual_add_f32 v60, v34, v26 :: v_dual_add_f32 v199, v37, v29
	v_add_f32_e32 v59, v38, v26
	v_dual_add_f32 v26, v46, v26 :: v_dual_add_f32 v17, v40, v28
	s_waitcnt lgkmcnt(0)
	v_add_f32_e32 v0, v0, v30
	v_dual_add_f32 v12, v12, v30 :: v_dual_add_f32 v37, v37, v33
	v_add_f32_e32 v8, v8, v30
	v_add_f32_e32 v4, v4, v30
	;; [unrolled: 1-line block ×6, first 2 shown]
	scratch_load_b32 v46, off, off offset:28 ; 4-byte Folded Reload
	v_dual_add_f32 v56, v13, v27 :: v_dual_add_f32 v63, v14, v28
	v_add_f32_e32 v51, v9, v27
	v_add_f32_e32 v55, v5, v27
	v_dual_add_f32 v58, v35, v27 :: v_dual_add_f32 v25, v10, v28
	v_add_f32_e32 v23, v39, v27
	v_add_f32_e32 v27, v47, v27
	v_dual_add_f32 v24, v3, v29 :: v_dual_add_f32 v1, v1, v31
	v_dual_add_f32 v64, v15, v29 :: v_dual_add_f32 v13, v13, v31
	;; [unrolled: 1-line block ×3, first 2 shown]
	v_add_f32_e32 v72, v6, v28
	v_dual_add_f32 v20, v41, v29 :: v_dual_add_f32 v35, v35, v31
	v_dual_add_f32 v14, v14, v32 :: v_dual_add_f32 v39, v39, v31
	;; [unrolled: 1-line block ×7, first 2 shown]
	v_add_f32_e32 v7, v7, v33
	v_min3_f32 v0, v0, v1, 0x7f7fffff
	v_dual_add_f32 v18, v44, v28 :: v_dual_add_f32 v15, v15, v33
	v_dual_add_f32 v28, v48, v28 :: v_dual_add_f32 v11, v11, v33
	v_add_f32_e32 v41, v41, v33
	v_dual_add_f32 v45, v45, v33 :: v_dual_add_f32 v36, v36, v32
	v_dual_add_f32 v33, v49, v33 :: v_dual_add_f32 v40, v40, v32
	v_add_f32_e32 v44, v44, v32
	v_add_f32_e32 v32, v48, v32
	v_min3_f32 v22, v22, v56, 0x7f7fffff
	v_add_f32_e32 v29, v49, v29
	s_waitcnt vmcnt(0)
	v_min3_f32 v46, v144, v46, 0x7f7fffff
	s_delay_alu instid0(VALU_DEP_1) | instskip(SKIP_3) | instid1(VALU_DEP_1)
	v_min3_f32 v146, v128, v146, v46
	scratch_load_b32 v46, off, off offset:32 ; 4-byte Folded Reload
	s_waitcnt vmcnt(0)
	v_min3_f32 v46, v142, v46, 0x7f7fffff
	v_min3_f32 v144, v83, v135, v46
	scratch_load_b32 v46, off, off offset:36 ; 4-byte Folded Reload
	s_waitcnt vmcnt(0)
	v_min3_f32 v46, v145, v46, 0x7f7fffff
	s_delay_alu instid0(VALU_DEP_1)
	v_min3_f32 v145, v81, v129, v46
	s_clause 0x1
	scratch_load_b32 v46, off, off offset:40
	scratch_load_b32 v47, off, off offset:44
	s_waitcnt vmcnt(0)
	v_min3_f32 v46, v47, v46, 0x7f7fffff
	s_delay_alu instid0(VALU_DEP_1) | instskip(SKIP_1) | instid1(VALU_DEP_1)
	v_min3_f32 v142, v85, v130, v46
	v_min3_f32 v46, v140, v143, 0x7f7fffff
	;; [unrolled: 1-line block ×3, first 2 shown]
	s_clause 0x1
	scratch_load_b32 v46, off, off offset:48
	scratch_load_b32 v47, off, off offset:52
	s_waitcnt vmcnt(0)
	v_min3_f32 v46, v47, v46, 0x7f7fffff
	s_delay_alu instid0(VALU_DEP_1) | instskip(SKIP_1) | instid1(VALU_DEP_1)
	v_min3_f32 v140, v82, v132, v46
	v_min3_f32 v46, v137, v141, 0x7f7fffff
	;; [unrolled: 1-line block ×3, first 2 shown]
	scratch_load_b32 v46, off, off offset:56 ; 4-byte Folded Reload
	s_waitcnt vmcnt(0)
	v_min3_f32 v46, v136, v46, 0x7f7fffff
	s_delay_alu instid0(VALU_DEP_1)
	v_min3_f32 v137, v86, v134, v46
	v_min3_f32 v46, v88, v87, 0x7f7fffff
	;; [unrolled: 1-line block ×4, first 2 shown]
	scratch_load_b32 v3, off, off offset:20 ; 4-byte Folded Reload
	v_min3_f32 v136, v104, v103, v46
	v_min3_f32 v46, v90, v89, 0x7f7fffff
	;; [unrolled: 1-line block ×4, first 2 shown]
	s_delay_alu instid0(VALU_DEP_3) | instskip(SKIP_1) | instid1(VALU_DEP_3)
	v_min3_f32 v134, v106, v105, v46
	v_min3_f32 v46, v92, v91, 0x7f7fffff
	;; [unrolled: 1-line block ×4, first 2 shown]
	s_delay_alu instid0(VALU_DEP_3) | instskip(SKIP_1) | instid1(VALU_DEP_3)
	v_min3_f32 v135, v108, v107, v46
	v_min3_f32 v46, v94, v93, 0x7f7fffff
	;; [unrolled: 1-line block ×27, first 2 shown]
	s_clause 0x1
	scratch_load_b32 v0, off, off
	scratch_load_b32 v1, off, off offset:4
	v_min3_f32 v89, v17, v20, v16
	v_min3_f32 v16, v21, v61, 0x7f7fffff
	;; [unrolled: 1-line block ×4, first 2 shown]
	s_delay_alu instid0(VALU_DEP_3) | instskip(SKIP_1) | instid1(VALU_DEP_3)
	v_min3_f32 v90, v18, v19, v16
	v_min3_f32 v16, v26, v27, 0x7f7fffff
	;; [unrolled: 1-line block ×4, first 2 shown]
	s_delay_alu instid0(VALU_DEP_3) | instskip(NEXT) | instid1(VALU_DEP_2)
	v_min3_f32 v87, v28, v29, v16
	v_min3_f32 v127, v155, v154, v46
	v_min3_f32 v46, v124, v123, 0x7f7fffff
	s_delay_alu instid0(VALU_DEP_1) | instskip(SKIP_1) | instid1(VALU_DEP_1)
	v_min3_f32 v126, v157, v156, v46
	v_min3_f32 v46, v138, v125, 0x7f7fffff
	v_min3_f32 v124, v159, v158, v46
	v_min3_f32 v46, v147, v139, 0x7f7fffff
	s_delay_alu instid0(VALU_DEP_1) | instskip(SKIP_1) | instid1(VALU_DEP_1)
	v_min3_f32 v125, v161, v160, v46
	;; [unrolled: 5-line block ×15, first 2 shown]
	v_min3_f32 v46, v247, v246, 0x7f7fffff
	v_min3_f32 v96, v50, v68, v46
	;; [unrolled: 1-line block ×3, first 2 shown]
	s_delay_alu instid0(VALU_DEP_1)
	v_min3_f32 v95, v62, v24, v46
	s_waitcnt vmcnt(0)
	ds_store_2addr_stride64_b32 v74, v0, v1 offset0:16 offset1:20
	s_clause 0x1
	scratch_load_b32 v0, off, off offset:8
	scratch_load_b32 v1, off, off offset:12
	s_waitcnt vmcnt(0)
	ds_store_2addr_stride64_b32 v74, v0, v1 offset0:24 offset1:28
	scratch_load_b32 v0, off, off offset:16 ; 4-byte Folded Reload
	s_waitcnt vmcnt(0)
	ds_store_b32 v3, v0 offset:9216
	s_waitcnt lgkmcnt(0)
	s_waitcnt_vscnt null, 0x0
	s_barrier
	buffer_gl0_inv
	s_cbranch_scc1 .LBB54_40
; %bb.23:
	s_clause 0x3
	scratch_load_b32 v2, off, off offset:60
	scratch_load_b32 v4, off, off offset:64
	;; [unrolled: 1-line block ×4, first 2 shown]
	v_add_nc_u32_e32 v75, 0x2000, v3
	v_add_nc_u32_e32 v78, 0x2400, v3
	v_dual_mov_b32 v199, v150 :: v_dual_add_nc_u32 v76, 0x2000, v201
	v_add_nc_u32_e32 v77, 0x1000, v74
	v_lshl_add_u32 v111, v150, 4, 0x2400
	s_waitcnt vmcnt(3)
	v_mad_i64_i32 v[0:1], null, s20, v2, 0
	scratch_load_b32 v2, off, off offset:72 ; 4-byte Folded Reload
	s_waitcnt vmcnt(3)
	v_add_nc_u32_e32 v3, 12, v4
	v_add_nc_u32_e32 v8, 8, v4
	s_waitcnt vmcnt(1)
	v_lshl_add_u32 v79, v200, 4, 0x1000
	v_lshlrev_b64 v[0:1], 2, v[0:1]
	s_delay_alu instid0(VALU_DEP_1) | instskip(NEXT) | instid1(VALU_DEP_2)
	v_add_co_u32 v6, vcc_lo, v0, v5
	v_add_co_ci_u32_e32 v7, vcc_lo, 0, v1, vcc_lo
	v_mad_i64_i32 v[0:1], null, v3, s8, 0
	s_delay_alu instid0(VALU_DEP_3) | instskip(SKIP_1) | instid1(VALU_DEP_4)
	v_add_co_u32 v6, vcc_lo, v6, s16
	v_mad_i64_i32 v[4:5], null, v8, s8, 0
	v_add_co_ci_u32_e32 v7, vcc_lo, s17, v7, vcc_lo
	s_delay_alu instid0(VALU_DEP_3) | instskip(SKIP_1) | instid1(VALU_DEP_3)
	v_add_co_u32 v64, vcc_lo, v6, 32
	v_lshlrev_b64 v[66:67], 2, v[0:1]
	v_add_co_ci_u32_e32 v65, vcc_lo, 0, v7, vcc_lo
	v_lshlrev_b64 v[68:69], 2, v[4:5]
	s_lshl_b64 s[8:9], s[8:9], 5
	s_waitcnt vmcnt(0)
	v_lshl_or_b32 v2, s14, 8, v2
	s_lshl_b32 s14, s19, 8
	s_delay_alu instid0(VALU_DEP_1) | instid1(SALU_CYCLE_1)
	v_subrev_nc_u32_e32 v2, s14, v2
	s_delay_alu instid0(VALU_DEP_1) | instskip(NEXT) | instid1(VALU_DEP_1)
	v_ashrrev_i32_e32 v3, 31, v2
	v_lshlrev_b64 v[2:3], 2, v[2:3]
	s_delay_alu instid0(VALU_DEP_1) | instskip(NEXT) | instid1(VALU_DEP_2)
	v_add_co_u32 v138, vcc_lo, s10, v2
	v_add_co_ci_u32_e32 v139, vcc_lo, s11, v3, vcc_lo
	s_add_i32 s10, s21, -8
	s_mov_b32 s11, 0
	s_branch .LBB54_26
.LBB54_24:                              ;   in Loop: Header=BB54_26 Depth=1
	flat_load_b32 v0, v[64:65] offset:16
	s_waitcnt vmcnt(0) lgkmcnt(0)
	v_mul_f32_e32 v0, s22, v0
.LBB54_25:                              ;   in Loop: Header=BB54_26 Depth=1
	ds_load_b128 v[92:95], v76
	ds_load_b128 v[151:154], v73
	ds_load_b128 v[155:158], v73 offset:512
	ds_load_b128 v[159:162], v73 offset:1024
	;; [unrolled: 1-line block ×14, first 2 shown]
	v_add_co_u32 v64, vcc_lo, v64, 32
	v_add_co_ci_u32_e32 v65, vcc_lo, 0, v65, vcc_lo
	v_add_co_u32 v138, vcc_lo, v138, s8
	s_waitcnt lgkmcnt(14)
	v_dual_add_f32 v11, v152, v93 :: v_dual_add_f32 v14, v151, v92
	s_waitcnt lgkmcnt(13)
	v_dual_add_f32 v15, v156, v93 :: v_dual_add_f32 v18, v155, v92
	;; [unrolled: 2-line block ×3, first 2 shown]
	s_waitcnt lgkmcnt(11)
	v_add_f32_e32 v23, v164, v93
	v_min3_f32 v11, v14, v11, v25
	v_min3_f32 v14, v18, v15, v28
	v_add_f32_e32 v18, v163, v92
	v_min3_f32 v15, v22, v19, v29
	s_waitcnt lgkmcnt(10)
	v_dual_add_f32 v19, v168, v93 :: v_dual_add_f32 v22, v167, v92
	s_waitcnt lgkmcnt(9)
	v_dual_add_f32 v25, v172, v93 :: v_dual_add_f32 v28, v171, v92
	;; [unrolled: 2-line block ×4, first 2 shown]
	v_min3_f32 v1, v18, v23, v1
	v_min3_f32 v18, v22, v19, v32
	;; [unrolled: 1-line block ×5, first 2 shown]
	s_waitcnt lgkmcnt(6)
	v_dual_add_f32 v25, v152, v97 :: v_dual_add_f32 v28, v151, v96
	v_dual_add_f32 v29, v156, v97 :: v_dual_add_f32 v32, v155, v96
	;; [unrolled: 1-line block ×5, first 2 shown]
	v_min3_f32 v4, v28, v25, v4
	v_min3_f32 v25, v32, v29, v40
	;; [unrolled: 1-line block ×5, first 2 shown]
	v_dual_add_f32 v33, v172, v97 :: v_dual_add_f32 v34, v171, v96
	v_dual_add_f32 v35, v176, v97 :: v_dual_add_f32 v36, v175, v96
	;; [unrolled: 1-line block ×3, first 2 shown]
	s_waitcnt lgkmcnt(5)
	v_dual_add_f32 v39, v152, v101 :: v_dual_add_f32 v40, v151, v100
	v_dual_add_f32 v41, v156, v101 :: v_dual_add_f32 v44, v155, v100
	v_min3_f32 v5, v34, v33, v5
	v_min3_f32 v33, v36, v35, v48
	;; [unrolled: 1-line block ×5, first 2 shown]
	v_dual_add_f32 v37, v160, v101 :: v_dual_add_f32 v38, v159, v100
	v_dual_add_f32 v39, v164, v101 :: v_dual_add_f32 v40, v163, v100
	;; [unrolled: 1-line block ×5, first 2 shown]
	v_min3_f32 v8, v38, v37, v8
	v_min3_f32 v37, v40, v39, v54
	;; [unrolled: 1-line block ×5, first 2 shown]
	v_dual_add_f32 v41, v180, v101 :: v_dual_add_f32 v44, v179, v100
	s_waitcnt lgkmcnt(4)
	v_dual_add_f32 v45, v152, v105 :: v_dual_add_f32 v48, v151, v104
	v_dual_add_f32 v49, v156, v105 :: v_dual_add_f32 v52, v155, v104
	v_dual_add_f32 v53, v160, v105 :: v_dual_add_f32 v54, v159, v104
	v_dual_add_f32 v55, v164, v105 :: v_dual_add_f32 v56, v163, v104
	v_min3_f32 v9, v44, v41, v9
	v_min3_f32 v41, v48, v45, v58
	;; [unrolled: 1-line block ×5, first 2 shown]
	v_dual_add_f32 v49, v168, v105 :: v_dual_add_f32 v52, v167, v104
	v_dual_add_f32 v53, v172, v105 :: v_dual_add_f32 v54, v171, v104
	;; [unrolled: 1-line block ×4, first 2 shown]
	s_waitcnt lgkmcnt(3)
	v_dual_add_f32 v59, v152, v184 :: v_dual_add_f32 v60, v151, v183
	v_min3_f32 v12, v52, v49, v12
	v_min3_f32 v49, v54, v53, v50
	;; [unrolled: 1-line block ×5, first 2 shown]
	v_dual_add_f32 v53, v156, v184 :: v_dual_add_f32 v54, v155, v183
	v_dual_add_f32 v55, v160, v184 :: v_dual_add_f32 v56, v159, v183
	;; [unrolled: 1-line block ×5, first 2 shown]
	v_min3_f32 v13, v54, v53, v13
	v_min3_f32 v53, v56, v55, v80
	;; [unrolled: 1-line block ×5, first 2 shown]
	v_dual_add_f32 v57, v176, v184 :: v_dual_add_f32 v58, v175, v183
	v_dual_add_f32 v59, v180, v184 :: v_dual_add_f32 v60, v179, v183
	s_waitcnt lgkmcnt(2)
	v_dual_add_f32 v61, v152, v188 :: v_dual_add_f32 v62, v151, v187
	v_dual_add_f32 v63, v156, v188 :: v_dual_add_f32 v70, v155, v187
	;; [unrolled: 1-line block ×3, first 2 shown]
	v_min3_f32 v16, v58, v57, v16
	v_min3_f32 v46, v60, v59, v46
	;; [unrolled: 1-line block ×4, first 2 shown]
	v_dual_add_f32 v59, v164, v188 :: v_dual_add_f32 v60, v163, v187
	v_dual_add_f32 v61, v168, v188 :: v_dual_add_f32 v62, v167, v187
	;; [unrolled: 1-line block ×4, first 2 shown]
	v_min3_f32 v58, v72, v71, v85
	v_dual_add_f32 v71, v176, v188 :: v_dual_add_f32 v72, v175, v187
	v_min3_f32 v17, v60, v59, v17
	v_min3_f32 v42, v62, v61, v42
	;; [unrolled: 1-line block ×4, first 2 shown]
	s_waitcnt lgkmcnt(1)
	v_dual_add_f32 v61, v152, v192 :: v_dual_add_f32 v62, v151, v191
	v_dual_add_f32 v63, v156, v192 :: v_dual_add_f32 v70, v155, v191
	;; [unrolled: 1-line block ×4, first 2 shown]
	v_min3_f32 v59, v72, v71, v86
	v_dual_add_f32 v71, v160, v192 :: v_dual_add_f32 v72, v159, v191
	v_min3_f32 v20, v62, v61, v20
	v_min3_f32 v61, v70, v63, v88
	;; [unrolled: 1-line block ×4, first 2 shown]
	v_dual_add_f32 v80, v176, v192 :: v_dual_add_f32 v81, v175, v191
	v_dual_add_f32 v82, v180, v192 :: v_dual_add_f32 v83, v179, v191
	s_waitcnt lgkmcnt(0)
	v_dual_add_f32 v84, v152, v196 :: v_dual_add_f32 v85, v151, v195
	v_dual_add_f32 v86, v156, v196 :: v_dual_add_f32 v87, v155, v195
	v_min3_f32 v62, v72, v71, v89
	v_dual_add_f32 v71, v172, v192 :: v_dual_add_f32 v72, v171, v191
	v_min3_f32 v26, v81, v80, v26
	v_min3_f32 v27, v83, v82, v27
	;; [unrolled: 1-line block ×4, first 2 shown]
	v_dual_add_f32 v80, v164, v196 :: v_dual_add_f32 v81, v163, v195
	v_dual_add_f32 v82, v168, v196 :: v_dual_add_f32 v83, v167, v195
	;; [unrolled: 1-line block ×4, first 2 shown]
	v_min3_f32 v21, v72, v71, v21
	v_dual_add_f32 v71, v160, v196 :: v_dual_add_f32 v72, v159, v195
	v_min3_f32 v3, v81, v80, v3
	v_min3_f32 v6, v83, v82, v6
	;; [unrolled: 1-line block ×4, first 2 shown]
	v_dual_add_f32 v80, v154, v95 :: v_dual_add_f32 v81, v153, v94
	v_dual_add_f32 v82, v158, v95 :: v_dual_add_f32 v83, v157, v94
	;; [unrolled: 1-line block ×4, first 2 shown]
	v_min3_f32 v24, v72, v71, v24
	v_dual_add_f32 v71, v180, v196 :: v_dual_add_f32 v72, v179, v195
	v_min3_f32 v146, v81, v80, v11
	v_min3_f32 v144, v83, v82, v14
	;; [unrolled: 1-line block ×4, first 2 shown]
	v_add_f32_e32 v1, v170, v95
	v_dual_add_f32 v11, v169, v94 :: v_dual_add_f32 v14, v174, v95
	v_dual_add_f32 v15, v173, v94 :: v_dual_add_f32 v80, v182, v95
	v_min3_f32 v2, v72, v71, v2
	v_add_f32_e32 v72, v177, v94
	v_dual_add_f32 v81, v181, v94 :: v_dual_add_f32 v82, v154, v99
	v_add_f32_e32 v83, v153, v98
	v_min3_f32 v143, v11, v1, v18
	v_min3_f32 v140, v15, v14, v19
	v_dual_add_f32 v1, v158, v99 :: v_dual_add_f32 v14, v161, v98
	v_dual_add_f32 v11, v162, v99 :: v_dual_add_f32 v18, v165, v98
	v_add_f32_e32 v71, v178, v95
	v_min3_f32 v137, v81, v80, v23
	v_add_f32_e32 v15, v166, v99
	s_delay_alu instid0(VALU_DEP_4)
	v_min3_f32 v135, v14, v11, v28
	v_add_f32_e32 v14, v154, v103
	v_min3_f32 v136, v83, v82, v4
	v_add_f32_e32 v4, v157, v98
	v_min3_f32 v141, v72, v71, v22
	v_dual_add_f32 v22, v169, v98 :: v_dual_add_f32 v19, v170, v99
	v_add_f32_e32 v23, v174, v99
	v_add_f32_e32 v71, v173, v98
	v_min3_f32 v134, v4, v1, v25
	v_dual_add_f32 v1, v178, v99 :: v_dual_add_f32 v4, v177, v98
	v_min3_f32 v132, v18, v15, v29
	v_min3_f32 v133, v22, v19, v32
	v_dual_add_f32 v11, v181, v98 :: v_dual_add_f32 v22, v162, v103
	v_dual_add_f32 v15, v153, v102 :: v_dual_add_f32 v18, v158, v103
	v_add_f32_e32 v19, v157, v102
	v_min3_f32 v131, v4, v1, v33
	v_add_f32_e32 v4, v165, v102
	v_min3_f32 v130, v71, v23, v5
	v_add_f32_e32 v5, v182, v99
	v_add_f32_e32 v23, v161, v102
	v_min3_f32 v129, v15, v14, v35
	v_add_f32_e32 v14, v173, v102
	v_min3_f32 v127, v19, v18, v36
	v_min3_f32 v128, v11, v5, v34
	;; [unrolled: 1-line block ×3, first 2 shown]
	v_dual_add_f32 v1, v166, v103 :: v_dual_add_f32 v18, v177, v102
	v_dual_add_f32 v5, v170, v103 :: v_dual_add_f32 v22, v181, v102
	;; [unrolled: 1-line block ×3, first 2 shown]
	v_add_f32_e32 v15, v178, v103
	s_delay_alu instid0(VALU_DEP_4) | instskip(SKIP_1) | instid1(VALU_DEP_4)
	v_min3_f32 v124, v4, v1, v37
	v_add_f32_e32 v4, v153, v106
	v_min3_f32 v125, v8, v5, v38
	v_add_f32_e32 v8, v157, v106
	v_min3_f32 v122, v14, v11, v39
	v_min3_f32 v123, v18, v15, v40
	v_add_f32_e32 v5, v158, v107
	v_dual_add_f32 v14, v166, v107 :: v_dual_add_f32 v15, v165, v106
	v_add_f32_e32 v19, v182, v103
	v_add_f32_e32 v1, v154, v107
	v_dual_add_f32 v11, v161, v106 :: v_dual_add_f32 v18, v170, v107
	s_delay_alu instid0(VALU_DEP_4)
	v_min3_f32 v117, v15, v14, v48
	v_add_f32_e32 v14, v153, v185
	v_min3_f32 v118, v8, v5, v44
	v_dual_add_f32 v8, v177, v106 :: v_dual_add_f32 v5, v178, v107
	v_min3_f32 v121, v4, v1, v41
	v_dual_add_f32 v1, v174, v107 :: v_dual_add_f32 v4, v173, v106
	v_min3_f32 v120, v22, v19, v9
	v_add_f32_e32 v9, v162, v107
	v_add_f32_e32 v19, v169, v106
	v_min3_f32 v115, v8, v5, v50
	v_dual_add_f32 v5, v166, v186 :: v_dual_add_f32 v8, v165, v185
	v_add_f32_e32 v15, v158, v186
	s_delay_alu instid0(VALU_DEP_4)
	v_min3_f32 v116, v19, v18, v12
	v_add_f32_e32 v18, v157, v185
	v_min3_f32 v119, v11, v9, v45
	v_add_f32_e32 v9, v182, v107
	v_min3_f32 v114, v4, v1, v49
	v_dual_add_f32 v1, v162, v186 :: v_dual_add_f32 v4, v161, v185
	v_min3_f32 v107, v8, v5, v54
	v_dual_add_f32 v5, v154, v190 :: v_dual_add_f32 v8, v153, v189
	v_add_f32_e32 v11, v181, v106
	v_add_f32_e32 v12, v154, v186
	v_min3_f32 v110, v4, v1, v53
	v_dual_add_f32 v1, v182, v186 :: v_dual_add_f32 v4, v181, v185
	v_min3_f32 v104, v8, v5, v47
	v_dual_add_f32 v5, v174, v190 :: v_dual_add_f32 v8, v173, v189
	v_min3_f32 v112, v11, v9, v51
	v_min3_f32 v109, v18, v15, v13
	v_add_f32_e32 v9, v170, v186
	v_add_f32_e32 v11, v169, v185
	v_min3_f32 v113, v14, v12, v52
	v_dual_add_f32 v12, v174, v186 :: v_dual_add_f32 v13, v173, v185
	v_dual_add_f32 v14, v178, v186 :: v_dual_add_f32 v15, v177, v185
	v_min3_f32 v97, v8, v5, v43
	v_add_f32_e32 v8, v161, v193
	v_min3_f32 v103, v4, v1, v46
	v_dual_add_f32 v1, v170, v190 :: v_dual_add_f32 v4, v169, v189
	v_min3_f32 v106, v13, v12, v56
	v_min3_f32 v105, v15, v14, v16
	v_dual_add_f32 v12, v162, v190 :: v_dual_add_f32 v13, v161, v189
	v_dual_add_f32 v14, v166, v190 :: v_dual_add_f32 v15, v165, v189
	v_min3_f32 v100, v4, v1, v42
	v_add_f32_e32 v4, v157, v193
	v_min3_f32 v108, v11, v9, v55
	v_add_f32_e32 v9, v158, v190
	v_add_f32_e32 v11, v157, v189
	;; [unrolled: 1-line block ×3, first 2 shown]
	v_min3_f32 v102, v13, v12, v58
	v_add_f32_e32 v12, v182, v190
	v_min3_f32 v99, v15, v14, v17
	v_dual_add_f32 v13, v181, v189 :: v_dual_add_f32 v14, v154, v194
	v_add_f32_e32 v15, v153, v193
	v_min3_f32 v94, v8, v5, v62
	v_add_f32_e32 v8, v181, v193
	v_min3_f32 v101, v11, v9, v57
	v_add_f32_e32 v9, v178, v190
	v_add_f32_e32 v11, v177, v189
	v_min3_f32 v96, v13, v12, v60
	v_min3_f32 v95, v15, v14, v20
	v_add_f32_e32 v1, v158, v194
	v_add_f32_e32 v12, v170, v194
	v_min3_f32 v98, v11, v9, v59
	v_add_f32_e32 v9, v166, v194
	v_add_f32_e32 v11, v165, v193
	v_dual_add_f32 v13, v169, v193 :: v_dual_add_f32 v14, v174, v194
	v_add_f32_e32 v15, v173, v193
	v_min3_f32 v93, v4, v1, v61
	v_dual_add_f32 v1, v178, v194 :: v_dual_add_f32 v4, v177, v193
	v_add_f32_e32 v5, v182, v194
	s_delay_alu instid0(VALU_DEP_4)
	v_min3_f32 v89, v15, v14, v21
	v_add_f32_e32 v14, v162, v198
	v_min3_f32 v92, v13, v12, v70
	v_add_f32_e32 v12, v158, v198
	;; [unrolled: 2-line block ×3, first 2 shown]
	v_add_f32_e32 v11, v153, v197
	v_add_f32_e32 v13, v157, v197
	;; [unrolled: 1-line block ×3, first 2 shown]
	v_min3_f32 v90, v4, v1, v26
	v_min3_f32 v87, v8, v5, v27
	v_add_f32_e32 v1, v166, v198
	v_min3_f32 v86, v13, v12, v31
	v_min3_f32 v85, v15, v14, v24
	v_add_f32_e32 v14, v182, v198
	v_min3_f32 v88, v11, v9, v30
	v_dual_add_f32 v4, v165, v197 :: v_dual_add_f32 v5, v170, v198
	v_dual_add_f32 v8, v169, v197 :: v_dual_add_f32 v9, v174, v198
	;; [unrolled: 1-line block ×3, first 2 shown]
	v_add_f32_e32 v13, v177, v197
	v_add_f32_e32 v15, v181, v197
	v_min3_f32 v83, v4, v1, v3
	v_min3_f32 v84, v8, v5, v6
	;; [unrolled: 1-line block ×5, first 2 shown]
	v_add_co_ci_u32_e32 v139, vcc_lo, s9, v139, vcc_lo
	s_add_i32 s11, s11, 8
	ds_store_2addr_stride64_b32 v77, v147, v148 offset1:4
	ds_store_2addr_stride64_b32 v77, v149, v150 offset0:8 offset1:12
	ds_store_b32 v78, v0
	s_cmp_ge_i32 s11, s10
	s_waitcnt lgkmcnt(0)
	s_barrier
	buffer_gl0_inv
	s_cbranch_scc1 .LBB54_41
.LBB54_26:                              ; =>This Inner Loop Header: Depth=1
	s_and_b32 vcc_lo, exec_lo, s3
	s_cbranch_vccnz .LBB54_30
; %bb.27:                               ;   in Loop: Header=BB54_26 Depth=1
	v_add_co_u32 v0, vcc_lo, v138, v68
	v_add_co_ci_u32_e32 v1, vcc_lo, v139, v69, vcc_lo
	s_clause 0x1
	flat_load_b32 v2, v[0:1]
	flat_load_b32 v0, v[0:1] offset:256
	s_waitcnt vmcnt(0) lgkmcnt(0)
	v_dual_mul_f32 v147, s22, v2 :: v_dual_mul_f32 v148, s22, v0
	s_and_b32 vcc_lo, exec_lo, s3
	s_cbranch_vccnz .LBB54_31
.LBB54_28:                              ;   in Loop: Header=BB54_26 Depth=1
	v_add_co_u32 v0, vcc_lo, v138, v68
	v_add_co_ci_u32_e32 v1, vcc_lo, v139, v69, vcc_lo
	s_clause 0x1
	flat_load_b32 v2, v[0:1] offset:512
	flat_load_b32 v0, v[0:1] offset:768
	s_waitcnt vmcnt(0) lgkmcnt(0)
	v_dual_mul_f32 v149, s22, v2 :: v_dual_mul_f32 v150, s22, v0
	s_and_b32 vcc_lo, exec_lo, s3
	s_cbranch_vccnz .LBB54_32
.LBB54_29:                              ;   in Loop: Header=BB54_26 Depth=1
	flat_load_b32 v0, v[64:65]
	s_waitcnt vmcnt(0) lgkmcnt(0)
	v_mul_f32_e32 v151, s22, v0
	s_branch .LBB54_33
.LBB54_30:                              ;   in Loop: Header=BB54_26 Depth=1
	v_dual_mov_b32 v147, 0 :: v_dual_mov_b32 v148, 0
	s_and_b32 vcc_lo, exec_lo, s3
	s_cbranch_vccz .LBB54_28
.LBB54_31:                              ;   in Loop: Header=BB54_26 Depth=1
	v_dual_mov_b32 v149, 0 :: v_dual_mov_b32 v150, 0
	s_and_b32 vcc_lo, exec_lo, s3
	s_cbranch_vccz .LBB54_29
.LBB54_32:                              ;   in Loop: Header=BB54_26 Depth=1
	v_mov_b32_e32 v151, 0
.LBB54_33:                              ;   in Loop: Header=BB54_26 Depth=1
	ds_load_b128 v[32:35], v79
	ds_load_b128 v[28:31], v79 offset:512
	ds_load_b128 v[24:27], v79 offset:1024
	;; [unrolled: 1-line block ×7, first 2 shown]
	ds_load_b128 v[60:63], v111
	ds_load_b128 v[56:59], v111 offset:128
	ds_load_b128 v[52:55], v111 offset:256
	;; [unrolled: 1-line block ×7, first 2 shown]
	s_and_b32 vcc_lo, exec_lo, s3
	ds_store_2addr_stride64_b32 v74, v147, v148 offset1:4
	ds_store_2addr_stride64_b32 v74, v149, v150 offset0:8 offset1:12
	ds_store_b32 v75, v151
	s_waitcnt lgkmcnt(0)
	s_barrier
	buffer_gl0_inv
	s_cbranch_vccnz .LBB54_36
; %bb.34:                               ;   in Loop: Header=BB54_26 Depth=1
	v_add_co_u32 v147, vcc_lo, v138, v66
	v_add_co_ci_u32_e32 v148, vcc_lo, v139, v67, vcc_lo
	s_clause 0x1
	flat_load_b32 v70, v[147:148]
	flat_load_b32 v71, v[147:148] offset:256
	s_waitcnt vmcnt(0) lgkmcnt(0)
	v_dual_mul_f32 v147, s22, v70 :: v_dual_mul_f32 v148, s22, v71
	s_and_b32 vcc_lo, exec_lo, s3
	s_cbranch_vccnz .LBB54_37
.LBB54_35:                              ;   in Loop: Header=BB54_26 Depth=1
	v_add_co_u32 v149, vcc_lo, v138, v66
	v_add_co_ci_u32_e32 v150, vcc_lo, v139, v67, vcc_lo
	s_clause 0x1
	flat_load_b32 v70, v[149:150] offset:512
	flat_load_b32 v71, v[149:150] offset:768
	s_waitcnt vmcnt(0) lgkmcnt(0)
	v_dual_mul_f32 v149, s22, v70 :: v_dual_mul_f32 v150, s22, v71
	s_branch .LBB54_38
.LBB54_36:                              ;   in Loop: Header=BB54_26 Depth=1
	v_dual_mov_b32 v147, 0 :: v_dual_mov_b32 v148, 0
	s_and_b32 vcc_lo, exec_lo, s3
	s_cbranch_vccz .LBB54_35
.LBB54_37:                              ;   in Loop: Header=BB54_26 Depth=1
	v_dual_mov_b32 v149, 0 :: v_dual_mov_b32 v150, 0
.LBB54_38:                              ;   in Loop: Header=BB54_26 Depth=1
	v_dual_add_f32 v70, v33, v61 :: v_dual_add_f32 v71, v32, v60
	v_dual_add_f32 v72, v29, v61 :: v_dual_add_f32 v151, v28, v60
	;; [unrolled: 1-line block ×3, first 2 shown]
	s_delay_alu instid0(VALU_DEP_3) | instskip(SKIP_1) | instid1(VALU_DEP_4)
	v_min3_f32 v70, v71, v70, v146
	v_add_f32_e32 v146, v13, v61
	v_min3_f32 v71, v151, v72, v144
	v_add_f32_e32 v151, v12, v60
	v_min3_f32 v72, v153, v152, v145
	v_dual_add_f32 v144, v17, v61 :: v_dual_add_f32 v145, v16, v60
	v_dual_add_f32 v152, v9, v61 :: v_dual_add_f32 v153, v8, v60
	;; [unrolled: 1-line block ×4, first 2 shown]
	s_delay_alu instid0(VALU_DEP_4)
	v_min3_f32 v142, v145, v144, v142
	v_min3_f32 v143, v151, v146, v143
	v_dual_add_f32 v144, v29, v57 :: v_dual_add_f32 v145, v28, v56
	v_add_f32_e32 v146, v25, v57
	v_min3_f32 v60, v60, v61, v137
	v_add_f32_e32 v61, v33, v57
	v_add_f32_e32 v137, v32, v56
	v_add_f32_e32 v151, v24, v56
	v_min3_f32 v140, v153, v152, v140
	v_add_f32_e32 v152, v17, v57
	v_min3_f32 v141, v155, v154, v141
	v_dual_add_f32 v153, v16, v56 :: v_dual_add_f32 v154, v13, v57
	v_add_f32_e32 v155, v12, v56
	v_min3_f32 v61, v137, v61, v136
	v_add_f32_e32 v136, v9, v57
	v_min3_f32 v134, v145, v144, v134
	v_min3_f32 v135, v151, v146, v135
	v_dual_add_f32 v137, v8, v56 :: v_dual_add_f32 v144, v5, v57
	v_dual_add_f32 v145, v4, v56 :: v_dual_add_f32 v146, v33, v53
	;; [unrolled: 1-line block ×3, first 2 shown]
	v_add_f32_e32 v151, v32, v52
	v_min3_f32 v132, v153, v152, v132
	v_dual_add_f32 v152, v29, v53 :: v_dual_add_f32 v153, v28, v52
	v_min3_f32 v130, v137, v136, v130
	v_min3_f32 v56, v56, v57, v128
	v_add_f32_e32 v128, v25, v53
	v_min3_f32 v57, v151, v146, v129
	v_dual_add_f32 v129, v24, v52 :: v_dual_add_f32 v136, v17, v53
	v_add_f32_e32 v137, v16, v52
	v_min3_f32 v131, v145, v144, v131
	v_add_f32_e32 v144, v13, v53
	v_min3_f32 v127, v153, v152, v127
	v_dual_add_f32 v145, v12, v52 :: v_dual_add_f32 v146, v9, v53
	v_dual_add_f32 v151, v8, v52 :: v_dual_add_f32 v152, v5, v53
	v_add_f32_e32 v153, v4, v52
	v_min3_f32 v126, v129, v128, v126
	v_add_f32_e32 v128, v33, v49
	v_min3_f32 v124, v137, v136, v124
	v_dual_add_f32 v53, v1, v53 :: v_dual_add_f32 v52, v0, v52
	;; [unrolled: 6-line block ×3, first 2 shown]
	v_add_f32_e32 v151, v16, v48
	v_min3_f32 v120, v52, v53, v120
	v_add_f32_e32 v52, v13, v49
	v_min3_f32 v121, v129, v128, v121
	v_min3_f32 v118, v137, v136, v118
	v_dual_add_f32 v53, v12, v48 :: v_dual_add_f32 v128, v9, v49
	v_dual_add_f32 v129, v8, v48 :: v_dual_add_f32 v136, v5, v49
	v_add_f32_e32 v137, v4, v48
	v_dual_add_f32 v49, v1, v49 :: v_dual_add_f32 v48, v0, v48
	v_min3_f32 v119, v145, v144, v119
	v_dual_add_f32 v144, v33, v45 :: v_dual_add_f32 v145, v32, v44
	v_min3_f32 v116, v53, v52, v116
	v_min3_f32 v114, v129, v128, v114
	;; [unrolled: 1-line block ×3, first 2 shown]
	v_dual_add_f32 v48, v29, v45 :: v_dual_add_f32 v49, v28, v44
	v_dual_add_f32 v52, v25, v45 :: v_dual_add_f32 v53, v24, v44
	;; [unrolled: 1-line block ×3, first 2 shown]
	v_min3_f32 v115, v137, v136, v115
	v_add_f32_e32 v136, v13, v45
	v_min3_f32 v113, v145, v144, v113
	v_dual_add_f32 v137, v12, v44 :: v_dual_add_f32 v144, v9, v45
	v_add_f32_e32 v145, v8, v44
	v_min3_f32 v109, v49, v48, v109
	v_add_f32_e32 v48, v5, v45
	v_min3_f32 v110, v53, v52, v110
	v_min3_f32 v107, v129, v128, v107
	v_dual_add_f32 v49, v4, v44 :: v_dual_add_f32 v52, v33, v41
	v_dual_add_f32 v45, v1, v45 :: v_dual_add_f32 v44, v0, v44
	;; [unrolled: 1-line block ×3, first 2 shown]
	v_add_f32_e32 v129, v28, v40
	v_min3_f32 v108, v137, v136, v108
	v_dual_add_f32 v136, v25, v41 :: v_dual_add_f32 v137, v24, v40
	v_min3_f32 v105, v49, v48, v105
	v_min3_f32 v103, v44, v45, v103
	v_add_f32_e32 v44, v17, v41
	v_min3_f32 v104, v53, v52, v104
	v_min3_f32 v101, v129, v128, v101
	v_dual_add_f32 v45, v16, v40 :: v_dual_add_f32 v48, v13, v41
	v_dual_add_f32 v49, v12, v40 :: v_dual_add_f32 v52, v9, v41
	v_dual_add_f32 v53, v8, v40 :: v_dual_add_f32 v128, v5, v41
	v_add_f32_e32 v129, v4, v40
	v_dual_add_f32 v41, v1, v41 :: v_dual_add_f32 v40, v0, v40
	v_min3_f32 v99, v45, v44, v99
	v_dual_add_f32 v44, v29, v37 :: v_dual_add_f32 v45, v28, v36
	v_min3_f32 v100, v49, v48, v100
	v_add_f32_e32 v48, v25, v37
	v_min3_f32 v96, v40, v41, v96
	v_dual_add_f32 v40, v33, v37 :: v_dual_add_f32 v41, v32, v36
	v_min3_f32 v97, v53, v52, v97
	v_min3_f32 v98, v129, v128, v98
	v_dual_add_f32 v49, v24, v36 :: v_dual_add_f32 v52, v17, v37
	v_dual_add_f32 v53, v16, v36 :: v_dual_add_f32 v128, v13, v37
	v_add_f32_e32 v129, v12, v36
	v_min3_f32 v95, v41, v40, v95
	v_add_f32_e32 v40, v9, v37
	v_min3_f32 v93, v45, v44, v93
	v_dual_add_f32 v41, v8, v36 :: v_dual_add_f32 v44, v5, v37
	v_add_f32_e32 v45, v4, v36
	v_dual_add_f32 v17, v17, v21 :: v_dual_add_f32 v12, v12, v20
	v_dual_add_f32 v13, v13, v21 :: v_dual_add_f32 v8, v8, v20
	;; [unrolled: 1-line block ×3, first 2 shown]
	v_add_f32_e32 v5, v5, v21
	v_min3_f32 v123, v153, v152, v123
	v_min3_f32 v117, v151, v146, v117
	v_dual_add_f32 v37, v1, v37 :: v_dual_add_f32 v32, v32, v20
	v_dual_add_f32 v36, v0, v36 :: v_dual_add_f32 v33, v33, v21
	;; [unrolled: 1-line block ×4, first 2 shown]
	v_add_f32_e32 v16, v16, v20
	v_min3_f32 v146, v12, v13, v84
	v_min3_f32 v151, v8, v9, v81
	v_dual_add_f32 v1, v1, v21 :: v_dual_add_f32 v8, v31, v63
	v_add_f32_e32 v0, v0, v20
	v_min3_f32 v152, v4, v5, v82
	v_dual_add_f32 v4, v35, v63 :: v_dual_add_f32 v5, v34, v62
	v_dual_add_f32 v12, v27, v63 :: v_dual_add_f32 v9, v30, v62
	v_add_f32_e32 v13, v26, v62
	v_min3_f32 v106, v145, v144, v106
	v_min3_f32 v144, v28, v29, v86
	;; [unrolled: 1-line block ×4, first 2 shown]
	v_dual_add_f32 v16, v19, v63 :: v_dual_add_f32 v17, v18, v62
	v_min3_f32 v25, v5, v4, v70
	v_min3_f32 v28, v9, v8, v71
	v_add_f32_e32 v8, v11, v63
	v_add_f32_e32 v4, v15, v63
	v_min3_f32 v29, v13, v12, v72
	v_dual_add_f32 v5, v14, v62 :: v_dual_add_f32 v12, v7, v63
	v_add_f32_e32 v9, v10, v62
	v_dual_add_f32 v13, v6, v62 :: v_dual_add_f32 v20, v35, v59
	v_min3_f32 v102, v137, v136, v102
	v_min3_f32 v136, v36, v37, v87
	;; [unrolled: 1-line block ×5, first 2 shown]
	v_dual_add_f32 v16, v3, v63 :: v_dual_add_f32 v17, v2, v62
	v_add_f32_e32 v21, v34, v58
	v_min3_f32 v32, v5, v4, v143
	v_min3_f32 v33, v9, v8, v140
	;; [unrolled: 1-line block ×3, first 2 shown]
	v_dual_add_f32 v5, v31, v59 :: v_dual_add_f32 v8, v30, v58
	v_dual_add_f32 v9, v27, v59 :: v_dual_add_f32 v12, v26, v58
	v_min3_f32 v133, v155, v154, v133
	v_min3_f32 v94, v49, v48, v94
	v_min3_f32 v92, v129, v128, v92
	v_min3_f32 v128, v41, v40, v89
	v_dual_add_f32 v13, v19, v59 :: v_dual_add_f32 v48, v10, v58
	v_min3_f32 v40, v8, v5, v134
	v_min3_f32 v41, v12, v9, v135
	v_add_f32_e32 v8, v7, v59
	v_min3_f32 v37, v17, v16, v60
	v_dual_add_f32 v16, v18, v58 :: v_dual_add_f32 v17, v15, v59
	v_add_f32_e32 v12, v3, v59
	v_min3_f32 v4, v21, v20, v61
	v_dual_add_f32 v20, v14, v58 :: v_dual_add_f32 v21, v11, v59
	v_min3_f32 v129, v45, v44, v90
	v_min3_f32 v44, v16, v13, v132
	v_dual_add_f32 v9, v6, v58 :: v_dual_add_f32 v16, v35, v55
	s_delay_alu instid0(VALU_DEP_4)
	v_min3_f32 v45, v20, v17, v133
	v_min3_f32 v5, v48, v21, v130
	v_dual_add_f32 v13, v2, v58 :: v_dual_add_f32 v20, v31, v55
	v_dual_add_f32 v17, v34, v54 :: v_dual_add_f32 v58, v27, v55
	v_add_f32_e32 v21, v30, v54
	v_add_f32_e32 v59, v26, v54
	v_min3_f32 v91, v53, v52, v91
	v_min3_f32 v48, v9, v8, v131
	;; [unrolled: 1-line block ×5, first 2 shown]
	v_dual_add_f32 v9, v19, v55 :: v_dual_add_f32 v12, v18, v54
	v_dual_add_f32 v13, v15, v55 :: v_dual_add_f32 v16, v14, v54
	v_add_f32_e32 v17, v11, v55
	v_add_f32_e32 v58, v3, v55
	v_min3_f32 v53, v21, v20, v127
	v_dual_add_f32 v20, v10, v54 :: v_dual_add_f32 v21, v7, v55
	v_add_f32_e32 v62, v18, v50
	v_add_f32_e32 v57, v6, v54
	;; [unrolled: 1-line block ×3, first 2 shown]
	v_min3_f32 v54, v12, v9, v124
	v_min3_f32 v55, v16, v13, v125
	;; [unrolled: 1-line block ×3, first 2 shown]
	v_add_f32_e32 v20, v27, v51
	v_dual_add_f32 v12, v35, v51 :: v_dual_add_f32 v13, v34, v50
	v_dual_add_f32 v16, v31, v51 :: v_dual_add_f32 v17, v30, v50
	;; [unrolled: 1-line block ×3, first 2 shown]
	v_add_f32_e32 v63, v15, v51
	v_min3_f32 v57, v57, v21, v123
	v_min3_f32 v9, v59, v58, v120
	v_add_f32_e32 v21, v26, v50
	v_min3_f32 v58, v13, v12, v121
	v_min3_f32 v59, v17, v16, v118
	v_add_f32_e32 v16, v10, v50
	v_min3_f32 v12, v70, v63, v116
	v_dual_add_f32 v63, v35, v47 :: v_dual_add_f32 v70, v34, v46
	v_min3_f32 v61, v62, v61, v117
	v_add_f32_e32 v13, v11, v51
	v_dual_add_f32 v17, v7, v51 :: v_dual_add_f32 v62, v2, v50
	s_delay_alu instid0(VALU_DEP_4)
	v_min3_f32 v63, v70, v63, v113
	v_add_f32_e32 v70, v15, v47
	v_min3_f32 v60, v21, v20, v119
	v_dual_add_f32 v20, v6, v50 :: v_dual_add_f32 v21, v3, v51
	v_dual_add_f32 v72, v30, v46 :: v_dual_add_f32 v71, v31, v47
	v_min3_f32 v50, v16, v13, v114
	s_delay_alu instid0(VALU_DEP_3) | instskip(NEXT) | instid1(VALU_DEP_4)
	v_min3_f32 v51, v20, v17, v115
	v_min3_f32 v62, v62, v21, v112
	v_dual_add_f32 v20, v19, v47 :: v_dual_add_f32 v21, v18, v46
	v_add_f32_e32 v84, v7, v47
	v_dual_add_f32 v16, v27, v47 :: v_dual_add_f32 v17, v26, v46
	v_add_f32_e32 v83, v10, v46
	v_dual_add_f32 v85, v6, v46 :: v_dual_add_f32 v86, v19, v43
	v_min3_f32 v81, v21, v20, v107
	v_add_f32_e32 v20, v2, v46
	v_min3_f32 v13, v72, v71, v109
	v_dual_add_f32 v71, v14, v46 :: v_dual_add_f32 v72, v11, v47
	v_min3_f32 v80, v17, v16, v110
	v_min3_f32 v16, v85, v84, v105
	v_add_f32_e32 v17, v3, v47
	s_delay_alu instid0(VALU_DEP_4)
	v_min3_f32 v82, v71, v70, v108
	v_min3_f32 v83, v83, v72, v106
	v_dual_add_f32 v21, v35, v43 :: v_dual_add_f32 v88, v2, v42
	v_dual_add_f32 v47, v34, v42 :: v_dual_add_f32 v70, v31, v43
	;; [unrolled: 1-line block ×3, first 2 shown]
	v_add_f32_e32 v85, v26, v42
	v_add_f32_e32 v87, v18, v42
	v_min3_f32 v46, v20, v17, v103
	s_delay_alu instid0(VALU_DEP_4)
	v_min3_f32 v84, v71, v70, v101
	v_add_f32_e32 v20, v15, v43
	v_min3_f32 v47, v47, v21, v104
	v_min3_f32 v85, v85, v72, v102
	;; [unrolled: 1-line block ×3, first 2 shown]
	v_dual_add_f32 v21, v14, v42 :: v_dual_add_f32 v70, v11, v43
	v_dual_add_f32 v71, v10, v42 :: v_dual_add_f32 v72, v7, v43
	;; [unrolled: 1-line block ×4, first 2 shown]
	v_add_f32_e32 v35, v35, v23
	s_delay_alu instid0(VALU_DEP_3) | instskip(NEXT) | instid1(VALU_DEP_4)
	v_min3_f32 v86, v86, v72, v98
	v_min3_f32 v87, v88, v87, v96
	v_add_f32_e32 v96, v15, v39
	v_min3_f32 v42, v21, v20, v100
	v_dual_add_f32 v21, v31, v39 :: v_dual_add_f32 v72, v26, v38
	v_add_f32_e32 v98, v11, v39
	v_min3_f32 v43, v71, v70, v97
	v_add_f32_e32 v70, v30, v38
	v_min3_f32 v20, v90, v89, v95
	v_add_f32_e32 v71, v27, v39
	v_dual_add_f32 v90, v19, v39 :: v_dual_add_f32 v95, v18, v38
	v_add_f32_e32 v97, v14, v38
	v_min3_f32 v88, v70, v21, v93
	v_add_f32_e32 v70, v7, v39
	v_dual_add_f32 v39, v3, v39 :: v_dual_add_f32 v34, v34, v22
	v_add_f32_e32 v99, v10, v38
	v_min3_f32 v89, v72, v71, v94
	v_min3_f32 v90, v95, v90, v91
	;; [unrolled: 1-line block ×3, first 2 shown]
	v_add_f32_e32 v71, v6, v38
	v_dual_add_f32 v38, v2, v38 :: v_dual_add_f32 v31, v31, v23
	v_add_f32_e32 v18, v18, v22
	v_add_f32_e32 v72, v30, v22
	v_dual_add_f32 v92, v27, v23 :: v_dual_add_f32 v93, v26, v22
	v_min3_f32 v30, v34, v35, v137
	v_dual_add_f32 v19, v19, v23 :: v_dual_add_f32 v14, v14, v22
	v_dual_add_f32 v15, v15, v23 :: v_dual_add_f32 v10, v10, v22
	v_dual_add_f32 v11, v11, v23 :: v_dual_add_f32 v2, v2, v22
	v_dual_add_f32 v34, v7, v23 :: v_dual_add_f32 v35, v6, v22
	v_add_f32_e32 v23, v3, v23
	v_min3_f32 v21, v99, v98, v128
	v_min3_f32 v26, v71, v70, v129
	;; [unrolled: 1-line block ×10, first 2 shown]
	s_and_b32 vcc_lo, exec_lo, s3
	s_cbranch_vccz .LBB54_24
; %bb.39:                               ;   in Loop: Header=BB54_26 Depth=1
	v_mov_b32_e32 v0, 0
	s_branch .LBB54_25
.LBB54_40:
	scratch_load_b32 v200, off, off offset:24 ; 4-byte Folded Reload
	v_mov_b32_e32 v199, v150
.LBB54_41:
	ds_load_b128 v[32:35], v73 offset:4096
	ds_load_b128 v[60:63], v201 offset:9216
	s_clause 0x2
	s_load_b64 s[8:9], s[0:1], 0x78
	s_load_b32 s3, s[0:1], 0x70
	s_load_b32 s0, s[0:1], 0x58
	v_add_nc_u32_e32 v111, s18, v199
	s_waitcnt vmcnt(0) lgkmcnt(0)
	v_dual_add_f32 v9, v34, v62 :: v_dual_add_nc_u32 v76, s15, v200
	v_add_f32_e32 v6, v33, v61
	s_delay_alu instid0(VALU_DEP_3)
	v_mad_i64_i32 v[2:3], null, v111, s3, 0
	v_mad_i64_i32 v[4:5], null, v111, s0, 0
	v_dual_add_f32 v7, v32, v60 :: v_dual_add_f32 v8, v35, v63
	s_mul_i32 s1, s12, s9
	s_mul_hi_u32 s9, s12, s8
	s_mul_i32 s8, s12, s8
	s_add_i32 s9, s9, s1
	s_delay_alu instid0(VALU_DEP_3)
	v_lshlrev_b64 v[2:3], 2, v[2:3]
	v_min3_f32 v6, v7, v6, v146
	s_lshl_b64 s[8:9], s[8:9], 2
	v_lshlrev_b64 v[4:5], 2, v[4:5]
	s_add_u32 s1, s6, s8
	v_ashrrev_i32_e32 v77, 31, v76
	v_add_nc_u32_e32 v0, 32, v76
	s_addc_u32 s6, s7, s9
	v_min3_f32 v6, v9, v8, v6
	v_add_co_u32 v138, vcc_lo, s1, v2
	v_add_co_ci_u32_e32 v139, vcc_lo, s6, v3, vcc_lo
	v_add_co_u32 v146, vcc_lo, s4, v4
	v_lshlrev_b64 v[66:67], 2, v[76:77]
	v_ashrrev_i32_e32 v1, 31, v0
	v_add_co_ci_u32_e32 v147, vcc_lo, s5, v5, vcc_lo
	v_max_f32_e32 v2, v6, v6
	s_mov_b32 vcc_lo, s2
	s_cbranch_vccz .LBB54_43
; %bb.42:
	v_add_co_u32 v3, vcc_lo, v138, v66
	s_delay_alu instid0(VALU_DEP_2)
	v_min_f32_e32 v5, 0, v2
	v_add_co_ci_u32_e32 v4, vcc_lo, v139, v67, vcc_lo
	s_mov_b32 s7, 0
	global_store_b32 v[3:4], v5, off
	s_branch .LBB54_44
.LBB54_43:
	s_mov_b32 s7, -1
.LBB54_44:
	ds_load_b128 v[28:31], v73 offset:4608
	ds_load_b128 v[24:27], v73 offset:5120
	v_lshlrev_b64 v[64:65], 2, v[0:1]
	s_and_not1_b32 vcc_lo, exec_lo, s7
	s_cbranch_vccnz .LBB54_46
; %bb.45:
	v_add_co_u32 v0, vcc_lo, v146, v66
	v_add_co_ci_u32_e32 v1, vcc_lo, v147, v67, vcc_lo
	flat_load_b32 v0, v[0:1]
	s_waitcnt vmcnt(0) lgkmcnt(0)
	v_mul_f32_e32 v3, s13, v0
	v_add_co_u32 v0, vcc_lo, v138, v66
	v_add_co_ci_u32_e32 v1, vcc_lo, v139, v67, vcc_lo
	s_delay_alu instid0(VALU_DEP_3)
	v_min_f32_e32 v4, v3, v2
	v_add_co_u32 v2, vcc_lo, v146, v64
	v_add_co_ci_u32_e32 v3, vcc_lo, v147, v65, vcc_lo
	global_store_b32 v[0:1], v4, off
	flat_load_b32 v0, v[2:3]
	s_waitcnt vmcnt(0) lgkmcnt(0)
	v_mul_f32_e32 v69, s13, v0
	s_branch .LBB54_47
.LBB54_46:
	v_mov_b32_e32 v69, s7
.LBB54_47:
	ds_load_b128 v[20:23], v73 offset:5632
	ds_load_b128 v[16:19], v73 offset:6144
	;; [unrolled: 1-line block ×10, first 2 shown]
	s_waitcnt lgkmcnt(10)
	v_dual_add_f32 v68, v25, v61 :: v_dual_add_f32 v73, v31, v63
	v_dual_add_f32 v70, v24, v60 :: v_dual_add_f32 v71, v29, v61
	ds_load_b128 v[36:39], v201 offset:9984
	ds_load_b128 v[4:7], v201 offset:10112
	v_dual_add_f32 v72, v28, v60 :: v_dual_add_f32 v75, v27, v63
	v_add_f32_e32 v74, v30, v62
	v_min3_f32 v68, v70, v68, v145
	v_dual_add_f32 v77, v26, v62 :: v_dual_add_nc_u32 v70, 64, v76
	s_delay_alu instid0(VALU_DEP_4) | instskip(NEXT) | instid1(VALU_DEP_4)
	v_min3_f32 v72, v72, v71, v144
	v_min_f32_e32 v73, v74, v73
	s_delay_alu instid0(VALU_DEP_3) | instskip(SKIP_2) | instid1(VALU_DEP_4)
	v_min3_f32 v75, v77, v75, v68
	v_add_nc_u32_e32 v68, 0x60, v76
	v_ashrrev_i32_e32 v71, 31, v70
	v_min3_f32 v77, v69, v73, v72
	v_add_co_u32 v73, vcc_lo, v138, v64
	v_add_co_ci_u32_e32 v74, vcc_lo, v139, v65, vcc_lo
	s_delay_alu instid0(VALU_DEP_4)
	v_lshlrev_b64 v[70:71], 2, v[70:71]
	v_ashrrev_i32_e32 v69, 31, v68
	v_max_f32_e32 v72, v75, v75
	s_mov_b32 vcc_lo, s2
	global_store_b32 v[73:74], v77, off
	s_cbranch_vccz .LBB54_50
; %bb.48:
	v_add_co_u32 v73, vcc_lo, v138, v70
	v_min_f32_e32 v75, 0, v72
	v_add_co_ci_u32_e32 v74, vcc_lo, v139, v71, vcc_lo
	s_mov_b32 s7, 0
	global_store_b32 v[73:74], v75, off
	v_lshlrev_b64 v[68:69], 2, v[68:69]
	s_cbranch_execz .LBB54_51
; %bb.49:
	v_mov_b32_e32 v73, s7
	s_branch .LBB54_52
.LBB54_50:
	s_mov_b32 s7, -1
	v_lshlrev_b64 v[68:69], 2, v[68:69]
.LBB54_51:
	v_add_co_u32 v73, vcc_lo, v146, v70
	v_add_co_ci_u32_e32 v74, vcc_lo, v147, v71, vcc_lo
	flat_load_b32 v73, v[73:74]
	s_waitcnt vmcnt(0) lgkmcnt(0)
	v_mul_f32_e32 v75, s13, v73
	v_add_co_u32 v73, vcc_lo, v138, v70
	v_add_co_ci_u32_e32 v74, vcc_lo, v139, v71, vcc_lo
	v_add_co_u32 v77, vcc_lo, v146, v68
	s_delay_alu instid0(VALU_DEP_4)
	v_min_f32_e32 v72, v75, v72
	v_add_co_ci_u32_e32 v78, vcc_lo, v147, v69, vcc_lo
	global_store_b32 v[73:74], v72, off
	flat_load_b32 v72, v[77:78]
	s_waitcnt vmcnt(0) lgkmcnt(0)
	v_mul_f32_e32 v73, s13, v72
.LBB54_52:
	s_waitcnt lgkmcnt(10)
	v_dual_add_f32 v72, v17, v61 :: v_dual_add_f32 v77, v20, v60
	v_dual_add_f32 v74, v16, v60 :: v_dual_add_f32 v75, v21, v61
	;; [unrolled: 1-line block ×3, first 2 shown]
	v_add_f32_e32 v144, v18, v62
	s_delay_alu instid0(VALU_DEP_3) | instskip(SKIP_3) | instid1(VALU_DEP_3)
	v_min3_f32 v72, v74, v72, v143
	v_add_f32_e32 v143, v19, v63
	v_min3_f32 v77, v77, v75, v142
	v_min_f32_e32 v78, v79, v78
	v_min3_f32 v142, v144, v143, v72
	v_add_nc_u32_e32 v74, 0x80, v76
	s_delay_alu instid0(VALU_DEP_3)
	v_min3_f32 v143, v73, v78, v77
	v_add_nc_u32_e32 v72, 0xa0, v76
	v_add_co_u32 v78, vcc_lo, v138, v68
	v_max_f32_e32 v77, v142, v142
	v_ashrrev_i32_e32 v75, 31, v74
	v_add_co_ci_u32_e32 v79, vcc_lo, v139, v69, vcc_lo
	v_ashrrev_i32_e32 v73, 31, v72
	s_mov_b32 vcc_lo, s2
	s_delay_alu instid0(VALU_DEP_3)
	v_lshlrev_b64 v[74:75], 2, v[74:75]
	global_store_b32 v[78:79], v143, off
	s_cbranch_vccz .LBB54_55
; %bb.53:
	v_add_co_u32 v78, vcc_lo, v138, v74
	v_min_f32_e32 v142, 0, v77
	v_add_co_ci_u32_e32 v79, vcc_lo, v139, v75, vcc_lo
	s_mov_b32 s7, 0
	global_store_b32 v[78:79], v142, off
	v_lshlrev_b64 v[72:73], 2, v[72:73]
	s_cbranch_execz .LBB54_56
; %bb.54:
	v_mov_b32_e32 v77, s7
	s_branch .LBB54_57
.LBB54_55:
	s_mov_b32 s7, -1
	v_lshlrev_b64 v[72:73], 2, v[72:73]
.LBB54_56:
	v_add_co_u32 v78, vcc_lo, v146, v74
	v_add_co_ci_u32_e32 v79, vcc_lo, v147, v75, vcc_lo
	flat_load_b32 v78, v[78:79]
	s_waitcnt vmcnt(0) lgkmcnt(0)
	v_mul_f32_e32 v142, s13, v78
	v_add_co_u32 v78, vcc_lo, v138, v74
	v_add_co_ci_u32_e32 v79, vcc_lo, v139, v75, vcc_lo
	s_delay_alu instid0(VALU_DEP_3)
	v_min_f32_e32 v77, v142, v77
	v_add_co_u32 v142, vcc_lo, v146, v72
	v_add_co_ci_u32_e32 v143, vcc_lo, v147, v73, vcc_lo
	global_store_b32 v[78:79], v77, off
	flat_load_b32 v77, v[142:143]
	s_waitcnt vmcnt(0) lgkmcnt(0)
	v_mul_f32_e32 v77, s13, v77
.LBB54_57:
	s_waitcnt lgkmcnt(8)
	v_dual_add_f32 v78, v9, v61 :: v_dual_add_f32 v79, v8, v60
	v_dual_add_f32 v142, v13, v61 :: v_dual_add_f32 v143, v12, v60
	v_add_f32_e32 v144, v15, v63
	v_dual_add_f32 v145, v11, v63 :: v_dual_add_f32 v148, v10, v62
	s_delay_alu instid0(VALU_DEP_4) | instskip(SKIP_3) | instid1(VALU_DEP_4)
	v_min3_f32 v79, v79, v78, v141
	v_dual_add_f32 v141, v14, v62 :: v_dual_add_nc_u32 v78, 0xc0, v76
	v_min3_f32 v140, v143, v142, v140
	v_add_nc_u32_e32 v76, 0xe0, v76
	v_min3_f32 v143, v148, v145, v79
	s_delay_alu instid0(VALU_DEP_4) | instskip(SKIP_1) | instid1(VALU_DEP_2)
	v_min_f32_e32 v141, v141, v144
	v_ashrrev_i32_e32 v79, 31, v78
	v_min3_f32 v144, v77, v141, v140
	s_delay_alu instid0(VALU_DEP_4) | instskip(SKIP_1) | instid1(VALU_DEP_4)
	v_max_f32_e32 v140, v143, v143
	v_add_co_u32 v141, vcc_lo, v138, v72
	v_lshlrev_b64 v[78:79], 2, v[78:79]
	v_add_co_ci_u32_e32 v142, vcc_lo, v139, v73, vcc_lo
	v_ashrrev_i32_e32 v77, 31, v76
	s_mov_b32 vcc_lo, s2
	global_store_b32 v[141:142], v144, off
	s_cbranch_vccz .LBB54_60
; %bb.58:
	v_add_co_u32 v141, vcc_lo, v138, v78
	v_min_f32_e32 v143, 0, v140
	v_add_co_ci_u32_e32 v142, vcc_lo, v139, v79, vcc_lo
	s_mov_b32 s7, 0
	global_store_b32 v[141:142], v143, off
	v_lshlrev_b64 v[76:77], 2, v[76:77]
	s_cbranch_execz .LBB54_61
; %bb.59:
	v_mov_b32_e32 v140, s7
	s_branch .LBB54_62
.LBB54_60:
	s_mov_b32 s7, -1
	v_lshlrev_b64 v[76:77], 2, v[76:77]
.LBB54_61:
	v_add_co_u32 v141, vcc_lo, v146, v78
	v_add_co_ci_u32_e32 v142, vcc_lo, v147, v79, vcc_lo
	flat_load_b32 v141, v[141:142]
	s_waitcnt vmcnt(0) lgkmcnt(0)
	v_mul_f32_e32 v143, s13, v141
	v_add_co_u32 v141, vcc_lo, v138, v78
	v_add_co_ci_u32_e32 v142, vcc_lo, v139, v79, vcc_lo
	s_delay_alu instid0(VALU_DEP_3)
	v_min_f32_e32 v140, v143, v140
	v_add_co_u32 v143, vcc_lo, v146, v76
	v_add_co_ci_u32_e32 v144, vcc_lo, v147, v77, vcc_lo
	global_store_b32 v[141:142], v140, off
	flat_load_b32 v140, v[143:144]
	s_waitcnt vmcnt(0) lgkmcnt(0)
	v_mul_f32_e32 v140, s13, v140
.LBB54_62:
	s_waitcnt lgkmcnt(6)
	v_dual_add_f32 v141, v33, v57 :: v_dual_add_f32 v142, v32, v56
	v_dual_add_f32 v61, v1, v61 :: v_dual_add_f32 v60, v0, v60
	v_add_f32_e32 v143, v34, v58
	v_add_f32_e32 v62, v2, v62
	s_delay_alu instid0(VALU_DEP_4) | instskip(SKIP_3) | instid1(VALU_DEP_3)
	v_min3_f32 v136, v142, v141, v136
	v_add_f32_e32 v142, v35, v59
	v_add_nc_u32_e32 v141, 8, v111
	v_min3_f32 v137, v60, v61, v137
	v_min3_f32 v136, v143, v142, v136
	v_add_f32_e32 v63, v3, v63
	s_delay_alu instid0(VALU_DEP_4) | instskip(NEXT) | instid1(VALU_DEP_3)
	v_mad_i64_i32 v[60:61], null, v141, s3, 0
	v_max_f32_e32 v136, v136, v136
	s_delay_alu instid0(VALU_DEP_3) | instskip(SKIP_1) | instid1(VALU_DEP_4)
	v_min_f32_e32 v144, v62, v63
	v_mad_i64_i32 v[62:63], null, v141, s0, 0
	v_lshlrev_b64 v[60:61], 2, v[60:61]
	s_delay_alu instid0(VALU_DEP_3)
	v_min3_f32 v140, v140, v144, v137
	v_add_co_u32 v137, vcc_lo, v138, v76
	v_add_co_ci_u32_e32 v138, vcc_lo, v139, v77, vcc_lo
	v_lshlrev_b64 v[62:63], 2, v[62:63]
	v_add_co_u32 v60, vcc_lo, s1, v60
	v_add_co_ci_u32_e32 v61, vcc_lo, s6, v61, vcc_lo
	global_store_b32 v[137:138], v140, off
	v_add_co_u32 v62, vcc_lo, s4, v62
	v_add_co_ci_u32_e32 v63, vcc_lo, s5, v63, vcc_lo
	s_mov_b32 vcc_lo, s2
	s_cbranch_vccz .LBB54_65
; %bb.63:
	v_add_co_u32 v137, vcc_lo, v60, v66
	v_min_f32_e32 v139, 0, v136
	v_add_co_ci_u32_e32 v138, vcc_lo, v61, v67, vcc_lo
	s_mov_b32 s7, 0
	global_store_b32 v[137:138], v139, off
	s_cbranch_execz .LBB54_66
; %bb.64:
	v_mov_b32_e32 v136, s7
	s_branch .LBB54_67
.LBB54_65:
	s_mov_b32 s7, -1
.LBB54_66:
	v_add_co_u32 v137, vcc_lo, v62, v66
	v_add_co_ci_u32_e32 v138, vcc_lo, v63, v67, vcc_lo
	flat_load_b32 v137, v[137:138]
	s_waitcnt vmcnt(0) lgkmcnt(0)
	v_mul_f32_e32 v139, s13, v137
	v_add_co_u32 v137, vcc_lo, v60, v66
	v_add_co_ci_u32_e32 v138, vcc_lo, v61, v67, vcc_lo
	s_delay_alu instid0(VALU_DEP_3)
	v_min_f32_e32 v136, v139, v136
	v_add_co_u32 v139, vcc_lo, v62, v64
	v_add_co_ci_u32_e32 v140, vcc_lo, v63, v65, vcc_lo
	global_store_b32 v[137:138], v136, off
	flat_load_b32 v136, v[139:140]
	s_waitcnt vmcnt(0) lgkmcnt(0)
	v_mul_f32_e32 v136, s13, v136
.LBB54_67:
	v_dual_add_f32 v137, v29, v57 :: v_dual_add_f32 v138, v28, v56
	v_dual_add_f32 v139, v25, v57 :: v_dual_add_f32 v140, v24, v56
	v_dual_add_f32 v141, v31, v59 :: v_dual_add_f32 v142, v30, v58
	s_delay_alu instid0(VALU_DEP_3) | instskip(SKIP_1) | instid1(VALU_DEP_4)
	v_min3_f32 v134, v138, v137, v134
	v_dual_add_f32 v137, v27, v59 :: v_dual_add_f32 v138, v26, v58
	v_min3_f32 v135, v140, v139, v135
	s_delay_alu instid0(VALU_DEP_4) | instskip(NEXT) | instid1(VALU_DEP_2)
	v_min_f32_e32 v139, v142, v141
	v_min3_f32 v137, v138, v137, v135
	v_add_co_u32 v135, vcc_lo, v60, v64
	s_delay_alu instid0(VALU_DEP_3) | instskip(SKIP_1) | instid1(VALU_DEP_4)
	v_min3_f32 v138, v136, v139, v134
	v_add_co_ci_u32_e32 v136, vcc_lo, v61, v65, vcc_lo
	v_max_f32_e32 v134, v137, v137
	s_mov_b32 vcc_lo, s2
	global_store_b32 v[135:136], v138, off
	s_cbranch_vccz .LBB54_70
; %bb.68:
	v_add_co_u32 v135, vcc_lo, v60, v70
	v_min_f32_e32 v137, 0, v134
	v_add_co_ci_u32_e32 v136, vcc_lo, v61, v71, vcc_lo
	s_mov_b32 s7, 0
	global_store_b32 v[135:136], v137, off
	s_cbranch_execz .LBB54_71
; %bb.69:
	v_mov_b32_e32 v134, s7
	s_branch .LBB54_72
.LBB54_70:
	s_mov_b32 s7, -1
.LBB54_71:
	v_add_co_u32 v135, vcc_lo, v62, v70
	v_add_co_ci_u32_e32 v136, vcc_lo, v63, v71, vcc_lo
	flat_load_b32 v135, v[135:136]
	s_waitcnt vmcnt(0) lgkmcnt(0)
	v_mul_f32_e32 v137, s13, v135
	v_add_co_u32 v135, vcc_lo, v60, v70
	v_add_co_ci_u32_e32 v136, vcc_lo, v61, v71, vcc_lo
	s_delay_alu instid0(VALU_DEP_3)
	v_min_f32_e32 v134, v137, v134
	v_add_co_u32 v137, vcc_lo, v62, v68
	v_add_co_ci_u32_e32 v138, vcc_lo, v63, v69, vcc_lo
	global_store_b32 v[135:136], v134, off
	flat_load_b32 v134, v[137:138]
	s_waitcnt vmcnt(0) lgkmcnt(0)
	v_mul_f32_e32 v134, s13, v134
.LBB54_72:
	v_dual_add_f32 v135, v21, v57 :: v_dual_add_f32 v136, v20, v56
	v_dual_add_f32 v137, v17, v57 :: v_dual_add_f32 v138, v16, v56
	v_dual_add_f32 v139, v23, v59 :: v_dual_add_f32 v140, v22, v58
	s_delay_alu instid0(VALU_DEP_3) | instskip(SKIP_1) | instid1(VALU_DEP_4)
	v_min3_f32 v132, v136, v135, v132
	v_dual_add_f32 v135, v19, v59 :: v_dual_add_f32 v136, v18, v58
	v_min3_f32 v133, v138, v137, v133
	s_delay_alu instid0(VALU_DEP_4) | instskip(NEXT) | instid1(VALU_DEP_2)
	v_min_f32_e32 v137, v140, v139
	v_min3_f32 v135, v136, v135, v133
	v_add_co_u32 v133, vcc_lo, v60, v68
	s_delay_alu instid0(VALU_DEP_3) | instskip(SKIP_1) | instid1(VALU_DEP_4)
	v_min3_f32 v136, v134, v137, v132
	v_add_co_ci_u32_e32 v134, vcc_lo, v61, v69, vcc_lo
	v_max_f32_e32 v132, v135, v135
	s_mov_b32 vcc_lo, s2
	global_store_b32 v[133:134], v136, off
	;; [unrolled: 47-line block ×3, first 2 shown]
	s_cbranch_vccz .LBB54_80
; %bb.78:
	v_add_co_u32 v131, vcc_lo, v60, v78
	v_min_f32_e32 v133, 0, v130
	v_add_co_ci_u32_e32 v132, vcc_lo, v61, v79, vcc_lo
	s_mov_b32 s7, 0
	global_store_b32 v[131:132], v133, off
	s_cbranch_execz .LBB54_81
; %bb.79:
	v_mov_b32_e32 v62, s7
	s_branch .LBB54_82
.LBB54_80:
	s_mov_b32 s7, -1
.LBB54_81:
	v_add_co_u32 v131, vcc_lo, v62, v78
	v_add_co_ci_u32_e32 v132, vcc_lo, v63, v79, vcc_lo
	flat_load_b32 v131, v[131:132]
	s_waitcnt vmcnt(0) lgkmcnt(0)
	v_mul_f32_e32 v133, s13, v131
	v_add_co_u32 v131, vcc_lo, v60, v78
	v_add_co_ci_u32_e32 v132, vcc_lo, v61, v79, vcc_lo
	v_add_co_u32 v62, vcc_lo, v62, v76
	s_delay_alu instid0(VALU_DEP_4)
	v_min_f32_e32 v130, v133, v130
	v_add_co_ci_u32_e32 v63, vcc_lo, v63, v77, vcc_lo
	global_store_b32 v[131:132], v130, off
	flat_load_b32 v62, v[62:63]
	s_waitcnt vmcnt(0) lgkmcnt(0)
	v_mul_f32_e32 v62, s13, v62
.LBB54_82:
	s_waitcnt lgkmcnt(5)
	v_dual_add_f32 v63, v33, v53 :: v_dual_add_f32 v130, v32, v52
	v_dual_add_f32 v57, v1, v57 :: v_dual_add_f32 v56, v0, v56
	v_dual_add_f32 v59, v3, v59 :: v_dual_add_f32 v58, v2, v58
	s_delay_alu instid0(VALU_DEP_3) | instskip(SKIP_1) | instid1(VALU_DEP_4)
	v_min3_f32 v63, v130, v63, v129
	v_add_nc_u32_e32 v129, 16, v111
	v_min3_f32 v128, v56, v57, v128
	v_dual_add_f32 v130, v35, v55 :: v_dual_add_f32 v131, v34, v54
	v_min_f32_e32 v132, v58, v59
	s_delay_alu instid0(VALU_DEP_4) | instskip(SKIP_1) | instid1(VALU_DEP_3)
	v_mad_i64_i32 v[56:57], null, v129, s3, 0
	v_mad_i64_i32 v[58:59], null, v129, s0, 0
	v_min3_f32 v128, v62, v132, v128
	v_add_co_u32 v62, vcc_lo, v60, v76
	v_min3_f32 v129, v131, v130, v63
	v_lshlrev_b64 v[56:57], 2, v[56:57]
	v_add_co_ci_u32_e32 v63, vcc_lo, v61, v77, vcc_lo
	v_lshlrev_b64 v[58:59], 2, v[58:59]
	s_delay_alu instid0(VALU_DEP_4) | instskip(NEXT) | instid1(VALU_DEP_4)
	v_max_f32_e32 v60, v129, v129
	v_add_co_u32 v56, vcc_lo, s1, v56
	v_add_co_ci_u32_e32 v57, vcc_lo, s6, v57, vcc_lo
	s_delay_alu instid0(VALU_DEP_4)
	v_add_co_u32 v58, vcc_lo, s4, v58
	v_add_co_ci_u32_e32 v59, vcc_lo, s5, v59, vcc_lo
	s_mov_b32 vcc_lo, s2
	global_store_b32 v[62:63], v128, off
	s_cbranch_vccz .LBB54_85
; %bb.83:
	v_add_co_u32 v61, vcc_lo, v56, v66
	v_min_f32_e32 v63, 0, v60
	v_add_co_ci_u32_e32 v62, vcc_lo, v57, v67, vcc_lo
	s_mov_b32 s7, 0
	global_store_b32 v[61:62], v63, off
	s_cbranch_execz .LBB54_86
; %bb.84:
	v_mov_b32_e32 v60, s7
	s_branch .LBB54_87
.LBB54_85:
	s_mov_b32 s7, -1
.LBB54_86:
	v_add_co_u32 v61, vcc_lo, v58, v66
	v_add_co_ci_u32_e32 v62, vcc_lo, v59, v67, vcc_lo
	flat_load_b32 v61, v[61:62]
	s_waitcnt vmcnt(0) lgkmcnt(0)
	v_mul_f32_e32 v63, s13, v61
	v_add_co_u32 v61, vcc_lo, v56, v66
	v_add_co_ci_u32_e32 v62, vcc_lo, v57, v67, vcc_lo
	v_add_co_u32 v128, vcc_lo, v58, v64
	s_delay_alu instid0(VALU_DEP_4)
	v_min_f32_e32 v60, v63, v60
	v_add_co_ci_u32_e32 v129, vcc_lo, v59, v65, vcc_lo
	global_store_b32 v[61:62], v60, off
	flat_load_b32 v60, v[128:129]
	s_waitcnt vmcnt(0) lgkmcnt(0)
	v_mul_f32_e32 v60, s13, v60
.LBB54_87:
	v_dual_add_f32 v61, v29, v53 :: v_dual_add_f32 v62, v28, v52
	v_dual_add_f32 v63, v25, v53 :: v_dual_add_f32 v128, v24, v52
	v_dual_add_f32 v129, v31, v55 :: v_dual_add_f32 v130, v30, v54
	s_delay_alu instid0(VALU_DEP_3) | instskip(NEXT) | instid1(VALU_DEP_3)
	v_min3_f32 v61, v62, v61, v127
	v_min3_f32 v62, v128, v63, v126
	v_dual_add_f32 v63, v27, v55 :: v_dual_add_f32 v126, v26, v54
	s_delay_alu instid0(VALU_DEP_1) | instskip(SKIP_1) | instid1(VALU_DEP_1)
	v_min3_f32 v63, v126, v63, v62
	v_min_f32_e32 v127, v130, v129
	v_min3_f32 v126, v60, v127, v61
	s_delay_alu instid0(VALU_DEP_3)
	v_max_f32_e32 v60, v63, v63
	v_add_co_u32 v61, vcc_lo, v56, v64
	v_add_co_ci_u32_e32 v62, vcc_lo, v57, v65, vcc_lo
	s_mov_b32 vcc_lo, s2
	global_store_b32 v[61:62], v126, off
	s_cbranch_vccz .LBB54_90
; %bb.88:
	v_add_co_u32 v61, vcc_lo, v56, v70
	v_min_f32_e32 v63, 0, v60
	v_add_co_ci_u32_e32 v62, vcc_lo, v57, v71, vcc_lo
	s_mov_b32 s7, 0
	global_store_b32 v[61:62], v63, off
	s_cbranch_execz .LBB54_91
; %bb.89:
	v_mov_b32_e32 v60, s7
	s_branch .LBB54_92
.LBB54_90:
	s_mov_b32 s7, -1
.LBB54_91:
	v_add_co_u32 v61, vcc_lo, v58, v70
	v_add_co_ci_u32_e32 v62, vcc_lo, v59, v71, vcc_lo
	flat_load_b32 v61, v[61:62]
	s_waitcnt vmcnt(0) lgkmcnt(0)
	v_mul_f32_e32 v63, s13, v61
	v_add_co_u32 v61, vcc_lo, v56, v70
	v_add_co_ci_u32_e32 v62, vcc_lo, v57, v71, vcc_lo
	v_add_co_u32 v126, vcc_lo, v58, v68
	s_delay_alu instid0(VALU_DEP_4)
	v_min_f32_e32 v60, v63, v60
	v_add_co_ci_u32_e32 v127, vcc_lo, v59, v69, vcc_lo
	global_store_b32 v[61:62], v60, off
	flat_load_b32 v60, v[126:127]
	s_waitcnt vmcnt(0) lgkmcnt(0)
	v_mul_f32_e32 v60, s13, v60
.LBB54_92:
	v_dual_add_f32 v61, v21, v53 :: v_dual_add_f32 v62, v20, v52
	v_dual_add_f32 v63, v17, v53 :: v_dual_add_f32 v126, v16, v52
	;; [unrolled: 1-line block ×3, first 2 shown]
	s_delay_alu instid0(VALU_DEP_3) | instskip(SKIP_1) | instid1(VALU_DEP_4)
	v_min3_f32 v61, v62, v61, v124
	v_add_f32_e32 v124, v18, v54
	v_min3_f32 v62, v126, v63, v125
	v_add_f32_e32 v63, v19, v55
	v_min_f32_e32 v125, v128, v127
	s_delay_alu instid0(VALU_DEP_2) | instskip(NEXT) | instid1(VALU_DEP_2)
	v_min3_f32 v63, v124, v63, v62
	v_min3_f32 v124, v60, v125, v61
	v_add_co_u32 v61, vcc_lo, v56, v68
	v_add_co_ci_u32_e32 v62, vcc_lo, v57, v69, vcc_lo
	s_delay_alu instid0(VALU_DEP_4)
	v_max_f32_e32 v60, v63, v63
	s_mov_b32 vcc_lo, s2
	global_store_b32 v[61:62], v124, off
	s_cbranch_vccz .LBB54_95
; %bb.93:
	v_add_co_u32 v61, vcc_lo, v56, v74
	v_min_f32_e32 v63, 0, v60
	v_add_co_ci_u32_e32 v62, vcc_lo, v57, v75, vcc_lo
	s_mov_b32 s7, 0
	global_store_b32 v[61:62], v63, off
	s_cbranch_execz .LBB54_96
; %bb.94:
	v_mov_b32_e32 v60, s7
	s_branch .LBB54_97
.LBB54_95:
	s_mov_b32 s7, -1
.LBB54_96:
	v_add_co_u32 v61, vcc_lo, v58, v74
	v_add_co_ci_u32_e32 v62, vcc_lo, v59, v75, vcc_lo
	flat_load_b32 v61, v[61:62]
	s_waitcnt vmcnt(0) lgkmcnt(0)
	v_mul_f32_e32 v63, s13, v61
	v_add_co_u32 v61, vcc_lo, v56, v74
	v_add_co_ci_u32_e32 v62, vcc_lo, v57, v75, vcc_lo
	v_add_co_u32 v124, vcc_lo, v58, v72
	s_delay_alu instid0(VALU_DEP_4)
	v_min_f32_e32 v60, v63, v60
	v_add_co_ci_u32_e32 v125, vcc_lo, v59, v73, vcc_lo
	global_store_b32 v[61:62], v60, off
	flat_load_b32 v60, v[124:125]
	s_waitcnt vmcnt(0) lgkmcnt(0)
	v_mul_f32_e32 v60, s13, v60
.LBB54_97:
	v_dual_add_f32 v61, v13, v53 :: v_dual_add_f32 v62, v12, v52
	v_dual_add_f32 v63, v9, v53 :: v_dual_add_f32 v124, v8, v52
	;; [unrolled: 1-line block ×3, first 2 shown]
	s_delay_alu instid0(VALU_DEP_3) | instskip(SKIP_1) | instid1(VALU_DEP_4)
	v_min3_f32 v61, v62, v61, v122
	v_add_f32_e32 v122, v10, v54
	v_min3_f32 v62, v124, v63, v123
	v_add_f32_e32 v63, v11, v55
	s_delay_alu instid0(VALU_DEP_1) | instskip(SKIP_1) | instid1(VALU_DEP_1)
	v_min3_f32 v63, v122, v63, v62
	v_min_f32_e32 v123, v126, v125
	v_min3_f32 v122, v60, v123, v61
	s_delay_alu instid0(VALU_DEP_3)
	v_max_f32_e32 v60, v63, v63
	v_add_co_u32 v61, vcc_lo, v56, v72
	v_add_co_ci_u32_e32 v62, vcc_lo, v57, v73, vcc_lo
	s_mov_b32 vcc_lo, s2
	global_store_b32 v[61:62], v122, off
	s_cbranch_vccz .LBB54_100
; %bb.98:
	v_add_co_u32 v61, vcc_lo, v56, v78
	v_min_f32_e32 v63, 0, v60
	v_add_co_ci_u32_e32 v62, vcc_lo, v57, v79, vcc_lo
	s_mov_b32 s7, 0
	global_store_b32 v[61:62], v63, off
	s_cbranch_execz .LBB54_101
; %bb.99:
	v_mov_b32_e32 v58, s7
	s_branch .LBB54_102
.LBB54_100:
	s_mov_b32 s7, -1
.LBB54_101:
	v_add_co_u32 v61, vcc_lo, v58, v78
	v_add_co_ci_u32_e32 v62, vcc_lo, v59, v79, vcc_lo
	flat_load_b32 v61, v[61:62]
	s_waitcnt vmcnt(0) lgkmcnt(0)
	v_mul_f32_e32 v63, s13, v61
	v_add_co_u32 v61, vcc_lo, v56, v78
	v_add_co_ci_u32_e32 v62, vcc_lo, v57, v79, vcc_lo
	v_add_co_u32 v58, vcc_lo, v58, v76
	s_delay_alu instid0(VALU_DEP_4)
	v_min_f32_e32 v60, v63, v60
	v_add_co_ci_u32_e32 v59, vcc_lo, v59, v77, vcc_lo
	global_store_b32 v[61:62], v60, off
	flat_load_b32 v58, v[58:59]
	s_waitcnt vmcnt(0) lgkmcnt(0)
	v_mul_f32_e32 v58, s13, v58
.LBB54_102:
	s_waitcnt lgkmcnt(4)
	v_dual_add_f32 v59, v33, v49 :: v_dual_add_f32 v60, v32, v48
	v_dual_add_f32 v53, v1, v53 :: v_dual_add_f32 v52, v0, v52
	;; [unrolled: 1-line block ×3, first 2 shown]
	s_delay_alu instid0(VALU_DEP_3) | instskip(SKIP_1) | instid1(VALU_DEP_4)
	v_min3_f32 v59, v60, v59, v121
	v_dual_add_f32 v63, v34, v50 :: v_dual_add_nc_u32 v60, 24, v111
	v_min3_f32 v61, v52, v53, v120
	s_delay_alu instid0(VALU_DEP_4) | instskip(SKIP_1) | instid1(VALU_DEP_4)
	v_min_f32_e32 v120, v54, v55
	v_add_f32_e32 v62, v35, v51
	v_mad_i64_i32 v[52:53], null, v60, s3, 0
	v_mad_i64_i32 v[54:55], null, v60, s0, 0
	s_delay_alu instid0(VALU_DEP_4)
	v_min3_f32 v61, v58, v120, v61
	v_add_co_u32 v58, vcc_lo, v56, v76
	v_min3_f32 v60, v63, v62, v59
	v_lshlrev_b64 v[52:53], 2, v[52:53]
	v_add_co_ci_u32_e32 v59, vcc_lo, v57, v77, vcc_lo
	v_lshlrev_b64 v[54:55], 2, v[54:55]
	s_delay_alu instid0(VALU_DEP_4) | instskip(NEXT) | instid1(VALU_DEP_4)
	v_max_f32_e32 v56, v60, v60
	v_add_co_u32 v52, vcc_lo, s1, v52
	v_add_co_ci_u32_e32 v53, vcc_lo, s6, v53, vcc_lo
	s_delay_alu instid0(VALU_DEP_4)
	v_add_co_u32 v54, vcc_lo, s4, v54
	v_add_co_ci_u32_e32 v55, vcc_lo, s5, v55, vcc_lo
	s_mov_b32 vcc_lo, s2
	global_store_b32 v[58:59], v61, off
	s_cbranch_vccz .LBB54_105
; %bb.103:
	v_add_co_u32 v57, vcc_lo, v52, v66
	v_min_f32_e32 v59, 0, v56
	v_add_co_ci_u32_e32 v58, vcc_lo, v53, v67, vcc_lo
	s_mov_b32 s7, 0
	global_store_b32 v[57:58], v59, off
	s_cbranch_execz .LBB54_106
; %bb.104:
	v_mov_b32_e32 v56, s7
	s_branch .LBB54_107
.LBB54_105:
	s_mov_b32 s7, -1
.LBB54_106:
	v_add_co_u32 v57, vcc_lo, v54, v66
	v_add_co_ci_u32_e32 v58, vcc_lo, v55, v67, vcc_lo
	flat_load_b32 v57, v[57:58]
	s_waitcnt vmcnt(0) lgkmcnt(0)
	v_mul_f32_e32 v59, s13, v57
	v_add_co_u32 v57, vcc_lo, v52, v66
	v_add_co_ci_u32_e32 v58, vcc_lo, v53, v67, vcc_lo
	s_delay_alu instid0(VALU_DEP_3)
	v_min_f32_e32 v56, v59, v56
	v_add_co_u32 v59, vcc_lo, v54, v64
	v_add_co_ci_u32_e32 v60, vcc_lo, v55, v65, vcc_lo
	global_store_b32 v[57:58], v56, off
	flat_load_b32 v56, v[59:60]
	s_waitcnt vmcnt(0) lgkmcnt(0)
	v_mul_f32_e32 v56, s13, v56
.LBB54_107:
	v_dual_add_f32 v57, v29, v49 :: v_dual_add_f32 v58, v28, v48
	v_dual_add_f32 v59, v25, v49 :: v_dual_add_f32 v60, v24, v48
	v_dual_add_f32 v61, v31, v51 :: v_dual_add_f32 v62, v30, v50
	s_delay_alu instid0(VALU_DEP_3) | instskip(NEXT) | instid1(VALU_DEP_3)
	v_min3_f32 v57, v58, v57, v118
	v_min3_f32 v58, v60, v59, v119
	v_dual_add_f32 v59, v27, v51 :: v_dual_add_f32 v60, v26, v50
	s_delay_alu instid0(VALU_DEP_1) | instskip(SKIP_1) | instid1(VALU_DEP_1)
	v_min3_f32 v59, v60, v59, v58
	v_min_f32_e32 v61, v62, v61
	v_min3_f32 v60, v56, v61, v57
	s_delay_alu instid0(VALU_DEP_3)
	v_max_f32_e32 v56, v59, v59
	v_add_co_u32 v57, vcc_lo, v52, v64
	v_add_co_ci_u32_e32 v58, vcc_lo, v53, v65, vcc_lo
	s_mov_b32 vcc_lo, s2
	global_store_b32 v[57:58], v60, off
	s_cbranch_vccz .LBB54_110
; %bb.108:
	v_add_co_u32 v57, vcc_lo, v52, v70
	v_min_f32_e32 v59, 0, v56
	v_add_co_ci_u32_e32 v58, vcc_lo, v53, v71, vcc_lo
	s_mov_b32 s7, 0
	global_store_b32 v[57:58], v59, off
	s_cbranch_execz .LBB54_111
; %bb.109:
	v_mov_b32_e32 v56, s7
	s_branch .LBB54_112
.LBB54_110:
	s_mov_b32 s7, -1
.LBB54_111:
	v_add_co_u32 v57, vcc_lo, v54, v70
	v_add_co_ci_u32_e32 v58, vcc_lo, v55, v71, vcc_lo
	flat_load_b32 v57, v[57:58]
	s_waitcnt vmcnt(0) lgkmcnt(0)
	v_mul_f32_e32 v59, s13, v57
	v_add_co_u32 v57, vcc_lo, v52, v70
	v_add_co_ci_u32_e32 v58, vcc_lo, v53, v71, vcc_lo
	s_delay_alu instid0(VALU_DEP_3)
	v_min_f32_e32 v56, v59, v56
	v_add_co_u32 v59, vcc_lo, v54, v68
	v_add_co_ci_u32_e32 v60, vcc_lo, v55, v69, vcc_lo
	global_store_b32 v[57:58], v56, off
	flat_load_b32 v56, v[59:60]
	s_waitcnt vmcnt(0) lgkmcnt(0)
	v_mul_f32_e32 v56, s13, v56
.LBB54_112:
	v_dual_add_f32 v57, v21, v49 :: v_dual_add_f32 v58, v20, v48
	v_dual_add_f32 v59, v17, v49 :: v_dual_add_f32 v60, v16, v48
	v_dual_add_f32 v61, v23, v51 :: v_dual_add_f32 v62, v22, v50
	s_delay_alu instid0(VALU_DEP_3) | instskip(NEXT) | instid1(VALU_DEP_3)
	v_min3_f32 v57, v58, v57, v117
	v_min3_f32 v58, v60, v59, v116
	v_dual_add_f32 v59, v19, v51 :: v_dual_add_f32 v60, v18, v50
	s_delay_alu instid0(VALU_DEP_1) | instskip(SKIP_1) | instid1(VALU_DEP_1)
	v_min3_f32 v59, v60, v59, v58
	v_min_f32_e32 v61, v62, v61
	v_min3_f32 v60, v56, v61, v57
	s_delay_alu instid0(VALU_DEP_3)
	v_max_f32_e32 v56, v59, v59
	;; [unrolled: 47-line block ×3, first 2 shown]
	v_add_co_u32 v57, vcc_lo, v52, v72
	v_add_co_ci_u32_e32 v58, vcc_lo, v53, v73, vcc_lo
	s_mov_b32 vcc_lo, s2
	global_store_b32 v[57:58], v60, off
	s_cbranch_vccz .LBB54_120
; %bb.118:
	v_add_co_u32 v57, vcc_lo, v52, v78
	v_min_f32_e32 v59, 0, v56
	v_add_co_ci_u32_e32 v58, vcc_lo, v53, v79, vcc_lo
	s_mov_b32 s7, 0
	global_store_b32 v[57:58], v59, off
	s_cbranch_execz .LBB54_121
; %bb.119:
	v_mov_b32_e32 v54, s7
	s_branch .LBB54_122
.LBB54_120:
	s_mov_b32 s7, -1
.LBB54_121:
	v_add_co_u32 v57, vcc_lo, v54, v78
	v_add_co_ci_u32_e32 v58, vcc_lo, v55, v79, vcc_lo
	flat_load_b32 v57, v[57:58]
	s_waitcnt vmcnt(0) lgkmcnt(0)
	v_mul_f32_e32 v59, s13, v57
	v_add_co_u32 v57, vcc_lo, v52, v78
	v_add_co_ci_u32_e32 v58, vcc_lo, v53, v79, vcc_lo
	v_add_co_u32 v54, vcc_lo, v54, v76
	s_delay_alu instid0(VALU_DEP_4)
	v_min_f32_e32 v56, v59, v56
	v_add_co_ci_u32_e32 v55, vcc_lo, v55, v77, vcc_lo
	global_store_b32 v[57:58], v56, off
	flat_load_b32 v54, v[54:55]
	s_waitcnt vmcnt(0) lgkmcnt(0)
	v_mul_f32_e32 v54, s13, v54
.LBB54_122:
	s_waitcnt lgkmcnt(3)
	v_dual_add_f32 v55, v33, v45 :: v_dual_add_f32 v56, v32, v44
	v_dual_add_f32 v49, v1, v49 :: v_dual_add_f32 v48, v0, v48
	;; [unrolled: 1-line block ×3, first 2 shown]
	s_delay_alu instid0(VALU_DEP_3) | instskip(SKIP_1) | instid1(VALU_DEP_4)
	v_min3_f32 v55, v56, v55, v113
	v_dual_add_f32 v59, v34, v46 :: v_dual_add_nc_u32 v56, 32, v111
	v_min3_f32 v57, v48, v49, v112
	s_delay_alu instid0(VALU_DEP_4) | instskip(SKIP_1) | instid1(VALU_DEP_4)
	v_min_f32_e32 v60, v50, v51
	v_add_f32_e32 v58, v35, v47
	v_mad_i64_i32 v[48:49], null, v56, s3, 0
	v_mad_i64_i32 v[50:51], null, v56, s0, 0
	s_delay_alu instid0(VALU_DEP_4)
	v_min3_f32 v57, v54, v60, v57
	v_add_co_u32 v54, vcc_lo, v52, v76
	v_min3_f32 v56, v59, v58, v55
	v_lshlrev_b64 v[48:49], 2, v[48:49]
	v_add_co_ci_u32_e32 v55, vcc_lo, v53, v77, vcc_lo
	v_lshlrev_b64 v[50:51], 2, v[50:51]
	s_delay_alu instid0(VALU_DEP_4) | instskip(NEXT) | instid1(VALU_DEP_4)
	v_max_f32_e32 v52, v56, v56
	v_add_co_u32 v48, vcc_lo, s1, v48
	v_add_co_ci_u32_e32 v49, vcc_lo, s6, v49, vcc_lo
	s_delay_alu instid0(VALU_DEP_4)
	v_add_co_u32 v50, vcc_lo, s4, v50
	v_add_co_ci_u32_e32 v51, vcc_lo, s5, v51, vcc_lo
	s_mov_b32 vcc_lo, s2
	global_store_b32 v[54:55], v57, off
	s_cbranch_vccz .LBB54_125
; %bb.123:
	v_add_co_u32 v53, vcc_lo, v48, v66
	v_min_f32_e32 v55, 0, v52
	v_add_co_ci_u32_e32 v54, vcc_lo, v49, v67, vcc_lo
	s_mov_b32 s7, 0
	global_store_b32 v[53:54], v55, off
	s_cbranch_execz .LBB54_126
; %bb.124:
	v_mov_b32_e32 v52, s7
	s_branch .LBB54_127
.LBB54_125:
	s_mov_b32 s7, -1
.LBB54_126:
	v_add_co_u32 v53, vcc_lo, v50, v66
	v_add_co_ci_u32_e32 v54, vcc_lo, v51, v67, vcc_lo
	flat_load_b32 v53, v[53:54]
	s_waitcnt vmcnt(0) lgkmcnt(0)
	v_mul_f32_e32 v55, s13, v53
	v_add_co_u32 v53, vcc_lo, v48, v66
	v_add_co_ci_u32_e32 v54, vcc_lo, v49, v67, vcc_lo
	s_delay_alu instid0(VALU_DEP_3)
	v_min_f32_e32 v52, v55, v52
	v_add_co_u32 v55, vcc_lo, v50, v64
	v_add_co_ci_u32_e32 v56, vcc_lo, v51, v65, vcc_lo
	global_store_b32 v[53:54], v52, off
	flat_load_b32 v52, v[55:56]
	s_waitcnt vmcnt(0) lgkmcnt(0)
	v_mul_f32_e32 v52, s13, v52
.LBB54_127:
	v_dual_add_f32 v53, v29, v45 :: v_dual_add_f32 v54, v28, v44
	v_dual_add_f32 v55, v25, v45 :: v_dual_add_f32 v56, v24, v44
	v_dual_add_f32 v57, v31, v47 :: v_dual_add_f32 v58, v30, v46
	s_delay_alu instid0(VALU_DEP_3) | instskip(NEXT) | instid1(VALU_DEP_3)
	v_min3_f32 v53, v54, v53, v109
	v_min3_f32 v54, v56, v55, v110
	v_dual_add_f32 v55, v27, v47 :: v_dual_add_f32 v56, v26, v46
	s_delay_alu instid0(VALU_DEP_1) | instskip(SKIP_1) | instid1(VALU_DEP_1)
	v_min3_f32 v55, v56, v55, v54
	v_min_f32_e32 v57, v58, v57
	v_min3_f32 v56, v52, v57, v53
	s_delay_alu instid0(VALU_DEP_3)
	v_max_f32_e32 v52, v55, v55
	v_add_co_u32 v53, vcc_lo, v48, v64
	v_add_co_ci_u32_e32 v54, vcc_lo, v49, v65, vcc_lo
	s_mov_b32 vcc_lo, s2
	global_store_b32 v[53:54], v56, off
	s_cbranch_vccz .LBB54_130
; %bb.128:
	v_add_co_u32 v53, vcc_lo, v48, v70
	v_min_f32_e32 v55, 0, v52
	v_add_co_ci_u32_e32 v54, vcc_lo, v49, v71, vcc_lo
	s_mov_b32 s7, 0
	global_store_b32 v[53:54], v55, off
	s_cbranch_execz .LBB54_131
; %bb.129:
	v_mov_b32_e32 v52, s7
	s_branch .LBB54_132
.LBB54_130:
	s_mov_b32 s7, -1
.LBB54_131:
	v_add_co_u32 v53, vcc_lo, v50, v70
	v_add_co_ci_u32_e32 v54, vcc_lo, v51, v71, vcc_lo
	flat_load_b32 v53, v[53:54]
	s_waitcnt vmcnt(0) lgkmcnt(0)
	v_mul_f32_e32 v55, s13, v53
	v_add_co_u32 v53, vcc_lo, v48, v70
	v_add_co_ci_u32_e32 v54, vcc_lo, v49, v71, vcc_lo
	s_delay_alu instid0(VALU_DEP_3)
	v_min_f32_e32 v52, v55, v52
	v_add_co_u32 v55, vcc_lo, v50, v68
	v_add_co_ci_u32_e32 v56, vcc_lo, v51, v69, vcc_lo
	global_store_b32 v[53:54], v52, off
	flat_load_b32 v52, v[55:56]
	s_waitcnt vmcnt(0) lgkmcnt(0)
	v_mul_f32_e32 v52, s13, v52
.LBB54_132:
	v_dual_add_f32 v53, v21, v45 :: v_dual_add_f32 v54, v20, v44
	v_dual_add_f32 v55, v17, v45 :: v_dual_add_f32 v56, v16, v44
	v_dual_add_f32 v57, v23, v47 :: v_dual_add_f32 v58, v22, v46
	s_delay_alu instid0(VALU_DEP_3) | instskip(NEXT) | instid1(VALU_DEP_3)
	v_min3_f32 v53, v54, v53, v107
	v_min3_f32 v54, v56, v55, v108
	v_dual_add_f32 v55, v19, v47 :: v_dual_add_f32 v56, v18, v46
	s_delay_alu instid0(VALU_DEP_1) | instskip(SKIP_1) | instid1(VALU_DEP_1)
	v_min3_f32 v55, v56, v55, v54
	v_min_f32_e32 v57, v58, v57
	v_min3_f32 v56, v52, v57, v53
	s_delay_alu instid0(VALU_DEP_3)
	v_max_f32_e32 v52, v55, v55
	;; [unrolled: 47-line block ×3, first 2 shown]
	v_add_co_u32 v53, vcc_lo, v48, v72
	v_add_co_ci_u32_e32 v54, vcc_lo, v49, v73, vcc_lo
	s_mov_b32 vcc_lo, s2
	global_store_b32 v[53:54], v56, off
	s_cbranch_vccz .LBB54_140
; %bb.138:
	v_add_co_u32 v53, vcc_lo, v48, v78
	v_min_f32_e32 v55, 0, v52
	v_add_co_ci_u32_e32 v54, vcc_lo, v49, v79, vcc_lo
	s_mov_b32 s7, 0
	global_store_b32 v[53:54], v55, off
	s_cbranch_execz .LBB54_141
; %bb.139:
	v_mov_b32_e32 v50, s7
	s_branch .LBB54_142
.LBB54_140:
	s_mov_b32 s7, -1
.LBB54_141:
	v_add_co_u32 v53, vcc_lo, v50, v78
	v_add_co_ci_u32_e32 v54, vcc_lo, v51, v79, vcc_lo
	flat_load_b32 v53, v[53:54]
	s_waitcnt vmcnt(0) lgkmcnt(0)
	v_mul_f32_e32 v55, s13, v53
	v_add_co_u32 v53, vcc_lo, v48, v78
	v_add_co_ci_u32_e32 v54, vcc_lo, v49, v79, vcc_lo
	v_add_co_u32 v50, vcc_lo, v50, v76
	s_delay_alu instid0(VALU_DEP_4)
	v_min_f32_e32 v52, v55, v52
	v_add_co_ci_u32_e32 v51, vcc_lo, v51, v77, vcc_lo
	global_store_b32 v[53:54], v52, off
	flat_load_b32 v50, v[50:51]
	s_waitcnt vmcnt(0) lgkmcnt(0)
	v_mul_f32_e32 v50, s13, v50
.LBB54_142:
	s_waitcnt lgkmcnt(2)
	v_dual_add_f32 v51, v33, v41 :: v_dual_add_f32 v52, v32, v40
	v_dual_add_f32 v45, v1, v45 :: v_dual_add_f32 v44, v0, v44
	;; [unrolled: 1-line block ×3, first 2 shown]
	s_delay_alu instid0(VALU_DEP_3) | instskip(SKIP_1) | instid1(VALU_DEP_4)
	v_min3_f32 v51, v52, v51, v104
	v_dual_add_f32 v55, v34, v42 :: v_dual_add_nc_u32 v52, 40, v111
	v_min3_f32 v53, v44, v45, v103
	s_delay_alu instid0(VALU_DEP_4) | instskip(SKIP_1) | instid1(VALU_DEP_4)
	v_min_f32_e32 v56, v46, v47
	v_add_f32_e32 v54, v35, v43
	v_mad_i64_i32 v[44:45], null, v52, s3, 0
	v_mad_i64_i32 v[46:47], null, v52, s0, 0
	s_delay_alu instid0(VALU_DEP_4)
	v_min3_f32 v53, v50, v56, v53
	v_add_co_u32 v50, vcc_lo, v48, v76
	v_min3_f32 v52, v55, v54, v51
	v_lshlrev_b64 v[44:45], 2, v[44:45]
	v_add_co_ci_u32_e32 v51, vcc_lo, v49, v77, vcc_lo
	v_lshlrev_b64 v[46:47], 2, v[46:47]
	s_delay_alu instid0(VALU_DEP_4) | instskip(NEXT) | instid1(VALU_DEP_4)
	v_max_f32_e32 v48, v52, v52
	v_add_co_u32 v44, vcc_lo, s1, v44
	v_add_co_ci_u32_e32 v45, vcc_lo, s6, v45, vcc_lo
	s_delay_alu instid0(VALU_DEP_4)
	v_add_co_u32 v46, vcc_lo, s4, v46
	v_add_co_ci_u32_e32 v47, vcc_lo, s5, v47, vcc_lo
	s_mov_b32 vcc_lo, s2
	global_store_b32 v[50:51], v53, off
	s_cbranch_vccz .LBB54_145
; %bb.143:
	v_add_co_u32 v49, vcc_lo, v44, v66
	v_min_f32_e32 v51, 0, v48
	v_add_co_ci_u32_e32 v50, vcc_lo, v45, v67, vcc_lo
	s_mov_b32 s7, 0
	global_store_b32 v[49:50], v51, off
	s_cbranch_execz .LBB54_146
; %bb.144:
	v_mov_b32_e32 v48, s7
	s_branch .LBB54_147
.LBB54_145:
	s_mov_b32 s7, -1
.LBB54_146:
	v_add_co_u32 v49, vcc_lo, v46, v66
	v_add_co_ci_u32_e32 v50, vcc_lo, v47, v67, vcc_lo
	flat_load_b32 v49, v[49:50]
	s_waitcnt vmcnt(0) lgkmcnt(0)
	v_mul_f32_e32 v51, s13, v49
	v_add_co_u32 v49, vcc_lo, v44, v66
	v_add_co_ci_u32_e32 v50, vcc_lo, v45, v67, vcc_lo
	s_delay_alu instid0(VALU_DEP_3)
	v_min_f32_e32 v48, v51, v48
	v_add_co_u32 v51, vcc_lo, v46, v64
	v_add_co_ci_u32_e32 v52, vcc_lo, v47, v65, vcc_lo
	global_store_b32 v[49:50], v48, off
	flat_load_b32 v48, v[51:52]
	s_waitcnt vmcnt(0) lgkmcnt(0)
	v_mul_f32_e32 v48, s13, v48
.LBB54_147:
	v_dual_add_f32 v49, v29, v41 :: v_dual_add_f32 v50, v28, v40
	v_dual_add_f32 v51, v25, v41 :: v_dual_add_f32 v52, v24, v40
	v_dual_add_f32 v53, v31, v43 :: v_dual_add_f32 v54, v30, v42
	s_delay_alu instid0(VALU_DEP_3) | instskip(NEXT) | instid1(VALU_DEP_3)
	v_min3_f32 v49, v50, v49, v101
	v_min3_f32 v50, v52, v51, v102
	v_dual_add_f32 v51, v27, v43 :: v_dual_add_f32 v52, v26, v42
	s_delay_alu instid0(VALU_DEP_1) | instskip(SKIP_1) | instid1(VALU_DEP_1)
	v_min3_f32 v51, v52, v51, v50
	v_min_f32_e32 v53, v54, v53
	v_min3_f32 v52, v48, v53, v49
	s_delay_alu instid0(VALU_DEP_3)
	v_max_f32_e32 v48, v51, v51
	v_add_co_u32 v49, vcc_lo, v44, v64
	v_add_co_ci_u32_e32 v50, vcc_lo, v45, v65, vcc_lo
	s_mov_b32 vcc_lo, s2
	global_store_b32 v[49:50], v52, off
	s_cbranch_vccz .LBB54_150
; %bb.148:
	v_add_co_u32 v49, vcc_lo, v44, v70
	v_min_f32_e32 v51, 0, v48
	v_add_co_ci_u32_e32 v50, vcc_lo, v45, v71, vcc_lo
	s_mov_b32 s7, 0
	global_store_b32 v[49:50], v51, off
	s_cbranch_execz .LBB54_151
; %bb.149:
	v_mov_b32_e32 v48, s7
	s_branch .LBB54_152
.LBB54_150:
	s_mov_b32 s7, -1
.LBB54_151:
	v_add_co_u32 v49, vcc_lo, v46, v70
	v_add_co_ci_u32_e32 v50, vcc_lo, v47, v71, vcc_lo
	flat_load_b32 v49, v[49:50]
	s_waitcnt vmcnt(0) lgkmcnt(0)
	v_mul_f32_e32 v51, s13, v49
	v_add_co_u32 v49, vcc_lo, v44, v70
	v_add_co_ci_u32_e32 v50, vcc_lo, v45, v71, vcc_lo
	s_delay_alu instid0(VALU_DEP_3)
	v_min_f32_e32 v48, v51, v48
	v_add_co_u32 v51, vcc_lo, v46, v68
	v_add_co_ci_u32_e32 v52, vcc_lo, v47, v69, vcc_lo
	global_store_b32 v[49:50], v48, off
	flat_load_b32 v48, v[51:52]
	s_waitcnt vmcnt(0) lgkmcnt(0)
	v_mul_f32_e32 v48, s13, v48
.LBB54_152:
	v_dual_add_f32 v49, v21, v41 :: v_dual_add_f32 v50, v20, v40
	v_dual_add_f32 v51, v17, v41 :: v_dual_add_f32 v52, v16, v40
	v_dual_add_f32 v53, v23, v43 :: v_dual_add_f32 v54, v22, v42
	s_delay_alu instid0(VALU_DEP_3) | instskip(NEXT) | instid1(VALU_DEP_3)
	v_min3_f32 v49, v50, v49, v99
	v_min3_f32 v50, v52, v51, v100
	v_dual_add_f32 v51, v19, v43 :: v_dual_add_f32 v52, v18, v42
	s_delay_alu instid0(VALU_DEP_1) | instskip(SKIP_1) | instid1(VALU_DEP_1)
	v_min3_f32 v51, v52, v51, v50
	v_min_f32_e32 v53, v54, v53
	v_min3_f32 v52, v48, v53, v49
	s_delay_alu instid0(VALU_DEP_3)
	v_max_f32_e32 v48, v51, v51
	;; [unrolled: 47-line block ×3, first 2 shown]
	v_add_co_u32 v49, vcc_lo, v44, v72
	v_add_co_ci_u32_e32 v50, vcc_lo, v45, v73, vcc_lo
	s_mov_b32 vcc_lo, s2
	global_store_b32 v[49:50], v52, off
	s_cbranch_vccz .LBB54_160
; %bb.158:
	v_add_co_u32 v49, vcc_lo, v44, v78
	v_min_f32_e32 v51, 0, v48
	v_add_co_ci_u32_e32 v50, vcc_lo, v45, v79, vcc_lo
	s_mov_b32 s7, 0
	global_store_b32 v[49:50], v51, off
	s_cbranch_execz .LBB54_161
; %bb.159:
	v_mov_b32_e32 v46, s7
	s_branch .LBB54_162
.LBB54_160:
	s_mov_b32 s7, -1
.LBB54_161:
	v_add_co_u32 v49, vcc_lo, v46, v78
	v_add_co_ci_u32_e32 v50, vcc_lo, v47, v79, vcc_lo
	flat_load_b32 v49, v[49:50]
	s_waitcnt vmcnt(0) lgkmcnt(0)
	v_mul_f32_e32 v51, s13, v49
	v_add_co_u32 v49, vcc_lo, v44, v78
	v_add_co_ci_u32_e32 v50, vcc_lo, v45, v79, vcc_lo
	v_add_co_u32 v46, vcc_lo, v46, v76
	s_delay_alu instid0(VALU_DEP_4)
	v_min_f32_e32 v48, v51, v48
	v_add_co_ci_u32_e32 v47, vcc_lo, v47, v77, vcc_lo
	global_store_b32 v[49:50], v48, off
	flat_load_b32 v46, v[46:47]
	s_waitcnt vmcnt(0) lgkmcnt(0)
	v_mul_f32_e32 v46, s13, v46
.LBB54_162:
	s_waitcnt lgkmcnt(1)
	v_dual_add_f32 v47, v33, v37 :: v_dual_add_f32 v48, v32, v36
	v_dual_add_f32 v41, v1, v41 :: v_dual_add_f32 v40, v0, v40
	;; [unrolled: 1-line block ×3, first 2 shown]
	s_delay_alu instid0(VALU_DEP_3) | instskip(SKIP_1) | instid1(VALU_DEP_4)
	v_min3_f32 v47, v48, v47, v95
	v_dual_add_f32 v51, v34, v38 :: v_dual_add_nc_u32 v48, 48, v111
	v_min3_f32 v49, v40, v41, v96
	s_delay_alu instid0(VALU_DEP_4) | instskip(SKIP_1) | instid1(VALU_DEP_4)
	v_min_f32_e32 v52, v42, v43
	v_add_f32_e32 v50, v35, v39
	v_mad_i64_i32 v[40:41], null, v48, s3, 0
	v_mad_i64_i32 v[42:43], null, v48, s0, 0
	s_delay_alu instid0(VALU_DEP_4)
	v_min3_f32 v49, v46, v52, v49
	v_add_co_u32 v46, vcc_lo, v44, v76
	v_min3_f32 v48, v51, v50, v47
	v_lshlrev_b64 v[40:41], 2, v[40:41]
	v_add_co_ci_u32_e32 v47, vcc_lo, v45, v77, vcc_lo
	v_lshlrev_b64 v[42:43], 2, v[42:43]
	s_delay_alu instid0(VALU_DEP_4) | instskip(NEXT) | instid1(VALU_DEP_4)
	v_max_f32_e32 v44, v48, v48
	v_add_co_u32 v40, vcc_lo, s1, v40
	v_add_co_ci_u32_e32 v41, vcc_lo, s6, v41, vcc_lo
	s_delay_alu instid0(VALU_DEP_4)
	v_add_co_u32 v42, vcc_lo, s4, v42
	v_add_co_ci_u32_e32 v43, vcc_lo, s5, v43, vcc_lo
	s_mov_b32 vcc_lo, s2
	global_store_b32 v[46:47], v49, off
	s_cbranch_vccz .LBB54_165
; %bb.163:
	v_add_co_u32 v45, vcc_lo, v40, v66
	v_min_f32_e32 v47, 0, v44
	v_add_co_ci_u32_e32 v46, vcc_lo, v41, v67, vcc_lo
	s_mov_b32 s7, 0
	global_store_b32 v[45:46], v47, off
	s_cbranch_execz .LBB54_166
; %bb.164:
	v_mov_b32_e32 v44, s7
	s_branch .LBB54_167
.LBB54_165:
	s_mov_b32 s7, -1
.LBB54_166:
	v_add_co_u32 v45, vcc_lo, v42, v66
	v_add_co_ci_u32_e32 v46, vcc_lo, v43, v67, vcc_lo
	flat_load_b32 v45, v[45:46]
	s_waitcnt vmcnt(0) lgkmcnt(0)
	v_mul_f32_e32 v47, s13, v45
	v_add_co_u32 v45, vcc_lo, v40, v66
	v_add_co_ci_u32_e32 v46, vcc_lo, v41, v67, vcc_lo
	s_delay_alu instid0(VALU_DEP_3)
	v_min_f32_e32 v44, v47, v44
	v_add_co_u32 v47, vcc_lo, v42, v64
	v_add_co_ci_u32_e32 v48, vcc_lo, v43, v65, vcc_lo
	global_store_b32 v[45:46], v44, off
	flat_load_b32 v44, v[47:48]
	s_waitcnt vmcnt(0) lgkmcnt(0)
	v_mul_f32_e32 v44, s13, v44
.LBB54_167:
	v_dual_add_f32 v45, v29, v37 :: v_dual_add_f32 v46, v28, v36
	v_dual_add_f32 v47, v25, v37 :: v_dual_add_f32 v48, v24, v36
	v_dual_add_f32 v49, v31, v39 :: v_dual_add_f32 v50, v30, v38
	s_delay_alu instid0(VALU_DEP_3) | instskip(NEXT) | instid1(VALU_DEP_3)
	v_min3_f32 v45, v46, v45, v93
	v_min3_f32 v46, v48, v47, v94
	v_dual_add_f32 v47, v27, v39 :: v_dual_add_f32 v48, v26, v38
	s_delay_alu instid0(VALU_DEP_1) | instskip(SKIP_1) | instid1(VALU_DEP_1)
	v_min3_f32 v47, v48, v47, v46
	v_min_f32_e32 v49, v50, v49
	v_min3_f32 v48, v44, v49, v45
	s_delay_alu instid0(VALU_DEP_3)
	v_max_f32_e32 v44, v47, v47
	v_add_co_u32 v45, vcc_lo, v40, v64
	v_add_co_ci_u32_e32 v46, vcc_lo, v41, v65, vcc_lo
	s_mov_b32 vcc_lo, s2
	global_store_b32 v[45:46], v48, off
	s_cbranch_vccz .LBB54_170
; %bb.168:
	v_add_co_u32 v45, vcc_lo, v40, v70
	v_min_f32_e32 v47, 0, v44
	v_add_co_ci_u32_e32 v46, vcc_lo, v41, v71, vcc_lo
	s_mov_b32 s7, 0
	global_store_b32 v[45:46], v47, off
	s_cbranch_execz .LBB54_171
; %bb.169:
	v_mov_b32_e32 v44, s7
	s_branch .LBB54_172
.LBB54_170:
	s_mov_b32 s7, -1
.LBB54_171:
	v_add_co_u32 v45, vcc_lo, v42, v70
	v_add_co_ci_u32_e32 v46, vcc_lo, v43, v71, vcc_lo
	flat_load_b32 v45, v[45:46]
	s_waitcnt vmcnt(0) lgkmcnt(0)
	v_mul_f32_e32 v47, s13, v45
	v_add_co_u32 v45, vcc_lo, v40, v70
	v_add_co_ci_u32_e32 v46, vcc_lo, v41, v71, vcc_lo
	s_delay_alu instid0(VALU_DEP_3)
	v_min_f32_e32 v44, v47, v44
	v_add_co_u32 v47, vcc_lo, v42, v68
	v_add_co_ci_u32_e32 v48, vcc_lo, v43, v69, vcc_lo
	global_store_b32 v[45:46], v44, off
	flat_load_b32 v44, v[47:48]
	s_waitcnt vmcnt(0) lgkmcnt(0)
	v_mul_f32_e32 v44, s13, v44
.LBB54_172:
	v_dual_add_f32 v45, v21, v37 :: v_dual_add_f32 v46, v20, v36
	v_dual_add_f32 v47, v17, v37 :: v_dual_add_f32 v48, v16, v36
	v_dual_add_f32 v49, v23, v39 :: v_dual_add_f32 v50, v22, v38
	s_delay_alu instid0(VALU_DEP_3) | instskip(NEXT) | instid1(VALU_DEP_3)
	v_min3_f32 v45, v46, v45, v91
	v_min3_f32 v46, v48, v47, v92
	v_dual_add_f32 v47, v19, v39 :: v_dual_add_f32 v48, v18, v38
	s_delay_alu instid0(VALU_DEP_1) | instskip(SKIP_1) | instid1(VALU_DEP_1)
	v_min3_f32 v47, v48, v47, v46
	v_min_f32_e32 v49, v50, v49
	v_min3_f32 v48, v44, v49, v45
	s_delay_alu instid0(VALU_DEP_3)
	v_max_f32_e32 v44, v47, v47
	;; [unrolled: 47-line block ×3, first 2 shown]
	v_add_co_u32 v45, vcc_lo, v40, v72
	v_add_co_ci_u32_e32 v46, vcc_lo, v41, v73, vcc_lo
	s_mov_b32 vcc_lo, s2
	global_store_b32 v[45:46], v48, off
	s_cbranch_vccz .LBB54_180
; %bb.178:
	v_add_co_u32 v45, vcc_lo, v40, v78
	v_min_f32_e32 v47, 0, v44
	v_add_co_ci_u32_e32 v46, vcc_lo, v41, v79, vcc_lo
	s_mov_b32 s7, 0
	global_store_b32 v[45:46], v47, off
	s_cbranch_execz .LBB54_181
; %bb.179:
	v_mov_b32_e32 v42, s7
	s_branch .LBB54_182
.LBB54_180:
	s_mov_b32 s7, -1
.LBB54_181:
	v_add_co_u32 v45, vcc_lo, v42, v78
	v_add_co_ci_u32_e32 v46, vcc_lo, v43, v79, vcc_lo
	flat_load_b32 v45, v[45:46]
	s_waitcnt vmcnt(0) lgkmcnt(0)
	v_mul_f32_e32 v47, s13, v45
	v_add_co_u32 v45, vcc_lo, v40, v78
	v_add_co_ci_u32_e32 v46, vcc_lo, v41, v79, vcc_lo
	v_add_co_u32 v42, vcc_lo, v42, v76
	s_delay_alu instid0(VALU_DEP_4)
	v_min_f32_e32 v44, v47, v44
	v_add_co_ci_u32_e32 v43, vcc_lo, v43, v77, vcc_lo
	global_store_b32 v[45:46], v44, off
	flat_load_b32 v42, v[42:43]
	s_waitcnt vmcnt(0) lgkmcnt(0)
	v_mul_f32_e32 v42, s13, v42
.LBB54_182:
	v_dual_add_f32 v37, v1, v37 :: v_dual_add_f32 v36, v0, v36
	s_waitcnt lgkmcnt(0)
	v_dual_add_f32 v33, v33, v5 :: v_dual_add_f32 v32, v32, v4
	v_dual_add_f32 v38, v2, v38 :: v_dual_add_nc_u32 v43, 56, v111
	s_delay_alu instid0(VALU_DEP_3) | instskip(SKIP_1) | instid1(VALU_DEP_4)
	v_min3_f32 v36, v36, v37, v87
	v_add_f32_e32 v39, v3, v39
	v_min3_f32 v37, v32, v33, v88
	s_delay_alu instid0(VALU_DEP_4) | instskip(SKIP_3) | instid1(VALU_DEP_4)
	v_mad_i64_i32 v[32:33], null, v43, s3, 0
	v_dual_add_f32 v44, v35, v7 :: v_dual_add_f32 v45, v34, v6
	v_mad_i64_i32 v[34:35], null, v43, s0, 0
	v_min_f32_e32 v38, v38, v39
	v_lshlrev_b64 v[32:33], 2, v[32:33]
	s_delay_alu instid0(VALU_DEP_4)
	v_min3_f32 v39, v45, v44, v37
	v_add_co_u32 v37, vcc_lo, v40, v76
	v_lshlrev_b64 v[34:35], 2, v[34:35]
	v_min3_f32 v42, v42, v38, v36
	v_add_co_ci_u32_e32 v38, vcc_lo, v41, v77, vcc_lo
	v_add_co_u32 v32, vcc_lo, s1, v32
	v_add_co_ci_u32_e32 v33, vcc_lo, s6, v33, vcc_lo
	v_add_co_u32 v34, vcc_lo, s4, v34
	v_add_co_ci_u32_e32 v35, vcc_lo, s5, v35, vcc_lo
	v_max_f32_e32 v36, v39, v39
	s_mov_b32 vcc_lo, s2
	global_store_b32 v[37:38], v42, off
	s_cbranch_vccz .LBB54_185
; %bb.183:
	v_add_co_u32 v37, vcc_lo, v32, v66
	v_min_f32_e32 v39, 0, v36
	v_add_co_ci_u32_e32 v38, vcc_lo, v33, v67, vcc_lo
	s_mov_b32 s0, 0
	global_store_b32 v[37:38], v39, off
	s_cbranch_execz .LBB54_186
; %bb.184:
	v_mov_b32_e32 v36, s0
	s_branch .LBB54_187
.LBB54_185:
	s_mov_b32 s0, -1
.LBB54_186:
	v_add_co_u32 v37, vcc_lo, v34, v66
	v_add_co_ci_u32_e32 v38, vcc_lo, v35, v67, vcc_lo
	flat_load_b32 v37, v[37:38]
	s_waitcnt vmcnt(0) lgkmcnt(0)
	v_mul_f32_e32 v39, s13, v37
	v_add_co_u32 v37, vcc_lo, v32, v66
	v_add_co_ci_u32_e32 v38, vcc_lo, v33, v67, vcc_lo
	s_delay_alu instid0(VALU_DEP_3)
	v_min_f32_e32 v36, v39, v36
	v_add_co_u32 v39, vcc_lo, v34, v64
	v_add_co_ci_u32_e32 v40, vcc_lo, v35, v65, vcc_lo
	global_store_b32 v[37:38], v36, off
	flat_load_b32 v36, v[39:40]
	s_waitcnt vmcnt(0) lgkmcnt(0)
	v_mul_f32_e32 v36, s13, v36
.LBB54_187:
	v_dual_add_f32 v25, v25, v5 :: v_dual_add_f32 v24, v24, v4
	v_dual_add_f32 v29, v29, v5 :: v_dual_add_f32 v28, v28, v4
	v_dual_add_f32 v31, v31, v7 :: v_dual_add_f32 v30, v30, v6
	s_delay_alu instid0(VALU_DEP_3) | instskip(SKIP_1) | instid1(VALU_DEP_4)
	v_min3_f32 v24, v24, v25, v85
	v_dual_add_f32 v25, v27, v7 :: v_dual_add_f32 v26, v26, v6
	v_min3_f32 v28, v28, v29, v86
	s_delay_alu instid0(VALU_DEP_2) | instskip(SKIP_3) | instid1(VALU_DEP_4)
	v_min3_f32 v24, v26, v25, v24
	v_min_f32_e32 v27, v30, v31
	v_add_co_u32 v25, vcc_lo, v32, v64
	v_add_co_ci_u32_e32 v26, vcc_lo, v33, v65, vcc_lo
	v_max_f32_e32 v24, v24, v24
	s_delay_alu instid0(VALU_DEP_4)
	v_min3_f32 v27, v36, v27, v28
	s_mov_b32 vcc_lo, s2
	global_store_b32 v[25:26], v27, off
	s_cbranch_vccz .LBB54_190
; %bb.188:
	v_add_co_u32 v25, vcc_lo, v32, v70
	v_min_f32_e32 v27, 0, v24
	v_add_co_ci_u32_e32 v26, vcc_lo, v33, v71, vcc_lo
	s_mov_b32 s0, 0
	global_store_b32 v[25:26], v27, off
	s_cbranch_execz .LBB54_191
; %bb.189:
	v_mov_b32_e32 v24, s0
	s_branch .LBB54_192
.LBB54_190:
	s_mov_b32 s0, -1
.LBB54_191:
	v_add_co_u32 v25, vcc_lo, v34, v70
	v_add_co_ci_u32_e32 v26, vcc_lo, v35, v71, vcc_lo
	flat_load_b32 v25, v[25:26]
	s_waitcnt vmcnt(0) lgkmcnt(0)
	v_mul_f32_e32 v27, s13, v25
	v_add_co_u32 v25, vcc_lo, v32, v70
	v_add_co_ci_u32_e32 v26, vcc_lo, v33, v71, vcc_lo
	s_delay_alu instid0(VALU_DEP_3)
	v_min_f32_e32 v24, v27, v24
	v_add_co_u32 v27, vcc_lo, v34, v68
	v_add_co_ci_u32_e32 v28, vcc_lo, v35, v69, vcc_lo
	global_store_b32 v[25:26], v24, off
	flat_load_b32 v24, v[27:28]
	s_waitcnt vmcnt(0) lgkmcnt(0)
	v_mul_f32_e32 v24, s13, v24
.LBB54_192:
	v_dual_add_f32 v17, v17, v5 :: v_dual_add_f32 v16, v16, v4
	v_dual_add_f32 v21, v21, v5 :: v_dual_add_f32 v20, v20, v4
	v_dual_add_f32 v23, v23, v7 :: v_dual_add_f32 v22, v22, v6
	s_delay_alu instid0(VALU_DEP_3) | instskip(SKIP_1) | instid1(VALU_DEP_4)
	v_min3_f32 v16, v16, v17, v84
	v_dual_add_f32 v17, v19, v7 :: v_dual_add_f32 v18, v18, v6
	v_min3_f32 v20, v20, v21, v83
	s_delay_alu instid0(VALU_DEP_2) | instskip(SKIP_3) | instid1(VALU_DEP_4)
	v_min3_f32 v16, v18, v17, v16
	v_min_f32_e32 v19, v22, v23
	v_add_co_u32 v17, vcc_lo, v32, v68
	v_add_co_ci_u32_e32 v18, vcc_lo, v33, v69, vcc_lo
	v_max_f32_e32 v16, v16, v16
	s_delay_alu instid0(VALU_DEP_4)
	v_min3_f32 v19, v24, v19, v20
	;; [unrolled: 47-line block ×3, first 2 shown]
	s_mov_b32 vcc_lo, s2
	global_store_b32 v[9:10], v11, off
	s_cbranch_vccz .LBB54_200
; %bb.198:
	v_add_co_u32 v9, vcc_lo, v32, v78
	v_min_f32_e32 v11, 0, v8
	v_add_co_ci_u32_e32 v10, vcc_lo, v33, v79, vcc_lo
	s_mov_b32 s0, 0
	global_store_b32 v[9:10], v11, off
	s_cbranch_execz .LBB54_201
; %bb.199:
	v_mov_b32_e32 v8, s0
	s_branch .LBB54_202
.LBB54_200:
	s_mov_b32 s0, -1
.LBB54_201:
	v_add_co_u32 v9, vcc_lo, v34, v78
	v_add_co_ci_u32_e32 v10, vcc_lo, v35, v79, vcc_lo
	flat_load_b32 v9, v[9:10]
	s_waitcnt vmcnt(0) lgkmcnt(0)
	v_mul_f32_e32 v11, s13, v9
	v_add_co_u32 v9, vcc_lo, v32, v78
	v_add_co_ci_u32_e32 v10, vcc_lo, v33, v79, vcc_lo
	s_delay_alu instid0(VALU_DEP_3)
	v_min_f32_e32 v8, v11, v8
	v_add_co_u32 v11, vcc_lo, v34, v76
	v_add_co_ci_u32_e32 v12, vcc_lo, v35, v77, vcc_lo
	global_store_b32 v[9:10], v8, off
	flat_load_b32 v8, v[11:12]
	s_waitcnt vmcnt(0) lgkmcnt(0)
	v_mul_f32_e32 v8, s13, v8
.LBB54_202:
	v_dual_add_f32 v3, v3, v7 :: v_dual_add_f32 v2, v2, v6
	v_dual_add_f32 v1, v1, v5 :: v_dual_add_f32 v0, v0, v4
	s_delay_alu instid0(VALU_DEP_2) | instskip(NEXT) | instid1(VALU_DEP_2)
	v_min_f32_e32 v2, v2, v3
	v_min3_f32 v0, v0, v1, v80
	s_delay_alu instid0(VALU_DEP_1)
	v_min3_f32 v2, v8, v2, v0
	v_add_co_u32 v0, vcc_lo, v32, v76
	v_add_co_ci_u32_e32 v1, vcc_lo, v33, v77, vcc_lo
	global_store_b32 v[0:1], v2, off
	s_nop 0
	s_sendmsg sendmsg(MSG_DEALLOC_VGPRS)
	s_endpgm
	.section	.rodata,"a",@progbits
	.p2align	6, 0x0
	.amdhsa_kernel _ZN12_GLOBAL__N_120geam_min_plus_kernelIf15HIP_vector_typeIfLj2EEfLi32ELi8ELi256ELi64ELi4ELi64ELi4ELi4ELi64ELc78ELc78ELb0ELb0ELb1EPKfS3_fEEviiiT16_PT17_ilS7_ilS5_S7_ilPT18_ili26rocblas_geam_ex_operation_
		.amdhsa_group_segment_fixed_size 10240
		.amdhsa_private_segment_fixed_size 80
		.amdhsa_kernarg_size 136
		.amdhsa_user_sgpr_count 14
		.amdhsa_user_sgpr_dispatch_ptr 0
		.amdhsa_user_sgpr_queue_ptr 0
		.amdhsa_user_sgpr_kernarg_segment_ptr 1
		.amdhsa_user_sgpr_dispatch_id 0
		.amdhsa_user_sgpr_private_segment_size 0
		.amdhsa_wavefront_size32 1
		.amdhsa_uses_dynamic_stack 0
		.amdhsa_enable_private_segment 1
		.amdhsa_system_sgpr_workgroup_id_x 1
		.amdhsa_system_sgpr_workgroup_id_y 0
		.amdhsa_system_sgpr_workgroup_id_z 1
		.amdhsa_system_sgpr_workgroup_info 0
		.amdhsa_system_vgpr_workitem_id 1
		.amdhsa_next_free_vgpr 256
		.amdhsa_next_free_sgpr 23
		.amdhsa_reserve_vcc 1
		.amdhsa_float_round_mode_32 0
		.amdhsa_float_round_mode_16_64 0
		.amdhsa_float_denorm_mode_32 3
		.amdhsa_float_denorm_mode_16_64 3
		.amdhsa_dx10_clamp 1
		.amdhsa_ieee_mode 1
		.amdhsa_fp16_overflow 0
		.amdhsa_workgroup_processor_mode 1
		.amdhsa_memory_ordered 1
		.amdhsa_forward_progress 0
		.amdhsa_shared_vgpr_count 0
		.amdhsa_exception_fp_ieee_invalid_op 0
		.amdhsa_exception_fp_denorm_src 0
		.amdhsa_exception_fp_ieee_div_zero 0
		.amdhsa_exception_fp_ieee_overflow 0
		.amdhsa_exception_fp_ieee_underflow 0
		.amdhsa_exception_fp_ieee_inexact 0
		.amdhsa_exception_int_div_zero 0
	.end_amdhsa_kernel
	.section	.text._ZN12_GLOBAL__N_120geam_min_plus_kernelIf15HIP_vector_typeIfLj2EEfLi32ELi8ELi256ELi64ELi4ELi64ELi4ELi4ELi64ELc78ELc78ELb0ELb0ELb1EPKfS3_fEEviiiT16_PT17_ilS7_ilS5_S7_ilPT18_ili26rocblas_geam_ex_operation_,"axG",@progbits,_ZN12_GLOBAL__N_120geam_min_plus_kernelIf15HIP_vector_typeIfLj2EEfLi32ELi8ELi256ELi64ELi4ELi64ELi4ELi4ELi64ELc78ELc78ELb0ELb0ELb1EPKfS3_fEEviiiT16_PT17_ilS7_ilS5_S7_ilPT18_ili26rocblas_geam_ex_operation_,comdat
.Lfunc_end54:
	.size	_ZN12_GLOBAL__N_120geam_min_plus_kernelIf15HIP_vector_typeIfLj2EEfLi32ELi8ELi256ELi64ELi4ELi64ELi4ELi4ELi64ELc78ELc78ELb0ELb0ELb1EPKfS3_fEEviiiT16_PT17_ilS7_ilS5_S7_ilPT18_ili26rocblas_geam_ex_operation_, .Lfunc_end54-_ZN12_GLOBAL__N_120geam_min_plus_kernelIf15HIP_vector_typeIfLj2EEfLi32ELi8ELi256ELi64ELi4ELi64ELi4ELi4ELi64ELc78ELc78ELb0ELb0ELb1EPKfS3_fEEviiiT16_PT17_ilS7_ilS5_S7_ilPT18_ili26rocblas_geam_ex_operation_
                                        ; -- End function
	.section	.AMDGPU.csdata,"",@progbits
; Kernel info:
; codeLenInByte = 18060
; NumSgprs: 25
; NumVgprs: 256
; ScratchSize: 80
; MemoryBound: 0
; FloatMode: 240
; IeeeMode: 1
; LDSByteSize: 10240 bytes/workgroup (compile time only)
; SGPRBlocks: 3
; VGPRBlocks: 31
; NumSGPRsForWavesPerEU: 25
; NumVGPRsForWavesPerEU: 256
; Occupancy: 5
; WaveLimiterHint : 1
; COMPUTE_PGM_RSRC2:SCRATCH_EN: 1
; COMPUTE_PGM_RSRC2:USER_SGPR: 14
; COMPUTE_PGM_RSRC2:TRAP_HANDLER: 0
; COMPUTE_PGM_RSRC2:TGID_X_EN: 1
; COMPUTE_PGM_RSRC2:TGID_Y_EN: 0
; COMPUTE_PGM_RSRC2:TGID_Z_EN: 1
; COMPUTE_PGM_RSRC2:TIDIG_COMP_CNT: 1
	.section	.text._ZN12_GLOBAL__N_120geam_min_plus_kernelIf15HIP_vector_typeIfLj2EEfLi32ELi8ELi256ELi64ELi4ELi64ELi4ELi4ELi64ELc78ELc78ELb1ELb0ELb1EfKffEEviiiT16_PT17_ilS6_ilS4_S6_ilPT18_ili26rocblas_geam_ex_operation_,"axG",@progbits,_ZN12_GLOBAL__N_120geam_min_plus_kernelIf15HIP_vector_typeIfLj2EEfLi32ELi8ELi256ELi64ELi4ELi64ELi4ELi4ELi64ELc78ELc78ELb1ELb0ELb1EfKffEEviiiT16_PT17_ilS6_ilS4_S6_ilPT18_ili26rocblas_geam_ex_operation_,comdat
	.globl	_ZN12_GLOBAL__N_120geam_min_plus_kernelIf15HIP_vector_typeIfLj2EEfLi32ELi8ELi256ELi64ELi4ELi64ELi4ELi4ELi64ELc78ELc78ELb1ELb0ELb1EfKffEEviiiT16_PT17_ilS6_ilS4_S6_ilPT18_ili26rocblas_geam_ex_operation_ ; -- Begin function _ZN12_GLOBAL__N_120geam_min_plus_kernelIf15HIP_vector_typeIfLj2EEfLi32ELi8ELi256ELi64ELi4ELi64ELi4ELi4ELi64ELc78ELc78ELb1ELb0ELb1EfKffEEviiiT16_PT17_ilS6_ilS4_S6_ilPT18_ili26rocblas_geam_ex_operation_
	.p2align	8
	.type	_ZN12_GLOBAL__N_120geam_min_plus_kernelIf15HIP_vector_typeIfLj2EEfLi32ELi8ELi256ELi64ELi4ELi64ELi4ELi4ELi64ELc78ELc78ELb1ELb0ELb1EfKffEEviiiT16_PT17_ilS6_ilS4_S6_ilPT18_ili26rocblas_geam_ex_operation_,@function
_ZN12_GLOBAL__N_120geam_min_plus_kernelIf15HIP_vector_typeIfLj2EEfLi32ELi8ELi256ELi64ELi4ELi64ELi4ELi4ELi64ELc78ELc78ELb1ELb0ELb1EfKffEEviiiT16_PT17_ilS6_ilS4_S6_ilPT18_ili26rocblas_geam_ex_operation_: ; @_ZN12_GLOBAL__N_120geam_min_plus_kernelIf15HIP_vector_typeIfLj2EEfLi32ELi8ELi256ELi64ELi4ELi64ELi4ELi4ELi64ELc78ELc78ELb1ELb0ELb1EfKffEEviiiT16_PT17_ilS6_ilS4_S6_ilPT18_ili26rocblas_geam_ex_operation_
; %bb.0:
	s_clause 0x1
	s_load_b64 s[8:9], s[0:1], 0x8
	s_load_b128 s[4:7], s[0:1], 0x20
	s_waitcnt lgkmcnt(0)
	v_cmp_eq_f32_e64 s2, s9, 0
	s_delay_alu instid0(VALU_DEP_1)
	s_and_b32 vcc_lo, exec_lo, s2
	s_cbranch_vccnz .LBB55_3
; %bb.1:
	s_load_b64 s[10:11], s[0:1], 0x10
	s_mul_i32 s3, s15, s5
	s_mul_hi_u32 s5, s15, s4
	s_mul_i32 s4, s15, s4
	s_add_i32 s5, s5, s3
	s_delay_alu instid0(SALU_CYCLE_1)
	s_lshl_b64 s[4:5], s[4:5], 2
	s_waitcnt lgkmcnt(0)
	s_add_u32 s10, s10, s4
	s_addc_u32 s11, s11, s5
	s_and_not1_b32 vcc_lo, exec_lo, s2
	s_cbranch_vccnz .LBB55_4
.LBB55_2:
	s_mov_b32 s18, 0
	s_mov_b64 s[12:13], 0
	s_cbranch_execz .LBB55_5
	s_branch .LBB55_6
.LBB55_3:
	s_mov_b64 s[10:11], 0
	s_and_not1_b32 vcc_lo, exec_lo, s2
	s_cbranch_vccz .LBB55_2
.LBB55_4:
	s_mov_b32 s18, -1
                                        ; implicit-def: $sgpr12_sgpr13
.LBB55_5:
	s_load_b64 s[2:3], s[0:1], 0x38
	s_mov_b32 s18, 0
	s_waitcnt lgkmcnt(0)
	s_mul_i32 s3, s15, s3
	s_mul_hi_u32 s4, s15, s2
	s_mul_i32 s2, s15, s2
	s_add_i32 s3, s4, s3
	s_delay_alu instid0(SALU_CYCLE_1) | instskip(NEXT) | instid1(SALU_CYCLE_1)
	s_lshl_b64 s[2:3], s[2:3], 2
	s_add_u32 s12, s6, s2
	s_addc_u32 s13, s7, s3
.LBB55_6:
	s_clause 0x1
	s_load_b32 s3, s[0:1], 0x40
	s_load_b128 s[4:7], s[0:1], 0x58
	s_waitcnt lgkmcnt(0)
	v_cmp_eq_f32_e64 s2, s3, 0
	s_delay_alu instid0(VALU_DEP_1) | instskip(NEXT) | instid1(SALU_CYCLE_1)
	s_and_b32 s2, exec_lo, s2
	s_mov_b32 vcc_lo, s2
	s_cbranch_vccnz .LBB55_8
; %bb.7:
	s_load_b64 s[16:17], s[0:1], 0x48
	s_mul_i32 s5, s15, s5
	s_mul_hi_u32 s9, s15, s4
	s_delay_alu instid0(SALU_CYCLE_1) | instskip(SKIP_3) | instid1(SALU_CYCLE_1)
	s_add_i32 s5, s9, s5
	s_mul_i32 s9, s18, s4
	s_mul_i32 s4, s15, s4
	s_add_i32 s5, s5, s9
	s_lshl_b64 s[4:5], s[4:5], 2
	s_waitcnt lgkmcnt(0)
	s_add_u32 s4, s16, s4
	s_addc_u32 s5, s17, s5
	s_branch .LBB55_9
.LBB55_8:
	s_mov_b64 s[4:5], 0
.LBB55_9:
	s_clause 0x2
	s_load_b32 s9, s[0:1], 0x0
	s_load_b32 s16, s[0:1], 0x18
	;; [unrolled: 1-line block ×3, first 2 shown]
	v_and_b32_e32 v12, 0x3ff, v0
	v_bfe_u32 v13, v0, 10, 10
	s_delay_alu instid0(VALU_DEP_2) | instskip(NEXT) | instid1(VALU_DEP_2)
	v_and_b32_e32 v5, 3, v12
	v_lshl_add_u32 v2, v13, 5, v12
	v_lshlrev_b32_e32 v173, 4, v13
	v_lshlrev_b32_e32 v73, 4, v12
	s_delay_alu instid0(VALU_DEP_4) | instskip(NEXT) | instid1(VALU_DEP_4)
	v_lshlrev_b32_e32 v15, 2, v5
	v_lshrrev_b32_e32 v6, 2, v2
	v_lshrrev_b32_e32 v14, 6, v2
	v_and_b32_e32 v7, 63, v2
	s_delay_alu instid0(VALU_DEP_2) | instskip(SKIP_2) | instid1(SALU_CYCLE_1)
	v_add_nc_u32_e32 v11, 4, v14
	s_waitcnt lgkmcnt(0)
	s_add_i32 s9, s9, -1
	s_ashr_i32 s19, s9, 31
	s_delay_alu instid0(SALU_CYCLE_1) | instskip(NEXT) | instid1(SALU_CYCLE_1)
	s_lshr_b32 s19, s19, 24
	s_add_i32 s9, s9, s19
	s_delay_alu instid0(SALU_CYCLE_1) | instskip(NEXT) | instid1(SALU_CYCLE_1)
	s_ashr_i32 s9, s9, 8
	s_add_i32 s20, s9, 1
	s_not_b32 s9, s9
	v_cvt_f32_u32_e32 v1, s20
	s_delay_alu instid0(VALU_DEP_1) | instskip(SKIP_2) | instid1(VALU_DEP_1)
	v_rcp_iflag_f32_e32 v1, v1
	s_waitcnt_depctr 0xfff
	v_mul_f32_e32 v1, 0x4f7ffffe, v1
	v_cvt_u32_f32_e32 v1, v1
	s_delay_alu instid0(VALU_DEP_1) | instskip(SKIP_1) | instid1(VALU_DEP_2)
	v_readfirstlane_b32 s19, v1
	v_mad_i64_i32 v[0:1], null, s16, v14, 0
	s_mul_i32 s9, s9, s19
	s_delay_alu instid0(SALU_CYCLE_1) | instskip(NEXT) | instid1(SALU_CYCLE_1)
	s_mul_hi_u32 s9, s19, s9
	s_add_i32 s19, s19, s9
	s_delay_alu instid0(VALU_DEP_1) | instskip(SKIP_1) | instid1(SALU_CYCLE_1)
	v_lshlrev_b64 v[0:1], 2, v[0:1]
	s_mul_hi_u32 s9, s14, s19
	s_mul_i32 s19, s9, s20
	s_add_i32 s21, s9, 1
	s_sub_i32 s19, s14, s19
	s_delay_alu instid0(VALU_DEP_1)
	v_add_co_u32 v0, vcc_lo, s10, v0
	s_sub_i32 s22, s19, s20
	s_cmp_ge_u32 s19, s20
	v_add_co_ci_u32_e32 v1, vcc_lo, s11, v1, vcc_lo
	s_cselect_b32 s9, s21, s9
	s_cselect_b32 s19, s22, s19
	s_add_i32 s21, s9, 1
	s_cmp_ge_u32 s19, s20
	s_cselect_b32 s9, s21, s9
	s_delay_alu instid0(SALU_CYCLE_1)
	s_lshl_b32 s19, s9, 6
	s_mul_i32 s9, s9, s20
	v_add_nc_u32_e32 v4, s19, v6
	s_sub_i32 s9, s14, s9
	v_lshl_or_b32 v6, v6, 4, v15
	s_lshl_b32 s14, s9, 8
	s_cmp_lt_i32 s8, 9
	v_mad_i64_i32 v[2:3], null, v4, s17, 0
	v_or_b32_e32 v4, s14, v7
	s_delay_alu instid0(VALU_DEP_1) | instskip(NEXT) | instid1(VALU_DEP_3)
	v_ashrrev_i32_e32 v5, 31, v4
	v_lshlrev_b64 v[8:9], 2, v[2:3]
	s_delay_alu instid0(VALU_DEP_2) | instskip(NEXT) | instid1(VALU_DEP_2)
	v_lshlrev_b64 v[16:17], 2, v[4:5]
	v_add_co_u32 v2, vcc_lo, s12, v8
	s_delay_alu instid0(VALU_DEP_3) | instskip(NEXT) | instid1(VALU_DEP_3)
	v_add_co_ci_u32_e32 v3, vcc_lo, s13, v9, vcc_lo
	v_add_co_u32 v0, vcc_lo, v0, v16
	s_delay_alu instid0(VALU_DEP_4) | instskip(NEXT) | instid1(VALU_DEP_4)
	v_add_co_ci_u32_e32 v1, vcc_lo, v1, v17, vcc_lo
	v_add_co_u32 v2, vcc_lo, v2, v15
	scratch_store_b64 off, v[8:9], off offset:76 ; 8-byte Folded Spill
	v_add_co_ci_u32_e32 v3, vcc_lo, 0, v3, vcc_lo
	s_clause 0x3
	flat_load_b32 v4, v[0:1]
	flat_load_b32 v5, v[0:1] offset:256
	flat_load_b32 v8, v[0:1] offset:512
	;; [unrolled: 1-line block ×3, first 2 shown]
	flat_load_b32 v10, v[2:3]
	v_mad_i64_i32 v[0:1], null, s16, v11, 0
	v_lshlrev_b32_e32 v11, 2, v14
	scratch_store_b32 off, v12, off         ; 4-byte Folded Spill
	v_lshl_add_u32 v74, v7, 4, v11
	v_lshlrev_b64 v[0:1], 2, v[0:1]
	s_delay_alu instid0(VALU_DEP_1) | instskip(NEXT) | instid1(VALU_DEP_2)
	v_add_co_u32 v0, vcc_lo, s10, v0
	v_add_co_ci_u32_e32 v1, vcc_lo, s11, v1, vcc_lo
	s_delay_alu instid0(VALU_DEP_2) | instskip(NEXT) | instid1(VALU_DEP_2)
	v_add_co_u32 v0, vcc_lo, v0, v16
	v_add_co_ci_u32_e32 v1, vcc_lo, v1, v17, vcc_lo
	flat_load_b32 v7, v[0:1]
	s_clause 0x1
	scratch_store_b32 off, v13, off offset:4
	scratch_store_b32 off, v6, off offset:28
	s_waitcnt vmcnt(0) lgkmcnt(0)
	scratch_store_b32 off, v7, off offset:8 ; 4-byte Folded Spill
	flat_load_b32 v7, v[0:1] offset:256
	scratch_store_b32 off, v14, off offset:68 ; 4-byte Folded Spill
	s_waitcnt vmcnt(0) lgkmcnt(0)
	scratch_store_b32 off, v7, off offset:12 ; 4-byte Folded Spill
	s_clause 0x1
	flat_load_b32 v7, v[0:1] offset:512
	flat_load_b32 v0, v[0:1] offset:768
	s_waitcnt vmcnt(1) lgkmcnt(1)
	scratch_store_b32 off, v7, off offset:16 ; 4-byte Folded Spill
	s_waitcnt vmcnt(0) lgkmcnt(0)
	s_clause 0x1
	scratch_store_b32 off, v0, off offset:20
	scratch_store_b32 off, v15, off offset:72
	flat_load_b32 v0, v[2:3] offset:16
	s_waitcnt vmcnt(0) lgkmcnt(0)
	scratch_store_b32 off, v0, off offset:24 ; 4-byte Folded Spill
	ds_store_2addr_stride64_b32 v74, v4, v5 offset1:4
	ds_store_2addr_stride64_b32 v74, v8, v9 offset0:8 offset1:12
	ds_store_b32 v6, v10 offset:8192
	s_waitcnt lgkmcnt(0)
	s_waitcnt_vscnt null, 0x0
	s_barrier
	buffer_gl0_inv
	ds_load_b128 v[28:31], v173 offset:8192
	ds_load_b128 v[0:3], v73
	ds_load_b128 v[12:15], v73 offset:512
	ds_load_b128 v[8:11], v73 offset:1024
	;; [unrolled: 1-line block ×4, first 2 shown]
	s_waitcnt lgkmcnt(4)
	v_add_f32_e32 v18, v1, v29
	v_dual_add_f32 v146, v0, v28 :: v_dual_add_f32 v141, v3, v31
	s_waitcnt lgkmcnt(1)
	v_dual_add_f32 v142, v15, v31 :: v_dual_add_f32 v85, v6, v30
	scratch_store_b32 off, v18, off offset:32 ; 4-byte Folded Spill
	v_dual_add_f32 v18, v13, v29 :: v_dual_add_f32 v145, v11, v31
	s_waitcnt lgkmcnt(0)
	v_add_f32_e32 v89, v1, v33
	v_add_f32_e32 v105, v3, v35
	;; [unrolled: 1-line block ×3, first 2 shown]
	scratch_store_b32 off, v18, off offset:36 ; 4-byte Folded Spill
	v_dual_add_f32 v18, v12, v28 :: v_dual_add_f32 v81, v10, v30
	v_add_f32_e32 v91, v13, v33
	v_add_f32_e32 v109, v11, v35
	;; [unrolled: 1-line block ×3, first 2 shown]
	scratch_store_b32 off, v18, off offset:48 ; 4-byte Folded Spill
	v_add_f32_e32 v18, v9, v29
	v_add_f32_e32 v93, v9, v33
	v_add_f32_e32 v95, v5, v33
	v_add_f32_e32 v111, v7, v35
	scratch_store_b32 off, v18, off offset:40 ; 4-byte Folded Spill
	v_add_f32_e32 v18, v8, v28
	scratch_store_b32 off, v18, off offset:52 ; 4-byte Folded Spill
	v_add_f32_e32 v18, v5, v29
	;; [unrolled: 2-line block ×3, first 2 shown]
	scratch_store_b32 off, v18, off offset:56 ; 4-byte Folded Spill
	ds_load_b128 v[36:39], v73 offset:2048
	ds_load_b128 v[40:43], v73 offset:2560
	v_add_f32_e32 v144, v2, v30
	v_add_f32_e32 v90, v0, v32
	;; [unrolled: 1-line block ×5, first 2 shown]
	s_waitcnt lgkmcnt(1)
	v_dual_add_f32 v18, v37, v29 :: v_dual_add_f32 v137, v36, v28
	s_waitcnt lgkmcnt(0)
	v_dual_add_f32 v143, v40, v28 :: v_dual_add_f32 v132, v39, v31
	v_add_f32_e32 v87, v42, v30
	scratch_store_b32 off, v18, off offset:60 ; 4-byte Folded Spill
	v_add_f32_e32 v18, v41, v29
	v_dual_add_f32 v82, v38, v30 :: v_dual_add_f32 v131, v43, v31
	v_dual_add_f32 v97, v37, v33 :: v_dual_add_f32 v98, v36, v32
	scratch_store_b32 off, v18, off offset:64 ; 4-byte Folded Spill
	ds_load_b128 v[44:47], v73 offset:3072
	ds_load_b128 v[48:51], v73 offset:3584
	v_add_f32_e32 v130, v14, v30
	v_add_f32_e32 v94, v8, v32
	v_dual_add_f32 v96, v4, v32 :: v_dual_add_f32 v99, v41, v33
	v_add_f32_e32 v100, v40, v32
	v_add_f32_e32 v110, v10, v34
	v_dual_add_f32 v112, v6, v34 :: v_dual_add_f32 v113, v39, v35
	v_dual_add_f32 v114, v38, v34 :: v_dual_add_f32 v115, v43, v35
	v_add_f32_e32 v116, v42, v34
	s_waitcnt lgkmcnt(0)
	v_dual_add_f32 v138, v45, v29 :: v_dual_add_f32 v139, v48, v28
	v_add_f32_e32 v136, v44, v28
	v_dual_add_f32 v140, v49, v29 :: v_dual_add_f32 v133, v47, v31
	v_add_f32_e32 v86, v46, v30
	v_add_f32_e32 v134, v51, v31
	v_dual_add_f32 v88, v50, v30 :: v_dual_add_f32 v101, v45, v33
	v_dual_add_f32 v102, v44, v32 :: v_dual_add_f32 v103, v49, v33
	;; [unrolled: 1-line block ×4, first 2 shown]
	v_add_f32_e32 v120, v50, v34
	ds_load_b128 v[28:31], v173 offset:8448
	ds_load_b128 v[32:35], v173 offset:8576
	s_waitcnt lgkmcnt(1)
	v_add_f32_e32 v127, v5, v29
	v_dual_add_f32 v121, v1, v29 :: v_dual_add_f32 v122, v0, v28
	v_add_f32_e32 v129, v2, v30
	v_dual_add_f32 v123, v13, v29 :: v_dual_add_f32 v124, v12, v28
	;; [unrolled: 2-line block ×4, first 2 shown]
	v_dual_add_f32 v149, v36, v28 :: v_dual_add_f32 v150, v41, v29
	v_dual_add_f32 v151, v40, v28 :: v_dual_add_f32 v152, v45, v29
	;; [unrolled: 1-line block ×9, first 2 shown]
	s_waitcnt lgkmcnt(0)
	v_dual_add_f32 v166, v47, v31 :: v_dual_add_f32 v171, v0, v32
	v_dual_add_f32 v168, v51, v31 :: v_dual_add_f32 v175, v8, v32
	;; [unrolled: 1-line block ×15, first 2 shown]
	v_add_f32_e32 v194, v39, v35
	v_add_f32_e32 v196, v43, v35
	;; [unrolled: 1-line block ×4, first 2 shown]
	ds_load_b128 v[28:31], v173 offset:8704
	ds_load_b128 v[32:35], v173 offset:8832
	s_waitcnt lgkmcnt(1)
	v_dual_add_f32 v209, v4, v28 :: v_dual_add_f32 v202, v1, v29
	v_add_f32_e32 v211, v36, v28
	v_dual_add_f32 v203, v0, v28 :: v_dual_add_f32 v204, v13, v29
	v_add_f32_e32 v213, v40, v28
	;; [unrolled: 2-line block ×3, first 2 shown]
	v_dual_add_f32 v207, v8, v28 :: v_dual_add_f32 v208, v5, v29
	v_dual_add_f32 v217, v48, v28 :: v_dual_add_f32 v210, v37, v29
	;; [unrolled: 1-line block ×10, first 2 shown]
	s_waitcnt lgkmcnt(0)
	v_dual_add_f32 v235, v0, v32 :: v_dual_add_f32 v228, v43, v31
	v_dual_add_f32 v237, v12, v32 :: v_dual_add_f32 v230, v47, v31
	v_dual_add_f32 v239, v8, v32 :: v_dual_add_f32 v232, v51, v31
	v_dual_add_f32 v241, v4, v32 :: v_dual_add_f32 v234, v1, v33
	v_dual_add_f32 v243, v36, v32 :: v_dual_add_f32 v236, v13, v33
	v_dual_add_f32 v245, v40, v32 :: v_dual_add_f32 v238, v9, v33
	v_dual_add_f32 v247, v44, v32 :: v_dual_add_f32 v240, v5, v33
	v_dual_add_f32 v249, v48, v32 :: v_dual_add_f32 v242, v37, v33
	v_dual_add_f32 v251, v2, v34 :: v_dual_add_f32 v244, v41, v33
	v_dual_add_f32 v253, v14, v34 :: v_dual_add_f32 v246, v45, v33
	v_dual_add_f32 v255, v10, v34 :: v_dual_add_f32 v248, v49, v33
	v_dual_add_f32 v71, v6, v34 :: v_dual_add_f32 v250, v3, v35
	v_dual_add_f32 v21, v38, v34 :: v_dual_add_f32 v252, v15, v35
	v_dual_add_f32 v19, v42, v34 :: v_dual_add_f32 v254, v11, v35
	v_add_f32_e32 v70, v7, v35
	v_add_f32_e32 v72, v39, v35
	v_add_f32_e32 v18, v43, v35
	v_add_f32_e32 v52, v47, v35
	v_add_f32_e32 v54, v46, v34
	v_add_f32_e32 v56, v51, v35
	v_add_f32_e32 v58, v50, v34
	ds_load_b128 v[28:31], v173 offset:8960
	ds_load_b128 v[32:35], v173 offset:9088
	s_waitcnt lgkmcnt(1)
	v_add_f32_e32 v77, v41, v29
	v_add_f32_e32 v55, v0, v28
	v_dual_add_f32 v59, v12, v28 :: v_dual_add_f32 v60, v9, v29
	v_add_f32_e32 v69, v40, v28
	v_add_f32_e32 v62, v8, v28
	;; [unrolled: 1-line block ×4, first 2 shown]
	v_dual_add_f32 v64, v44, v28 :: v_dual_add_f32 v79, v14, v30
	v_dual_add_f32 v28, v48, v28 :: v_dual_add_f32 v83, v11, v31
	s_waitcnt lgkmcnt(0)
	v_add_f32_e32 v0, v0, v32
	v_add_f32_e32 v12, v12, v32
	;; [unrolled: 1-line block ×3, first 2 shown]
	v_dual_add_f32 v4, v4, v32 :: v_dual_add_f32 v41, v41, v33
	v_add_f32_e32 v36, v36, v32
	v_add_f32_e32 v40, v40, v32
	;; [unrolled: 1-line block ×4, first 2 shown]
	scratch_load_b32 v48, off, off offset:32 ; 4-byte Folded Reload
	v_add_f32_e32 v53, v1, v29
	v_add_f32_e32 v57, v13, v29
	;; [unrolled: 1-line block ×3, first 2 shown]
	v_dual_add_f32 v68, v37, v29 :: v_dual_add_f32 v65, v2, v30
	v_dual_add_f32 v22, v45, v29 :: v_dual_add_f32 v67, v15, v31
	;; [unrolled: 1-line block ×5, first 2 shown]
	v_add_f32_e32 v9, v9, v33
	v_add_f32_e32 v5, v5, v33
	;; [unrolled: 1-line block ×4, first 2 shown]
	v_dual_add_f32 v33, v49, v33 :: v_dual_add_f32 v66, v3, v31
	v_add_f32_e32 v23, v38, v30
	v_add_f32_e32 v78, v10, v30
	v_dual_add_f32 v80, v7, v31 :: v_dual_add_f32 v25, v42, v30
	v_dual_add_f32 v20, v39, v31 :: v_dual_add_f32 v27, v46, v30
	;; [unrolled: 1-line block ×4, first 2 shown]
	v_add_f32_e32 v15, v15, v35
	v_min3_f32 v0, v0, v1, 0x7f7fffff
	v_dual_add_f32 v14, v14, v34 :: v_dual_add_f32 v7, v7, v35
	v_dual_add_f32 v10, v10, v34 :: v_dual_add_f32 v39, v39, v35
	;; [unrolled: 1-line block ×5, first 2 shown]
	v_add_f32_e32 v46, v46, v34
	v_dual_add_f32 v34, v50, v34 :: v_dual_add_f32 v31, v51, v31
	s_waitcnt vmcnt(0)
	v_min3_f32 v48, v146, v48, 0x7f7fffff
	s_delay_alu instid0(VALU_DEP_1)
	v_min3_f32 v146, v144, v141, v48
	s_clause 0x1
	scratch_load_b32 v48, off, off offset:36
	scratch_load_b32 v49, off, off offset:48
	s_waitcnt vmcnt(0)
	v_min3_f32 v48, v49, v48, 0x7f7fffff
	s_delay_alu instid0(VALU_DEP_1)
	v_min3_f32 v144, v130, v142, v48
	s_clause 0x1
	scratch_load_b32 v48, off, off offset:40
	scratch_load_b32 v49, off, off offset:52
	;; [unrolled: 7-line block ×3, first 2 shown]
	s_waitcnt vmcnt(0)
	v_min3_f32 v48, v49, v48, 0x7f7fffff
	s_delay_alu instid0(VALU_DEP_1) | instskip(SKIP_3) | instid1(VALU_DEP_1)
	v_min3_f32 v141, v85, v135, v48
	scratch_load_b32 v48, off, off offset:60 ; 4-byte Folded Reload
	s_waitcnt vmcnt(0)
	v_min3_f32 v48, v137, v48, 0x7f7fffff
	v_min3_f32 v142, v82, v132, v48
	scratch_load_b32 v48, off, off offset:64 ; 4-byte Folded Reload
	s_waitcnt vmcnt(0)
	v_min3_f32 v48, v143, v48, 0x7f7fffff
	s_delay_alu instid0(VALU_DEP_1) | instskip(SKIP_1) | instid1(VALU_DEP_1)
	v_min3_f32 v137, v87, v131, v48
	v_min3_f32 v48, v136, v138, 0x7f7fffff
	;; [unrolled: 1-line block ×4, first 2 shown]
	s_delay_alu instid0(VALU_DEP_1) | instskip(SKIP_3) | instid1(VALU_DEP_3)
	v_min3_f32 v134, v88, v134, v48
	v_min3_f32 v48, v90, v89, 0x7f7fffff
	;; [unrolled: 1-line block ×6, first 2 shown]
	s_delay_alu instid0(VALU_DEP_3) | instskip(SKIP_1) | instid1(VALU_DEP_3)
	v_min3_f32 v87, v14, v15, v0
	v_min3_f32 v0, v8, v9, 0x7f7fffff
	v_min3_f32 v139, v108, v107, v48
	v_min3_f32 v48, v94, v93, 0x7f7fffff
	s_delay_alu instid0(VALU_DEP_3) | instskip(SKIP_1) | instid1(VALU_DEP_3)
	v_min3_f32 v88, v10, v11, v0
	v_min3_f32 v0, v4, v5, 0x7f7fffff
	v_min3_f32 v140, v110, v109, v48
	v_min3_f32 v48, v96, v95, 0x7f7fffff
	;; [unrolled: 5-line block ×6, first 2 shown]
	s_delay_alu instid0(VALU_DEP_3)
	v_min3_f32 v95, v34, v35, v0
	s_clause 0x2
	scratch_load_b32 v0, off, off offset:28
	scratch_load_b32 v1, off, off offset:8
	;; [unrolled: 1-line block ×3, first 2 shown]
	v_min3_f32 v130, v120, v119, v48
	v_min3_f32 v48, v122, v121, 0x7f7fffff
	s_delay_alu instid0(VALU_DEP_1) | instskip(SKIP_1) | instid1(VALU_DEP_1)
	v_min3_f32 v131, v129, v128, v48
	v_min3_f32 v48, v124, v123, 0x7f7fffff
	v_min3_f32 v128, v157, v156, v48
	v_min3_f32 v48, v126, v125, 0x7f7fffff
	s_delay_alu instid0(VALU_DEP_1) | instskip(SKIP_1) | instid1(VALU_DEP_1)
	v_min3_f32 v129, v159, v158, v48
	v_min3_f32 v48, v147, v127, 0x7f7fffff
	;; [unrolled: 5-line block ×20, first 2 shown]
	v_min3_f32 v89, v30, v31, v18
	s_waitcnt vmcnt(0)
	ds_store_2addr_stride64_b32 v74, v1, v2 offset0:16 offset1:20
	s_clause 0x1
	scratch_load_b32 v1, off, off offset:16
	scratch_load_b32 v2, off, off offset:20
	s_waitcnt vmcnt(0)
	ds_store_2addr_stride64_b32 v74, v1, v2 offset0:24 offset1:28
	scratch_load_b32 v1, off, off offset:24 ; 4-byte Folded Reload
	s_waitcnt vmcnt(0)
	ds_store_b32 v0, v1 offset:9216
	s_waitcnt lgkmcnt(0)
	s_waitcnt_vscnt null, 0x0
	s_barrier
	buffer_gl0_inv
	s_cbranch_scc1 .LBB55_12
; %bb.10:
	v_add_nc_u32_e32 v75, 0x2000, v0
	v_add_nc_u32_e32 v78, 0x2400, v0
	s_clause 0x2
	scratch_load_b32 v172, off, off
	scratch_load_b32 v171, off, off offset:4
	scratch_load_b32 v0, off, off offset:68
	v_add_nc_u32_e32 v76, 0x2000, v173
	v_add_nc_u32_e32 v77, 0x1000, v74
	s_ashr_i32 s17, s16, 31
	s_waitcnt vmcnt(2)
	v_lshl_add_u32 v79, v172, 4, 0x1000
	s_waitcnt vmcnt(1)
	v_lshl_add_u32 v80, v171, 4, 0x2400
	s_waitcnt vmcnt(0)
	v_add_nc_u32_e32 v2, 8, v0
	v_add_nc_u32_e32 v4, 12, v0
	s_clause 0x1
	scratch_load_b32 v0, off, off offset:72
	scratch_load_b64 v[5:6], off, off offset:76
	s_waitcnt vmcnt(0)
	v_add_co_u32 v5, vcc_lo, v5, v0
	v_add_co_ci_u32_e32 v6, vcc_lo, 0, v6, vcc_lo
	v_add_co_u32 v83, vcc_lo, s10, v16
	v_mad_i64_i32 v[0:1], null, v2, s16, 0
	v_mad_i64_i32 v[2:3], null, v4, s16, 0
	v_add_co_ci_u32_e32 v84, vcc_lo, s11, v17, vcc_lo
	v_add_co_u32 v4, vcc_lo, v5, s12
	v_add_co_ci_u32_e32 v5, vcc_lo, s13, v6, vcc_lo
	v_lshlrev_b64 v[64:65], 2, v[0:1]
	s_delay_alu instid0(VALU_DEP_3) | instskip(SKIP_1) | instid1(VALU_DEP_4)
	v_add_co_u32 v68, vcc_lo, v4, 48
	v_lshlrev_b64 v[66:67], 2, v[2:3]
	v_add_co_ci_u32_e32 v69, vcc_lo, 0, v5, vcc_lo
	s_add_i32 s10, s8, -8
	s_lshl_b64 s[8:9], s[16:17], 5
	s_mov_b32 s11, 0
.LBB55_11:                              ; =>This Inner Loop Header: Depth=1
	v_add_co_u32 v0, vcc_lo, v83, v64
	v_add_co_ci_u32_e32 v1, vcc_lo, v84, v65, vcc_lo
	s_add_i32 s11, s11, 8
	s_clause 0x3
	flat_load_b32 v147, v[0:1]
	flat_load_b32 v148, v[0:1] offset:256
	flat_load_b32 v149, v[0:1] offset:512
	;; [unrolled: 1-line block ×3, first 2 shown]
	v_add_co_u32 v0, vcc_lo, -16, v68
	v_add_co_ci_u32_e32 v1, vcc_lo, -1, v69, vcc_lo
	s_cmp_ge_i32 s11, s10
	flat_load_b32 v151, v[0:1]
	ds_load_b128 v[28:31], v79
	ds_load_b128 v[24:27], v79 offset:512
	ds_load_b128 v[20:23], v79 offset:1024
	;; [unrolled: 1-line block ×7, first 2 shown]
	ds_load_b128 v[60:63], v80
	ds_load_b128 v[56:59], v80 offset:128
	ds_load_b128 v[52:55], v80 offset:256
	;; [unrolled: 1-line block ×7, first 2 shown]
	s_waitcnt vmcnt(3) lgkmcnt(19)
	ds_store_2addr_stride64_b32 v74, v147, v148 offset1:4
	s_waitcnt vmcnt(1) lgkmcnt(18)
	ds_store_2addr_stride64_b32 v74, v149, v150 offset0:8 offset1:12
	s_waitcnt vmcnt(0) lgkmcnt(18)
	ds_store_b32 v75, v151
	s_waitcnt lgkmcnt(10)
	v_dual_add_f32 v70, v29, v61 :: v_dual_add_f32 v71, v28, v60
	s_waitcnt lgkmcnt(0)
	s_barrier
	buffer_gl0_inv
	v_min3_f32 v146, v71, v70, v146
	v_dual_add_f32 v70, v25, v61 :: v_dual_add_f32 v71, v24, v60
	s_delay_alu instid0(VALU_DEP_1) | instskip(SKIP_1) | instid1(VALU_DEP_1)
	v_min3_f32 v144, v71, v70, v144
	v_dual_add_f32 v70, v21, v61 :: v_dual_add_f32 v71, v20, v60
	v_min3_f32 v145, v71, v70, v145
	v_dual_add_f32 v70, v17, v61 :: v_dual_add_f32 v71, v16, v60
	s_delay_alu instid0(VALU_DEP_1) | instskip(SKIP_1) | instid1(VALU_DEP_1)
	v_min3_f32 v152, v71, v70, v141
	v_dual_add_f32 v70, v13, v61 :: v_dual_add_f32 v71, v12, v60
	v_min3_f32 v153, v71, v70, v142
	v_dual_add_f32 v70, v9, v61 :: v_dual_add_f32 v71, v8, v60
	s_delay_alu instid0(VALU_DEP_1) | instskip(SKIP_2) | instid1(VALU_DEP_2)
	v_min3_f32 v154, v71, v70, v137
	v_dual_add_f32 v70, v5, v61 :: v_dual_add_f32 v71, v4, v60
	v_dual_add_f32 v61, v1, v61 :: v_dual_add_f32 v60, v0, v60
	v_min3_f32 v155, v71, v70, v138
	v_add_f32_e32 v70, v4, v36
	s_delay_alu instid0(VALU_DEP_3) | instskip(SKIP_1) | instid1(VALU_DEP_1)
	v_min3_f32 v156, v60, v61, v134
	v_dual_add_f32 v60, v29, v57 :: v_dual_add_f32 v61, v28, v56
	v_min3_f32 v142, v61, v60, v143
	v_dual_add_f32 v60, v25, v57 :: v_dual_add_f32 v61, v24, v56
	s_delay_alu instid0(VALU_DEP_1) | instskip(SKIP_1) | instid1(VALU_DEP_1)
	v_min3_f32 v141, v61, v60, v139
	v_dual_add_f32 v60, v21, v57 :: v_dual_add_f32 v61, v20, v56
	v_min3_f32 v139, v61, v60, v140
	v_dual_add_f32 v60, v17, v57 :: v_dual_add_f32 v61, v16, v56
	s_delay_alu instid0(VALU_DEP_1) | instskip(SKIP_1) | instid1(VALU_DEP_1)
	v_min3_f32 v138, v61, v60, v135
	v_dual_add_f32 v60, v13, v57 :: v_dual_add_f32 v61, v12, v56
	v_min3_f32 v137, v61, v60, v136
	v_dual_add_f32 v60, v9, v57 :: v_dual_add_f32 v61, v8, v56
	s_delay_alu instid0(VALU_DEP_1) | instskip(SKIP_2) | instid1(VALU_DEP_2)
	v_min3_f32 v136, v61, v60, v132
	v_dual_add_f32 v60, v5, v57 :: v_dual_add_f32 v61, v4, v56
	v_dual_add_f32 v57, v1, v57 :: v_dual_add_f32 v56, v0, v56
	v_min3_f32 v135, v61, v60, v133
	s_delay_alu instid0(VALU_DEP_2) | instskip(SKIP_1) | instid1(VALU_DEP_1)
	v_min3_f32 v134, v56, v57, v130
	v_dual_add_f32 v56, v29, v53 :: v_dual_add_f32 v57, v28, v52
	v_min3_f32 v133, v57, v56, v131
	v_dual_add_f32 v56, v25, v53 :: v_dual_add_f32 v57, v24, v52
	s_delay_alu instid0(VALU_DEP_1) | instskip(SKIP_1) | instid1(VALU_DEP_1)
	v_min3_f32 v132, v57, v56, v128
	v_dual_add_f32 v56, v21, v53 :: v_dual_add_f32 v57, v20, v52
	v_min3_f32 v131, v57, v56, v129
	v_dual_add_f32 v56, v17, v53 :: v_dual_add_f32 v57, v16, v52
	s_delay_alu instid0(VALU_DEP_1) | instskip(SKIP_1) | instid1(VALU_DEP_1)
	v_min3_f32 v130, v57, v56, v126
	v_dual_add_f32 v56, v13, v53 :: v_dual_add_f32 v57, v12, v52
	v_min3_f32 v129, v57, v56, v127
	v_dual_add_f32 v56, v9, v53 :: v_dual_add_f32 v57, v8, v52
	s_delay_alu instid0(VALU_DEP_1) | instskip(SKIP_2) | instid1(VALU_DEP_2)
	v_min3_f32 v128, v57, v56, v124
	v_dual_add_f32 v56, v5, v53 :: v_dual_add_f32 v57, v4, v52
	v_dual_add_f32 v53, v1, v53 :: v_dual_add_f32 v52, v0, v52
	v_min3_f32 v127, v57, v56, v125
	s_delay_alu instid0(VALU_DEP_2) | instskip(SKIP_1) | instid1(VALU_DEP_1)
	v_min3_f32 v126, v52, v53, v122
	v_dual_add_f32 v52, v29, v49 :: v_dual_add_f32 v53, v28, v48
	v_min3_f32 v125, v53, v52, v123
	v_dual_add_f32 v52, v25, v49 :: v_dual_add_f32 v53, v24, v48
	s_delay_alu instid0(VALU_DEP_1) | instskip(SKIP_1) | instid1(VALU_DEP_1)
	v_min3_f32 v124, v53, v52, v120
	v_dual_add_f32 v52, v21, v49 :: v_dual_add_f32 v53, v20, v48
	v_min3_f32 v123, v53, v52, v121
	v_dual_add_f32 v52, v17, v49 :: v_dual_add_f32 v53, v16, v48
	s_delay_alu instid0(VALU_DEP_1) | instskip(SKIP_1) | instid1(VALU_DEP_1)
	v_min3_f32 v122, v53, v52, v117
	v_dual_add_f32 v52, v13, v49 :: v_dual_add_f32 v53, v12, v48
	v_min3_f32 v121, v53, v52, v118
	v_dual_add_f32 v52, v9, v49 :: v_dual_add_f32 v53, v8, v48
	s_delay_alu instid0(VALU_DEP_1) | instskip(SKIP_2) | instid1(VALU_DEP_2)
	v_min3_f32 v120, v53, v52, v115
	v_dual_add_f32 v52, v5, v49 :: v_dual_add_f32 v53, v4, v48
	v_dual_add_f32 v49, v1, v49 :: v_dual_add_f32 v48, v0, v48
	v_min3_f32 v118, v53, v52, v116
	s_delay_alu instid0(VALU_DEP_2) | instskip(SKIP_1) | instid1(VALU_DEP_1)
	v_min3_f32 v117, v48, v49, v112
	v_dual_add_f32 v48, v29, v45 :: v_dual_add_f32 v49, v28, v44
	v_min3_f32 v116, v49, v48, v119
	v_dual_add_f32 v48, v25, v45 :: v_dual_add_f32 v49, v24, v44
	s_delay_alu instid0(VALU_DEP_1) | instskip(SKIP_1) | instid1(VALU_DEP_1)
	v_min3_f32 v115, v49, v48, v113
	v_dual_add_f32 v48, v21, v45 :: v_dual_add_f32 v49, v20, v44
	v_min3_f32 v113, v49, v48, v114
	v_dual_add_f32 v48, v17, v45 :: v_dual_add_f32 v49, v16, v44
	s_delay_alu instid0(VALU_DEP_1) | instskip(SKIP_1) | instid1(VALU_DEP_1)
	v_min3_f32 v112, v49, v48, v110
	v_dual_add_f32 v48, v13, v45 :: v_dual_add_f32 v49, v12, v44
	v_min3_f32 v111, v49, v48, v111
	v_dual_add_f32 v48, v9, v45 :: v_dual_add_f32 v49, v8, v44
	s_delay_alu instid0(VALU_DEP_1) | instskip(SKIP_2) | instid1(VALU_DEP_2)
	v_min3_f32 v110, v49, v48, v108
	v_dual_add_f32 v48, v5, v45 :: v_dual_add_f32 v49, v4, v44
	v_dual_add_f32 v45, v1, v45 :: v_dual_add_f32 v44, v0, v44
	v_min3_f32 v109, v49, v48, v109
	s_delay_alu instid0(VALU_DEP_2) | instskip(SKIP_1) | instid1(VALU_DEP_1)
	v_min3_f32 v108, v44, v45, v106
	v_dual_add_f32 v44, v29, v41 :: v_dual_add_f32 v45, v28, v40
	v_min3_f32 v107, v45, v44, v107
	v_dual_add_f32 v44, v25, v41 :: v_dual_add_f32 v45, v24, v40
	s_delay_alu instid0(VALU_DEP_1) | instskip(SKIP_1) | instid1(VALU_DEP_1)
	v_min3_f32 v106, v45, v44, v104
	v_dual_add_f32 v44, v21, v41 :: v_dual_add_f32 v45, v20, v40
	v_min3_f32 v104, v45, v44, v105
	v_dual_add_f32 v44, v17, v41 :: v_dual_add_f32 v45, v16, v40
	s_delay_alu instid0(VALU_DEP_1) | instskip(SKIP_1) | instid1(VALU_DEP_1)
	v_min3_f32 v61, v45, v44, v102
	v_dual_add_f32 v44, v13, v41 :: v_dual_add_f32 v45, v12, v40
	v_min3_f32 v60, v45, v44, v103
	v_dual_add_f32 v44, v9, v41 :: v_dual_add_f32 v45, v8, v40
	s_delay_alu instid0(VALU_DEP_1) | instskip(SKIP_3) | instid1(VALU_DEP_3)
	v_min3_f32 v57, v45, v44, v100
	v_dual_add_f32 v44, v5, v41 :: v_dual_add_f32 v45, v4, v40
	v_dual_add_f32 v41, v1, v41 :: v_dual_add_f32 v40, v0, v40
	v_add_f32_e32 v4, v4, v32
	v_min3_f32 v56, v45, v44, v101
	s_delay_alu instid0(VALU_DEP_3) | instskip(SKIP_2) | instid1(VALU_DEP_2)
	v_min3_f32 v53, v40, v41, v98
	v_dual_add_f32 v40, v29, v37 :: v_dual_add_f32 v41, v28, v36
	v_dual_add_f32 v29, v29, v33 :: v_dual_add_f32 v28, v28, v32
	v_min3_f32 v52, v41, v40, v99
	v_dual_add_f32 v40, v25, v37 :: v_dual_add_f32 v41, v24, v36
	v_add_f32_e32 v25, v25, v33
	s_delay_alu instid0(VALU_DEP_4) | instskip(SKIP_1) | instid1(VALU_DEP_4)
	v_min3_f32 v28, v28, v29, v90
	v_add_f32_e32 v24, v24, v32
	v_min3_f32 v49, v41, v40, v96
	v_dual_add_f32 v40, v21, v37 :: v_dual_add_f32 v41, v20, v36
	v_dual_add_f32 v21, v21, v33 :: v_dual_add_f32 v20, v20, v32
	s_delay_alu instid0(VALU_DEP_4) | instskip(NEXT) | instid1(VALU_DEP_3)
	v_min3_f32 v24, v24, v25, v87
	v_min3_f32 v48, v41, v40, v97
	v_dual_add_f32 v40, v17, v37 :: v_dual_add_f32 v41, v16, v36
	v_add_f32_e32 v17, v17, v33
	v_min3_f32 v20, v20, v21, v88
	v_add_f32_e32 v16, v16, v32
	s_delay_alu instid0(VALU_DEP_4) | instskip(SKIP_2) | instid1(VALU_DEP_4)
	v_min3_f32 v45, v41, v40, v93
	v_dual_add_f32 v40, v13, v37 :: v_dual_add_f32 v41, v12, v36
	v_dual_add_f32 v13, v13, v33 :: v_dual_add_f32 v12, v12, v32
	v_min3_f32 v16, v16, v17, v85
	s_delay_alu instid0(VALU_DEP_3) | instskip(SKIP_4) | instid1(VALU_DEP_4)
	v_min3_f32 v44, v41, v40, v94
	v_dual_add_f32 v40, v9, v37 :: v_dual_add_f32 v41, v8, v36
	v_add_f32_e32 v36, v0, v36
	v_add_f32_e32 v8, v8, v32
	v_dual_add_f32 v0, v0, v32 :: v_dual_add_f32 v9, v9, v33
	v_min3_f32 v41, v41, v40, v91
	v_add_f32_e32 v40, v5, v37
	v_add_f32_e32 v37, v1, v37
	;; [unrolled: 1-line block ×4, first 2 shown]
	v_min3_f32 v12, v12, v13, v86
	v_min3_f32 v8, v8, v9, v81
	;; [unrolled: 1-line block ×4, first 2 shown]
	v_add_f32_e32 v5, v30, v62
	v_min3_f32 v0, v0, v1, v95
	v_add_f32_e32 v1, v31, v63
	v_min3_f32 v40, v70, v40, v92
	s_delay_alu instid0(VALU_DEP_2) | instskip(SKIP_2) | instid1(VALU_DEP_1)
	v_min3_f32 v90, v5, v1, v146
	v_add_f32_e32 v1, v27, v63
	v_add_f32_e32 v5, v26, v62
	v_min3_f32 v89, v5, v1, v144
	v_add_f32_e32 v1, v23, v63
	v_add_f32_e32 v5, v22, v62
	s_delay_alu instid0(VALU_DEP_1) | instskip(SKIP_2) | instid1(VALU_DEP_1)
	v_min3_f32 v88, v5, v1, v145
	v_add_f32_e32 v1, v19, v63
	v_add_f32_e32 v5, v18, v62
	v_min3_f32 v87, v5, v1, v152
	v_add_f32_e32 v1, v15, v63
	v_add_f32_e32 v5, v14, v62
	s_delay_alu instid0(VALU_DEP_1) | instskip(SKIP_2) | instid1(VALU_DEP_1)
	;; [unrolled: 7-line block ×26, first 2 shown]
	v_min3_f32 v159, v5, v1, v44
	v_add_f32_e32 v1, v11, v39
	v_add_f32_e32 v5, v10, v38
	v_min3_f32 v160, v5, v1, v41
	v_add_f32_e32 v1, v7, v39
	v_add_f32_e32 v5, v6, v38
	s_delay_alu instid0(VALU_DEP_1) | instskip(SKIP_3) | instid1(VALU_DEP_2)
	v_min3_f32 v161, v5, v1, v40
	v_add_f32_e32 v1, v3, v39
	v_add_f32_e32 v5, v2, v38
	;; [unrolled: 1-line block ×3, first 2 shown]
	v_min3_f32 v162, v5, v1, v36
	v_add_f32_e32 v1, v31, v35
	v_add_f32_e32 v5, v30, v34
	s_delay_alu instid0(VALU_DEP_1) | instskip(SKIP_2) | instid1(VALU_DEP_1)
	v_min3_f32 v163, v5, v1, v28
	v_add_f32_e32 v1, v27, v35
	v_add_f32_e32 v5, v26, v34
	v_min3_f32 v164, v5, v1, v24
	v_add_f32_e32 v1, v23, v35
	v_add_f32_e32 v5, v22, v34
	s_delay_alu instid0(VALU_DEP_1) | instskip(SKIP_2) | instid1(VALU_DEP_1)
	v_min3_f32 v165, v5, v1, v20
	v_add_f32_e32 v1, v19, v35
	v_add_f32_e32 v5, v18, v34
	;; [unrolled: 7-line block ×3, first 2 shown]
	v_min3_f32 v168, v5, v1, v8
	v_add_f32_e32 v1, v7, v35
	v_add_f32_e32 v5, v6, v34
	s_delay_alu instid0(VALU_DEP_1) | instskip(SKIP_1) | instid1(VALU_DEP_1)
	v_min3_f32 v169, v5, v1, v4
	v_add_f32_e32 v1, v3, v35
	v_min3_f32 v170, v2, v1, v0
	v_add_co_u32 v0, vcc_lo, v83, v66
	v_add_co_ci_u32_e32 v1, vcc_lo, v84, v67, vcc_lo
	s_clause 0x3
	flat_load_b32 v147, v[0:1]
	flat_load_b32 v148, v[0:1] offset:256
	flat_load_b32 v149, v[0:1] offset:512
	;; [unrolled: 1-line block ×3, first 2 shown]
	flat_load_b32 v151, v[68:69]
	ds_load_b128 v[32:35], v73
	ds_load_b128 v[28:31], v73 offset:512
	ds_load_b128 v[24:27], v73 offset:1024
	;; [unrolled: 1-line block ×7, first 2 shown]
	ds_load_b128 v[60:63], v76
	ds_load_b128 v[56:59], v76 offset:128
	ds_load_b128 v[52:55], v76 offset:256
	;; [unrolled: 1-line block ×7, first 2 shown]
	v_add_co_u32 v68, vcc_lo, v68, 32
	v_add_co_ci_u32_e32 v69, vcc_lo, 0, v69, vcc_lo
	v_add_co_u32 v83, vcc_lo, v83, s8
	v_add_co_ci_u32_e32 v84, vcc_lo, s9, v84, vcc_lo
	s_waitcnt vmcnt(3) lgkmcnt(19)
	ds_store_2addr_stride64_b32 v77, v147, v148 offset1:4
	s_waitcnt vmcnt(1) lgkmcnt(18)
	ds_store_2addr_stride64_b32 v77, v149, v150 offset0:8 offset1:12
	s_waitcnt vmcnt(0) lgkmcnt(18)
	ds_store_b32 v78, v151
	s_waitcnt lgkmcnt(10)
	v_dual_add_f32 v104, v33, v61 :: v_dual_add_f32 v105, v32, v60
	s_waitcnt lgkmcnt(0)
	s_barrier
	buffer_gl0_inv
	v_min3_f32 v118, v105, v104, v90
	v_add_f32_e32 v90, v29, v61
	v_add_f32_e32 v104, v28, v60
	s_delay_alu instid0(VALU_DEP_1) | instskip(SKIP_1) | instid1(VALU_DEP_1)
	v_min3_f32 v119, v104, v90, v89
	v_dual_add_f32 v89, v25, v61 :: v_dual_add_f32 v90, v24, v60
	v_min3_f32 v120, v90, v89, v88
	v_dual_add_f32 v88, v21, v61 :: v_dual_add_f32 v89, v20, v60
	s_delay_alu instid0(VALU_DEP_1) | instskip(SKIP_1) | instid1(VALU_DEP_1)
	v_min3_f32 v121, v89, v88, v87
	v_dual_add_f32 v87, v17, v61 :: v_dual_add_f32 v88, v16, v60
	v_min3_f32 v122, v88, v87, v86
	v_dual_add_f32 v86, v9, v61 :: v_dual_add_f32 v87, v8, v60
	s_delay_alu instid0(VALU_DEP_1) | instskip(SKIP_2) | instid1(VALU_DEP_2)
	v_min3_f32 v123, v87, v86, v85
	v_dual_add_f32 v85, v5, v61 :: v_dual_add_f32 v86, v4, v60
	v_dual_add_f32 v61, v1, v61 :: v_dual_add_f32 v60, v0, v60
	v_min3_f32 v124, v86, v85, v82
	s_delay_alu instid0(VALU_DEP_2) | instskip(SKIP_1) | instid1(VALU_DEP_1)
	v_min3_f32 v125, v60, v61, v81
	v_dual_add_f32 v60, v33, v57 :: v_dual_add_f32 v61, v32, v56
	v_min3_f32 v117, v61, v60, v91
	v_dual_add_f32 v60, v29, v57 :: v_dual_add_f32 v61, v28, v56
	s_delay_alu instid0(VALU_DEP_1) | instskip(SKIP_1) | instid1(VALU_DEP_1)
	v_min3_f32 v116, v61, v60, v92
	v_dual_add_f32 v60, v25, v57 :: v_dual_add_f32 v61, v24, v56
	v_min3_f32 v115, v61, v60, v93
	v_dual_add_f32 v60, v21, v57 :: v_dual_add_f32 v61, v20, v56
	s_delay_alu instid0(VALU_DEP_1) | instskip(SKIP_1) | instid1(VALU_DEP_1)
	v_min3_f32 v114, v61, v60, v94
	v_dual_add_f32 v60, v17, v57 :: v_dual_add_f32 v61, v16, v56
	v_min3_f32 v113, v61, v60, v95
	v_dual_add_f32 v60, v9, v57 :: v_dual_add_f32 v61, v8, v56
	s_delay_alu instid0(VALU_DEP_1) | instskip(SKIP_2) | instid1(VALU_DEP_2)
	v_min3_f32 v112, v61, v60, v96
	v_dual_add_f32 v60, v5, v57 :: v_dual_add_f32 v61, v4, v56
	v_dual_add_f32 v57, v1, v57 :: v_dual_add_f32 v56, v0, v56
	v_min3_f32 v111, v61, v60, v97
	s_delay_alu instid0(VALU_DEP_2) | instskip(SKIP_1) | instid1(VALU_DEP_1)
	v_min3_f32 v110, v56, v57, v98
	v_dual_add_f32 v56, v33, v53 :: v_dual_add_f32 v57, v32, v52
	v_min3_f32 v109, v57, v56, v99
	v_dual_add_f32 v56, v29, v53 :: v_dual_add_f32 v57, v28, v52
	;; [unrolled: 20-line block ×5, first 2 shown]
	s_delay_alu instid0(VALU_DEP_1) | instskip(SKIP_1) | instid1(VALU_DEP_1)
	v_min3_f32 v82, v45, v44, v146
	v_dual_add_f32 v44, v25, v41 :: v_dual_add_f32 v45, v24, v40
	v_min3_f32 v81, v45, v44, v152
	v_dual_add_f32 v44, v21, v41 :: v_dual_add_f32 v45, v20, v40
	s_delay_alu instid0(VALU_DEP_1) | instskip(SKIP_1) | instid1(VALU_DEP_1)
	v_min3_f32 v61, v45, v44, v153
	v_dual_add_f32 v44, v17, v41 :: v_dual_add_f32 v45, v16, v40
	v_min3_f32 v60, v45, v44, v154
	v_dual_add_f32 v44, v9, v41 :: v_dual_add_f32 v45, v8, v40
	s_delay_alu instid0(VALU_DEP_1) | instskip(SKIP_2) | instid1(VALU_DEP_2)
	v_min3_f32 v57, v45, v44, v155
	v_dual_add_f32 v44, v5, v41 :: v_dual_add_f32 v45, v4, v40
	v_dual_add_f32 v41, v1, v41 :: v_dual_add_f32 v40, v0, v40
	v_min3_f32 v56, v45, v44, v156
	s_delay_alu instid0(VALU_DEP_2) | instskip(SKIP_2) | instid1(VALU_DEP_2)
	v_min3_f32 v53, v40, v41, v157
	v_dual_add_f32 v40, v33, v37 :: v_dual_add_f32 v41, v32, v36
	v_dual_add_f32 v33, v33, v13 :: v_dual_add_f32 v32, v32, v12
	v_min3_f32 v52, v41, v40, v70
	v_dual_add_f32 v40, v29, v37 :: v_dual_add_f32 v41, v28, v36
	v_add_f32_e32 v70, v4, v36
	v_add_f32_e32 v4, v4, v12
	v_min3_f32 v32, v32, v33, v163
	v_add_f32_e32 v29, v29, v13
	v_min3_f32 v49, v41, v40, v71
	v_dual_add_f32 v40, v25, v37 :: v_dual_add_f32 v41, v24, v36
	v_dual_add_f32 v28, v28, v12 :: v_dual_add_f32 v25, v25, v13
	v_add_f32_e32 v24, v24, v12
	s_delay_alu instid0(VALU_DEP_3) | instskip(SKIP_1) | instid1(VALU_DEP_4)
	v_min3_f32 v48, v41, v40, v72
	v_dual_add_f32 v40, v21, v37 :: v_dual_add_f32 v41, v20, v36
	v_min3_f32 v28, v28, v29, v164
	s_delay_alu instid0(VALU_DEP_4) | instskip(SKIP_1) | instid1(VALU_DEP_4)
	v_min3_f32 v24, v24, v25, v165
	v_dual_add_f32 v21, v21, v13 :: v_dual_add_f32 v20, v20, v12
	v_min3_f32 v45, v41, v40, v158
	v_dual_add_f32 v40, v17, v37 :: v_dual_add_f32 v41, v16, v36
	v_add_f32_e32 v17, v17, v13
	s_delay_alu instid0(VALU_DEP_4) | instskip(SKIP_1) | instid1(VALU_DEP_4)
	v_min3_f32 v20, v20, v21, v166
	v_add_f32_e32 v16, v16, v12
	v_min3_f32 v44, v41, v40, v159
	v_dual_add_f32 v40, v9, v37 :: v_dual_add_f32 v41, v8, v36
	v_add_f32_e32 v36, v0, v36
	v_add_f32_e32 v0, v0, v12
	v_min3_f32 v16, v16, v17, v167
	v_add_f32_e32 v9, v9, v13
	v_min3_f32 v41, v41, v40, v160
	v_add_f32_e32 v40, v5, v37
	v_add_f32_e32 v37, v1, v37
	v_add_f32_e32 v5, v5, v13
	v_dual_add_f32 v1, v1, v13 :: v_dual_add_f32 v8, v8, v12
	s_delay_alu instid0(VALU_DEP_4) | instskip(NEXT) | instid1(VALU_DEP_4)
	v_min3_f32 v40, v70, v40, v161
	v_min3_f32 v36, v36, v37, v162
	s_delay_alu instid0(VALU_DEP_4) | instskip(NEXT) | instid1(VALU_DEP_4)
	v_min3_f32 v4, v4, v5, v169
	v_min3_f32 v0, v0, v1, v170
	v_add_f32_e32 v1, v35, v63
	v_add_f32_e32 v5, v34, v62
	v_min3_f32 v8, v8, v9, v168
	s_delay_alu instid0(VALU_DEP_2) | instskip(SKIP_2) | instid1(VALU_DEP_1)
	v_min3_f32 v146, v5, v1, v118
	v_add_f32_e32 v1, v31, v63
	v_add_f32_e32 v5, v30, v62
	v_min3_f32 v144, v5, v1, v119
	v_add_f32_e32 v1, v27, v63
	v_add_f32_e32 v5, v26, v62
	s_delay_alu instid0(VALU_DEP_1) | instskip(SKIP_2) | instid1(VALU_DEP_1)
	v_min3_f32 v145, v5, v1, v120
	v_add_f32_e32 v1, v23, v63
	v_add_f32_e32 v5, v22, v62
	v_min3_f32 v141, v5, v1, v121
	v_add_f32_e32 v1, v19, v63
	v_add_f32_e32 v5, v18, v62
	s_delay_alu instid0(VALU_DEP_1) | instskip(SKIP_2) | instid1(VALU_DEP_1)
	;; [unrolled: 7-line block ×26, first 2 shown]
	v_min3_f32 v94, v5, v1, v44
	v_add_f32_e32 v1, v11, v39
	v_add_f32_e32 v5, v10, v38
	v_min3_f32 v91, v5, v1, v41
	v_add_f32_e32 v1, v7, v39
	v_add_f32_e32 v5, v6, v38
	s_delay_alu instid0(VALU_DEP_1) | instskip(SKIP_3) | instid1(VALU_DEP_2)
	v_min3_f32 v92, v5, v1, v40
	v_add_f32_e32 v1, v3, v39
	v_add_f32_e32 v5, v2, v38
	;; [unrolled: 1-line block ×3, first 2 shown]
	v_min3_f32 v89, v5, v1, v36
	v_add_f32_e32 v1, v35, v15
	v_add_f32_e32 v5, v34, v14
	s_delay_alu instid0(VALU_DEP_1) | instskip(SKIP_2) | instid1(VALU_DEP_1)
	v_min3_f32 v90, v5, v1, v32
	v_add_f32_e32 v1, v31, v15
	v_add_f32_e32 v5, v30, v14
	v_min3_f32 v87, v5, v1, v28
	v_add_f32_e32 v1, v27, v15
	v_add_f32_e32 v5, v26, v14
	s_delay_alu instid0(VALU_DEP_1) | instskip(SKIP_2) | instid1(VALU_DEP_1)
	v_min3_f32 v88, v5, v1, v24
	v_add_f32_e32 v1, v23, v15
	v_add_f32_e32 v5, v22, v14
	;; [unrolled: 7-line block ×3, first 2 shown]
	v_min3_f32 v81, v5, v1, v8
	v_add_f32_e32 v1, v7, v15
	v_add_f32_e32 v5, v6, v14
	s_delay_alu instid0(VALU_DEP_1) | instskip(SKIP_1) | instid1(VALU_DEP_1)
	v_min3_f32 v82, v5, v1, v4
	v_add_f32_e32 v1, v3, v15
	v_min3_f32 v95, v2, v1, v0
	s_cbranch_scc0 .LBB55_11
	s_branch .LBB55_13
.LBB55_12:
	s_clause 0x1
	scratch_load_b32 v171, off, off offset:4
	scratch_load_b32 v172, off, off
.LBB55_13:
	s_clause 0x1
	s_load_b64 s[10:11], s[0:1], 0x70
	s_load_b32 s8, s[0:1], 0x68
	ds_load_b128 v[32:35], v73 offset:4096
	ds_load_b128 v[60:63], v173 offset:9216
	s_load_b32 s0, s[0:1], 0x50
	s_waitcnt vmcnt(1)
	v_add_nc_u32_e32 v80, s19, v171
	s_waitcnt vmcnt(0)
	v_add_nc_u32_e32 v76, s14, v172
	s_waitcnt lgkmcnt(0)
	s_mul_i32 s1, s15, s11
	s_mul_hi_u32 s9, s15, s10
	v_add_f32_e32 v9, v34, v62
	v_add_f32_e32 v7, v32, v60
	v_mad_i64_i32 v[2:3], null, v80, s8, 0
	v_mad_i64_i32 v[4:5], null, v80, s0, 0
	v_add_f32_e32 v6, v33, v61
	s_mul_i32 s11, s18, s10
	s_add_i32 s1, s9, s1
	s_mul_i32 s10, s15, s10
	s_add_i32 s11, s1, s11
	s_delay_alu instid0(VALU_DEP_3)
	v_lshlrev_b64 v[2:3], 2, v[2:3]
	v_add_f32_e32 v8, v35, v63
	v_min3_f32 v6, v7, v6, v146
	s_lshl_b64 s[10:11], s[10:11], 2
	v_lshlrev_b64 v[4:5], 2, v[4:5]
	s_add_u32 s1, s6, s10
	v_ashrrev_i32_e32 v77, 31, v76
	v_add_nc_u32_e32 v0, 32, v76
	s_addc_u32 s6, s7, s11
	v_min3_f32 v6, v9, v8, v6
	v_add_co_u32 v83, vcc_lo, s1, v2
	v_add_co_ci_u32_e32 v84, vcc_lo, s6, v3, vcc_lo
	v_add_co_u32 v146, vcc_lo, s4, v4
	v_lshlrev_b64 v[66:67], 2, v[76:77]
	v_ashrrev_i32_e32 v1, 31, v0
	v_add_co_ci_u32_e32 v147, vcc_lo, s5, v5, vcc_lo
	v_max_f32_e32 v2, v6, v6
	s_mov_b32 vcc_lo, s2
	s_cbranch_vccz .LBB55_15
; %bb.14:
	v_add_co_u32 v3, vcc_lo, v83, v66
	s_delay_alu instid0(VALU_DEP_2)
	v_min_f32_e32 v5, 0, v2
	v_add_co_ci_u32_e32 v4, vcc_lo, v84, v67, vcc_lo
	s_mov_b32 s7, 0
	global_store_b32 v[3:4], v5, off
	s_branch .LBB55_16
.LBB55_15:
	s_mov_b32 s7, -1
.LBB55_16:
	ds_load_b128 v[28:31], v73 offset:4608
	ds_load_b128 v[24:27], v73 offset:5120
	v_lshlrev_b64 v[64:65], 2, v[0:1]
	s_and_not1_b32 vcc_lo, exec_lo, s7
	s_cbranch_vccnz .LBB55_18
; %bb.17:
	v_add_co_u32 v0, vcc_lo, v146, v66
	v_add_co_ci_u32_e32 v1, vcc_lo, v147, v67, vcc_lo
	flat_load_b32 v0, v[0:1]
	s_waitcnt vmcnt(0) lgkmcnt(0)
	v_mul_f32_e32 v3, s3, v0
	v_add_co_u32 v0, vcc_lo, v83, v66
	v_add_co_ci_u32_e32 v1, vcc_lo, v84, v67, vcc_lo
	s_delay_alu instid0(VALU_DEP_3)
	v_min_f32_e32 v4, v3, v2
	v_add_co_u32 v2, vcc_lo, v146, v64
	v_add_co_ci_u32_e32 v3, vcc_lo, v147, v65, vcc_lo
	global_store_b32 v[0:1], v4, off
	flat_load_b32 v0, v[2:3]
	s_waitcnt vmcnt(0) lgkmcnt(0)
	v_mul_f32_e32 v69, s3, v0
	s_branch .LBB55_19
.LBB55_18:
	v_mov_b32_e32 v69, s7
.LBB55_19:
	ds_load_b128 v[20:23], v73 offset:5632
	ds_load_b128 v[16:19], v73 offset:6144
	ds_load_b128 v[12:15], v73 offset:6656
	ds_load_b128 v[8:11], v73 offset:7168
	ds_load_b128 v[0:3], v73 offset:7680
	ds_load_b128 v[56:59], v173 offset:9344
	ds_load_b128 v[52:55], v173 offset:9472
	ds_load_b128 v[48:51], v173 offset:9600
	ds_load_b128 v[44:47], v173 offset:9728
	ds_load_b128 v[40:43], v173 offset:9856
	s_waitcnt lgkmcnt(10)
	v_dual_add_f32 v68, v25, v61 :: v_dual_add_f32 v73, v31, v63
	v_dual_add_f32 v70, v24, v60 :: v_dual_add_f32 v71, v29, v61
	ds_load_b128 v[36:39], v173 offset:9984
	ds_load_b128 v[4:7], v173 offset:10112
	v_dual_add_f32 v72, v28, v60 :: v_dual_add_f32 v75, v27, v63
	v_add_f32_e32 v74, v30, v62
	v_min3_f32 v68, v70, v68, v145
	v_dual_add_f32 v77, v26, v62 :: v_dual_add_nc_u32 v70, 64, v76
	s_delay_alu instid0(VALU_DEP_4) | instskip(NEXT) | instid1(VALU_DEP_4)
	v_min3_f32 v72, v72, v71, v144
	v_min_f32_e32 v73, v74, v73
	s_delay_alu instid0(VALU_DEP_3) | instskip(SKIP_2) | instid1(VALU_DEP_4)
	v_min3_f32 v75, v77, v75, v68
	v_add_nc_u32_e32 v68, 0x60, v76
	v_ashrrev_i32_e32 v71, 31, v70
	v_min3_f32 v77, v69, v73, v72
	v_add_co_u32 v73, vcc_lo, v83, v64
	v_add_co_ci_u32_e32 v74, vcc_lo, v84, v65, vcc_lo
	s_delay_alu instid0(VALU_DEP_4)
	v_lshlrev_b64 v[70:71], 2, v[70:71]
	v_ashrrev_i32_e32 v69, 31, v68
	v_max_f32_e32 v72, v75, v75
	s_mov_b32 vcc_lo, s2
	global_store_b32 v[73:74], v77, off
	s_cbranch_vccz .LBB55_22
; %bb.20:
	v_add_co_u32 v73, vcc_lo, v83, v70
	v_min_f32_e32 v75, 0, v72
	v_add_co_ci_u32_e32 v74, vcc_lo, v84, v71, vcc_lo
	s_mov_b32 s7, 0
	global_store_b32 v[73:74], v75, off
	v_lshlrev_b64 v[68:69], 2, v[68:69]
	s_cbranch_execz .LBB55_23
; %bb.21:
	v_mov_b32_e32 v73, s7
	s_branch .LBB55_24
.LBB55_22:
	s_mov_b32 s7, -1
	v_lshlrev_b64 v[68:69], 2, v[68:69]
.LBB55_23:
	v_add_co_u32 v73, vcc_lo, v146, v70
	v_add_co_ci_u32_e32 v74, vcc_lo, v147, v71, vcc_lo
	flat_load_b32 v73, v[73:74]
	s_waitcnt vmcnt(0) lgkmcnt(0)
	v_mul_f32_e32 v75, s3, v73
	v_add_co_u32 v73, vcc_lo, v83, v70
	v_add_co_ci_u32_e32 v74, vcc_lo, v84, v71, vcc_lo
	v_add_co_u32 v77, vcc_lo, v146, v68
	s_delay_alu instid0(VALU_DEP_4)
	v_min_f32_e32 v72, v75, v72
	v_add_co_ci_u32_e32 v78, vcc_lo, v147, v69, vcc_lo
	global_store_b32 v[73:74], v72, off
	flat_load_b32 v72, v[77:78]
	s_waitcnt vmcnt(0) lgkmcnt(0)
	v_mul_f32_e32 v73, s3, v72
.LBB55_24:
	s_waitcnt lgkmcnt(10)
	v_dual_add_f32 v72, v17, v61 :: v_dual_add_f32 v77, v20, v60
	v_dual_add_f32 v74, v16, v60 :: v_dual_add_f32 v75, v21, v61
	;; [unrolled: 1-line block ×3, first 2 shown]
	v_add_f32_e32 v144, v18, v62
	s_delay_alu instid0(VALU_DEP_3) | instskip(SKIP_4) | instid1(VALU_DEP_4)
	v_min3_f32 v72, v74, v72, v142
	v_add_nc_u32_e32 v74, 0x80, v76
	v_add_f32_e32 v142, v19, v63
	v_min3_f32 v77, v77, v75, v141
	v_min_f32_e32 v78, v79, v78
	v_ashrrev_i32_e32 v75, 31, v74
	s_delay_alu instid0(VALU_DEP_4) | instskip(SKIP_1) | instid1(VALU_DEP_4)
	v_min3_f32 v141, v144, v142, v72
	v_add_nc_u32_e32 v72, 0xa0, v76
	v_min3_f32 v142, v73, v78, v77
	v_add_co_u32 v78, vcc_lo, v83, v68
	s_delay_alu instid0(VALU_DEP_4)
	v_max_f32_e32 v77, v141, v141
	v_lshlrev_b64 v[74:75], 2, v[74:75]
	v_add_co_ci_u32_e32 v79, vcc_lo, v84, v69, vcc_lo
	v_ashrrev_i32_e32 v73, 31, v72
	s_mov_b32 vcc_lo, s2
	global_store_b32 v[78:79], v142, off
	s_cbranch_vccz .LBB55_27
; %bb.25:
	v_add_co_u32 v78, vcc_lo, v83, v74
	v_min_f32_e32 v141, 0, v77
	v_add_co_ci_u32_e32 v79, vcc_lo, v84, v75, vcc_lo
	s_mov_b32 s7, 0
	global_store_b32 v[78:79], v141, off
	v_lshlrev_b64 v[72:73], 2, v[72:73]
	s_cbranch_execz .LBB55_28
; %bb.26:
	v_mov_b32_e32 v77, s7
	s_branch .LBB55_29
.LBB55_27:
	s_mov_b32 s7, -1
	v_lshlrev_b64 v[72:73], 2, v[72:73]
.LBB55_28:
	v_add_co_u32 v78, vcc_lo, v146, v74
	v_add_co_ci_u32_e32 v79, vcc_lo, v147, v75, vcc_lo
	flat_load_b32 v78, v[78:79]
	s_waitcnt vmcnt(0) lgkmcnt(0)
	v_mul_f32_e32 v141, s3, v78
	v_add_co_u32 v78, vcc_lo, v83, v74
	v_add_co_ci_u32_e32 v79, vcc_lo, v84, v75, vcc_lo
	s_delay_alu instid0(VALU_DEP_3)
	v_min_f32_e32 v77, v141, v77
	v_add_co_u32 v141, vcc_lo, v146, v72
	v_add_co_ci_u32_e32 v142, vcc_lo, v147, v73, vcc_lo
	global_store_b32 v[78:79], v77, off
	flat_load_b32 v77, v[141:142]
	s_waitcnt vmcnt(0) lgkmcnt(0)
	v_mul_f32_e32 v77, s3, v77
.LBB55_29:
	s_waitcnt lgkmcnt(8)
	v_dual_add_f32 v78, v9, v61 :: v_dual_add_f32 v79, v8, v60
	v_add_f32_e32 v144, v15, v63
	v_dual_add_f32 v148, v10, v62 :: v_dual_add_f32 v141, v13, v61
	v_add_f32_e32 v142, v12, v60
	s_delay_alu instid0(VALU_DEP_4) | instskip(SKIP_2) | instid1(VALU_DEP_4)
	v_min3_f32 v79, v79, v78, v138
	v_dual_add_f32 v138, v14, v62 :: v_dual_add_f32 v145, v11, v63
	v_add_nc_u32_e32 v78, 0xc0, v76
	v_min3_f32 v137, v142, v141, v137
	v_add_nc_u32_e32 v76, 0xe0, v76
	s_delay_alu instid0(VALU_DEP_4) | instskip(SKIP_3) | instid1(VALU_DEP_4)
	v_min_f32_e32 v138, v138, v144
	v_min3_f32 v144, v148, v145, v79
	v_ashrrev_i32_e32 v79, 31, v78
	v_add_co_u32 v141, vcc_lo, v83, v72
	v_min3_f32 v138, v77, v138, v137
	v_add_co_ci_u32_e32 v142, vcc_lo, v84, v73, vcc_lo
	s_delay_alu instid0(VALU_DEP_4)
	v_lshlrev_b64 v[78:79], 2, v[78:79]
	v_ashrrev_i32_e32 v77, 31, v76
	v_max_f32_e32 v137, v144, v144
	s_mov_b32 vcc_lo, s2
	global_store_b32 v[141:142], v138, off
	s_cbranch_vccz .LBB55_32
; %bb.30:
	v_add_co_u32 v141, vcc_lo, v83, v78
	v_min_f32_e32 v138, 0, v137
	v_add_co_ci_u32_e32 v142, vcc_lo, v84, v79, vcc_lo
	s_mov_b32 s7, 0
	global_store_b32 v[141:142], v138, off
	v_lshlrev_b64 v[76:77], 2, v[76:77]
	s_cbranch_execz .LBB55_33
; %bb.31:
	v_mov_b32_e32 v137, s7
	s_branch .LBB55_34
.LBB55_32:
	s_mov_b32 s7, -1
	v_lshlrev_b64 v[76:77], 2, v[76:77]
.LBB55_33:
	v_add_co_u32 v141, vcc_lo, v146, v78
	v_add_co_ci_u32_e32 v142, vcc_lo, v147, v79, vcc_lo
	flat_load_b32 v138, v[141:142]
	v_add_co_u32 v141, vcc_lo, v83, v78
	v_add_co_ci_u32_e32 v142, vcc_lo, v84, v79, vcc_lo
	s_waitcnt vmcnt(0) lgkmcnt(0)
	v_mul_f32_e32 v138, s3, v138
	s_delay_alu instid0(VALU_DEP_1)
	v_min_f32_e32 v144, v138, v137
	v_add_co_u32 v137, vcc_lo, v146, v76
	v_add_co_ci_u32_e32 v138, vcc_lo, v147, v77, vcc_lo
	global_store_b32 v[141:142], v144, off
	flat_load_b32 v137, v[137:138]
	s_waitcnt vmcnt(0) lgkmcnt(0)
	v_mul_f32_e32 v137, s3, v137
.LBB55_34:
	s_waitcnt lgkmcnt(6)
	v_dual_add_f32 v138, v33, v57 :: v_dual_add_f32 v141, v32, v56
	v_dual_add_f32 v61, v1, v61 :: v_dual_add_f32 v60, v0, v60
	v_dual_add_f32 v63, v3, v63 :: v_dual_add_f32 v62, v2, v62
	s_delay_alu instid0(VALU_DEP_3) | instskip(SKIP_1) | instid1(VALU_DEP_4)
	v_min3_f32 v138, v141, v138, v143
	v_add_nc_u32_e32 v141, 8, v80
	v_min3_f32 v134, v60, v61, v134
	v_dual_add_f32 v142, v35, v59 :: v_dual_add_f32 v143, v34, v58
	v_min_f32_e32 v144, v62, v63
	s_delay_alu instid0(VALU_DEP_4) | instskip(SKIP_1) | instid1(VALU_DEP_3)
	v_mad_i64_i32 v[60:61], null, v141, s8, 0
	v_mad_i64_i32 v[62:63], null, v141, s0, 0
	v_min3_f32 v134, v137, v144, v134
	v_add_co_u32 v137, vcc_lo, v83, v76
	v_min3_f32 v141, v143, v142, v138
	v_lshlrev_b64 v[60:61], 2, v[60:61]
	v_add_co_ci_u32_e32 v138, vcc_lo, v84, v77, vcc_lo
	v_lshlrev_b64 v[62:63], 2, v[62:63]
	s_delay_alu instid0(VALU_DEP_4) | instskip(NEXT) | instid1(VALU_DEP_4)
	v_max_f32_e32 v83, v141, v141
	v_add_co_u32 v60, vcc_lo, s1, v60
	v_add_co_ci_u32_e32 v61, vcc_lo, s6, v61, vcc_lo
	s_delay_alu instid0(VALU_DEP_4)
	v_add_co_u32 v62, vcc_lo, s4, v62
	v_add_co_ci_u32_e32 v63, vcc_lo, s5, v63, vcc_lo
	s_mov_b32 vcc_lo, s2
	global_store_b32 v[137:138], v134, off
	s_cbranch_vccz .LBB55_37
; %bb.35:
	v_add_co_u32 v137, vcc_lo, v60, v66
	v_min_f32_e32 v84, 0, v83
	v_add_co_ci_u32_e32 v138, vcc_lo, v61, v67, vcc_lo
	s_mov_b32 s7, 0
	global_store_b32 v[137:138], v84, off
	s_cbranch_execz .LBB55_38
; %bb.36:
	v_mov_b32_e32 v83, s7
	s_branch .LBB55_39
.LBB55_37:
	s_mov_b32 s7, -1
.LBB55_38:
	v_add_co_u32 v137, vcc_lo, v62, v66
	v_add_co_ci_u32_e32 v138, vcc_lo, v63, v67, vcc_lo
	flat_load_b32 v84, v[137:138]
	v_add_co_u32 v137, vcc_lo, v60, v66
	v_add_co_ci_u32_e32 v138, vcc_lo, v61, v67, vcc_lo
	s_waitcnt vmcnt(0) lgkmcnt(0)
	v_mul_f32_e32 v84, s3, v84
	s_delay_alu instid0(VALU_DEP_1)
	v_min_f32_e32 v134, v84, v83
	v_add_co_u32 v83, vcc_lo, v62, v64
	v_add_co_ci_u32_e32 v84, vcc_lo, v63, v65, vcc_lo
	global_store_b32 v[137:138], v134, off
	flat_load_b32 v83, v[83:84]
	s_waitcnt vmcnt(0) lgkmcnt(0)
	v_mul_f32_e32 v83, s3, v83
.LBB55_39:
	v_dual_add_f32 v84, v29, v57 :: v_dual_add_f32 v141, v31, v59
	v_dual_add_f32 v134, v28, v56 :: v_dual_add_f32 v137, v25, v57
	v_add_f32_e32 v138, v24, v56
	v_add_f32_e32 v142, v30, v58
	s_delay_alu instid0(VALU_DEP_3) | instskip(NEXT) | instid1(VALU_DEP_3)
	v_min3_f32 v84, v134, v84, v139
	v_min3_f32 v134, v138, v137, v140
	v_dual_add_f32 v137, v27, v59 :: v_dual_add_f32 v138, v26, v58
	s_delay_alu instid0(VALU_DEP_4) | instskip(NEXT) | instid1(VALU_DEP_2)
	v_min_f32_e32 v139, v142, v141
	v_min3_f32 v134, v138, v137, v134
	v_add_co_u32 v137, vcc_lo, v60, v64
	s_delay_alu instid0(VALU_DEP_3) | instskip(SKIP_1) | instid1(VALU_DEP_4)
	v_min3_f32 v84, v83, v139, v84
	v_add_co_ci_u32_e32 v138, vcc_lo, v61, v65, vcc_lo
	v_max_f32_e32 v83, v134, v134
	s_mov_b32 vcc_lo, s2
	global_store_b32 v[137:138], v84, off
	s_cbranch_vccz .LBB55_42
; %bb.40:
	v_add_co_u32 v137, vcc_lo, v60, v70
	v_min_f32_e32 v84, 0, v83
	v_add_co_ci_u32_e32 v138, vcc_lo, v61, v71, vcc_lo
	s_mov_b32 s7, 0
	global_store_b32 v[137:138], v84, off
	s_cbranch_execz .LBB55_43
; %bb.41:
	v_mov_b32_e32 v83, s7
	s_branch .LBB55_44
.LBB55_42:
	s_mov_b32 s7, -1
.LBB55_43:
	v_add_co_u32 v137, vcc_lo, v62, v70
	v_add_co_ci_u32_e32 v138, vcc_lo, v63, v71, vcc_lo
	flat_load_b32 v84, v[137:138]
	v_add_co_u32 v137, vcc_lo, v60, v70
	v_add_co_ci_u32_e32 v138, vcc_lo, v61, v71, vcc_lo
	s_waitcnt vmcnt(0) lgkmcnt(0)
	v_mul_f32_e32 v84, s3, v84
	s_delay_alu instid0(VALU_DEP_1)
	v_min_f32_e32 v134, v84, v83
	v_add_co_u32 v83, vcc_lo, v62, v68
	v_add_co_ci_u32_e32 v84, vcc_lo, v63, v69, vcc_lo
	global_store_b32 v[137:138], v134, off
	flat_load_b32 v83, v[83:84]
	s_waitcnt vmcnt(0) lgkmcnt(0)
	v_mul_f32_e32 v83, s3, v83
.LBB55_44:
	v_dual_add_f32 v84, v21, v57 :: v_dual_add_f32 v139, v23, v59
	v_dual_add_f32 v134, v20, v56 :: v_dual_add_f32 v137, v17, v57
	v_add_f32_e32 v138, v16, v56
	s_delay_alu instid0(VALU_DEP_2) | instskip(SKIP_1) | instid1(VALU_DEP_3)
	v_min3_f32 v84, v134, v84, v135
	v_add_f32_e32 v135, v19, v59
	v_min3_f32 v134, v138, v137, v136
	v_add_f32_e32 v136, v18, v58
	s_delay_alu instid0(VALU_DEP_1) | instskip(SKIP_3) | instid1(VALU_DEP_3)
	v_min3_f32 v136, v136, v135, v134
	v_add_f32_e32 v140, v22, v58
	v_add_co_u32 v134, vcc_lo, v60, v68
	v_add_co_ci_u32_e32 v135, vcc_lo, v61, v69, vcc_lo
	v_min_f32_e32 v137, v140, v139
	s_mov_b32 vcc_lo, s2
	s_delay_alu instid0(VALU_DEP_1)
	v_min3_f32 v84, v83, v137, v84
	v_max_f32_e32 v83, v136, v136
	global_store_b32 v[134:135], v84, off
	s_cbranch_vccz .LBB55_47
; %bb.45:
	v_add_co_u32 v134, vcc_lo, v60, v74
	v_min_f32_e32 v84, 0, v83
	v_add_co_ci_u32_e32 v135, vcc_lo, v61, v75, vcc_lo
	s_mov_b32 s7, 0
	global_store_b32 v[134:135], v84, off
	s_cbranch_execz .LBB55_48
; %bb.46:
	v_mov_b32_e32 v83, s7
	s_branch .LBB55_49
.LBB55_47:
	s_mov_b32 s7, -1
.LBB55_48:
	v_add_co_u32 v134, vcc_lo, v62, v74
	v_add_co_ci_u32_e32 v135, vcc_lo, v63, v75, vcc_lo
	flat_load_b32 v84, v[134:135]
	v_add_co_u32 v134, vcc_lo, v60, v74
	v_add_co_ci_u32_e32 v135, vcc_lo, v61, v75, vcc_lo
	s_waitcnt vmcnt(0) lgkmcnt(0)
	v_mul_f32_e32 v84, s3, v84
	s_delay_alu instid0(VALU_DEP_1)
	v_min_f32_e32 v136, v84, v83
	v_add_co_u32 v83, vcc_lo, v62, v72
	v_add_co_ci_u32_e32 v84, vcc_lo, v63, v73, vcc_lo
	global_store_b32 v[134:135], v136, off
	flat_load_b32 v83, v[83:84]
	s_waitcnt vmcnt(0) lgkmcnt(0)
	v_mul_f32_e32 v83, s3, v83
.LBB55_49:
	v_dual_add_f32 v84, v13, v57 :: v_dual_add_f32 v137, v15, v59
	v_dual_add_f32 v134, v12, v56 :: v_dual_add_f32 v135, v9, v57
	v_add_f32_e32 v136, v8, v56
	v_add_f32_e32 v138, v14, v58
	s_delay_alu instid0(VALU_DEP_3) | instskip(SKIP_1) | instid1(VALU_DEP_4)
	v_min3_f32 v84, v134, v84, v132
	v_add_f32_e32 v134, v10, v58
	v_min3_f32 v132, v136, v135, v133
	v_add_f32_e32 v133, v11, v59
	v_min_f32_e32 v135, v138, v137
	s_delay_alu instid0(VALU_DEP_2) | instskip(SKIP_1) | instid1(VALU_DEP_3)
	v_min3_f32 v134, v134, v133, v132
	v_add_co_u32 v132, vcc_lo, v60, v72
	v_min3_f32 v84, v83, v135, v84
	v_add_co_ci_u32_e32 v133, vcc_lo, v61, v73, vcc_lo
	s_delay_alu instid0(VALU_DEP_4)
	v_max_f32_e32 v83, v134, v134
	s_mov_b32 vcc_lo, s2
	global_store_b32 v[132:133], v84, off
	s_cbranch_vccz .LBB55_52
; %bb.50:
	v_add_co_u32 v132, vcc_lo, v60, v78
	v_min_f32_e32 v84, 0, v83
	v_add_co_ci_u32_e32 v133, vcc_lo, v61, v79, vcc_lo
	s_mov_b32 s7, 0
	global_store_b32 v[132:133], v84, off
	s_cbranch_execz .LBB55_53
; %bb.51:
	v_mov_b32_e32 v62, s7
	s_branch .LBB55_54
.LBB55_52:
	s_mov_b32 s7, -1
.LBB55_53:
	v_add_co_u32 v132, vcc_lo, v62, v78
	v_add_co_ci_u32_e32 v133, vcc_lo, v63, v79, vcc_lo
	flat_load_b32 v84, v[132:133]
	v_add_co_u32 v132, vcc_lo, v60, v78
	v_add_co_ci_u32_e32 v133, vcc_lo, v61, v79, vcc_lo
	v_add_co_u32 v62, vcc_lo, v62, v76
	v_add_co_ci_u32_e32 v63, vcc_lo, v63, v77, vcc_lo
	s_waitcnt vmcnt(0) lgkmcnt(0)
	v_mul_f32_e32 v84, s3, v84
	s_delay_alu instid0(VALU_DEP_1)
	v_min_f32_e32 v83, v84, v83
	global_store_b32 v[132:133], v83, off
	flat_load_b32 v62, v[62:63]
	s_waitcnt vmcnt(0) lgkmcnt(0)
	v_mul_f32_e32 v62, s3, v62
.LBB55_54:
	v_dual_add_f32 v57, v1, v57 :: v_dual_add_f32 v56, v0, v56
	s_waitcnt lgkmcnt(5)
	v_dual_add_f32 v63, v33, v53 :: v_dual_add_f32 v58, v2, v58
	v_add_f32_e32 v83, v32, v52
	v_add_f32_e32 v59, v3, v59
	v_min3_f32 v84, v56, v57, v130
	v_add_f32_e32 v130, v35, v55
	s_delay_alu instid0(VALU_DEP_4) | instskip(NEXT) | instid1(VALU_DEP_4)
	v_min3_f32 v63, v83, v63, v131
	v_dual_min_f32 v132, v58, v59 :: v_dual_add_nc_u32 v83, 16, v80
	v_add_f32_e32 v131, v34, v54
	s_delay_alu instid0(VALU_DEP_2) | instskip(SKIP_1) | instid1(VALU_DEP_4)
	v_mad_i64_i32 v[56:57], null, v83, s8, 0
	v_mad_i64_i32 v[58:59], null, v83, s0, 0
	v_min3_f32 v84, v62, v132, v84
	v_add_co_u32 v62, vcc_lo, v60, v76
	v_min3_f32 v83, v131, v130, v63
	v_lshlrev_b64 v[56:57], 2, v[56:57]
	v_add_co_ci_u32_e32 v63, vcc_lo, v61, v77, vcc_lo
	v_lshlrev_b64 v[58:59], 2, v[58:59]
	s_delay_alu instid0(VALU_DEP_4) | instskip(NEXT) | instid1(VALU_DEP_4)
	v_max_f32_e32 v60, v83, v83
	v_add_co_u32 v56, vcc_lo, s1, v56
	v_add_co_ci_u32_e32 v57, vcc_lo, s6, v57, vcc_lo
	s_delay_alu instid0(VALU_DEP_4)
	v_add_co_u32 v58, vcc_lo, s4, v58
	v_add_co_ci_u32_e32 v59, vcc_lo, s5, v59, vcc_lo
	s_mov_b32 vcc_lo, s2
	global_store_b32 v[62:63], v84, off
	s_cbranch_vccz .LBB55_57
; %bb.55:
	v_add_co_u32 v61, vcc_lo, v56, v66
	v_min_f32_e32 v63, 0, v60
	v_add_co_ci_u32_e32 v62, vcc_lo, v57, v67, vcc_lo
	s_mov_b32 s7, 0
	global_store_b32 v[61:62], v63, off
	s_cbranch_execz .LBB55_58
; %bb.56:
	v_mov_b32_e32 v60, s7
	s_branch .LBB55_59
.LBB55_57:
	s_mov_b32 s7, -1
.LBB55_58:
	v_add_co_u32 v61, vcc_lo, v58, v66
	v_add_co_ci_u32_e32 v62, vcc_lo, v59, v67, vcc_lo
	flat_load_b32 v61, v[61:62]
	s_waitcnt vmcnt(0) lgkmcnt(0)
	v_mul_f32_e32 v63, s3, v61
	v_add_co_u32 v61, vcc_lo, v56, v66
	v_add_co_ci_u32_e32 v62, vcc_lo, v57, v67, vcc_lo
	v_add_co_u32 v83, vcc_lo, v58, v64
	s_delay_alu instid0(VALU_DEP_4)
	v_min_f32_e32 v60, v63, v60
	v_add_co_ci_u32_e32 v84, vcc_lo, v59, v65, vcc_lo
	global_store_b32 v[61:62], v60, off
	flat_load_b32 v60, v[83:84]
	s_waitcnt vmcnt(0) lgkmcnt(0)
	v_mul_f32_e32 v60, s3, v60
.LBB55_59:
	v_dual_add_f32 v61, v29, v53 :: v_dual_add_f32 v62, v28, v52
	v_dual_add_f32 v63, v25, v53 :: v_dual_add_f32 v84, v31, v55
	v_dual_add_f32 v83, v24, v52 :: v_dual_add_f32 v130, v30, v54
	s_delay_alu instid0(VALU_DEP_3) | instskip(NEXT) | instid1(VALU_DEP_2)
	v_min3_f32 v61, v62, v61, v128
	v_min3_f32 v62, v83, v63, v129
	s_delay_alu instid0(VALU_DEP_3) | instskip(SKIP_1) | instid1(VALU_DEP_1)
	v_dual_add_f32 v63, v27, v55 :: v_dual_min_f32 v84, v130, v84
	v_add_f32_e32 v83, v26, v54
	v_min3_f32 v63, v83, v63, v62
	s_delay_alu instid0(VALU_DEP_3) | instskip(SKIP_2) | instid1(VALU_DEP_4)
	v_min3_f32 v83, v60, v84, v61
	v_add_co_u32 v61, vcc_lo, v56, v64
	v_add_co_ci_u32_e32 v62, vcc_lo, v57, v65, vcc_lo
	v_max_f32_e32 v60, v63, v63
	s_mov_b32 vcc_lo, s2
	global_store_b32 v[61:62], v83, off
	s_cbranch_vccz .LBB55_62
; %bb.60:
	v_add_co_u32 v61, vcc_lo, v56, v70
	v_min_f32_e32 v63, 0, v60
	v_add_co_ci_u32_e32 v62, vcc_lo, v57, v71, vcc_lo
	s_mov_b32 s7, 0
	global_store_b32 v[61:62], v63, off
	s_cbranch_execz .LBB55_63
; %bb.61:
	v_mov_b32_e32 v60, s7
	s_branch .LBB55_64
.LBB55_62:
	s_mov_b32 s7, -1
.LBB55_63:
	v_add_co_u32 v61, vcc_lo, v58, v70
	v_add_co_ci_u32_e32 v62, vcc_lo, v59, v71, vcc_lo
	flat_load_b32 v61, v[61:62]
	s_waitcnt vmcnt(0) lgkmcnt(0)
	v_mul_f32_e32 v63, s3, v61
	v_add_co_u32 v61, vcc_lo, v56, v70
	v_add_co_ci_u32_e32 v62, vcc_lo, v57, v71, vcc_lo
	v_add_co_u32 v83, vcc_lo, v58, v68
	s_delay_alu instid0(VALU_DEP_4)
	v_min_f32_e32 v60, v63, v60
	v_add_co_ci_u32_e32 v84, vcc_lo, v59, v69, vcc_lo
	global_store_b32 v[61:62], v60, off
	flat_load_b32 v60, v[83:84]
	s_waitcnt vmcnt(0) lgkmcnt(0)
	v_mul_f32_e32 v60, s3, v60
.LBB55_64:
	v_dual_add_f32 v61, v21, v53 :: v_dual_add_f32 v62, v20, v52
	v_dual_add_f32 v63, v17, v53 :: v_dual_add_f32 v84, v23, v55
	v_dual_add_f32 v83, v16, v52 :: v_dual_add_f32 v128, v22, v54
	s_delay_alu instid0(VALU_DEP_3) | instskip(NEXT) | instid1(VALU_DEP_2)
	v_min3_f32 v61, v62, v61, v126
	v_min3_f32 v62, v83, v63, v127
	s_delay_alu instid0(VALU_DEP_3) | instskip(SKIP_1) | instid1(VALU_DEP_1)
	v_dual_add_f32 v63, v19, v55 :: v_dual_min_f32 v84, v128, v84
	v_add_f32_e32 v83, v18, v54
	v_min3_f32 v63, v83, v63, v62
	s_delay_alu instid0(VALU_DEP_3) | instskip(SKIP_2) | instid1(VALU_DEP_4)
	v_min3_f32 v83, v60, v84, v61
	v_add_co_u32 v61, vcc_lo, v56, v68
	v_add_co_ci_u32_e32 v62, vcc_lo, v57, v69, vcc_lo
	v_max_f32_e32 v60, v63, v63
	;; [unrolled: 47-line block ×3, first 2 shown]
	s_mov_b32 vcc_lo, s2
	global_store_b32 v[61:62], v83, off
	s_cbranch_vccz .LBB55_72
; %bb.70:
	v_add_co_u32 v61, vcc_lo, v56, v78
	v_min_f32_e32 v63, 0, v60
	v_add_co_ci_u32_e32 v62, vcc_lo, v57, v79, vcc_lo
	s_mov_b32 s7, 0
	global_store_b32 v[61:62], v63, off
	s_cbranch_execz .LBB55_73
; %bb.71:
	v_mov_b32_e32 v58, s7
	s_branch .LBB55_74
.LBB55_72:
	s_mov_b32 s7, -1
.LBB55_73:
	v_add_co_u32 v61, vcc_lo, v58, v78
	v_add_co_ci_u32_e32 v62, vcc_lo, v59, v79, vcc_lo
	flat_load_b32 v61, v[61:62]
	s_waitcnt vmcnt(0) lgkmcnt(0)
	v_mul_f32_e32 v63, s3, v61
	v_add_co_u32 v61, vcc_lo, v56, v78
	v_add_co_ci_u32_e32 v62, vcc_lo, v57, v79, vcc_lo
	v_add_co_u32 v58, vcc_lo, v58, v76
	s_delay_alu instid0(VALU_DEP_4)
	v_min_f32_e32 v60, v63, v60
	v_add_co_ci_u32_e32 v59, vcc_lo, v59, v77, vcc_lo
	global_store_b32 v[61:62], v60, off
	flat_load_b32 v58, v[58:59]
	s_waitcnt vmcnt(0) lgkmcnt(0)
	v_mul_f32_e32 v58, s3, v58
.LBB55_74:
	s_waitcnt lgkmcnt(4)
	v_dual_add_f32 v59, v33, v49 :: v_dual_add_f32 v60, v32, v48
	v_dual_add_f32 v53, v1, v53 :: v_dual_add_f32 v52, v0, v52
	;; [unrolled: 1-line block ×3, first 2 shown]
	s_delay_alu instid0(VALU_DEP_3) | instskip(SKIP_1) | instid1(VALU_DEP_4)
	v_min3_f32 v59, v60, v59, v123
	v_add_nc_u32_e32 v60, 24, v80
	v_min3_f32 v61, v52, v53, v122
	v_dual_add_f32 v62, v35, v51 :: v_dual_add_f32 v63, v34, v50
	v_min_f32_e32 v83, v54, v55
	s_delay_alu instid0(VALU_DEP_4) | instskip(SKIP_1) | instid1(VALU_DEP_3)
	v_mad_i64_i32 v[52:53], null, v60, s8, 0
	v_mad_i64_i32 v[54:55], null, v60, s0, 0
	v_min3_f32 v61, v58, v83, v61
	v_add_co_u32 v58, vcc_lo, v56, v76
	v_min3_f32 v60, v63, v62, v59
	v_lshlrev_b64 v[52:53], 2, v[52:53]
	v_add_co_ci_u32_e32 v59, vcc_lo, v57, v77, vcc_lo
	v_lshlrev_b64 v[54:55], 2, v[54:55]
	s_delay_alu instid0(VALU_DEP_4) | instskip(NEXT) | instid1(VALU_DEP_4)
	v_max_f32_e32 v56, v60, v60
	v_add_co_u32 v52, vcc_lo, s1, v52
	v_add_co_ci_u32_e32 v53, vcc_lo, s6, v53, vcc_lo
	s_delay_alu instid0(VALU_DEP_4)
	v_add_co_u32 v54, vcc_lo, s4, v54
	v_add_co_ci_u32_e32 v55, vcc_lo, s5, v55, vcc_lo
	s_mov_b32 vcc_lo, s2
	global_store_b32 v[58:59], v61, off
	s_cbranch_vccz .LBB55_77
; %bb.75:
	v_add_co_u32 v57, vcc_lo, v52, v66
	v_min_f32_e32 v59, 0, v56
	v_add_co_ci_u32_e32 v58, vcc_lo, v53, v67, vcc_lo
	s_mov_b32 s7, 0
	global_store_b32 v[57:58], v59, off
	s_cbranch_execz .LBB55_78
; %bb.76:
	v_mov_b32_e32 v56, s7
	s_branch .LBB55_79
.LBB55_77:
	s_mov_b32 s7, -1
.LBB55_78:
	v_add_co_u32 v57, vcc_lo, v54, v66
	v_add_co_ci_u32_e32 v58, vcc_lo, v55, v67, vcc_lo
	flat_load_b32 v57, v[57:58]
	s_waitcnt vmcnt(0) lgkmcnt(0)
	v_mul_f32_e32 v59, s3, v57
	v_add_co_u32 v57, vcc_lo, v52, v66
	v_add_co_ci_u32_e32 v58, vcc_lo, v53, v67, vcc_lo
	s_delay_alu instid0(VALU_DEP_3)
	v_min_f32_e32 v56, v59, v56
	v_add_co_u32 v59, vcc_lo, v54, v64
	v_add_co_ci_u32_e32 v60, vcc_lo, v55, v65, vcc_lo
	global_store_b32 v[57:58], v56, off
	flat_load_b32 v56, v[59:60]
	s_waitcnt vmcnt(0) lgkmcnt(0)
	v_mul_f32_e32 v56, s3, v56
.LBB55_79:
	v_dual_add_f32 v57, v29, v49 :: v_dual_add_f32 v58, v28, v48
	v_dual_add_f32 v59, v25, v49 :: v_dual_add_f32 v60, v24, v48
	v_dual_add_f32 v61, v31, v51 :: v_dual_add_f32 v62, v30, v50
	s_delay_alu instid0(VALU_DEP_3) | instskip(NEXT) | instid1(VALU_DEP_3)
	v_min3_f32 v57, v58, v57, v120
	v_min3_f32 v58, v60, v59, v121
	v_dual_add_f32 v59, v27, v51 :: v_dual_add_f32 v60, v26, v50
	s_delay_alu instid0(VALU_DEP_1) | instskip(SKIP_1) | instid1(VALU_DEP_1)
	v_min3_f32 v59, v60, v59, v58
	v_min_f32_e32 v61, v62, v61
	v_min3_f32 v60, v56, v61, v57
	s_delay_alu instid0(VALU_DEP_3)
	v_max_f32_e32 v56, v59, v59
	v_add_co_u32 v57, vcc_lo, v52, v64
	v_add_co_ci_u32_e32 v58, vcc_lo, v53, v65, vcc_lo
	s_mov_b32 vcc_lo, s2
	global_store_b32 v[57:58], v60, off
	s_cbranch_vccz .LBB55_82
; %bb.80:
	v_add_co_u32 v57, vcc_lo, v52, v70
	v_min_f32_e32 v59, 0, v56
	v_add_co_ci_u32_e32 v58, vcc_lo, v53, v71, vcc_lo
	s_mov_b32 s7, 0
	global_store_b32 v[57:58], v59, off
	s_cbranch_execz .LBB55_83
; %bb.81:
	v_mov_b32_e32 v56, s7
	s_branch .LBB55_84
.LBB55_82:
	s_mov_b32 s7, -1
.LBB55_83:
	v_add_co_u32 v57, vcc_lo, v54, v70
	v_add_co_ci_u32_e32 v58, vcc_lo, v55, v71, vcc_lo
	flat_load_b32 v57, v[57:58]
	s_waitcnt vmcnt(0) lgkmcnt(0)
	v_mul_f32_e32 v59, s3, v57
	v_add_co_u32 v57, vcc_lo, v52, v70
	v_add_co_ci_u32_e32 v58, vcc_lo, v53, v71, vcc_lo
	s_delay_alu instid0(VALU_DEP_3)
	v_min_f32_e32 v56, v59, v56
	v_add_co_u32 v59, vcc_lo, v54, v68
	v_add_co_ci_u32_e32 v60, vcc_lo, v55, v69, vcc_lo
	global_store_b32 v[57:58], v56, off
	flat_load_b32 v56, v[59:60]
	s_waitcnt vmcnt(0) lgkmcnt(0)
	v_mul_f32_e32 v56, s3, v56
.LBB55_84:
	v_dual_add_f32 v57, v21, v49 :: v_dual_add_f32 v58, v20, v48
	v_dual_add_f32 v59, v17, v49 :: v_dual_add_f32 v60, v16, v48
	v_dual_add_f32 v61, v23, v51 :: v_dual_add_f32 v62, v22, v50
	s_delay_alu instid0(VALU_DEP_3) | instskip(NEXT) | instid1(VALU_DEP_3)
	v_min3_f32 v57, v58, v57, v117
	v_min3_f32 v58, v60, v59, v118
	v_dual_add_f32 v59, v19, v51 :: v_dual_add_f32 v60, v18, v50
	s_delay_alu instid0(VALU_DEP_1) | instskip(SKIP_1) | instid1(VALU_DEP_1)
	v_min3_f32 v59, v60, v59, v58
	v_min_f32_e32 v61, v62, v61
	v_min3_f32 v60, v56, v61, v57
	s_delay_alu instid0(VALU_DEP_3)
	v_max_f32_e32 v56, v59, v59
	;; [unrolled: 47-line block ×3, first 2 shown]
	v_add_co_u32 v57, vcc_lo, v52, v72
	v_add_co_ci_u32_e32 v58, vcc_lo, v53, v73, vcc_lo
	s_mov_b32 vcc_lo, s2
	global_store_b32 v[57:58], v60, off
	s_cbranch_vccz .LBB55_92
; %bb.90:
	v_add_co_u32 v57, vcc_lo, v52, v78
	v_min_f32_e32 v59, 0, v56
	v_add_co_ci_u32_e32 v58, vcc_lo, v53, v79, vcc_lo
	s_mov_b32 s7, 0
	global_store_b32 v[57:58], v59, off
	s_cbranch_execz .LBB55_93
; %bb.91:
	v_mov_b32_e32 v54, s7
	s_branch .LBB55_94
.LBB55_92:
	s_mov_b32 s7, -1
.LBB55_93:
	v_add_co_u32 v57, vcc_lo, v54, v78
	v_add_co_ci_u32_e32 v58, vcc_lo, v55, v79, vcc_lo
	flat_load_b32 v57, v[57:58]
	s_waitcnt vmcnt(0) lgkmcnt(0)
	v_mul_f32_e32 v59, s3, v57
	v_add_co_u32 v57, vcc_lo, v52, v78
	v_add_co_ci_u32_e32 v58, vcc_lo, v53, v79, vcc_lo
	v_add_co_u32 v54, vcc_lo, v54, v76
	s_delay_alu instid0(VALU_DEP_4)
	v_min_f32_e32 v56, v59, v56
	v_add_co_ci_u32_e32 v55, vcc_lo, v55, v77, vcc_lo
	global_store_b32 v[57:58], v56, off
	flat_load_b32 v54, v[54:55]
	s_waitcnt vmcnt(0) lgkmcnt(0)
	v_mul_f32_e32 v54, s3, v54
.LBB55_94:
	s_waitcnt lgkmcnt(3)
	v_dual_add_f32 v55, v33, v45 :: v_dual_add_f32 v56, v32, v44
	v_dual_add_f32 v49, v1, v49 :: v_dual_add_f32 v48, v0, v48
	;; [unrolled: 1-line block ×3, first 2 shown]
	s_delay_alu instid0(VALU_DEP_3) | instskip(SKIP_1) | instid1(VALU_DEP_4)
	v_min3_f32 v55, v56, v55, v119
	v_add_nc_u32_e32 v56, 32, v80
	v_min3_f32 v57, v48, v49, v112
	v_dual_add_f32 v58, v35, v47 :: v_dual_add_f32 v59, v34, v46
	v_min_f32_e32 v60, v50, v51
	s_delay_alu instid0(VALU_DEP_4) | instskip(SKIP_1) | instid1(VALU_DEP_3)
	v_mad_i64_i32 v[48:49], null, v56, s8, 0
	v_mad_i64_i32 v[50:51], null, v56, s0, 0
	v_min3_f32 v57, v54, v60, v57
	v_add_co_u32 v54, vcc_lo, v52, v76
	v_min3_f32 v56, v59, v58, v55
	v_lshlrev_b64 v[48:49], 2, v[48:49]
	v_add_co_ci_u32_e32 v55, vcc_lo, v53, v77, vcc_lo
	v_lshlrev_b64 v[50:51], 2, v[50:51]
	s_delay_alu instid0(VALU_DEP_4) | instskip(NEXT) | instid1(VALU_DEP_4)
	v_max_f32_e32 v52, v56, v56
	v_add_co_u32 v48, vcc_lo, s1, v48
	v_add_co_ci_u32_e32 v49, vcc_lo, s6, v49, vcc_lo
	s_delay_alu instid0(VALU_DEP_4)
	v_add_co_u32 v50, vcc_lo, s4, v50
	v_add_co_ci_u32_e32 v51, vcc_lo, s5, v51, vcc_lo
	s_mov_b32 vcc_lo, s2
	global_store_b32 v[54:55], v57, off
	s_cbranch_vccz .LBB55_97
; %bb.95:
	v_add_co_u32 v53, vcc_lo, v48, v66
	v_min_f32_e32 v55, 0, v52
	v_add_co_ci_u32_e32 v54, vcc_lo, v49, v67, vcc_lo
	s_mov_b32 s7, 0
	global_store_b32 v[53:54], v55, off
	s_cbranch_execz .LBB55_98
; %bb.96:
	v_mov_b32_e32 v52, s7
	s_branch .LBB55_99
.LBB55_97:
	s_mov_b32 s7, -1
.LBB55_98:
	v_add_co_u32 v53, vcc_lo, v50, v66
	v_add_co_ci_u32_e32 v54, vcc_lo, v51, v67, vcc_lo
	flat_load_b32 v53, v[53:54]
	s_waitcnt vmcnt(0) lgkmcnt(0)
	v_mul_f32_e32 v55, s3, v53
	v_add_co_u32 v53, vcc_lo, v48, v66
	v_add_co_ci_u32_e32 v54, vcc_lo, v49, v67, vcc_lo
	s_delay_alu instid0(VALU_DEP_3)
	v_min_f32_e32 v52, v55, v52
	v_add_co_u32 v55, vcc_lo, v50, v64
	v_add_co_ci_u32_e32 v56, vcc_lo, v51, v65, vcc_lo
	global_store_b32 v[53:54], v52, off
	flat_load_b32 v52, v[55:56]
	s_waitcnt vmcnt(0) lgkmcnt(0)
	v_mul_f32_e32 v52, s3, v52
.LBB55_99:
	v_dual_add_f32 v53, v29, v45 :: v_dual_add_f32 v54, v28, v44
	v_dual_add_f32 v55, v25, v45 :: v_dual_add_f32 v56, v24, v44
	v_dual_add_f32 v57, v31, v47 :: v_dual_add_f32 v58, v30, v46
	s_delay_alu instid0(VALU_DEP_3) | instskip(NEXT) | instid1(VALU_DEP_3)
	v_min3_f32 v53, v54, v53, v113
	v_min3_f32 v54, v56, v55, v114
	v_dual_add_f32 v55, v27, v47 :: v_dual_add_f32 v56, v26, v46
	s_delay_alu instid0(VALU_DEP_1) | instskip(SKIP_1) | instid1(VALU_DEP_1)
	v_min3_f32 v55, v56, v55, v54
	v_min_f32_e32 v57, v58, v57
	v_min3_f32 v56, v52, v57, v53
	s_delay_alu instid0(VALU_DEP_3)
	v_max_f32_e32 v52, v55, v55
	v_add_co_u32 v53, vcc_lo, v48, v64
	v_add_co_ci_u32_e32 v54, vcc_lo, v49, v65, vcc_lo
	s_mov_b32 vcc_lo, s2
	global_store_b32 v[53:54], v56, off
	s_cbranch_vccz .LBB55_102
; %bb.100:
	v_add_co_u32 v53, vcc_lo, v48, v70
	v_min_f32_e32 v55, 0, v52
	v_add_co_ci_u32_e32 v54, vcc_lo, v49, v71, vcc_lo
	s_mov_b32 s7, 0
	global_store_b32 v[53:54], v55, off
	s_cbranch_execz .LBB55_103
; %bb.101:
	v_mov_b32_e32 v52, s7
	s_branch .LBB55_104
.LBB55_102:
	s_mov_b32 s7, -1
.LBB55_103:
	v_add_co_u32 v53, vcc_lo, v50, v70
	v_add_co_ci_u32_e32 v54, vcc_lo, v51, v71, vcc_lo
	flat_load_b32 v53, v[53:54]
	s_waitcnt vmcnt(0) lgkmcnt(0)
	v_mul_f32_e32 v55, s3, v53
	v_add_co_u32 v53, vcc_lo, v48, v70
	v_add_co_ci_u32_e32 v54, vcc_lo, v49, v71, vcc_lo
	s_delay_alu instid0(VALU_DEP_3)
	v_min_f32_e32 v52, v55, v52
	v_add_co_u32 v55, vcc_lo, v50, v68
	v_add_co_ci_u32_e32 v56, vcc_lo, v51, v69, vcc_lo
	global_store_b32 v[53:54], v52, off
	flat_load_b32 v52, v[55:56]
	s_waitcnt vmcnt(0) lgkmcnt(0)
	v_mul_f32_e32 v52, s3, v52
.LBB55_104:
	v_dual_add_f32 v53, v21, v45 :: v_dual_add_f32 v54, v20, v44
	v_dual_add_f32 v55, v17, v45 :: v_dual_add_f32 v56, v16, v44
	v_dual_add_f32 v57, v23, v47 :: v_dual_add_f32 v58, v22, v46
	s_delay_alu instid0(VALU_DEP_3) | instskip(NEXT) | instid1(VALU_DEP_3)
	v_min3_f32 v53, v54, v53, v110
	v_min3_f32 v54, v56, v55, v111
	v_dual_add_f32 v55, v19, v47 :: v_dual_add_f32 v56, v18, v46
	s_delay_alu instid0(VALU_DEP_1) | instskip(SKIP_1) | instid1(VALU_DEP_1)
	v_min3_f32 v55, v56, v55, v54
	v_min_f32_e32 v57, v58, v57
	v_min3_f32 v56, v52, v57, v53
	s_delay_alu instid0(VALU_DEP_3)
	v_max_f32_e32 v52, v55, v55
	;; [unrolled: 47-line block ×3, first 2 shown]
	v_add_co_u32 v53, vcc_lo, v48, v72
	v_add_co_ci_u32_e32 v54, vcc_lo, v49, v73, vcc_lo
	s_mov_b32 vcc_lo, s2
	global_store_b32 v[53:54], v56, off
	s_cbranch_vccz .LBB55_112
; %bb.110:
	v_add_co_u32 v53, vcc_lo, v48, v78
	v_min_f32_e32 v55, 0, v52
	v_add_co_ci_u32_e32 v54, vcc_lo, v49, v79, vcc_lo
	s_mov_b32 s7, 0
	global_store_b32 v[53:54], v55, off
	s_cbranch_execz .LBB55_113
; %bb.111:
	v_mov_b32_e32 v50, s7
	s_branch .LBB55_114
.LBB55_112:
	s_mov_b32 s7, -1
.LBB55_113:
	v_add_co_u32 v53, vcc_lo, v50, v78
	v_add_co_ci_u32_e32 v54, vcc_lo, v51, v79, vcc_lo
	flat_load_b32 v53, v[53:54]
	s_waitcnt vmcnt(0) lgkmcnt(0)
	v_mul_f32_e32 v55, s3, v53
	v_add_co_u32 v53, vcc_lo, v48, v78
	v_add_co_ci_u32_e32 v54, vcc_lo, v49, v79, vcc_lo
	v_add_co_u32 v50, vcc_lo, v50, v76
	s_delay_alu instid0(VALU_DEP_4)
	v_min_f32_e32 v52, v55, v52
	v_add_co_ci_u32_e32 v51, vcc_lo, v51, v77, vcc_lo
	global_store_b32 v[53:54], v52, off
	flat_load_b32 v50, v[50:51]
	s_waitcnt vmcnt(0) lgkmcnt(0)
	v_mul_f32_e32 v50, s3, v50
.LBB55_114:
	s_waitcnt lgkmcnt(2)
	v_dual_add_f32 v51, v33, v41 :: v_dual_add_f32 v52, v32, v40
	v_dual_add_f32 v45, v1, v45 :: v_dual_add_f32 v44, v0, v44
	;; [unrolled: 1-line block ×3, first 2 shown]
	s_delay_alu instid0(VALU_DEP_3) | instskip(SKIP_1) | instid1(VALU_DEP_4)
	v_min3_f32 v51, v52, v51, v107
	v_add_nc_u32_e32 v52, 40, v80
	v_min3_f32 v53, v44, v45, v106
	v_dual_add_f32 v54, v35, v43 :: v_dual_add_f32 v55, v34, v42
	v_min_f32_e32 v56, v46, v47
	s_delay_alu instid0(VALU_DEP_4) | instskip(SKIP_1) | instid1(VALU_DEP_3)
	v_mad_i64_i32 v[44:45], null, v52, s8, 0
	v_mad_i64_i32 v[46:47], null, v52, s0, 0
	v_min3_f32 v53, v50, v56, v53
	v_add_co_u32 v50, vcc_lo, v48, v76
	v_min3_f32 v52, v55, v54, v51
	v_lshlrev_b64 v[44:45], 2, v[44:45]
	v_add_co_ci_u32_e32 v51, vcc_lo, v49, v77, vcc_lo
	v_lshlrev_b64 v[46:47], 2, v[46:47]
	s_delay_alu instid0(VALU_DEP_4) | instskip(NEXT) | instid1(VALU_DEP_4)
	v_max_f32_e32 v48, v52, v52
	v_add_co_u32 v44, vcc_lo, s1, v44
	v_add_co_ci_u32_e32 v45, vcc_lo, s6, v45, vcc_lo
	s_delay_alu instid0(VALU_DEP_4)
	v_add_co_u32 v46, vcc_lo, s4, v46
	v_add_co_ci_u32_e32 v47, vcc_lo, s5, v47, vcc_lo
	s_mov_b32 vcc_lo, s2
	global_store_b32 v[50:51], v53, off
	s_cbranch_vccz .LBB55_117
; %bb.115:
	v_add_co_u32 v49, vcc_lo, v44, v66
	v_min_f32_e32 v51, 0, v48
	v_add_co_ci_u32_e32 v50, vcc_lo, v45, v67, vcc_lo
	s_mov_b32 s7, 0
	global_store_b32 v[49:50], v51, off
	s_cbranch_execz .LBB55_118
; %bb.116:
	v_mov_b32_e32 v48, s7
	s_branch .LBB55_119
.LBB55_117:
	s_mov_b32 s7, -1
.LBB55_118:
	v_add_co_u32 v49, vcc_lo, v46, v66
	v_add_co_ci_u32_e32 v50, vcc_lo, v47, v67, vcc_lo
	flat_load_b32 v49, v[49:50]
	s_waitcnt vmcnt(0) lgkmcnt(0)
	v_mul_f32_e32 v51, s3, v49
	v_add_co_u32 v49, vcc_lo, v44, v66
	v_add_co_ci_u32_e32 v50, vcc_lo, v45, v67, vcc_lo
	s_delay_alu instid0(VALU_DEP_3)
	v_min_f32_e32 v48, v51, v48
	v_add_co_u32 v51, vcc_lo, v46, v64
	v_add_co_ci_u32_e32 v52, vcc_lo, v47, v65, vcc_lo
	global_store_b32 v[49:50], v48, off
	flat_load_b32 v48, v[51:52]
	s_waitcnt vmcnt(0) lgkmcnt(0)
	v_mul_f32_e32 v48, s3, v48
.LBB55_119:
	v_dual_add_f32 v49, v29, v41 :: v_dual_add_f32 v50, v28, v40
	v_dual_add_f32 v51, v25, v41 :: v_dual_add_f32 v52, v24, v40
	v_dual_add_f32 v53, v31, v43 :: v_dual_add_f32 v54, v30, v42
	s_delay_alu instid0(VALU_DEP_3) | instskip(NEXT) | instid1(VALU_DEP_3)
	v_min3_f32 v49, v50, v49, v104
	v_min3_f32 v50, v52, v51, v105
	v_dual_add_f32 v51, v27, v43 :: v_dual_add_f32 v52, v26, v42
	s_delay_alu instid0(VALU_DEP_1) | instskip(SKIP_1) | instid1(VALU_DEP_1)
	v_min3_f32 v51, v52, v51, v50
	v_min_f32_e32 v53, v54, v53
	v_min3_f32 v52, v48, v53, v49
	s_delay_alu instid0(VALU_DEP_3)
	v_max_f32_e32 v48, v51, v51
	v_add_co_u32 v49, vcc_lo, v44, v64
	v_add_co_ci_u32_e32 v50, vcc_lo, v45, v65, vcc_lo
	s_mov_b32 vcc_lo, s2
	global_store_b32 v[49:50], v52, off
	s_cbranch_vccz .LBB55_122
; %bb.120:
	v_add_co_u32 v49, vcc_lo, v44, v70
	v_min_f32_e32 v51, 0, v48
	v_add_co_ci_u32_e32 v50, vcc_lo, v45, v71, vcc_lo
	s_mov_b32 s7, 0
	global_store_b32 v[49:50], v51, off
	s_cbranch_execz .LBB55_123
; %bb.121:
	v_mov_b32_e32 v48, s7
	s_branch .LBB55_124
.LBB55_122:
	s_mov_b32 s7, -1
.LBB55_123:
	v_add_co_u32 v49, vcc_lo, v46, v70
	v_add_co_ci_u32_e32 v50, vcc_lo, v47, v71, vcc_lo
	flat_load_b32 v49, v[49:50]
	s_waitcnt vmcnt(0) lgkmcnt(0)
	v_mul_f32_e32 v51, s3, v49
	v_add_co_u32 v49, vcc_lo, v44, v70
	v_add_co_ci_u32_e32 v50, vcc_lo, v45, v71, vcc_lo
	s_delay_alu instid0(VALU_DEP_3)
	v_min_f32_e32 v48, v51, v48
	v_add_co_u32 v51, vcc_lo, v46, v68
	v_add_co_ci_u32_e32 v52, vcc_lo, v47, v69, vcc_lo
	global_store_b32 v[49:50], v48, off
	flat_load_b32 v48, v[51:52]
	s_waitcnt vmcnt(0) lgkmcnt(0)
	v_mul_f32_e32 v48, s3, v48
.LBB55_124:
	v_dual_add_f32 v49, v21, v41 :: v_dual_add_f32 v50, v20, v40
	v_dual_add_f32 v51, v17, v41 :: v_dual_add_f32 v52, v16, v40
	v_dual_add_f32 v53, v23, v43 :: v_dual_add_f32 v54, v22, v42
	s_delay_alu instid0(VALU_DEP_3) | instskip(NEXT) | instid1(VALU_DEP_3)
	v_min3_f32 v49, v50, v49, v102
	v_min3_f32 v50, v52, v51, v103
	v_dual_add_f32 v51, v19, v43 :: v_dual_add_f32 v52, v18, v42
	s_delay_alu instid0(VALU_DEP_1) | instskip(SKIP_1) | instid1(VALU_DEP_1)
	v_min3_f32 v51, v52, v51, v50
	v_min_f32_e32 v53, v54, v53
	v_min3_f32 v52, v48, v53, v49
	s_delay_alu instid0(VALU_DEP_3)
	v_max_f32_e32 v48, v51, v51
	;; [unrolled: 47-line block ×3, first 2 shown]
	v_add_co_u32 v49, vcc_lo, v44, v72
	v_add_co_ci_u32_e32 v50, vcc_lo, v45, v73, vcc_lo
	s_mov_b32 vcc_lo, s2
	global_store_b32 v[49:50], v52, off
	s_cbranch_vccz .LBB55_132
; %bb.130:
	v_add_co_u32 v49, vcc_lo, v44, v78
	v_min_f32_e32 v51, 0, v48
	v_add_co_ci_u32_e32 v50, vcc_lo, v45, v79, vcc_lo
	s_mov_b32 s7, 0
	global_store_b32 v[49:50], v51, off
	s_cbranch_execz .LBB55_133
; %bb.131:
	v_mov_b32_e32 v46, s7
	s_branch .LBB55_134
.LBB55_132:
	s_mov_b32 s7, -1
.LBB55_133:
	v_add_co_u32 v49, vcc_lo, v46, v78
	v_add_co_ci_u32_e32 v50, vcc_lo, v47, v79, vcc_lo
	flat_load_b32 v49, v[49:50]
	s_waitcnt vmcnt(0) lgkmcnt(0)
	v_mul_f32_e32 v51, s3, v49
	v_add_co_u32 v49, vcc_lo, v44, v78
	v_add_co_ci_u32_e32 v50, vcc_lo, v45, v79, vcc_lo
	v_add_co_u32 v46, vcc_lo, v46, v76
	s_delay_alu instid0(VALU_DEP_4)
	v_min_f32_e32 v48, v51, v48
	v_add_co_ci_u32_e32 v47, vcc_lo, v47, v77, vcc_lo
	global_store_b32 v[49:50], v48, off
	flat_load_b32 v46, v[46:47]
	s_waitcnt vmcnt(0) lgkmcnt(0)
	v_mul_f32_e32 v46, s3, v46
.LBB55_134:
	s_waitcnt lgkmcnt(1)
	v_dual_add_f32 v47, v33, v37 :: v_dual_add_f32 v48, v32, v36
	v_dual_add_f32 v41, v1, v41 :: v_dual_add_f32 v40, v0, v40
	;; [unrolled: 1-line block ×3, first 2 shown]
	s_delay_alu instid0(VALU_DEP_3) | instskip(SKIP_1) | instid1(VALU_DEP_4)
	v_min3_f32 v47, v48, v47, v99
	v_add_nc_u32_e32 v48, 48, v80
	v_min3_f32 v49, v40, v41, v98
	v_dual_add_f32 v50, v35, v39 :: v_dual_add_f32 v51, v34, v38
	v_min_f32_e32 v52, v42, v43
	s_delay_alu instid0(VALU_DEP_4) | instskip(SKIP_1) | instid1(VALU_DEP_3)
	v_mad_i64_i32 v[40:41], null, v48, s8, 0
	v_mad_i64_i32 v[42:43], null, v48, s0, 0
	v_min3_f32 v49, v46, v52, v49
	v_add_co_u32 v46, vcc_lo, v44, v76
	v_min3_f32 v48, v51, v50, v47
	v_lshlrev_b64 v[40:41], 2, v[40:41]
	v_add_co_ci_u32_e32 v47, vcc_lo, v45, v77, vcc_lo
	v_lshlrev_b64 v[42:43], 2, v[42:43]
	s_delay_alu instid0(VALU_DEP_4) | instskip(NEXT) | instid1(VALU_DEP_4)
	v_max_f32_e32 v44, v48, v48
	v_add_co_u32 v40, vcc_lo, s1, v40
	v_add_co_ci_u32_e32 v41, vcc_lo, s6, v41, vcc_lo
	s_delay_alu instid0(VALU_DEP_4)
	v_add_co_u32 v42, vcc_lo, s4, v42
	v_add_co_ci_u32_e32 v43, vcc_lo, s5, v43, vcc_lo
	s_mov_b32 vcc_lo, s2
	global_store_b32 v[46:47], v49, off
	s_cbranch_vccz .LBB55_137
; %bb.135:
	v_add_co_u32 v45, vcc_lo, v40, v66
	v_min_f32_e32 v47, 0, v44
	v_add_co_ci_u32_e32 v46, vcc_lo, v41, v67, vcc_lo
	s_mov_b32 s7, 0
	global_store_b32 v[45:46], v47, off
	s_cbranch_execz .LBB55_138
; %bb.136:
	v_mov_b32_e32 v44, s7
	s_branch .LBB55_139
.LBB55_137:
	s_mov_b32 s7, -1
.LBB55_138:
	v_add_co_u32 v45, vcc_lo, v42, v66
	v_add_co_ci_u32_e32 v46, vcc_lo, v43, v67, vcc_lo
	flat_load_b32 v45, v[45:46]
	s_waitcnt vmcnt(0) lgkmcnt(0)
	v_mul_f32_e32 v47, s3, v45
	v_add_co_u32 v45, vcc_lo, v40, v66
	v_add_co_ci_u32_e32 v46, vcc_lo, v41, v67, vcc_lo
	s_delay_alu instid0(VALU_DEP_3)
	v_min_f32_e32 v44, v47, v44
	v_add_co_u32 v47, vcc_lo, v42, v64
	v_add_co_ci_u32_e32 v48, vcc_lo, v43, v65, vcc_lo
	global_store_b32 v[45:46], v44, off
	flat_load_b32 v44, v[47:48]
	s_waitcnt vmcnt(0) lgkmcnt(0)
	v_mul_f32_e32 v44, s3, v44
.LBB55_139:
	v_dual_add_f32 v45, v29, v37 :: v_dual_add_f32 v46, v28, v36
	v_dual_add_f32 v47, v25, v37 :: v_dual_add_f32 v48, v24, v36
	v_dual_add_f32 v49, v31, v39 :: v_dual_add_f32 v50, v30, v38
	s_delay_alu instid0(VALU_DEP_3) | instskip(NEXT) | instid1(VALU_DEP_3)
	v_min3_f32 v45, v46, v45, v96
	v_min3_f32 v46, v48, v47, v97
	v_dual_add_f32 v47, v27, v39 :: v_dual_add_f32 v48, v26, v38
	s_delay_alu instid0(VALU_DEP_1) | instskip(SKIP_1) | instid1(VALU_DEP_1)
	v_min3_f32 v47, v48, v47, v46
	v_min_f32_e32 v49, v50, v49
	v_min3_f32 v48, v44, v49, v45
	s_delay_alu instid0(VALU_DEP_3)
	v_max_f32_e32 v44, v47, v47
	v_add_co_u32 v45, vcc_lo, v40, v64
	v_add_co_ci_u32_e32 v46, vcc_lo, v41, v65, vcc_lo
	s_mov_b32 vcc_lo, s2
	global_store_b32 v[45:46], v48, off
	s_cbranch_vccz .LBB55_142
; %bb.140:
	v_add_co_u32 v45, vcc_lo, v40, v70
	v_min_f32_e32 v47, 0, v44
	v_add_co_ci_u32_e32 v46, vcc_lo, v41, v71, vcc_lo
	s_mov_b32 s7, 0
	global_store_b32 v[45:46], v47, off
	s_cbranch_execz .LBB55_143
; %bb.141:
	v_mov_b32_e32 v44, s7
	s_branch .LBB55_144
.LBB55_142:
	s_mov_b32 s7, -1
.LBB55_143:
	v_add_co_u32 v45, vcc_lo, v42, v70
	v_add_co_ci_u32_e32 v46, vcc_lo, v43, v71, vcc_lo
	flat_load_b32 v45, v[45:46]
	s_waitcnt vmcnt(0) lgkmcnt(0)
	v_mul_f32_e32 v47, s3, v45
	v_add_co_u32 v45, vcc_lo, v40, v70
	v_add_co_ci_u32_e32 v46, vcc_lo, v41, v71, vcc_lo
	s_delay_alu instid0(VALU_DEP_3)
	v_min_f32_e32 v44, v47, v44
	v_add_co_u32 v47, vcc_lo, v42, v68
	v_add_co_ci_u32_e32 v48, vcc_lo, v43, v69, vcc_lo
	global_store_b32 v[45:46], v44, off
	flat_load_b32 v44, v[47:48]
	s_waitcnt vmcnt(0) lgkmcnt(0)
	v_mul_f32_e32 v44, s3, v44
.LBB55_144:
	v_dual_add_f32 v45, v21, v37 :: v_dual_add_f32 v46, v20, v36
	v_dual_add_f32 v47, v17, v37 :: v_dual_add_f32 v48, v16, v36
	v_dual_add_f32 v49, v23, v39 :: v_dual_add_f32 v50, v22, v38
	s_delay_alu instid0(VALU_DEP_3) | instskip(NEXT) | instid1(VALU_DEP_3)
	v_min3_f32 v45, v46, v45, v93
	v_min3_f32 v46, v48, v47, v94
	v_dual_add_f32 v47, v19, v39 :: v_dual_add_f32 v48, v18, v38
	s_delay_alu instid0(VALU_DEP_1) | instskip(SKIP_1) | instid1(VALU_DEP_1)
	v_min3_f32 v47, v48, v47, v46
	v_min_f32_e32 v49, v50, v49
	v_min3_f32 v48, v44, v49, v45
	s_delay_alu instid0(VALU_DEP_3)
	v_max_f32_e32 v44, v47, v47
	;; [unrolled: 47-line block ×3, first 2 shown]
	v_add_co_u32 v45, vcc_lo, v40, v72
	v_add_co_ci_u32_e32 v46, vcc_lo, v41, v73, vcc_lo
	s_mov_b32 vcc_lo, s2
	global_store_b32 v[45:46], v48, off
	s_cbranch_vccz .LBB55_152
; %bb.150:
	v_add_co_u32 v45, vcc_lo, v40, v78
	v_min_f32_e32 v47, 0, v44
	v_add_co_ci_u32_e32 v46, vcc_lo, v41, v79, vcc_lo
	s_mov_b32 s7, 0
	global_store_b32 v[45:46], v47, off
	s_cbranch_execz .LBB55_153
; %bb.151:
	v_mov_b32_e32 v42, s7
	s_branch .LBB55_154
.LBB55_152:
	s_mov_b32 s7, -1
.LBB55_153:
	v_add_co_u32 v45, vcc_lo, v42, v78
	v_add_co_ci_u32_e32 v46, vcc_lo, v43, v79, vcc_lo
	flat_load_b32 v45, v[45:46]
	s_waitcnt vmcnt(0) lgkmcnt(0)
	v_mul_f32_e32 v47, s3, v45
	v_add_co_u32 v45, vcc_lo, v40, v78
	v_add_co_ci_u32_e32 v46, vcc_lo, v41, v79, vcc_lo
	v_add_co_u32 v42, vcc_lo, v42, v76
	s_delay_alu instid0(VALU_DEP_4)
	v_min_f32_e32 v44, v47, v44
	v_add_co_ci_u32_e32 v43, vcc_lo, v43, v77, vcc_lo
	global_store_b32 v[45:46], v44, off
	flat_load_b32 v42, v[42:43]
	s_waitcnt vmcnt(0) lgkmcnt(0)
	v_mul_f32_e32 v42, s3, v42
.LBB55_154:
	v_dual_add_f32 v37, v1, v37 :: v_dual_add_f32 v36, v0, v36
	s_waitcnt lgkmcnt(0)
	v_dual_add_f32 v33, v33, v5 :: v_dual_add_f32 v32, v32, v4
	v_dual_add_f32 v38, v2, v38 :: v_dual_add_nc_u32 v43, 56, v80
	s_delay_alu instid0(VALU_DEP_3) | instskip(SKIP_1) | instid1(VALU_DEP_4)
	v_min3_f32 v36, v36, v37, v89
	v_add_f32_e32 v39, v3, v39
	v_min3_f32 v37, v32, v33, v90
	s_delay_alu instid0(VALU_DEP_4) | instskip(SKIP_3) | instid1(VALU_DEP_4)
	v_mad_i64_i32 v[32:33], null, v43, s8, 0
	v_dual_add_f32 v44, v35, v7 :: v_dual_add_f32 v45, v34, v6
	v_mad_i64_i32 v[34:35], null, v43, s0, 0
	v_min_f32_e32 v38, v38, v39
	v_lshlrev_b64 v[32:33], 2, v[32:33]
	s_delay_alu instid0(VALU_DEP_4)
	v_min3_f32 v39, v45, v44, v37
	v_add_co_u32 v37, vcc_lo, v40, v76
	v_lshlrev_b64 v[34:35], 2, v[34:35]
	v_min3_f32 v42, v42, v38, v36
	v_add_co_ci_u32_e32 v38, vcc_lo, v41, v77, vcc_lo
	v_add_co_u32 v32, vcc_lo, s1, v32
	v_add_co_ci_u32_e32 v33, vcc_lo, s6, v33, vcc_lo
	v_add_co_u32 v34, vcc_lo, s4, v34
	v_add_co_ci_u32_e32 v35, vcc_lo, s5, v35, vcc_lo
	v_max_f32_e32 v36, v39, v39
	s_mov_b32 vcc_lo, s2
	global_store_b32 v[37:38], v42, off
	s_cbranch_vccz .LBB55_157
; %bb.155:
	v_add_co_u32 v37, vcc_lo, v32, v66
	v_min_f32_e32 v39, 0, v36
	v_add_co_ci_u32_e32 v38, vcc_lo, v33, v67, vcc_lo
	s_mov_b32 s0, 0
	global_store_b32 v[37:38], v39, off
	s_cbranch_execz .LBB55_158
; %bb.156:
	v_mov_b32_e32 v36, s0
	s_branch .LBB55_159
.LBB55_157:
	s_mov_b32 s0, -1
.LBB55_158:
	v_add_co_u32 v37, vcc_lo, v34, v66
	v_add_co_ci_u32_e32 v38, vcc_lo, v35, v67, vcc_lo
	flat_load_b32 v37, v[37:38]
	s_waitcnt vmcnt(0) lgkmcnt(0)
	v_mul_f32_e32 v39, s3, v37
	v_add_co_u32 v37, vcc_lo, v32, v66
	v_add_co_ci_u32_e32 v38, vcc_lo, v33, v67, vcc_lo
	s_delay_alu instid0(VALU_DEP_3)
	v_min_f32_e32 v36, v39, v36
	v_add_co_u32 v39, vcc_lo, v34, v64
	v_add_co_ci_u32_e32 v40, vcc_lo, v35, v65, vcc_lo
	global_store_b32 v[37:38], v36, off
	flat_load_b32 v36, v[39:40]
	s_waitcnt vmcnt(0) lgkmcnt(0)
	v_mul_f32_e32 v36, s3, v36
.LBB55_159:
	v_dual_add_f32 v25, v25, v5 :: v_dual_add_f32 v24, v24, v4
	v_dual_add_f32 v29, v29, v5 :: v_dual_add_f32 v28, v28, v4
	v_dual_add_f32 v31, v31, v7 :: v_dual_add_f32 v30, v30, v6
	s_delay_alu instid0(VALU_DEP_3) | instskip(SKIP_1) | instid1(VALU_DEP_4)
	v_min3_f32 v24, v24, v25, v88
	v_dual_add_f32 v25, v27, v7 :: v_dual_add_f32 v26, v26, v6
	v_min3_f32 v28, v28, v29, v87
	s_delay_alu instid0(VALU_DEP_2) | instskip(SKIP_3) | instid1(VALU_DEP_4)
	v_min3_f32 v24, v26, v25, v24
	v_min_f32_e32 v27, v30, v31
	v_add_co_u32 v25, vcc_lo, v32, v64
	v_add_co_ci_u32_e32 v26, vcc_lo, v33, v65, vcc_lo
	v_max_f32_e32 v24, v24, v24
	s_delay_alu instid0(VALU_DEP_4)
	v_min3_f32 v27, v36, v27, v28
	s_mov_b32 vcc_lo, s2
	global_store_b32 v[25:26], v27, off
	s_cbranch_vccz .LBB55_162
; %bb.160:
	v_add_co_u32 v25, vcc_lo, v32, v70
	v_min_f32_e32 v27, 0, v24
	v_add_co_ci_u32_e32 v26, vcc_lo, v33, v71, vcc_lo
	s_mov_b32 s0, 0
	global_store_b32 v[25:26], v27, off
	s_cbranch_execz .LBB55_163
; %bb.161:
	v_mov_b32_e32 v24, s0
	s_branch .LBB55_164
.LBB55_162:
	s_mov_b32 s0, -1
.LBB55_163:
	v_add_co_u32 v25, vcc_lo, v34, v70
	v_add_co_ci_u32_e32 v26, vcc_lo, v35, v71, vcc_lo
	flat_load_b32 v25, v[25:26]
	s_waitcnt vmcnt(0) lgkmcnt(0)
	v_mul_f32_e32 v27, s3, v25
	v_add_co_u32 v25, vcc_lo, v32, v70
	v_add_co_ci_u32_e32 v26, vcc_lo, v33, v71, vcc_lo
	s_delay_alu instid0(VALU_DEP_3)
	v_min_f32_e32 v24, v27, v24
	v_add_co_u32 v27, vcc_lo, v34, v68
	v_add_co_ci_u32_e32 v28, vcc_lo, v35, v69, vcc_lo
	global_store_b32 v[25:26], v24, off
	flat_load_b32 v24, v[27:28]
	s_waitcnt vmcnt(0) lgkmcnt(0)
	v_mul_f32_e32 v24, s3, v24
.LBB55_164:
	v_dual_add_f32 v17, v17, v5 :: v_dual_add_f32 v16, v16, v4
	v_dual_add_f32 v21, v21, v5 :: v_dual_add_f32 v20, v20, v4
	v_dual_add_f32 v23, v23, v7 :: v_dual_add_f32 v22, v22, v6
	s_delay_alu instid0(VALU_DEP_3) | instskip(SKIP_1) | instid1(VALU_DEP_4)
	v_min3_f32 v16, v16, v17, v86
	v_dual_add_f32 v17, v19, v7 :: v_dual_add_f32 v18, v18, v6
	v_min3_f32 v20, v20, v21, v85
	s_delay_alu instid0(VALU_DEP_2) | instskip(SKIP_3) | instid1(VALU_DEP_4)
	v_min3_f32 v16, v18, v17, v16
	v_min_f32_e32 v19, v22, v23
	v_add_co_u32 v17, vcc_lo, v32, v68
	v_add_co_ci_u32_e32 v18, vcc_lo, v33, v69, vcc_lo
	v_max_f32_e32 v16, v16, v16
	s_delay_alu instid0(VALU_DEP_4)
	v_min3_f32 v19, v24, v19, v20
	;; [unrolled: 47-line block ×3, first 2 shown]
	s_mov_b32 vcc_lo, s2
	global_store_b32 v[9:10], v11, off
	s_cbranch_vccz .LBB55_172
; %bb.170:
	v_add_co_u32 v9, vcc_lo, v32, v78
	v_min_f32_e32 v11, 0, v8
	v_add_co_ci_u32_e32 v10, vcc_lo, v33, v79, vcc_lo
	s_mov_b32 s0, 0
	global_store_b32 v[9:10], v11, off
	s_cbranch_execz .LBB55_173
; %bb.171:
	v_mov_b32_e32 v8, s0
	s_branch .LBB55_174
.LBB55_172:
	s_mov_b32 s0, -1
.LBB55_173:
	v_add_co_u32 v9, vcc_lo, v34, v78
	v_add_co_ci_u32_e32 v10, vcc_lo, v35, v79, vcc_lo
	flat_load_b32 v9, v[9:10]
	s_waitcnt vmcnt(0) lgkmcnt(0)
	v_mul_f32_e32 v11, s3, v9
	v_add_co_u32 v9, vcc_lo, v32, v78
	v_add_co_ci_u32_e32 v10, vcc_lo, v33, v79, vcc_lo
	s_delay_alu instid0(VALU_DEP_3)
	v_min_f32_e32 v8, v11, v8
	v_add_co_u32 v11, vcc_lo, v34, v76
	v_add_co_ci_u32_e32 v12, vcc_lo, v35, v77, vcc_lo
	global_store_b32 v[9:10], v8, off
	flat_load_b32 v8, v[11:12]
	s_waitcnt vmcnt(0) lgkmcnt(0)
	v_mul_f32_e32 v8, s3, v8
.LBB55_174:
	v_dual_add_f32 v3, v3, v7 :: v_dual_add_f32 v2, v2, v6
	v_dual_add_f32 v1, v1, v5 :: v_dual_add_f32 v0, v0, v4
	s_delay_alu instid0(VALU_DEP_2) | instskip(NEXT) | instid1(VALU_DEP_2)
	v_min_f32_e32 v2, v2, v3
	v_min3_f32 v0, v0, v1, v95
	s_delay_alu instid0(VALU_DEP_1)
	v_min3_f32 v2, v8, v2, v0
	v_add_co_u32 v0, vcc_lo, v32, v76
	v_add_co_ci_u32_e32 v1, vcc_lo, v33, v77, vcc_lo
	global_store_b32 v[0:1], v2, off
	s_nop 0
	s_sendmsg sendmsg(MSG_DEALLOC_VGPRS)
	s_endpgm
	.section	.rodata,"a",@progbits
	.p2align	6, 0x0
	.amdhsa_kernel _ZN12_GLOBAL__N_120geam_min_plus_kernelIf15HIP_vector_typeIfLj2EEfLi32ELi8ELi256ELi64ELi4ELi64ELi4ELi4ELi64ELc78ELc78ELb1ELb0ELb1EfKffEEviiiT16_PT17_ilS6_ilS4_S6_ilPT18_ili26rocblas_geam_ex_operation_
		.amdhsa_group_segment_fixed_size 10240
		.amdhsa_private_segment_fixed_size 88
		.amdhsa_kernarg_size 128
		.amdhsa_user_sgpr_count 14
		.amdhsa_user_sgpr_dispatch_ptr 0
		.amdhsa_user_sgpr_queue_ptr 0
		.amdhsa_user_sgpr_kernarg_segment_ptr 1
		.amdhsa_user_sgpr_dispatch_id 0
		.amdhsa_user_sgpr_private_segment_size 0
		.amdhsa_wavefront_size32 1
		.amdhsa_uses_dynamic_stack 0
		.amdhsa_enable_private_segment 1
		.amdhsa_system_sgpr_workgroup_id_x 1
		.amdhsa_system_sgpr_workgroup_id_y 0
		.amdhsa_system_sgpr_workgroup_id_z 1
		.amdhsa_system_sgpr_workgroup_info 0
		.amdhsa_system_vgpr_workitem_id 1
		.amdhsa_next_free_vgpr 256
		.amdhsa_next_free_sgpr 23
		.amdhsa_reserve_vcc 1
		.amdhsa_float_round_mode_32 0
		.amdhsa_float_round_mode_16_64 0
		.amdhsa_float_denorm_mode_32 3
		.amdhsa_float_denorm_mode_16_64 3
		.amdhsa_dx10_clamp 1
		.amdhsa_ieee_mode 1
		.amdhsa_fp16_overflow 0
		.amdhsa_workgroup_processor_mode 1
		.amdhsa_memory_ordered 1
		.amdhsa_forward_progress 0
		.amdhsa_shared_vgpr_count 0
		.amdhsa_exception_fp_ieee_invalid_op 0
		.amdhsa_exception_fp_denorm_src 0
		.amdhsa_exception_fp_ieee_div_zero 0
		.amdhsa_exception_fp_ieee_overflow 0
		.amdhsa_exception_fp_ieee_underflow 0
		.amdhsa_exception_fp_ieee_inexact 0
		.amdhsa_exception_int_div_zero 0
	.end_amdhsa_kernel
	.section	.text._ZN12_GLOBAL__N_120geam_min_plus_kernelIf15HIP_vector_typeIfLj2EEfLi32ELi8ELi256ELi64ELi4ELi64ELi4ELi4ELi64ELc78ELc78ELb1ELb0ELb1EfKffEEviiiT16_PT17_ilS6_ilS4_S6_ilPT18_ili26rocblas_geam_ex_operation_,"axG",@progbits,_ZN12_GLOBAL__N_120geam_min_plus_kernelIf15HIP_vector_typeIfLj2EEfLi32ELi8ELi256ELi64ELi4ELi64ELi4ELi4ELi64ELc78ELc78ELb1ELb0ELb1EfKffEEviiiT16_PT17_ilS6_ilS4_S6_ilPT18_ili26rocblas_geam_ex_operation_,comdat
.Lfunc_end55:
	.size	_ZN12_GLOBAL__N_120geam_min_plus_kernelIf15HIP_vector_typeIfLj2EEfLi32ELi8ELi256ELi64ELi4ELi64ELi4ELi4ELi64ELc78ELc78ELb1ELb0ELb1EfKffEEviiiT16_PT17_ilS6_ilS4_S6_ilPT18_ili26rocblas_geam_ex_operation_, .Lfunc_end55-_ZN12_GLOBAL__N_120geam_min_plus_kernelIf15HIP_vector_typeIfLj2EEfLi32ELi8ELi256ELi64ELi4ELi64ELi4ELi4ELi64ELc78ELc78ELb1ELb0ELb1EfKffEEviiiT16_PT17_ilS6_ilS4_S6_ilPT18_ili26rocblas_geam_ex_operation_
                                        ; -- End function
	.section	.AMDGPU.csdata,"",@progbits
; Kernel info:
; codeLenInByte = 17872
; NumSgprs: 25
; NumVgprs: 256
; ScratchSize: 88
; MemoryBound: 0
; FloatMode: 240
; IeeeMode: 1
; LDSByteSize: 10240 bytes/workgroup (compile time only)
; SGPRBlocks: 3
; VGPRBlocks: 31
; NumSGPRsForWavesPerEU: 25
; NumVGPRsForWavesPerEU: 256
; Occupancy: 5
; WaveLimiterHint : 1
; COMPUTE_PGM_RSRC2:SCRATCH_EN: 1
; COMPUTE_PGM_RSRC2:USER_SGPR: 14
; COMPUTE_PGM_RSRC2:TRAP_HANDLER: 0
; COMPUTE_PGM_RSRC2:TGID_X_EN: 1
; COMPUTE_PGM_RSRC2:TGID_Y_EN: 0
; COMPUTE_PGM_RSRC2:TGID_Z_EN: 1
; COMPUTE_PGM_RSRC2:TIDIG_COMP_CNT: 1
	.section	.text._ZN12_GLOBAL__N_120geam_min_plus_kernelIf15HIP_vector_typeIfLj2EEfLi32ELi8ELi256ELi64ELi4ELi64ELi4ELi4ELi64ELc78ELc78ELb0ELb0ELb1EfKffEEviiiT16_PT17_ilS6_ilS4_S6_ilPT18_ili26rocblas_geam_ex_operation_,"axG",@progbits,_ZN12_GLOBAL__N_120geam_min_plus_kernelIf15HIP_vector_typeIfLj2EEfLi32ELi8ELi256ELi64ELi4ELi64ELi4ELi4ELi64ELc78ELc78ELb0ELb0ELb1EfKffEEviiiT16_PT17_ilS6_ilS4_S6_ilPT18_ili26rocblas_geam_ex_operation_,comdat
	.globl	_ZN12_GLOBAL__N_120geam_min_plus_kernelIf15HIP_vector_typeIfLj2EEfLi32ELi8ELi256ELi64ELi4ELi64ELi4ELi4ELi64ELc78ELc78ELb0ELb0ELb1EfKffEEviiiT16_PT17_ilS6_ilS4_S6_ilPT18_ili26rocblas_geam_ex_operation_ ; -- Begin function _ZN12_GLOBAL__N_120geam_min_plus_kernelIf15HIP_vector_typeIfLj2EEfLi32ELi8ELi256ELi64ELi4ELi64ELi4ELi4ELi64ELc78ELc78ELb0ELb0ELb1EfKffEEviiiT16_PT17_ilS6_ilS4_S6_ilPT18_ili26rocblas_geam_ex_operation_
	.p2align	8
	.type	_ZN12_GLOBAL__N_120geam_min_plus_kernelIf15HIP_vector_typeIfLj2EEfLi32ELi8ELi256ELi64ELi4ELi64ELi4ELi4ELi64ELc78ELc78ELb0ELb0ELb1EfKffEEviiiT16_PT17_ilS6_ilS4_S6_ilPT18_ili26rocblas_geam_ex_operation_,@function
_ZN12_GLOBAL__N_120geam_min_plus_kernelIf15HIP_vector_typeIfLj2EEfLi32ELi8ELi256ELi64ELi4ELi64ELi4ELi4ELi64ELc78ELc78ELb0ELb0ELb1EfKffEEviiiT16_PT17_ilS6_ilS4_S6_ilPT18_ili26rocblas_geam_ex_operation_: ; @_ZN12_GLOBAL__N_120geam_min_plus_kernelIf15HIP_vector_typeIfLj2EEfLi32ELi8ELi256ELi64ELi4ELi64ELi4ELi4ELi64ELc78ELc78ELb0ELb0ELb1EfKffEEviiiT16_PT17_ilS6_ilS4_S6_ilPT18_ili26rocblas_geam_ex_operation_
; %bb.0:
	s_clause 0x1
	s_load_b64 s[8:9], s[0:1], 0x8
	s_load_b128 s[4:7], s[0:1], 0x20
	s_waitcnt lgkmcnt(0)
	v_cmp_eq_f32_e64 s2, s9, 0
	s_delay_alu instid0(VALU_DEP_1)
	s_and_b32 vcc_lo, exec_lo, s2
	s_cbranch_vccnz .LBB56_3
; %bb.1:
	s_load_b64 s[10:11], s[0:1], 0x10
	s_mul_i32 s3, s15, s5
	s_mul_hi_u32 s5, s15, s4
	s_mul_i32 s4, s15, s4
	s_add_i32 s5, s5, s3
	s_delay_alu instid0(SALU_CYCLE_1)
	s_lshl_b64 s[4:5], s[4:5], 2
	s_waitcnt lgkmcnt(0)
	s_add_u32 s10, s10, s4
	s_addc_u32 s11, s11, s5
	s_and_not1_b32 vcc_lo, exec_lo, s2
	s_cbranch_vccnz .LBB56_4
.LBB56_2:
	s_mov_b32 s19, 0
	s_mov_b64 s[12:13], 0
	s_cbranch_execz .LBB56_5
	s_branch .LBB56_6
.LBB56_3:
	s_mov_b64 s[10:11], 0
	s_and_not1_b32 vcc_lo, exec_lo, s2
	s_cbranch_vccz .LBB56_2
.LBB56_4:
	s_mov_b32 s19, -1
                                        ; implicit-def: $sgpr12_sgpr13
.LBB56_5:
	s_load_b64 s[2:3], s[0:1], 0x38
	s_mov_b32 s19, 0
	s_waitcnt lgkmcnt(0)
	s_mul_i32 s3, s15, s3
	s_mul_hi_u32 s4, s15, s2
	s_mul_i32 s2, s15, s2
	s_add_i32 s3, s4, s3
	s_delay_alu instid0(SALU_CYCLE_1) | instskip(NEXT) | instid1(SALU_CYCLE_1)
	s_lshl_b64 s[2:3], s[2:3], 2
	s_add_u32 s12, s6, s2
	s_addc_u32 s13, s7, s3
.LBB56_6:
	s_clause 0x1
	s_load_b32 s18, s[0:1], 0x40
	s_load_b128 s[4:7], s[0:1], 0x58
	v_cmp_neq_f32_e64 s21, s9, 0
	s_waitcnt lgkmcnt(0)
	v_cmp_eq_f32_e64 s2, s18, 0
	s_delay_alu instid0(VALU_DEP_1) | instskip(NEXT) | instid1(SALU_CYCLE_1)
	s_and_b32 s2, exec_lo, s2
	s_mov_b32 vcc_lo, s2
	s_cbranch_vccnz .LBB56_8
; %bb.7:
	s_load_b64 s[16:17], s[0:1], 0x48
	s_mul_i32 s3, s15, s5
	s_mul_hi_u32 s5, s15, s4
	s_delay_alu instid0(SALU_CYCLE_1) | instskip(SKIP_3) | instid1(SALU_CYCLE_1)
	s_add_i32 s3, s5, s3
	s_mul_i32 s5, s19, s4
	s_mul_i32 s4, s15, s4
	s_add_i32 s5, s3, s5
	s_lshl_b64 s[4:5], s[4:5], 2
	s_waitcnt lgkmcnt(0)
	s_add_u32 s4, s16, s4
	s_addc_u32 s5, s17, s5
	s_branch .LBB56_9
.LBB56_8:
	s_mov_b64 s[4:5], 0
.LBB56_9:
	s_clause 0x1
	s_load_b32 s3, s[0:1], 0x0
	s_load_b32 s16, s[0:1], 0x18
	v_and_b32_e32 v17, 0x3ff, v0
	v_bfe_u32 v150, v0, 10, 10
	v_cndmask_b32_e64 v3, 0, 1, s21
	s_delay_alu instid0(VALU_DEP_2) | instskip(NEXT) | instid1(VALU_DEP_1)
	v_lshl_add_u32 v6, v150, 5, v17
	v_lshrrev_b32_e32 v13, 6, v6
	v_and_b32_e32 v14, 63, v6
	s_waitcnt lgkmcnt(0)
	s_add_i32 s3, s3, -1
	s_delay_alu instid0(SALU_CYCLE_1) | instskip(NEXT) | instid1(SALU_CYCLE_1)
	s_ashr_i32 s17, s3, 31
	s_lshr_b32 s17, s17, 24
	s_delay_alu instid0(SALU_CYCLE_1) | instskip(NEXT) | instid1(SALU_CYCLE_1)
	s_add_i32 s3, s3, s17
	s_ashr_i32 s3, s3, 8
	s_delay_alu instid0(SALU_CYCLE_1) | instskip(SKIP_2) | instid1(VALU_DEP_1)
	s_add_i32 s20, s3, 1
	s_not_b32 s3, s3
	v_cvt_f32_u32_e32 v1, s20
	v_rcp_iflag_f32_e32 v1, v1
	s_waitcnt_depctr 0xfff
	v_mul_f32_e32 v1, 0x4f7ffffe, v1
	s_delay_alu instid0(VALU_DEP_1) | instskip(NEXT) | instid1(VALU_DEP_1)
	v_cvt_u32_f32_e32 v1, v1
	v_readfirstlane_b32 s17, v1
	v_mad_i64_i32 v[0:1], null, s16, v13, 0
	s_delay_alu instid0(VALU_DEP_2) | instskip(NEXT) | instid1(SALU_CYCLE_1)
	s_mul_i32 s3, s3, s17
	s_mul_hi_u32 s3, s17, s3
	s_delay_alu instid0(VALU_DEP_1) | instskip(SKIP_1) | instid1(SALU_CYCLE_1)
	v_lshlrev_b64 v[1:2], 2, v[0:1]
	s_add_i32 s17, s17, s3
	s_mul_hi_u32 s3, s14, s17
	s_ashr_i32 s17, s16, 31
	s_mul_i32 s22, s3, s20
	s_add_i32 s23, s3, 1
	s_sub_i32 s22, s14, s22
	v_add_co_u32 v4, vcc_lo, s10, v1
	s_sub_i32 s24, s22, s20
	s_cmp_ge_u32 s22, s20
	v_add_co_ci_u32_e32 v5, vcc_lo, s11, v2, vcc_lo
	s_cselect_b32 s3, s23, s3
	s_cselect_b32 s22, s24, s22
	s_add_i32 s23, s3, 1
	s_cmp_ge_u32 s22, s20
	s_cselect_b32 s24, s23, s3
	s_and_not1_b32 vcc_lo, exec_lo, s21
	s_mul_i32 s22, s24, s20
	s_delay_alu instid0(SALU_CYCLE_1) | instskip(NEXT) | instid1(SALU_CYCLE_1)
	s_sub_i32 s3, s14, s22
	s_lshl_b32 s20, s3, 8
	v_cmp_ne_u32_e64 s3, 1, v3
	v_or_b32_e32 v0, s20, v14
	s_delay_alu instid0(VALU_DEP_1)
	v_ashrrev_i32_e32 v1, 31, v0
	s_cbranch_vccnz .LBB56_12
; %bb.10:
	s_delay_alu instid0(VALU_DEP_1) | instskip(NEXT) | instid1(VALU_DEP_1)
	v_lshlrev_b64 v[2:3], 2, v[0:1]
	v_add_co_u32 v2, vcc_lo, v4, v2
	s_delay_alu instid0(VALU_DEP_2)
	v_add_co_ci_u32_e32 v3, vcc_lo, v5, v3, vcc_lo
	s_clause 0x1
	flat_load_b32 v7, v[2:3]
	flat_load_b32 v3, v[2:3] offset:256
	s_waitcnt vmcnt(1) lgkmcnt(1)
	v_mul_f32_e32 v2, s9, v7
	s_waitcnt vmcnt(0) lgkmcnt(0)
	v_mul_f32_e32 v3, s9, v3
	s_and_b32 vcc_lo, exec_lo, s3
	s_cbranch_vccnz .LBB56_13
.LBB56_11:
	v_lshlrev_b64 v[7:8], 2, v[0:1]
	s_delay_alu instid0(VALU_DEP_1) | instskip(NEXT) | instid1(VALU_DEP_2)
	v_add_co_u32 v4, vcc_lo, v4, v7
	v_add_co_ci_u32_e32 v5, vcc_lo, v5, v8, vcc_lo
	s_clause 0x1
	flat_load_b32 v7, v[4:5] offset:512
	flat_load_b32 v5, v[4:5] offset:768
	s_waitcnt vmcnt(0) lgkmcnt(0)
	v_dual_mul_f32 v4, s9, v7 :: v_dual_mul_f32 v5, s9, v5
	s_branch .LBB56_14
.LBB56_12:
	v_dual_mov_b32 v2, 0 :: v_dual_mov_b32 v3, 0
	s_and_b32 vcc_lo, exec_lo, s3
	s_cbranch_vccz .LBB56_11
.LBB56_13:
	v_dual_mov_b32 v4, 0 :: v_dual_mov_b32 v5, 0
.LBB56_14:
	s_load_b32 s23, s[0:1], 0x30
	v_lshrrev_b32_e32 v6, 2, v6
	v_and_b32_e32 v7, 3, v17
	s_lshl_b32 s21, s24, 6
	s_and_b32 vcc_lo, exec_lo, s3
	s_delay_alu instid0(VALU_DEP_2) | instskip(NEXT) | instid1(VALU_DEP_2)
	v_add_nc_u32_e32 v18, s21, v6
	v_lshlrev_b32_e32 v15, 2, v7
	s_cbranch_vccnz .LBB56_16
; %bb.15:
	s_waitcnt lgkmcnt(0)
	s_delay_alu instid0(VALU_DEP_2) | instskip(NEXT) | instid1(VALU_DEP_1)
	v_mad_i64_i32 v[7:8], null, v18, s23, 0
	v_lshlrev_b64 v[7:8], 2, v[7:8]
	s_delay_alu instid0(VALU_DEP_1) | instskip(NEXT) | instid1(VALU_DEP_2)
	v_add_co_u32 v7, vcc_lo, s12, v7
	v_add_co_ci_u32_e32 v8, vcc_lo, s13, v8, vcc_lo
	s_delay_alu instid0(VALU_DEP_2) | instskip(NEXT) | instid1(VALU_DEP_2)
	v_add_co_u32 v7, vcc_lo, v7, v15
	v_add_co_ci_u32_e32 v8, vcc_lo, 0, v8, vcc_lo
	flat_load_b32 v7, v[7:8]
	s_waitcnt vmcnt(0) lgkmcnt(0)
	v_mul_f32_e32 v7, s9, v7
	s_branch .LBB56_17
.LBB56_16:
	v_mov_b32_e32 v7, 0
.LBB56_17:
	v_add_nc_u32_e32 v10, 4, v13
	s_delay_alu instid0(VALU_DEP_1) | instskip(NEXT) | instid1(VALU_DEP_1)
	v_mad_i64_i32 v[8:9], null, s16, v10, 0
	v_lshlrev_b64 v[8:9], 2, v[8:9]
	s_delay_alu instid0(VALU_DEP_1) | instskip(NEXT) | instid1(VALU_DEP_2)
	v_add_co_u32 v8, vcc_lo, s10, v8
	v_add_co_ci_u32_e32 v9, vcc_lo, s11, v9, vcc_lo
	s_and_b32 vcc_lo, exec_lo, s3
	s_cbranch_vccnz .LBB56_21
; %bb.18:
	v_lshlrev_b64 v[10:11], 2, v[0:1]
	s_delay_alu instid0(VALU_DEP_1) | instskip(NEXT) | instid1(VALU_DEP_2)
	v_add_co_u32 v10, vcc_lo, v8, v10
	v_add_co_ci_u32_e32 v11, vcc_lo, v9, v11, vcc_lo
	s_clause 0x1
	flat_load_b32 v12, v[10:11]
	flat_load_b32 v10, v[10:11] offset:256
	s_waitcnt vmcnt(0) lgkmcnt(0)
	v_dual_mul_f32 v11, s9, v12 :: v_dual_mul_f32 v10, s9, v10
	scratch_store_b32 off, v11, off         ; 4-byte Folded Spill
	s_and_b32 vcc_lo, exec_lo, s3
	scratch_store_b32 off, v10, off offset:4 ; 4-byte Folded Spill
	s_cbranch_vccnz .LBB56_22
.LBB56_19:
	v_lshlrev_b64 v[0:1], 2, v[0:1]
	s_delay_alu instid0(VALU_DEP_1) | instskip(NEXT) | instid1(VALU_DEP_2)
	v_add_co_u32 v0, vcc_lo, v8, v0
	v_add_co_ci_u32_e32 v1, vcc_lo, v9, v1, vcc_lo
	s_clause 0x1
	flat_load_b32 v8, v[0:1] offset:512
	flat_load_b32 v0, v[0:1] offset:768
	s_waitcnt vmcnt(1) lgkmcnt(0)
	v_mul_f32_e32 v1, s9, v8
	s_waitcnt vmcnt(0)
	v_mul_f32_e32 v0, s9, v0
	scratch_store_b32 off, v1, off offset:8 ; 4-byte Folded Spill
	s_and_b32 vcc_lo, exec_lo, s3
	s_clause 0x1
	scratch_store_b32 off, v0, off offset:12
	scratch_store_b32 off, v18, off offset:60
	s_cbranch_vccnz .LBB56_23
.LBB56_20:
	s_waitcnt lgkmcnt(0)
	v_mad_i64_i32 v[0:1], null, v18, s23, 0
	s_delay_alu instid0(VALU_DEP_1) | instskip(NEXT) | instid1(VALU_DEP_1)
	v_lshlrev_b64 v[0:1], 2, v[0:1]
	v_add_co_u32 v0, vcc_lo, s12, v0
	s_delay_alu instid0(VALU_DEP_2) | instskip(NEXT) | instid1(VALU_DEP_2)
	v_add_co_ci_u32_e32 v1, vcc_lo, s13, v1, vcc_lo
	v_add_co_u32 v0, vcc_lo, v0, v15
	s_delay_alu instid0(VALU_DEP_2)
	v_add_co_ci_u32_e32 v1, vcc_lo, 0, v1, vcc_lo
	flat_load_b32 v0, v[0:1] offset:16
	s_waitcnt vmcnt(0) lgkmcnt(0)
	v_mul_f32_e32 v0, s9, v0
	s_branch .LBB56_24
.LBB56_21:
	v_mov_b32_e32 v10, 0
	scratch_store_b32 off, v10, off         ; 4-byte Folded Spill
	v_mov_b32_e32 v10, 0
	s_and_b32 vcc_lo, exec_lo, s3
	scratch_store_b32 off, v10, off offset:4 ; 4-byte Folded Spill
	s_cbranch_vccz .LBB56_19
.LBB56_22:
	v_mov_b32_e32 v0, 0
	scratch_store_b32 off, v0, off offset:8 ; 4-byte Folded Spill
	v_mov_b32_e32 v0, 0
	s_and_b32 vcc_lo, exec_lo, s3
	s_clause 0x1
	scratch_store_b32 off, v0, off offset:12
	scratch_store_b32 off, v18, off offset:60
	s_cbranch_vccz .LBB56_20
.LBB56_23:
	v_mov_b32_e32 v0, 0
.LBB56_24:
	v_lshl_or_b32 v1, v6, 4, v15
	scratch_store_b32 off, v0, off offset:16 ; 4-byte Folded Spill
	v_lshlrev_b32_e32 v0, 2, v13
	v_lshlrev_b32_e32 v201, 4, v150
	;; [unrolled: 1-line block ×3, first 2 shown]
	scratch_store_b32 off, v1, off offset:20 ; 4-byte Folded Spill
	s_cmp_lt_i32 s8, 9
	v_lshl_add_u32 v74, v14, 4, v0
	ds_store_b32 v1, v7 offset:8192
	ds_store_2addr_stride64_b32 v74, v2, v3 offset1:4
	ds_store_2addr_stride64_b32 v74, v4, v5 offset0:8 offset1:12
	s_waitcnt lgkmcnt(0)
	s_waitcnt_vscnt null, 0x0
	s_barrier
	buffer_gl0_inv
	ds_load_b128 v[26:29], v201 offset:8192
	ds_load_b128 v[0:3], v73
	s_clause 0x2
	scratch_store_b32 off, v13, off offset:64
	scratch_store_b32 off, v14, off offset:72
	;; [unrolled: 1-line block ×3, first 2 shown]
	s_waitcnt lgkmcnt(0)
	v_add_f32_e32 v144, v0, v26
	v_add_f32_e32 v18, v1, v27
	ds_load_b128 v[12:15], v73 offset:512
	ds_load_b128 v[8:11], v73 offset:1024
	;; [unrolled: 1-line block ×4, first 2 shown]
	v_add_f32_e32 v146, v3, v29
	v_add_f32_e32 v128, v2, v28
	scratch_store_b32 off, v18, off offset:28 ; 4-byte Folded Spill
	s_waitcnt lgkmcnt(3)
	v_dual_add_f32 v18, v13, v27 :: v_dual_add_f32 v135, v15, v29
	v_add_f32_e32 v83, v14, v28
	s_waitcnt lgkmcnt(1)
	v_dual_add_f32 v145, v8, v26 :: v_dual_add_f32 v130, v7, v29
	s_waitcnt lgkmcnt(0)
	v_add_f32_e32 v91, v9, v31
	scratch_store_b32 off, v18, off offset:32 ; 4-byte Folded Spill
	v_add_f32_e32 v18, v9, v27
	v_dual_add_f32 v87, v1, v31 :: v_dual_add_f32 v88, v0, v30
	v_add_f32_e32 v105, v15, v33
	v_add_f32_e32 v89, v13, v31
	scratch_store_b32 off, v18, off offset:36 ; 4-byte Folded Spill
	v_add_f32_e32 v18, v5, v27
	v_dual_add_f32 v90, v12, v30 :: v_dual_add_f32 v107, v11, v33
	v_dual_add_f32 v92, v8, v30 :: v_dual_add_f32 v109, v7, v33
	scratch_store_b32 off, v18, off offset:40 ; 4-byte Folded Spill
	v_add_f32_e32 v18, v4, v26
	v_add_f32_e32 v104, v2, v32
	;; [unrolled: 1-line block ×3, first 2 shown]
	v_dual_add_f32 v108, v10, v32 :: v_dual_add_f32 v129, v11, v29
	scratch_store_b32 off, v18, off offset:44 ; 4-byte Folded Spill
	ds_load_b128 v[34:37], v73 offset:2048
	ds_load_b128 v[38:41], v73 offset:2560
	v_dual_add_f32 v142, v12, v26 :: v_dual_add_f32 v93, v5, v31
	v_add_f32_e32 v94, v4, v30
	v_add_f32_e32 v110, v6, v32
	;; [unrolled: 1-line block ×5, first 2 shown]
	s_waitcnt lgkmcnt(0)
	v_dual_add_f32 v131, v37, v29 :: v_dual_add_f32 v18, v39, v27
	v_dual_add_f32 v143, v35, v27 :: v_dual_add_f32 v140, v34, v26
	v_add_f32_e32 v80, v36, v28
	v_dual_add_f32 v132, v41, v29 :: v_dual_add_f32 v95, v35, v31
	scratch_store_b32 off, v18, off offset:48 ; 4-byte Folded Spill
	v_add_f32_e32 v18, v38, v26
	v_dual_add_f32 v82, v40, v28 :: v_dual_add_f32 v97, v39, v31
	v_dual_add_f32 v96, v34, v30 :: v_dual_add_f32 v113, v41, v33
	scratch_store_b32 off, v18, off offset:52 ; 4-byte Folded Spill
	ds_load_b128 v[42:45], v73 offset:3072
	ds_load_b128 v[46:49], v73 offset:3584
	v_dual_add_f32 v98, v38, v30 :: v_dual_add_f32 v111, v37, v33
	v_add_f32_e32 v112, v36, v32
	s_waitcnt lgkmcnt(1)
	v_dual_add_f32 v114, v40, v32 :: v_dual_add_f32 v141, v43, v27
	s_waitcnt lgkmcnt(0)
	v_dual_add_f32 v18, v47, v27 :: v_dual_add_f32 v137, v42, v26
	v_dual_add_f32 v136, v46, v26 :: v_dual_add_f32 v133, v45, v29
	;; [unrolled: 1-line block ×3, first 2 shown]
	scratch_store_b32 off, v18, off offset:56 ; 4-byte Folded Spill
	v_dual_add_f32 v134, v49, v29 :: v_dual_add_f32 v101, v47, v31
	v_add_f32_e32 v86, v48, v28
	v_dual_add_f32 v100, v42, v30 :: v_dual_add_f32 v117, v49, v33
	v_dual_add_f32 v102, v46, v30 :: v_dual_add_f32 v115, v45, v33
	v_add_f32_e32 v116, v44, v32
	v_add_f32_e32 v118, v48, v32
	ds_load_b128 v[26:29], v201 offset:8448
	ds_load_b128 v[30:33], v201 offset:8576
	s_waitcnt lgkmcnt(1)
	v_add_f32_e32 v151, v42, v26
	v_dual_add_f32 v119, v1, v27 :: v_dual_add_f32 v120, v0, v26
	v_add_f32_e32 v127, v2, v28
	v_dual_add_f32 v121, v13, v27 :: v_dual_add_f32 v122, v12, v26
	;; [unrolled: 2-line block ×4, first 2 shown]
	v_add_f32_e32 v159, v6, v28
	v_add_f32_e32 v139, v35, v27
	v_dual_add_f32 v147, v34, v26 :: v_dual_add_f32 v78, v39, v27
	v_add_f32_e32 v153, v46, v26
	v_add_f32_e32 v149, v38, v26
	;; [unrolled: 1-line block ×3, first 2 shown]
	v_dual_add_f32 v152, v47, v27 :: v_dual_add_f32 v161, v36, v28
	v_dual_add_f32 v126, v3, v29 :: v_dual_add_f32 v163, v40, v28
	;; [unrolled: 1-line block ×4, first 2 shown]
	s_waitcnt lgkmcnt(0)
	v_dual_add_f32 v158, v7, v29 :: v_dual_add_f32 v169, v0, v30
	v_dual_add_f32 v160, v37, v29 :: v_dual_add_f32 v171, v12, v30
	;; [unrolled: 1-line block ×16, first 2 shown]
	v_add_f32_e32 v190, v7, v33
	v_add_f32_e32 v192, v37, v33
	;; [unrolled: 1-line block ×5, first 2 shown]
	ds_load_b128 v[26:29], v201 offset:8704
	ds_load_b128 v[30:33], v201 offset:8832
	scratch_store_b32 off, v17, off offset:24 ; 4-byte Folded Spill
	s_waitcnt lgkmcnt(1)
	v_dual_add_f32 v211, v38, v26 :: v_dual_add_f32 v200, v1, v27
	v_add_f32_e32 v213, v42, v26
	v_dual_add_f32 v148, v0, v26 :: v_dual_add_f32 v217, v2, v28
	v_dual_add_f32 v202, v13, v27 :: v_dual_add_f32 v215, v46, v26
	;; [unrolled: 1-line block ×3, first 2 shown]
	v_add_f32_e32 v219, v14, v28
	v_dual_add_f32 v205, v8, v26 :: v_dual_add_f32 v206, v5, v27
	v_add_f32_e32 v221, v10, v28
	v_dual_add_f32 v207, v4, v26 :: v_dual_add_f32 v208, v35, v27
	;; [unrolled: 2-line block ×3, first 2 shown]
	v_dual_add_f32 v225, v36, v28 :: v_dual_add_f32 v212, v43, v27
	v_dual_add_f32 v227, v40, v28 :: v_dual_add_f32 v214, v47, v27
	;; [unrolled: 1-line block ×4, first 2 shown]
	s_waitcnt lgkmcnt(0)
	v_dual_add_f32 v233, v0, v30 :: v_dual_add_f32 v220, v11, v29
	v_dual_add_f32 v235, v12, v30 :: v_dual_add_f32 v222, v7, v29
	;; [unrolled: 1-line block ×14, first 2 shown]
	v_add_f32_e32 v69, v45, v33
	v_dual_add_f32 v248, v3, v33 :: v_dual_add_f32 v67, v44, v32
	v_add_f32_e32 v250, v15, v33
	v_add_f32_e32 v252, v11, v33
	;; [unrolled: 1-line block ×7, first 2 shown]
	ds_load_b128 v[26:29], v201 offset:8960
	ds_load_b128 v[30:33], v201 offset:9088
	s_waitcnt lgkmcnt(1)
	v_add_f32_e32 v23, v43, v27
	v_dual_add_f32 v52, v1, v27 :: v_dual_add_f32 v21, v42, v26
	v_add_f32_e32 v54, v0, v26
	v_add_f32_e32 v51, v12, v26
	;; [unrolled: 1-line block ×3, first 2 shown]
	v_dual_add_f32 v22, v4, v26 :: v_dual_add_f32 v65, v11, v29
	v_dual_add_f32 v60, v34, v26 :: v_dual_add_f32 v199, v37, v29
	v_add_f32_e32 v61, v38, v26
	v_dual_add_f32 v26, v46, v26 :: v_dual_add_f32 v17, v40, v28
	s_waitcnt lgkmcnt(0)
	v_add_f32_e32 v0, v0, v30
	v_dual_add_f32 v12, v12, v30 :: v_dual_add_f32 v37, v37, v33
	v_add_f32_e32 v8, v8, v30
	v_add_f32_e32 v4, v4, v30
	;; [unrolled: 1-line block ×6, first 2 shown]
	scratch_load_b32 v46, off, off offset:28 ; 4-byte Folded Reload
	v_dual_add_f32 v56, v13, v27 :: v_dual_add_f32 v63, v14, v28
	v_add_f32_e32 v53, v9, v27
	v_add_f32_e32 v57, v5, v27
	v_dual_add_f32 v58, v35, v27 :: v_dual_add_f32 v25, v10, v28
	v_add_f32_e32 v59, v39, v27
	v_add_f32_e32 v27, v47, v27
	v_dual_add_f32 v24, v3, v29 :: v_dual_add_f32 v1, v1, v31
	v_dual_add_f32 v64, v15, v29 :: v_dual_add_f32 v13, v13, v31
	;; [unrolled: 1-line block ×3, first 2 shown]
	v_add_f32_e32 v72, v6, v28
	v_dual_add_f32 v20, v41, v29 :: v_dual_add_f32 v35, v35, v31
	v_dual_add_f32 v14, v14, v32 :: v_dual_add_f32 v39, v39, v31
	;; [unrolled: 1-line block ×7, first 2 shown]
	v_add_f32_e32 v7, v7, v33
	v_min3_f32 v0, v0, v1, 0x7f7fffff
	v_dual_add_f32 v18, v44, v28 :: v_dual_add_f32 v15, v15, v33
	v_dual_add_f32 v28, v48, v28 :: v_dual_add_f32 v11, v11, v33
	v_add_f32_e32 v41, v41, v33
	v_dual_add_f32 v45, v45, v33 :: v_dual_add_f32 v36, v36, v32
	v_dual_add_f32 v33, v49, v33 :: v_dual_add_f32 v40, v40, v32
	v_add_f32_e32 v44, v44, v32
	v_add_f32_e32 v32, v48, v32
	v_min3_f32 v22, v22, v57, 0x7f7fffff
	v_add_f32_e32 v29, v49, v29
	s_waitcnt vmcnt(0)
	v_min3_f32 v46, v144, v46, 0x7f7fffff
	s_delay_alu instid0(VALU_DEP_1) | instskip(SKIP_3) | instid1(VALU_DEP_1)
	v_min3_f32 v146, v128, v146, v46
	scratch_load_b32 v46, off, off offset:32 ; 4-byte Folded Reload
	s_waitcnt vmcnt(0)
	v_min3_f32 v46, v142, v46, 0x7f7fffff
	v_min3_f32 v144, v83, v135, v46
	scratch_load_b32 v46, off, off offset:36 ; 4-byte Folded Reload
	s_waitcnt vmcnt(0)
	v_min3_f32 v46, v145, v46, 0x7f7fffff
	s_delay_alu instid0(VALU_DEP_1)
	v_min3_f32 v145, v81, v129, v46
	s_clause 0x1
	scratch_load_b32 v46, off, off offset:40
	scratch_load_b32 v47, off, off offset:44
	s_waitcnt vmcnt(0)
	v_min3_f32 v46, v47, v46, 0x7f7fffff
	s_delay_alu instid0(VALU_DEP_1) | instskip(SKIP_1) | instid1(VALU_DEP_1)
	v_min3_f32 v142, v85, v130, v46
	v_min3_f32 v46, v140, v143, 0x7f7fffff
	;; [unrolled: 1-line block ×3, first 2 shown]
	s_clause 0x1
	scratch_load_b32 v46, off, off offset:48
	scratch_load_b32 v47, off, off offset:52
	s_waitcnt vmcnt(0)
	v_min3_f32 v46, v47, v46, 0x7f7fffff
	s_delay_alu instid0(VALU_DEP_1) | instskip(SKIP_1) | instid1(VALU_DEP_1)
	v_min3_f32 v140, v82, v132, v46
	v_min3_f32 v46, v137, v141, 0x7f7fffff
	;; [unrolled: 1-line block ×3, first 2 shown]
	scratch_load_b32 v46, off, off offset:56 ; 4-byte Folded Reload
	s_waitcnt vmcnt(0)
	v_min3_f32 v46, v136, v46, 0x7f7fffff
	s_delay_alu instid0(VALU_DEP_1)
	v_min3_f32 v137, v86, v134, v46
	v_min3_f32 v46, v88, v87, 0x7f7fffff
	;; [unrolled: 1-line block ×4, first 2 shown]
	scratch_load_b32 v3, off, off offset:20 ; 4-byte Folded Reload
	v_min3_f32 v136, v104, v103, v46
	v_min3_f32 v46, v90, v89, 0x7f7fffff
	;; [unrolled: 1-line block ×4, first 2 shown]
	s_delay_alu instid0(VALU_DEP_3) | instskip(SKIP_1) | instid1(VALU_DEP_3)
	v_min3_f32 v134, v106, v105, v46
	v_min3_f32 v46, v92, v91, 0x7f7fffff
	;; [unrolled: 1-line block ×29, first 2 shown]
	s_delay_alu instid0(VALU_DEP_4) | instskip(SKIP_1) | instid1(VALU_DEP_4)
	v_min3_f32 v131, v116, v115, v46
	v_min3_f32 v46, v102, v101, 0x7f7fffff
	;; [unrolled: 1-line block ×3, first 2 shown]
	s_clause 0x1
	scratch_load_b32 v0, off, off
	scratch_load_b32 v1, off, off offset:4
	v_min3_f32 v128, v118, v117, v46
	v_min3_f32 v46, v120, v119, 0x7f7fffff
	s_delay_alu instid0(VALU_DEP_1) | instskip(SKIP_1) | instid1(VALU_DEP_1)
	v_min3_f32 v129, v127, v126, v46
	v_min3_f32 v46, v122, v121, 0x7f7fffff
	v_min3_f32 v127, v155, v154, v46
	v_min3_f32 v46, v124, v123, 0x7f7fffff
	s_delay_alu instid0(VALU_DEP_1) | instskip(SKIP_1) | instid1(VALU_DEP_1)
	v_min3_f32 v126, v157, v156, v46
	v_min3_f32 v46, v138, v125, 0x7f7fffff
	;; [unrolled: 5-line block ×17, first 2 shown]
	v_min3_f32 v93, v63, v64, v24
	v_min3_f32 v24, v55, v53, 0x7f7fffff
	s_delay_alu instid0(VALU_DEP_1)
	v_min3_f32 v94, v25, v65, v24
	s_waitcnt vmcnt(0)
	ds_store_2addr_stride64_b32 v74, v0, v1 offset0:16 offset1:20
	s_clause 0x1
	scratch_load_b32 v0, off, off offset:8
	scratch_load_b32 v1, off, off offset:12
	s_waitcnt vmcnt(0)
	ds_store_2addr_stride64_b32 v74, v0, v1 offset0:24 offset1:28
	scratch_load_b32 v0, off, off offset:16 ; 4-byte Folded Reload
	s_waitcnt vmcnt(0)
	ds_store_b32 v3, v0 offset:9216
	s_waitcnt lgkmcnt(0)
	s_waitcnt_vscnt null, 0x0
	s_barrier
	buffer_gl0_inv
	s_cbranch_scc1 .LBB56_42
; %bb.25:
	s_clause 0x3
	scratch_load_b32 v2, off, off offset:60
	scratch_load_b32 v4, off, off offset:64
	;; [unrolled: 1-line block ×4, first 2 shown]
	v_add_nc_u32_e32 v75, 0x2000, v3
	v_add_nc_u32_e32 v78, 0x2400, v3
	v_dual_mov_b32 v199, v150 :: v_dual_add_nc_u32 v76, 0x2000, v201
	v_add_nc_u32_e32 v77, 0x1000, v74
	v_lshl_add_u32 v111, v150, 4, 0x2400
	s_add_i32 s8, s8, -8
	s_waitcnt vmcnt(3)
	v_mad_i64_i32 v[0:1], null, s23, v2, 0
	scratch_load_b32 v2, off, off offset:72 ; 4-byte Folded Reload
	s_waitcnt vmcnt(3)
	v_add_nc_u32_e32 v3, 12, v4
	v_add_nc_u32_e32 v8, 8, v4
	s_waitcnt vmcnt(1)
	v_lshl_add_u32 v79, v200, 4, 0x1000
	v_lshlrev_b64 v[0:1], 2, v[0:1]
	s_delay_alu instid0(VALU_DEP_1) | instskip(NEXT) | instid1(VALU_DEP_2)
	v_add_co_u32 v6, vcc_lo, v0, v5
	v_add_co_ci_u32_e32 v7, vcc_lo, 0, v1, vcc_lo
	v_mad_i64_i32 v[0:1], null, v3, s16, 0
	s_delay_alu instid0(VALU_DEP_3) | instskip(SKIP_1) | instid1(VALU_DEP_4)
	v_add_co_u32 v6, vcc_lo, v6, s12
	v_mad_i64_i32 v[4:5], null, v8, s16, 0
	v_add_co_ci_u32_e32 v7, vcc_lo, s13, v7, vcc_lo
	s_delay_alu instid0(VALU_DEP_3) | instskip(SKIP_1) | instid1(VALU_DEP_3)
	v_add_co_u32 v64, vcc_lo, v6, 32
	v_lshlrev_b64 v[66:67], 2, v[0:1]
	v_add_co_ci_u32_e32 v65, vcc_lo, 0, v7, vcc_lo
	v_lshlrev_b64 v[68:69], 2, v[4:5]
	s_mov_b32 s12, 0
	s_waitcnt vmcnt(0)
	v_lshl_or_b32 v2, s14, 8, v2
	s_lshl_b32 s14, s22, 8
	s_delay_alu instid0(VALU_DEP_1) | instid1(SALU_CYCLE_1)
	v_subrev_nc_u32_e32 v2, s14, v2
	s_delay_alu instid0(VALU_DEP_1) | instskip(NEXT) | instid1(VALU_DEP_1)
	v_ashrrev_i32_e32 v3, 31, v2
	v_lshlrev_b64 v[2:3], 2, v[2:3]
	s_delay_alu instid0(VALU_DEP_1) | instskip(NEXT) | instid1(VALU_DEP_2)
	v_add_co_u32 v138, vcc_lo, s10, v2
	v_add_co_ci_u32_e32 v139, vcc_lo, s11, v3, vcc_lo
	s_lshl_b64 s[10:11], s[16:17], 5
	s_branch .LBB56_28
.LBB56_26:                              ;   in Loop: Header=BB56_28 Depth=1
	flat_load_b32 v0, v[64:65] offset:16
	s_waitcnt vmcnt(0) lgkmcnt(0)
	v_mul_f32_e32 v0, s9, v0
.LBB56_27:                              ;   in Loop: Header=BB56_28 Depth=1
	ds_load_b128 v[92:95], v76
	ds_load_b128 v[151:154], v73
	ds_load_b128 v[155:158], v73 offset:512
	ds_load_b128 v[159:162], v73 offset:1024
	;; [unrolled: 1-line block ×14, first 2 shown]
	v_add_co_u32 v64, vcc_lo, v64, 32
	v_add_co_ci_u32_e32 v65, vcc_lo, 0, v65, vcc_lo
	v_add_co_u32 v138, vcc_lo, v138, s10
	s_waitcnt lgkmcnt(14)
	v_dual_add_f32 v11, v152, v93 :: v_dual_add_f32 v14, v151, v92
	s_waitcnt lgkmcnt(13)
	v_dual_add_f32 v15, v156, v93 :: v_dual_add_f32 v18, v155, v92
	;; [unrolled: 2-line block ×3, first 2 shown]
	s_waitcnt lgkmcnt(11)
	v_add_f32_e32 v23, v164, v93
	v_min3_f32 v11, v14, v11, v25
	v_min3_f32 v14, v18, v15, v28
	v_add_f32_e32 v18, v163, v92
	v_min3_f32 v15, v22, v19, v29
	s_waitcnt lgkmcnt(10)
	v_dual_add_f32 v19, v168, v93 :: v_dual_add_f32 v22, v167, v92
	s_waitcnt lgkmcnt(9)
	v_dual_add_f32 v25, v172, v93 :: v_dual_add_f32 v28, v171, v92
	s_waitcnt lgkmcnt(8)
	v_dual_add_f32 v29, v176, v93 :: v_dual_add_f32 v34, v175, v92
	s_waitcnt lgkmcnt(7)
	v_dual_add_f32 v35, v180, v93 :: v_dual_add_f32 v38, v179, v92
	v_min3_f32 v1, v18, v23, v1
	v_min3_f32 v18, v22, v19, v32
	v_min3_f32 v19, v28, v25, v33
	v_min3_f32 v22, v34, v29, v36
	v_min3_f32 v23, v38, v35, v37
	s_waitcnt lgkmcnt(6)
	v_dual_add_f32 v25, v152, v97 :: v_dual_add_f32 v28, v151, v96
	v_dual_add_f32 v29, v156, v97 :: v_dual_add_f32 v32, v155, v96
	;; [unrolled: 1-line block ×5, first 2 shown]
	v_min3_f32 v4, v28, v25, v4
	v_min3_f32 v25, v32, v29, v40
	;; [unrolled: 1-line block ×5, first 2 shown]
	v_dual_add_f32 v33, v172, v97 :: v_dual_add_f32 v34, v171, v96
	v_dual_add_f32 v35, v176, v97 :: v_dual_add_f32 v36, v175, v96
	;; [unrolled: 1-line block ×3, first 2 shown]
	s_waitcnt lgkmcnt(5)
	v_dual_add_f32 v39, v152, v101 :: v_dual_add_f32 v40, v151, v100
	v_dual_add_f32 v41, v156, v101 :: v_dual_add_f32 v44, v155, v100
	v_min3_f32 v5, v34, v33, v5
	v_min3_f32 v33, v36, v35, v48
	;; [unrolled: 1-line block ×5, first 2 shown]
	v_dual_add_f32 v37, v160, v101 :: v_dual_add_f32 v38, v159, v100
	v_dual_add_f32 v39, v164, v101 :: v_dual_add_f32 v40, v163, v100
	;; [unrolled: 1-line block ×5, first 2 shown]
	v_min3_f32 v8, v38, v37, v8
	v_min3_f32 v37, v40, v39, v54
	;; [unrolled: 1-line block ×5, first 2 shown]
	v_dual_add_f32 v41, v180, v101 :: v_dual_add_f32 v44, v179, v100
	s_waitcnt lgkmcnt(4)
	v_dual_add_f32 v45, v152, v105 :: v_dual_add_f32 v48, v151, v104
	v_dual_add_f32 v49, v156, v105 :: v_dual_add_f32 v52, v155, v104
	;; [unrolled: 1-line block ×4, first 2 shown]
	v_min3_f32 v9, v44, v41, v9
	v_min3_f32 v41, v48, v45, v58
	v_min3_f32 v44, v52, v49, v59
	v_min3_f32 v45, v54, v53, v60
	v_min3_f32 v48, v56, v55, v61
	v_dual_add_f32 v49, v168, v105 :: v_dual_add_f32 v52, v167, v104
	v_dual_add_f32 v53, v172, v105 :: v_dual_add_f32 v54, v171, v104
	;; [unrolled: 1-line block ×4, first 2 shown]
	s_waitcnt lgkmcnt(3)
	v_dual_add_f32 v59, v152, v184 :: v_dual_add_f32 v60, v151, v183
	v_min3_f32 v12, v52, v49, v12
	v_min3_f32 v49, v54, v53, v50
	v_min3_f32 v50, v56, v55, v51
	v_min3_f32 v51, v58, v57, v62
	v_min3_f32 v52, v60, v59, v63
	v_dual_add_f32 v53, v156, v184 :: v_dual_add_f32 v54, v155, v183
	v_dual_add_f32 v55, v160, v184 :: v_dual_add_f32 v56, v159, v183
	;; [unrolled: 1-line block ×5, first 2 shown]
	v_min3_f32 v13, v54, v53, v13
	v_min3_f32 v53, v56, v55, v80
	;; [unrolled: 1-line block ×5, first 2 shown]
	v_dual_add_f32 v57, v176, v184 :: v_dual_add_f32 v58, v175, v183
	v_dual_add_f32 v59, v180, v184 :: v_dual_add_f32 v60, v179, v183
	s_waitcnt lgkmcnt(2)
	v_dual_add_f32 v61, v152, v188 :: v_dual_add_f32 v62, v151, v187
	v_dual_add_f32 v63, v156, v188 :: v_dual_add_f32 v70, v155, v187
	;; [unrolled: 1-line block ×3, first 2 shown]
	v_min3_f32 v16, v58, v57, v16
	v_min3_f32 v46, v60, v59, v46
	;; [unrolled: 1-line block ×4, first 2 shown]
	v_dual_add_f32 v59, v164, v188 :: v_dual_add_f32 v60, v163, v187
	v_dual_add_f32 v61, v168, v188 :: v_dual_add_f32 v62, v167, v187
	;; [unrolled: 1-line block ×4, first 2 shown]
	v_min3_f32 v58, v72, v71, v85
	v_dual_add_f32 v71, v176, v188 :: v_dual_add_f32 v72, v175, v187
	v_min3_f32 v17, v60, v59, v17
	v_min3_f32 v42, v62, v61, v42
	;; [unrolled: 1-line block ×4, first 2 shown]
	s_waitcnt lgkmcnt(1)
	v_dual_add_f32 v61, v152, v192 :: v_dual_add_f32 v62, v151, v191
	v_dual_add_f32 v63, v156, v192 :: v_dual_add_f32 v70, v155, v191
	;; [unrolled: 1-line block ×4, first 2 shown]
	v_min3_f32 v59, v72, v71, v86
	v_dual_add_f32 v71, v160, v192 :: v_dual_add_f32 v72, v159, v191
	v_min3_f32 v20, v62, v61, v20
	v_min3_f32 v61, v70, v63, v88
	;; [unrolled: 1-line block ×4, first 2 shown]
	v_dual_add_f32 v80, v176, v192 :: v_dual_add_f32 v81, v175, v191
	v_dual_add_f32 v82, v180, v192 :: v_dual_add_f32 v83, v179, v191
	s_waitcnt lgkmcnt(0)
	v_dual_add_f32 v84, v152, v196 :: v_dual_add_f32 v85, v151, v195
	v_dual_add_f32 v86, v156, v196 :: v_dual_add_f32 v87, v155, v195
	v_min3_f32 v62, v72, v71, v89
	v_dual_add_f32 v71, v172, v192 :: v_dual_add_f32 v72, v171, v191
	v_min3_f32 v26, v81, v80, v26
	v_min3_f32 v27, v83, v82, v27
	;; [unrolled: 1-line block ×4, first 2 shown]
	v_dual_add_f32 v80, v164, v196 :: v_dual_add_f32 v81, v163, v195
	v_dual_add_f32 v82, v168, v196 :: v_dual_add_f32 v83, v167, v195
	;; [unrolled: 1-line block ×4, first 2 shown]
	v_min3_f32 v21, v72, v71, v21
	v_dual_add_f32 v71, v160, v196 :: v_dual_add_f32 v72, v159, v195
	v_min3_f32 v3, v81, v80, v3
	v_min3_f32 v6, v83, v82, v6
	;; [unrolled: 1-line block ×4, first 2 shown]
	v_dual_add_f32 v80, v154, v95 :: v_dual_add_f32 v81, v153, v94
	v_dual_add_f32 v82, v158, v95 :: v_dual_add_f32 v83, v157, v94
	;; [unrolled: 1-line block ×4, first 2 shown]
	v_min3_f32 v24, v72, v71, v24
	v_dual_add_f32 v71, v180, v196 :: v_dual_add_f32 v72, v179, v195
	v_min3_f32 v146, v81, v80, v11
	v_min3_f32 v144, v83, v82, v14
	;; [unrolled: 1-line block ×4, first 2 shown]
	v_add_f32_e32 v1, v170, v95
	v_dual_add_f32 v11, v169, v94 :: v_dual_add_f32 v14, v174, v95
	v_dual_add_f32 v15, v173, v94 :: v_dual_add_f32 v80, v182, v95
	v_min3_f32 v2, v72, v71, v2
	v_add_f32_e32 v72, v177, v94
	v_dual_add_f32 v81, v181, v94 :: v_dual_add_f32 v82, v154, v99
	v_add_f32_e32 v83, v153, v98
	v_min3_f32 v143, v11, v1, v18
	v_min3_f32 v140, v15, v14, v19
	v_dual_add_f32 v1, v158, v99 :: v_dual_add_f32 v14, v161, v98
	v_dual_add_f32 v11, v162, v99 :: v_dual_add_f32 v18, v165, v98
	v_add_f32_e32 v71, v178, v95
	v_min3_f32 v137, v81, v80, v23
	v_add_f32_e32 v15, v166, v99
	s_delay_alu instid0(VALU_DEP_4)
	v_min3_f32 v135, v14, v11, v28
	v_add_f32_e32 v14, v154, v103
	v_min3_f32 v136, v83, v82, v4
	v_add_f32_e32 v4, v157, v98
	v_min3_f32 v141, v72, v71, v22
	v_dual_add_f32 v22, v169, v98 :: v_dual_add_f32 v19, v170, v99
	v_add_f32_e32 v23, v174, v99
	v_add_f32_e32 v71, v173, v98
	v_min3_f32 v134, v4, v1, v25
	v_dual_add_f32 v1, v178, v99 :: v_dual_add_f32 v4, v177, v98
	v_min3_f32 v132, v18, v15, v29
	v_min3_f32 v133, v22, v19, v32
	v_dual_add_f32 v11, v181, v98 :: v_dual_add_f32 v22, v162, v103
	v_dual_add_f32 v15, v153, v102 :: v_dual_add_f32 v18, v158, v103
	v_add_f32_e32 v19, v157, v102
	v_min3_f32 v131, v4, v1, v33
	v_add_f32_e32 v4, v165, v102
	v_min3_f32 v130, v71, v23, v5
	v_add_f32_e32 v5, v182, v99
	v_add_f32_e32 v23, v161, v102
	v_min3_f32 v129, v15, v14, v35
	v_add_f32_e32 v14, v173, v102
	v_min3_f32 v127, v19, v18, v36
	v_min3_f32 v128, v11, v5, v34
	;; [unrolled: 1-line block ×3, first 2 shown]
	v_dual_add_f32 v1, v166, v103 :: v_dual_add_f32 v18, v177, v102
	v_dual_add_f32 v5, v170, v103 :: v_dual_add_f32 v22, v181, v102
	;; [unrolled: 1-line block ×3, first 2 shown]
	v_add_f32_e32 v15, v178, v103
	s_delay_alu instid0(VALU_DEP_4) | instskip(SKIP_1) | instid1(VALU_DEP_4)
	v_min3_f32 v124, v4, v1, v37
	v_add_f32_e32 v4, v153, v106
	v_min3_f32 v125, v8, v5, v38
	v_add_f32_e32 v8, v157, v106
	v_min3_f32 v122, v14, v11, v39
	v_min3_f32 v123, v18, v15, v40
	v_add_f32_e32 v5, v158, v107
	v_dual_add_f32 v14, v166, v107 :: v_dual_add_f32 v15, v165, v106
	v_add_f32_e32 v19, v182, v103
	v_add_f32_e32 v1, v154, v107
	v_dual_add_f32 v11, v161, v106 :: v_dual_add_f32 v18, v170, v107
	s_delay_alu instid0(VALU_DEP_4)
	v_min3_f32 v117, v15, v14, v48
	v_add_f32_e32 v14, v153, v185
	v_min3_f32 v118, v8, v5, v44
	v_dual_add_f32 v8, v177, v106 :: v_dual_add_f32 v5, v178, v107
	v_min3_f32 v121, v4, v1, v41
	v_dual_add_f32 v1, v174, v107 :: v_dual_add_f32 v4, v173, v106
	v_min3_f32 v120, v22, v19, v9
	v_add_f32_e32 v9, v162, v107
	v_add_f32_e32 v19, v169, v106
	v_min3_f32 v115, v8, v5, v50
	v_dual_add_f32 v5, v166, v186 :: v_dual_add_f32 v8, v165, v185
	v_add_f32_e32 v15, v158, v186
	s_delay_alu instid0(VALU_DEP_4)
	v_min3_f32 v116, v19, v18, v12
	v_add_f32_e32 v18, v157, v185
	v_min3_f32 v119, v11, v9, v45
	v_add_f32_e32 v9, v182, v107
	v_min3_f32 v114, v4, v1, v49
	v_dual_add_f32 v1, v162, v186 :: v_dual_add_f32 v4, v161, v185
	v_min3_f32 v107, v8, v5, v54
	v_dual_add_f32 v5, v154, v190 :: v_dual_add_f32 v8, v153, v189
	v_add_f32_e32 v11, v181, v106
	v_add_f32_e32 v12, v154, v186
	v_min3_f32 v110, v4, v1, v53
	v_dual_add_f32 v1, v182, v186 :: v_dual_add_f32 v4, v181, v185
	v_min3_f32 v104, v8, v5, v47
	v_dual_add_f32 v5, v174, v190 :: v_dual_add_f32 v8, v173, v189
	v_min3_f32 v112, v11, v9, v51
	v_min3_f32 v109, v18, v15, v13
	v_add_f32_e32 v9, v170, v186
	v_add_f32_e32 v11, v169, v185
	v_min3_f32 v113, v14, v12, v52
	v_dual_add_f32 v12, v174, v186 :: v_dual_add_f32 v13, v173, v185
	v_dual_add_f32 v14, v178, v186 :: v_dual_add_f32 v15, v177, v185
	v_min3_f32 v97, v8, v5, v43
	v_add_f32_e32 v8, v161, v193
	v_min3_f32 v103, v4, v1, v46
	v_dual_add_f32 v1, v170, v190 :: v_dual_add_f32 v4, v169, v189
	v_min3_f32 v106, v13, v12, v56
	v_min3_f32 v105, v15, v14, v16
	v_dual_add_f32 v12, v162, v190 :: v_dual_add_f32 v13, v161, v189
	v_dual_add_f32 v14, v166, v190 :: v_dual_add_f32 v15, v165, v189
	v_min3_f32 v100, v4, v1, v42
	v_add_f32_e32 v4, v157, v193
	v_min3_f32 v108, v11, v9, v55
	v_add_f32_e32 v9, v158, v190
	v_add_f32_e32 v11, v157, v189
	;; [unrolled: 1-line block ×3, first 2 shown]
	v_min3_f32 v102, v13, v12, v58
	v_add_f32_e32 v12, v182, v190
	v_min3_f32 v99, v15, v14, v17
	v_dual_add_f32 v13, v181, v189 :: v_dual_add_f32 v14, v154, v194
	v_add_f32_e32 v15, v153, v193
	v_min3_f32 v94, v8, v5, v62
	v_add_f32_e32 v8, v181, v193
	v_min3_f32 v101, v11, v9, v57
	v_add_f32_e32 v9, v178, v190
	v_add_f32_e32 v11, v177, v189
	v_min3_f32 v96, v13, v12, v60
	v_min3_f32 v95, v15, v14, v20
	v_add_f32_e32 v1, v158, v194
	v_add_f32_e32 v12, v170, v194
	v_min3_f32 v98, v11, v9, v59
	v_add_f32_e32 v9, v166, v194
	v_add_f32_e32 v11, v165, v193
	v_dual_add_f32 v13, v169, v193 :: v_dual_add_f32 v14, v174, v194
	v_add_f32_e32 v15, v173, v193
	v_min3_f32 v93, v4, v1, v61
	v_dual_add_f32 v1, v178, v194 :: v_dual_add_f32 v4, v177, v193
	v_add_f32_e32 v5, v182, v194
	s_delay_alu instid0(VALU_DEP_4)
	v_min3_f32 v89, v15, v14, v21
	v_add_f32_e32 v14, v162, v198
	v_min3_f32 v92, v13, v12, v70
	v_add_f32_e32 v12, v158, v198
	;; [unrolled: 2-line block ×3, first 2 shown]
	v_add_f32_e32 v11, v153, v197
	v_add_f32_e32 v13, v157, v197
	;; [unrolled: 1-line block ×3, first 2 shown]
	v_min3_f32 v90, v4, v1, v26
	v_min3_f32 v87, v8, v5, v27
	v_add_f32_e32 v1, v166, v198
	v_min3_f32 v86, v13, v12, v31
	v_min3_f32 v85, v15, v14, v24
	v_add_f32_e32 v14, v182, v198
	v_min3_f32 v88, v11, v9, v30
	v_dual_add_f32 v4, v165, v197 :: v_dual_add_f32 v5, v170, v198
	v_dual_add_f32 v8, v169, v197 :: v_dual_add_f32 v9, v174, v198
	;; [unrolled: 1-line block ×3, first 2 shown]
	v_add_f32_e32 v13, v177, v197
	v_add_f32_e32 v15, v181, v197
	v_min3_f32 v83, v4, v1, v3
	v_min3_f32 v84, v8, v5, v6
	;; [unrolled: 1-line block ×5, first 2 shown]
	v_add_co_ci_u32_e32 v139, vcc_lo, s11, v139, vcc_lo
	s_add_i32 s12, s12, 8
	ds_store_2addr_stride64_b32 v77, v147, v148 offset1:4
	ds_store_2addr_stride64_b32 v77, v149, v150 offset0:8 offset1:12
	ds_store_b32 v78, v0
	s_cmp_ge_i32 s12, s8
	s_waitcnt lgkmcnt(0)
	s_barrier
	buffer_gl0_inv
	s_cbranch_scc1 .LBB56_43
.LBB56_28:                              ; =>This Inner Loop Header: Depth=1
	s_and_b32 vcc_lo, exec_lo, s3
	s_cbranch_vccnz .LBB56_32
; %bb.29:                               ;   in Loop: Header=BB56_28 Depth=1
	v_add_co_u32 v0, vcc_lo, v138, v68
	v_add_co_ci_u32_e32 v1, vcc_lo, v139, v69, vcc_lo
	s_clause 0x1
	flat_load_b32 v2, v[0:1]
	flat_load_b32 v0, v[0:1] offset:256
	s_waitcnt vmcnt(0) lgkmcnt(0)
	v_dual_mul_f32 v147, s9, v2 :: v_dual_mul_f32 v148, s9, v0
	s_and_b32 vcc_lo, exec_lo, s3
	s_cbranch_vccnz .LBB56_33
.LBB56_30:                              ;   in Loop: Header=BB56_28 Depth=1
	v_add_co_u32 v0, vcc_lo, v138, v68
	v_add_co_ci_u32_e32 v1, vcc_lo, v139, v69, vcc_lo
	s_clause 0x1
	flat_load_b32 v2, v[0:1] offset:512
	flat_load_b32 v0, v[0:1] offset:768
	s_waitcnt vmcnt(0) lgkmcnt(0)
	v_dual_mul_f32 v149, s9, v2 :: v_dual_mul_f32 v150, s9, v0
	s_and_b32 vcc_lo, exec_lo, s3
	s_cbranch_vccnz .LBB56_34
.LBB56_31:                              ;   in Loop: Header=BB56_28 Depth=1
	flat_load_b32 v0, v[64:65]
	s_waitcnt vmcnt(0) lgkmcnt(0)
	v_mul_f32_e32 v151, s9, v0
	s_branch .LBB56_35
.LBB56_32:                              ;   in Loop: Header=BB56_28 Depth=1
	v_dual_mov_b32 v147, 0 :: v_dual_mov_b32 v148, 0
	s_and_b32 vcc_lo, exec_lo, s3
	s_cbranch_vccz .LBB56_30
.LBB56_33:                              ;   in Loop: Header=BB56_28 Depth=1
	v_dual_mov_b32 v149, 0 :: v_dual_mov_b32 v150, 0
	s_and_b32 vcc_lo, exec_lo, s3
	s_cbranch_vccz .LBB56_31
.LBB56_34:                              ;   in Loop: Header=BB56_28 Depth=1
	v_mov_b32_e32 v151, 0
.LBB56_35:                              ;   in Loop: Header=BB56_28 Depth=1
	ds_load_b128 v[32:35], v79
	ds_load_b128 v[28:31], v79 offset:512
	ds_load_b128 v[24:27], v79 offset:1024
	;; [unrolled: 1-line block ×7, first 2 shown]
	ds_load_b128 v[60:63], v111
	ds_load_b128 v[56:59], v111 offset:128
	ds_load_b128 v[52:55], v111 offset:256
	;; [unrolled: 1-line block ×7, first 2 shown]
	s_and_b32 vcc_lo, exec_lo, s3
	ds_store_2addr_stride64_b32 v74, v147, v148 offset1:4
	ds_store_2addr_stride64_b32 v74, v149, v150 offset0:8 offset1:12
	ds_store_b32 v75, v151
	s_waitcnt lgkmcnt(0)
	s_barrier
	buffer_gl0_inv
	s_cbranch_vccnz .LBB56_38
; %bb.36:                               ;   in Loop: Header=BB56_28 Depth=1
	v_add_co_u32 v147, vcc_lo, v138, v66
	v_add_co_ci_u32_e32 v148, vcc_lo, v139, v67, vcc_lo
	s_clause 0x1
	flat_load_b32 v70, v[147:148]
	flat_load_b32 v71, v[147:148] offset:256
	s_waitcnt vmcnt(0) lgkmcnt(0)
	v_dual_mul_f32 v147, s9, v70 :: v_dual_mul_f32 v148, s9, v71
	s_and_b32 vcc_lo, exec_lo, s3
	s_cbranch_vccnz .LBB56_39
.LBB56_37:                              ;   in Loop: Header=BB56_28 Depth=1
	v_add_co_u32 v149, vcc_lo, v138, v66
	v_add_co_ci_u32_e32 v150, vcc_lo, v139, v67, vcc_lo
	s_clause 0x1
	flat_load_b32 v70, v[149:150] offset:512
	flat_load_b32 v71, v[149:150] offset:768
	s_waitcnt vmcnt(0) lgkmcnt(0)
	v_dual_mul_f32 v149, s9, v70 :: v_dual_mul_f32 v150, s9, v71
	s_branch .LBB56_40
.LBB56_38:                              ;   in Loop: Header=BB56_28 Depth=1
	v_dual_mov_b32 v147, 0 :: v_dual_mov_b32 v148, 0
	s_and_b32 vcc_lo, exec_lo, s3
	s_cbranch_vccz .LBB56_37
.LBB56_39:                              ;   in Loop: Header=BB56_28 Depth=1
	v_dual_mov_b32 v149, 0 :: v_dual_mov_b32 v150, 0
.LBB56_40:                              ;   in Loop: Header=BB56_28 Depth=1
	v_dual_add_f32 v70, v33, v61 :: v_dual_add_f32 v71, v32, v60
	v_dual_add_f32 v72, v29, v61 :: v_dual_add_f32 v151, v28, v60
	;; [unrolled: 1-line block ×3, first 2 shown]
	s_delay_alu instid0(VALU_DEP_3) | instskip(SKIP_1) | instid1(VALU_DEP_4)
	v_min3_f32 v70, v71, v70, v146
	v_add_f32_e32 v146, v13, v61
	v_min3_f32 v71, v151, v72, v144
	v_add_f32_e32 v151, v12, v60
	v_min3_f32 v72, v153, v152, v145
	v_dual_add_f32 v144, v17, v61 :: v_dual_add_f32 v145, v16, v60
	v_dual_add_f32 v152, v9, v61 :: v_dual_add_f32 v153, v8, v60
	v_dual_add_f32 v154, v5, v61 :: v_dual_add_f32 v155, v4, v60
	v_dual_add_f32 v61, v1, v61 :: v_dual_add_f32 v60, v0, v60
	s_delay_alu instid0(VALU_DEP_4)
	v_min3_f32 v142, v145, v144, v142
	v_min3_f32 v143, v151, v146, v143
	v_dual_add_f32 v144, v29, v57 :: v_dual_add_f32 v145, v28, v56
	v_add_f32_e32 v146, v25, v57
	v_min3_f32 v60, v60, v61, v137
	v_add_f32_e32 v61, v33, v57
	v_add_f32_e32 v137, v32, v56
	;; [unrolled: 1-line block ×3, first 2 shown]
	v_min3_f32 v140, v153, v152, v140
	v_add_f32_e32 v152, v17, v57
	v_min3_f32 v141, v155, v154, v141
	v_dual_add_f32 v153, v16, v56 :: v_dual_add_f32 v154, v13, v57
	v_add_f32_e32 v155, v12, v56
	v_min3_f32 v61, v137, v61, v136
	v_add_f32_e32 v136, v9, v57
	v_min3_f32 v134, v145, v144, v134
	v_min3_f32 v135, v151, v146, v135
	v_dual_add_f32 v137, v8, v56 :: v_dual_add_f32 v144, v5, v57
	v_dual_add_f32 v145, v4, v56 :: v_dual_add_f32 v146, v33, v53
	;; [unrolled: 1-line block ×3, first 2 shown]
	v_add_f32_e32 v151, v32, v52
	v_min3_f32 v132, v153, v152, v132
	v_dual_add_f32 v152, v29, v53 :: v_dual_add_f32 v153, v28, v52
	v_min3_f32 v130, v137, v136, v130
	v_min3_f32 v56, v56, v57, v128
	v_add_f32_e32 v128, v25, v53
	v_min3_f32 v57, v151, v146, v129
	v_dual_add_f32 v129, v24, v52 :: v_dual_add_f32 v136, v17, v53
	v_add_f32_e32 v137, v16, v52
	v_min3_f32 v131, v145, v144, v131
	v_add_f32_e32 v144, v13, v53
	v_min3_f32 v127, v153, v152, v127
	v_dual_add_f32 v145, v12, v52 :: v_dual_add_f32 v146, v9, v53
	v_dual_add_f32 v151, v8, v52 :: v_dual_add_f32 v152, v5, v53
	v_add_f32_e32 v153, v4, v52
	v_min3_f32 v126, v129, v128, v126
	v_add_f32_e32 v128, v33, v49
	v_min3_f32 v124, v137, v136, v124
	v_dual_add_f32 v53, v1, v53 :: v_dual_add_f32 v52, v0, v52
	;; [unrolled: 6-line block ×3, first 2 shown]
	v_add_f32_e32 v151, v16, v48
	v_min3_f32 v120, v52, v53, v120
	v_add_f32_e32 v52, v13, v49
	v_min3_f32 v121, v129, v128, v121
	v_min3_f32 v118, v137, v136, v118
	v_dual_add_f32 v53, v12, v48 :: v_dual_add_f32 v128, v9, v49
	v_dual_add_f32 v129, v8, v48 :: v_dual_add_f32 v136, v5, v49
	v_add_f32_e32 v137, v4, v48
	v_dual_add_f32 v49, v1, v49 :: v_dual_add_f32 v48, v0, v48
	v_min3_f32 v119, v145, v144, v119
	v_dual_add_f32 v144, v33, v45 :: v_dual_add_f32 v145, v32, v44
	v_min3_f32 v116, v53, v52, v116
	v_min3_f32 v114, v129, v128, v114
	;; [unrolled: 1-line block ×3, first 2 shown]
	v_dual_add_f32 v48, v29, v45 :: v_dual_add_f32 v49, v28, v44
	v_dual_add_f32 v52, v25, v45 :: v_dual_add_f32 v53, v24, v44
	;; [unrolled: 1-line block ×3, first 2 shown]
	v_min3_f32 v115, v137, v136, v115
	v_add_f32_e32 v136, v13, v45
	v_min3_f32 v113, v145, v144, v113
	v_dual_add_f32 v137, v12, v44 :: v_dual_add_f32 v144, v9, v45
	v_add_f32_e32 v145, v8, v44
	v_min3_f32 v109, v49, v48, v109
	v_add_f32_e32 v48, v5, v45
	v_min3_f32 v110, v53, v52, v110
	v_min3_f32 v107, v129, v128, v107
	v_dual_add_f32 v49, v4, v44 :: v_dual_add_f32 v52, v33, v41
	v_dual_add_f32 v45, v1, v45 :: v_dual_add_f32 v44, v0, v44
	;; [unrolled: 1-line block ×3, first 2 shown]
	v_add_f32_e32 v129, v28, v40
	v_min3_f32 v108, v137, v136, v108
	v_dual_add_f32 v136, v25, v41 :: v_dual_add_f32 v137, v24, v40
	v_min3_f32 v105, v49, v48, v105
	v_min3_f32 v103, v44, v45, v103
	v_add_f32_e32 v44, v17, v41
	v_min3_f32 v104, v53, v52, v104
	v_min3_f32 v101, v129, v128, v101
	v_dual_add_f32 v45, v16, v40 :: v_dual_add_f32 v48, v13, v41
	v_dual_add_f32 v49, v12, v40 :: v_dual_add_f32 v52, v9, v41
	;; [unrolled: 1-line block ×3, first 2 shown]
	v_add_f32_e32 v129, v4, v40
	v_dual_add_f32 v41, v1, v41 :: v_dual_add_f32 v40, v0, v40
	v_min3_f32 v99, v45, v44, v99
	v_dual_add_f32 v44, v29, v37 :: v_dual_add_f32 v45, v28, v36
	v_min3_f32 v100, v49, v48, v100
	v_add_f32_e32 v48, v25, v37
	v_min3_f32 v96, v40, v41, v96
	v_dual_add_f32 v40, v33, v37 :: v_dual_add_f32 v41, v32, v36
	v_min3_f32 v97, v53, v52, v97
	v_min3_f32 v98, v129, v128, v98
	v_dual_add_f32 v49, v24, v36 :: v_dual_add_f32 v52, v17, v37
	v_dual_add_f32 v53, v16, v36 :: v_dual_add_f32 v128, v13, v37
	v_add_f32_e32 v129, v12, v36
	v_min3_f32 v95, v41, v40, v95
	v_add_f32_e32 v40, v9, v37
	v_min3_f32 v93, v45, v44, v93
	v_dual_add_f32 v41, v8, v36 :: v_dual_add_f32 v44, v5, v37
	v_add_f32_e32 v45, v4, v36
	v_dual_add_f32 v17, v17, v21 :: v_dual_add_f32 v12, v12, v20
	v_dual_add_f32 v13, v13, v21 :: v_dual_add_f32 v8, v8, v20
	;; [unrolled: 1-line block ×3, first 2 shown]
	v_add_f32_e32 v5, v5, v21
	v_min3_f32 v123, v153, v152, v123
	v_min3_f32 v117, v151, v146, v117
	v_dual_add_f32 v37, v1, v37 :: v_dual_add_f32 v32, v32, v20
	v_dual_add_f32 v36, v0, v36 :: v_dual_add_f32 v33, v33, v21
	;; [unrolled: 1-line block ×4, first 2 shown]
	v_add_f32_e32 v16, v16, v20
	v_min3_f32 v146, v12, v13, v84
	v_min3_f32 v151, v8, v9, v81
	v_dual_add_f32 v1, v1, v21 :: v_dual_add_f32 v8, v31, v63
	v_add_f32_e32 v0, v0, v20
	v_min3_f32 v152, v4, v5, v82
	v_dual_add_f32 v4, v35, v63 :: v_dual_add_f32 v5, v34, v62
	v_dual_add_f32 v12, v27, v63 :: v_dual_add_f32 v9, v30, v62
	v_add_f32_e32 v13, v26, v62
	v_min3_f32 v106, v145, v144, v106
	v_min3_f32 v144, v28, v29, v86
	;; [unrolled: 1-line block ×4, first 2 shown]
	v_dual_add_f32 v16, v19, v63 :: v_dual_add_f32 v17, v18, v62
	v_min3_f32 v25, v5, v4, v70
	v_min3_f32 v28, v9, v8, v71
	v_add_f32_e32 v8, v11, v63
	v_add_f32_e32 v4, v15, v63
	v_min3_f32 v29, v13, v12, v72
	v_dual_add_f32 v5, v14, v62 :: v_dual_add_f32 v12, v7, v63
	v_add_f32_e32 v9, v10, v62
	v_dual_add_f32 v13, v6, v62 :: v_dual_add_f32 v20, v35, v59
	v_min3_f32 v102, v137, v136, v102
	v_min3_f32 v136, v36, v37, v87
	;; [unrolled: 1-line block ×5, first 2 shown]
	v_dual_add_f32 v16, v3, v63 :: v_dual_add_f32 v17, v2, v62
	v_add_f32_e32 v21, v34, v58
	v_min3_f32 v32, v5, v4, v143
	v_min3_f32 v33, v9, v8, v140
	v_min3_f32 v36, v13, v12, v141
	v_dual_add_f32 v5, v31, v59 :: v_dual_add_f32 v8, v30, v58
	v_dual_add_f32 v9, v27, v59 :: v_dual_add_f32 v12, v26, v58
	v_min3_f32 v133, v155, v154, v133
	v_min3_f32 v94, v49, v48, v94
	;; [unrolled: 1-line block ×4, first 2 shown]
	v_dual_add_f32 v13, v19, v59 :: v_dual_add_f32 v48, v10, v58
	v_min3_f32 v40, v8, v5, v134
	v_min3_f32 v41, v12, v9, v135
	v_add_f32_e32 v8, v7, v59
	v_min3_f32 v37, v17, v16, v60
	v_dual_add_f32 v16, v18, v58 :: v_dual_add_f32 v17, v15, v59
	v_add_f32_e32 v12, v3, v59
	v_min3_f32 v4, v21, v20, v61
	v_dual_add_f32 v20, v14, v58 :: v_dual_add_f32 v21, v11, v59
	v_min3_f32 v129, v45, v44, v90
	v_min3_f32 v44, v16, v13, v132
	v_dual_add_f32 v9, v6, v58 :: v_dual_add_f32 v16, v35, v55
	s_delay_alu instid0(VALU_DEP_4)
	v_min3_f32 v45, v20, v17, v133
	v_min3_f32 v5, v48, v21, v130
	v_dual_add_f32 v13, v2, v58 :: v_dual_add_f32 v20, v31, v55
	v_dual_add_f32 v17, v34, v54 :: v_dual_add_f32 v58, v27, v55
	v_add_f32_e32 v21, v30, v54
	v_add_f32_e32 v59, v26, v54
	v_min3_f32 v91, v53, v52, v91
	v_min3_f32 v48, v9, v8, v131
	v_min3_f32 v49, v13, v12, v56
	v_min3_f32 v52, v17, v16, v57
	v_min3_f32 v8, v59, v58, v126
	v_dual_add_f32 v9, v19, v55 :: v_dual_add_f32 v12, v18, v54
	v_dual_add_f32 v13, v15, v55 :: v_dual_add_f32 v16, v14, v54
	v_add_f32_e32 v17, v11, v55
	v_add_f32_e32 v58, v3, v55
	v_min3_f32 v53, v21, v20, v127
	v_dual_add_f32 v20, v10, v54 :: v_dual_add_f32 v21, v7, v55
	v_add_f32_e32 v62, v18, v50
	v_add_f32_e32 v57, v6, v54
	;; [unrolled: 1-line block ×3, first 2 shown]
	v_min3_f32 v54, v12, v9, v124
	v_min3_f32 v55, v16, v13, v125
	;; [unrolled: 1-line block ×3, first 2 shown]
	v_add_f32_e32 v20, v27, v51
	v_dual_add_f32 v12, v35, v51 :: v_dual_add_f32 v13, v34, v50
	v_dual_add_f32 v16, v31, v51 :: v_dual_add_f32 v17, v30, v50
	;; [unrolled: 1-line block ×3, first 2 shown]
	v_add_f32_e32 v63, v15, v51
	v_min3_f32 v57, v57, v21, v123
	v_min3_f32 v9, v59, v58, v120
	v_add_f32_e32 v21, v26, v50
	v_min3_f32 v58, v13, v12, v121
	v_min3_f32 v59, v17, v16, v118
	v_add_f32_e32 v16, v10, v50
	v_min3_f32 v12, v70, v63, v116
	v_dual_add_f32 v63, v35, v47 :: v_dual_add_f32 v70, v34, v46
	v_min3_f32 v61, v62, v61, v117
	v_add_f32_e32 v13, v11, v51
	v_dual_add_f32 v17, v7, v51 :: v_dual_add_f32 v62, v2, v50
	s_delay_alu instid0(VALU_DEP_4)
	v_min3_f32 v63, v70, v63, v113
	v_add_f32_e32 v70, v15, v47
	v_min3_f32 v60, v21, v20, v119
	v_dual_add_f32 v20, v6, v50 :: v_dual_add_f32 v21, v3, v51
	v_dual_add_f32 v72, v30, v46 :: v_dual_add_f32 v71, v31, v47
	v_min3_f32 v50, v16, v13, v114
	s_delay_alu instid0(VALU_DEP_3) | instskip(NEXT) | instid1(VALU_DEP_4)
	v_min3_f32 v51, v20, v17, v115
	v_min3_f32 v62, v62, v21, v112
	v_dual_add_f32 v20, v19, v47 :: v_dual_add_f32 v21, v18, v46
	v_add_f32_e32 v84, v7, v47
	v_dual_add_f32 v16, v27, v47 :: v_dual_add_f32 v17, v26, v46
	v_add_f32_e32 v83, v10, v46
	v_dual_add_f32 v85, v6, v46 :: v_dual_add_f32 v86, v19, v43
	v_min3_f32 v81, v21, v20, v107
	v_add_f32_e32 v20, v2, v46
	v_min3_f32 v13, v72, v71, v109
	v_dual_add_f32 v71, v14, v46 :: v_dual_add_f32 v72, v11, v47
	v_min3_f32 v80, v17, v16, v110
	v_min3_f32 v16, v85, v84, v105
	v_add_f32_e32 v17, v3, v47
	s_delay_alu instid0(VALU_DEP_4)
	v_min3_f32 v82, v71, v70, v108
	v_min3_f32 v83, v83, v72, v106
	v_dual_add_f32 v21, v35, v43 :: v_dual_add_f32 v88, v2, v42
	v_dual_add_f32 v47, v34, v42 :: v_dual_add_f32 v70, v31, v43
	;; [unrolled: 1-line block ×3, first 2 shown]
	v_add_f32_e32 v85, v26, v42
	v_add_f32_e32 v87, v18, v42
	v_min3_f32 v46, v20, v17, v103
	s_delay_alu instid0(VALU_DEP_4)
	v_min3_f32 v84, v71, v70, v101
	v_add_f32_e32 v20, v15, v43
	v_min3_f32 v47, v47, v21, v104
	v_min3_f32 v85, v85, v72, v102
	;; [unrolled: 1-line block ×3, first 2 shown]
	v_dual_add_f32 v21, v14, v42 :: v_dual_add_f32 v70, v11, v43
	v_dual_add_f32 v71, v10, v42 :: v_dual_add_f32 v72, v7, v43
	;; [unrolled: 1-line block ×4, first 2 shown]
	v_add_f32_e32 v35, v35, v23
	s_delay_alu instid0(VALU_DEP_3) | instskip(NEXT) | instid1(VALU_DEP_4)
	v_min3_f32 v86, v86, v72, v98
	v_min3_f32 v87, v88, v87, v96
	v_add_f32_e32 v96, v15, v39
	v_min3_f32 v42, v21, v20, v100
	v_dual_add_f32 v21, v31, v39 :: v_dual_add_f32 v72, v26, v38
	v_add_f32_e32 v98, v11, v39
	v_min3_f32 v43, v71, v70, v97
	v_add_f32_e32 v70, v30, v38
	v_min3_f32 v20, v90, v89, v95
	v_add_f32_e32 v71, v27, v39
	v_dual_add_f32 v90, v19, v39 :: v_dual_add_f32 v95, v18, v38
	v_add_f32_e32 v97, v14, v38
	v_min3_f32 v88, v70, v21, v93
	v_add_f32_e32 v70, v7, v39
	v_dual_add_f32 v39, v3, v39 :: v_dual_add_f32 v34, v34, v22
	v_add_f32_e32 v99, v10, v38
	v_min3_f32 v89, v72, v71, v94
	v_min3_f32 v90, v95, v90, v91
	;; [unrolled: 1-line block ×3, first 2 shown]
	v_add_f32_e32 v71, v6, v38
	v_dual_add_f32 v38, v2, v38 :: v_dual_add_f32 v31, v31, v23
	v_add_f32_e32 v18, v18, v22
	v_add_f32_e32 v72, v30, v22
	v_dual_add_f32 v92, v27, v23 :: v_dual_add_f32 v93, v26, v22
	v_min3_f32 v30, v34, v35, v137
	v_dual_add_f32 v19, v19, v23 :: v_dual_add_f32 v14, v14, v22
	v_dual_add_f32 v15, v15, v23 :: v_dual_add_f32 v10, v10, v22
	;; [unrolled: 1-line block ×4, first 2 shown]
	v_add_f32_e32 v23, v3, v23
	v_min3_f32 v21, v99, v98, v128
	v_min3_f32 v26, v71, v70, v129
	;; [unrolled: 1-line block ×10, first 2 shown]
	s_and_b32 vcc_lo, exec_lo, s3
	s_cbranch_vccz .LBB56_26
; %bb.41:                               ;   in Loop: Header=BB56_28 Depth=1
	v_mov_b32_e32 v0, 0
	s_branch .LBB56_27
.LBB56_42:
	scratch_load_b32 v200, off, off offset:24 ; 4-byte Folded Reload
	v_mov_b32_e32 v199, v150
.LBB56_43:
	s_clause 0x1
	s_load_b64 s[8:9], s[0:1], 0x70
	s_load_b32 s3, s[0:1], 0x68
	ds_load_b128 v[32:35], v73 offset:4096
	ds_load_b128 v[60:63], v201 offset:9216
	s_load_b32 s0, s[0:1], 0x50
	v_add_nc_u32_e32 v111, s21, v199
	s_waitcnt vmcnt(0)
	v_add_nc_u32_e32 v76, s20, v200
	s_waitcnt lgkmcnt(0)
	s_mul_i32 s1, s15, s9
	s_mul_hi_u32 s9, s15, s8
	v_dual_add_f32 v9, v34, v62 :: v_dual_add_f32 v6, v33, v61
	v_mad_i64_i32 v[2:3], null, v111, s3, 0
	v_mad_i64_i32 v[4:5], null, v111, s0, 0
	v_dual_add_f32 v7, v32, v60 :: v_dual_add_f32 v8, v35, v63
	s_mul_i32 s10, s19, s8
	s_add_i32 s1, s9, s1
	s_mul_i32 s8, s15, s8
	s_add_i32 s9, s1, s10
	s_delay_alu instid0(VALU_DEP_3)
	v_lshlrev_b64 v[2:3], 2, v[2:3]
	v_min3_f32 v6, v7, v6, v146
	s_lshl_b64 s[8:9], s[8:9], 2
	v_lshlrev_b64 v[4:5], 2, v[4:5]
	s_add_u32 s1, s6, s8
	v_ashrrev_i32_e32 v77, 31, v76
	v_add_nc_u32_e32 v0, 32, v76
	s_addc_u32 s6, s7, s9
	v_min3_f32 v6, v9, v8, v6
	v_add_co_u32 v138, vcc_lo, s1, v2
	v_add_co_ci_u32_e32 v139, vcc_lo, s6, v3, vcc_lo
	v_add_co_u32 v146, vcc_lo, s4, v4
	v_lshlrev_b64 v[66:67], 2, v[76:77]
	v_ashrrev_i32_e32 v1, 31, v0
	v_add_co_ci_u32_e32 v147, vcc_lo, s5, v5, vcc_lo
	v_max_f32_e32 v2, v6, v6
	s_mov_b32 vcc_lo, s2
	s_cbranch_vccz .LBB56_45
; %bb.44:
	v_add_co_u32 v3, vcc_lo, v138, v66
	s_delay_alu instid0(VALU_DEP_2)
	v_min_f32_e32 v5, 0, v2
	v_add_co_ci_u32_e32 v4, vcc_lo, v139, v67, vcc_lo
	s_mov_b32 s7, 0
	global_store_b32 v[3:4], v5, off
	s_branch .LBB56_46
.LBB56_45:
	s_mov_b32 s7, -1
.LBB56_46:
	ds_load_b128 v[28:31], v73 offset:4608
	ds_load_b128 v[24:27], v73 offset:5120
	v_lshlrev_b64 v[64:65], 2, v[0:1]
	s_and_not1_b32 vcc_lo, exec_lo, s7
	s_cbranch_vccnz .LBB56_48
; %bb.47:
	v_add_co_u32 v0, vcc_lo, v146, v66
	v_add_co_ci_u32_e32 v1, vcc_lo, v147, v67, vcc_lo
	flat_load_b32 v0, v[0:1]
	s_waitcnt vmcnt(0) lgkmcnt(0)
	v_mul_f32_e32 v3, s18, v0
	v_add_co_u32 v0, vcc_lo, v138, v66
	v_add_co_ci_u32_e32 v1, vcc_lo, v139, v67, vcc_lo
	s_delay_alu instid0(VALU_DEP_3)
	v_min_f32_e32 v4, v3, v2
	v_add_co_u32 v2, vcc_lo, v146, v64
	v_add_co_ci_u32_e32 v3, vcc_lo, v147, v65, vcc_lo
	global_store_b32 v[0:1], v4, off
	flat_load_b32 v0, v[2:3]
	s_waitcnt vmcnt(0) lgkmcnt(0)
	v_mul_f32_e32 v69, s18, v0
	s_branch .LBB56_49
.LBB56_48:
	v_mov_b32_e32 v69, s7
.LBB56_49:
	ds_load_b128 v[20:23], v73 offset:5632
	ds_load_b128 v[16:19], v73 offset:6144
	;; [unrolled: 1-line block ×10, first 2 shown]
	s_waitcnt lgkmcnt(10)
	v_dual_add_f32 v68, v25, v61 :: v_dual_add_f32 v73, v31, v63
	v_dual_add_f32 v70, v24, v60 :: v_dual_add_f32 v71, v29, v61
	ds_load_b128 v[36:39], v201 offset:9984
	ds_load_b128 v[4:7], v201 offset:10112
	v_dual_add_f32 v72, v28, v60 :: v_dual_add_f32 v75, v27, v63
	v_add_f32_e32 v74, v30, v62
	v_min3_f32 v68, v70, v68, v145
	v_dual_add_f32 v77, v26, v62 :: v_dual_add_nc_u32 v70, 64, v76
	s_delay_alu instid0(VALU_DEP_4) | instskip(NEXT) | instid1(VALU_DEP_4)
	v_min3_f32 v72, v72, v71, v144
	v_min_f32_e32 v73, v74, v73
	s_delay_alu instid0(VALU_DEP_3) | instskip(SKIP_2) | instid1(VALU_DEP_4)
	v_min3_f32 v75, v77, v75, v68
	v_add_nc_u32_e32 v68, 0x60, v76
	v_ashrrev_i32_e32 v71, 31, v70
	v_min3_f32 v77, v69, v73, v72
	v_add_co_u32 v73, vcc_lo, v138, v64
	v_add_co_ci_u32_e32 v74, vcc_lo, v139, v65, vcc_lo
	s_delay_alu instid0(VALU_DEP_4)
	v_lshlrev_b64 v[70:71], 2, v[70:71]
	v_ashrrev_i32_e32 v69, 31, v68
	v_max_f32_e32 v72, v75, v75
	s_mov_b32 vcc_lo, s2
	global_store_b32 v[73:74], v77, off
	s_cbranch_vccz .LBB56_52
; %bb.50:
	v_add_co_u32 v73, vcc_lo, v138, v70
	v_min_f32_e32 v75, 0, v72
	v_add_co_ci_u32_e32 v74, vcc_lo, v139, v71, vcc_lo
	s_mov_b32 s7, 0
	global_store_b32 v[73:74], v75, off
	v_lshlrev_b64 v[68:69], 2, v[68:69]
	s_cbranch_execz .LBB56_53
; %bb.51:
	v_mov_b32_e32 v73, s7
	s_branch .LBB56_54
.LBB56_52:
	s_mov_b32 s7, -1
	v_lshlrev_b64 v[68:69], 2, v[68:69]
.LBB56_53:
	v_add_co_u32 v73, vcc_lo, v146, v70
	v_add_co_ci_u32_e32 v74, vcc_lo, v147, v71, vcc_lo
	flat_load_b32 v73, v[73:74]
	s_waitcnt vmcnt(0) lgkmcnt(0)
	v_mul_f32_e32 v75, s18, v73
	v_add_co_u32 v73, vcc_lo, v138, v70
	v_add_co_ci_u32_e32 v74, vcc_lo, v139, v71, vcc_lo
	v_add_co_u32 v77, vcc_lo, v146, v68
	s_delay_alu instid0(VALU_DEP_4)
	v_min_f32_e32 v72, v75, v72
	v_add_co_ci_u32_e32 v78, vcc_lo, v147, v69, vcc_lo
	global_store_b32 v[73:74], v72, off
	flat_load_b32 v72, v[77:78]
	s_waitcnt vmcnt(0) lgkmcnt(0)
	v_mul_f32_e32 v73, s18, v72
.LBB56_54:
	s_waitcnt lgkmcnt(10)
	v_dual_add_f32 v72, v17, v61 :: v_dual_add_f32 v77, v20, v60
	v_dual_add_f32 v74, v16, v60 :: v_dual_add_f32 v75, v21, v61
	v_dual_add_f32 v78, v23, v63 :: v_dual_add_f32 v79, v22, v62
	v_add_f32_e32 v144, v18, v62
	s_delay_alu instid0(VALU_DEP_3) | instskip(SKIP_3) | instid1(VALU_DEP_3)
	v_min3_f32 v72, v74, v72, v143
	v_add_f32_e32 v143, v19, v63
	v_min3_f32 v77, v77, v75, v142
	v_min_f32_e32 v78, v79, v78
	v_min3_f32 v142, v144, v143, v72
	v_add_nc_u32_e32 v74, 0x80, v76
	s_delay_alu instid0(VALU_DEP_3)
	v_min3_f32 v143, v73, v78, v77
	v_add_nc_u32_e32 v72, 0xa0, v76
	v_add_co_u32 v78, vcc_lo, v138, v68
	v_max_f32_e32 v77, v142, v142
	v_ashrrev_i32_e32 v75, 31, v74
	v_add_co_ci_u32_e32 v79, vcc_lo, v139, v69, vcc_lo
	v_ashrrev_i32_e32 v73, 31, v72
	s_mov_b32 vcc_lo, s2
	s_delay_alu instid0(VALU_DEP_3)
	v_lshlrev_b64 v[74:75], 2, v[74:75]
	global_store_b32 v[78:79], v143, off
	s_cbranch_vccz .LBB56_57
; %bb.55:
	v_add_co_u32 v78, vcc_lo, v138, v74
	v_min_f32_e32 v142, 0, v77
	v_add_co_ci_u32_e32 v79, vcc_lo, v139, v75, vcc_lo
	s_mov_b32 s7, 0
	global_store_b32 v[78:79], v142, off
	v_lshlrev_b64 v[72:73], 2, v[72:73]
	s_cbranch_execz .LBB56_58
; %bb.56:
	v_mov_b32_e32 v77, s7
	s_branch .LBB56_59
.LBB56_57:
	s_mov_b32 s7, -1
	v_lshlrev_b64 v[72:73], 2, v[72:73]
.LBB56_58:
	v_add_co_u32 v78, vcc_lo, v146, v74
	v_add_co_ci_u32_e32 v79, vcc_lo, v147, v75, vcc_lo
	flat_load_b32 v78, v[78:79]
	s_waitcnt vmcnt(0) lgkmcnt(0)
	v_mul_f32_e32 v142, s18, v78
	v_add_co_u32 v78, vcc_lo, v138, v74
	v_add_co_ci_u32_e32 v79, vcc_lo, v139, v75, vcc_lo
	s_delay_alu instid0(VALU_DEP_3)
	v_min_f32_e32 v77, v142, v77
	v_add_co_u32 v142, vcc_lo, v146, v72
	v_add_co_ci_u32_e32 v143, vcc_lo, v147, v73, vcc_lo
	global_store_b32 v[78:79], v77, off
	flat_load_b32 v77, v[142:143]
	s_waitcnt vmcnt(0) lgkmcnt(0)
	v_mul_f32_e32 v77, s18, v77
.LBB56_59:
	s_waitcnt lgkmcnt(8)
	v_dual_add_f32 v78, v9, v61 :: v_dual_add_f32 v79, v8, v60
	v_dual_add_f32 v142, v13, v61 :: v_dual_add_f32 v143, v12, v60
	v_add_f32_e32 v144, v15, v63
	v_dual_add_f32 v145, v11, v63 :: v_dual_add_f32 v148, v10, v62
	s_delay_alu instid0(VALU_DEP_4) | instskip(SKIP_3) | instid1(VALU_DEP_4)
	v_min3_f32 v79, v79, v78, v141
	v_dual_add_f32 v141, v14, v62 :: v_dual_add_nc_u32 v78, 0xc0, v76
	v_min3_f32 v140, v143, v142, v140
	v_add_nc_u32_e32 v76, 0xe0, v76
	v_min3_f32 v143, v148, v145, v79
	s_delay_alu instid0(VALU_DEP_4) | instskip(SKIP_1) | instid1(VALU_DEP_2)
	v_min_f32_e32 v141, v141, v144
	v_ashrrev_i32_e32 v79, 31, v78
	v_min3_f32 v144, v77, v141, v140
	s_delay_alu instid0(VALU_DEP_4) | instskip(SKIP_1) | instid1(VALU_DEP_4)
	v_max_f32_e32 v140, v143, v143
	v_add_co_u32 v141, vcc_lo, v138, v72
	v_lshlrev_b64 v[78:79], 2, v[78:79]
	v_add_co_ci_u32_e32 v142, vcc_lo, v139, v73, vcc_lo
	v_ashrrev_i32_e32 v77, 31, v76
	s_mov_b32 vcc_lo, s2
	global_store_b32 v[141:142], v144, off
	s_cbranch_vccz .LBB56_62
; %bb.60:
	v_add_co_u32 v141, vcc_lo, v138, v78
	v_min_f32_e32 v143, 0, v140
	v_add_co_ci_u32_e32 v142, vcc_lo, v139, v79, vcc_lo
	s_mov_b32 s7, 0
	global_store_b32 v[141:142], v143, off
	v_lshlrev_b64 v[76:77], 2, v[76:77]
	s_cbranch_execz .LBB56_63
; %bb.61:
	v_mov_b32_e32 v140, s7
	s_branch .LBB56_64
.LBB56_62:
	s_mov_b32 s7, -1
	v_lshlrev_b64 v[76:77], 2, v[76:77]
.LBB56_63:
	v_add_co_u32 v141, vcc_lo, v146, v78
	v_add_co_ci_u32_e32 v142, vcc_lo, v147, v79, vcc_lo
	flat_load_b32 v141, v[141:142]
	s_waitcnt vmcnt(0) lgkmcnt(0)
	v_mul_f32_e32 v143, s18, v141
	v_add_co_u32 v141, vcc_lo, v138, v78
	v_add_co_ci_u32_e32 v142, vcc_lo, v139, v79, vcc_lo
	s_delay_alu instid0(VALU_DEP_3)
	v_min_f32_e32 v140, v143, v140
	v_add_co_u32 v143, vcc_lo, v146, v76
	v_add_co_ci_u32_e32 v144, vcc_lo, v147, v77, vcc_lo
	global_store_b32 v[141:142], v140, off
	flat_load_b32 v140, v[143:144]
	s_waitcnt vmcnt(0) lgkmcnt(0)
	v_mul_f32_e32 v140, s18, v140
.LBB56_64:
	s_waitcnt lgkmcnt(6)
	v_dual_add_f32 v141, v33, v57 :: v_dual_add_f32 v142, v32, v56
	v_dual_add_f32 v61, v1, v61 :: v_dual_add_f32 v60, v0, v60
	v_add_f32_e32 v143, v34, v58
	v_add_f32_e32 v62, v2, v62
	s_delay_alu instid0(VALU_DEP_4) | instskip(SKIP_3) | instid1(VALU_DEP_3)
	v_min3_f32 v136, v142, v141, v136
	v_add_f32_e32 v142, v35, v59
	v_add_nc_u32_e32 v141, 8, v111
	v_min3_f32 v137, v60, v61, v137
	v_min3_f32 v136, v143, v142, v136
	v_add_f32_e32 v63, v3, v63
	s_delay_alu instid0(VALU_DEP_4) | instskip(NEXT) | instid1(VALU_DEP_3)
	v_mad_i64_i32 v[60:61], null, v141, s3, 0
	v_max_f32_e32 v136, v136, v136
	s_delay_alu instid0(VALU_DEP_3) | instskip(SKIP_1) | instid1(VALU_DEP_4)
	v_min_f32_e32 v144, v62, v63
	v_mad_i64_i32 v[62:63], null, v141, s0, 0
	v_lshlrev_b64 v[60:61], 2, v[60:61]
	s_delay_alu instid0(VALU_DEP_3)
	v_min3_f32 v140, v140, v144, v137
	v_add_co_u32 v137, vcc_lo, v138, v76
	v_add_co_ci_u32_e32 v138, vcc_lo, v139, v77, vcc_lo
	v_lshlrev_b64 v[62:63], 2, v[62:63]
	v_add_co_u32 v60, vcc_lo, s1, v60
	v_add_co_ci_u32_e32 v61, vcc_lo, s6, v61, vcc_lo
	global_store_b32 v[137:138], v140, off
	v_add_co_u32 v62, vcc_lo, s4, v62
	v_add_co_ci_u32_e32 v63, vcc_lo, s5, v63, vcc_lo
	s_mov_b32 vcc_lo, s2
	s_cbranch_vccz .LBB56_67
; %bb.65:
	v_add_co_u32 v137, vcc_lo, v60, v66
	v_min_f32_e32 v139, 0, v136
	v_add_co_ci_u32_e32 v138, vcc_lo, v61, v67, vcc_lo
	s_mov_b32 s7, 0
	global_store_b32 v[137:138], v139, off
	s_cbranch_execz .LBB56_68
; %bb.66:
	v_mov_b32_e32 v136, s7
	s_branch .LBB56_69
.LBB56_67:
	s_mov_b32 s7, -1
.LBB56_68:
	v_add_co_u32 v137, vcc_lo, v62, v66
	v_add_co_ci_u32_e32 v138, vcc_lo, v63, v67, vcc_lo
	flat_load_b32 v137, v[137:138]
	s_waitcnt vmcnt(0) lgkmcnt(0)
	v_mul_f32_e32 v139, s18, v137
	v_add_co_u32 v137, vcc_lo, v60, v66
	v_add_co_ci_u32_e32 v138, vcc_lo, v61, v67, vcc_lo
	s_delay_alu instid0(VALU_DEP_3)
	v_min_f32_e32 v136, v139, v136
	v_add_co_u32 v139, vcc_lo, v62, v64
	v_add_co_ci_u32_e32 v140, vcc_lo, v63, v65, vcc_lo
	global_store_b32 v[137:138], v136, off
	flat_load_b32 v136, v[139:140]
	s_waitcnt vmcnt(0) lgkmcnt(0)
	v_mul_f32_e32 v136, s18, v136
.LBB56_69:
	v_dual_add_f32 v137, v29, v57 :: v_dual_add_f32 v138, v28, v56
	v_dual_add_f32 v139, v25, v57 :: v_dual_add_f32 v140, v24, v56
	v_dual_add_f32 v141, v31, v59 :: v_dual_add_f32 v142, v30, v58
	s_delay_alu instid0(VALU_DEP_3) | instskip(SKIP_1) | instid1(VALU_DEP_4)
	v_min3_f32 v134, v138, v137, v134
	v_dual_add_f32 v137, v27, v59 :: v_dual_add_f32 v138, v26, v58
	v_min3_f32 v135, v140, v139, v135
	s_delay_alu instid0(VALU_DEP_4) | instskip(NEXT) | instid1(VALU_DEP_2)
	v_min_f32_e32 v139, v142, v141
	v_min3_f32 v137, v138, v137, v135
	v_add_co_u32 v135, vcc_lo, v60, v64
	s_delay_alu instid0(VALU_DEP_3) | instskip(SKIP_1) | instid1(VALU_DEP_4)
	v_min3_f32 v138, v136, v139, v134
	v_add_co_ci_u32_e32 v136, vcc_lo, v61, v65, vcc_lo
	v_max_f32_e32 v134, v137, v137
	s_mov_b32 vcc_lo, s2
	global_store_b32 v[135:136], v138, off
	s_cbranch_vccz .LBB56_72
; %bb.70:
	v_add_co_u32 v135, vcc_lo, v60, v70
	v_min_f32_e32 v137, 0, v134
	v_add_co_ci_u32_e32 v136, vcc_lo, v61, v71, vcc_lo
	s_mov_b32 s7, 0
	global_store_b32 v[135:136], v137, off
	s_cbranch_execz .LBB56_73
; %bb.71:
	v_mov_b32_e32 v134, s7
	s_branch .LBB56_74
.LBB56_72:
	s_mov_b32 s7, -1
.LBB56_73:
	v_add_co_u32 v135, vcc_lo, v62, v70
	v_add_co_ci_u32_e32 v136, vcc_lo, v63, v71, vcc_lo
	flat_load_b32 v135, v[135:136]
	s_waitcnt vmcnt(0) lgkmcnt(0)
	v_mul_f32_e32 v137, s18, v135
	v_add_co_u32 v135, vcc_lo, v60, v70
	v_add_co_ci_u32_e32 v136, vcc_lo, v61, v71, vcc_lo
	s_delay_alu instid0(VALU_DEP_3)
	v_min_f32_e32 v134, v137, v134
	v_add_co_u32 v137, vcc_lo, v62, v68
	v_add_co_ci_u32_e32 v138, vcc_lo, v63, v69, vcc_lo
	global_store_b32 v[135:136], v134, off
	flat_load_b32 v134, v[137:138]
	s_waitcnt vmcnt(0) lgkmcnt(0)
	v_mul_f32_e32 v134, s18, v134
.LBB56_74:
	v_dual_add_f32 v135, v21, v57 :: v_dual_add_f32 v136, v20, v56
	v_dual_add_f32 v137, v17, v57 :: v_dual_add_f32 v138, v16, v56
	v_dual_add_f32 v139, v23, v59 :: v_dual_add_f32 v140, v22, v58
	s_delay_alu instid0(VALU_DEP_3) | instskip(SKIP_1) | instid1(VALU_DEP_4)
	v_min3_f32 v132, v136, v135, v132
	v_dual_add_f32 v135, v19, v59 :: v_dual_add_f32 v136, v18, v58
	v_min3_f32 v133, v138, v137, v133
	s_delay_alu instid0(VALU_DEP_4) | instskip(NEXT) | instid1(VALU_DEP_2)
	v_min_f32_e32 v137, v140, v139
	v_min3_f32 v135, v136, v135, v133
	v_add_co_u32 v133, vcc_lo, v60, v68
	s_delay_alu instid0(VALU_DEP_3) | instskip(SKIP_1) | instid1(VALU_DEP_4)
	v_min3_f32 v136, v134, v137, v132
	v_add_co_ci_u32_e32 v134, vcc_lo, v61, v69, vcc_lo
	v_max_f32_e32 v132, v135, v135
	s_mov_b32 vcc_lo, s2
	global_store_b32 v[133:134], v136, off
	;; [unrolled: 47-line block ×3, first 2 shown]
	s_cbranch_vccz .LBB56_82
; %bb.80:
	v_add_co_u32 v131, vcc_lo, v60, v78
	v_min_f32_e32 v133, 0, v130
	v_add_co_ci_u32_e32 v132, vcc_lo, v61, v79, vcc_lo
	s_mov_b32 s7, 0
	global_store_b32 v[131:132], v133, off
	s_cbranch_execz .LBB56_83
; %bb.81:
	v_mov_b32_e32 v62, s7
	s_branch .LBB56_84
.LBB56_82:
	s_mov_b32 s7, -1
.LBB56_83:
	v_add_co_u32 v131, vcc_lo, v62, v78
	v_add_co_ci_u32_e32 v132, vcc_lo, v63, v79, vcc_lo
	flat_load_b32 v131, v[131:132]
	s_waitcnt vmcnt(0) lgkmcnt(0)
	v_mul_f32_e32 v133, s18, v131
	v_add_co_u32 v131, vcc_lo, v60, v78
	v_add_co_ci_u32_e32 v132, vcc_lo, v61, v79, vcc_lo
	v_add_co_u32 v62, vcc_lo, v62, v76
	s_delay_alu instid0(VALU_DEP_4)
	v_min_f32_e32 v130, v133, v130
	v_add_co_ci_u32_e32 v63, vcc_lo, v63, v77, vcc_lo
	global_store_b32 v[131:132], v130, off
	flat_load_b32 v62, v[62:63]
	s_waitcnt vmcnt(0) lgkmcnt(0)
	v_mul_f32_e32 v62, s18, v62
.LBB56_84:
	s_waitcnt lgkmcnt(5)
	v_dual_add_f32 v63, v33, v53 :: v_dual_add_f32 v130, v32, v52
	v_dual_add_f32 v57, v1, v57 :: v_dual_add_f32 v56, v0, v56
	;; [unrolled: 1-line block ×3, first 2 shown]
	s_delay_alu instid0(VALU_DEP_3) | instskip(SKIP_1) | instid1(VALU_DEP_4)
	v_min3_f32 v63, v130, v63, v129
	v_add_nc_u32_e32 v129, 16, v111
	v_min3_f32 v128, v56, v57, v128
	v_dual_add_f32 v130, v35, v55 :: v_dual_add_f32 v131, v34, v54
	v_min_f32_e32 v132, v58, v59
	s_delay_alu instid0(VALU_DEP_4) | instskip(SKIP_1) | instid1(VALU_DEP_3)
	v_mad_i64_i32 v[56:57], null, v129, s3, 0
	v_mad_i64_i32 v[58:59], null, v129, s0, 0
	v_min3_f32 v128, v62, v132, v128
	v_add_co_u32 v62, vcc_lo, v60, v76
	v_min3_f32 v129, v131, v130, v63
	v_lshlrev_b64 v[56:57], 2, v[56:57]
	v_add_co_ci_u32_e32 v63, vcc_lo, v61, v77, vcc_lo
	v_lshlrev_b64 v[58:59], 2, v[58:59]
	s_delay_alu instid0(VALU_DEP_4) | instskip(NEXT) | instid1(VALU_DEP_4)
	v_max_f32_e32 v60, v129, v129
	v_add_co_u32 v56, vcc_lo, s1, v56
	v_add_co_ci_u32_e32 v57, vcc_lo, s6, v57, vcc_lo
	s_delay_alu instid0(VALU_DEP_4)
	v_add_co_u32 v58, vcc_lo, s4, v58
	v_add_co_ci_u32_e32 v59, vcc_lo, s5, v59, vcc_lo
	s_mov_b32 vcc_lo, s2
	global_store_b32 v[62:63], v128, off
	s_cbranch_vccz .LBB56_87
; %bb.85:
	v_add_co_u32 v61, vcc_lo, v56, v66
	v_min_f32_e32 v63, 0, v60
	v_add_co_ci_u32_e32 v62, vcc_lo, v57, v67, vcc_lo
	s_mov_b32 s7, 0
	global_store_b32 v[61:62], v63, off
	s_cbranch_execz .LBB56_88
; %bb.86:
	v_mov_b32_e32 v60, s7
	s_branch .LBB56_89
.LBB56_87:
	s_mov_b32 s7, -1
.LBB56_88:
	v_add_co_u32 v61, vcc_lo, v58, v66
	v_add_co_ci_u32_e32 v62, vcc_lo, v59, v67, vcc_lo
	flat_load_b32 v61, v[61:62]
	s_waitcnt vmcnt(0) lgkmcnt(0)
	v_mul_f32_e32 v63, s18, v61
	v_add_co_u32 v61, vcc_lo, v56, v66
	v_add_co_ci_u32_e32 v62, vcc_lo, v57, v67, vcc_lo
	v_add_co_u32 v128, vcc_lo, v58, v64
	s_delay_alu instid0(VALU_DEP_4)
	v_min_f32_e32 v60, v63, v60
	v_add_co_ci_u32_e32 v129, vcc_lo, v59, v65, vcc_lo
	global_store_b32 v[61:62], v60, off
	flat_load_b32 v60, v[128:129]
	s_waitcnt vmcnt(0) lgkmcnt(0)
	v_mul_f32_e32 v60, s18, v60
.LBB56_89:
	v_dual_add_f32 v61, v29, v53 :: v_dual_add_f32 v62, v28, v52
	v_dual_add_f32 v63, v25, v53 :: v_dual_add_f32 v128, v24, v52
	;; [unrolled: 1-line block ×3, first 2 shown]
	s_delay_alu instid0(VALU_DEP_3) | instskip(NEXT) | instid1(VALU_DEP_3)
	v_min3_f32 v61, v62, v61, v127
	v_min3_f32 v62, v128, v63, v126
	v_dual_add_f32 v63, v27, v55 :: v_dual_add_f32 v126, v26, v54
	s_delay_alu instid0(VALU_DEP_1) | instskip(SKIP_1) | instid1(VALU_DEP_1)
	v_min3_f32 v63, v126, v63, v62
	v_min_f32_e32 v127, v130, v129
	v_min3_f32 v126, v60, v127, v61
	s_delay_alu instid0(VALU_DEP_3)
	v_max_f32_e32 v60, v63, v63
	v_add_co_u32 v61, vcc_lo, v56, v64
	v_add_co_ci_u32_e32 v62, vcc_lo, v57, v65, vcc_lo
	s_mov_b32 vcc_lo, s2
	global_store_b32 v[61:62], v126, off
	s_cbranch_vccz .LBB56_92
; %bb.90:
	v_add_co_u32 v61, vcc_lo, v56, v70
	v_min_f32_e32 v63, 0, v60
	v_add_co_ci_u32_e32 v62, vcc_lo, v57, v71, vcc_lo
	s_mov_b32 s7, 0
	global_store_b32 v[61:62], v63, off
	s_cbranch_execz .LBB56_93
; %bb.91:
	v_mov_b32_e32 v60, s7
	s_branch .LBB56_94
.LBB56_92:
	s_mov_b32 s7, -1
.LBB56_93:
	v_add_co_u32 v61, vcc_lo, v58, v70
	v_add_co_ci_u32_e32 v62, vcc_lo, v59, v71, vcc_lo
	flat_load_b32 v61, v[61:62]
	s_waitcnt vmcnt(0) lgkmcnt(0)
	v_mul_f32_e32 v63, s18, v61
	v_add_co_u32 v61, vcc_lo, v56, v70
	v_add_co_ci_u32_e32 v62, vcc_lo, v57, v71, vcc_lo
	v_add_co_u32 v126, vcc_lo, v58, v68
	s_delay_alu instid0(VALU_DEP_4)
	v_min_f32_e32 v60, v63, v60
	v_add_co_ci_u32_e32 v127, vcc_lo, v59, v69, vcc_lo
	global_store_b32 v[61:62], v60, off
	flat_load_b32 v60, v[126:127]
	s_waitcnt vmcnt(0) lgkmcnt(0)
	v_mul_f32_e32 v60, s18, v60
.LBB56_94:
	v_dual_add_f32 v61, v21, v53 :: v_dual_add_f32 v62, v20, v52
	v_dual_add_f32 v63, v17, v53 :: v_dual_add_f32 v126, v16, v52
	;; [unrolled: 1-line block ×3, first 2 shown]
	s_delay_alu instid0(VALU_DEP_3) | instskip(SKIP_1) | instid1(VALU_DEP_4)
	v_min3_f32 v61, v62, v61, v124
	v_add_f32_e32 v124, v18, v54
	v_min3_f32 v62, v126, v63, v125
	v_add_f32_e32 v63, v19, v55
	v_min_f32_e32 v125, v128, v127
	s_delay_alu instid0(VALU_DEP_2) | instskip(NEXT) | instid1(VALU_DEP_2)
	v_min3_f32 v63, v124, v63, v62
	v_min3_f32 v124, v60, v125, v61
	v_add_co_u32 v61, vcc_lo, v56, v68
	v_add_co_ci_u32_e32 v62, vcc_lo, v57, v69, vcc_lo
	s_delay_alu instid0(VALU_DEP_4)
	v_max_f32_e32 v60, v63, v63
	s_mov_b32 vcc_lo, s2
	global_store_b32 v[61:62], v124, off
	s_cbranch_vccz .LBB56_97
; %bb.95:
	v_add_co_u32 v61, vcc_lo, v56, v74
	v_min_f32_e32 v63, 0, v60
	v_add_co_ci_u32_e32 v62, vcc_lo, v57, v75, vcc_lo
	s_mov_b32 s7, 0
	global_store_b32 v[61:62], v63, off
	s_cbranch_execz .LBB56_98
; %bb.96:
	v_mov_b32_e32 v60, s7
	s_branch .LBB56_99
.LBB56_97:
	s_mov_b32 s7, -1
.LBB56_98:
	v_add_co_u32 v61, vcc_lo, v58, v74
	v_add_co_ci_u32_e32 v62, vcc_lo, v59, v75, vcc_lo
	flat_load_b32 v61, v[61:62]
	s_waitcnt vmcnt(0) lgkmcnt(0)
	v_mul_f32_e32 v63, s18, v61
	v_add_co_u32 v61, vcc_lo, v56, v74
	v_add_co_ci_u32_e32 v62, vcc_lo, v57, v75, vcc_lo
	v_add_co_u32 v124, vcc_lo, v58, v72
	s_delay_alu instid0(VALU_DEP_4)
	v_min_f32_e32 v60, v63, v60
	v_add_co_ci_u32_e32 v125, vcc_lo, v59, v73, vcc_lo
	global_store_b32 v[61:62], v60, off
	flat_load_b32 v60, v[124:125]
	s_waitcnt vmcnt(0) lgkmcnt(0)
	v_mul_f32_e32 v60, s18, v60
.LBB56_99:
	v_dual_add_f32 v61, v13, v53 :: v_dual_add_f32 v62, v12, v52
	v_dual_add_f32 v63, v9, v53 :: v_dual_add_f32 v124, v8, v52
	;; [unrolled: 1-line block ×3, first 2 shown]
	s_delay_alu instid0(VALU_DEP_3) | instskip(SKIP_1) | instid1(VALU_DEP_4)
	v_min3_f32 v61, v62, v61, v122
	v_add_f32_e32 v122, v10, v54
	v_min3_f32 v62, v124, v63, v123
	v_add_f32_e32 v63, v11, v55
	s_delay_alu instid0(VALU_DEP_1) | instskip(SKIP_1) | instid1(VALU_DEP_1)
	v_min3_f32 v63, v122, v63, v62
	v_min_f32_e32 v123, v126, v125
	v_min3_f32 v122, v60, v123, v61
	s_delay_alu instid0(VALU_DEP_3)
	v_max_f32_e32 v60, v63, v63
	v_add_co_u32 v61, vcc_lo, v56, v72
	v_add_co_ci_u32_e32 v62, vcc_lo, v57, v73, vcc_lo
	s_mov_b32 vcc_lo, s2
	global_store_b32 v[61:62], v122, off
	s_cbranch_vccz .LBB56_102
; %bb.100:
	v_add_co_u32 v61, vcc_lo, v56, v78
	v_min_f32_e32 v63, 0, v60
	v_add_co_ci_u32_e32 v62, vcc_lo, v57, v79, vcc_lo
	s_mov_b32 s7, 0
	global_store_b32 v[61:62], v63, off
	s_cbranch_execz .LBB56_103
; %bb.101:
	v_mov_b32_e32 v58, s7
	s_branch .LBB56_104
.LBB56_102:
	s_mov_b32 s7, -1
.LBB56_103:
	v_add_co_u32 v61, vcc_lo, v58, v78
	v_add_co_ci_u32_e32 v62, vcc_lo, v59, v79, vcc_lo
	flat_load_b32 v61, v[61:62]
	s_waitcnt vmcnt(0) lgkmcnt(0)
	v_mul_f32_e32 v63, s18, v61
	v_add_co_u32 v61, vcc_lo, v56, v78
	v_add_co_ci_u32_e32 v62, vcc_lo, v57, v79, vcc_lo
	v_add_co_u32 v58, vcc_lo, v58, v76
	s_delay_alu instid0(VALU_DEP_4)
	v_min_f32_e32 v60, v63, v60
	v_add_co_ci_u32_e32 v59, vcc_lo, v59, v77, vcc_lo
	global_store_b32 v[61:62], v60, off
	flat_load_b32 v58, v[58:59]
	s_waitcnt vmcnt(0) lgkmcnt(0)
	v_mul_f32_e32 v58, s18, v58
.LBB56_104:
	s_waitcnt lgkmcnt(4)
	v_dual_add_f32 v59, v33, v49 :: v_dual_add_f32 v60, v32, v48
	v_dual_add_f32 v53, v1, v53 :: v_dual_add_f32 v52, v0, v52
	;; [unrolled: 1-line block ×3, first 2 shown]
	s_delay_alu instid0(VALU_DEP_3) | instskip(SKIP_1) | instid1(VALU_DEP_4)
	v_min3_f32 v59, v60, v59, v121
	v_dual_add_f32 v63, v34, v50 :: v_dual_add_nc_u32 v60, 24, v111
	v_min3_f32 v61, v52, v53, v120
	s_delay_alu instid0(VALU_DEP_4) | instskip(SKIP_1) | instid1(VALU_DEP_4)
	v_min_f32_e32 v120, v54, v55
	v_add_f32_e32 v62, v35, v51
	v_mad_i64_i32 v[52:53], null, v60, s3, 0
	v_mad_i64_i32 v[54:55], null, v60, s0, 0
	s_delay_alu instid0(VALU_DEP_4)
	v_min3_f32 v61, v58, v120, v61
	v_add_co_u32 v58, vcc_lo, v56, v76
	v_min3_f32 v60, v63, v62, v59
	v_lshlrev_b64 v[52:53], 2, v[52:53]
	v_add_co_ci_u32_e32 v59, vcc_lo, v57, v77, vcc_lo
	v_lshlrev_b64 v[54:55], 2, v[54:55]
	s_delay_alu instid0(VALU_DEP_4) | instskip(NEXT) | instid1(VALU_DEP_4)
	v_max_f32_e32 v56, v60, v60
	v_add_co_u32 v52, vcc_lo, s1, v52
	v_add_co_ci_u32_e32 v53, vcc_lo, s6, v53, vcc_lo
	s_delay_alu instid0(VALU_DEP_4)
	v_add_co_u32 v54, vcc_lo, s4, v54
	v_add_co_ci_u32_e32 v55, vcc_lo, s5, v55, vcc_lo
	s_mov_b32 vcc_lo, s2
	global_store_b32 v[58:59], v61, off
	s_cbranch_vccz .LBB56_107
; %bb.105:
	v_add_co_u32 v57, vcc_lo, v52, v66
	v_min_f32_e32 v59, 0, v56
	v_add_co_ci_u32_e32 v58, vcc_lo, v53, v67, vcc_lo
	s_mov_b32 s7, 0
	global_store_b32 v[57:58], v59, off
	s_cbranch_execz .LBB56_108
; %bb.106:
	v_mov_b32_e32 v56, s7
	s_branch .LBB56_109
.LBB56_107:
	s_mov_b32 s7, -1
.LBB56_108:
	v_add_co_u32 v57, vcc_lo, v54, v66
	v_add_co_ci_u32_e32 v58, vcc_lo, v55, v67, vcc_lo
	flat_load_b32 v57, v[57:58]
	s_waitcnt vmcnt(0) lgkmcnt(0)
	v_mul_f32_e32 v59, s18, v57
	v_add_co_u32 v57, vcc_lo, v52, v66
	v_add_co_ci_u32_e32 v58, vcc_lo, v53, v67, vcc_lo
	s_delay_alu instid0(VALU_DEP_3)
	v_min_f32_e32 v56, v59, v56
	v_add_co_u32 v59, vcc_lo, v54, v64
	v_add_co_ci_u32_e32 v60, vcc_lo, v55, v65, vcc_lo
	global_store_b32 v[57:58], v56, off
	flat_load_b32 v56, v[59:60]
	s_waitcnt vmcnt(0) lgkmcnt(0)
	v_mul_f32_e32 v56, s18, v56
.LBB56_109:
	v_dual_add_f32 v57, v29, v49 :: v_dual_add_f32 v58, v28, v48
	v_dual_add_f32 v59, v25, v49 :: v_dual_add_f32 v60, v24, v48
	v_dual_add_f32 v61, v31, v51 :: v_dual_add_f32 v62, v30, v50
	s_delay_alu instid0(VALU_DEP_3) | instskip(NEXT) | instid1(VALU_DEP_3)
	v_min3_f32 v57, v58, v57, v118
	v_min3_f32 v58, v60, v59, v119
	v_dual_add_f32 v59, v27, v51 :: v_dual_add_f32 v60, v26, v50
	s_delay_alu instid0(VALU_DEP_1) | instskip(SKIP_1) | instid1(VALU_DEP_1)
	v_min3_f32 v59, v60, v59, v58
	v_min_f32_e32 v61, v62, v61
	v_min3_f32 v60, v56, v61, v57
	s_delay_alu instid0(VALU_DEP_3)
	v_max_f32_e32 v56, v59, v59
	v_add_co_u32 v57, vcc_lo, v52, v64
	v_add_co_ci_u32_e32 v58, vcc_lo, v53, v65, vcc_lo
	s_mov_b32 vcc_lo, s2
	global_store_b32 v[57:58], v60, off
	s_cbranch_vccz .LBB56_112
; %bb.110:
	v_add_co_u32 v57, vcc_lo, v52, v70
	v_min_f32_e32 v59, 0, v56
	v_add_co_ci_u32_e32 v58, vcc_lo, v53, v71, vcc_lo
	s_mov_b32 s7, 0
	global_store_b32 v[57:58], v59, off
	s_cbranch_execz .LBB56_113
; %bb.111:
	v_mov_b32_e32 v56, s7
	s_branch .LBB56_114
.LBB56_112:
	s_mov_b32 s7, -1
.LBB56_113:
	v_add_co_u32 v57, vcc_lo, v54, v70
	v_add_co_ci_u32_e32 v58, vcc_lo, v55, v71, vcc_lo
	flat_load_b32 v57, v[57:58]
	s_waitcnt vmcnt(0) lgkmcnt(0)
	v_mul_f32_e32 v59, s18, v57
	v_add_co_u32 v57, vcc_lo, v52, v70
	v_add_co_ci_u32_e32 v58, vcc_lo, v53, v71, vcc_lo
	s_delay_alu instid0(VALU_DEP_3)
	v_min_f32_e32 v56, v59, v56
	v_add_co_u32 v59, vcc_lo, v54, v68
	v_add_co_ci_u32_e32 v60, vcc_lo, v55, v69, vcc_lo
	global_store_b32 v[57:58], v56, off
	flat_load_b32 v56, v[59:60]
	s_waitcnt vmcnt(0) lgkmcnt(0)
	v_mul_f32_e32 v56, s18, v56
.LBB56_114:
	v_dual_add_f32 v57, v21, v49 :: v_dual_add_f32 v58, v20, v48
	v_dual_add_f32 v59, v17, v49 :: v_dual_add_f32 v60, v16, v48
	v_dual_add_f32 v61, v23, v51 :: v_dual_add_f32 v62, v22, v50
	s_delay_alu instid0(VALU_DEP_3) | instskip(NEXT) | instid1(VALU_DEP_3)
	v_min3_f32 v57, v58, v57, v117
	v_min3_f32 v58, v60, v59, v116
	v_dual_add_f32 v59, v19, v51 :: v_dual_add_f32 v60, v18, v50
	s_delay_alu instid0(VALU_DEP_1) | instskip(SKIP_1) | instid1(VALU_DEP_1)
	v_min3_f32 v59, v60, v59, v58
	v_min_f32_e32 v61, v62, v61
	v_min3_f32 v60, v56, v61, v57
	s_delay_alu instid0(VALU_DEP_3)
	v_max_f32_e32 v56, v59, v59
	;; [unrolled: 47-line block ×3, first 2 shown]
	v_add_co_u32 v57, vcc_lo, v52, v72
	v_add_co_ci_u32_e32 v58, vcc_lo, v53, v73, vcc_lo
	s_mov_b32 vcc_lo, s2
	global_store_b32 v[57:58], v60, off
	s_cbranch_vccz .LBB56_122
; %bb.120:
	v_add_co_u32 v57, vcc_lo, v52, v78
	v_min_f32_e32 v59, 0, v56
	v_add_co_ci_u32_e32 v58, vcc_lo, v53, v79, vcc_lo
	s_mov_b32 s7, 0
	global_store_b32 v[57:58], v59, off
	s_cbranch_execz .LBB56_123
; %bb.121:
	v_mov_b32_e32 v54, s7
	s_branch .LBB56_124
.LBB56_122:
	s_mov_b32 s7, -1
.LBB56_123:
	v_add_co_u32 v57, vcc_lo, v54, v78
	v_add_co_ci_u32_e32 v58, vcc_lo, v55, v79, vcc_lo
	flat_load_b32 v57, v[57:58]
	s_waitcnt vmcnt(0) lgkmcnt(0)
	v_mul_f32_e32 v59, s18, v57
	v_add_co_u32 v57, vcc_lo, v52, v78
	v_add_co_ci_u32_e32 v58, vcc_lo, v53, v79, vcc_lo
	v_add_co_u32 v54, vcc_lo, v54, v76
	s_delay_alu instid0(VALU_DEP_4)
	v_min_f32_e32 v56, v59, v56
	v_add_co_ci_u32_e32 v55, vcc_lo, v55, v77, vcc_lo
	global_store_b32 v[57:58], v56, off
	flat_load_b32 v54, v[54:55]
	s_waitcnt vmcnt(0) lgkmcnt(0)
	v_mul_f32_e32 v54, s18, v54
.LBB56_124:
	s_waitcnt lgkmcnt(3)
	v_dual_add_f32 v55, v33, v45 :: v_dual_add_f32 v56, v32, v44
	v_dual_add_f32 v49, v1, v49 :: v_dual_add_f32 v48, v0, v48
	;; [unrolled: 1-line block ×3, first 2 shown]
	s_delay_alu instid0(VALU_DEP_3) | instskip(SKIP_1) | instid1(VALU_DEP_4)
	v_min3_f32 v55, v56, v55, v113
	v_dual_add_f32 v59, v34, v46 :: v_dual_add_nc_u32 v56, 32, v111
	v_min3_f32 v57, v48, v49, v112
	s_delay_alu instid0(VALU_DEP_4) | instskip(SKIP_1) | instid1(VALU_DEP_4)
	v_min_f32_e32 v60, v50, v51
	v_add_f32_e32 v58, v35, v47
	v_mad_i64_i32 v[48:49], null, v56, s3, 0
	v_mad_i64_i32 v[50:51], null, v56, s0, 0
	s_delay_alu instid0(VALU_DEP_4)
	v_min3_f32 v57, v54, v60, v57
	v_add_co_u32 v54, vcc_lo, v52, v76
	v_min3_f32 v56, v59, v58, v55
	v_lshlrev_b64 v[48:49], 2, v[48:49]
	v_add_co_ci_u32_e32 v55, vcc_lo, v53, v77, vcc_lo
	v_lshlrev_b64 v[50:51], 2, v[50:51]
	s_delay_alu instid0(VALU_DEP_4) | instskip(NEXT) | instid1(VALU_DEP_4)
	v_max_f32_e32 v52, v56, v56
	v_add_co_u32 v48, vcc_lo, s1, v48
	v_add_co_ci_u32_e32 v49, vcc_lo, s6, v49, vcc_lo
	s_delay_alu instid0(VALU_DEP_4)
	v_add_co_u32 v50, vcc_lo, s4, v50
	v_add_co_ci_u32_e32 v51, vcc_lo, s5, v51, vcc_lo
	s_mov_b32 vcc_lo, s2
	global_store_b32 v[54:55], v57, off
	s_cbranch_vccz .LBB56_127
; %bb.125:
	v_add_co_u32 v53, vcc_lo, v48, v66
	v_min_f32_e32 v55, 0, v52
	v_add_co_ci_u32_e32 v54, vcc_lo, v49, v67, vcc_lo
	s_mov_b32 s7, 0
	global_store_b32 v[53:54], v55, off
	s_cbranch_execz .LBB56_128
; %bb.126:
	v_mov_b32_e32 v52, s7
	s_branch .LBB56_129
.LBB56_127:
	s_mov_b32 s7, -1
.LBB56_128:
	v_add_co_u32 v53, vcc_lo, v50, v66
	v_add_co_ci_u32_e32 v54, vcc_lo, v51, v67, vcc_lo
	flat_load_b32 v53, v[53:54]
	s_waitcnt vmcnt(0) lgkmcnt(0)
	v_mul_f32_e32 v55, s18, v53
	v_add_co_u32 v53, vcc_lo, v48, v66
	v_add_co_ci_u32_e32 v54, vcc_lo, v49, v67, vcc_lo
	s_delay_alu instid0(VALU_DEP_3)
	v_min_f32_e32 v52, v55, v52
	v_add_co_u32 v55, vcc_lo, v50, v64
	v_add_co_ci_u32_e32 v56, vcc_lo, v51, v65, vcc_lo
	global_store_b32 v[53:54], v52, off
	flat_load_b32 v52, v[55:56]
	s_waitcnt vmcnt(0) lgkmcnt(0)
	v_mul_f32_e32 v52, s18, v52
.LBB56_129:
	v_dual_add_f32 v53, v29, v45 :: v_dual_add_f32 v54, v28, v44
	v_dual_add_f32 v55, v25, v45 :: v_dual_add_f32 v56, v24, v44
	v_dual_add_f32 v57, v31, v47 :: v_dual_add_f32 v58, v30, v46
	s_delay_alu instid0(VALU_DEP_3) | instskip(NEXT) | instid1(VALU_DEP_3)
	v_min3_f32 v53, v54, v53, v109
	v_min3_f32 v54, v56, v55, v110
	v_dual_add_f32 v55, v27, v47 :: v_dual_add_f32 v56, v26, v46
	s_delay_alu instid0(VALU_DEP_1) | instskip(SKIP_1) | instid1(VALU_DEP_1)
	v_min3_f32 v55, v56, v55, v54
	v_min_f32_e32 v57, v58, v57
	v_min3_f32 v56, v52, v57, v53
	s_delay_alu instid0(VALU_DEP_3)
	v_max_f32_e32 v52, v55, v55
	v_add_co_u32 v53, vcc_lo, v48, v64
	v_add_co_ci_u32_e32 v54, vcc_lo, v49, v65, vcc_lo
	s_mov_b32 vcc_lo, s2
	global_store_b32 v[53:54], v56, off
	s_cbranch_vccz .LBB56_132
; %bb.130:
	v_add_co_u32 v53, vcc_lo, v48, v70
	v_min_f32_e32 v55, 0, v52
	v_add_co_ci_u32_e32 v54, vcc_lo, v49, v71, vcc_lo
	s_mov_b32 s7, 0
	global_store_b32 v[53:54], v55, off
	s_cbranch_execz .LBB56_133
; %bb.131:
	v_mov_b32_e32 v52, s7
	s_branch .LBB56_134
.LBB56_132:
	s_mov_b32 s7, -1
.LBB56_133:
	v_add_co_u32 v53, vcc_lo, v50, v70
	v_add_co_ci_u32_e32 v54, vcc_lo, v51, v71, vcc_lo
	flat_load_b32 v53, v[53:54]
	s_waitcnt vmcnt(0) lgkmcnt(0)
	v_mul_f32_e32 v55, s18, v53
	v_add_co_u32 v53, vcc_lo, v48, v70
	v_add_co_ci_u32_e32 v54, vcc_lo, v49, v71, vcc_lo
	s_delay_alu instid0(VALU_DEP_3)
	v_min_f32_e32 v52, v55, v52
	v_add_co_u32 v55, vcc_lo, v50, v68
	v_add_co_ci_u32_e32 v56, vcc_lo, v51, v69, vcc_lo
	global_store_b32 v[53:54], v52, off
	flat_load_b32 v52, v[55:56]
	s_waitcnt vmcnt(0) lgkmcnt(0)
	v_mul_f32_e32 v52, s18, v52
.LBB56_134:
	v_dual_add_f32 v53, v21, v45 :: v_dual_add_f32 v54, v20, v44
	v_dual_add_f32 v55, v17, v45 :: v_dual_add_f32 v56, v16, v44
	v_dual_add_f32 v57, v23, v47 :: v_dual_add_f32 v58, v22, v46
	s_delay_alu instid0(VALU_DEP_3) | instskip(NEXT) | instid1(VALU_DEP_3)
	v_min3_f32 v53, v54, v53, v107
	v_min3_f32 v54, v56, v55, v108
	v_dual_add_f32 v55, v19, v47 :: v_dual_add_f32 v56, v18, v46
	s_delay_alu instid0(VALU_DEP_1) | instskip(SKIP_1) | instid1(VALU_DEP_1)
	v_min3_f32 v55, v56, v55, v54
	v_min_f32_e32 v57, v58, v57
	v_min3_f32 v56, v52, v57, v53
	s_delay_alu instid0(VALU_DEP_3)
	v_max_f32_e32 v52, v55, v55
	v_add_co_u32 v53, vcc_lo, v48, v68
	v_add_co_ci_u32_e32 v54, vcc_lo, v49, v69, vcc_lo
	s_mov_b32 vcc_lo, s2
	global_store_b32 v[53:54], v56, off
	s_cbranch_vccz .LBB56_137
; %bb.135:
	v_add_co_u32 v53, vcc_lo, v48, v74
	v_min_f32_e32 v55, 0, v52
	v_add_co_ci_u32_e32 v54, vcc_lo, v49, v75, vcc_lo
	s_mov_b32 s7, 0
	global_store_b32 v[53:54], v55, off
	s_cbranch_execz .LBB56_138
; %bb.136:
	v_mov_b32_e32 v52, s7
	s_branch .LBB56_139
.LBB56_137:
	s_mov_b32 s7, -1
.LBB56_138:
	v_add_co_u32 v53, vcc_lo, v50, v74
	v_add_co_ci_u32_e32 v54, vcc_lo, v51, v75, vcc_lo
	flat_load_b32 v53, v[53:54]
	s_waitcnt vmcnt(0) lgkmcnt(0)
	v_mul_f32_e32 v55, s18, v53
	v_add_co_u32 v53, vcc_lo, v48, v74
	v_add_co_ci_u32_e32 v54, vcc_lo, v49, v75, vcc_lo
	s_delay_alu instid0(VALU_DEP_3)
	v_min_f32_e32 v52, v55, v52
	v_add_co_u32 v55, vcc_lo, v50, v72
	v_add_co_ci_u32_e32 v56, vcc_lo, v51, v73, vcc_lo
	global_store_b32 v[53:54], v52, off
	flat_load_b32 v52, v[55:56]
	s_waitcnt vmcnt(0) lgkmcnt(0)
	v_mul_f32_e32 v52, s18, v52
.LBB56_139:
	v_dual_add_f32 v53, v13, v45 :: v_dual_add_f32 v54, v12, v44
	v_dual_add_f32 v55, v9, v45 :: v_dual_add_f32 v56, v8, v44
	v_dual_add_f32 v57, v15, v47 :: v_dual_add_f32 v58, v14, v46
	s_delay_alu instid0(VALU_DEP_3) | instskip(NEXT) | instid1(VALU_DEP_3)
	v_min3_f32 v53, v54, v53, v106
	v_min3_f32 v54, v56, v55, v105
	v_dual_add_f32 v55, v11, v47 :: v_dual_add_f32 v56, v10, v46
	s_delay_alu instid0(VALU_DEP_1) | instskip(SKIP_1) | instid1(VALU_DEP_1)
	v_min3_f32 v55, v56, v55, v54
	v_min_f32_e32 v57, v58, v57
	v_min3_f32 v56, v52, v57, v53
	s_delay_alu instid0(VALU_DEP_3)
	v_max_f32_e32 v52, v55, v55
	v_add_co_u32 v53, vcc_lo, v48, v72
	v_add_co_ci_u32_e32 v54, vcc_lo, v49, v73, vcc_lo
	s_mov_b32 vcc_lo, s2
	global_store_b32 v[53:54], v56, off
	s_cbranch_vccz .LBB56_142
; %bb.140:
	v_add_co_u32 v53, vcc_lo, v48, v78
	v_min_f32_e32 v55, 0, v52
	v_add_co_ci_u32_e32 v54, vcc_lo, v49, v79, vcc_lo
	s_mov_b32 s7, 0
	global_store_b32 v[53:54], v55, off
	s_cbranch_execz .LBB56_143
; %bb.141:
	v_mov_b32_e32 v50, s7
	s_branch .LBB56_144
.LBB56_142:
	s_mov_b32 s7, -1
.LBB56_143:
	v_add_co_u32 v53, vcc_lo, v50, v78
	v_add_co_ci_u32_e32 v54, vcc_lo, v51, v79, vcc_lo
	flat_load_b32 v53, v[53:54]
	s_waitcnt vmcnt(0) lgkmcnt(0)
	v_mul_f32_e32 v55, s18, v53
	v_add_co_u32 v53, vcc_lo, v48, v78
	v_add_co_ci_u32_e32 v54, vcc_lo, v49, v79, vcc_lo
	v_add_co_u32 v50, vcc_lo, v50, v76
	s_delay_alu instid0(VALU_DEP_4)
	v_min_f32_e32 v52, v55, v52
	v_add_co_ci_u32_e32 v51, vcc_lo, v51, v77, vcc_lo
	global_store_b32 v[53:54], v52, off
	flat_load_b32 v50, v[50:51]
	s_waitcnt vmcnt(0) lgkmcnt(0)
	v_mul_f32_e32 v50, s18, v50
.LBB56_144:
	s_waitcnt lgkmcnt(2)
	v_dual_add_f32 v51, v33, v41 :: v_dual_add_f32 v52, v32, v40
	v_dual_add_f32 v45, v1, v45 :: v_dual_add_f32 v44, v0, v44
	;; [unrolled: 1-line block ×3, first 2 shown]
	s_delay_alu instid0(VALU_DEP_3) | instskip(SKIP_1) | instid1(VALU_DEP_4)
	v_min3_f32 v51, v52, v51, v104
	v_dual_add_f32 v55, v34, v42 :: v_dual_add_nc_u32 v52, 40, v111
	v_min3_f32 v53, v44, v45, v103
	s_delay_alu instid0(VALU_DEP_4) | instskip(SKIP_1) | instid1(VALU_DEP_4)
	v_min_f32_e32 v56, v46, v47
	v_add_f32_e32 v54, v35, v43
	v_mad_i64_i32 v[44:45], null, v52, s3, 0
	v_mad_i64_i32 v[46:47], null, v52, s0, 0
	s_delay_alu instid0(VALU_DEP_4)
	v_min3_f32 v53, v50, v56, v53
	v_add_co_u32 v50, vcc_lo, v48, v76
	v_min3_f32 v52, v55, v54, v51
	v_lshlrev_b64 v[44:45], 2, v[44:45]
	v_add_co_ci_u32_e32 v51, vcc_lo, v49, v77, vcc_lo
	v_lshlrev_b64 v[46:47], 2, v[46:47]
	s_delay_alu instid0(VALU_DEP_4) | instskip(NEXT) | instid1(VALU_DEP_4)
	v_max_f32_e32 v48, v52, v52
	v_add_co_u32 v44, vcc_lo, s1, v44
	v_add_co_ci_u32_e32 v45, vcc_lo, s6, v45, vcc_lo
	s_delay_alu instid0(VALU_DEP_4)
	v_add_co_u32 v46, vcc_lo, s4, v46
	v_add_co_ci_u32_e32 v47, vcc_lo, s5, v47, vcc_lo
	s_mov_b32 vcc_lo, s2
	global_store_b32 v[50:51], v53, off
	s_cbranch_vccz .LBB56_147
; %bb.145:
	v_add_co_u32 v49, vcc_lo, v44, v66
	v_min_f32_e32 v51, 0, v48
	v_add_co_ci_u32_e32 v50, vcc_lo, v45, v67, vcc_lo
	s_mov_b32 s7, 0
	global_store_b32 v[49:50], v51, off
	s_cbranch_execz .LBB56_148
; %bb.146:
	v_mov_b32_e32 v48, s7
	s_branch .LBB56_149
.LBB56_147:
	s_mov_b32 s7, -1
.LBB56_148:
	v_add_co_u32 v49, vcc_lo, v46, v66
	v_add_co_ci_u32_e32 v50, vcc_lo, v47, v67, vcc_lo
	flat_load_b32 v49, v[49:50]
	s_waitcnt vmcnt(0) lgkmcnt(0)
	v_mul_f32_e32 v51, s18, v49
	v_add_co_u32 v49, vcc_lo, v44, v66
	v_add_co_ci_u32_e32 v50, vcc_lo, v45, v67, vcc_lo
	s_delay_alu instid0(VALU_DEP_3)
	v_min_f32_e32 v48, v51, v48
	v_add_co_u32 v51, vcc_lo, v46, v64
	v_add_co_ci_u32_e32 v52, vcc_lo, v47, v65, vcc_lo
	global_store_b32 v[49:50], v48, off
	flat_load_b32 v48, v[51:52]
	s_waitcnt vmcnt(0) lgkmcnt(0)
	v_mul_f32_e32 v48, s18, v48
.LBB56_149:
	v_dual_add_f32 v49, v29, v41 :: v_dual_add_f32 v50, v28, v40
	v_dual_add_f32 v51, v25, v41 :: v_dual_add_f32 v52, v24, v40
	v_dual_add_f32 v53, v31, v43 :: v_dual_add_f32 v54, v30, v42
	s_delay_alu instid0(VALU_DEP_3) | instskip(NEXT) | instid1(VALU_DEP_3)
	v_min3_f32 v49, v50, v49, v101
	v_min3_f32 v50, v52, v51, v102
	v_dual_add_f32 v51, v27, v43 :: v_dual_add_f32 v52, v26, v42
	s_delay_alu instid0(VALU_DEP_1) | instskip(SKIP_1) | instid1(VALU_DEP_1)
	v_min3_f32 v51, v52, v51, v50
	v_min_f32_e32 v53, v54, v53
	v_min3_f32 v52, v48, v53, v49
	s_delay_alu instid0(VALU_DEP_3)
	v_max_f32_e32 v48, v51, v51
	v_add_co_u32 v49, vcc_lo, v44, v64
	v_add_co_ci_u32_e32 v50, vcc_lo, v45, v65, vcc_lo
	s_mov_b32 vcc_lo, s2
	global_store_b32 v[49:50], v52, off
	s_cbranch_vccz .LBB56_152
; %bb.150:
	v_add_co_u32 v49, vcc_lo, v44, v70
	v_min_f32_e32 v51, 0, v48
	v_add_co_ci_u32_e32 v50, vcc_lo, v45, v71, vcc_lo
	s_mov_b32 s7, 0
	global_store_b32 v[49:50], v51, off
	s_cbranch_execz .LBB56_153
; %bb.151:
	v_mov_b32_e32 v48, s7
	s_branch .LBB56_154
.LBB56_152:
	s_mov_b32 s7, -1
.LBB56_153:
	v_add_co_u32 v49, vcc_lo, v46, v70
	v_add_co_ci_u32_e32 v50, vcc_lo, v47, v71, vcc_lo
	flat_load_b32 v49, v[49:50]
	s_waitcnt vmcnt(0) lgkmcnt(0)
	v_mul_f32_e32 v51, s18, v49
	v_add_co_u32 v49, vcc_lo, v44, v70
	v_add_co_ci_u32_e32 v50, vcc_lo, v45, v71, vcc_lo
	s_delay_alu instid0(VALU_DEP_3)
	v_min_f32_e32 v48, v51, v48
	v_add_co_u32 v51, vcc_lo, v46, v68
	v_add_co_ci_u32_e32 v52, vcc_lo, v47, v69, vcc_lo
	global_store_b32 v[49:50], v48, off
	flat_load_b32 v48, v[51:52]
	s_waitcnt vmcnt(0) lgkmcnt(0)
	v_mul_f32_e32 v48, s18, v48
.LBB56_154:
	v_dual_add_f32 v49, v21, v41 :: v_dual_add_f32 v50, v20, v40
	v_dual_add_f32 v51, v17, v41 :: v_dual_add_f32 v52, v16, v40
	v_dual_add_f32 v53, v23, v43 :: v_dual_add_f32 v54, v22, v42
	s_delay_alu instid0(VALU_DEP_3) | instskip(NEXT) | instid1(VALU_DEP_3)
	v_min3_f32 v49, v50, v49, v99
	v_min3_f32 v50, v52, v51, v100
	v_dual_add_f32 v51, v19, v43 :: v_dual_add_f32 v52, v18, v42
	s_delay_alu instid0(VALU_DEP_1) | instskip(SKIP_1) | instid1(VALU_DEP_1)
	v_min3_f32 v51, v52, v51, v50
	v_min_f32_e32 v53, v54, v53
	v_min3_f32 v52, v48, v53, v49
	s_delay_alu instid0(VALU_DEP_3)
	v_max_f32_e32 v48, v51, v51
	;; [unrolled: 47-line block ×3, first 2 shown]
	v_add_co_u32 v49, vcc_lo, v44, v72
	v_add_co_ci_u32_e32 v50, vcc_lo, v45, v73, vcc_lo
	s_mov_b32 vcc_lo, s2
	global_store_b32 v[49:50], v52, off
	s_cbranch_vccz .LBB56_162
; %bb.160:
	v_add_co_u32 v49, vcc_lo, v44, v78
	v_min_f32_e32 v51, 0, v48
	v_add_co_ci_u32_e32 v50, vcc_lo, v45, v79, vcc_lo
	s_mov_b32 s7, 0
	global_store_b32 v[49:50], v51, off
	s_cbranch_execz .LBB56_163
; %bb.161:
	v_mov_b32_e32 v46, s7
	s_branch .LBB56_164
.LBB56_162:
	s_mov_b32 s7, -1
.LBB56_163:
	v_add_co_u32 v49, vcc_lo, v46, v78
	v_add_co_ci_u32_e32 v50, vcc_lo, v47, v79, vcc_lo
	flat_load_b32 v49, v[49:50]
	s_waitcnt vmcnt(0) lgkmcnt(0)
	v_mul_f32_e32 v51, s18, v49
	v_add_co_u32 v49, vcc_lo, v44, v78
	v_add_co_ci_u32_e32 v50, vcc_lo, v45, v79, vcc_lo
	v_add_co_u32 v46, vcc_lo, v46, v76
	s_delay_alu instid0(VALU_DEP_4)
	v_min_f32_e32 v48, v51, v48
	v_add_co_ci_u32_e32 v47, vcc_lo, v47, v77, vcc_lo
	global_store_b32 v[49:50], v48, off
	flat_load_b32 v46, v[46:47]
	s_waitcnt vmcnt(0) lgkmcnt(0)
	v_mul_f32_e32 v46, s18, v46
.LBB56_164:
	s_waitcnt lgkmcnt(1)
	v_dual_add_f32 v47, v33, v37 :: v_dual_add_f32 v48, v32, v36
	v_dual_add_f32 v41, v1, v41 :: v_dual_add_f32 v40, v0, v40
	;; [unrolled: 1-line block ×3, first 2 shown]
	s_delay_alu instid0(VALU_DEP_3) | instskip(SKIP_1) | instid1(VALU_DEP_4)
	v_min3_f32 v47, v48, v47, v95
	v_dual_add_f32 v51, v34, v38 :: v_dual_add_nc_u32 v48, 48, v111
	v_min3_f32 v49, v40, v41, v96
	s_delay_alu instid0(VALU_DEP_4) | instskip(SKIP_1) | instid1(VALU_DEP_4)
	v_min_f32_e32 v52, v42, v43
	v_add_f32_e32 v50, v35, v39
	v_mad_i64_i32 v[40:41], null, v48, s3, 0
	v_mad_i64_i32 v[42:43], null, v48, s0, 0
	s_delay_alu instid0(VALU_DEP_4)
	v_min3_f32 v49, v46, v52, v49
	v_add_co_u32 v46, vcc_lo, v44, v76
	v_min3_f32 v48, v51, v50, v47
	v_lshlrev_b64 v[40:41], 2, v[40:41]
	v_add_co_ci_u32_e32 v47, vcc_lo, v45, v77, vcc_lo
	v_lshlrev_b64 v[42:43], 2, v[42:43]
	s_delay_alu instid0(VALU_DEP_4) | instskip(NEXT) | instid1(VALU_DEP_4)
	v_max_f32_e32 v44, v48, v48
	v_add_co_u32 v40, vcc_lo, s1, v40
	v_add_co_ci_u32_e32 v41, vcc_lo, s6, v41, vcc_lo
	s_delay_alu instid0(VALU_DEP_4)
	v_add_co_u32 v42, vcc_lo, s4, v42
	v_add_co_ci_u32_e32 v43, vcc_lo, s5, v43, vcc_lo
	s_mov_b32 vcc_lo, s2
	global_store_b32 v[46:47], v49, off
	s_cbranch_vccz .LBB56_167
; %bb.165:
	v_add_co_u32 v45, vcc_lo, v40, v66
	v_min_f32_e32 v47, 0, v44
	v_add_co_ci_u32_e32 v46, vcc_lo, v41, v67, vcc_lo
	s_mov_b32 s7, 0
	global_store_b32 v[45:46], v47, off
	s_cbranch_execz .LBB56_168
; %bb.166:
	v_mov_b32_e32 v44, s7
	s_branch .LBB56_169
.LBB56_167:
	s_mov_b32 s7, -1
.LBB56_168:
	v_add_co_u32 v45, vcc_lo, v42, v66
	v_add_co_ci_u32_e32 v46, vcc_lo, v43, v67, vcc_lo
	flat_load_b32 v45, v[45:46]
	s_waitcnt vmcnt(0) lgkmcnt(0)
	v_mul_f32_e32 v47, s18, v45
	v_add_co_u32 v45, vcc_lo, v40, v66
	v_add_co_ci_u32_e32 v46, vcc_lo, v41, v67, vcc_lo
	s_delay_alu instid0(VALU_DEP_3)
	v_min_f32_e32 v44, v47, v44
	v_add_co_u32 v47, vcc_lo, v42, v64
	v_add_co_ci_u32_e32 v48, vcc_lo, v43, v65, vcc_lo
	global_store_b32 v[45:46], v44, off
	flat_load_b32 v44, v[47:48]
	s_waitcnt vmcnt(0) lgkmcnt(0)
	v_mul_f32_e32 v44, s18, v44
.LBB56_169:
	v_dual_add_f32 v45, v29, v37 :: v_dual_add_f32 v46, v28, v36
	v_dual_add_f32 v47, v25, v37 :: v_dual_add_f32 v48, v24, v36
	v_dual_add_f32 v49, v31, v39 :: v_dual_add_f32 v50, v30, v38
	s_delay_alu instid0(VALU_DEP_3) | instskip(NEXT) | instid1(VALU_DEP_3)
	v_min3_f32 v45, v46, v45, v93
	v_min3_f32 v46, v48, v47, v94
	v_dual_add_f32 v47, v27, v39 :: v_dual_add_f32 v48, v26, v38
	s_delay_alu instid0(VALU_DEP_1) | instskip(SKIP_1) | instid1(VALU_DEP_1)
	v_min3_f32 v47, v48, v47, v46
	v_min_f32_e32 v49, v50, v49
	v_min3_f32 v48, v44, v49, v45
	s_delay_alu instid0(VALU_DEP_3)
	v_max_f32_e32 v44, v47, v47
	v_add_co_u32 v45, vcc_lo, v40, v64
	v_add_co_ci_u32_e32 v46, vcc_lo, v41, v65, vcc_lo
	s_mov_b32 vcc_lo, s2
	global_store_b32 v[45:46], v48, off
	s_cbranch_vccz .LBB56_172
; %bb.170:
	v_add_co_u32 v45, vcc_lo, v40, v70
	v_min_f32_e32 v47, 0, v44
	v_add_co_ci_u32_e32 v46, vcc_lo, v41, v71, vcc_lo
	s_mov_b32 s7, 0
	global_store_b32 v[45:46], v47, off
	s_cbranch_execz .LBB56_173
; %bb.171:
	v_mov_b32_e32 v44, s7
	s_branch .LBB56_174
.LBB56_172:
	s_mov_b32 s7, -1
.LBB56_173:
	v_add_co_u32 v45, vcc_lo, v42, v70
	v_add_co_ci_u32_e32 v46, vcc_lo, v43, v71, vcc_lo
	flat_load_b32 v45, v[45:46]
	s_waitcnt vmcnt(0) lgkmcnt(0)
	v_mul_f32_e32 v47, s18, v45
	v_add_co_u32 v45, vcc_lo, v40, v70
	v_add_co_ci_u32_e32 v46, vcc_lo, v41, v71, vcc_lo
	s_delay_alu instid0(VALU_DEP_3)
	v_min_f32_e32 v44, v47, v44
	v_add_co_u32 v47, vcc_lo, v42, v68
	v_add_co_ci_u32_e32 v48, vcc_lo, v43, v69, vcc_lo
	global_store_b32 v[45:46], v44, off
	flat_load_b32 v44, v[47:48]
	s_waitcnt vmcnt(0) lgkmcnt(0)
	v_mul_f32_e32 v44, s18, v44
.LBB56_174:
	v_dual_add_f32 v45, v21, v37 :: v_dual_add_f32 v46, v20, v36
	v_dual_add_f32 v47, v17, v37 :: v_dual_add_f32 v48, v16, v36
	v_dual_add_f32 v49, v23, v39 :: v_dual_add_f32 v50, v22, v38
	s_delay_alu instid0(VALU_DEP_3) | instskip(NEXT) | instid1(VALU_DEP_3)
	v_min3_f32 v45, v46, v45, v91
	v_min3_f32 v46, v48, v47, v92
	v_dual_add_f32 v47, v19, v39 :: v_dual_add_f32 v48, v18, v38
	s_delay_alu instid0(VALU_DEP_1) | instskip(SKIP_1) | instid1(VALU_DEP_1)
	v_min3_f32 v47, v48, v47, v46
	v_min_f32_e32 v49, v50, v49
	v_min3_f32 v48, v44, v49, v45
	s_delay_alu instid0(VALU_DEP_3)
	v_max_f32_e32 v44, v47, v47
	;; [unrolled: 47-line block ×3, first 2 shown]
	v_add_co_u32 v45, vcc_lo, v40, v72
	v_add_co_ci_u32_e32 v46, vcc_lo, v41, v73, vcc_lo
	s_mov_b32 vcc_lo, s2
	global_store_b32 v[45:46], v48, off
	s_cbranch_vccz .LBB56_182
; %bb.180:
	v_add_co_u32 v45, vcc_lo, v40, v78
	v_min_f32_e32 v47, 0, v44
	v_add_co_ci_u32_e32 v46, vcc_lo, v41, v79, vcc_lo
	s_mov_b32 s7, 0
	global_store_b32 v[45:46], v47, off
	s_cbranch_execz .LBB56_183
; %bb.181:
	v_mov_b32_e32 v42, s7
	s_branch .LBB56_184
.LBB56_182:
	s_mov_b32 s7, -1
.LBB56_183:
	v_add_co_u32 v45, vcc_lo, v42, v78
	v_add_co_ci_u32_e32 v46, vcc_lo, v43, v79, vcc_lo
	flat_load_b32 v45, v[45:46]
	s_waitcnt vmcnt(0) lgkmcnt(0)
	v_mul_f32_e32 v47, s18, v45
	v_add_co_u32 v45, vcc_lo, v40, v78
	v_add_co_ci_u32_e32 v46, vcc_lo, v41, v79, vcc_lo
	v_add_co_u32 v42, vcc_lo, v42, v76
	s_delay_alu instid0(VALU_DEP_4)
	v_min_f32_e32 v44, v47, v44
	v_add_co_ci_u32_e32 v43, vcc_lo, v43, v77, vcc_lo
	global_store_b32 v[45:46], v44, off
	flat_load_b32 v42, v[42:43]
	s_waitcnt vmcnt(0) lgkmcnt(0)
	v_mul_f32_e32 v42, s18, v42
.LBB56_184:
	v_dual_add_f32 v37, v1, v37 :: v_dual_add_f32 v36, v0, v36
	s_waitcnt lgkmcnt(0)
	v_dual_add_f32 v33, v33, v5 :: v_dual_add_f32 v32, v32, v4
	v_dual_add_f32 v38, v2, v38 :: v_dual_add_nc_u32 v43, 56, v111
	s_delay_alu instid0(VALU_DEP_3) | instskip(SKIP_1) | instid1(VALU_DEP_4)
	v_min3_f32 v36, v36, v37, v87
	v_add_f32_e32 v39, v3, v39
	v_min3_f32 v37, v32, v33, v88
	s_delay_alu instid0(VALU_DEP_4) | instskip(SKIP_3) | instid1(VALU_DEP_4)
	v_mad_i64_i32 v[32:33], null, v43, s3, 0
	v_dual_add_f32 v44, v35, v7 :: v_dual_add_f32 v45, v34, v6
	v_mad_i64_i32 v[34:35], null, v43, s0, 0
	v_min_f32_e32 v38, v38, v39
	v_lshlrev_b64 v[32:33], 2, v[32:33]
	s_delay_alu instid0(VALU_DEP_4)
	v_min3_f32 v39, v45, v44, v37
	v_add_co_u32 v37, vcc_lo, v40, v76
	v_lshlrev_b64 v[34:35], 2, v[34:35]
	v_min3_f32 v42, v42, v38, v36
	v_add_co_ci_u32_e32 v38, vcc_lo, v41, v77, vcc_lo
	v_add_co_u32 v32, vcc_lo, s1, v32
	v_add_co_ci_u32_e32 v33, vcc_lo, s6, v33, vcc_lo
	v_add_co_u32 v34, vcc_lo, s4, v34
	v_add_co_ci_u32_e32 v35, vcc_lo, s5, v35, vcc_lo
	v_max_f32_e32 v36, v39, v39
	s_mov_b32 vcc_lo, s2
	global_store_b32 v[37:38], v42, off
	s_cbranch_vccz .LBB56_187
; %bb.185:
	v_add_co_u32 v37, vcc_lo, v32, v66
	v_min_f32_e32 v39, 0, v36
	v_add_co_ci_u32_e32 v38, vcc_lo, v33, v67, vcc_lo
	s_mov_b32 s0, 0
	global_store_b32 v[37:38], v39, off
	s_cbranch_execz .LBB56_188
; %bb.186:
	v_mov_b32_e32 v36, s0
	s_branch .LBB56_189
.LBB56_187:
	s_mov_b32 s0, -1
.LBB56_188:
	v_add_co_u32 v37, vcc_lo, v34, v66
	v_add_co_ci_u32_e32 v38, vcc_lo, v35, v67, vcc_lo
	flat_load_b32 v37, v[37:38]
	s_waitcnt vmcnt(0) lgkmcnt(0)
	v_mul_f32_e32 v39, s18, v37
	v_add_co_u32 v37, vcc_lo, v32, v66
	v_add_co_ci_u32_e32 v38, vcc_lo, v33, v67, vcc_lo
	s_delay_alu instid0(VALU_DEP_3)
	v_min_f32_e32 v36, v39, v36
	v_add_co_u32 v39, vcc_lo, v34, v64
	v_add_co_ci_u32_e32 v40, vcc_lo, v35, v65, vcc_lo
	global_store_b32 v[37:38], v36, off
	flat_load_b32 v36, v[39:40]
	s_waitcnt vmcnt(0) lgkmcnt(0)
	v_mul_f32_e32 v36, s18, v36
.LBB56_189:
	v_dual_add_f32 v25, v25, v5 :: v_dual_add_f32 v24, v24, v4
	v_dual_add_f32 v29, v29, v5 :: v_dual_add_f32 v28, v28, v4
	v_dual_add_f32 v31, v31, v7 :: v_dual_add_f32 v30, v30, v6
	s_delay_alu instid0(VALU_DEP_3) | instskip(SKIP_1) | instid1(VALU_DEP_4)
	v_min3_f32 v24, v24, v25, v85
	v_dual_add_f32 v25, v27, v7 :: v_dual_add_f32 v26, v26, v6
	v_min3_f32 v28, v28, v29, v86
	s_delay_alu instid0(VALU_DEP_2) | instskip(SKIP_3) | instid1(VALU_DEP_4)
	v_min3_f32 v24, v26, v25, v24
	v_min_f32_e32 v27, v30, v31
	v_add_co_u32 v25, vcc_lo, v32, v64
	v_add_co_ci_u32_e32 v26, vcc_lo, v33, v65, vcc_lo
	v_max_f32_e32 v24, v24, v24
	s_delay_alu instid0(VALU_DEP_4)
	v_min3_f32 v27, v36, v27, v28
	s_mov_b32 vcc_lo, s2
	global_store_b32 v[25:26], v27, off
	s_cbranch_vccz .LBB56_192
; %bb.190:
	v_add_co_u32 v25, vcc_lo, v32, v70
	v_min_f32_e32 v27, 0, v24
	v_add_co_ci_u32_e32 v26, vcc_lo, v33, v71, vcc_lo
	s_mov_b32 s0, 0
	global_store_b32 v[25:26], v27, off
	s_cbranch_execz .LBB56_193
; %bb.191:
	v_mov_b32_e32 v24, s0
	s_branch .LBB56_194
.LBB56_192:
	s_mov_b32 s0, -1
.LBB56_193:
	v_add_co_u32 v25, vcc_lo, v34, v70
	v_add_co_ci_u32_e32 v26, vcc_lo, v35, v71, vcc_lo
	flat_load_b32 v25, v[25:26]
	s_waitcnt vmcnt(0) lgkmcnt(0)
	v_mul_f32_e32 v27, s18, v25
	v_add_co_u32 v25, vcc_lo, v32, v70
	v_add_co_ci_u32_e32 v26, vcc_lo, v33, v71, vcc_lo
	s_delay_alu instid0(VALU_DEP_3)
	v_min_f32_e32 v24, v27, v24
	v_add_co_u32 v27, vcc_lo, v34, v68
	v_add_co_ci_u32_e32 v28, vcc_lo, v35, v69, vcc_lo
	global_store_b32 v[25:26], v24, off
	flat_load_b32 v24, v[27:28]
	s_waitcnt vmcnt(0) lgkmcnt(0)
	v_mul_f32_e32 v24, s18, v24
.LBB56_194:
	v_dual_add_f32 v17, v17, v5 :: v_dual_add_f32 v16, v16, v4
	v_dual_add_f32 v21, v21, v5 :: v_dual_add_f32 v20, v20, v4
	v_dual_add_f32 v23, v23, v7 :: v_dual_add_f32 v22, v22, v6
	s_delay_alu instid0(VALU_DEP_3) | instskip(SKIP_1) | instid1(VALU_DEP_4)
	v_min3_f32 v16, v16, v17, v84
	v_dual_add_f32 v17, v19, v7 :: v_dual_add_f32 v18, v18, v6
	v_min3_f32 v20, v20, v21, v83
	s_delay_alu instid0(VALU_DEP_2) | instskip(SKIP_3) | instid1(VALU_DEP_4)
	v_min3_f32 v16, v18, v17, v16
	v_min_f32_e32 v19, v22, v23
	v_add_co_u32 v17, vcc_lo, v32, v68
	v_add_co_ci_u32_e32 v18, vcc_lo, v33, v69, vcc_lo
	v_max_f32_e32 v16, v16, v16
	s_delay_alu instid0(VALU_DEP_4)
	v_min3_f32 v19, v24, v19, v20
	;; [unrolled: 47-line block ×3, first 2 shown]
	s_mov_b32 vcc_lo, s2
	global_store_b32 v[9:10], v11, off
	s_cbranch_vccz .LBB56_202
; %bb.200:
	v_add_co_u32 v9, vcc_lo, v32, v78
	v_min_f32_e32 v11, 0, v8
	v_add_co_ci_u32_e32 v10, vcc_lo, v33, v79, vcc_lo
	s_mov_b32 s0, 0
	global_store_b32 v[9:10], v11, off
	s_cbranch_execz .LBB56_203
; %bb.201:
	v_mov_b32_e32 v8, s0
	s_branch .LBB56_204
.LBB56_202:
	s_mov_b32 s0, -1
.LBB56_203:
	v_add_co_u32 v9, vcc_lo, v34, v78
	v_add_co_ci_u32_e32 v10, vcc_lo, v35, v79, vcc_lo
	flat_load_b32 v9, v[9:10]
	s_waitcnt vmcnt(0) lgkmcnt(0)
	v_mul_f32_e32 v11, s18, v9
	v_add_co_u32 v9, vcc_lo, v32, v78
	v_add_co_ci_u32_e32 v10, vcc_lo, v33, v79, vcc_lo
	s_delay_alu instid0(VALU_DEP_3)
	v_min_f32_e32 v8, v11, v8
	v_add_co_u32 v11, vcc_lo, v34, v76
	v_add_co_ci_u32_e32 v12, vcc_lo, v35, v77, vcc_lo
	global_store_b32 v[9:10], v8, off
	flat_load_b32 v8, v[11:12]
	s_waitcnt vmcnt(0) lgkmcnt(0)
	v_mul_f32_e32 v8, s18, v8
.LBB56_204:
	v_dual_add_f32 v3, v3, v7 :: v_dual_add_f32 v2, v2, v6
	v_dual_add_f32 v1, v1, v5 :: v_dual_add_f32 v0, v0, v4
	s_delay_alu instid0(VALU_DEP_2) | instskip(NEXT) | instid1(VALU_DEP_2)
	v_min_f32_e32 v2, v2, v3
	v_min3_f32 v0, v0, v1, v80
	s_delay_alu instid0(VALU_DEP_1)
	v_min3_f32 v2, v8, v2, v0
	v_add_co_u32 v0, vcc_lo, v32, v76
	v_add_co_ci_u32_e32 v1, vcc_lo, v33, v77, vcc_lo
	global_store_b32 v[0:1], v2, off
	s_nop 0
	s_sendmsg sendmsg(MSG_DEALLOC_VGPRS)
	s_endpgm
	.section	.rodata,"a",@progbits
	.p2align	6, 0x0
	.amdhsa_kernel _ZN12_GLOBAL__N_120geam_min_plus_kernelIf15HIP_vector_typeIfLj2EEfLi32ELi8ELi256ELi64ELi4ELi64ELi4ELi4ELi64ELc78ELc78ELb0ELb0ELb1EfKffEEviiiT16_PT17_ilS6_ilS4_S6_ilPT18_ili26rocblas_geam_ex_operation_
		.amdhsa_group_segment_fixed_size 10240
		.amdhsa_private_segment_fixed_size 80
		.amdhsa_kernarg_size 128
		.amdhsa_user_sgpr_count 14
		.amdhsa_user_sgpr_dispatch_ptr 0
		.amdhsa_user_sgpr_queue_ptr 0
		.amdhsa_user_sgpr_kernarg_segment_ptr 1
		.amdhsa_user_sgpr_dispatch_id 0
		.amdhsa_user_sgpr_private_segment_size 0
		.amdhsa_wavefront_size32 1
		.amdhsa_uses_dynamic_stack 0
		.amdhsa_enable_private_segment 1
		.amdhsa_system_sgpr_workgroup_id_x 1
		.amdhsa_system_sgpr_workgroup_id_y 0
		.amdhsa_system_sgpr_workgroup_id_z 1
		.amdhsa_system_sgpr_workgroup_info 0
		.amdhsa_system_vgpr_workitem_id 1
		.amdhsa_next_free_vgpr 256
		.amdhsa_next_free_sgpr 25
		.amdhsa_reserve_vcc 1
		.amdhsa_float_round_mode_32 0
		.amdhsa_float_round_mode_16_64 0
		.amdhsa_float_denorm_mode_32 3
		.amdhsa_float_denorm_mode_16_64 3
		.amdhsa_dx10_clamp 1
		.amdhsa_ieee_mode 1
		.amdhsa_fp16_overflow 0
		.amdhsa_workgroup_processor_mode 1
		.amdhsa_memory_ordered 1
		.amdhsa_forward_progress 0
		.amdhsa_shared_vgpr_count 0
		.amdhsa_exception_fp_ieee_invalid_op 0
		.amdhsa_exception_fp_denorm_src 0
		.amdhsa_exception_fp_ieee_div_zero 0
		.amdhsa_exception_fp_ieee_overflow 0
		.amdhsa_exception_fp_ieee_underflow 0
		.amdhsa_exception_fp_ieee_inexact 0
		.amdhsa_exception_int_div_zero 0
	.end_amdhsa_kernel
	.section	.text._ZN12_GLOBAL__N_120geam_min_plus_kernelIf15HIP_vector_typeIfLj2EEfLi32ELi8ELi256ELi64ELi4ELi64ELi4ELi4ELi64ELc78ELc78ELb0ELb0ELb1EfKffEEviiiT16_PT17_ilS6_ilS4_S6_ilPT18_ili26rocblas_geam_ex_operation_,"axG",@progbits,_ZN12_GLOBAL__N_120geam_min_plus_kernelIf15HIP_vector_typeIfLj2EEfLi32ELi8ELi256ELi64ELi4ELi64ELi4ELi4ELi64ELc78ELc78ELb0ELb0ELb1EfKffEEviiiT16_PT17_ilS6_ilS4_S6_ilPT18_ili26rocblas_geam_ex_operation_,comdat
.Lfunc_end56:
	.size	_ZN12_GLOBAL__N_120geam_min_plus_kernelIf15HIP_vector_typeIfLj2EEfLi32ELi8ELi256ELi64ELi4ELi64ELi4ELi4ELi64ELc78ELc78ELb0ELb0ELb1EfKffEEviiiT16_PT17_ilS6_ilS4_S6_ilPT18_ili26rocblas_geam_ex_operation_, .Lfunc_end56-_ZN12_GLOBAL__N_120geam_min_plus_kernelIf15HIP_vector_typeIfLj2EEfLi32ELi8ELi256ELi64ELi4ELi64ELi4ELi4ELi64ELc78ELc78ELb0ELb0ELb1EfKffEEviiiT16_PT17_ilS6_ilS4_S6_ilPT18_ili26rocblas_geam_ex_operation_
                                        ; -- End function
	.section	.AMDGPU.csdata,"",@progbits
; Kernel info:
; codeLenInByte = 18068
; NumSgprs: 27
; NumVgprs: 256
; ScratchSize: 80
; MemoryBound: 0
; FloatMode: 240
; IeeeMode: 1
; LDSByteSize: 10240 bytes/workgroup (compile time only)
; SGPRBlocks: 3
; VGPRBlocks: 31
; NumSGPRsForWavesPerEU: 27
; NumVGPRsForWavesPerEU: 256
; Occupancy: 5
; WaveLimiterHint : 1
; COMPUTE_PGM_RSRC2:SCRATCH_EN: 1
; COMPUTE_PGM_RSRC2:USER_SGPR: 14
; COMPUTE_PGM_RSRC2:TRAP_HANDLER: 0
; COMPUTE_PGM_RSRC2:TGID_X_EN: 1
; COMPUTE_PGM_RSRC2:TGID_Y_EN: 0
; COMPUTE_PGM_RSRC2:TGID_Z_EN: 1
; COMPUTE_PGM_RSRC2:TIDIG_COMP_CNT: 1
	.section	.text._ZN12_GLOBAL__N_120geam_min_plus_kernelIf15HIP_vector_typeIfLj2EEfLi32ELi8ELi256ELi64ELi4ELi64ELi4ELi4ELi64ELc78ELc78ELb0ELb1ELb1EPKfS3_fEEviiiT16_PT17_ilS7_ilS5_S7_ilPT18_ili26rocblas_geam_ex_operation_,"axG",@progbits,_ZN12_GLOBAL__N_120geam_min_plus_kernelIf15HIP_vector_typeIfLj2EEfLi32ELi8ELi256ELi64ELi4ELi64ELi4ELi4ELi64ELc78ELc78ELb0ELb1ELb1EPKfS3_fEEviiiT16_PT17_ilS7_ilS5_S7_ilPT18_ili26rocblas_geam_ex_operation_,comdat
	.globl	_ZN12_GLOBAL__N_120geam_min_plus_kernelIf15HIP_vector_typeIfLj2EEfLi32ELi8ELi256ELi64ELi4ELi64ELi4ELi4ELi64ELc78ELc78ELb0ELb1ELb1EPKfS3_fEEviiiT16_PT17_ilS7_ilS5_S7_ilPT18_ili26rocblas_geam_ex_operation_ ; -- Begin function _ZN12_GLOBAL__N_120geam_min_plus_kernelIf15HIP_vector_typeIfLj2EEfLi32ELi8ELi256ELi64ELi4ELi64ELi4ELi4ELi64ELc78ELc78ELb0ELb1ELb1EPKfS3_fEEviiiT16_PT17_ilS7_ilS5_S7_ilPT18_ili26rocblas_geam_ex_operation_
	.p2align	8
	.type	_ZN12_GLOBAL__N_120geam_min_plus_kernelIf15HIP_vector_typeIfLj2EEfLi32ELi8ELi256ELi64ELi4ELi64ELi4ELi4ELi64ELc78ELc78ELb0ELb1ELb1EPKfS3_fEEviiiT16_PT17_ilS7_ilS5_S7_ilPT18_ili26rocblas_geam_ex_operation_,@function
_ZN12_GLOBAL__N_120geam_min_plus_kernelIf15HIP_vector_typeIfLj2EEfLi32ELi8ELi256ELi64ELi4ELi64ELi4ELi4ELi64ELc78ELc78ELb0ELb1ELb1EPKfS3_fEEviiiT16_PT17_ilS7_ilS5_S7_ilPT18_ili26rocblas_geam_ex_operation_: ; @_ZN12_GLOBAL__N_120geam_min_plus_kernelIf15HIP_vector_typeIfLj2EEfLi32ELi8ELi256ELi64ELi4ELi64ELi4ELi4ELi64ELc78ELc78ELb0ELb1ELb1EPKfS3_fEEviiiT16_PT17_ilS7_ilS5_S7_ilPT18_ili26rocblas_geam_ex_operation_
; %bb.0:
	s_clause 0x1
	s_load_b128 s[16:19], s[0:1], 0x10
	s_load_b128 s[4:7], s[0:1], 0x28
	s_mov_b32 s20, s15
	s_mov_b32 s21, 0
	s_mov_b64 s[24:25], 0
	s_lshl_b64 s[12:13], s[20:21], 2
	s_mov_b64 s[22:23], 0
	s_waitcnt lgkmcnt(0)
	s_add_u32 s2, s16, s12
	s_addc_u32 s3, s17, s13
	s_load_b32 s26, s[2:3], 0x0
	s_clause 0x1
	s_load_b128 s[8:11], s[0:1], 0x40
	s_load_b64 s[2:3], s[0:1], 0x50
	s_waitcnt lgkmcnt(0)
	v_cmp_eq_f32_e64 s15, s26, 0
	s_add_u32 s10, s10, s12
	v_cmp_neq_f32_e64 s12, s26, 0
	s_addc_u32 s11, s11, s13
	s_delay_alu instid0(VALU_DEP_2)
	s_and_b32 vcc_lo, exec_lo, s15
	s_cbranch_vccnz .LBB57_2
; %bb.1:
	s_mul_i32 s5, s20, s5
	s_mul_hi_u32 s13, s20, s4
	s_mul_i32 s4, s20, s4
	s_add_i32 s5, s13, s5
	s_delay_alu instid0(SALU_CYCLE_1) | instskip(NEXT) | instid1(SALU_CYCLE_1)
	s_lshl_b64 s[4:5], s[4:5], 2
	s_add_u32 s22, s18, s4
	s_addc_u32 s23, s19, s5
.LBB57_2:
	s_load_b32 s15, s[10:11], 0x0
	s_and_not1_b32 vcc_lo, exec_lo, s12
	s_cbranch_vccnz .LBB57_4
; %bb.3:
	s_mul_i32 s4, s20, s9
	s_mul_hi_u32 s5, s20, s8
	s_delay_alu instid0(SALU_CYCLE_1) | instskip(SKIP_1) | instid1(SALU_CYCLE_1)
	s_add_i32 s5, s5, s4
	s_mul_i32 s4, s20, s8
	s_lshl_b64 s[4:5], s[4:5], 2
	s_delay_alu instid0(SALU_CYCLE_1)
	s_add_u32 s24, s6, s4
	s_addc_u32 s25, s7, s5
.LBB57_4:
	s_load_b128 s[8:11], s[0:1], 0x60
	s_waitcnt lgkmcnt(0)
	v_cmp_eq_f32_e64 s4, s15, 0
	v_cmp_neq_f32_e64 s21, s15, 0
	s_delay_alu instid0(VALU_DEP_2)
	s_and_b32 vcc_lo, exec_lo, s4
	s_cbranch_vccnz .LBB57_6
; %bb.5:
	s_mul_i32 s4, s20, s9
	s_mul_hi_u32 s5, s20, s8
	s_delay_alu instid0(SALU_CYCLE_1) | instskip(SKIP_1) | instid1(SALU_CYCLE_1)
	s_add_i32 s5, s5, s4
	s_mul_i32 s4, s20, s8
	s_lshl_b64 s[4:5], s[4:5], 2
	s_delay_alu instid0(SALU_CYCLE_1)
	s_add_u32 s12, s2, s4
	s_addc_u32 s13, s3, s5
	s_branch .LBB57_7
.LBB57_6:
	s_mov_b64 s[12:13], 0
.LBB57_7:
	s_load_b128 s[16:19], s[0:1], 0x0
	s_waitcnt lgkmcnt(0)
	s_load_b32 s19, s[0:1], 0x20
	v_and_b32_e32 v68, 0x3ff, v0
	v_bfe_u32 v69, v0, 10, 10
	s_delay_alu instid0(VALU_DEP_1) | instskip(NEXT) | instid1(VALU_DEP_1)
	v_lshl_add_u32 v5, v69, 5, v68
	v_lshrrev_b32_e32 v70, 6, v5
	v_and_b32_e32 v0, 63, v5
	s_add_i32 s2, s16, -1
	s_delay_alu instid0(SALU_CYCLE_1) | instskip(NEXT) | instid1(SALU_CYCLE_1)
	s_ashr_i32 s3, s2, 31
	s_lshr_b32 s3, s3, 24
	s_delay_alu instid0(SALU_CYCLE_1) | instskip(NEXT) | instid1(SALU_CYCLE_1)
	s_add_i32 s2, s2, s3
	s_ashr_i32 s2, s2, 8
	s_delay_alu instid0(SALU_CYCLE_1) | instskip(SKIP_2) | instid1(VALU_DEP_1)
	s_add_i32 s3, s2, 1
	s_not_b32 s2, s2
	v_cvt_f32_u32_e32 v1, s3
	v_rcp_iflag_f32_e32 v1, v1
	s_waitcnt_depctr 0xfff
	v_mul_f32_e32 v1, 0x4f7ffffe, v1
	s_delay_alu instid0(VALU_DEP_1) | instskip(NEXT) | instid1(VALU_DEP_1)
	v_cvt_u32_f32_e32 v1, v1
	v_readfirstlane_b32 s4, v1
	s_delay_alu instid0(VALU_DEP_1) | instskip(NEXT) | instid1(SALU_CYCLE_1)
	s_mul_i32 s2, s2, s4
	s_mul_hi_u32 s2, s4, s2
	s_delay_alu instid0(SALU_CYCLE_1) | instskip(NEXT) | instid1(SALU_CYCLE_1)
	s_add_i32 s4, s4, s2
	s_mul_hi_u32 s2, s14, s4
	s_delay_alu instid0(SALU_CYCLE_1) | instskip(SKIP_2) | instid1(SALU_CYCLE_1)
	s_mul_i32 s4, s2, s3
	s_add_i32 s5, s2, 1
	s_sub_i32 s4, s14, s4
	s_sub_i32 s6, s4, s3
	s_cmp_ge_u32 s4, s3
	s_cselect_b32 s2, s5, s2
	s_cselect_b32 s4, s6, s4
	s_add_i32 s5, s2, 1
	s_cmp_ge_u32 s4, s3
	s_cselect_b32 s6, s5, s2
	s_add_i32 s27, s18, -1
	s_mul_i32 s2, s6, s3
	v_min_i32_e32 v3, s27, v70
	s_sub_i32 s2, s14, s2
	v_cmp_le_i32_e64 s5, s18, v70
	s_lshl_b32 s8, s2, 8
	v_cmp_eq_f32_e64 s14, s26, 0
	s_waitcnt lgkmcnt(0)
	v_mad_i64_i32 v[1:2], null, s19, v3, 0
	v_or_b32_e32 v64, s8, v0
	s_delay_alu instid0(VALU_DEP_1) | instskip(NEXT) | instid1(VALU_DEP_3)
	v_cmp_le_i32_e32 vcc_lo, s16, v64
	v_lshlrev_b64 v[2:3], 2, v[1:2]
	v_ashrrev_i32_e32 v65, 31, v64
	s_or_b32 s3, vcc_lo, s5
	s_delay_alu instid0(VALU_DEP_2) | instskip(SKIP_1) | instid1(VALU_DEP_4)
	v_add_co_u32 v6, s2, s22, v2
	v_cndmask_b32_e64 v1, 0, 0x7f7fffff, s3
	v_add_co_ci_u32_e64 v7, s2, s23, v3, s2
	s_or_b32 s2, s14, s3
	s_delay_alu instid0(SALU_CYCLE_1) | instskip(NEXT) | instid1(SALU_CYCLE_1)
	s_xor_b32 s2, s2, -1
	s_and_saveexec_b32 s3, s2
	s_cbranch_execz .LBB57_9
; %bb.8:
	v_lshlrev_b64 v[1:2], 2, v[64:65]
	s_delay_alu instid0(VALU_DEP_1) | instskip(NEXT) | instid1(VALU_DEP_1)
	v_add_co_u32 v1, s2, v6, v1
	v_add_co_ci_u32_e64 v2, s2, v7, v2, s2
	flat_load_b32 v1, v[1:2]
	s_waitcnt vmcnt(0) lgkmcnt(0)
	v_mul_f32_e32 v1, s26, v1
.LBB57_9:
	s_or_b32 exec_lo, exec_lo, s3
	v_or_b32_e32 v2, 64, v64
	s_delay_alu instid0(VALU_DEP_1) | instskip(NEXT) | instid1(VALU_DEP_1)
	v_cmp_le_i32_e64 s2, s16, v2
	s_or_b32 s3, s2, s5
	s_delay_alu instid0(SALU_CYCLE_1) | instskip(SKIP_1) | instid1(SALU_CYCLE_1)
	v_cndmask_b32_e64 v2, 0, 0x7f7fffff, s3
	s_or_b32 s3, s14, s3
	s_xor_b32 s3, s3, -1
	s_delay_alu instid0(SALU_CYCLE_1)
	s_and_saveexec_b32 s4, s3
	s_cbranch_execz .LBB57_11
; %bb.10:
	v_lshlrev_b64 v[2:3], 2, v[64:65]
	s_delay_alu instid0(VALU_DEP_1) | instskip(NEXT) | instid1(VALU_DEP_1)
	v_add_co_u32 v2, s3, v6, v2
	v_add_co_ci_u32_e64 v3, s3, v7, v3, s3
	flat_load_b32 v2, v[2:3] offset:256
	s_waitcnt vmcnt(0) lgkmcnt(0)
	v_mul_f32_e32 v2, s26, v2
.LBB57_11:
	s_or_b32 exec_lo, exec_lo, s4
	v_or_b32_e32 v3, 0x80, v64
	s_delay_alu instid0(VALU_DEP_1) | instskip(NEXT) | instid1(VALU_DEP_1)
	v_cmp_le_i32_e64 s3, s16, v3
	s_or_b32 s4, s3, s5
	s_delay_alu instid0(SALU_CYCLE_1) | instskip(SKIP_1) | instid1(SALU_CYCLE_1)
	v_cndmask_b32_e64 v3, 0, 0x7f7fffff, s4
	s_or_b32 s4, s14, s4
	s_xor_b32 s4, s4, -1
	s_delay_alu instid0(SALU_CYCLE_1)
	s_and_saveexec_b32 s7, s4
	s_cbranch_execz .LBB57_13
; %bb.12:
	v_lshlrev_b64 v[3:4], 2, v[64:65]
	s_delay_alu instid0(VALU_DEP_1) | instskip(NEXT) | instid1(VALU_DEP_1)
	v_add_co_u32 v3, s4, v6, v3
	v_add_co_ci_u32_e64 v4, s4, v7, v4, s4
	flat_load_b32 v3, v[3:4] offset:512
	s_waitcnt vmcnt(0) lgkmcnt(0)
	v_mul_f32_e32 v3, s26, v3
.LBB57_13:
	;; [unrolled: 21-line block ×3, first 2 shown]
	s_or_b32 exec_lo, exec_lo, s7
	v_lshrrev_b32_e32 v5, 2, v5
	s_load_b32 s28, s[0:1], 0x38
	s_lshl_b32 s9, s6, 6
	v_and_b32_e32 v72, 3, v68
	s_delay_alu instid0(VALU_DEP_2) | instskip(NEXT) | instid1(VALU_DEP_2)
	v_add_nc_u32_e32 v66, s9, v5
	v_cmp_le_i32_e64 s6, s18, v72
	s_delay_alu instid0(VALU_DEP_2) | instskip(NEXT) | instid1(VALU_DEP_1)
	v_cmp_le_i32_e64 s5, s17, v66
	s_or_b32 s6, s6, s5
	s_delay_alu instid0(SALU_CYCLE_1) | instskip(SKIP_1) | instid1(SALU_CYCLE_1)
	v_cndmask_b32_e64 v6, 0, 0x7f7fffff, s6
	s_or_b32 s6, s14, s6
	s_xor_b32 s6, s6, -1
	s_delay_alu instid0(SALU_CYCLE_1)
	s_and_saveexec_b32 s7, s6
	s_cbranch_execz .LBB57_17
; %bb.16:
	s_waitcnt lgkmcnt(0)
	v_mad_i64_i32 v[6:7], null, v66, s28, 0
	v_min_u32_e32 v8, s27, v72
	s_delay_alu instid0(VALU_DEP_1) | instskip(NEXT) | instid1(VALU_DEP_3)
	v_lshlrev_b32_e32 v8, 2, v8
	v_lshlrev_b64 v[6:7], 2, v[6:7]
	s_delay_alu instid0(VALU_DEP_1) | instskip(NEXT) | instid1(VALU_DEP_1)
	v_add_co_u32 v6, s6, s24, v6
	v_add_co_ci_u32_e64 v7, s6, s25, v7, s6
	s_delay_alu instid0(VALU_DEP_2) | instskip(NEXT) | instid1(VALU_DEP_1)
	v_add_co_u32 v6, s6, v6, v8
	v_add_co_ci_u32_e64 v7, s6, 0, v7, s6
	flat_load_b32 v6, v[6:7]
	s_waitcnt vmcnt(0) lgkmcnt(0)
	v_mul_f32_e32 v6, s26, v6
.LBB57_17:
	s_or_b32 exec_lo, exec_lo, s7
	v_add_nc_u32_e32 v9, 4, v70
	s_delay_alu instid0(VALU_DEP_1) | instskip(SKIP_1) | instid1(VALU_DEP_2)
	v_min_i32_e32 v10, s27, v9
	v_cmp_le_i32_e64 s6, s18, v9
	v_mad_i64_i32 v[7:8], null, s19, v10, 0
	s_delay_alu instid0(VALU_DEP_1) | instskip(NEXT) | instid1(VALU_DEP_1)
	v_lshlrev_b64 v[7:8], 2, v[7:8]
	v_add_co_u32 v7, s7, s22, v7
	s_delay_alu instid0(VALU_DEP_1) | instskip(SKIP_1) | instid1(SALU_CYCLE_1)
	v_add_co_ci_u32_e64 v8, s7, s23, v8, s7
	s_or_b32 s7, vcc_lo, s6
	v_cndmask_b32_e64 v67, 0, 0x7f7fffff, s7
	s_or_b32 s7, s14, s7
	s_delay_alu instid0(SALU_CYCLE_1) | instskip(NEXT) | instid1(SALU_CYCLE_1)
	s_xor_b32 s7, s7, -1
	s_and_saveexec_b32 s29, s7
	s_cbranch_execz .LBB57_19
; %bb.18:
	v_lshlrev_b64 v[9:10], 2, v[64:65]
	s_delay_alu instid0(VALU_DEP_1) | instskip(NEXT) | instid1(VALU_DEP_1)
	v_add_co_u32 v9, s7, v7, v9
	v_add_co_ci_u32_e64 v10, s7, v8, v10, s7
	flat_load_b32 v9, v[9:10]
	s_waitcnt vmcnt(0) lgkmcnt(0)
	v_mul_f32_e32 v67, s26, v9
.LBB57_19:
	s_or_b32 exec_lo, exec_lo, s29
	s_or_b32 s7, s2, s6
	s_delay_alu instid0(SALU_CYCLE_1) | instskip(SKIP_1) | instid1(SALU_CYCLE_1)
	v_cndmask_b32_e64 v121, 0, 0x7f7fffff, s7
	s_or_b32 s7, s14, s7
	s_xor_b32 s7, s7, -1
	s_delay_alu instid0(SALU_CYCLE_1)
	s_and_saveexec_b32 s29, s7
	s_cbranch_execz .LBB57_21
; %bb.20:
	v_lshlrev_b64 v[9:10], 2, v[64:65]
	s_delay_alu instid0(VALU_DEP_1) | instskip(NEXT) | instid1(VALU_DEP_1)
	v_add_co_u32 v9, s7, v7, v9
	v_add_co_ci_u32_e64 v10, s7, v8, v10, s7
	flat_load_b32 v9, v[9:10] offset:256
	s_waitcnt vmcnt(0) lgkmcnt(0)
	v_mul_f32_e32 v121, s26, v9
.LBB57_21:
	s_or_b32 exec_lo, exec_lo, s29
	s_or_b32 s7, s3, s6
	s_delay_alu instid0(SALU_CYCLE_1) | instskip(SKIP_1) | instid1(SALU_CYCLE_1)
	v_cndmask_b32_e64 v132, 0, 0x7f7fffff, s7
	s_or_b32 s7, s14, s7
	s_xor_b32 s7, s7, -1
	s_delay_alu instid0(SALU_CYCLE_1)
	s_and_saveexec_b32 s29, s7
	s_cbranch_execz .LBB57_23
; %bb.22:
	v_lshlrev_b64 v[9:10], 2, v[64:65]
	s_delay_alu instid0(VALU_DEP_1) | instskip(NEXT) | instid1(VALU_DEP_1)
	v_add_co_u32 v9, s7, v7, v9
	v_add_co_ci_u32_e64 v10, s7, v8, v10, s7
	flat_load_b32 v9, v[9:10] offset:512
	s_waitcnt vmcnt(0) lgkmcnt(0)
	v_mul_f32_e32 v132, s26, v9
.LBB57_23:
	;; [unrolled: 18-line block ×3, first 2 shown]
	s_or_b32 exec_lo, exec_lo, s7
	v_or_b32_e32 v7, 4, v72
	s_delay_alu instid0(VALU_DEP_1) | instskip(NEXT) | instid1(VALU_DEP_1)
	v_cmp_le_i32_e64 s6, s18, v7
	s_or_b32 s6, s6, s5
	s_delay_alu instid0(SALU_CYCLE_1) | instskip(SKIP_1) | instid1(SALU_CYCLE_1)
	v_cndmask_b32_e64 v144, 0, 0x7f7fffff, s6
	s_or_b32 s6, s14, s6
	s_xor_b32 s6, s6, -1
	s_delay_alu instid0(SALU_CYCLE_1)
	s_and_saveexec_b32 s7, s6
	s_cbranch_execz .LBB57_27
; %bb.26:
	s_waitcnt lgkmcnt(0)
	v_mad_i64_i32 v[8:9], null, v66, s28, 0
	v_min_u32_e32 v10, s27, v7
	s_delay_alu instid0(VALU_DEP_2) | instskip(NEXT) | instid1(VALU_DEP_2)
	v_lshlrev_b64 v[7:8], 2, v[8:9]
	v_lshlrev_b32_e32 v9, 2, v10
	s_delay_alu instid0(VALU_DEP_2) | instskip(NEXT) | instid1(VALU_DEP_1)
	v_add_co_u32 v7, s6, s24, v7
	v_add_co_ci_u32_e64 v8, s6, s25, v8, s6
	s_delay_alu instid0(VALU_DEP_2) | instskip(NEXT) | instid1(VALU_DEP_1)
	v_add_co_u32 v7, s6, v7, v9
	v_add_co_ci_u32_e64 v8, s6, 0, v8, s6
	flat_load_b32 v7, v[7:8]
	s_waitcnt vmcnt(0) lgkmcnt(0)
	v_mul_f32_e32 v144, s26, v7
.LBB57_27:
	s_or_b32 exec_lo, exec_lo, s7
	v_lshlrev_b32_e32 v7, 2, v70
	v_lshlrev_b32_e32 v142, 2, v72
	v_lshlrev_b32_e32 v71, 4, v68
	s_cmp_lt_i32 s18, 9
	s_delay_alu instid0(VALU_DEP_3) | instskip(NEXT) | instid1(VALU_DEP_3)
	v_lshl_add_u32 v74, v0, 4, v7
	v_lshl_or_b32 v143, v5, 4, v142
	ds_store_2addr_stride64_b32 v74, v1, v2 offset1:4
	ds_store_2addr_stride64_b32 v74, v3, v4 offset0:8 offset1:12
	ds_store_b32 v143, v6 offset:8192
	s_waitcnt lgkmcnt(0)
	s_barrier
	buffer_gl0_inv
	ds_load_b128 v[32:35], v71
	ds_load_b128 v[28:31], v71 offset:512
	ds_load_b128 v[24:27], v71 offset:1024
	;; [unrolled: 1-line block ×7, first 2 shown]
	v_lshlrev_b32_e32 v73, 4, v69
	ds_load_b128 v[60:63], v73 offset:8192
	ds_load_b128 v[56:59], v73 offset:8320
	;; [unrolled: 1-line block ×8, first 2 shown]
	ds_store_2addr_stride64_b32 v74, v67, v121 offset0:16 offset1:20
	ds_store_2addr_stride64_b32 v74, v132, v141 offset0:24 offset1:28
	ds_store_b32 v143, v144 offset:9216
	s_waitcnt lgkmcnt(0)
	s_barrier
	buffer_gl0_inv
	v_dual_add_f32 v78, v24, v60 :: v_dual_add_f32 v75, v33, v61
	v_add_f32_e32 v76, v32, v60
	v_add_f32_e32 v77, v28, v60
	;; [unrolled: 1-line block ×5, first 2 shown]
	v_min3_f32 v75, v76, v75, 0x7f7fffff
	v_add_f32_e32 v76, v29, v61
	s_delay_alu instid0(VALU_DEP_1) | instskip(SKIP_1) | instid1(VALU_DEP_1)
	v_min3_f32 v76, v77, v76, 0x7f7fffff
	v_add_f32_e32 v77, v25, v61
	v_min3_f32 v77, v78, v77, 0x7f7fffff
	v_add_f32_e32 v78, v17, v61
	s_delay_alu instid0(VALU_DEP_1) | instskip(SKIP_1) | instid1(VALU_DEP_1)
	v_min3_f32 v78, v79, v78, 0x7f7fffff
	v_add_f32_e32 v79, v13, v61
	v_min3_f32 v80, v80, v79, 0x7f7fffff
	v_add_f32_e32 v79, v9, v61
	s_delay_alu instid0(VALU_DEP_1) | instskip(SKIP_3) | instid1(VALU_DEP_1)
	v_min3_f32 v117, v81, v79, 0x7f7fffff
	v_add_f32_e32 v79, v5, v61
	v_add_f32_e32 v81, v4, v60
	v_dual_add_f32 v61, v1, v61 :: v_dual_add_f32 v60, v0, v60
	v_min3_f32 v119, v60, v61, 0x7f7fffff
	v_dual_add_f32 v60, v33, v57 :: v_dual_add_f32 v61, v32, v56
	s_delay_alu instid0(VALU_DEP_1) | instskip(SKIP_1) | instid1(VALU_DEP_1)
	v_min3_f32 v116, v61, v60, 0x7f7fffff
	v_dual_add_f32 v60, v29, v57 :: v_dual_add_f32 v61, v28, v56
	v_min3_f32 v115, v61, v60, 0x7f7fffff
	v_dual_add_f32 v60, v25, v57 :: v_dual_add_f32 v61, v24, v56
	s_delay_alu instid0(VALU_DEP_1) | instskip(SKIP_1) | instid1(VALU_DEP_1)
	v_min3_f32 v114, v61, v60, 0x7f7fffff
	;; [unrolled: 5-line block ×3, first 2 shown]
	v_dual_add_f32 v60, v9, v57 :: v_dual_add_f32 v61, v8, v56
	v_min3_f32 v111, v61, v60, 0x7f7fffff
	v_dual_add_f32 v60, v5, v57 :: v_dual_add_f32 v61, v4, v56
	v_dual_add_f32 v57, v1, v57 :: v_dual_add_f32 v56, v0, v56
	s_delay_alu instid0(VALU_DEP_1) | instskip(SKIP_1) | instid1(VALU_DEP_1)
	v_min3_f32 v109, v56, v57, 0x7f7fffff
	v_dual_add_f32 v56, v33, v53 :: v_dual_add_f32 v57, v32, v52
	v_min3_f32 v108, v57, v56, 0x7f7fffff
	v_dual_add_f32 v56, v29, v53 :: v_dual_add_f32 v57, v28, v52
	s_delay_alu instid0(VALU_DEP_1) | instskip(SKIP_2) | instid1(VALU_DEP_2)
	v_min3_f32 v107, v57, v56, 0x7f7fffff
	v_dual_add_f32 v56, v25, v53 :: v_dual_add_f32 v57, v24, v52
	v_min3_f32 v110, v61, v60, 0x7f7fffff
	v_min3_f32 v106, v57, v56, 0x7f7fffff
	v_dual_add_f32 v56, v17, v53 :: v_dual_add_f32 v57, v16, v52
	s_delay_alu instid0(VALU_DEP_1) | instskip(SKIP_1) | instid1(VALU_DEP_1)
	v_min3_f32 v105, v57, v56, 0x7f7fffff
	v_dual_add_f32 v56, v13, v53 :: v_dual_add_f32 v57, v12, v52
	v_min3_f32 v104, v57, v56, 0x7f7fffff
	v_dual_add_f32 v56, v9, v53 :: v_dual_add_f32 v57, v8, v52
	s_delay_alu instid0(VALU_DEP_1) | instskip(SKIP_4) | instid1(VALU_DEP_3)
	v_min3_f32 v103, v57, v56, 0x7f7fffff
	v_dual_add_f32 v56, v5, v53 :: v_dual_add_f32 v57, v4, v52
	v_dual_add_f32 v53, v1, v53 :: v_dual_add_f32 v52, v0, v52
	v_min3_f32 v118, v81, v79, 0x7f7fffff
	v_add_f32_e32 v79, v4, v36
	v_min3_f32 v101, v52, v53, 0x7f7fffff
	v_dual_add_f32 v52, v33, v49 :: v_dual_add_f32 v53, v32, v48
	s_delay_alu instid0(VALU_DEP_1) | instskip(SKIP_1) | instid1(VALU_DEP_1)
	v_min3_f32 v100, v53, v52, 0x7f7fffff
	v_dual_add_f32 v52, v29, v49 :: v_dual_add_f32 v53, v28, v48
	v_min3_f32 v99, v53, v52, 0x7f7fffff
	v_dual_add_f32 v52, v25, v49 :: v_dual_add_f32 v53, v24, v48
	v_min3_f32 v102, v57, v56, 0x7f7fffff
	s_delay_alu instid0(VALU_DEP_2) | instskip(SKIP_1) | instid1(VALU_DEP_1)
	v_min3_f32 v98, v53, v52, 0x7f7fffff
	v_dual_add_f32 v52, v17, v49 :: v_dual_add_f32 v53, v16, v48
	v_min3_f32 v97, v53, v52, 0x7f7fffff
	v_dual_add_f32 v52, v13, v49 :: v_dual_add_f32 v53, v12, v48
	s_delay_alu instid0(VALU_DEP_1) | instskip(SKIP_1) | instid1(VALU_DEP_1)
	v_min3_f32 v96, v53, v52, 0x7f7fffff
	v_dual_add_f32 v52, v9, v49 :: v_dual_add_f32 v53, v8, v48
	v_min3_f32 v95, v53, v52, 0x7f7fffff
	v_dual_add_f32 v52, v5, v49 :: v_dual_add_f32 v53, v4, v48
	v_dual_add_f32 v49, v1, v49 :: v_dual_add_f32 v48, v0, v48
	s_delay_alu instid0(VALU_DEP_1) | instskip(SKIP_1) | instid1(VALU_DEP_1)
	v_min3_f32 v93, v48, v49, 0x7f7fffff
	v_dual_add_f32 v48, v33, v45 :: v_dual_add_f32 v49, v32, v44
	v_min3_f32 v92, v49, v48, 0x7f7fffff
	v_dual_add_f32 v48, v29, v45 :: v_dual_add_f32 v49, v28, v44
	s_delay_alu instid0(VALU_DEP_1) | instskip(SKIP_2) | instid1(VALU_DEP_2)
	v_min3_f32 v91, v49, v48, 0x7f7fffff
	v_dual_add_f32 v48, v25, v45 :: v_dual_add_f32 v49, v24, v44
	v_min3_f32 v94, v53, v52, 0x7f7fffff
	v_min3_f32 v90, v49, v48, 0x7f7fffff
	v_dual_add_f32 v48, v17, v45 :: v_dual_add_f32 v49, v16, v44
	s_delay_alu instid0(VALU_DEP_1) | instskip(SKIP_1) | instid1(VALU_DEP_1)
	v_min3_f32 v89, v49, v48, 0x7f7fffff
	v_dual_add_f32 v48, v13, v45 :: v_dual_add_f32 v49, v12, v44
	v_min3_f32 v88, v49, v48, 0x7f7fffff
	v_dual_add_f32 v48, v9, v45 :: v_dual_add_f32 v49, v8, v44
	s_delay_alu instid0(VALU_DEP_1) | instskip(SKIP_2) | instid1(VALU_DEP_1)
	v_min3_f32 v87, v49, v48, 0x7f7fffff
	v_dual_add_f32 v48, v5, v45 :: v_dual_add_f32 v49, v4, v44
	v_dual_add_f32 v45, v1, v45 :: v_dual_add_f32 v44, v0, v44
	v_min3_f32 v85, v44, v45, 0x7f7fffff
	v_dual_add_f32 v44, v33, v41 :: v_dual_add_f32 v45, v32, v40
	s_delay_alu instid0(VALU_DEP_1) | instskip(SKIP_1) | instid1(VALU_DEP_1)
	v_min3_f32 v84, v45, v44, 0x7f7fffff
	v_dual_add_f32 v44, v29, v41 :: v_dual_add_f32 v45, v28, v40
	v_min3_f32 v83, v45, v44, 0x7f7fffff
	v_dual_add_f32 v44, v25, v41 :: v_dual_add_f32 v45, v24, v40
	v_min3_f32 v86, v49, v48, 0x7f7fffff
	s_delay_alu instid0(VALU_DEP_2) | instskip(SKIP_1) | instid1(VALU_DEP_1)
	v_min3_f32 v82, v45, v44, 0x7f7fffff
	v_dual_add_f32 v44, v17, v41 :: v_dual_add_f32 v45, v16, v40
	v_min3_f32 v61, v45, v44, 0x7f7fffff
	v_dual_add_f32 v44, v13, v41 :: v_dual_add_f32 v45, v12, v40
	s_delay_alu instid0(VALU_DEP_1) | instskip(SKIP_1) | instid1(VALU_DEP_1)
	v_min3_f32 v60, v45, v44, 0x7f7fffff
	v_dual_add_f32 v44, v9, v41 :: v_dual_add_f32 v45, v8, v40
	v_min3_f32 v57, v45, v44, 0x7f7fffff
	v_dual_add_f32 v44, v5, v41 :: v_dual_add_f32 v45, v4, v40
	v_dual_add_f32 v41, v1, v41 :: v_dual_add_f32 v40, v0, v40
	v_add_f32_e32 v4, v4, v20
	s_delay_alu instid0(VALU_DEP_2) | instskip(SKIP_2) | instid1(VALU_DEP_2)
	v_min3_f32 v53, v40, v41, 0x7f7fffff
	v_dual_add_f32 v40, v33, v37 :: v_dual_add_f32 v41, v32, v36
	v_dual_add_f32 v33, v33, v21 :: v_dual_add_f32 v32, v32, v20
	v_min3_f32 v52, v41, v40, 0x7f7fffff
	v_dual_add_f32 v40, v29, v37 :: v_dual_add_f32 v41, v28, v36
	v_dual_add_f32 v29, v29, v21 :: v_dual_add_f32 v28, v28, v20
	s_delay_alu instid0(VALU_DEP_2) | instskip(SKIP_3) | instid1(VALU_DEP_3)
	v_min3_f32 v49, v41, v40, 0x7f7fffff
	v_dual_add_f32 v40, v25, v37 :: v_dual_add_f32 v41, v24, v36
	v_min3_f32 v56, v45, v44, 0x7f7fffff
	v_dual_add_f32 v24, v24, v20 :: v_dual_add_f32 v25, v25, v21
	;; [unrolled: 2-line block ×3, first 2 shown]
	v_dual_add_f32 v17, v17, v21 :: v_dual_add_f32 v16, v16, v20
	v_min3_f32 v32, v32, v33, 0x7f7fffff
	s_delay_alu instid0(VALU_DEP_3) | instskip(SKIP_4) | instid1(VALU_DEP_4)
	v_min3_f32 v45, v41, v40, 0x7f7fffff
	v_dual_add_f32 v40, v13, v37 :: v_dual_add_f32 v41, v12, v36
	v_dual_add_f32 v13, v13, v21 :: v_dual_add_f32 v12, v12, v20
	v_min3_f32 v28, v28, v29, 0x7f7fffff
	v_min3_f32 v16, v16, v17, 0x7f7fffff
	;; [unrolled: 1-line block ×3, first 2 shown]
	v_dual_add_f32 v40, v9, v37 :: v_dual_add_f32 v41, v8, v36
	v_add_f32_e32 v36, v0, v36
	v_add_f32_e32 v0, v0, v20
	;; [unrolled: 1-line block ×3, first 2 shown]
	v_min3_f32 v24, v24, v25, 0x7f7fffff
	v_min3_f32 v41, v41, v40, 0x7f7fffff
	v_add_f32_e32 v40, v5, v37
	v_add_f32_e32 v37, v1, v37
	;; [unrolled: 1-line block ×4, first 2 shown]
	v_min3_f32 v12, v12, v13, 0x7f7fffff
	v_min3_f32 v40, v79, v40, 0x7f7fffff
	;; [unrolled: 1-line block ×5, first 2 shown]
	v_add_f32_e32 v1, v35, v63
	v_add_f32_e32 v5, v34, v62
	;; [unrolled: 1-line block ×3, first 2 shown]
	s_delay_alu instid0(VALU_DEP_2) | instskip(SKIP_2) | instid1(VALU_DEP_4)
	v_min3_f32 v81, v5, v1, v75
	v_add_f32_e32 v1, v31, v63
	v_add_f32_e32 v5, v30, v62
	v_min3_f32 v8, v8, v9, 0x7f7fffff
	s_delay_alu instid0(VALU_DEP_2) | instskip(SKIP_2) | instid1(VALU_DEP_1)
	v_min3_f32 v79, v5, v1, v76
	v_add_f32_e32 v1, v27, v63
	v_add_f32_e32 v5, v26, v62
	v_min3_f32 v77, v5, v1, v77
	v_add_f32_e32 v1, v19, v63
	v_add_f32_e32 v5, v18, v62
	s_delay_alu instid0(VALU_DEP_1) | instskip(SKIP_2) | instid1(VALU_DEP_1)
	v_min3_f32 v75, v5, v1, v78
	v_add_f32_e32 v1, v15, v63
	v_add_f32_e32 v5, v14, v62
	v_min3_f32 v76, v5, v1, v80
	v_add_f32_e32 v1, v11, v63
	v_add_f32_e32 v5, v10, v62
	s_delay_alu instid0(VALU_DEP_1) | instskip(SKIP_2) | instid1(VALU_DEP_1)
	;; [unrolled: 7-line block ×26, first 2 shown]
	v_min3_f32 v91, v5, v1, v41
	v_add_f32_e32 v1, v7, v39
	v_add_f32_e32 v5, v6, v38
	v_min3_f32 v90, v5, v1, v40
	v_add_f32_e32 v1, v3, v39
	v_add_f32_e32 v5, v2, v38
	;; [unrolled: 1-line block ×3, first 2 shown]
	s_delay_alu instid0(VALU_DEP_2) | instskip(SKIP_2) | instid1(VALU_DEP_1)
	v_min3_f32 v89, v5, v1, v36
	v_add_f32_e32 v1, v35, v23
	v_add_f32_e32 v5, v34, v22
	v_min3_f32 v88, v5, v1, v32
	v_add_f32_e32 v1, v31, v23
	v_add_f32_e32 v5, v30, v22
	s_delay_alu instid0(VALU_DEP_1) | instskip(SKIP_2) | instid1(VALU_DEP_1)
	v_min3_f32 v87, v5, v1, v28
	v_add_f32_e32 v1, v27, v23
	v_add_f32_e32 v5, v26, v22
	v_min3_f32 v86, v5, v1, v24
	v_add_f32_e32 v1, v19, v23
	v_add_f32_e32 v5, v18, v22
	s_delay_alu instid0(VALU_DEP_1) | instskip(SKIP_2) | instid1(VALU_DEP_1)
	;; [unrolled: 7-line block ×3, first 2 shown]
	v_min3_f32 v83, v5, v1, v8
	v_add_f32_e32 v1, v7, v23
	v_add_f32_e32 v5, v6, v22
	v_min3_f32 v82, v5, v1, v4
	v_add_f32_e32 v1, v3, v23
	s_delay_alu instid0(VALU_DEP_1)
	v_min3_f32 v92, v2, v1, v0
	s_cbranch_scc1 .LBB57_50
; %bb.28:
	v_mad_i64_i32 v[0:1], null, s28, v66, 0
	v_lshlrev_b64 v[64:65], 2, v[64:65]
	v_add_nc_u32_e32 v121, 0x2000, v143
	v_add_nc_u32_e32 v132, 0x2000, v73
	;; [unrolled: 1-line block ×4, first 2 shown]
	v_lshl_add_u32 v144, v68, 4, 0x1000
	v_lshlrev_b64 v[0:1], 2, v[0:1]
	s_delay_alu instid0(VALU_DEP_1) | instskip(NEXT) | instid1(VALU_DEP_1)
	v_add_co_u32 v0, s6, v0, v142
	v_add_co_ci_u32_e64 v1, s6, 0, v1, s6
	v_lshl_add_u32 v142, v69, 4, 0x2400
	s_delay_alu instid0(VALU_DEP_3) | instskip(NEXT) | instid1(VALU_DEP_1)
	v_add_co_u32 v0, s6, v0, s24
	v_add_co_ci_u32_e64 v1, s6, s25, v1, s6
	s_add_i32 s24, s18, -8
	s_delay_alu instid0(VALU_DEP_2) | instskip(NEXT) | instid1(VALU_DEP_1)
	v_add_co_u32 v66, s6, v0, 48
	v_add_co_ci_u32_e64 v67, s6, 0, v1, s6
	s_mov_b32 s25, 0
	s_branch .LBB57_30
.LBB57_29:                              ;   in Loop: Header=BB57_30 Depth=1
	s_or_b32 exec_lo, exec_lo, s6
	ds_load_b128 v[87:90], v132
	ds_load_b128 v[149:152], v71
	ds_load_b128 v[153:156], v71 offset:512
	ds_load_b128 v[157:160], v71 offset:1024
	;; [unrolled: 1-line block ×14, first 2 shown]
	v_add_co_u32 v66, s6, v66, 32
	s_delay_alu instid0(VALU_DEP_1)
	v_add_co_ci_u32_e64 v67, s6, 0, v67, s6
	s_add_i32 s25, s25, 8
	ds_store_2addr_stride64_b32 v141, v145, v146 offset1:4
	ds_store_2addr_stride64_b32 v141, v147, v148 offset0:8 offset1:12
	ds_store_b32 v143, v0
	s_waitcnt lgkmcnt(17)
	v_dual_add_f32 v19, v150, v88 :: v_dual_add_f32 v22, v149, v87
	s_waitcnt lgkmcnt(16)
	v_dual_add_f32 v23, v154, v88 :: v_dual_add_f32 v26, v153, v87
	;; [unrolled: 2-line block ×3, first 2 shown]
	s_waitcnt lgkmcnt(14)
	v_add_f32_e32 v31, v162, v88
	v_min3_f32 v19, v22, v19, v44
	v_min3_f32 v22, v26, v23, v45
	v_add_f32_e32 v26, v161, v87
	v_min3_f32 v23, v30, v27, v48
	s_waitcnt lgkmcnt(13)
	v_dual_add_f32 v27, v166, v88 :: v_dual_add_f32 v30, v165, v87
	s_waitcnt lgkmcnt(12)
	v_dual_add_f32 v34, v170, v88 :: v_dual_add_f32 v35, v169, v87
	;; [unrolled: 2-line block ×4, first 2 shown]
	v_min3_f32 v1, v26, v31, v1
	v_min3_f32 v4, v30, v27, v4
	;; [unrolled: 1-line block ×5, first 2 shown]
	s_waitcnt lgkmcnt(9)
	v_dual_add_f32 v31, v150, v92 :: v_dual_add_f32 v34, v149, v91
	v_dual_add_f32 v35, v154, v92 :: v_dual_add_f32 v38, v153, v91
	;; [unrolled: 1-line block ×5, first 2 shown]
	v_min3_f32 v5, v34, v31, v5
	v_min3_f32 v8, v38, v35, v8
	;; [unrolled: 1-line block ×5, first 2 shown]
	v_dual_add_f32 v38, v170, v92 :: v_dual_add_f32 v39, v169, v91
	v_dual_add_f32 v44, v174, v92 :: v_dual_add_f32 v45, v173, v91
	;; [unrolled: 1-line block ×3, first 2 shown]
	s_waitcnt lgkmcnt(8)
	v_dual_add_f32 v52, v150, v96 :: v_dual_add_f32 v53, v149, v95
	v_dual_add_f32 v56, v154, v96 :: v_dual_add_f32 v57, v153, v95
	v_min3_f32 v9, v39, v38, v9
	v_min3_f32 v12, v45, v44, v12
	v_min3_f32 v38, v49, v48, v58
	v_min3_f32 v39, v53, v52, v59
	v_min3_f32 v44, v57, v56, v61
	v_dual_add_f32 v45, v158, v96 :: v_dual_add_f32 v48, v157, v95
	v_dual_add_f32 v49, v162, v96 :: v_dual_add_f32 v52, v161, v95
	;; [unrolled: 1-line block ×5, first 2 shown]
	v_min3_f32 v13, v48, v45, v13
	v_min3_f32 v16, v52, v49, v16
	;; [unrolled: 1-line block ×5, first 2 shown]
	v_dual_add_f32 v52, v178, v96 :: v_dual_add_f32 v53, v177, v95
	s_waitcnt lgkmcnt(7)
	v_dual_add_f32 v54, v150, v100 :: v_dual_add_f32 v55, v149, v99
	v_dual_add_f32 v56, v154, v100 :: v_dual_add_f32 v57, v153, v99
	;; [unrolled: 1-line block ×4, first 2 shown]
	v_min3_f32 v17, v53, v52, v17
	v_min3_f32 v20, v55, v54, v20
	;; [unrolled: 1-line block ×5, first 2 shown]
	v_dual_add_f32 v55, v166, v100 :: v_dual_add_f32 v56, v165, v99
	v_dual_add_f32 v57, v170, v100 :: v_dual_add_f32 v58, v169, v99
	;; [unrolled: 1-line block ×4, first 2 shown]
	s_waitcnt lgkmcnt(6)
	v_dual_add_f32 v63, v150, v104 :: v_dual_add_f32 v76, v169, v103
	v_add_f32_e32 v75, v149, v103
	v_min3_f32 v21, v56, v55, v21
	v_add_f32_e32 v56, v154, v104
	v_min3_f32 v24, v58, v57, v24
	v_min3_f32 v50, v60, v59, v50
	v_min3_f32 v51, v62, v61, v51
	v_min3_f32 v55, v75, v63, v77
	v_dual_add_f32 v57, v153, v103 :: v_dual_add_f32 v58, v158, v104
	v_dual_add_f32 v59, v157, v103 :: v_dual_add_f32 v60, v162, v104
	;; [unrolled: 1-line block ×3, first 2 shown]
	v_add_f32_e32 v63, v165, v103
	v_add_f32_e32 v75, v170, v104
	v_min3_f32 v25, v57, v56, v25
	v_min3_f32 v28, v59, v58, v28
	v_add_f32_e32 v58, v173, v103
	v_min3_f32 v46, v61, v60, v46
	v_min3_f32 v56, v76, v75, v78
	v_dual_add_f32 v57, v174, v104 :: v_dual_add_f32 v60, v177, v103
	v_add_f32_e32 v59, v178, v104
	s_waitcnt lgkmcnt(5)
	v_add_f32_e32 v61, v150, v182
	v_dual_add_f32 v75, v153, v181 :: v_dual_add_f32 v76, v158, v182
	v_min3_f32 v47, v63, v62, v47
	v_dual_add_f32 v62, v149, v181 :: v_dual_add_f32 v63, v154, v182
	v_add_f32_e32 v78, v173, v181
	v_add_f32_e32 v77, v157, v181
	v_min3_f32 v29, v58, v57, v29
	v_min3_f32 v32, v60, v59, v32
	v_add_f32_e32 v60, v162, v182
	v_min3_f32 v58, v75, v63, v80
	v_min3_f32 v59, v77, v76, v81
	v_add_f32_e32 v63, v165, v181
	v_dual_add_f32 v75, v170, v182 :: v_dual_add_f32 v80, v177, v181
	v_add_f32_e32 v76, v169, v181
	v_min3_f32 v57, v62, v61, v79
	v_dual_add_f32 v61, v161, v181 :: v_dual_add_f32 v62, v166, v182
	v_add_f32_e32 v77, v174, v182
	v_add_f32_e32 v79, v178, v182
	v_min3_f32 v43, v76, v75, v43
	s_waitcnt lgkmcnt(4)
	v_add_f32_e32 v75, v154, v186
	v_min3_f32 v36, v63, v62, v36
	v_add_f32_e32 v62, v150, v186
	v_min3_f32 v33, v61, v60, v33
	v_add_f32_e32 v63, v149, v185
	v_add_f32_e32 v76, v153, v185
	v_min3_f32 v60, v78, v77, v82
	v_dual_add_f32 v77, v158, v186 :: v_dual_add_f32 v82, v165, v185
	v_add_f32_e32 v78, v157, v185
	v_min3_f32 v61, v80, v79, v83
	v_dual_add_f32 v79, v162, v186 :: v_dual_add_f32 v80, v161, v185
	v_add_f32_e32 v81, v166, v186
	v_min3_f32 v37, v63, v62, v37
	v_min3_f32 v40, v76, v75, v40
	;; [unrolled: 1-line block ×3, first 2 shown]
	v_dual_add_f32 v78, v173, v185 :: v_dual_add_f32 v75, v170, v186
	v_add_f32_e32 v76, v169, v185
	v_min3_f32 v63, v80, v79, v85
	v_dual_add_f32 v80, v177, v185 :: v_dual_add_f32 v77, v174, v186
	v_add_f32_e32 v79, v178, v186
	v_min3_f32 v82, v82, v81, v86
	s_waitcnt lgkmcnt(3)
	v_add_f32_e32 v81, v150, v190
	v_min3_f32 v41, v76, v75, v41
	v_add_f32_e32 v76, v157, v189
	v_min3_f32 v42, v78, v77, v42
	;; [unrolled: 2-line block ×3, first 2 shown]
	v_dual_add_f32 v80, v165, v189 :: v_dual_add_f32 v79, v166, v190
	v_dual_add_f32 v84, v154, v190 :: v_dual_add_f32 v85, v153, v189
	v_add_f32_e32 v83, v149, v189
	v_add_f32_e32 v75, v158, v190
	s_delay_alu instid0(VALU_DEP_4) | instskip(SKIP_2) | instid1(VALU_DEP_4)
	v_min3_f32 v7, v80, v79, v7
	v_dual_add_f32 v79, v156, v90 :: v_dual_add_f32 v80, v155, v89
	v_add_f32_e32 v77, v162, v190
	v_min3_f32 v2, v76, v75, v2
	v_dual_add_f32 v75, v178, v190 :: v_dual_add_f32 v86, v163, v89
	s_delay_alu instid0(VALU_DEP_4)
	v_min3_f32 v79, v80, v79, v22
	v_add_f32_e32 v80, v176, v90
	v_min3_f32 v18, v85, v84, v18
	v_dual_add_f32 v84, v174, v190 :: v_dual_add_f32 v85, v173, v189
	v_min3_f32 v3, v78, v77, v3
	v_dual_add_f32 v76, v177, v189 :: v_dual_add_f32 v77, v152, v90
	v_add_f32_e32 v78, v151, v89
	s_delay_alu instid0(VALU_DEP_4)
	v_min3_f32 v15, v85, v84, v15
	v_add_f32_e32 v85, v164, v90
	v_add_f32_e32 v22, v172, v90
	v_min3_f32 v11, v83, v81, v11
	v_dual_add_f32 v81, v170, v190 :: v_dual_add_f32 v84, v159, v89
	v_add_f32_e32 v83, v169, v189
	v_min3_f32 v6, v76, v75, v6
	v_min3_f32 v75, v86, v85, v1
	v_add_f32_e32 v1, v168, v90
	v_add_f32_e32 v85, v179, v89
	v_min3_f32 v14, v83, v81, v14
	v_min3_f32 v81, v78, v77, v19
	v_add_f32_e32 v19, v167, v89
	v_add_f32_e32 v83, v160, v90
	v_dual_add_f32 v86, v152, v94 :: v_dual_add_f32 v87, v151, v93
	s_cmp_ge_i32 s25, s24
	s_delay_alu instid0(VALU_DEP_3)
	v_min3_f32 v76, v19, v1, v4
	v_dual_add_f32 v1, v156, v94 :: v_dual_add_f32 v4, v155, v93
	v_add_f32_e32 v19, v159, v93
	s_waitcnt lgkmcnt(0)
	s_barrier
	buffer_gl0_inv
	v_min3_f32 v138, v4, v1, v8
	v_add_f32_e32 v8, v179, v93
	v_min3_f32 v77, v84, v83, v23
	v_add_f32_e32 v23, v171, v89
	v_dual_add_f32 v83, v175, v89 :: v_dual_add_f32 v84, v180, v90
	v_dual_add_f32 v1, v176, v94 :: v_dual_add_f32 v4, v175, v93
	s_delay_alu instid0(VALU_DEP_3) | instskip(SKIP_2) | instid1(VALU_DEP_4)
	v_min3_f32 v78, v23, v22, v26
	v_dual_add_f32 v22, v164, v94 :: v_dual_add_f32 v23, v163, v93
	v_add_f32_e32 v26, v168, v94
	v_min3_f32 v133, v4, v1, v12
	v_dual_add_f32 v1, v164, v98 :: v_dual_add_f32 v4, v163, v97
	s_delay_alu instid0(VALU_DEP_4)
	v_min3_f32 v136, v23, v22, v34
	v_add_f32_e32 v22, v156, v98
	v_min3_f32 v140, v85, v84, v30
	v_add_f32_e32 v30, v172, v94
	v_min3_f32 v80, v83, v80, v27
	v_add_f32_e32 v27, v167, v93
	v_add_f32_e32 v83, v171, v93
	v_add_f32_e32 v23, v155, v97
	v_min3_f32 v127, v4, v1, v16
	v_add_f32_e32 v4, v151, v101
	v_min3_f32 v135, v27, v26, v35
	;; [unrolled: 2-line block ×4, first 2 shown]
	v_dual_add_f32 v9, v152, v98 :: v_dual_add_f32 v16, v163, v101
	v_add_f32_e32 v27, v159, v97
	v_min3_f32 v129, v23, v22, v44
	v_add_f32_e32 v22, v180, v98
	v_min3_f32 v137, v19, v5, v31
	;; [unrolled: 2-line block ×3, first 2 shown]
	v_add_f32_e32 v13, v176, v98
	v_dual_add_f32 v5, v180, v94 :: v_dual_add_f32 v12, v171, v97
	s_delay_alu instid0(VALU_DEP_4) | instskip(SKIP_4) | instid1(VALU_DEP_4)
	v_min3_f32 v130, v19, v9, v39
	v_add_f32_e32 v19, v175, v97
	v_add_f32_e32 v9, v172, v98
	;; [unrolled: 1-line block ×4, first 2 shown]
	v_min3_f32 v124, v19, v13, v49
	v_add_f32_e32 v13, v164, v102
	v_min3_f32 v125, v12, v9, v48
	v_dual_add_f32 v9, v160, v102 :: v_dual_add_f32 v12, v159, v101
	v_min3_f32 v131, v8, v5, v38
	v_dual_add_f32 v5, v168, v98 :: v_dual_add_f32 v8, v167, v97
	;; [unrolled: 2-line block ×3, first 2 shown]
	v_min3_f32 v119, v12, v9, v53
	s_delay_alu instid0(VALU_DEP_4) | instskip(SKIP_4) | instid1(VALU_DEP_4)
	v_min3_f32 v126, v8, v5, v45
	v_dual_add_f32 v5, v156, v102 :: v_dual_add_f32 v8, v155, v101
	v_dual_add_f32 v9, v180, v102 :: v_dual_add_f32 v12, v179, v101
	v_min3_f32 v113, v16, v13, v55
	v_dual_add_f32 v13, v172, v106 :: v_dual_add_f32 v16, v171, v105
	v_min3_f32 v120, v8, v5, v52
	;; [unrolled: 2-line block ×3, first 2 shown]
	s_delay_alu instid0(VALU_DEP_4)
	v_min3_f32 v108, v16, v13, v56
	v_add_f32_e32 v16, v159, v183
	v_min3_f32 v114, v12, v9, v51
	v_dual_add_f32 v9, v168, v106 :: v_dual_add_f32 v12, v167, v105
	v_dual_add_f32 v1, v172, v102 :: v_dual_add_f32 v4, v171, v101
	v_add_f32_e32 v13, v160, v184
	v_min3_f32 v123, v23, v22, v17
	s_delay_alu instid0(VALU_DEP_4)
	v_min3_f32 v109, v12, v9, v47
	v_add_f32_e32 v12, v155, v183
	v_min3_f32 v115, v8, v5, v50
	v_dual_add_f32 v5, v164, v106 :: v_dual_add_f32 v8, v163, v105
	v_add_f32_e32 v17, v168, v102
	v_add_f32_e32 v19, v167, v101
	;; [unrolled: 1-line block ×3, first 2 shown]
	v_min3_f32 v103, v16, v13, v59
	v_add_f32_e32 v16, v179, v183
	v_min3_f32 v110, v8, v5, v46
	v_add_f32_e32 v8, v151, v183
	v_min3_f32 v116, v4, v1, v24
	v_dual_add_f32 v1, v160, v106 :: v_dual_add_f32 v4, v159, v105
	v_min3_f32 v104, v12, v9, v58
	v_dual_add_f32 v12, v175, v183 :: v_dual_add_f32 v9, v176, v184
	v_add_f32_e32 v13, v180, v184
	s_delay_alu instid0(VALU_DEP_4)
	v_min3_f32 v111, v4, v1, v28
	v_add_f32_e32 v4, v179, v105
	v_min3_f32 v117, v19, v17, v21
	v_add_f32_e32 v17, v156, v106
	v_add_f32_e32 v19, v155, v105
	v_add_f32_e32 v1, v180, v106
	v_min3_f32 v99, v12, v9, v60
	v_min3_f32 v98, v16, v13, v61
	v_add_f32_e32 v16, v167, v187
	v_min3_f32 v112, v19, v17, v25
	v_dual_add_f32 v17, v176, v106 :: v_dual_add_f32 v12, v163, v187
	v_add_f32_e32 v19, v175, v105
	v_add_f32_e32 v13, v168, v188
	v_min3_f32 v106, v4, v1, v32
	v_dual_add_f32 v1, v168, v184 :: v_dual_add_f32 v4, v167, v183
	s_delay_alu instid0(VALU_DEP_4)
	v_min3_f32 v107, v19, v17, v29
	v_add_f32_e32 v17, v164, v184
	v_add_f32_e32 v19, v163, v183
	v_min3_f32 v93, v16, v13, v82
	v_dual_add_f32 v16, v155, v191 :: v_dual_add_f32 v5, v152, v184
	v_add_f32_e32 v9, v164, v188
	s_delay_alu instid0(VALU_DEP_4)
	v_min3_f32 v102, v19, v17, v33
	v_add_f32_e32 v17, v152, v188
	v_add_f32_e32 v19, v151, v187
	;; [unrolled: 1-line block ×3, first 2 shown]
	v_min3_f32 v94, v12, v9, v63
	v_dual_add_f32 v9, v152, v192 :: v_dual_add_f32 v12, v151, v191
	s_delay_alu instid0(VALU_DEP_4)
	v_min3_f32 v97, v19, v17, v37
	v_add_f32_e32 v17, v172, v188
	v_add_f32_e32 v19, v171, v187
	v_min3_f32 v87, v16, v13, v18
	v_min3_f32 v88, v12, v9, v11
	v_add_f32_e32 v9, v171, v191
	v_add_f32_e32 v11, v175, v191
	v_min3_f32 v91, v19, v17, v41
	v_add_f32_e32 v17, v160, v192
	v_dual_add_f32 v19, v159, v191 :: v_dual_add_f32 v12, v180, v192
	v_add_f32_e32 v13, v179, v191
	s_delay_alu instid0(VALU_DEP_2) | instskip(SKIP_4) | instid1(VALU_DEP_2)
	v_min3_f32 v86, v19, v17, v2
	v_add_f32_e32 v2, v163, v191
	v_min3_f32 v101, v4, v1, v36
	v_dual_add_f32 v1, v156, v188 :: v_dual_add_f32 v4, v155, v187
	v_min3_f32 v92, v13, v12, v6
	v_min3_f32 v96, v4, v1, v40
	v_add_f32_e32 v4, v175, v187
	v_min3_f32 v105, v8, v5, v57
	v_dual_add_f32 v5, v172, v184 :: v_dual_add_f32 v8, v171, v183
	v_add_f32_e32 v1, v176, v188
	s_delay_alu instid0(VALU_DEP_2) | instskip(SKIP_1) | instid1(VALU_DEP_3)
	v_min3_f32 v100, v8, v5, v43
	v_dual_add_f32 v5, v160, v188 :: v_dual_add_f32 v8, v159, v187
	v_min3_f32 v90, v4, v1, v42
	v_add_f32_e32 v1, v164, v192
	v_add_f32_e32 v4, v168, v192
	s_delay_alu instid0(VALU_DEP_4) | instskip(SKIP_1) | instid1(VALU_DEP_4)
	v_min3_f32 v95, v8, v5, v62
	v_dual_add_f32 v5, v180, v188 :: v_dual_add_f32 v8, v179, v187
	v_min3_f32 v85, v2, v1, v3
	s_delay_alu instid0(VALU_DEP_2) | instskip(SKIP_2) | instid1(VALU_DEP_2)
	v_min3_f32 v89, v8, v5, v10
	v_dual_add_f32 v5, v167, v191 :: v_dual_add_f32 v8, v172, v192
	v_add_f32_e32 v10, v176, v192
	v_min3_f32 v84, v5, v4, v7
	s_delay_alu instid0(VALU_DEP_3) | instskip(NEXT) | instid1(VALU_DEP_3)
	v_min3_f32 v83, v9, v8, v14
	v_min3_f32 v82, v11, v10, v15
	s_cbranch_scc1 .LBB57_50
.LBB57_30:                              ; =>This Inner Loop Header: Depth=1
	v_add_nc_u32_e32 v4, s25, v70
	s_delay_alu instid0(VALU_DEP_1) | instskip(NEXT) | instid1(VALU_DEP_1)
	v_add_nc_u32_e32 v2, 8, v4
	v_min_i32_e32 v3, s27, v2
	v_cmp_le_i32_e64 s6, s18, v2
	s_delay_alu instid0(VALU_DEP_2) | instskip(NEXT) | instid1(VALU_DEP_1)
	v_mad_i64_i32 v[0:1], null, v3, s19, 0
	v_lshlrev_b64 v[0:1], 2, v[0:1]
	s_delay_alu instid0(VALU_DEP_1) | instskip(NEXT) | instid1(VALU_DEP_1)
	v_add_co_u32 v0, s7, s22, v0
	v_add_co_ci_u32_e64 v1, s7, s23, v1, s7
	s_or_b32 s7, vcc_lo, s6
	s_delay_alu instid0(SALU_CYCLE_1) | instskip(SKIP_1) | instid1(SALU_CYCLE_1)
	v_cndmask_b32_e64 v145, 0, 0x7f7fffff, s7
	s_or_b32 s7, s14, s7
	s_xor_b32 s7, s7, -1
	s_delay_alu instid0(SALU_CYCLE_1)
	s_and_saveexec_b32 s28, s7
	s_cbranch_execz .LBB57_32
; %bb.31:                               ;   in Loop: Header=BB57_30 Depth=1
	v_add_co_u32 v2, s7, v0, v64
	s_delay_alu instid0(VALU_DEP_1)
	v_add_co_ci_u32_e64 v3, s7, v1, v65, s7
	flat_load_b32 v2, v[2:3]
	s_waitcnt vmcnt(0) lgkmcnt(0)
	v_mul_f32_e32 v145, s26, v2
.LBB57_32:                              ;   in Loop: Header=BB57_30 Depth=1
	s_or_b32 exec_lo, exec_lo, s28
	s_or_b32 s7, s2, s6
	s_delay_alu instid0(SALU_CYCLE_1) | instskip(SKIP_1) | instid1(SALU_CYCLE_1)
	v_cndmask_b32_e64 v146, 0, 0x7f7fffff, s7
	s_or_b32 s7, s14, s7
	s_xor_b32 s7, s7, -1
	s_delay_alu instid0(SALU_CYCLE_1)
	s_and_saveexec_b32 s28, s7
	s_cbranch_execz .LBB57_34
; %bb.33:                               ;   in Loop: Header=BB57_30 Depth=1
	v_add_co_u32 v2, s7, v0, v64
	s_delay_alu instid0(VALU_DEP_1)
	v_add_co_ci_u32_e64 v3, s7, v1, v65, s7
	flat_load_b32 v2, v[2:3] offset:256
	s_waitcnt vmcnt(0) lgkmcnt(0)
	v_mul_f32_e32 v146, s26, v2
.LBB57_34:                              ;   in Loop: Header=BB57_30 Depth=1
	s_or_b32 exec_lo, exec_lo, s28
	s_or_b32 s7, s3, s6
	s_delay_alu instid0(SALU_CYCLE_1) | instskip(SKIP_1) | instid1(SALU_CYCLE_1)
	v_cndmask_b32_e64 v147, 0, 0x7f7fffff, s7
	s_or_b32 s7, s14, s7
	s_xor_b32 s7, s7, -1
	s_delay_alu instid0(SALU_CYCLE_1)
	s_and_saveexec_b32 s28, s7
	s_cbranch_execz .LBB57_36
; %bb.35:                               ;   in Loop: Header=BB57_30 Depth=1
	v_add_co_u32 v2, s7, v0, v64
	s_delay_alu instid0(VALU_DEP_1)
	v_add_co_ci_u32_e64 v3, s7, v1, v65, s7
	flat_load_b32 v2, v[2:3] offset:512
	s_waitcnt vmcnt(0) lgkmcnt(0)
	v_mul_f32_e32 v147, s26, v2
.LBB57_36:                              ;   in Loop: Header=BB57_30 Depth=1
	;; [unrolled: 17-line block ×3, first 2 shown]
	s_or_b32 exec_lo, exec_lo, s7
	v_add_nc_u32_e32 v149, s25, v72
	s_delay_alu instid0(VALU_DEP_1) | instskip(NEXT) | instid1(VALU_DEP_1)
	v_add_nc_u32_e32 v0, 8, v149
	v_cmp_le_i32_e64 s6, s18, v0
	s_delay_alu instid0(VALU_DEP_1) | instskip(NEXT) | instid1(SALU_CYCLE_1)
	s_or_b32 s6, s6, s5
	v_cndmask_b32_e64 v150, 0, 0x7f7fffff, s6
	s_or_b32 s6, s14, s6
	s_delay_alu instid0(SALU_CYCLE_1) | instskip(NEXT) | instid1(SALU_CYCLE_1)
	s_xor_b32 s6, s6, -1
	s_and_saveexec_b32 s7, s6
	s_cbranch_execz .LBB57_40
; %bb.39:                               ;   in Loop: Header=BB57_30 Depth=1
	v_add_co_u32 v0, s6, -16, v66
	s_delay_alu instid0(VALU_DEP_1)
	v_add_co_ci_u32_e64 v1, s6, -1, v67, s6
	flat_load_b32 v0, v[0:1]
	s_waitcnt vmcnt(0) lgkmcnt(0)
	v_mul_f32_e32 v150, s26, v0
.LBB57_40:                              ;   in Loop: Header=BB57_30 Depth=1
	s_or_b32 exec_lo, exec_lo, s7
	v_add_nc_u32_e32 v153, 12, v4
	ds_load_b128 v[20:23], v144
	ds_load_b128 v[16:19], v144 offset:512
	ds_load_b128 v[8:11], v144 offset:1024
	;; [unrolled: 1-line block ×7, first 2 shown]
	ds_load_b128 v[60:63], v142
	ds_load_b128 v[56:59], v142 offset:128
	ds_load_b128 v[52:55], v142 offset:256
	;; [unrolled: 1-line block ×3, first 2 shown]
	v_min_i32_e32 v28, s27, v153
	v_cmp_le_i32_e64 s6, s18, v153
	s_delay_alu instid0(VALU_DEP_2)
	v_mad_i64_i32 v[151:152], null, v28, s19, 0
	ds_load_b128 v[44:47], v142 offset:512
	ds_load_b128 v[40:43], v142 offset:640
	;; [unrolled: 1-line block ×4, first 2 shown]
	ds_store_2addr_stride64_b32 v74, v145, v146 offset1:4
	ds_store_b32 v121, v150
	s_or_b32 s28, vcc_lo, s6
	ds_store_2addr_stride64_b32 v74, v147, v148 offset0:8 offset1:12
	s_waitcnt lgkmcnt(0)
	v_lshlrev_b64 v[145:146], 2, v[151:152]
	s_barrier
	buffer_gl0_inv
	v_add_co_u32 v150, s7, s22, v145
	s_delay_alu instid0(VALU_DEP_1) | instskip(SKIP_2) | instid1(SALU_CYCLE_1)
	v_add_co_ci_u32_e64 v151, s7, s23, v146, s7
	v_cndmask_b32_e64 v145, 0, 0x7f7fffff, s28
	s_or_b32 s7, s14, s28
	s_xor_b32 s7, s7, -1
	s_delay_alu instid0(SALU_CYCLE_1)
	s_and_saveexec_b32 s28, s7
	s_cbranch_execz .LBB57_42
; %bb.41:                               ;   in Loop: Header=BB57_30 Depth=1
	v_add_co_u32 v145, s7, v150, v64
	s_delay_alu instid0(VALU_DEP_1)
	v_add_co_ci_u32_e64 v146, s7, v151, v65, s7
	flat_load_b32 v145, v[145:146]
	s_waitcnt vmcnt(0) lgkmcnt(0)
	v_mul_f32_e32 v145, s26, v145
.LBB57_42:                              ;   in Loop: Header=BB57_30 Depth=1
	s_or_b32 exec_lo, exec_lo, s28
	s_or_b32 s7, s2, s6
	s_delay_alu instid0(SALU_CYCLE_1) | instskip(SKIP_1) | instid1(SALU_CYCLE_1)
	v_cndmask_b32_e64 v146, 0, 0x7f7fffff, s7
	s_or_b32 s7, s14, s7
	s_xor_b32 s7, s7, -1
	s_delay_alu instid0(SALU_CYCLE_1)
	s_and_saveexec_b32 s28, s7
	s_cbranch_execz .LBB57_44
; %bb.43:                               ;   in Loop: Header=BB57_30 Depth=1
	v_add_co_u32 v146, s7, v150, v64
	s_delay_alu instid0(VALU_DEP_1)
	v_add_co_ci_u32_e64 v147, s7, v151, v65, s7
	flat_load_b32 v146, v[146:147] offset:256
	s_waitcnt vmcnt(0) lgkmcnt(0)
	v_mul_f32_e32 v146, s26, v146
.LBB57_44:                              ;   in Loop: Header=BB57_30 Depth=1
	s_or_b32 exec_lo, exec_lo, s28
	s_or_b32 s7, s3, s6
	s_delay_alu instid0(SALU_CYCLE_1) | instskip(SKIP_1) | instid1(SALU_CYCLE_1)
	v_cndmask_b32_e64 v147, 0, 0x7f7fffff, s7
	s_or_b32 s7, s14, s7
	s_xor_b32 s7, s7, -1
	s_delay_alu instid0(SALU_CYCLE_1)
	s_and_saveexec_b32 s28, s7
	s_cbranch_execz .LBB57_46
; %bb.45:                               ;   in Loop: Header=BB57_30 Depth=1
	v_add_co_u32 v147, s7, v150, v64
	s_delay_alu instid0(VALU_DEP_1)
	v_add_co_ci_u32_e64 v148, s7, v151, v65, s7
	flat_load_b32 v147, v[147:148] offset:512
	s_waitcnt vmcnt(0) lgkmcnt(0)
	v_mul_f32_e32 v147, s26, v147
.LBB57_46:                              ;   in Loop: Header=BB57_30 Depth=1
	;; [unrolled: 17-line block ×3, first 2 shown]
	s_or_b32 exec_lo, exec_lo, s7
	v_dual_add_f32 v150, v21, v61 :: v_dual_add_f32 v151, v20, v60
	v_dual_add_f32 v152, v17, v61 :: v_dual_add_f32 v153, v16, v60
	;; [unrolled: 1-line block ×4, first 2 shown]
	s_delay_alu instid0(VALU_DEP_4) | instskip(NEXT) | instid1(VALU_DEP_4)
	v_min3_f32 v81, v151, v150, v81
	v_min3_f32 v79, v153, v152, v79
	s_delay_alu instid0(VALU_DEP_4)
	v_min3_f32 v77, v155, v154, v77
	v_dual_add_f32 v150, v33, v61 :: v_dual_add_f32 v151, v32, v60
	v_min3_f32 v75, v157, v156, v75
	v_dual_add_f32 v152, v25, v61 :: v_dual_add_f32 v153, v24, v60
	v_dual_add_f32 v154, v13, v61 :: v_dual_add_f32 v155, v12, v60
	;; [unrolled: 1-line block ×4, first 2 shown]
	v_min3_f32 v76, v151, v150, v76
	v_min3_f32 v78, v153, v152, v78
	s_delay_alu instid0(VALU_DEP_4)
	v_min3_f32 v60, v60, v61, v140
	v_add_f32_e32 v140, v16, v56
	v_min3_f32 v61, v157, v156, v139
	v_add_f32_e32 v139, v17, v57
	v_dual_add_f32 v150, v9, v57 :: v_dual_add_f32 v151, v8, v56
	v_dual_add_f32 v152, v1, v57 :: v_dual_add_f32 v153, v0, v56
	v_min3_f32 v80, v155, v154, v80
	v_dual_add_f32 v154, v33, v57 :: v_dual_add_f32 v155, v32, v56
	v_dual_add_f32 v156, v25, v57 :: v_dual_add_f32 v157, v24, v56
	v_min3_f32 v138, v140, v139, v138
	v_min3_f32 v137, v151, v150, v137
	;; [unrolled: 1-line block ×3, first 2 shown]
	v_dual_add_f32 v139, v13, v57 :: v_dual_add_f32 v140, v12, v56
	v_dual_add_f32 v57, v5, v57 :: v_dual_add_f32 v56, v4, v56
	;; [unrolled: 1-line block ×4, first 2 shown]
	v_min3_f32 v135, v155, v154, v135
	v_dual_add_f32 v154, v9, v53 :: v_dual_add_f32 v155, v8, v52
	v_min3_f32 v133, v140, v139, v133
	v_min3_f32 v131, v56, v57, v131
	v_min3_f32 v130, v151, v150, v130
	v_min3_f32 v129, v153, v152, v129
	v_dual_add_f32 v56, v1, v53 :: v_dual_add_f32 v57, v0, v52
	v_dual_add_f32 v139, v33, v53 :: v_dual_add_f32 v140, v32, v52
	;; [unrolled: 1-line block ×5, first 2 shown]
	v_min3_f32 v127, v57, v56, v127
	v_dual_add_f32 v56, v17, v49 :: v_dual_add_f32 v57, v16, v48
	v_min3_f32 v126, v140, v139, v126
	s_delay_alu instid0(VALU_DEP_4)
	v_min3_f32 v123, v52, v53, v123
	v_dual_add_f32 v52, v21, v49 :: v_dual_add_f32 v53, v20, v48
	v_min3_f32 v125, v151, v150, v125
	v_min3_f32 v124, v153, v152, v124
	v_dual_add_f32 v139, v9, v49 :: v_dual_add_f32 v140, v8, v48
	v_dual_add_f32 v150, v1, v49 :: v_dual_add_f32 v151, v0, v48
	v_dual_add_f32 v152, v33, v49 :: v_dual_add_f32 v153, v32, v48
	v_min3_f32 v122, v53, v52, v122
	v_min3_f32 v120, v57, v56, v120
	v_dual_add_f32 v52, v25, v49 :: v_dual_add_f32 v53, v24, v48
	v_dual_add_f32 v56, v13, v49 :: v_dual_add_f32 v57, v12, v48
	;; [unrolled: 5-line block ×3, first 2 shown]
	v_min3_f32 v116, v53, v52, v116
	v_min3_f32 v115, v57, v56, v115
	;; [unrolled: 1-line block ×3, first 2 shown]
	v_dual_add_f32 v48, v9, v45 :: v_dual_add_f32 v49, v8, v44
	v_dual_add_f32 v52, v1, v45 :: v_dual_add_f32 v53, v0, v44
	;; [unrolled: 1-line block ×3, first 2 shown]
	v_min3_f32 v113, v140, v139, v113
	v_min3_f32 v112, v151, v150, v112
	v_dual_add_f32 v139, v25, v45 :: v_dual_add_f32 v140, v24, v44
	v_dual_add_f32 v150, v13, v45 :: v_dual_add_f32 v151, v12, v44
	v_min3_f32 v111, v49, v48, v111
	v_min3_f32 v110, v53, v52, v110
	;; [unrolled: 1-line block ×3, first 2 shown]
	v_dual_add_f32 v45, v5, v45 :: v_dual_add_f32 v44, v4, v44
	v_dual_add_f32 v48, v21, v41 :: v_dual_add_f32 v49, v20, v40
	v_dual_add_f32 v52, v17, v41 :: v_dual_add_f32 v53, v16, v40
	v_dual_add_f32 v56, v9, v41 :: v_dual_add_f32 v57, v8, v40
	v_min3_f32 v108, v140, v139, v108
	v_dual_add_f32 v139, v1, v41 :: v_dual_add_f32 v140, v0, v40
	v_min3_f32 v106, v44, v45, v106
	v_min3_f32 v105, v49, v48, v105
	;; [unrolled: 1-line block ×4, first 2 shown]
	v_dual_add_f32 v44, v33, v41 :: v_dual_add_f32 v45, v32, v40
	v_dual_add_f32 v48, v25, v41 :: v_dual_add_f32 v49, v24, v40
	;; [unrolled: 1-line block ×5, first 2 shown]
	v_min3_f32 v101, v45, v44, v101
	v_min3_f32 v100, v49, v48, v100
	s_delay_alu instid0(VALU_DEP_4)
	v_min3_f32 v40, v40, v41, v98
	v_dual_add_f32 v44, v17, v37 :: v_dual_add_f32 v45, v16, v36
	v_min3_f32 v41, v57, v56, v97
	v_dual_add_f32 v48, v9, v37 :: v_dual_add_f32 v49, v8, v36
	v_dual_add_f32 v97, v25, v37 :: v_dual_add_f32 v98, v24, v36
	;; [unrolled: 1-line block ×4, first 2 shown]
	v_min3_f32 v99, v53, v52, v99
	v_dual_add_f32 v52, v1, v37 :: v_dual_add_f32 v53, v0, v36
	v_dual_add_f32 v56, v33, v37 :: v_dual_add_f32 v57, v32, v36
	v_min3_f32 v96, v45, v44, v96
	v_min3_f32 v91, v98, v97, v91
	v_dual_add_f32 v44, v13, v37 :: v_dual_add_f32 v45, v12, v36
	v_dual_add_f32 v37, v5, v37 :: v_dual_add_f32 v36, v4, v36
	;; [unrolled: 1-line block ×3, first 2 shown]
	v_min3_f32 v87, v16, v17, v87
	v_min3_f32 v97, v8, v9, v86
	v_dual_add_f32 v1, v1, v29 :: v_dual_add_f32 v0, v0, v28
	v_dual_add_f32 v8, v33, v29 :: v_dual_add_f32 v9, v32, v28
	v_dual_add_f32 v16, v25, v29 :: v_dual_add_f32 v17, v24, v28
	v_dual_add_f32 v13, v13, v29 :: v_dual_add_f32 v12, v12, v28
	v_dual_add_f32 v5, v5, v29 :: v_dual_add_f32 v4, v4, v28
	v_min3_f32 v102, v140, v139, v102
	v_min3_f32 v88, v20, v21, v88
	v_min3_f32 v0, v0, v1, v85
	v_min3_f32 v98, v9, v8, v84
	v_min3_f32 v139, v17, v16, v83
	v_min3_f32 v140, v12, v13, v82
	v_min3_f32 v92, v4, v5, v92
	v_dual_add_f32 v1, v23, v63 :: v_dual_add_f32 v4, v22, v62
	v_dual_add_f32 v5, v19, v63 :: v_dual_add_f32 v8, v18, v62
	v_dual_add_f32 v9, v11, v63 :: v_dual_add_f32 v12, v10, v62
	v_dual_add_f32 v13, v3, v63 :: v_dual_add_f32 v16, v2, v62
	v_dual_add_f32 v17, v35, v63 :: v_dual_add_f32 v20, v34, v62
	v_min3_f32 v95, v49, v48, v95
	v_min3_f32 v90, v45, v44, v90
	v_min3_f32 v44, v4, v1, v81
	v_min3_f32 v45, v8, v5, v79
	v_min3_f32 v48, v12, v9, v77
	;; [unrolled: 12-line block ×5, first 2 shown]
	v_min3_f32 v16, v32, v29, v127
	v_dual_add_f32 v17, v35, v55 :: v_dual_add_f32 v20, v34, v54
	v_dual_add_f32 v21, v27, v55 :: v_dual_add_f32 v24, v26, v54
	;; [unrolled: 1-line block ×5, first 2 shown]
	v_min3_f32 v117, v153, v152, v117
	v_min3_f32 v54, v20, v17, v126
	;; [unrolled: 1-line block ×6, first 2 shown]
	v_dual_add_f32 v21, v19, v51 :: v_dual_add_f32 v24, v18, v50
	v_dual_add_f32 v25, v11, v51 :: v_dual_add_f32 v28, v10, v50
	;; [unrolled: 1-line block ×4, first 2 shown]
	v_add_f32_e32 v37, v27, v51
	v_add_f32_e32 v77, v26, v50
	v_min3_f32 v63, v24, v21, v120
	v_min3_f32 v75, v28, v25, v119
	;; [unrolled: 1-line block ×4, first 2 shown]
	v_dual_add_f32 v25, v15, v51 :: v_dual_add_f32 v32, v6, v50
	v_add_f32_e32 v28, v14, v50
	v_min3_f32 v24, v77, v37, v116
	v_dual_add_f32 v29, v7, v51 :: v_dual_add_f32 v36, v22, v46
	v_dual_add_f32 v33, v23, v47 :: v_dual_add_f32 v78, v18, v46
	;; [unrolled: 1-line block ×3, first 2 shown]
	v_add_f32_e32 v79, v11, v47
	v_min3_f32 v107, v151, v150, v107
	v_min3_f32 v50, v28, v25, v115
	;; [unrolled: 1-line block ×3, first 2 shown]
	v_add_f32_e32 v32, v2, v46
	v_min3_f32 v77, v36, v33, v113
	v_min3_f32 v25, v78, v37, v112
	;; [unrolled: 1-line block ×3, first 2 shown]
	v_dual_add_f32 v29, v3, v47 :: v_dual_add_f32 v36, v34, v46
	v_dual_add_f32 v33, v35, v47 :: v_dual_add_f32 v78, v26, v46
	;; [unrolled: 1-line block ×4, first 2 shown]
	v_add_f32_e32 v81, v7, v47
	v_min3_f32 v46, v32, v29, v110
	v_min3_f32 v47, v36, v33, v109
	v_add_f32_e32 v36, v22, v42
	v_min3_f32 v78, v78, v37, v108
	v_min3_f32 v29, v80, v79, v107
	;; [unrolled: 1-line block ×3, first 2 shown]
	v_dual_add_f32 v33, v23, v43 :: v_dual_add_f32 v80, v18, v42
	v_dual_add_f32 v37, v19, v43 :: v_dual_add_f32 v82, v10, v42
	;; [unrolled: 1-line block ×4, first 2 shown]
	v_add_f32_e32 v85, v35, v43
	v_min3_f32 v79, v36, v33, v105
	v_min3_f32 v80, v80, v37, v104
	;; [unrolled: 1-line block ×3, first 2 shown]
	v_add_f32_e32 v82, v26, v42
	v_min3_f32 v33, v84, v83, v102
	v_min3_f32 v36, v86, v85, v101
	v_dual_add_f32 v37, v27, v43 :: v_dual_add_f32 v84, v14, v42
	v_dual_add_f32 v83, v15, v43 :: v_dual_add_f32 v42, v6, v42
	v_add_f32_e32 v85, v7, v43
	v_dual_add_f32 v86, v23, v39 :: v_dual_add_f32 v101, v22, v38
	v_dual_add_f32 v102, v19, v39 :: v_dual_add_f32 v103, v18, v38
	v_min3_f32 v43, v82, v37, v100
	v_min3_f32 v82, v84, v83, v99
	;; [unrolled: 1-line block ×5, first 2 shown]
	v_add_f32_e32 v96, v35, v39
	v_dual_add_f32 v41, v11, v39 :: v_dual_add_f32 v86, v2, v38
	v_dual_add_f32 v42, v10, v38 :: v_dual_add_f32 v85, v3, v39
	;; [unrolled: 1-line block ×4, first 2 shown]
	v_add_f32_e32 v103, v14, v38
	v_dual_add_f32 v39, v7, v39 :: v_dual_add_f32 v22, v22, v30
	v_dual_add_f32 v23, v23, v31 :: v_dual_add_f32 v18, v18, v30
	v_min3_f32 v84, v42, v41, v95
	s_delay_alu instid0(VALU_DEP_4)
	v_min3_f32 v42, v103, v102, v90
	v_add_f32_e32 v19, v19, v31
	v_add_f32_e32 v90, v11, v31
	v_min3_f32 v11, v22, v23, v88
	v_dual_add_f32 v23, v26, v30 :: v_dual_add_nc_u32 v26, 12, v149
	v_add_f32_e32 v38, v6, v38
	v_min3_f32 v85, v86, v85, v94
	v_min3_f32 v86, v99, v96, v93
	v_dual_add_f32 v3, v3, v31 :: v_dual_add_f32 v6, v6, v30
	v_dual_add_f32 v93, v2, v30 :: v_dual_add_f32 v22, v27, v31
	v_cmp_le_i32_e64 s6, s18, v26
	v_min3_f32 v41, v101, v100, v91
	v_add_f32_e32 v91, v10, v30
	v_min3_f32 v18, v18, v19, v87
	v_min3_f32 v3, v93, v3, v0
	v_dual_add_f32 v0, v35, v31 :: v_dual_add_f32 v19, v34, v30
	v_add_f32_e32 v15, v15, v31
	v_add_f32_e32 v27, v14, v30
	;; [unrolled: 1-line block ×3, first 2 shown]
	s_or_b32 s6, s6, s5
	v_min3_f32 v10, v38, v39, v89
	v_min3_f32 v2, v91, v90, v97
	;; [unrolled: 1-line block ×6, first 2 shown]
	v_cndmask_b32_e64 v0, 0, 0x7f7fffff, s6
	s_or_b32 s6, s14, s6
	s_delay_alu instid0(SALU_CYCLE_1) | instskip(NEXT) | instid1(SALU_CYCLE_1)
	s_xor_b32 s7, s6, -1
	s_and_saveexec_b32 s6, s7
	s_cbranch_execz .LBB57_29
; %bb.49:                               ;   in Loop: Header=BB57_30 Depth=1
	flat_load_b32 v0, v[66:67]
	s_waitcnt vmcnt(0) lgkmcnt(0)
	v_mul_f32_e32 v0, s26, v0
	s_branch .LBB57_29
.LBB57_50:
	s_clause 0x2
	s_load_b64 s[2:3], s[0:1], 0x78
	s_load_b32 s18, s[0:1], 0x58
	s_load_b32 s14, s[0:1], 0x70
	ds_load_b128 v[32:35], v71 offset:4096
	ds_load_b128 v[28:31], v71 offset:4608
	ds_load_b128 v[24:27], v71 offset:5120
	ds_load_b128 v[20:23], v71 offset:5632
	ds_load_b128 v[16:19], v71 offset:6144
	ds_load_b128 v[12:15], v71 offset:6656
	ds_load_b128 v[8:11], v71 offset:7168
	ds_load_b128 v[0:3], v71 offset:7680
	ds_load_b128 v[60:63], v73 offset:9216
	ds_load_b128 v[56:59], v73 offset:9344
	ds_load_b128 v[52:55], v73 offset:9472
	ds_load_b128 v[48:51], v73 offset:9600
	v_add_nc_u32_e32 v132, s9, v69
	ds_load_b128 v[44:47], v73 offset:9728
	ds_load_b128 v[40:43], v73 offset:9856
	;; [unrolled: 1-line block ×4, first 2 shown]
	v_cndmask_b32_e64 v121, 0, 1, s21
	s_waitcnt lgkmcnt(0)
	s_mul_i32 s1, s20, s3
	v_mad_i64_i32 v[64:65], null, v132, s18, 0
	v_mad_i64_i32 v[66:67], null, v132, s14, 0
	s_mul_hi_u32 s3, s20, s2
	s_mul_i32 s0, s20, s2
	s_add_i32 s1, s3, s1
	s_delay_alu instid0(SALU_CYCLE_1) | instskip(NEXT) | instid1(VALU_DEP_2)
	s_lshl_b64 s[0:1], s[0:1], 2
	v_lshlrev_b64 v[69:70], 2, v[64:65]
	s_delay_alu instid0(VALU_DEP_2)
	v_lshlrev_b64 v[65:66], 2, v[66:67]
	v_add_nc_u32_e32 v64, s8, v68
	s_add_u32 s9, s10, s0
	s_addc_u32 s10, s11, s1
	v_cmp_gt_i32_e64 s8, s17, v132
	v_add_co_u32 v143, vcc_lo, s12, v69
	v_add_co_ci_u32_e32 v144, vcc_lo, s13, v70, vcc_lo
	v_add_co_u32 v141, vcc_lo, s9, v65
	v_cmp_gt_i32_e64 s0, s16, v64
	v_add_co_ci_u32_e32 v142, vcc_lo, s10, v66, vcc_lo
	v_ashrrev_i32_e32 v65, 31, v64
	s_delay_alu instid0(VALU_DEP_3) | instskip(NEXT) | instid1(SALU_CYCLE_1)
	s_and_b32 s2, s0, s8
	s_and_saveexec_b32 s1, s2
	s_cbranch_execz .LBB57_55
; %bb.51:
	s_delay_alu instid0(VALU_DEP_1)
	v_lshlrev_b64 v[66:67], 2, v[64:65]
	s_and_not1_b32 vcc_lo, exec_lo, s21
	s_cbranch_vccnz .LBB57_53
; %bb.52:
	s_delay_alu instid0(VALU_DEP_1) | instskip(NEXT) | instid1(VALU_DEP_2)
	v_add_co_u32 v68, vcc_lo, v143, v66
	v_add_co_ci_u32_e32 v69, vcc_lo, v144, v67, vcc_lo
	flat_load_b32 v68, v[68:69]
	s_waitcnt vmcnt(0) lgkmcnt(0)
	v_mul_f32_e32 v68, s15, v68
	s_branch .LBB57_54
.LBB57_53:
	v_mov_b32_e32 v68, 0
.LBB57_54:
	v_dual_add_f32 v69, v33, v61 :: v_dual_add_f32 v70, v32, v60
	v_dual_add_f32 v71, v35, v63 :: v_dual_add_f32 v72, v34, v62
	v_add_co_u32 v66, vcc_lo, v141, v66
	s_delay_alu instid0(VALU_DEP_3) | instskip(SKIP_1) | instid1(VALU_DEP_4)
	v_min3_f32 v69, v70, v69, v81
	v_add_co_ci_u32_e32 v67, vcc_lo, v142, v67, vcc_lo
	v_min_f32_e32 v70, v72, v71
	s_delay_alu instid0(VALU_DEP_1)
	v_min3_f32 v68, v68, v70, v69
	global_store_b32 v[66:67], v68, off
.LBB57_55:
	s_or_b32 exec_lo, exec_lo, s1
	v_add_nc_u32_e32 v66, 32, v64
	s_delay_alu instid0(VALU_DEP_1) | instskip(SKIP_1) | instid1(VALU_DEP_2)
	v_cmp_gt_i32_e64 s1, s16, v66
	v_ashrrev_i32_e32 v67, 31, v66
	s_and_b32 s3, s1, s8
	s_delay_alu instid0(SALU_CYCLE_1)
	s_and_saveexec_b32 s2, s3
	s_cbranch_execz .LBB57_60
; %bb.56:
	v_cmp_ne_u32_e32 vcc_lo, 1, v121
	v_lshlrev_b64 v[68:69], 2, v[66:67]
	s_cbranch_vccnz .LBB57_58
; %bb.57:
	s_delay_alu instid0(VALU_DEP_1) | instskip(NEXT) | instid1(VALU_DEP_2)
	v_add_co_u32 v70, vcc_lo, v143, v68
	v_add_co_ci_u32_e32 v71, vcc_lo, v144, v69, vcc_lo
	flat_load_b32 v70, v[70:71]
	s_waitcnt vmcnt(0) lgkmcnt(0)
	v_mul_f32_e32 v70, s15, v70
	s_branch .LBB57_59
.LBB57_58:
	v_mov_b32_e32 v70, 0
.LBB57_59:
	v_dual_add_f32 v71, v29, v61 :: v_dual_add_f32 v72, v28, v60
	v_dual_add_f32 v73, v31, v63 :: v_dual_add_f32 v74, v30, v62
	s_delay_alu instid0(VALU_DEP_4) | instskip(NEXT) | instid1(VALU_DEP_3)
	v_add_co_u32 v68, vcc_lo, v141, v68
	v_min3_f32 v71, v72, v71, v79
	v_add_co_ci_u32_e32 v69, vcc_lo, v142, v69, vcc_lo
	s_delay_alu instid0(VALU_DEP_4) | instskip(NEXT) | instid1(VALU_DEP_1)
	v_min_f32_e32 v72, v74, v73
	v_min3_f32 v70, v70, v72, v71
	global_store_b32 v[68:69], v70, off
.LBB57_60:
	s_or_b32 exec_lo, exec_lo, s2
	v_add_nc_u32_e32 v68, 64, v64
	s_delay_alu instid0(VALU_DEP_1) | instskip(SKIP_1) | instid1(VALU_DEP_2)
	v_cmp_gt_i32_e64 s2, s16, v68
	v_ashrrev_i32_e32 v69, 31, v68
	s_and_b32 s4, s2, s8
	s_delay_alu instid0(SALU_CYCLE_1)
	s_and_saveexec_b32 s3, s4
	s_cbranch_execz .LBB57_65
; %bb.61:
	v_cmp_ne_u32_e32 vcc_lo, 1, v121
	v_lshlrev_b64 v[70:71], 2, v[68:69]
	s_cbranch_vccnz .LBB57_63
; %bb.62:
	s_delay_alu instid0(VALU_DEP_1) | instskip(NEXT) | instid1(VALU_DEP_2)
	v_add_co_u32 v72, vcc_lo, v143, v70
	v_add_co_ci_u32_e32 v73, vcc_lo, v144, v71, vcc_lo
	flat_load_b32 v72, v[72:73]
	s_waitcnt vmcnt(0) lgkmcnt(0)
	v_mul_f32_e32 v72, s15, v72
	s_branch .LBB57_64
.LBB57_63:
	v_mov_b32_e32 v72, 0
.LBB57_64:
	v_dual_add_f32 v73, v25, v61 :: v_dual_add_f32 v74, v24, v60
	v_add_f32_e32 v79, v27, v63
	v_add_f32_e32 v81, v26, v62
	v_add_co_u32 v70, vcc_lo, v141, v70
	s_delay_alu instid0(VALU_DEP_4) | instskip(SKIP_1) | instid1(VALU_DEP_4)
	v_min3_f32 v73, v74, v73, v77
	v_add_co_ci_u32_e32 v71, vcc_lo, v142, v71, vcc_lo
	v_min_f32_e32 v74, v81, v79
	s_delay_alu instid0(VALU_DEP_1)
	v_min3_f32 v72, v72, v74, v73
	global_store_b32 v[70:71], v72, off
.LBB57_65:
	s_or_b32 exec_lo, exec_lo, s3
	v_add_nc_u32_e32 v70, 0x60, v64
	s_delay_alu instid0(VALU_DEP_1) | instskip(SKIP_1) | instid1(VALU_DEP_2)
	v_cmp_gt_i32_e64 s3, s16, v70
	v_ashrrev_i32_e32 v71, 31, v70
	s_and_b32 s5, s3, s8
	s_delay_alu instid0(SALU_CYCLE_1)
	s_and_saveexec_b32 s4, s5
	s_cbranch_execz .LBB57_70
; %bb.66:
	v_cmp_ne_u32_e32 vcc_lo, 1, v121
	v_lshlrev_b64 v[72:73], 2, v[70:71]
	s_cbranch_vccnz .LBB57_68
; %bb.67:
	s_delay_alu instid0(VALU_DEP_1) | instskip(NEXT) | instid1(VALU_DEP_2)
	v_add_co_u32 v145, vcc_lo, v143, v72
	v_add_co_ci_u32_e32 v146, vcc_lo, v144, v73, vcc_lo
	flat_load_b32 v74, v[145:146]
	s_waitcnt vmcnt(0) lgkmcnt(0)
	v_mul_f32_e32 v74, s15, v74
	s_branch .LBB57_69
.LBB57_68:
	v_mov_b32_e32 v74, 0
.LBB57_69:
	v_add_f32_e32 v77, v21, v61
	v_add_f32_e32 v79, v20, v60
	;; [unrolled: 1-line block ×4, first 2 shown]
	v_add_co_u32 v72, vcc_lo, v141, v72
	s_delay_alu instid0(VALU_DEP_4) | instskip(SKIP_1) | instid1(VALU_DEP_4)
	v_min3_f32 v75, v79, v77, v75
	v_add_co_ci_u32_e32 v73, vcc_lo, v142, v73, vcc_lo
	v_min_f32_e32 v77, v145, v81
	s_delay_alu instid0(VALU_DEP_1)
	v_min3_f32 v74, v74, v77, v75
	global_store_b32 v[72:73], v74, off
.LBB57_70:
	s_or_b32 exec_lo, exec_lo, s4
	v_add_nc_u32_e32 v72, 0x80, v64
	s_delay_alu instid0(VALU_DEP_1) | instskip(SKIP_1) | instid1(VALU_DEP_2)
	v_cmp_gt_i32_e64 s4, s16, v72
	v_ashrrev_i32_e32 v73, 31, v72
	s_and_b32 s6, s4, s8
	s_delay_alu instid0(SALU_CYCLE_1)
	s_and_saveexec_b32 s5, s6
	s_cbranch_execz .LBB57_75
; %bb.71:
	v_cmp_ne_u32_e32 vcc_lo, 1, v121
	v_lshlrev_b64 v[74:75], 2, v[72:73]
	s_cbranch_vccnz .LBB57_73
; %bb.72:
	s_delay_alu instid0(VALU_DEP_1) | instskip(NEXT) | instid1(VALU_DEP_2)
	v_add_co_u32 v145, vcc_lo, v143, v74
	v_add_co_ci_u32_e32 v146, vcc_lo, v144, v75, vcc_lo
	flat_load_b32 v77, v[145:146]
	s_waitcnt vmcnt(0) lgkmcnt(0)
	v_mul_f32_e32 v77, s15, v77
	s_branch .LBB57_74
.LBB57_73:
	v_mov_b32_e32 v77, 0
.LBB57_74:
	v_dual_add_f32 v79, v17, v61 :: v_dual_add_f32 v146, v18, v62
	v_add_f32_e32 v81, v16, v60
	v_add_f32_e32 v145, v19, v63
	v_add_co_u32 v74, vcc_lo, v141, v74
	v_add_co_ci_u32_e32 v75, vcc_lo, v142, v75, vcc_lo
	s_delay_alu instid0(VALU_DEP_4) | instskip(NEXT) | instid1(VALU_DEP_4)
	v_min3_f32 v76, v81, v79, v76
	v_min_f32_e32 v79, v146, v145
	s_delay_alu instid0(VALU_DEP_1)
	v_min3_f32 v76, v77, v79, v76
	global_store_b32 v[74:75], v76, off
.LBB57_75:
	s_or_b32 exec_lo, exec_lo, s5
	v_add_nc_u32_e32 v74, 0xa0, v64
	s_delay_alu instid0(VALU_DEP_1) | instskip(SKIP_1) | instid1(VALU_DEP_2)
	v_cmp_gt_i32_e64 s5, s16, v74
	v_ashrrev_i32_e32 v75, 31, v74
	s_and_b32 s7, s5, s8
	s_delay_alu instid0(SALU_CYCLE_1)
	s_and_saveexec_b32 s6, s7
	s_cbranch_execz .LBB57_80
; %bb.76:
	v_cmp_ne_u32_e32 vcc_lo, 1, v121
	v_lshlrev_b64 v[76:77], 2, v[74:75]
	s_cbranch_vccnz .LBB57_78
; %bb.77:
	s_delay_alu instid0(VALU_DEP_1) | instskip(NEXT) | instid1(VALU_DEP_2)
	v_add_co_u32 v145, vcc_lo, v143, v76
	v_add_co_ci_u32_e32 v146, vcc_lo, v144, v77, vcc_lo
	flat_load_b32 v79, v[145:146]
	s_waitcnt vmcnt(0) lgkmcnt(0)
	v_mul_f32_e32 v79, s15, v79
	s_branch .LBB57_79
.LBB57_78:
	v_mov_b32_e32 v79, 0
.LBB57_79:
	v_dual_add_f32 v81, v13, v61 :: v_dual_add_f32 v146, v15, v63
	v_add_f32_e32 v145, v12, v60
	v_add_f32_e32 v147, v14, v62
	v_add_co_u32 v76, vcc_lo, v141, v76
	v_add_co_ci_u32_e32 v77, vcc_lo, v142, v77, vcc_lo
	s_delay_alu instid0(VALU_DEP_4) | instskip(NEXT) | instid1(VALU_DEP_4)
	v_min3_f32 v78, v145, v81, v78
	v_min_f32_e32 v81, v147, v146
	s_delay_alu instid0(VALU_DEP_1)
	v_min3_f32 v78, v79, v81, v78
	global_store_b32 v[76:77], v78, off
.LBB57_80:
	s_or_b32 exec_lo, exec_lo, s6
	v_add_nc_u32_e32 v76, 0xc0, v64
	s_delay_alu instid0(VALU_DEP_1) | instskip(SKIP_1) | instid1(VALU_DEP_2)
	v_cmp_gt_i32_e64 s6, s16, v76
	v_ashrrev_i32_e32 v77, 31, v76
	s_and_b32 s11, s6, s8
	s_delay_alu instid0(SALU_CYCLE_1)
	s_and_saveexec_b32 s7, s11
	s_cbranch_execz .LBB57_85
; %bb.81:
	v_cmp_ne_u32_e32 vcc_lo, 1, v121
	v_lshlrev_b64 v[78:79], 2, v[76:77]
	s_cbranch_vccnz .LBB57_83
; %bb.82:
	s_delay_alu instid0(VALU_DEP_1) | instskip(NEXT) | instid1(VALU_DEP_2)
	v_add_co_u32 v145, vcc_lo, v143, v78
	v_add_co_ci_u32_e32 v146, vcc_lo, v144, v79, vcc_lo
	flat_load_b32 v81, v[145:146]
	s_waitcnt vmcnt(0) lgkmcnt(0)
	v_mul_f32_e32 v81, s15, v81
	s_branch .LBB57_84
.LBB57_83:
	v_mov_b32_e32 v81, 0
.LBB57_84:
	v_dual_add_f32 v145, v9, v61 :: v_dual_add_f32 v146, v8, v60
	v_dual_add_f32 v147, v11, v63 :: v_dual_add_f32 v148, v10, v62
	s_delay_alu instid0(VALU_DEP_4) | instskip(NEXT) | instid1(VALU_DEP_3)
	v_add_co_u32 v78, vcc_lo, v141, v78
	v_min3_f32 v80, v146, v145, v80
	v_add_co_ci_u32_e32 v79, vcc_lo, v142, v79, vcc_lo
	s_delay_alu instid0(VALU_DEP_4) | instskip(NEXT) | instid1(VALU_DEP_1)
	v_min_f32_e32 v145, v148, v147
	v_min3_f32 v80, v81, v145, v80
	global_store_b32 v[78:79], v80, off
.LBB57_85:
	s_or_b32 exec_lo, exec_lo, s7
	v_add_nc_u32_e32 v78, 0xe0, v64
	s_delay_alu instid0(VALU_DEP_1) | instskip(SKIP_1) | instid1(VALU_DEP_2)
	v_cmp_gt_i32_e64 s7, s16, v78
	v_ashrrev_i32_e32 v79, 31, v78
	s_and_b32 s11, s7, s8
	s_delay_alu instid0(SALU_CYCLE_1)
	s_and_saveexec_b32 s8, s11
	s_cbranch_execz .LBB57_90
; %bb.86:
	v_cmp_ne_u32_e32 vcc_lo, 1, v121
	v_lshlrev_b64 v[80:81], 2, v[78:79]
	s_cbranch_vccnz .LBB57_88
; %bb.87:
	s_delay_alu instid0(VALU_DEP_1) | instskip(NEXT) | instid1(VALU_DEP_2)
	v_add_co_u32 v143, vcc_lo, v143, v80
	v_add_co_ci_u32_e32 v144, vcc_lo, v144, v81, vcc_lo
	flat_load_b32 v143, v[143:144]
	s_waitcnt vmcnt(0) lgkmcnt(0)
	v_mul_f32_e32 v143, s15, v143
	s_branch .LBB57_89
.LBB57_88:
	v_mov_b32_e32 v143, 0
.LBB57_89:
	v_dual_add_f32 v61, v1, v61 :: v_dual_add_f32 v60, v0, v60
	v_dual_add_f32 v63, v3, v63 :: v_dual_add_f32 v62, v2, v62
	s_delay_alu instid0(VALU_DEP_2) | instskip(NEXT) | instid1(VALU_DEP_2)
	v_min3_f32 v60, v60, v61, v140
	v_min_f32_e32 v61, v62, v63
	s_delay_alu instid0(VALU_DEP_1)
	v_min3_f32 v62, v143, v61, v60
	v_add_co_u32 v60, vcc_lo, v141, v80
	v_add_co_ci_u32_e32 v61, vcc_lo, v142, v81, vcc_lo
	global_store_b32 v[60:61], v62, off
.LBB57_90:
	s_or_b32 exec_lo, exec_lo, s8
	v_add_nc_u32_e32 v80, 8, v132
	s_delay_alu instid0(VALU_DEP_1) | instskip(SKIP_2) | instid1(VALU_DEP_3)
	v_mad_i64_i32 v[60:61], null, v80, s18, 0
	v_mad_i64_i32 v[62:63], null, v80, s14, 0
	v_cmp_gt_i32_e64 s8, s17, v80
	v_lshlrev_b64 v[60:61], 2, v[60:61]
	s_delay_alu instid0(VALU_DEP_2) | instskip(NEXT) | instid1(VALU_DEP_3)
	s_and_b32 s16, s0, s8
	v_lshlrev_b64 v[62:63], 2, v[62:63]
	s_delay_alu instid0(VALU_DEP_2) | instskip(NEXT) | instid1(VALU_DEP_3)
	v_add_co_u32 v80, vcc_lo, s12, v60
	v_add_co_ci_u32_e32 v81, vcc_lo, s13, v61, vcc_lo
	s_delay_alu instid0(VALU_DEP_3) | instskip(NEXT) | instid1(VALU_DEP_4)
	v_add_co_u32 v62, vcc_lo, s9, v62
	v_add_co_ci_u32_e32 v63, vcc_lo, s10, v63, vcc_lo
	s_and_saveexec_b32 s11, s16
	s_cbranch_execnz .LBB57_98
; %bb.91:
	s_or_b32 exec_lo, exec_lo, s11
	s_and_b32 s16, s1, s8
	s_delay_alu instid0(SALU_CYCLE_1)
	s_and_saveexec_b32 s11, s16
	s_cbranch_execnz .LBB57_102
.LBB57_92:
	s_or_b32 exec_lo, exec_lo, s11
	s_and_b32 s16, s2, s8
	s_delay_alu instid0(SALU_CYCLE_1)
	s_and_saveexec_b32 s11, s16
	s_cbranch_execnz .LBB57_106
.LBB57_93:
	s_or_b32 exec_lo, exec_lo, s11
	s_and_b32 s16, s3, s8
	s_delay_alu instid0(SALU_CYCLE_1)
	s_and_saveexec_b32 s11, s16
	s_cbranch_execnz .LBB57_110
.LBB57_94:
	s_or_b32 exec_lo, exec_lo, s11
	s_and_b32 s16, s4, s8
	s_delay_alu instid0(SALU_CYCLE_1)
	s_and_saveexec_b32 s11, s16
	s_cbranch_execnz .LBB57_114
.LBB57_95:
	s_or_b32 exec_lo, exec_lo, s11
	s_and_b32 s16, s5, s8
	s_delay_alu instid0(SALU_CYCLE_1)
	s_and_saveexec_b32 s11, s16
	s_cbranch_execnz .LBB57_118
.LBB57_96:
	s_or_b32 exec_lo, exec_lo, s11
	s_and_b32 s16, s6, s8
	s_delay_alu instid0(SALU_CYCLE_1)
	s_and_saveexec_b32 s11, s16
	s_cbranch_execnz .LBB57_122
.LBB57_97:
	s_or_b32 exec_lo, exec_lo, s11
	s_and_b32 s11, s7, s8
	s_delay_alu instid0(SALU_CYCLE_1)
	s_and_saveexec_b32 s8, s11
	s_cbranch_execnz .LBB57_126
	s_branch .LBB57_130
.LBB57_98:
	v_cmp_ne_u32_e32 vcc_lo, 1, v121
	v_lshlrev_b64 v[60:61], 2, v[64:65]
	s_cbranch_vccnz .LBB57_100
; %bb.99:
	s_delay_alu instid0(VALU_DEP_1) | instskip(NEXT) | instid1(VALU_DEP_2)
	v_add_co_u32 v140, vcc_lo, v80, v60
	v_add_co_ci_u32_e32 v141, vcc_lo, v81, v61, vcc_lo
	flat_load_b32 v140, v[140:141]
	s_waitcnt vmcnt(0) lgkmcnt(0)
	v_mul_f32_e32 v140, s15, v140
	s_branch .LBB57_101
.LBB57_100:
	v_mov_b32_e32 v140, 0
.LBB57_101:
	v_dual_add_f32 v141, v33, v57 :: v_dual_add_f32 v142, v32, v56
	v_dual_add_f32 v143, v35, v59 :: v_dual_add_f32 v144, v34, v58
	s_delay_alu instid0(VALU_DEP_4) | instskip(NEXT) | instid1(VALU_DEP_3)
	v_add_co_u32 v60, vcc_lo, v62, v60
	v_min3_f32 v139, v142, v141, v139
	v_add_co_ci_u32_e32 v61, vcc_lo, v63, v61, vcc_lo
	s_delay_alu instid0(VALU_DEP_4) | instskip(NEXT) | instid1(VALU_DEP_1)
	v_min_f32_e32 v141, v144, v143
	v_min3_f32 v139, v140, v141, v139
	global_store_b32 v[60:61], v139, off
	s_or_b32 exec_lo, exec_lo, s11
	s_and_b32 s16, s1, s8
	s_delay_alu instid0(SALU_CYCLE_1)
	s_and_saveexec_b32 s11, s16
	s_cbranch_execz .LBB57_92
.LBB57_102:
	v_cmp_ne_u32_e32 vcc_lo, 1, v121
	v_lshlrev_b64 v[60:61], 2, v[66:67]
	s_cbranch_vccnz .LBB57_104
; %bb.103:
	s_delay_alu instid0(VALU_DEP_1) | instskip(NEXT) | instid1(VALU_DEP_2)
	v_add_co_u32 v139, vcc_lo, v80, v60
	v_add_co_ci_u32_e32 v140, vcc_lo, v81, v61, vcc_lo
	flat_load_b32 v139, v[139:140]
	s_waitcnt vmcnt(0) lgkmcnt(0)
	v_mul_f32_e32 v139, s15, v139
	s_branch .LBB57_105
.LBB57_104:
	v_mov_b32_e32 v139, 0
.LBB57_105:
	v_dual_add_f32 v140, v29, v57 :: v_dual_add_f32 v141, v28, v56
	v_dual_add_f32 v142, v31, v59 :: v_dual_add_f32 v143, v30, v58
	s_delay_alu instid0(VALU_DEP_4) | instskip(NEXT) | instid1(VALU_DEP_3)
	v_add_co_u32 v60, vcc_lo, v62, v60
	v_min3_f32 v138, v141, v140, v138
	v_add_co_ci_u32_e32 v61, vcc_lo, v63, v61, vcc_lo
	s_delay_alu instid0(VALU_DEP_4) | instskip(NEXT) | instid1(VALU_DEP_1)
	v_min_f32_e32 v140, v143, v142
	v_min3_f32 v138, v139, v140, v138
	global_store_b32 v[60:61], v138, off
	s_or_b32 exec_lo, exec_lo, s11
	s_and_b32 s16, s2, s8
	s_delay_alu instid0(SALU_CYCLE_1)
	s_and_saveexec_b32 s11, s16
	s_cbranch_execz .LBB57_93
.LBB57_106:
	v_cmp_ne_u32_e32 vcc_lo, 1, v121
	v_lshlrev_b64 v[60:61], 2, v[68:69]
	s_cbranch_vccnz .LBB57_108
; %bb.107:
	s_delay_alu instid0(VALU_DEP_1) | instskip(NEXT) | instid1(VALU_DEP_2)
	v_add_co_u32 v138, vcc_lo, v80, v60
	v_add_co_ci_u32_e32 v139, vcc_lo, v81, v61, vcc_lo
	flat_load_b32 v138, v[138:139]
	s_waitcnt vmcnt(0) lgkmcnt(0)
	v_mul_f32_e32 v138, s15, v138
	s_branch .LBB57_109
.LBB57_108:
	v_mov_b32_e32 v138, 0
.LBB57_109:
	v_dual_add_f32 v139, v25, v57 :: v_dual_add_f32 v140, v24, v56
	v_dual_add_f32 v141, v27, v59 :: v_dual_add_f32 v142, v26, v58
	s_delay_alu instid0(VALU_DEP_4) | instskip(NEXT) | instid1(VALU_DEP_3)
	v_add_co_u32 v60, vcc_lo, v62, v60
	v_min3_f32 v137, v140, v139, v137
	v_add_co_ci_u32_e32 v61, vcc_lo, v63, v61, vcc_lo
	s_delay_alu instid0(VALU_DEP_4) | instskip(NEXT) | instid1(VALU_DEP_1)
	v_min_f32_e32 v139, v142, v141
	v_min3_f32 v137, v138, v139, v137
	global_store_b32 v[60:61], v137, off
	s_or_b32 exec_lo, exec_lo, s11
	s_and_b32 s16, s3, s8
	s_delay_alu instid0(SALU_CYCLE_1)
	s_and_saveexec_b32 s11, s16
	s_cbranch_execz .LBB57_94
.LBB57_110:
	v_cmp_ne_u32_e32 vcc_lo, 1, v121
	v_lshlrev_b64 v[60:61], 2, v[70:71]
	s_cbranch_vccnz .LBB57_112
; %bb.111:
	s_delay_alu instid0(VALU_DEP_1) | instskip(NEXT) | instid1(VALU_DEP_2)
	v_add_co_u32 v137, vcc_lo, v80, v60
	v_add_co_ci_u32_e32 v138, vcc_lo, v81, v61, vcc_lo
	flat_load_b32 v137, v[137:138]
	s_waitcnt vmcnt(0) lgkmcnt(0)
	v_mul_f32_e32 v137, s15, v137
	s_branch .LBB57_113
.LBB57_112:
	v_mov_b32_e32 v137, 0
.LBB57_113:
	v_dual_add_f32 v138, v21, v57 :: v_dual_add_f32 v139, v20, v56
	v_dual_add_f32 v140, v23, v59 :: v_dual_add_f32 v141, v22, v58
	s_delay_alu instid0(VALU_DEP_4) | instskip(NEXT) | instid1(VALU_DEP_3)
	v_add_co_u32 v60, vcc_lo, v62, v60
	v_min3_f32 v136, v139, v138, v136
	v_add_co_ci_u32_e32 v61, vcc_lo, v63, v61, vcc_lo
	s_delay_alu instid0(VALU_DEP_4) | instskip(NEXT) | instid1(VALU_DEP_1)
	v_min_f32_e32 v138, v141, v140
	v_min3_f32 v136, v137, v138, v136
	global_store_b32 v[60:61], v136, off
	s_or_b32 exec_lo, exec_lo, s11
	s_and_b32 s16, s4, s8
	s_delay_alu instid0(SALU_CYCLE_1)
	s_and_saveexec_b32 s11, s16
	s_cbranch_execz .LBB57_95
.LBB57_114:
	v_cmp_ne_u32_e32 vcc_lo, 1, v121
	v_lshlrev_b64 v[60:61], 2, v[72:73]
	s_cbranch_vccnz .LBB57_116
; %bb.115:
	s_delay_alu instid0(VALU_DEP_1) | instskip(NEXT) | instid1(VALU_DEP_2)
	v_add_co_u32 v136, vcc_lo, v80, v60
	v_add_co_ci_u32_e32 v137, vcc_lo, v81, v61, vcc_lo
	flat_load_b32 v136, v[136:137]
	s_waitcnt vmcnt(0) lgkmcnt(0)
	v_mul_f32_e32 v136, s15, v136
	s_branch .LBB57_117
.LBB57_116:
	v_mov_b32_e32 v136, 0
.LBB57_117:
	v_dual_add_f32 v137, v17, v57 :: v_dual_add_f32 v138, v16, v56
	v_dual_add_f32 v139, v19, v59 :: v_dual_add_f32 v140, v18, v58
	s_delay_alu instid0(VALU_DEP_4) | instskip(NEXT) | instid1(VALU_DEP_3)
	v_add_co_u32 v60, vcc_lo, v62, v60
	v_min3_f32 v135, v138, v137, v135
	v_add_co_ci_u32_e32 v61, vcc_lo, v63, v61, vcc_lo
	s_delay_alu instid0(VALU_DEP_4) | instskip(NEXT) | instid1(VALU_DEP_1)
	v_min_f32_e32 v137, v140, v139
	v_min3_f32 v135, v136, v137, v135
	global_store_b32 v[60:61], v135, off
	s_or_b32 exec_lo, exec_lo, s11
	s_and_b32 s16, s5, s8
	s_delay_alu instid0(SALU_CYCLE_1)
	s_and_saveexec_b32 s11, s16
	s_cbranch_execz .LBB57_96
.LBB57_118:
	v_cmp_ne_u32_e32 vcc_lo, 1, v121
	v_lshlrev_b64 v[60:61], 2, v[74:75]
	s_cbranch_vccnz .LBB57_120
; %bb.119:
	s_delay_alu instid0(VALU_DEP_1) | instskip(NEXT) | instid1(VALU_DEP_2)
	v_add_co_u32 v135, vcc_lo, v80, v60
	v_add_co_ci_u32_e32 v136, vcc_lo, v81, v61, vcc_lo
	flat_load_b32 v135, v[135:136]
	s_waitcnt vmcnt(0) lgkmcnt(0)
	v_mul_f32_e32 v135, s15, v135
	s_branch .LBB57_121
.LBB57_120:
	v_mov_b32_e32 v135, 0
.LBB57_121:
	v_dual_add_f32 v136, v13, v57 :: v_dual_add_f32 v137, v12, v56
	v_dual_add_f32 v138, v15, v59 :: v_dual_add_f32 v139, v14, v58
	s_delay_alu instid0(VALU_DEP_4) | instskip(NEXT) | instid1(VALU_DEP_3)
	v_add_co_u32 v60, vcc_lo, v62, v60
	v_min3_f32 v134, v137, v136, v134
	v_add_co_ci_u32_e32 v61, vcc_lo, v63, v61, vcc_lo
	s_delay_alu instid0(VALU_DEP_4) | instskip(NEXT) | instid1(VALU_DEP_1)
	v_min_f32_e32 v136, v139, v138
	v_min3_f32 v134, v135, v136, v134
	global_store_b32 v[60:61], v134, off
	s_or_b32 exec_lo, exec_lo, s11
	s_and_b32 s16, s6, s8
	s_delay_alu instid0(SALU_CYCLE_1)
	s_and_saveexec_b32 s11, s16
	s_cbranch_execz .LBB57_97
.LBB57_122:
	v_cmp_ne_u32_e32 vcc_lo, 1, v121
	v_lshlrev_b64 v[60:61], 2, v[76:77]
	s_cbranch_vccnz .LBB57_124
; %bb.123:
	s_delay_alu instid0(VALU_DEP_1) | instskip(NEXT) | instid1(VALU_DEP_2)
	v_add_co_u32 v134, vcc_lo, v80, v60
	v_add_co_ci_u32_e32 v135, vcc_lo, v81, v61, vcc_lo
	flat_load_b32 v134, v[134:135]
	s_waitcnt vmcnt(0) lgkmcnt(0)
	v_mul_f32_e32 v134, s15, v134
	s_branch .LBB57_125
.LBB57_124:
	v_mov_b32_e32 v134, 0
.LBB57_125:
	v_dual_add_f32 v135, v9, v57 :: v_dual_add_f32 v136, v8, v56
	v_dual_add_f32 v137, v11, v59 :: v_dual_add_f32 v138, v10, v58
	s_delay_alu instid0(VALU_DEP_4) | instskip(NEXT) | instid1(VALU_DEP_3)
	v_add_co_u32 v60, vcc_lo, v62, v60
	v_min3_f32 v133, v136, v135, v133
	v_add_co_ci_u32_e32 v61, vcc_lo, v63, v61, vcc_lo
	s_delay_alu instid0(VALU_DEP_4) | instskip(NEXT) | instid1(VALU_DEP_1)
	v_min_f32_e32 v135, v138, v137
	v_min3_f32 v133, v134, v135, v133
	global_store_b32 v[60:61], v133, off
	s_or_b32 exec_lo, exec_lo, s11
	s_and_b32 s11, s7, s8
	s_delay_alu instid0(SALU_CYCLE_1)
	s_and_saveexec_b32 s8, s11
	s_cbranch_execz .LBB57_130
.LBB57_126:
	v_cmp_ne_u32_e32 vcc_lo, 1, v121
	v_lshlrev_b64 v[60:61], 2, v[78:79]
	s_cbranch_vccnz .LBB57_128
; %bb.127:
	s_delay_alu instid0(VALU_DEP_1) | instskip(NEXT) | instid1(VALU_DEP_2)
	v_add_co_u32 v80, vcc_lo, v80, v60
	v_add_co_ci_u32_e32 v81, vcc_lo, v81, v61, vcc_lo
	flat_load_b32 v80, v[80:81]
	s_waitcnt vmcnt(0) lgkmcnt(0)
	v_mul_f32_e32 v80, s15, v80
	s_branch .LBB57_129
.LBB57_128:
	v_mov_b32_e32 v80, 0
.LBB57_129:
	v_dual_add_f32 v57, v1, v57 :: v_dual_add_f32 v56, v0, v56
	v_dual_add_f32 v59, v3, v59 :: v_dual_add_f32 v58, v2, v58
	s_delay_alu instid0(VALU_DEP_2) | instskip(NEXT) | instid1(VALU_DEP_2)
	v_min3_f32 v56, v56, v57, v131
	v_min_f32_e32 v57, v58, v59
	s_delay_alu instid0(VALU_DEP_1)
	v_min3_f32 v58, v80, v57, v56
	v_add_co_u32 v56, vcc_lo, v62, v60
	v_add_co_ci_u32_e32 v57, vcc_lo, v63, v61, vcc_lo
	global_store_b32 v[56:57], v58, off
.LBB57_130:
	s_or_b32 exec_lo, exec_lo, s8
	v_add_nc_u32_e32 v60, 16, v132
	s_delay_alu instid0(VALU_DEP_1) | instskip(SKIP_2) | instid1(VALU_DEP_3)
	v_mad_i64_i32 v[56:57], null, v60, s18, 0
	v_mad_i64_i32 v[58:59], null, v60, s14, 0
	v_cmp_gt_i32_e64 s8, s17, v60
	v_lshlrev_b64 v[56:57], 2, v[56:57]
	s_delay_alu instid0(VALU_DEP_2) | instskip(NEXT) | instid1(VALU_DEP_3)
	s_and_b32 s16, s0, s8
	v_lshlrev_b64 v[58:59], 2, v[58:59]
	s_delay_alu instid0(VALU_DEP_2) | instskip(NEXT) | instid1(VALU_DEP_3)
	v_add_co_u32 v60, vcc_lo, s12, v56
	v_add_co_ci_u32_e32 v61, vcc_lo, s13, v57, vcc_lo
	s_delay_alu instid0(VALU_DEP_3) | instskip(NEXT) | instid1(VALU_DEP_4)
	v_add_co_u32 v58, vcc_lo, s9, v58
	v_add_co_ci_u32_e32 v59, vcc_lo, s10, v59, vcc_lo
	s_and_saveexec_b32 s11, s16
	s_cbranch_execnz .LBB57_138
; %bb.131:
	s_or_b32 exec_lo, exec_lo, s11
	s_and_b32 s16, s1, s8
	s_delay_alu instid0(SALU_CYCLE_1)
	s_and_saveexec_b32 s11, s16
	s_cbranch_execnz .LBB57_142
.LBB57_132:
	s_or_b32 exec_lo, exec_lo, s11
	s_and_b32 s16, s2, s8
	s_delay_alu instid0(SALU_CYCLE_1)
	s_and_saveexec_b32 s11, s16
	s_cbranch_execnz .LBB57_146
.LBB57_133:
	s_or_b32 exec_lo, exec_lo, s11
	s_and_b32 s16, s3, s8
	s_delay_alu instid0(SALU_CYCLE_1)
	s_and_saveexec_b32 s11, s16
	s_cbranch_execnz .LBB57_150
.LBB57_134:
	s_or_b32 exec_lo, exec_lo, s11
	s_and_b32 s16, s4, s8
	s_delay_alu instid0(SALU_CYCLE_1)
	s_and_saveexec_b32 s11, s16
	s_cbranch_execnz .LBB57_154
.LBB57_135:
	s_or_b32 exec_lo, exec_lo, s11
	s_and_b32 s16, s5, s8
	s_delay_alu instid0(SALU_CYCLE_1)
	s_and_saveexec_b32 s11, s16
	s_cbranch_execnz .LBB57_158
.LBB57_136:
	s_or_b32 exec_lo, exec_lo, s11
	s_and_b32 s16, s6, s8
	s_delay_alu instid0(SALU_CYCLE_1)
	s_and_saveexec_b32 s11, s16
	s_cbranch_execnz .LBB57_162
.LBB57_137:
	s_or_b32 exec_lo, exec_lo, s11
	s_and_b32 s11, s7, s8
	s_delay_alu instid0(SALU_CYCLE_1)
	s_and_saveexec_b32 s8, s11
	s_cbranch_execnz .LBB57_166
	s_branch .LBB57_170
.LBB57_138:
	v_cmp_ne_u32_e32 vcc_lo, 1, v121
	v_lshlrev_b64 v[56:57], 2, v[64:65]
	s_cbranch_vccnz .LBB57_140
; %bb.139:
	s_delay_alu instid0(VALU_DEP_1) | instskip(NEXT) | instid1(VALU_DEP_2)
	v_add_co_u32 v62, vcc_lo, v60, v56
	v_add_co_ci_u32_e32 v63, vcc_lo, v61, v57, vcc_lo
	flat_load_b32 v62, v[62:63]
	s_waitcnt vmcnt(0) lgkmcnt(0)
	v_mul_f32_e32 v62, s15, v62
	s_branch .LBB57_141
.LBB57_140:
	v_mov_b32_e32 v62, 0
.LBB57_141:
	v_dual_add_f32 v63, v33, v53 :: v_dual_add_f32 v80, v32, v52
	v_add_f32_e32 v81, v35, v55
	v_add_f32_e32 v131, v34, v54
	v_add_co_u32 v56, vcc_lo, v58, v56
	s_delay_alu instid0(VALU_DEP_4) | instskip(SKIP_1) | instid1(VALU_DEP_4)
	v_min3_f32 v63, v80, v63, v130
	v_add_co_ci_u32_e32 v57, vcc_lo, v59, v57, vcc_lo
	v_min_f32_e32 v80, v131, v81
	s_delay_alu instid0(VALU_DEP_1) | instskip(SKIP_3) | instid1(SALU_CYCLE_1)
	v_min3_f32 v62, v62, v80, v63
	global_store_b32 v[56:57], v62, off
	s_or_b32 exec_lo, exec_lo, s11
	s_and_b32 s16, s1, s8
	s_and_saveexec_b32 s11, s16
	s_cbranch_execz .LBB57_132
.LBB57_142:
	v_cmp_ne_u32_e32 vcc_lo, 1, v121
	v_lshlrev_b64 v[56:57], 2, v[66:67]
	s_cbranch_vccnz .LBB57_144
; %bb.143:
	s_delay_alu instid0(VALU_DEP_1) | instskip(NEXT) | instid1(VALU_DEP_2)
	v_add_co_u32 v62, vcc_lo, v60, v56
	v_add_co_ci_u32_e32 v63, vcc_lo, v61, v57, vcc_lo
	flat_load_b32 v62, v[62:63]
	s_waitcnt vmcnt(0) lgkmcnt(0)
	v_mul_f32_e32 v62, s15, v62
	s_branch .LBB57_145
.LBB57_144:
	v_mov_b32_e32 v62, 0
.LBB57_145:
	v_dual_add_f32 v63, v29, v53 :: v_dual_add_f32 v80, v28, v52
	v_dual_add_f32 v81, v31, v55 :: v_dual_add_f32 v130, v30, v54
	s_delay_alu instid0(VALU_DEP_4) | instskip(NEXT) | instid1(VALU_DEP_3)
	v_add_co_u32 v56, vcc_lo, v58, v56
	v_min3_f32 v63, v80, v63, v129
	v_add_co_ci_u32_e32 v57, vcc_lo, v59, v57, vcc_lo
	s_delay_alu instid0(VALU_DEP_4) | instskip(NEXT) | instid1(VALU_DEP_1)
	v_min_f32_e32 v80, v130, v81
	v_min3_f32 v62, v62, v80, v63
	global_store_b32 v[56:57], v62, off
	s_or_b32 exec_lo, exec_lo, s11
	s_and_b32 s16, s2, s8
	s_delay_alu instid0(SALU_CYCLE_1)
	s_and_saveexec_b32 s11, s16
	s_cbranch_execz .LBB57_133
.LBB57_146:
	v_cmp_ne_u32_e32 vcc_lo, 1, v121
	v_lshlrev_b64 v[56:57], 2, v[68:69]
	s_cbranch_vccnz .LBB57_148
; %bb.147:
	s_delay_alu instid0(VALU_DEP_1) | instskip(NEXT) | instid1(VALU_DEP_2)
	v_add_co_u32 v62, vcc_lo, v60, v56
	v_add_co_ci_u32_e32 v63, vcc_lo, v61, v57, vcc_lo
	flat_load_b32 v62, v[62:63]
	s_waitcnt vmcnt(0) lgkmcnt(0)
	v_mul_f32_e32 v62, s15, v62
	s_branch .LBB57_149
.LBB57_148:
	v_mov_b32_e32 v62, 0
.LBB57_149:
	v_dual_add_f32 v63, v25, v53 :: v_dual_add_f32 v80, v24, v52
	v_add_f32_e32 v81, v27, v55
	v_add_f32_e32 v129, v26, v54
	v_add_co_u32 v56, vcc_lo, v58, v56
	s_delay_alu instid0(VALU_DEP_4) | instskip(SKIP_1) | instid1(VALU_DEP_4)
	v_min3_f32 v63, v80, v63, v128
	v_add_co_ci_u32_e32 v57, vcc_lo, v59, v57, vcc_lo
	v_min_f32_e32 v80, v129, v81
	s_delay_alu instid0(VALU_DEP_1) | instskip(SKIP_3) | instid1(SALU_CYCLE_1)
	v_min3_f32 v62, v62, v80, v63
	global_store_b32 v[56:57], v62, off
	s_or_b32 exec_lo, exec_lo, s11
	s_and_b32 s16, s3, s8
	s_and_saveexec_b32 s11, s16
	s_cbranch_execz .LBB57_134
.LBB57_150:
	v_cmp_ne_u32_e32 vcc_lo, 1, v121
	v_lshlrev_b64 v[56:57], 2, v[70:71]
	s_cbranch_vccnz .LBB57_152
; %bb.151:
	s_delay_alu instid0(VALU_DEP_1) | instskip(NEXT) | instid1(VALU_DEP_2)
	v_add_co_u32 v62, vcc_lo, v60, v56
	v_add_co_ci_u32_e32 v63, vcc_lo, v61, v57, vcc_lo
	flat_load_b32 v62, v[62:63]
	s_waitcnt vmcnt(0) lgkmcnt(0)
	v_mul_f32_e32 v62, s15, v62
	s_branch .LBB57_153
.LBB57_152:
	v_mov_b32_e32 v62, 0
.LBB57_153:
	v_dual_add_f32 v63, v21, v53 :: v_dual_add_f32 v80, v20, v52
	v_dual_add_f32 v81, v23, v55 :: v_dual_add_f32 v128, v22, v54
	s_delay_alu instid0(VALU_DEP_4) | instskip(NEXT) | instid1(VALU_DEP_3)
	v_add_co_u32 v56, vcc_lo, v58, v56
	v_min3_f32 v63, v80, v63, v127
	v_add_co_ci_u32_e32 v57, vcc_lo, v59, v57, vcc_lo
	s_delay_alu instid0(VALU_DEP_4) | instskip(NEXT) | instid1(VALU_DEP_1)
	v_min_f32_e32 v80, v128, v81
	v_min3_f32 v62, v62, v80, v63
	global_store_b32 v[56:57], v62, off
	s_or_b32 exec_lo, exec_lo, s11
	s_and_b32 s16, s4, s8
	s_delay_alu instid0(SALU_CYCLE_1)
	s_and_saveexec_b32 s11, s16
	s_cbranch_execz .LBB57_135
.LBB57_154:
	v_cmp_ne_u32_e32 vcc_lo, 1, v121
	v_lshlrev_b64 v[56:57], 2, v[72:73]
	s_cbranch_vccnz .LBB57_156
; %bb.155:
	s_delay_alu instid0(VALU_DEP_1) | instskip(NEXT) | instid1(VALU_DEP_2)
	v_add_co_u32 v62, vcc_lo, v60, v56
	v_add_co_ci_u32_e32 v63, vcc_lo, v61, v57, vcc_lo
	flat_load_b32 v62, v[62:63]
	s_waitcnt vmcnt(0) lgkmcnt(0)
	v_mul_f32_e32 v62, s15, v62
	s_branch .LBB57_157
.LBB57_156:
	v_mov_b32_e32 v62, 0
.LBB57_157:
	v_dual_add_f32 v63, v17, v53 :: v_dual_add_f32 v80, v16, v52
	v_add_f32_e32 v81, v19, v55
	v_add_f32_e32 v127, v18, v54
	v_add_co_u32 v56, vcc_lo, v58, v56
	s_delay_alu instid0(VALU_DEP_4) | instskip(SKIP_1) | instid1(VALU_DEP_4)
	v_min3_f32 v63, v80, v63, v126
	v_add_co_ci_u32_e32 v57, vcc_lo, v59, v57, vcc_lo
	v_min_f32_e32 v80, v127, v81
	s_delay_alu instid0(VALU_DEP_1) | instskip(SKIP_3) | instid1(SALU_CYCLE_1)
	v_min3_f32 v62, v62, v80, v63
	global_store_b32 v[56:57], v62, off
	s_or_b32 exec_lo, exec_lo, s11
	s_and_b32 s16, s5, s8
	s_and_saveexec_b32 s11, s16
	s_cbranch_execz .LBB57_136
.LBB57_158:
	v_cmp_ne_u32_e32 vcc_lo, 1, v121
	v_lshlrev_b64 v[56:57], 2, v[74:75]
	s_cbranch_vccnz .LBB57_160
; %bb.159:
	s_delay_alu instid0(VALU_DEP_1) | instskip(NEXT) | instid1(VALU_DEP_2)
	v_add_co_u32 v62, vcc_lo, v60, v56
	v_add_co_ci_u32_e32 v63, vcc_lo, v61, v57, vcc_lo
	flat_load_b32 v62, v[62:63]
	s_waitcnt vmcnt(0) lgkmcnt(0)
	v_mul_f32_e32 v62, s15, v62
	s_branch .LBB57_161
.LBB57_160:
	v_mov_b32_e32 v62, 0
.LBB57_161:
	v_dual_add_f32 v63, v13, v53 :: v_dual_add_f32 v80, v12, v52
	v_dual_add_f32 v81, v15, v55 :: v_dual_add_f32 v126, v14, v54
	s_delay_alu instid0(VALU_DEP_4) | instskip(NEXT) | instid1(VALU_DEP_3)
	v_add_co_u32 v56, vcc_lo, v58, v56
	v_min3_f32 v63, v80, v63, v125
	v_add_co_ci_u32_e32 v57, vcc_lo, v59, v57, vcc_lo
	s_delay_alu instid0(VALU_DEP_4) | instskip(NEXT) | instid1(VALU_DEP_1)
	v_min_f32_e32 v80, v126, v81
	v_min3_f32 v62, v62, v80, v63
	global_store_b32 v[56:57], v62, off
	s_or_b32 exec_lo, exec_lo, s11
	s_and_b32 s16, s6, s8
	s_delay_alu instid0(SALU_CYCLE_1)
	s_and_saveexec_b32 s11, s16
	s_cbranch_execz .LBB57_137
.LBB57_162:
	v_cmp_ne_u32_e32 vcc_lo, 1, v121
	v_lshlrev_b64 v[56:57], 2, v[76:77]
	s_cbranch_vccnz .LBB57_164
; %bb.163:
	s_delay_alu instid0(VALU_DEP_1) | instskip(NEXT) | instid1(VALU_DEP_2)
	v_add_co_u32 v62, vcc_lo, v60, v56
	v_add_co_ci_u32_e32 v63, vcc_lo, v61, v57, vcc_lo
	flat_load_b32 v62, v[62:63]
	s_waitcnt vmcnt(0) lgkmcnt(0)
	v_mul_f32_e32 v62, s15, v62
	s_branch .LBB57_165
.LBB57_164:
	v_mov_b32_e32 v62, 0
.LBB57_165:
	v_dual_add_f32 v63, v9, v53 :: v_dual_add_f32 v80, v8, v52
	v_add_f32_e32 v81, v11, v55
	v_add_f32_e32 v125, v10, v54
	v_add_co_u32 v56, vcc_lo, v58, v56
	s_delay_alu instid0(VALU_DEP_4) | instskip(SKIP_1) | instid1(VALU_DEP_4)
	v_min3_f32 v63, v80, v63, v124
	v_add_co_ci_u32_e32 v57, vcc_lo, v59, v57, vcc_lo
	v_min_f32_e32 v80, v125, v81
	s_delay_alu instid0(VALU_DEP_1) | instskip(SKIP_3) | instid1(SALU_CYCLE_1)
	v_min3_f32 v62, v62, v80, v63
	global_store_b32 v[56:57], v62, off
	s_or_b32 exec_lo, exec_lo, s11
	s_and_b32 s11, s7, s8
	s_and_saveexec_b32 s8, s11
	s_cbranch_execz .LBB57_170
.LBB57_166:
	v_cmp_ne_u32_e32 vcc_lo, 1, v121
	v_lshlrev_b64 v[56:57], 2, v[78:79]
	s_cbranch_vccnz .LBB57_168
; %bb.167:
	s_delay_alu instid0(VALU_DEP_1) | instskip(NEXT) | instid1(VALU_DEP_2)
	v_add_co_u32 v60, vcc_lo, v60, v56
	v_add_co_ci_u32_e32 v61, vcc_lo, v61, v57, vcc_lo
	flat_load_b32 v60, v[60:61]
	s_waitcnt vmcnt(0) lgkmcnt(0)
	v_mul_f32_e32 v60, s15, v60
	s_branch .LBB57_169
.LBB57_168:
	v_mov_b32_e32 v60, 0
.LBB57_169:
	v_dual_add_f32 v53, v1, v53 :: v_dual_add_f32 v52, v0, v52
	v_dual_add_f32 v55, v3, v55 :: v_dual_add_f32 v54, v2, v54
	s_delay_alu instid0(VALU_DEP_2) | instskip(NEXT) | instid1(VALU_DEP_2)
	v_min3_f32 v52, v52, v53, v123
	v_min_f32_e32 v53, v54, v55
	s_delay_alu instid0(VALU_DEP_1)
	v_min3_f32 v54, v60, v53, v52
	v_add_co_u32 v52, vcc_lo, v58, v56
	v_add_co_ci_u32_e32 v53, vcc_lo, v59, v57, vcc_lo
	global_store_b32 v[52:53], v54, off
.LBB57_170:
	s_or_b32 exec_lo, exec_lo, s8
	v_add_nc_u32_e32 v56, 24, v132
	s_delay_alu instid0(VALU_DEP_1) | instskip(SKIP_2) | instid1(VALU_DEP_3)
	v_mad_i64_i32 v[52:53], null, v56, s18, 0
	v_mad_i64_i32 v[54:55], null, v56, s14, 0
	v_cmp_gt_i32_e64 s8, s17, v56
	v_lshlrev_b64 v[52:53], 2, v[52:53]
	s_delay_alu instid0(VALU_DEP_2) | instskip(NEXT) | instid1(VALU_DEP_3)
	s_and_b32 s16, s0, s8
	v_lshlrev_b64 v[54:55], 2, v[54:55]
	s_delay_alu instid0(VALU_DEP_2) | instskip(NEXT) | instid1(VALU_DEP_3)
	v_add_co_u32 v56, vcc_lo, s12, v52
	v_add_co_ci_u32_e32 v57, vcc_lo, s13, v53, vcc_lo
	s_delay_alu instid0(VALU_DEP_3) | instskip(NEXT) | instid1(VALU_DEP_4)
	v_add_co_u32 v54, vcc_lo, s9, v54
	v_add_co_ci_u32_e32 v55, vcc_lo, s10, v55, vcc_lo
	s_and_saveexec_b32 s11, s16
	s_cbranch_execnz .LBB57_178
; %bb.171:
	s_or_b32 exec_lo, exec_lo, s11
	s_and_b32 s16, s1, s8
	s_delay_alu instid0(SALU_CYCLE_1)
	s_and_saveexec_b32 s11, s16
	s_cbranch_execnz .LBB57_182
.LBB57_172:
	s_or_b32 exec_lo, exec_lo, s11
	s_and_b32 s16, s2, s8
	s_delay_alu instid0(SALU_CYCLE_1)
	s_and_saveexec_b32 s11, s16
	s_cbranch_execnz .LBB57_186
.LBB57_173:
	s_or_b32 exec_lo, exec_lo, s11
	s_and_b32 s16, s3, s8
	s_delay_alu instid0(SALU_CYCLE_1)
	s_and_saveexec_b32 s11, s16
	s_cbranch_execnz .LBB57_190
.LBB57_174:
	s_or_b32 exec_lo, exec_lo, s11
	s_and_b32 s16, s4, s8
	s_delay_alu instid0(SALU_CYCLE_1)
	s_and_saveexec_b32 s11, s16
	s_cbranch_execnz .LBB57_194
.LBB57_175:
	s_or_b32 exec_lo, exec_lo, s11
	s_and_b32 s16, s5, s8
	s_delay_alu instid0(SALU_CYCLE_1)
	s_and_saveexec_b32 s11, s16
	s_cbranch_execnz .LBB57_198
.LBB57_176:
	s_or_b32 exec_lo, exec_lo, s11
	s_and_b32 s16, s6, s8
	s_delay_alu instid0(SALU_CYCLE_1)
	s_and_saveexec_b32 s11, s16
	s_cbranch_execnz .LBB57_202
.LBB57_177:
	s_or_b32 exec_lo, exec_lo, s11
	s_and_b32 s11, s7, s8
	s_delay_alu instid0(SALU_CYCLE_1)
	s_and_saveexec_b32 s8, s11
	s_cbranch_execnz .LBB57_206
	s_branch .LBB57_210
.LBB57_178:
	v_cmp_ne_u32_e32 vcc_lo, 1, v121
	v_lshlrev_b64 v[52:53], 2, v[64:65]
	s_cbranch_vccnz .LBB57_180
; %bb.179:
	s_delay_alu instid0(VALU_DEP_1) | instskip(NEXT) | instid1(VALU_DEP_2)
	v_add_co_u32 v58, vcc_lo, v56, v52
	v_add_co_ci_u32_e32 v59, vcc_lo, v57, v53, vcc_lo
	flat_load_b32 v58, v[58:59]
	s_waitcnt vmcnt(0) lgkmcnt(0)
	v_mul_f32_e32 v58, s15, v58
	s_branch .LBB57_181
.LBB57_180:
	v_mov_b32_e32 v58, 0
.LBB57_181:
	v_dual_add_f32 v59, v33, v49 :: v_dual_add_f32 v60, v32, v48
	v_dual_add_f32 v61, v35, v51 :: v_dual_add_f32 v62, v34, v50
	s_delay_alu instid0(VALU_DEP_4) | instskip(NEXT) | instid1(VALU_DEP_3)
	v_add_co_u32 v52, vcc_lo, v54, v52
	v_min3_f32 v59, v60, v59, v122
	v_add_co_ci_u32_e32 v53, vcc_lo, v55, v53, vcc_lo
	s_delay_alu instid0(VALU_DEP_4) | instskip(NEXT) | instid1(VALU_DEP_1)
	v_min_f32_e32 v60, v62, v61
	v_min3_f32 v58, v58, v60, v59
	global_store_b32 v[52:53], v58, off
	s_or_b32 exec_lo, exec_lo, s11
	s_and_b32 s16, s1, s8
	s_delay_alu instid0(SALU_CYCLE_1)
	s_and_saveexec_b32 s11, s16
	s_cbranch_execz .LBB57_172
.LBB57_182:
	v_cmp_ne_u32_e32 vcc_lo, 1, v121
	v_lshlrev_b64 v[52:53], 2, v[66:67]
	s_cbranch_vccnz .LBB57_184
; %bb.183:
	s_delay_alu instid0(VALU_DEP_1) | instskip(NEXT) | instid1(VALU_DEP_2)
	v_add_co_u32 v58, vcc_lo, v56, v52
	v_add_co_ci_u32_e32 v59, vcc_lo, v57, v53, vcc_lo
	flat_load_b32 v58, v[58:59]
	s_waitcnt vmcnt(0) lgkmcnt(0)
	v_mul_f32_e32 v58, s15, v58
	s_branch .LBB57_185
.LBB57_184:
	v_mov_b32_e32 v58, 0
.LBB57_185:
	v_dual_add_f32 v59, v29, v49 :: v_dual_add_f32 v60, v28, v48
	v_dual_add_f32 v61, v31, v51 :: v_dual_add_f32 v62, v30, v50
	s_delay_alu instid0(VALU_DEP_4) | instskip(NEXT) | instid1(VALU_DEP_3)
	v_add_co_u32 v52, vcc_lo, v54, v52
	v_min3_f32 v59, v60, v59, v120
	v_add_co_ci_u32_e32 v53, vcc_lo, v55, v53, vcc_lo
	s_delay_alu instid0(VALU_DEP_4) | instskip(NEXT) | instid1(VALU_DEP_1)
	v_min_f32_e32 v60, v62, v61
	v_min3_f32 v58, v58, v60, v59
	global_store_b32 v[52:53], v58, off
	s_or_b32 exec_lo, exec_lo, s11
	s_and_b32 s16, s2, s8
	s_delay_alu instid0(SALU_CYCLE_1)
	s_and_saveexec_b32 s11, s16
	s_cbranch_execz .LBB57_173
.LBB57_186:
	v_cmp_ne_u32_e32 vcc_lo, 1, v121
	v_lshlrev_b64 v[52:53], 2, v[68:69]
	s_cbranch_vccnz .LBB57_188
; %bb.187:
	s_delay_alu instid0(VALU_DEP_1) | instskip(NEXT) | instid1(VALU_DEP_2)
	v_add_co_u32 v58, vcc_lo, v56, v52
	v_add_co_ci_u32_e32 v59, vcc_lo, v57, v53, vcc_lo
	flat_load_b32 v58, v[58:59]
	s_waitcnt vmcnt(0) lgkmcnt(0)
	v_mul_f32_e32 v58, s15, v58
	s_branch .LBB57_189
.LBB57_188:
	v_mov_b32_e32 v58, 0
.LBB57_189:
	v_dual_add_f32 v59, v25, v49 :: v_dual_add_f32 v60, v24, v48
	v_dual_add_f32 v61, v27, v51 :: v_dual_add_f32 v62, v26, v50
	s_delay_alu instid0(VALU_DEP_4) | instskip(NEXT) | instid1(VALU_DEP_3)
	v_add_co_u32 v52, vcc_lo, v54, v52
	v_min3_f32 v59, v60, v59, v119
	v_add_co_ci_u32_e32 v53, vcc_lo, v55, v53, vcc_lo
	s_delay_alu instid0(VALU_DEP_4) | instskip(NEXT) | instid1(VALU_DEP_1)
	v_min_f32_e32 v60, v62, v61
	v_min3_f32 v58, v58, v60, v59
	global_store_b32 v[52:53], v58, off
	s_or_b32 exec_lo, exec_lo, s11
	s_and_b32 s16, s3, s8
	s_delay_alu instid0(SALU_CYCLE_1)
	s_and_saveexec_b32 s11, s16
	s_cbranch_execz .LBB57_174
.LBB57_190:
	v_cmp_ne_u32_e32 vcc_lo, 1, v121
	v_lshlrev_b64 v[52:53], 2, v[70:71]
	s_cbranch_vccnz .LBB57_192
; %bb.191:
	s_delay_alu instid0(VALU_DEP_1) | instskip(NEXT) | instid1(VALU_DEP_2)
	v_add_co_u32 v58, vcc_lo, v56, v52
	v_add_co_ci_u32_e32 v59, vcc_lo, v57, v53, vcc_lo
	flat_load_b32 v58, v[58:59]
	s_waitcnt vmcnt(0) lgkmcnt(0)
	v_mul_f32_e32 v58, s15, v58
	s_branch .LBB57_193
.LBB57_192:
	v_mov_b32_e32 v58, 0
.LBB57_193:
	v_dual_add_f32 v59, v21, v49 :: v_dual_add_f32 v60, v20, v48
	v_dual_add_f32 v61, v23, v51 :: v_dual_add_f32 v62, v22, v50
	s_delay_alu instid0(VALU_DEP_4) | instskip(NEXT) | instid1(VALU_DEP_3)
	v_add_co_u32 v52, vcc_lo, v54, v52
	v_min3_f32 v59, v60, v59, v118
	v_add_co_ci_u32_e32 v53, vcc_lo, v55, v53, vcc_lo
	s_delay_alu instid0(VALU_DEP_4) | instskip(NEXT) | instid1(VALU_DEP_1)
	v_min_f32_e32 v60, v62, v61
	v_min3_f32 v58, v58, v60, v59
	global_store_b32 v[52:53], v58, off
	s_or_b32 exec_lo, exec_lo, s11
	s_and_b32 s16, s4, s8
	s_delay_alu instid0(SALU_CYCLE_1)
	s_and_saveexec_b32 s11, s16
	s_cbranch_execz .LBB57_175
.LBB57_194:
	v_cmp_ne_u32_e32 vcc_lo, 1, v121
	v_lshlrev_b64 v[52:53], 2, v[72:73]
	s_cbranch_vccnz .LBB57_196
; %bb.195:
	s_delay_alu instid0(VALU_DEP_1) | instskip(NEXT) | instid1(VALU_DEP_2)
	v_add_co_u32 v58, vcc_lo, v56, v52
	v_add_co_ci_u32_e32 v59, vcc_lo, v57, v53, vcc_lo
	flat_load_b32 v58, v[58:59]
	s_waitcnt vmcnt(0) lgkmcnt(0)
	v_mul_f32_e32 v58, s15, v58
	s_branch .LBB57_197
.LBB57_196:
	v_mov_b32_e32 v58, 0
.LBB57_197:
	v_dual_add_f32 v59, v17, v49 :: v_dual_add_f32 v60, v16, v48
	v_dual_add_f32 v61, v19, v51 :: v_dual_add_f32 v62, v18, v50
	s_delay_alu instid0(VALU_DEP_4) | instskip(NEXT) | instid1(VALU_DEP_3)
	v_add_co_u32 v52, vcc_lo, v54, v52
	v_min3_f32 v59, v60, v59, v117
	v_add_co_ci_u32_e32 v53, vcc_lo, v55, v53, vcc_lo
	s_delay_alu instid0(VALU_DEP_4) | instskip(NEXT) | instid1(VALU_DEP_1)
	v_min_f32_e32 v60, v62, v61
	v_min3_f32 v58, v58, v60, v59
	global_store_b32 v[52:53], v58, off
	s_or_b32 exec_lo, exec_lo, s11
	s_and_b32 s16, s5, s8
	s_delay_alu instid0(SALU_CYCLE_1)
	s_and_saveexec_b32 s11, s16
	s_cbranch_execz .LBB57_176
.LBB57_198:
	v_cmp_ne_u32_e32 vcc_lo, 1, v121
	v_lshlrev_b64 v[52:53], 2, v[74:75]
	s_cbranch_vccnz .LBB57_200
; %bb.199:
	s_delay_alu instid0(VALU_DEP_1) | instskip(NEXT) | instid1(VALU_DEP_2)
	v_add_co_u32 v58, vcc_lo, v56, v52
	v_add_co_ci_u32_e32 v59, vcc_lo, v57, v53, vcc_lo
	flat_load_b32 v58, v[58:59]
	s_waitcnt vmcnt(0) lgkmcnt(0)
	v_mul_f32_e32 v58, s15, v58
	s_branch .LBB57_201
.LBB57_200:
	v_mov_b32_e32 v58, 0
.LBB57_201:
	v_dual_add_f32 v59, v13, v49 :: v_dual_add_f32 v60, v12, v48
	v_dual_add_f32 v61, v15, v51 :: v_dual_add_f32 v62, v14, v50
	s_delay_alu instid0(VALU_DEP_4) | instskip(NEXT) | instid1(VALU_DEP_3)
	v_add_co_u32 v52, vcc_lo, v54, v52
	v_min3_f32 v59, v60, v59, v116
	v_add_co_ci_u32_e32 v53, vcc_lo, v55, v53, vcc_lo
	s_delay_alu instid0(VALU_DEP_4) | instskip(NEXT) | instid1(VALU_DEP_1)
	v_min_f32_e32 v60, v62, v61
	v_min3_f32 v58, v58, v60, v59
	global_store_b32 v[52:53], v58, off
	s_or_b32 exec_lo, exec_lo, s11
	s_and_b32 s16, s6, s8
	s_delay_alu instid0(SALU_CYCLE_1)
	s_and_saveexec_b32 s11, s16
	s_cbranch_execz .LBB57_177
.LBB57_202:
	v_cmp_ne_u32_e32 vcc_lo, 1, v121
	v_lshlrev_b64 v[52:53], 2, v[76:77]
	s_cbranch_vccnz .LBB57_204
; %bb.203:
	s_delay_alu instid0(VALU_DEP_1) | instskip(NEXT) | instid1(VALU_DEP_2)
	v_add_co_u32 v58, vcc_lo, v56, v52
	v_add_co_ci_u32_e32 v59, vcc_lo, v57, v53, vcc_lo
	flat_load_b32 v58, v[58:59]
	s_waitcnt vmcnt(0) lgkmcnt(0)
	v_mul_f32_e32 v58, s15, v58
	s_branch .LBB57_205
.LBB57_204:
	v_mov_b32_e32 v58, 0
.LBB57_205:
	v_dual_add_f32 v59, v9, v49 :: v_dual_add_f32 v60, v8, v48
	v_dual_add_f32 v61, v11, v51 :: v_dual_add_f32 v62, v10, v50
	s_delay_alu instid0(VALU_DEP_4) | instskip(NEXT) | instid1(VALU_DEP_3)
	v_add_co_u32 v52, vcc_lo, v54, v52
	v_min3_f32 v59, v60, v59, v115
	v_add_co_ci_u32_e32 v53, vcc_lo, v55, v53, vcc_lo
	s_delay_alu instid0(VALU_DEP_4) | instskip(NEXT) | instid1(VALU_DEP_1)
	v_min_f32_e32 v60, v62, v61
	v_min3_f32 v58, v58, v60, v59
	global_store_b32 v[52:53], v58, off
	s_or_b32 exec_lo, exec_lo, s11
	s_and_b32 s11, s7, s8
	s_delay_alu instid0(SALU_CYCLE_1)
	s_and_saveexec_b32 s8, s11
	s_cbranch_execz .LBB57_210
.LBB57_206:
	v_cmp_ne_u32_e32 vcc_lo, 1, v121
	v_lshlrev_b64 v[52:53], 2, v[78:79]
	s_cbranch_vccnz .LBB57_208
; %bb.207:
	s_delay_alu instid0(VALU_DEP_1) | instskip(NEXT) | instid1(VALU_DEP_2)
	v_add_co_u32 v56, vcc_lo, v56, v52
	v_add_co_ci_u32_e32 v57, vcc_lo, v57, v53, vcc_lo
	flat_load_b32 v56, v[56:57]
	s_waitcnt vmcnt(0) lgkmcnt(0)
	v_mul_f32_e32 v56, s15, v56
	s_branch .LBB57_209
.LBB57_208:
	v_mov_b32_e32 v56, 0
.LBB57_209:
	v_dual_add_f32 v49, v1, v49 :: v_dual_add_f32 v48, v0, v48
	v_dual_add_f32 v51, v3, v51 :: v_dual_add_f32 v50, v2, v50
	s_delay_alu instid0(VALU_DEP_2) | instskip(NEXT) | instid1(VALU_DEP_2)
	v_min3_f32 v48, v48, v49, v114
	v_min_f32_e32 v49, v50, v51
	s_delay_alu instid0(VALU_DEP_1)
	v_min3_f32 v50, v56, v49, v48
	v_add_co_u32 v48, vcc_lo, v54, v52
	v_add_co_ci_u32_e32 v49, vcc_lo, v55, v53, vcc_lo
	global_store_b32 v[48:49], v50, off
.LBB57_210:
	s_or_b32 exec_lo, exec_lo, s8
	v_add_nc_u32_e32 v52, 32, v132
	s_delay_alu instid0(VALU_DEP_1) | instskip(SKIP_2) | instid1(VALU_DEP_3)
	v_mad_i64_i32 v[48:49], null, v52, s18, 0
	v_mad_i64_i32 v[50:51], null, v52, s14, 0
	v_cmp_gt_i32_e64 s8, s17, v52
	v_lshlrev_b64 v[48:49], 2, v[48:49]
	s_delay_alu instid0(VALU_DEP_2) | instskip(NEXT) | instid1(VALU_DEP_3)
	s_and_b32 s16, s0, s8
	v_lshlrev_b64 v[50:51], 2, v[50:51]
	s_delay_alu instid0(VALU_DEP_2) | instskip(NEXT) | instid1(VALU_DEP_3)
	v_add_co_u32 v52, vcc_lo, s12, v48
	v_add_co_ci_u32_e32 v53, vcc_lo, s13, v49, vcc_lo
	s_delay_alu instid0(VALU_DEP_3) | instskip(NEXT) | instid1(VALU_DEP_4)
	v_add_co_u32 v50, vcc_lo, s9, v50
	v_add_co_ci_u32_e32 v51, vcc_lo, s10, v51, vcc_lo
	s_and_saveexec_b32 s11, s16
	s_cbranch_execnz .LBB57_218
; %bb.211:
	s_or_b32 exec_lo, exec_lo, s11
	s_and_b32 s16, s1, s8
	s_delay_alu instid0(SALU_CYCLE_1)
	s_and_saveexec_b32 s11, s16
	s_cbranch_execnz .LBB57_222
.LBB57_212:
	s_or_b32 exec_lo, exec_lo, s11
	s_and_b32 s16, s2, s8
	s_delay_alu instid0(SALU_CYCLE_1)
	s_and_saveexec_b32 s11, s16
	s_cbranch_execnz .LBB57_226
.LBB57_213:
	s_or_b32 exec_lo, exec_lo, s11
	s_and_b32 s16, s3, s8
	s_delay_alu instid0(SALU_CYCLE_1)
	s_and_saveexec_b32 s11, s16
	s_cbranch_execnz .LBB57_230
.LBB57_214:
	s_or_b32 exec_lo, exec_lo, s11
	s_and_b32 s16, s4, s8
	s_delay_alu instid0(SALU_CYCLE_1)
	s_and_saveexec_b32 s11, s16
	s_cbranch_execnz .LBB57_234
.LBB57_215:
	s_or_b32 exec_lo, exec_lo, s11
	s_and_b32 s16, s5, s8
	s_delay_alu instid0(SALU_CYCLE_1)
	s_and_saveexec_b32 s11, s16
	s_cbranch_execnz .LBB57_238
.LBB57_216:
	s_or_b32 exec_lo, exec_lo, s11
	s_and_b32 s16, s6, s8
	s_delay_alu instid0(SALU_CYCLE_1)
	s_and_saveexec_b32 s11, s16
	s_cbranch_execnz .LBB57_242
.LBB57_217:
	s_or_b32 exec_lo, exec_lo, s11
	s_and_b32 s11, s7, s8
	s_delay_alu instid0(SALU_CYCLE_1)
	s_and_saveexec_b32 s8, s11
	s_cbranch_execnz .LBB57_246
	s_branch .LBB57_250
.LBB57_218:
	v_cmp_ne_u32_e32 vcc_lo, 1, v121
	v_lshlrev_b64 v[48:49], 2, v[64:65]
	s_cbranch_vccnz .LBB57_220
; %bb.219:
	s_delay_alu instid0(VALU_DEP_1) | instskip(NEXT) | instid1(VALU_DEP_2)
	v_add_co_u32 v54, vcc_lo, v52, v48
	v_add_co_ci_u32_e32 v55, vcc_lo, v53, v49, vcc_lo
	flat_load_b32 v54, v[54:55]
	s_waitcnt vmcnt(0) lgkmcnt(0)
	v_mul_f32_e32 v54, s15, v54
	s_branch .LBB57_221
.LBB57_220:
	v_mov_b32_e32 v54, 0
.LBB57_221:
	v_dual_add_f32 v55, v33, v45 :: v_dual_add_f32 v56, v32, v44
	v_dual_add_f32 v57, v35, v47 :: v_dual_add_f32 v58, v34, v46
	s_delay_alu instid0(VALU_DEP_4) | instskip(NEXT) | instid1(VALU_DEP_3)
	v_add_co_u32 v48, vcc_lo, v50, v48
	v_min3_f32 v55, v56, v55, v113
	v_add_co_ci_u32_e32 v49, vcc_lo, v51, v49, vcc_lo
	s_delay_alu instid0(VALU_DEP_4) | instskip(NEXT) | instid1(VALU_DEP_1)
	v_min_f32_e32 v56, v58, v57
	v_min3_f32 v54, v54, v56, v55
	global_store_b32 v[48:49], v54, off
	s_or_b32 exec_lo, exec_lo, s11
	s_and_b32 s16, s1, s8
	s_delay_alu instid0(SALU_CYCLE_1)
	s_and_saveexec_b32 s11, s16
	s_cbranch_execz .LBB57_212
.LBB57_222:
	v_cmp_ne_u32_e32 vcc_lo, 1, v121
	v_lshlrev_b64 v[48:49], 2, v[66:67]
	s_cbranch_vccnz .LBB57_224
; %bb.223:
	s_delay_alu instid0(VALU_DEP_1) | instskip(NEXT) | instid1(VALU_DEP_2)
	v_add_co_u32 v54, vcc_lo, v52, v48
	v_add_co_ci_u32_e32 v55, vcc_lo, v53, v49, vcc_lo
	flat_load_b32 v54, v[54:55]
	s_waitcnt vmcnt(0) lgkmcnt(0)
	v_mul_f32_e32 v54, s15, v54
	s_branch .LBB57_225
.LBB57_224:
	v_mov_b32_e32 v54, 0
.LBB57_225:
	v_dual_add_f32 v55, v29, v45 :: v_dual_add_f32 v56, v28, v44
	v_dual_add_f32 v57, v31, v47 :: v_dual_add_f32 v58, v30, v46
	s_delay_alu instid0(VALU_DEP_4) | instskip(NEXT) | instid1(VALU_DEP_3)
	v_add_co_u32 v48, vcc_lo, v50, v48
	v_min3_f32 v55, v56, v55, v112
	v_add_co_ci_u32_e32 v49, vcc_lo, v51, v49, vcc_lo
	s_delay_alu instid0(VALU_DEP_4) | instskip(NEXT) | instid1(VALU_DEP_1)
	v_min_f32_e32 v56, v58, v57
	v_min3_f32 v54, v54, v56, v55
	global_store_b32 v[48:49], v54, off
	s_or_b32 exec_lo, exec_lo, s11
	s_and_b32 s16, s2, s8
	s_delay_alu instid0(SALU_CYCLE_1)
	s_and_saveexec_b32 s11, s16
	s_cbranch_execz .LBB57_213
.LBB57_226:
	v_cmp_ne_u32_e32 vcc_lo, 1, v121
	v_lshlrev_b64 v[48:49], 2, v[68:69]
	s_cbranch_vccnz .LBB57_228
; %bb.227:
	s_delay_alu instid0(VALU_DEP_1) | instskip(NEXT) | instid1(VALU_DEP_2)
	v_add_co_u32 v54, vcc_lo, v52, v48
	v_add_co_ci_u32_e32 v55, vcc_lo, v53, v49, vcc_lo
	flat_load_b32 v54, v[54:55]
	s_waitcnt vmcnt(0) lgkmcnt(0)
	v_mul_f32_e32 v54, s15, v54
	s_branch .LBB57_229
.LBB57_228:
	v_mov_b32_e32 v54, 0
.LBB57_229:
	v_dual_add_f32 v55, v25, v45 :: v_dual_add_f32 v56, v24, v44
	v_dual_add_f32 v57, v27, v47 :: v_dual_add_f32 v58, v26, v46
	s_delay_alu instid0(VALU_DEP_4) | instskip(NEXT) | instid1(VALU_DEP_3)
	v_add_co_u32 v48, vcc_lo, v50, v48
	v_min3_f32 v55, v56, v55, v111
	v_add_co_ci_u32_e32 v49, vcc_lo, v51, v49, vcc_lo
	s_delay_alu instid0(VALU_DEP_4) | instskip(NEXT) | instid1(VALU_DEP_1)
	v_min_f32_e32 v56, v58, v57
	v_min3_f32 v54, v54, v56, v55
	global_store_b32 v[48:49], v54, off
	s_or_b32 exec_lo, exec_lo, s11
	s_and_b32 s16, s3, s8
	s_delay_alu instid0(SALU_CYCLE_1)
	s_and_saveexec_b32 s11, s16
	s_cbranch_execz .LBB57_214
.LBB57_230:
	v_cmp_ne_u32_e32 vcc_lo, 1, v121
	v_lshlrev_b64 v[48:49], 2, v[70:71]
	s_cbranch_vccnz .LBB57_232
; %bb.231:
	s_delay_alu instid0(VALU_DEP_1) | instskip(NEXT) | instid1(VALU_DEP_2)
	v_add_co_u32 v54, vcc_lo, v52, v48
	v_add_co_ci_u32_e32 v55, vcc_lo, v53, v49, vcc_lo
	flat_load_b32 v54, v[54:55]
	s_waitcnt vmcnt(0) lgkmcnt(0)
	v_mul_f32_e32 v54, s15, v54
	s_branch .LBB57_233
.LBB57_232:
	v_mov_b32_e32 v54, 0
.LBB57_233:
	v_dual_add_f32 v55, v21, v45 :: v_dual_add_f32 v56, v20, v44
	v_dual_add_f32 v57, v23, v47 :: v_dual_add_f32 v58, v22, v46
	s_delay_alu instid0(VALU_DEP_4) | instskip(NEXT) | instid1(VALU_DEP_3)
	v_add_co_u32 v48, vcc_lo, v50, v48
	v_min3_f32 v55, v56, v55, v110
	v_add_co_ci_u32_e32 v49, vcc_lo, v51, v49, vcc_lo
	s_delay_alu instid0(VALU_DEP_4) | instskip(NEXT) | instid1(VALU_DEP_1)
	v_min_f32_e32 v56, v58, v57
	v_min3_f32 v54, v54, v56, v55
	global_store_b32 v[48:49], v54, off
	s_or_b32 exec_lo, exec_lo, s11
	s_and_b32 s16, s4, s8
	s_delay_alu instid0(SALU_CYCLE_1)
	s_and_saveexec_b32 s11, s16
	s_cbranch_execz .LBB57_215
.LBB57_234:
	v_cmp_ne_u32_e32 vcc_lo, 1, v121
	v_lshlrev_b64 v[48:49], 2, v[72:73]
	s_cbranch_vccnz .LBB57_236
; %bb.235:
	s_delay_alu instid0(VALU_DEP_1) | instskip(NEXT) | instid1(VALU_DEP_2)
	v_add_co_u32 v54, vcc_lo, v52, v48
	v_add_co_ci_u32_e32 v55, vcc_lo, v53, v49, vcc_lo
	flat_load_b32 v54, v[54:55]
	s_waitcnt vmcnt(0) lgkmcnt(0)
	v_mul_f32_e32 v54, s15, v54
	s_branch .LBB57_237
.LBB57_236:
	v_mov_b32_e32 v54, 0
.LBB57_237:
	v_dual_add_f32 v55, v17, v45 :: v_dual_add_f32 v56, v16, v44
	v_dual_add_f32 v57, v19, v47 :: v_dual_add_f32 v58, v18, v46
	s_delay_alu instid0(VALU_DEP_4) | instskip(NEXT) | instid1(VALU_DEP_3)
	v_add_co_u32 v48, vcc_lo, v50, v48
	v_min3_f32 v55, v56, v55, v109
	v_add_co_ci_u32_e32 v49, vcc_lo, v51, v49, vcc_lo
	s_delay_alu instid0(VALU_DEP_4) | instskip(NEXT) | instid1(VALU_DEP_1)
	v_min_f32_e32 v56, v58, v57
	v_min3_f32 v54, v54, v56, v55
	global_store_b32 v[48:49], v54, off
	s_or_b32 exec_lo, exec_lo, s11
	s_and_b32 s16, s5, s8
	s_delay_alu instid0(SALU_CYCLE_1)
	s_and_saveexec_b32 s11, s16
	s_cbranch_execz .LBB57_216
.LBB57_238:
	v_cmp_ne_u32_e32 vcc_lo, 1, v121
	v_lshlrev_b64 v[48:49], 2, v[74:75]
	s_cbranch_vccnz .LBB57_240
; %bb.239:
	s_delay_alu instid0(VALU_DEP_1) | instskip(NEXT) | instid1(VALU_DEP_2)
	v_add_co_u32 v54, vcc_lo, v52, v48
	v_add_co_ci_u32_e32 v55, vcc_lo, v53, v49, vcc_lo
	flat_load_b32 v54, v[54:55]
	s_waitcnt vmcnt(0) lgkmcnt(0)
	v_mul_f32_e32 v54, s15, v54
	s_branch .LBB57_241
.LBB57_240:
	v_mov_b32_e32 v54, 0
.LBB57_241:
	v_dual_add_f32 v55, v13, v45 :: v_dual_add_f32 v56, v12, v44
	v_dual_add_f32 v57, v15, v47 :: v_dual_add_f32 v58, v14, v46
	s_delay_alu instid0(VALU_DEP_4) | instskip(NEXT) | instid1(VALU_DEP_3)
	v_add_co_u32 v48, vcc_lo, v50, v48
	v_min3_f32 v55, v56, v55, v108
	v_add_co_ci_u32_e32 v49, vcc_lo, v51, v49, vcc_lo
	s_delay_alu instid0(VALU_DEP_4) | instskip(NEXT) | instid1(VALU_DEP_1)
	v_min_f32_e32 v56, v58, v57
	v_min3_f32 v54, v54, v56, v55
	global_store_b32 v[48:49], v54, off
	s_or_b32 exec_lo, exec_lo, s11
	s_and_b32 s16, s6, s8
	s_delay_alu instid0(SALU_CYCLE_1)
	s_and_saveexec_b32 s11, s16
	s_cbranch_execz .LBB57_217
.LBB57_242:
	v_cmp_ne_u32_e32 vcc_lo, 1, v121
	v_lshlrev_b64 v[48:49], 2, v[76:77]
	s_cbranch_vccnz .LBB57_244
; %bb.243:
	s_delay_alu instid0(VALU_DEP_1) | instskip(NEXT) | instid1(VALU_DEP_2)
	v_add_co_u32 v54, vcc_lo, v52, v48
	v_add_co_ci_u32_e32 v55, vcc_lo, v53, v49, vcc_lo
	flat_load_b32 v54, v[54:55]
	s_waitcnt vmcnt(0) lgkmcnt(0)
	v_mul_f32_e32 v54, s15, v54
	s_branch .LBB57_245
.LBB57_244:
	v_mov_b32_e32 v54, 0
.LBB57_245:
	v_dual_add_f32 v55, v9, v45 :: v_dual_add_f32 v56, v8, v44
	v_dual_add_f32 v57, v11, v47 :: v_dual_add_f32 v58, v10, v46
	s_delay_alu instid0(VALU_DEP_4) | instskip(NEXT) | instid1(VALU_DEP_3)
	v_add_co_u32 v48, vcc_lo, v50, v48
	v_min3_f32 v55, v56, v55, v107
	v_add_co_ci_u32_e32 v49, vcc_lo, v51, v49, vcc_lo
	s_delay_alu instid0(VALU_DEP_4) | instskip(NEXT) | instid1(VALU_DEP_1)
	v_min_f32_e32 v56, v58, v57
	v_min3_f32 v54, v54, v56, v55
	global_store_b32 v[48:49], v54, off
	s_or_b32 exec_lo, exec_lo, s11
	s_and_b32 s11, s7, s8
	s_delay_alu instid0(SALU_CYCLE_1)
	s_and_saveexec_b32 s8, s11
	s_cbranch_execz .LBB57_250
.LBB57_246:
	v_cmp_ne_u32_e32 vcc_lo, 1, v121
	v_lshlrev_b64 v[48:49], 2, v[78:79]
	s_cbranch_vccnz .LBB57_248
; %bb.247:
	s_delay_alu instid0(VALU_DEP_1) | instskip(NEXT) | instid1(VALU_DEP_2)
	v_add_co_u32 v52, vcc_lo, v52, v48
	v_add_co_ci_u32_e32 v53, vcc_lo, v53, v49, vcc_lo
	flat_load_b32 v52, v[52:53]
	s_waitcnt vmcnt(0) lgkmcnt(0)
	v_mul_f32_e32 v52, s15, v52
	s_branch .LBB57_249
.LBB57_248:
	v_mov_b32_e32 v52, 0
.LBB57_249:
	v_dual_add_f32 v45, v1, v45 :: v_dual_add_f32 v44, v0, v44
	v_dual_add_f32 v47, v3, v47 :: v_dual_add_f32 v46, v2, v46
	s_delay_alu instid0(VALU_DEP_2) | instskip(NEXT) | instid1(VALU_DEP_2)
	v_min3_f32 v44, v44, v45, v106
	v_min_f32_e32 v45, v46, v47
	s_delay_alu instid0(VALU_DEP_1)
	v_min3_f32 v46, v52, v45, v44
	v_add_co_u32 v44, vcc_lo, v50, v48
	v_add_co_ci_u32_e32 v45, vcc_lo, v51, v49, vcc_lo
	global_store_b32 v[44:45], v46, off
.LBB57_250:
	s_or_b32 exec_lo, exec_lo, s8
	v_add_nc_u32_e32 v48, 40, v132
	s_delay_alu instid0(VALU_DEP_1) | instskip(SKIP_2) | instid1(VALU_DEP_3)
	v_mad_i64_i32 v[44:45], null, v48, s18, 0
	v_mad_i64_i32 v[46:47], null, v48, s14, 0
	v_cmp_gt_i32_e64 s8, s17, v48
	v_lshlrev_b64 v[44:45], 2, v[44:45]
	s_delay_alu instid0(VALU_DEP_2) | instskip(NEXT) | instid1(VALU_DEP_3)
	s_and_b32 s16, s0, s8
	v_lshlrev_b64 v[46:47], 2, v[46:47]
	s_delay_alu instid0(VALU_DEP_2) | instskip(NEXT) | instid1(VALU_DEP_3)
	v_add_co_u32 v48, vcc_lo, s12, v44
	v_add_co_ci_u32_e32 v49, vcc_lo, s13, v45, vcc_lo
	s_delay_alu instid0(VALU_DEP_3) | instskip(NEXT) | instid1(VALU_DEP_4)
	v_add_co_u32 v46, vcc_lo, s9, v46
	v_add_co_ci_u32_e32 v47, vcc_lo, s10, v47, vcc_lo
	s_and_saveexec_b32 s11, s16
	s_cbranch_execnz .LBB57_258
; %bb.251:
	s_or_b32 exec_lo, exec_lo, s11
	s_and_b32 s16, s1, s8
	s_delay_alu instid0(SALU_CYCLE_1)
	s_and_saveexec_b32 s11, s16
	s_cbranch_execnz .LBB57_262
.LBB57_252:
	s_or_b32 exec_lo, exec_lo, s11
	s_and_b32 s16, s2, s8
	s_delay_alu instid0(SALU_CYCLE_1)
	s_and_saveexec_b32 s11, s16
	s_cbranch_execnz .LBB57_266
.LBB57_253:
	s_or_b32 exec_lo, exec_lo, s11
	s_and_b32 s16, s3, s8
	s_delay_alu instid0(SALU_CYCLE_1)
	s_and_saveexec_b32 s11, s16
	s_cbranch_execnz .LBB57_270
.LBB57_254:
	s_or_b32 exec_lo, exec_lo, s11
	s_and_b32 s16, s4, s8
	s_delay_alu instid0(SALU_CYCLE_1)
	s_and_saveexec_b32 s11, s16
	s_cbranch_execnz .LBB57_274
.LBB57_255:
	s_or_b32 exec_lo, exec_lo, s11
	s_and_b32 s16, s5, s8
	s_delay_alu instid0(SALU_CYCLE_1)
	s_and_saveexec_b32 s11, s16
	s_cbranch_execnz .LBB57_278
.LBB57_256:
	s_or_b32 exec_lo, exec_lo, s11
	s_and_b32 s16, s6, s8
	s_delay_alu instid0(SALU_CYCLE_1)
	s_and_saveexec_b32 s11, s16
	s_cbranch_execnz .LBB57_282
.LBB57_257:
	s_or_b32 exec_lo, exec_lo, s11
	s_and_b32 s11, s7, s8
	s_delay_alu instid0(SALU_CYCLE_1)
	s_and_saveexec_b32 s8, s11
	s_cbranch_execnz .LBB57_286
	s_branch .LBB57_290
.LBB57_258:
	v_cmp_ne_u32_e32 vcc_lo, 1, v121
	v_lshlrev_b64 v[44:45], 2, v[64:65]
	s_cbranch_vccnz .LBB57_260
; %bb.259:
	s_delay_alu instid0(VALU_DEP_1) | instskip(NEXT) | instid1(VALU_DEP_2)
	v_add_co_u32 v50, vcc_lo, v48, v44
	v_add_co_ci_u32_e32 v51, vcc_lo, v49, v45, vcc_lo
	flat_load_b32 v50, v[50:51]
	s_waitcnt vmcnt(0) lgkmcnt(0)
	v_mul_f32_e32 v50, s15, v50
	s_branch .LBB57_261
.LBB57_260:
	v_mov_b32_e32 v50, 0
.LBB57_261:
	v_dual_add_f32 v51, v33, v41 :: v_dual_add_f32 v52, v32, v40
	v_dual_add_f32 v53, v35, v43 :: v_dual_add_f32 v54, v34, v42
	s_delay_alu instid0(VALU_DEP_4) | instskip(NEXT) | instid1(VALU_DEP_3)
	v_add_co_u32 v44, vcc_lo, v46, v44
	v_min3_f32 v51, v52, v51, v105
	v_add_co_ci_u32_e32 v45, vcc_lo, v47, v45, vcc_lo
	s_delay_alu instid0(VALU_DEP_4) | instskip(NEXT) | instid1(VALU_DEP_1)
	v_min_f32_e32 v52, v54, v53
	v_min3_f32 v50, v50, v52, v51
	global_store_b32 v[44:45], v50, off
	s_or_b32 exec_lo, exec_lo, s11
	s_and_b32 s16, s1, s8
	s_delay_alu instid0(SALU_CYCLE_1)
	s_and_saveexec_b32 s11, s16
	s_cbranch_execz .LBB57_252
.LBB57_262:
	v_cmp_ne_u32_e32 vcc_lo, 1, v121
	v_lshlrev_b64 v[44:45], 2, v[66:67]
	s_cbranch_vccnz .LBB57_264
; %bb.263:
	s_delay_alu instid0(VALU_DEP_1) | instskip(NEXT) | instid1(VALU_DEP_2)
	v_add_co_u32 v50, vcc_lo, v48, v44
	v_add_co_ci_u32_e32 v51, vcc_lo, v49, v45, vcc_lo
	flat_load_b32 v50, v[50:51]
	s_waitcnt vmcnt(0) lgkmcnt(0)
	v_mul_f32_e32 v50, s15, v50
	s_branch .LBB57_265
.LBB57_264:
	v_mov_b32_e32 v50, 0
.LBB57_265:
	v_dual_add_f32 v51, v29, v41 :: v_dual_add_f32 v52, v28, v40
	v_dual_add_f32 v53, v31, v43 :: v_dual_add_f32 v54, v30, v42
	s_delay_alu instid0(VALU_DEP_4) | instskip(NEXT) | instid1(VALU_DEP_3)
	v_add_co_u32 v44, vcc_lo, v46, v44
	v_min3_f32 v51, v52, v51, v104
	v_add_co_ci_u32_e32 v45, vcc_lo, v47, v45, vcc_lo
	s_delay_alu instid0(VALU_DEP_4) | instskip(NEXT) | instid1(VALU_DEP_1)
	v_min_f32_e32 v52, v54, v53
	v_min3_f32 v50, v50, v52, v51
	global_store_b32 v[44:45], v50, off
	s_or_b32 exec_lo, exec_lo, s11
	s_and_b32 s16, s2, s8
	s_delay_alu instid0(SALU_CYCLE_1)
	s_and_saveexec_b32 s11, s16
	s_cbranch_execz .LBB57_253
.LBB57_266:
	v_cmp_ne_u32_e32 vcc_lo, 1, v121
	v_lshlrev_b64 v[44:45], 2, v[68:69]
	s_cbranch_vccnz .LBB57_268
; %bb.267:
	s_delay_alu instid0(VALU_DEP_1) | instskip(NEXT) | instid1(VALU_DEP_2)
	v_add_co_u32 v50, vcc_lo, v48, v44
	v_add_co_ci_u32_e32 v51, vcc_lo, v49, v45, vcc_lo
	flat_load_b32 v50, v[50:51]
	s_waitcnt vmcnt(0) lgkmcnt(0)
	v_mul_f32_e32 v50, s15, v50
	s_branch .LBB57_269
.LBB57_268:
	v_mov_b32_e32 v50, 0
.LBB57_269:
	v_dual_add_f32 v51, v25, v41 :: v_dual_add_f32 v52, v24, v40
	v_dual_add_f32 v53, v27, v43 :: v_dual_add_f32 v54, v26, v42
	s_delay_alu instid0(VALU_DEP_4) | instskip(NEXT) | instid1(VALU_DEP_3)
	v_add_co_u32 v44, vcc_lo, v46, v44
	v_min3_f32 v51, v52, v51, v103
	v_add_co_ci_u32_e32 v45, vcc_lo, v47, v45, vcc_lo
	s_delay_alu instid0(VALU_DEP_4) | instskip(NEXT) | instid1(VALU_DEP_1)
	v_min_f32_e32 v52, v54, v53
	v_min3_f32 v50, v50, v52, v51
	global_store_b32 v[44:45], v50, off
	s_or_b32 exec_lo, exec_lo, s11
	s_and_b32 s16, s3, s8
	s_delay_alu instid0(SALU_CYCLE_1)
	s_and_saveexec_b32 s11, s16
	s_cbranch_execz .LBB57_254
.LBB57_270:
	v_cmp_ne_u32_e32 vcc_lo, 1, v121
	v_lshlrev_b64 v[44:45], 2, v[70:71]
	s_cbranch_vccnz .LBB57_272
; %bb.271:
	s_delay_alu instid0(VALU_DEP_1) | instskip(NEXT) | instid1(VALU_DEP_2)
	v_add_co_u32 v50, vcc_lo, v48, v44
	v_add_co_ci_u32_e32 v51, vcc_lo, v49, v45, vcc_lo
	flat_load_b32 v50, v[50:51]
	s_waitcnt vmcnt(0) lgkmcnt(0)
	v_mul_f32_e32 v50, s15, v50
	s_branch .LBB57_273
.LBB57_272:
	v_mov_b32_e32 v50, 0
.LBB57_273:
	v_dual_add_f32 v51, v21, v41 :: v_dual_add_f32 v52, v20, v40
	v_dual_add_f32 v53, v23, v43 :: v_dual_add_f32 v54, v22, v42
	s_delay_alu instid0(VALU_DEP_4) | instskip(NEXT) | instid1(VALU_DEP_3)
	v_add_co_u32 v44, vcc_lo, v46, v44
	v_min3_f32 v51, v52, v51, v102
	v_add_co_ci_u32_e32 v45, vcc_lo, v47, v45, vcc_lo
	s_delay_alu instid0(VALU_DEP_4) | instskip(NEXT) | instid1(VALU_DEP_1)
	v_min_f32_e32 v52, v54, v53
	v_min3_f32 v50, v50, v52, v51
	global_store_b32 v[44:45], v50, off
	s_or_b32 exec_lo, exec_lo, s11
	s_and_b32 s16, s4, s8
	s_delay_alu instid0(SALU_CYCLE_1)
	s_and_saveexec_b32 s11, s16
	s_cbranch_execz .LBB57_255
.LBB57_274:
	v_cmp_ne_u32_e32 vcc_lo, 1, v121
	v_lshlrev_b64 v[44:45], 2, v[72:73]
	s_cbranch_vccnz .LBB57_276
; %bb.275:
	s_delay_alu instid0(VALU_DEP_1) | instskip(NEXT) | instid1(VALU_DEP_2)
	v_add_co_u32 v50, vcc_lo, v48, v44
	v_add_co_ci_u32_e32 v51, vcc_lo, v49, v45, vcc_lo
	flat_load_b32 v50, v[50:51]
	s_waitcnt vmcnt(0) lgkmcnt(0)
	v_mul_f32_e32 v50, s15, v50
	s_branch .LBB57_277
.LBB57_276:
	v_mov_b32_e32 v50, 0
.LBB57_277:
	v_dual_add_f32 v51, v17, v41 :: v_dual_add_f32 v52, v16, v40
	v_dual_add_f32 v53, v19, v43 :: v_dual_add_f32 v54, v18, v42
	s_delay_alu instid0(VALU_DEP_4) | instskip(NEXT) | instid1(VALU_DEP_3)
	v_add_co_u32 v44, vcc_lo, v46, v44
	v_min3_f32 v51, v52, v51, v101
	v_add_co_ci_u32_e32 v45, vcc_lo, v47, v45, vcc_lo
	s_delay_alu instid0(VALU_DEP_4) | instskip(NEXT) | instid1(VALU_DEP_1)
	v_min_f32_e32 v52, v54, v53
	v_min3_f32 v50, v50, v52, v51
	global_store_b32 v[44:45], v50, off
	s_or_b32 exec_lo, exec_lo, s11
	s_and_b32 s16, s5, s8
	s_delay_alu instid0(SALU_CYCLE_1)
	s_and_saveexec_b32 s11, s16
	s_cbranch_execz .LBB57_256
.LBB57_278:
	v_cmp_ne_u32_e32 vcc_lo, 1, v121
	v_lshlrev_b64 v[44:45], 2, v[74:75]
	s_cbranch_vccnz .LBB57_280
; %bb.279:
	s_delay_alu instid0(VALU_DEP_1) | instskip(NEXT) | instid1(VALU_DEP_2)
	v_add_co_u32 v50, vcc_lo, v48, v44
	v_add_co_ci_u32_e32 v51, vcc_lo, v49, v45, vcc_lo
	flat_load_b32 v50, v[50:51]
	s_waitcnt vmcnt(0) lgkmcnt(0)
	v_mul_f32_e32 v50, s15, v50
	s_branch .LBB57_281
.LBB57_280:
	v_mov_b32_e32 v50, 0
.LBB57_281:
	v_dual_add_f32 v51, v13, v41 :: v_dual_add_f32 v52, v12, v40
	v_dual_add_f32 v53, v15, v43 :: v_dual_add_f32 v54, v14, v42
	s_delay_alu instid0(VALU_DEP_4) | instskip(NEXT) | instid1(VALU_DEP_3)
	v_add_co_u32 v44, vcc_lo, v46, v44
	v_min3_f32 v51, v52, v51, v100
	v_add_co_ci_u32_e32 v45, vcc_lo, v47, v45, vcc_lo
	s_delay_alu instid0(VALU_DEP_4) | instskip(NEXT) | instid1(VALU_DEP_1)
	v_min_f32_e32 v52, v54, v53
	v_min3_f32 v50, v50, v52, v51
	global_store_b32 v[44:45], v50, off
	s_or_b32 exec_lo, exec_lo, s11
	s_and_b32 s16, s6, s8
	s_delay_alu instid0(SALU_CYCLE_1)
	s_and_saveexec_b32 s11, s16
	s_cbranch_execz .LBB57_257
.LBB57_282:
	v_cmp_ne_u32_e32 vcc_lo, 1, v121
	v_lshlrev_b64 v[44:45], 2, v[76:77]
	s_cbranch_vccnz .LBB57_284
; %bb.283:
	s_delay_alu instid0(VALU_DEP_1) | instskip(NEXT) | instid1(VALU_DEP_2)
	v_add_co_u32 v50, vcc_lo, v48, v44
	v_add_co_ci_u32_e32 v51, vcc_lo, v49, v45, vcc_lo
	flat_load_b32 v50, v[50:51]
	s_waitcnt vmcnt(0) lgkmcnt(0)
	v_mul_f32_e32 v50, s15, v50
	s_branch .LBB57_285
.LBB57_284:
	v_mov_b32_e32 v50, 0
.LBB57_285:
	v_dual_add_f32 v51, v9, v41 :: v_dual_add_f32 v52, v8, v40
	v_dual_add_f32 v53, v11, v43 :: v_dual_add_f32 v54, v10, v42
	s_delay_alu instid0(VALU_DEP_4) | instskip(NEXT) | instid1(VALU_DEP_3)
	v_add_co_u32 v44, vcc_lo, v46, v44
	v_min3_f32 v51, v52, v51, v99
	v_add_co_ci_u32_e32 v45, vcc_lo, v47, v45, vcc_lo
	s_delay_alu instid0(VALU_DEP_4) | instskip(NEXT) | instid1(VALU_DEP_1)
	v_min_f32_e32 v52, v54, v53
	v_min3_f32 v50, v50, v52, v51
	global_store_b32 v[44:45], v50, off
	s_or_b32 exec_lo, exec_lo, s11
	s_and_b32 s11, s7, s8
	s_delay_alu instid0(SALU_CYCLE_1)
	s_and_saveexec_b32 s8, s11
	s_cbranch_execz .LBB57_290
.LBB57_286:
	v_cmp_ne_u32_e32 vcc_lo, 1, v121
	v_lshlrev_b64 v[44:45], 2, v[78:79]
	s_cbranch_vccnz .LBB57_288
; %bb.287:
	s_delay_alu instid0(VALU_DEP_1) | instskip(NEXT) | instid1(VALU_DEP_2)
	v_add_co_u32 v48, vcc_lo, v48, v44
	v_add_co_ci_u32_e32 v49, vcc_lo, v49, v45, vcc_lo
	flat_load_b32 v48, v[48:49]
	s_waitcnt vmcnt(0) lgkmcnt(0)
	v_mul_f32_e32 v48, s15, v48
	s_branch .LBB57_289
.LBB57_288:
	v_mov_b32_e32 v48, 0
.LBB57_289:
	v_dual_add_f32 v41, v1, v41 :: v_dual_add_f32 v40, v0, v40
	v_dual_add_f32 v43, v3, v43 :: v_dual_add_f32 v42, v2, v42
	s_delay_alu instid0(VALU_DEP_2) | instskip(NEXT) | instid1(VALU_DEP_2)
	v_min3_f32 v40, v40, v41, v98
	v_min_f32_e32 v41, v42, v43
	s_delay_alu instid0(VALU_DEP_1)
	v_min3_f32 v42, v48, v41, v40
	v_add_co_u32 v40, vcc_lo, v46, v44
	v_add_co_ci_u32_e32 v41, vcc_lo, v47, v45, vcc_lo
	global_store_b32 v[40:41], v42, off
.LBB57_290:
	s_or_b32 exec_lo, exec_lo, s8
	v_add_nc_u32_e32 v44, 48, v132
	s_delay_alu instid0(VALU_DEP_1) | instskip(SKIP_2) | instid1(VALU_DEP_3)
	v_mad_i64_i32 v[40:41], null, v44, s18, 0
	v_mad_i64_i32 v[42:43], null, v44, s14, 0
	v_cmp_gt_i32_e64 s8, s17, v44
	v_lshlrev_b64 v[40:41], 2, v[40:41]
	s_delay_alu instid0(VALU_DEP_2) | instskip(NEXT) | instid1(VALU_DEP_3)
	s_and_b32 s16, s0, s8
	v_lshlrev_b64 v[42:43], 2, v[42:43]
	s_delay_alu instid0(VALU_DEP_2) | instskip(NEXT) | instid1(VALU_DEP_3)
	v_add_co_u32 v44, vcc_lo, s12, v40
	v_add_co_ci_u32_e32 v45, vcc_lo, s13, v41, vcc_lo
	s_delay_alu instid0(VALU_DEP_3) | instskip(NEXT) | instid1(VALU_DEP_4)
	v_add_co_u32 v42, vcc_lo, s9, v42
	v_add_co_ci_u32_e32 v43, vcc_lo, s10, v43, vcc_lo
	s_and_saveexec_b32 s11, s16
	s_cbranch_execnz .LBB57_298
; %bb.291:
	s_or_b32 exec_lo, exec_lo, s11
	s_and_b32 s16, s1, s8
	s_delay_alu instid0(SALU_CYCLE_1)
	s_and_saveexec_b32 s11, s16
	s_cbranch_execnz .LBB57_302
.LBB57_292:
	s_or_b32 exec_lo, exec_lo, s11
	s_and_b32 s16, s2, s8
	s_delay_alu instid0(SALU_CYCLE_1)
	s_and_saveexec_b32 s11, s16
	s_cbranch_execnz .LBB57_306
.LBB57_293:
	s_or_b32 exec_lo, exec_lo, s11
	s_and_b32 s16, s3, s8
	s_delay_alu instid0(SALU_CYCLE_1)
	s_and_saveexec_b32 s11, s16
	s_cbranch_execnz .LBB57_310
.LBB57_294:
	s_or_b32 exec_lo, exec_lo, s11
	s_and_b32 s16, s4, s8
	s_delay_alu instid0(SALU_CYCLE_1)
	s_and_saveexec_b32 s11, s16
	s_cbranch_execnz .LBB57_314
.LBB57_295:
	s_or_b32 exec_lo, exec_lo, s11
	s_and_b32 s16, s5, s8
	s_delay_alu instid0(SALU_CYCLE_1)
	s_and_saveexec_b32 s11, s16
	s_cbranch_execnz .LBB57_318
.LBB57_296:
	s_or_b32 exec_lo, exec_lo, s11
	s_and_b32 s16, s6, s8
	s_delay_alu instid0(SALU_CYCLE_1)
	s_and_saveexec_b32 s11, s16
	s_cbranch_execnz .LBB57_322
.LBB57_297:
	s_or_b32 exec_lo, exec_lo, s11
	s_and_b32 s11, s7, s8
	s_delay_alu instid0(SALU_CYCLE_1)
	s_and_saveexec_b32 s8, s11
	s_cbranch_execnz .LBB57_326
	s_branch .LBB57_330
.LBB57_298:
	v_cmp_ne_u32_e32 vcc_lo, 1, v121
	v_lshlrev_b64 v[40:41], 2, v[64:65]
	s_cbranch_vccnz .LBB57_300
; %bb.299:
	s_delay_alu instid0(VALU_DEP_1) | instskip(NEXT) | instid1(VALU_DEP_2)
	v_add_co_u32 v46, vcc_lo, v44, v40
	v_add_co_ci_u32_e32 v47, vcc_lo, v45, v41, vcc_lo
	flat_load_b32 v46, v[46:47]
	s_waitcnt vmcnt(0) lgkmcnt(0)
	v_mul_f32_e32 v46, s15, v46
	s_branch .LBB57_301
.LBB57_300:
	v_mov_b32_e32 v46, 0
.LBB57_301:
	v_dual_add_f32 v47, v33, v37 :: v_dual_add_f32 v48, v32, v36
	v_dual_add_f32 v49, v35, v39 :: v_dual_add_f32 v50, v34, v38
	s_delay_alu instid0(VALU_DEP_4) | instskip(NEXT) | instid1(VALU_DEP_3)
	v_add_co_u32 v40, vcc_lo, v42, v40
	v_min3_f32 v47, v48, v47, v97
	v_add_co_ci_u32_e32 v41, vcc_lo, v43, v41, vcc_lo
	s_delay_alu instid0(VALU_DEP_4) | instskip(NEXT) | instid1(VALU_DEP_1)
	v_min_f32_e32 v48, v50, v49
	v_min3_f32 v46, v46, v48, v47
	global_store_b32 v[40:41], v46, off
	s_or_b32 exec_lo, exec_lo, s11
	s_and_b32 s16, s1, s8
	s_delay_alu instid0(SALU_CYCLE_1)
	s_and_saveexec_b32 s11, s16
	s_cbranch_execz .LBB57_292
.LBB57_302:
	v_cmp_ne_u32_e32 vcc_lo, 1, v121
	v_lshlrev_b64 v[40:41], 2, v[66:67]
	s_cbranch_vccnz .LBB57_304
; %bb.303:
	s_delay_alu instid0(VALU_DEP_1) | instskip(NEXT) | instid1(VALU_DEP_2)
	v_add_co_u32 v46, vcc_lo, v44, v40
	v_add_co_ci_u32_e32 v47, vcc_lo, v45, v41, vcc_lo
	flat_load_b32 v46, v[46:47]
	s_waitcnt vmcnt(0) lgkmcnt(0)
	v_mul_f32_e32 v46, s15, v46
	s_branch .LBB57_305
.LBB57_304:
	v_mov_b32_e32 v46, 0
.LBB57_305:
	v_dual_add_f32 v47, v29, v37 :: v_dual_add_f32 v48, v28, v36
	v_dual_add_f32 v49, v31, v39 :: v_dual_add_f32 v50, v30, v38
	s_delay_alu instid0(VALU_DEP_4) | instskip(NEXT) | instid1(VALU_DEP_3)
	v_add_co_u32 v40, vcc_lo, v42, v40
	v_min3_f32 v47, v48, v47, v96
	v_add_co_ci_u32_e32 v41, vcc_lo, v43, v41, vcc_lo
	s_delay_alu instid0(VALU_DEP_4) | instskip(NEXT) | instid1(VALU_DEP_1)
	v_min_f32_e32 v48, v50, v49
	v_min3_f32 v46, v46, v48, v47
	global_store_b32 v[40:41], v46, off
	s_or_b32 exec_lo, exec_lo, s11
	s_and_b32 s16, s2, s8
	s_delay_alu instid0(SALU_CYCLE_1)
	s_and_saveexec_b32 s11, s16
	s_cbranch_execz .LBB57_293
.LBB57_306:
	v_cmp_ne_u32_e32 vcc_lo, 1, v121
	v_lshlrev_b64 v[40:41], 2, v[68:69]
	s_cbranch_vccnz .LBB57_308
; %bb.307:
	s_delay_alu instid0(VALU_DEP_1) | instskip(NEXT) | instid1(VALU_DEP_2)
	v_add_co_u32 v46, vcc_lo, v44, v40
	v_add_co_ci_u32_e32 v47, vcc_lo, v45, v41, vcc_lo
	flat_load_b32 v46, v[46:47]
	s_waitcnt vmcnt(0) lgkmcnt(0)
	v_mul_f32_e32 v46, s15, v46
	s_branch .LBB57_309
.LBB57_308:
	v_mov_b32_e32 v46, 0
.LBB57_309:
	v_dual_add_f32 v47, v25, v37 :: v_dual_add_f32 v48, v24, v36
	v_dual_add_f32 v49, v27, v39 :: v_dual_add_f32 v50, v26, v38
	s_delay_alu instid0(VALU_DEP_4) | instskip(NEXT) | instid1(VALU_DEP_3)
	v_add_co_u32 v40, vcc_lo, v42, v40
	v_min3_f32 v47, v48, v47, v95
	v_add_co_ci_u32_e32 v41, vcc_lo, v43, v41, vcc_lo
	s_delay_alu instid0(VALU_DEP_4) | instskip(NEXT) | instid1(VALU_DEP_1)
	v_min_f32_e32 v48, v50, v49
	v_min3_f32 v46, v46, v48, v47
	global_store_b32 v[40:41], v46, off
	s_or_b32 exec_lo, exec_lo, s11
	s_and_b32 s16, s3, s8
	s_delay_alu instid0(SALU_CYCLE_1)
	s_and_saveexec_b32 s11, s16
	s_cbranch_execz .LBB57_294
.LBB57_310:
	v_cmp_ne_u32_e32 vcc_lo, 1, v121
	v_lshlrev_b64 v[40:41], 2, v[70:71]
	s_cbranch_vccnz .LBB57_312
; %bb.311:
	s_delay_alu instid0(VALU_DEP_1) | instskip(NEXT) | instid1(VALU_DEP_2)
	v_add_co_u32 v46, vcc_lo, v44, v40
	v_add_co_ci_u32_e32 v47, vcc_lo, v45, v41, vcc_lo
	flat_load_b32 v46, v[46:47]
	s_waitcnt vmcnt(0) lgkmcnt(0)
	v_mul_f32_e32 v46, s15, v46
	s_branch .LBB57_313
.LBB57_312:
	v_mov_b32_e32 v46, 0
.LBB57_313:
	v_dual_add_f32 v47, v21, v37 :: v_dual_add_f32 v48, v20, v36
	v_dual_add_f32 v49, v23, v39 :: v_dual_add_f32 v50, v22, v38
	s_delay_alu instid0(VALU_DEP_4) | instskip(NEXT) | instid1(VALU_DEP_3)
	v_add_co_u32 v40, vcc_lo, v42, v40
	v_min3_f32 v47, v48, v47, v94
	v_add_co_ci_u32_e32 v41, vcc_lo, v43, v41, vcc_lo
	s_delay_alu instid0(VALU_DEP_4) | instskip(NEXT) | instid1(VALU_DEP_1)
	v_min_f32_e32 v48, v50, v49
	v_min3_f32 v46, v46, v48, v47
	global_store_b32 v[40:41], v46, off
	s_or_b32 exec_lo, exec_lo, s11
	s_and_b32 s16, s4, s8
	s_delay_alu instid0(SALU_CYCLE_1)
	s_and_saveexec_b32 s11, s16
	s_cbranch_execz .LBB57_295
.LBB57_314:
	v_cmp_ne_u32_e32 vcc_lo, 1, v121
	v_lshlrev_b64 v[40:41], 2, v[72:73]
	s_cbranch_vccnz .LBB57_316
; %bb.315:
	s_delay_alu instid0(VALU_DEP_1) | instskip(NEXT) | instid1(VALU_DEP_2)
	v_add_co_u32 v46, vcc_lo, v44, v40
	v_add_co_ci_u32_e32 v47, vcc_lo, v45, v41, vcc_lo
	flat_load_b32 v46, v[46:47]
	s_waitcnt vmcnt(0) lgkmcnt(0)
	v_mul_f32_e32 v46, s15, v46
	s_branch .LBB57_317
.LBB57_316:
	v_mov_b32_e32 v46, 0
.LBB57_317:
	v_dual_add_f32 v47, v17, v37 :: v_dual_add_f32 v48, v16, v36
	v_dual_add_f32 v49, v19, v39 :: v_dual_add_f32 v50, v18, v38
	s_delay_alu instid0(VALU_DEP_4) | instskip(NEXT) | instid1(VALU_DEP_3)
	v_add_co_u32 v40, vcc_lo, v42, v40
	v_min3_f32 v47, v48, v47, v93
	v_add_co_ci_u32_e32 v41, vcc_lo, v43, v41, vcc_lo
	s_delay_alu instid0(VALU_DEP_4) | instskip(NEXT) | instid1(VALU_DEP_1)
	v_min_f32_e32 v48, v50, v49
	v_min3_f32 v46, v46, v48, v47
	global_store_b32 v[40:41], v46, off
	s_or_b32 exec_lo, exec_lo, s11
	s_and_b32 s16, s5, s8
	s_delay_alu instid0(SALU_CYCLE_1)
	s_and_saveexec_b32 s11, s16
	s_cbranch_execz .LBB57_296
.LBB57_318:
	v_cmp_ne_u32_e32 vcc_lo, 1, v121
	v_lshlrev_b64 v[40:41], 2, v[74:75]
	s_cbranch_vccnz .LBB57_320
; %bb.319:
	s_delay_alu instid0(VALU_DEP_1) | instskip(NEXT) | instid1(VALU_DEP_2)
	v_add_co_u32 v46, vcc_lo, v44, v40
	v_add_co_ci_u32_e32 v47, vcc_lo, v45, v41, vcc_lo
	flat_load_b32 v46, v[46:47]
	s_waitcnt vmcnt(0) lgkmcnt(0)
	v_mul_f32_e32 v46, s15, v46
	s_branch .LBB57_321
.LBB57_320:
	v_mov_b32_e32 v46, 0
.LBB57_321:
	v_dual_add_f32 v47, v13, v37 :: v_dual_add_f32 v48, v12, v36
	v_dual_add_f32 v49, v15, v39 :: v_dual_add_f32 v50, v14, v38
	s_delay_alu instid0(VALU_DEP_4) | instskip(NEXT) | instid1(VALU_DEP_3)
	v_add_co_u32 v40, vcc_lo, v42, v40
	v_min3_f32 v47, v48, v47, v91
	v_add_co_ci_u32_e32 v41, vcc_lo, v43, v41, vcc_lo
	s_delay_alu instid0(VALU_DEP_4) | instskip(NEXT) | instid1(VALU_DEP_1)
	v_min_f32_e32 v48, v50, v49
	v_min3_f32 v46, v46, v48, v47
	global_store_b32 v[40:41], v46, off
	s_or_b32 exec_lo, exec_lo, s11
	s_and_b32 s16, s6, s8
	s_delay_alu instid0(SALU_CYCLE_1)
	s_and_saveexec_b32 s11, s16
	s_cbranch_execz .LBB57_297
.LBB57_322:
	v_cmp_ne_u32_e32 vcc_lo, 1, v121
	v_lshlrev_b64 v[40:41], 2, v[76:77]
	s_cbranch_vccnz .LBB57_324
; %bb.323:
	s_delay_alu instid0(VALU_DEP_1) | instskip(NEXT) | instid1(VALU_DEP_2)
	v_add_co_u32 v46, vcc_lo, v44, v40
	v_add_co_ci_u32_e32 v47, vcc_lo, v45, v41, vcc_lo
	flat_load_b32 v46, v[46:47]
	s_waitcnt vmcnt(0) lgkmcnt(0)
	v_mul_f32_e32 v46, s15, v46
	s_branch .LBB57_325
.LBB57_324:
	v_mov_b32_e32 v46, 0
.LBB57_325:
	v_dual_add_f32 v47, v9, v37 :: v_dual_add_f32 v48, v8, v36
	v_dual_add_f32 v49, v11, v39 :: v_dual_add_f32 v50, v10, v38
	s_delay_alu instid0(VALU_DEP_4) | instskip(NEXT) | instid1(VALU_DEP_3)
	v_add_co_u32 v40, vcc_lo, v42, v40
	v_min3_f32 v47, v48, v47, v90
	v_add_co_ci_u32_e32 v41, vcc_lo, v43, v41, vcc_lo
	s_delay_alu instid0(VALU_DEP_4) | instskip(NEXT) | instid1(VALU_DEP_1)
	v_min_f32_e32 v48, v50, v49
	v_min3_f32 v46, v46, v48, v47
	global_store_b32 v[40:41], v46, off
	s_or_b32 exec_lo, exec_lo, s11
	s_and_b32 s11, s7, s8
	s_delay_alu instid0(SALU_CYCLE_1)
	s_and_saveexec_b32 s8, s11
	s_cbranch_execz .LBB57_330
.LBB57_326:
	v_cmp_ne_u32_e32 vcc_lo, 1, v121
	v_lshlrev_b64 v[40:41], 2, v[78:79]
	s_cbranch_vccnz .LBB57_328
; %bb.327:
	s_delay_alu instid0(VALU_DEP_1) | instskip(NEXT) | instid1(VALU_DEP_2)
	v_add_co_u32 v44, vcc_lo, v44, v40
	v_add_co_ci_u32_e32 v45, vcc_lo, v45, v41, vcc_lo
	flat_load_b32 v44, v[44:45]
	s_waitcnt vmcnt(0) lgkmcnt(0)
	v_mul_f32_e32 v44, s15, v44
	s_branch .LBB57_329
.LBB57_328:
	v_mov_b32_e32 v44, 0
.LBB57_329:
	v_dual_add_f32 v37, v1, v37 :: v_dual_add_f32 v36, v0, v36
	v_dual_add_f32 v39, v3, v39 :: v_dual_add_f32 v38, v2, v38
	s_delay_alu instid0(VALU_DEP_2) | instskip(NEXT) | instid1(VALU_DEP_2)
	v_min3_f32 v36, v36, v37, v89
	v_min_f32_e32 v37, v38, v39
	s_delay_alu instid0(VALU_DEP_1)
	v_min3_f32 v38, v44, v37, v36
	v_add_co_u32 v36, vcc_lo, v42, v40
	v_add_co_ci_u32_e32 v37, vcc_lo, v43, v41, vcc_lo
	global_store_b32 v[36:37], v38, off
.LBB57_330:
	s_or_b32 exec_lo, exec_lo, s8
	v_add_nc_u32_e32 v40, 56, v132
	s_delay_alu instid0(VALU_DEP_1) | instskip(SKIP_2) | instid1(VALU_DEP_3)
	v_mad_i64_i32 v[36:37], null, v40, s18, 0
	v_mad_i64_i32 v[38:39], null, v40, s14, 0
	v_cmp_gt_i32_e64 s8, s17, v40
	v_lshlrev_b64 v[36:37], 2, v[36:37]
	s_delay_alu instid0(VALU_DEP_3) | instskip(NEXT) | instid1(VALU_DEP_2)
	v_lshlrev_b64 v[38:39], 2, v[38:39]
	v_add_co_u32 v40, vcc_lo, s12, v36
	s_delay_alu instid0(VALU_DEP_3) | instskip(NEXT) | instid1(VALU_DEP_3)
	v_add_co_ci_u32_e32 v41, vcc_lo, s13, v37, vcc_lo
	v_add_co_u32 v38, vcc_lo, s9, v38
	s_delay_alu instid0(VALU_DEP_4) | instskip(SKIP_1) | instid1(SALU_CYCLE_1)
	v_add_co_ci_u32_e32 v39, vcc_lo, s10, v39, vcc_lo
	s_and_b32 s9, s0, s8
	s_and_saveexec_b32 s0, s9
	s_cbranch_execnz .LBB57_339
; %bb.331:
	s_or_b32 exec_lo, exec_lo, s0
	s_and_b32 s1, s1, s8
	s_delay_alu instid0(SALU_CYCLE_1)
	s_and_saveexec_b32 s0, s1
	s_cbranch_execnz .LBB57_343
.LBB57_332:
	s_or_b32 exec_lo, exec_lo, s0
	s_and_b32 s1, s2, s8
	s_delay_alu instid0(SALU_CYCLE_1)
	s_and_saveexec_b32 s0, s1
	s_cbranch_execnz .LBB57_347
.LBB57_333:
	s_or_b32 exec_lo, exec_lo, s0
	s_and_b32 s1, s3, s8
	s_delay_alu instid0(SALU_CYCLE_1)
	s_and_saveexec_b32 s0, s1
	s_cbranch_execnz .LBB57_351
.LBB57_334:
	s_or_b32 exec_lo, exec_lo, s0
	s_and_b32 s1, s4, s8
	s_delay_alu instid0(SALU_CYCLE_1)
	s_and_saveexec_b32 s0, s1
	s_cbranch_execnz .LBB57_355
.LBB57_335:
	s_or_b32 exec_lo, exec_lo, s0
	s_and_b32 s1, s5, s8
	s_delay_alu instid0(SALU_CYCLE_1)
	s_and_saveexec_b32 s0, s1
	s_cbranch_execnz .LBB57_359
.LBB57_336:
	s_or_b32 exec_lo, exec_lo, s0
	s_and_b32 s1, s6, s8
	s_delay_alu instid0(SALU_CYCLE_1)
	s_and_saveexec_b32 s0, s1
	s_cbranch_execnz .LBB57_363
.LBB57_337:
	s_or_b32 exec_lo, exec_lo, s0
	s_and_b32 s0, s7, s8
	s_delay_alu instid0(SALU_CYCLE_1)
	s_and_saveexec_b32 s1, s0
	s_cbranch_execnz .LBB57_367
.LBB57_338:
	s_nop 0
	s_sendmsg sendmsg(MSG_DEALLOC_VGPRS)
	s_endpgm
.LBB57_339:
	v_cmp_ne_u32_e32 vcc_lo, 1, v121
	v_lshlrev_b64 v[36:37], 2, v[64:65]
	s_cbranch_vccnz .LBB57_341
; %bb.340:
	s_delay_alu instid0(VALU_DEP_1) | instskip(NEXT) | instid1(VALU_DEP_2)
	v_add_co_u32 v42, vcc_lo, v40, v36
	v_add_co_ci_u32_e32 v43, vcc_lo, v41, v37, vcc_lo
	flat_load_b32 v42, v[42:43]
	s_waitcnt vmcnt(0) lgkmcnt(0)
	v_mul_f32_e32 v42, s15, v42
	s_branch .LBB57_342
.LBB57_341:
	v_mov_b32_e32 v42, 0
.LBB57_342:
	v_dual_add_f32 v33, v33, v5 :: v_dual_add_f32 v32, v32, v4
	v_dual_add_f32 v35, v35, v7 :: v_dual_add_f32 v34, v34, v6
	s_delay_alu instid0(VALU_DEP_2) | instskip(NEXT) | instid1(VALU_DEP_2)
	v_min3_f32 v32, v32, v33, v88
	v_min_f32_e32 v33, v34, v35
	s_delay_alu instid0(VALU_DEP_1)
	v_min3_f32 v34, v42, v33, v32
	v_add_co_u32 v32, vcc_lo, v38, v36
	v_add_co_ci_u32_e32 v33, vcc_lo, v39, v37, vcc_lo
	global_store_b32 v[32:33], v34, off
	s_or_b32 exec_lo, exec_lo, s0
	s_and_b32 s1, s1, s8
	s_delay_alu instid0(SALU_CYCLE_1)
	s_and_saveexec_b32 s0, s1
	s_cbranch_execz .LBB57_332
.LBB57_343:
	v_cmp_ne_u32_e32 vcc_lo, 1, v121
	v_lshlrev_b64 v[32:33], 2, v[66:67]
	s_cbranch_vccnz .LBB57_345
; %bb.344:
	s_delay_alu instid0(VALU_DEP_1) | instskip(NEXT) | instid1(VALU_DEP_2)
	v_add_co_u32 v34, vcc_lo, v40, v32
	v_add_co_ci_u32_e32 v35, vcc_lo, v41, v33, vcc_lo
	flat_load_b32 v34, v[34:35]
	s_waitcnt vmcnt(0) lgkmcnt(0)
	v_mul_f32_e32 v34, s15, v34
	s_branch .LBB57_346
.LBB57_345:
	v_mov_b32_e32 v34, 0
.LBB57_346:
	v_dual_add_f32 v29, v29, v5 :: v_dual_add_f32 v28, v28, v4
	v_dual_add_f32 v31, v31, v7 :: v_dual_add_f32 v30, v30, v6
	s_delay_alu instid0(VALU_DEP_2) | instskip(NEXT) | instid1(VALU_DEP_2)
	v_min3_f32 v28, v28, v29, v87
	v_min_f32_e32 v29, v30, v31
	s_delay_alu instid0(VALU_DEP_1)
	v_min3_f32 v30, v34, v29, v28
	v_add_co_u32 v28, vcc_lo, v38, v32
	v_add_co_ci_u32_e32 v29, vcc_lo, v39, v33, vcc_lo
	global_store_b32 v[28:29], v30, off
	s_or_b32 exec_lo, exec_lo, s0
	s_and_b32 s1, s2, s8
	s_delay_alu instid0(SALU_CYCLE_1)
	s_and_saveexec_b32 s0, s1
	s_cbranch_execz .LBB57_333
.LBB57_347:
	v_cmp_ne_u32_e32 vcc_lo, 1, v121
	v_lshlrev_b64 v[28:29], 2, v[68:69]
	s_cbranch_vccnz .LBB57_349
; %bb.348:
	s_delay_alu instid0(VALU_DEP_1) | instskip(NEXT) | instid1(VALU_DEP_2)
	v_add_co_u32 v30, vcc_lo, v40, v28
	v_add_co_ci_u32_e32 v31, vcc_lo, v41, v29, vcc_lo
	flat_load_b32 v30, v[30:31]
	s_waitcnt vmcnt(0) lgkmcnt(0)
	v_mul_f32_e32 v30, s15, v30
	s_branch .LBB57_350
.LBB57_349:
	v_mov_b32_e32 v30, 0
.LBB57_350:
	v_dual_add_f32 v25, v25, v5 :: v_dual_add_f32 v24, v24, v4
	v_dual_add_f32 v27, v27, v7 :: v_dual_add_f32 v26, v26, v6
	s_delay_alu instid0(VALU_DEP_2) | instskip(NEXT) | instid1(VALU_DEP_2)
	v_min3_f32 v24, v24, v25, v86
	v_min_f32_e32 v25, v26, v27
	s_delay_alu instid0(VALU_DEP_1)
	v_min3_f32 v26, v30, v25, v24
	v_add_co_u32 v24, vcc_lo, v38, v28
	v_add_co_ci_u32_e32 v25, vcc_lo, v39, v29, vcc_lo
	global_store_b32 v[24:25], v26, off
	s_or_b32 exec_lo, exec_lo, s0
	s_and_b32 s1, s3, s8
	s_delay_alu instid0(SALU_CYCLE_1)
	s_and_saveexec_b32 s0, s1
	s_cbranch_execz .LBB57_334
.LBB57_351:
	v_cmp_ne_u32_e32 vcc_lo, 1, v121
	v_lshlrev_b64 v[24:25], 2, v[70:71]
	s_cbranch_vccnz .LBB57_353
; %bb.352:
	s_delay_alu instid0(VALU_DEP_1) | instskip(NEXT) | instid1(VALU_DEP_2)
	v_add_co_u32 v26, vcc_lo, v40, v24
	v_add_co_ci_u32_e32 v27, vcc_lo, v41, v25, vcc_lo
	flat_load_b32 v26, v[26:27]
	s_waitcnt vmcnt(0) lgkmcnt(0)
	v_mul_f32_e32 v26, s15, v26
	s_branch .LBB57_354
.LBB57_353:
	v_mov_b32_e32 v26, 0
.LBB57_354:
	v_dual_add_f32 v21, v21, v5 :: v_dual_add_f32 v20, v20, v4
	v_dual_add_f32 v23, v23, v7 :: v_dual_add_f32 v22, v22, v6
	s_delay_alu instid0(VALU_DEP_2) | instskip(NEXT) | instid1(VALU_DEP_2)
	v_min3_f32 v20, v20, v21, v85
	v_min_f32_e32 v21, v22, v23
	s_delay_alu instid0(VALU_DEP_1)
	v_min3_f32 v22, v26, v21, v20
	v_add_co_u32 v20, vcc_lo, v38, v24
	v_add_co_ci_u32_e32 v21, vcc_lo, v39, v25, vcc_lo
	global_store_b32 v[20:21], v22, off
	s_or_b32 exec_lo, exec_lo, s0
	s_and_b32 s1, s4, s8
	s_delay_alu instid0(SALU_CYCLE_1)
	s_and_saveexec_b32 s0, s1
	s_cbranch_execz .LBB57_335
.LBB57_355:
	v_cmp_ne_u32_e32 vcc_lo, 1, v121
	v_lshlrev_b64 v[20:21], 2, v[72:73]
	s_cbranch_vccnz .LBB57_357
; %bb.356:
	s_delay_alu instid0(VALU_DEP_1) | instskip(NEXT) | instid1(VALU_DEP_2)
	v_add_co_u32 v22, vcc_lo, v40, v20
	v_add_co_ci_u32_e32 v23, vcc_lo, v41, v21, vcc_lo
	flat_load_b32 v22, v[22:23]
	s_waitcnt vmcnt(0) lgkmcnt(0)
	v_mul_f32_e32 v22, s15, v22
	s_branch .LBB57_358
.LBB57_357:
	v_mov_b32_e32 v22, 0
.LBB57_358:
	v_dual_add_f32 v17, v17, v5 :: v_dual_add_f32 v16, v16, v4
	v_dual_add_f32 v19, v19, v7 :: v_dual_add_f32 v18, v18, v6
	s_delay_alu instid0(VALU_DEP_2) | instskip(NEXT) | instid1(VALU_DEP_2)
	v_min3_f32 v16, v16, v17, v84
	v_min_f32_e32 v17, v18, v19
	s_delay_alu instid0(VALU_DEP_1)
	v_min3_f32 v18, v22, v17, v16
	v_add_co_u32 v16, vcc_lo, v38, v20
	v_add_co_ci_u32_e32 v17, vcc_lo, v39, v21, vcc_lo
	global_store_b32 v[16:17], v18, off
	s_or_b32 exec_lo, exec_lo, s0
	s_and_b32 s1, s5, s8
	s_delay_alu instid0(SALU_CYCLE_1)
	s_and_saveexec_b32 s0, s1
	s_cbranch_execz .LBB57_336
.LBB57_359:
	v_cmp_ne_u32_e32 vcc_lo, 1, v121
	v_lshlrev_b64 v[16:17], 2, v[74:75]
	s_cbranch_vccnz .LBB57_361
; %bb.360:
	s_delay_alu instid0(VALU_DEP_1) | instskip(NEXT) | instid1(VALU_DEP_2)
	v_add_co_u32 v18, vcc_lo, v40, v16
	v_add_co_ci_u32_e32 v19, vcc_lo, v41, v17, vcc_lo
	flat_load_b32 v18, v[18:19]
	s_waitcnt vmcnt(0) lgkmcnt(0)
	v_mul_f32_e32 v18, s15, v18
	s_branch .LBB57_362
.LBB57_361:
	v_mov_b32_e32 v18, 0
.LBB57_362:
	v_dual_add_f32 v13, v13, v5 :: v_dual_add_f32 v12, v12, v4
	v_dual_add_f32 v15, v15, v7 :: v_dual_add_f32 v14, v14, v6
	s_delay_alu instid0(VALU_DEP_2) | instskip(NEXT) | instid1(VALU_DEP_2)
	v_min3_f32 v12, v12, v13, v83
	v_min_f32_e32 v13, v14, v15
	s_delay_alu instid0(VALU_DEP_1)
	v_min3_f32 v14, v18, v13, v12
	v_add_co_u32 v12, vcc_lo, v38, v16
	v_add_co_ci_u32_e32 v13, vcc_lo, v39, v17, vcc_lo
	global_store_b32 v[12:13], v14, off
	s_or_b32 exec_lo, exec_lo, s0
	s_and_b32 s1, s6, s8
	s_delay_alu instid0(SALU_CYCLE_1)
	s_and_saveexec_b32 s0, s1
	s_cbranch_execz .LBB57_337
.LBB57_363:
	v_cmp_ne_u32_e32 vcc_lo, 1, v121
	v_lshlrev_b64 v[12:13], 2, v[76:77]
	s_cbranch_vccnz .LBB57_365
; %bb.364:
	s_delay_alu instid0(VALU_DEP_1) | instskip(NEXT) | instid1(VALU_DEP_2)
	v_add_co_u32 v14, vcc_lo, v40, v12
	v_add_co_ci_u32_e32 v15, vcc_lo, v41, v13, vcc_lo
	flat_load_b32 v14, v[14:15]
	s_waitcnt vmcnt(0) lgkmcnt(0)
	v_mul_f32_e32 v14, s15, v14
	s_branch .LBB57_366
.LBB57_365:
	v_mov_b32_e32 v14, 0
.LBB57_366:
	v_dual_add_f32 v9, v9, v5 :: v_dual_add_f32 v8, v8, v4
	v_dual_add_f32 v11, v11, v7 :: v_dual_add_f32 v10, v10, v6
	s_delay_alu instid0(VALU_DEP_2) | instskip(NEXT) | instid1(VALU_DEP_2)
	v_min3_f32 v8, v8, v9, v82
	v_min_f32_e32 v9, v10, v11
	s_delay_alu instid0(VALU_DEP_1)
	v_min3_f32 v10, v14, v9, v8
	v_add_co_u32 v8, vcc_lo, v38, v12
	v_add_co_ci_u32_e32 v9, vcc_lo, v39, v13, vcc_lo
	global_store_b32 v[8:9], v10, off
	s_or_b32 exec_lo, exec_lo, s0
	s_and_b32 s0, s7, s8
	s_delay_alu instid0(SALU_CYCLE_1)
	s_and_saveexec_b32 s1, s0
	s_cbranch_execz .LBB57_338
.LBB57_367:
	v_cmp_ne_u32_e32 vcc_lo, 1, v121
	v_lshlrev_b64 v[8:9], 2, v[78:79]
	s_cbranch_vccnz .LBB57_369
; %bb.368:
	s_delay_alu instid0(VALU_DEP_1) | instskip(NEXT) | instid1(VALU_DEP_2)
	v_add_co_u32 v10, vcc_lo, v40, v8
	v_add_co_ci_u32_e32 v11, vcc_lo, v41, v9, vcc_lo
	flat_load_b32 v10, v[10:11]
	s_waitcnt vmcnt(0) lgkmcnt(0)
	v_mul_f32_e32 v10, s15, v10
	s_branch .LBB57_370
.LBB57_369:
	v_mov_b32_e32 v10, 0
.LBB57_370:
	v_dual_add_f32 v1, v1, v5 :: v_dual_add_f32 v0, v0, v4
	v_dual_add_f32 v3, v3, v7 :: v_dual_add_f32 v2, v2, v6
	s_delay_alu instid0(VALU_DEP_2) | instskip(NEXT) | instid1(VALU_DEP_2)
	v_min3_f32 v0, v0, v1, v92
	v_min_f32_e32 v1, v2, v3
	s_delay_alu instid0(VALU_DEP_1)
	v_min3_f32 v2, v10, v1, v0
	v_add_co_u32 v0, vcc_lo, v38, v8
	v_add_co_ci_u32_e32 v1, vcc_lo, v39, v9, vcc_lo
	global_store_b32 v[0:1], v2, off
	s_nop 0
	s_sendmsg sendmsg(MSG_DEALLOC_VGPRS)
	s_endpgm
	.section	.rodata,"a",@progbits
	.p2align	6, 0x0
	.amdhsa_kernel _ZN12_GLOBAL__N_120geam_min_plus_kernelIf15HIP_vector_typeIfLj2EEfLi32ELi8ELi256ELi64ELi4ELi64ELi4ELi4ELi64ELc78ELc78ELb0ELb1ELb1EPKfS3_fEEviiiT16_PT17_ilS7_ilS5_S7_ilPT18_ili26rocblas_geam_ex_operation_
		.amdhsa_group_segment_fixed_size 10240
		.amdhsa_private_segment_fixed_size 0
		.amdhsa_kernarg_size 136
		.amdhsa_user_sgpr_count 14
		.amdhsa_user_sgpr_dispatch_ptr 0
		.amdhsa_user_sgpr_queue_ptr 0
		.amdhsa_user_sgpr_kernarg_segment_ptr 1
		.amdhsa_user_sgpr_dispatch_id 0
		.amdhsa_user_sgpr_private_segment_size 0
		.amdhsa_wavefront_size32 1
		.amdhsa_uses_dynamic_stack 0
		.amdhsa_enable_private_segment 0
		.amdhsa_system_sgpr_workgroup_id_x 1
		.amdhsa_system_sgpr_workgroup_id_y 0
		.amdhsa_system_sgpr_workgroup_id_z 1
		.amdhsa_system_sgpr_workgroup_info 0
		.amdhsa_system_vgpr_workitem_id 1
		.amdhsa_next_free_vgpr 193
		.amdhsa_next_free_sgpr 30
		.amdhsa_reserve_vcc 1
		.amdhsa_float_round_mode_32 0
		.amdhsa_float_round_mode_16_64 0
		.amdhsa_float_denorm_mode_32 3
		.amdhsa_float_denorm_mode_16_64 3
		.amdhsa_dx10_clamp 1
		.amdhsa_ieee_mode 1
		.amdhsa_fp16_overflow 0
		.amdhsa_workgroup_processor_mode 1
		.amdhsa_memory_ordered 1
		.amdhsa_forward_progress 0
		.amdhsa_shared_vgpr_count 0
		.amdhsa_exception_fp_ieee_invalid_op 0
		.amdhsa_exception_fp_denorm_src 0
		.amdhsa_exception_fp_ieee_div_zero 0
		.amdhsa_exception_fp_ieee_overflow 0
		.amdhsa_exception_fp_ieee_underflow 0
		.amdhsa_exception_fp_ieee_inexact 0
		.amdhsa_exception_int_div_zero 0
	.end_amdhsa_kernel
	.section	.text._ZN12_GLOBAL__N_120geam_min_plus_kernelIf15HIP_vector_typeIfLj2EEfLi32ELi8ELi256ELi64ELi4ELi64ELi4ELi4ELi64ELc78ELc78ELb0ELb1ELb1EPKfS3_fEEviiiT16_PT17_ilS7_ilS5_S7_ilPT18_ili26rocblas_geam_ex_operation_,"axG",@progbits,_ZN12_GLOBAL__N_120geam_min_plus_kernelIf15HIP_vector_typeIfLj2EEfLi32ELi8ELi256ELi64ELi4ELi64ELi4ELi4ELi64ELc78ELc78ELb0ELb1ELb1EPKfS3_fEEviiiT16_PT17_ilS7_ilS5_S7_ilPT18_ili26rocblas_geam_ex_operation_,comdat
.Lfunc_end57:
	.size	_ZN12_GLOBAL__N_120geam_min_plus_kernelIf15HIP_vector_typeIfLj2EEfLi32ELi8ELi256ELi64ELi4ELi64ELi4ELi4ELi64ELc78ELc78ELb0ELb1ELb1EPKfS3_fEEviiiT16_PT17_ilS7_ilS5_S7_ilPT18_ili26rocblas_geam_ex_operation_, .Lfunc_end57-_ZN12_GLOBAL__N_120geam_min_plus_kernelIf15HIP_vector_typeIfLj2EEfLi32ELi8ELi256ELi64ELi4ELi64ELi4ELi4ELi64ELc78ELc78ELb0ELb1ELb1EPKfS3_fEEviiiT16_PT17_ilS7_ilS5_S7_ilPT18_ili26rocblas_geam_ex_operation_
                                        ; -- End function
	.section	.AMDGPU.csdata,"",@progbits
; Kernel info:
; codeLenInByte = 21180
; NumSgprs: 32
; NumVgprs: 193
; ScratchSize: 0
; MemoryBound: 0
; FloatMode: 240
; IeeeMode: 1
; LDSByteSize: 10240 bytes/workgroup (compile time only)
; SGPRBlocks: 3
; VGPRBlocks: 24
; NumSGPRsForWavesPerEU: 32
; NumVGPRsForWavesPerEU: 193
; Occupancy: 7
; WaveLimiterHint : 0
; COMPUTE_PGM_RSRC2:SCRATCH_EN: 0
; COMPUTE_PGM_RSRC2:USER_SGPR: 14
; COMPUTE_PGM_RSRC2:TRAP_HANDLER: 0
; COMPUTE_PGM_RSRC2:TGID_X_EN: 1
; COMPUTE_PGM_RSRC2:TGID_Y_EN: 0
; COMPUTE_PGM_RSRC2:TGID_Z_EN: 1
; COMPUTE_PGM_RSRC2:TIDIG_COMP_CNT: 1
	.section	.text._ZN12_GLOBAL__N_120geam_min_plus_kernelIf15HIP_vector_typeIfLj2EEfLi32ELi8ELi256ELi64ELi4ELi64ELi4ELi4ELi64ELc78ELc78ELb1ELb1ELb1EfKffEEviiiT16_PT17_ilS6_ilS4_S6_ilPT18_ili26rocblas_geam_ex_operation_,"axG",@progbits,_ZN12_GLOBAL__N_120geam_min_plus_kernelIf15HIP_vector_typeIfLj2EEfLi32ELi8ELi256ELi64ELi4ELi64ELi4ELi4ELi64ELc78ELc78ELb1ELb1ELb1EfKffEEviiiT16_PT17_ilS6_ilS4_S6_ilPT18_ili26rocblas_geam_ex_operation_,comdat
	.globl	_ZN12_GLOBAL__N_120geam_min_plus_kernelIf15HIP_vector_typeIfLj2EEfLi32ELi8ELi256ELi64ELi4ELi64ELi4ELi4ELi64ELc78ELc78ELb1ELb1ELb1EfKffEEviiiT16_PT17_ilS6_ilS4_S6_ilPT18_ili26rocblas_geam_ex_operation_ ; -- Begin function _ZN12_GLOBAL__N_120geam_min_plus_kernelIf15HIP_vector_typeIfLj2EEfLi32ELi8ELi256ELi64ELi4ELi64ELi4ELi4ELi64ELc78ELc78ELb1ELb1ELb1EfKffEEviiiT16_PT17_ilS6_ilS4_S6_ilPT18_ili26rocblas_geam_ex_operation_
	.p2align	8
	.type	_ZN12_GLOBAL__N_120geam_min_plus_kernelIf15HIP_vector_typeIfLj2EEfLi32ELi8ELi256ELi64ELi4ELi64ELi4ELi4ELi64ELc78ELc78ELb1ELb1ELb1EfKffEEviiiT16_PT17_ilS6_ilS4_S6_ilPT18_ili26rocblas_geam_ex_operation_,@function
_ZN12_GLOBAL__N_120geam_min_plus_kernelIf15HIP_vector_typeIfLj2EEfLi32ELi8ELi256ELi64ELi4ELi64ELi4ELi4ELi64ELc78ELc78ELb1ELb1ELb1EfKffEEviiiT16_PT17_ilS6_ilS4_S6_ilPT18_ili26rocblas_geam_ex_operation_: ; @_ZN12_GLOBAL__N_120geam_min_plus_kernelIf15HIP_vector_typeIfLj2EEfLi32ELi8ELi256ELi64ELi4ELi64ELi4ELi4ELi64ELc78ELc78ELb1ELb1ELb1EfKffEEviiiT16_PT17_ilS6_ilS4_S6_ilPT18_ili26rocblas_geam_ex_operation_
; %bb.0:
	s_clause 0x1
	s_load_b128 s[16:19], s[0:1], 0x0
	s_load_b128 s[4:7], s[0:1], 0x20
	s_waitcnt lgkmcnt(0)
	v_cmp_eq_f32_e64 s2, s19, 0
	s_delay_alu instid0(VALU_DEP_1)
	s_and_b32 vcc_lo, exec_lo, s2
	s_cbranch_vccnz .LBB58_3
; %bb.1:
	s_load_b64 s[8:9], s[0:1], 0x10
	s_mul_i32 s3, s15, s5
	s_mul_hi_u32 s5, s15, s4
	s_mul_i32 s4, s15, s4
	s_add_i32 s5, s5, s3
	s_delay_alu instid0(SALU_CYCLE_1)
	s_lshl_b64 s[4:5], s[4:5], 2
	s_waitcnt lgkmcnt(0)
	s_add_u32 s20, s8, s4
	s_addc_u32 s21, s9, s5
	s_and_not1_b32 vcc_lo, exec_lo, s2
	s_cbranch_vccnz .LBB58_4
.LBB58_2:
	s_mov_b32 s24, 0
	s_mov_b64 s[22:23], 0
	s_cbranch_execz .LBB58_5
	s_branch .LBB58_6
.LBB58_3:
	s_mov_b64 s[20:21], 0
	s_and_not1_b32 vcc_lo, exec_lo, s2
	s_cbranch_vccz .LBB58_2
.LBB58_4:
	s_mov_b32 s24, -1
                                        ; implicit-def: $sgpr22_sgpr23
.LBB58_5:
	s_load_b64 s[2:3], s[0:1], 0x38
	s_mov_b32 s24, 0
	s_waitcnt lgkmcnt(0)
	s_mul_i32 s3, s15, s3
	s_mul_hi_u32 s4, s15, s2
	s_mul_i32 s2, s15, s2
	s_add_i32 s3, s4, s3
	s_delay_alu instid0(SALU_CYCLE_1) | instskip(NEXT) | instid1(SALU_CYCLE_1)
	s_lshl_b64 s[2:3], s[2:3], 2
	s_add_u32 s22, s6, s2
	s_addc_u32 s23, s7, s3
.LBB58_6:
	s_clause 0x1
	s_load_b32 s19, s[0:1], 0x40
	s_load_b128 s[8:11], s[0:1], 0x58
	s_waitcnt lgkmcnt(0)
	v_cmp_eq_f32_e64 s2, s19, 0
	v_cmp_neq_f32_e64 s7, s19, 0
	s_delay_alu instid0(VALU_DEP_2)
	s_and_b32 vcc_lo, exec_lo, s2
	s_cbranch_vccnz .LBB58_8
; %bb.7:
	s_load_b64 s[2:3], s[0:1], 0x48
	s_mul_i32 s4, s15, s9
	s_mul_hi_u32 s5, s15, s8
	s_delay_alu instid0(SALU_CYCLE_1) | instskip(SKIP_1) | instid1(SALU_CYCLE_1)
	s_add_i32 s4, s5, s4
	s_mul_i32 s5, s24, s8
	s_add_i32 s5, s4, s5
	s_mul_i32 s4, s15, s8
	s_delay_alu instid0(SALU_CYCLE_1)
	s_lshl_b64 s[4:5], s[4:5], 2
	s_waitcnt lgkmcnt(0)
	s_add_u32 s12, s2, s4
	s_addc_u32 s13, s3, s5
	s_branch .LBB58_9
.LBB58_8:
	s_mov_b64 s[12:13], 0
.LBB58_9:
	s_add_i32 s2, s16, -1
	s_load_b32 s8, s[0:1], 0x18
	s_ashr_i32 s3, s2, 31
	v_and_b32_e32 v70, 0x3ff, v0
	s_lshr_b32 s3, s3, 24
	v_bfe_u32 v71, v0, 10, 10
	s_add_i32 s2, s2, s3
	s_delay_alu instid0(SALU_CYCLE_1) | instskip(NEXT) | instid1(VALU_DEP_1)
	s_ashr_i32 s2, s2, 8
	v_lshl_add_u32 v5, v71, 5, v70
	s_add_i32 s3, s2, 1
	s_not_b32 s2, s2
	v_cvt_f32_u32_e32 v1, s3
	s_delay_alu instid0(VALU_DEP_2) | instskip(SKIP_1) | instid1(VALU_DEP_3)
	v_lshrrev_b32_e32 v72, 6, v5
	v_and_b32_e32 v0, 63, v5
	v_rcp_iflag_f32_e32 v1, v1
	s_waitcnt_depctr 0xfff
	v_mul_f32_e32 v1, 0x4f7ffffe, v1
	s_delay_alu instid0(VALU_DEP_1) | instskip(NEXT) | instid1(VALU_DEP_1)
	v_cvt_u32_f32_e32 v1, v1
	v_readfirstlane_b32 s4, v1
	s_waitcnt lgkmcnt(0)
	v_mad_i64_i32 v[1:2], null, s8, v72, 0
	s_delay_alu instid0(VALU_DEP_2) | instskip(NEXT) | instid1(SALU_CYCLE_1)
	s_mul_i32 s2, s2, s4
	s_mul_hi_u32 s2, s4, s2
	s_delay_alu instid0(SALU_CYCLE_1) | instskip(NEXT) | instid1(VALU_DEP_1)
	s_add_i32 s4, s4, s2
	v_lshlrev_b64 v[1:2], 2, v[1:2]
	s_mul_hi_u32 s2, s14, s4
	s_delay_alu instid0(SALU_CYCLE_1) | instskip(SKIP_2) | instid1(SALU_CYCLE_1)
	s_mul_i32 s4, s2, s3
	s_add_i32 s5, s2, 1
	s_sub_i32 s4, s14, s4
	s_sub_i32 s6, s4, s3
	s_cmp_ge_u32 s4, s3
	s_cselect_b32 s2, s5, s2
	s_cselect_b32 s4, s6, s4
	s_add_i32 s5, s2, 1
	s_cmp_ge_u32 s4, s3
	s_cselect_b32 s6, s5, s2
	v_cmp_le_i32_e64 s5, s18, v72
	s_mul_i32 s2, s6, s3
	s_delay_alu instid0(SALU_CYCLE_1) | instskip(NEXT) | instid1(SALU_CYCLE_1)
	s_sub_i32 s2, s14, s2
	s_lshl_b32 s14, s2, 8
	v_add_co_u32 v6, s2, s20, v1
	v_mov_b32_e32 v1, 0x7f7fffff
	v_or_b32_e32 v64, s14, v0
	v_add_co_ci_u32_e64 v7, s2, s21, v2, s2
	v_mov_b32_e32 v2, 0x7f7fffff
	s_delay_alu instid0(VALU_DEP_3) | instskip(SKIP_2) | instid1(SALU_CYCLE_1)
	v_cmp_le_i32_e32 vcc_lo, s16, v64
	v_ashrrev_i32_e32 v65, 31, v64
	s_or_b32 s2, vcc_lo, s5
	s_xor_b32 s2, s2, -1
	s_delay_alu instid0(SALU_CYCLE_1)
	s_and_saveexec_b32 s3, s2
	s_cbranch_execz .LBB58_11
; %bb.10:
	v_lshlrev_b64 v[2:3], 2, v[64:65]
	s_delay_alu instid0(VALU_DEP_1) | instskip(NEXT) | instid1(VALU_DEP_1)
	v_add_co_u32 v2, s2, v6, v2
	v_add_co_ci_u32_e64 v3, s2, v7, v3, s2
	flat_load_b32 v2, v[2:3]
.LBB58_11:
	s_or_b32 exec_lo, exec_lo, s3
	v_or_b32_e32 v3, 64, v64
	s_delay_alu instid0(VALU_DEP_1) | instskip(NEXT) | instid1(VALU_DEP_1)
	v_cmp_le_i32_e64 s2, s16, v3
	s_or_b32 s3, s2, s5
	s_delay_alu instid0(SALU_CYCLE_1) | instskip(NEXT) | instid1(SALU_CYCLE_1)
	s_xor_b32 s3, s3, -1
	s_and_saveexec_b32 s4, s3
	s_cbranch_execz .LBB58_13
; %bb.12:
	v_lshlrev_b64 v[3:4], 2, v[64:65]
	s_delay_alu instid0(VALU_DEP_1) | instskip(NEXT) | instid1(VALU_DEP_1)
	v_add_co_u32 v3, s3, v6, v3
	v_add_co_ci_u32_e64 v4, s3, v7, v4, s3
	flat_load_b32 v1, v[3:4] offset:256
.LBB58_13:
	s_or_b32 exec_lo, exec_lo, s4
	v_or_b32_e32 v3, 0x80, v64
	s_ashr_i32 s9, s8, 31
	v_mov_b32_e32 v4, 0x7f7fffff
	s_delay_alu instid0(VALU_DEP_2) | instskip(SKIP_1) | instid1(VALU_DEP_2)
	v_cmp_le_i32_e64 s3, s16, v3
	v_mov_b32_e32 v3, 0x7f7fffff
	s_or_b32 s4, s3, s5
	s_delay_alu instid0(SALU_CYCLE_1) | instskip(NEXT) | instid1(SALU_CYCLE_1)
	s_xor_b32 s4, s4, -1
	s_and_saveexec_b32 s25, s4
	s_cbranch_execz .LBB58_15
; %bb.14:
	v_lshlrev_b64 v[8:9], 2, v[64:65]
	s_delay_alu instid0(VALU_DEP_1) | instskip(NEXT) | instid1(VALU_DEP_1)
	v_add_co_u32 v8, s4, v6, v8
	v_add_co_ci_u32_e64 v9, s4, v7, v9, s4
	flat_load_b32 v4, v[8:9] offset:512
.LBB58_15:
	s_or_b32 exec_lo, exec_lo, s25
	v_or_b32_e32 v8, 0xc0, v64
	s_delay_alu instid0(VALU_DEP_1) | instskip(NEXT) | instid1(VALU_DEP_1)
	v_cmp_le_i32_e64 s4, s16, v8
	s_or_b32 s5, s4, s5
	s_delay_alu instid0(SALU_CYCLE_1) | instskip(NEXT) | instid1(SALU_CYCLE_1)
	s_xor_b32 s5, s5, -1
	s_and_saveexec_b32 s25, s5
	s_cbranch_execz .LBB58_17
; %bb.16:
	v_lshlrev_b64 v[8:9], 2, v[64:65]
	s_delay_alu instid0(VALU_DEP_1) | instskip(NEXT) | instid1(VALU_DEP_1)
	v_add_co_u32 v6, s5, v6, v8
	v_add_co_ci_u32_e64 v7, s5, v7, v9, s5
	flat_load_b32 v3, v[6:7] offset:768
.LBB58_17:
	s_or_b32 exec_lo, exec_lo, s25
	s_load_b32 s27, s[0:1], 0x30
	v_lshrrev_b32_e32 v5, 2, v5
	s_lshl_b32 s25, s6, 6
	v_dual_mov_b32 v6, 0x7f7fffff :: v_dual_and_b32 v75, 3, v70
	s_delay_alu instid0(VALU_DEP_2) | instskip(NEXT) | instid1(VALU_DEP_2)
	v_dual_mov_b32 v68, 0x7f7fffff :: v_dual_add_nc_u32 v67, s25, v5
	v_cmp_gt_i32_e64 s6, s18, v75
	v_lshlrev_b32_e32 v66, 2, v75
	s_delay_alu instid0(VALU_DEP_3) | instskip(NEXT) | instid1(VALU_DEP_1)
	v_cmp_le_i32_e64 s5, s17, v67
	s_xor_b32 s26, s5, -1
	s_delay_alu instid0(VALU_DEP_3) | instid1(SALU_CYCLE_1)
	s_and_b32 s5, s6, s26
	s_delay_alu instid0(SALU_CYCLE_1)
	s_and_saveexec_b32 s6, s5
	s_cbranch_execz .LBB58_19
; %bb.18:
	s_waitcnt lgkmcnt(0)
	v_mad_i64_i32 v[6:7], null, v67, s27, 0
	s_delay_alu instid0(VALU_DEP_1) | instskip(NEXT) | instid1(VALU_DEP_1)
	v_lshlrev_b64 v[6:7], 2, v[6:7]
	v_add_co_u32 v6, s5, s22, v6
	s_delay_alu instid0(VALU_DEP_1) | instskip(NEXT) | instid1(VALU_DEP_2)
	v_add_co_ci_u32_e64 v7, s5, s23, v7, s5
	v_add_co_u32 v6, s5, v6, v66
	s_delay_alu instid0(VALU_DEP_1)
	v_add_co_ci_u32_e64 v7, s5, 0, v7, s5
	flat_load_b32 v6, v[6:7]
.LBB58_19:
	s_or_b32 exec_lo, exec_lo, s6
	v_add_nc_u32_e32 v9, 4, v72
	s_delay_alu instid0(VALU_DEP_1) | instskip(SKIP_1) | instid1(VALU_DEP_2)
	v_mad_i64_i32 v[7:8], null, s8, v9, 0
	v_cmp_le_i32_e64 s5, s18, v9
	v_lshlrev_b64 v[7:8], 2, v[7:8]
	s_delay_alu instid0(VALU_DEP_1) | instskip(NEXT) | instid1(VALU_DEP_1)
	v_add_co_u32 v7, s6, s20, v7
	v_add_co_ci_u32_e64 v8, s6, s21, v8, s6
	s_delay_alu instid0(VALU_DEP_4) | instskip(NEXT) | instid1(SALU_CYCLE_1)
	s_or_b32 s6, vcc_lo, s5
	s_xor_b32 s6, s6, -1
	s_delay_alu instid0(SALU_CYCLE_1)
	s_and_saveexec_b32 s28, s6
	s_cbranch_execz .LBB58_21
; %bb.20:
	v_lshlrev_b64 v[9:10], 2, v[64:65]
	s_delay_alu instid0(VALU_DEP_1) | instskip(NEXT) | instid1(VALU_DEP_1)
	v_add_co_u32 v9, s6, v7, v9
	v_add_co_ci_u32_e64 v10, s6, v8, v10, s6
	flat_load_b32 v68, v[9:10]
.LBB58_21:
	s_or_b32 exec_lo, exec_lo, s28
	v_mov_b32_e32 v69, 0x7f7fffff
	v_mov_b32_e32 v121, 0x7f7fffff
	s_or_b32 s6, s2, s5
	s_delay_alu instid0(SALU_CYCLE_1) | instskip(NEXT) | instid1(SALU_CYCLE_1)
	s_xor_b32 s6, s6, -1
	s_and_saveexec_b32 s28, s6
	s_cbranch_execz .LBB58_23
; %bb.22:
	v_lshlrev_b64 v[9:10], 2, v[64:65]
	s_delay_alu instid0(VALU_DEP_1) | instskip(NEXT) | instid1(VALU_DEP_1)
	v_add_co_u32 v9, s6, v7, v9
	v_add_co_ci_u32_e64 v10, s6, v8, v10, s6
	flat_load_b32 v121, v[9:10] offset:256
.LBB58_23:
	s_or_b32 exec_lo, exec_lo, s28
	s_or_b32 s6, s3, s5
	s_delay_alu instid0(SALU_CYCLE_1) | instskip(NEXT) | instid1(SALU_CYCLE_1)
	s_xor_b32 s6, s6, -1
	s_and_saveexec_b32 s28, s6
	s_cbranch_execz .LBB58_25
; %bb.24:
	v_lshlrev_b64 v[9:10], 2, v[64:65]
	s_delay_alu instid0(VALU_DEP_1) | instskip(NEXT) | instid1(VALU_DEP_1)
	v_add_co_u32 v9, s6, v7, v9
	v_add_co_ci_u32_e64 v10, s6, v8, v10, s6
	flat_load_b32 v69, v[9:10] offset:512
.LBB58_25:
	s_or_b32 exec_lo, exec_lo, s28
	v_dual_mov_b32 v143, 0x7f7fffff :: v_dual_mov_b32 v130, 0x7f7fffff
	s_or_b32 s5, s4, s5
	s_delay_alu instid0(SALU_CYCLE_1) | instskip(NEXT) | instid1(SALU_CYCLE_1)
	s_xor_b32 s5, s5, -1
	s_and_saveexec_b32 s6, s5
	s_cbranch_execz .LBB58_27
; %bb.26:
	v_lshlrev_b64 v[9:10], 2, v[64:65]
	s_delay_alu instid0(VALU_DEP_1) | instskip(NEXT) | instid1(VALU_DEP_1)
	v_add_co_u32 v7, s5, v7, v9
	v_add_co_ci_u32_e64 v8, s5, v8, v10, s5
	flat_load_b32 v130, v[7:8] offset:768
.LBB58_27:
	s_or_b32 exec_lo, exec_lo, s6
	v_or_b32_e32 v7, 4, v75
	s_delay_alu instid0(VALU_DEP_1) | instskip(NEXT) | instid1(VALU_DEP_1)
	v_cmp_gt_i32_e64 s5, s18, v7
	s_and_b32 s5, s5, s26
	s_delay_alu instid0(SALU_CYCLE_1)
	s_and_saveexec_b32 s6, s5
	s_cbranch_execz .LBB58_29
; %bb.28:
	s_waitcnt lgkmcnt(0)
	v_mad_i64_i32 v[7:8], null, v67, s27, 0
	s_delay_alu instid0(VALU_DEP_1) | instskip(NEXT) | instid1(VALU_DEP_1)
	v_lshlrev_b64 v[7:8], 2, v[7:8]
	v_add_co_u32 v7, s5, s22, v7
	s_delay_alu instid0(VALU_DEP_1) | instskip(NEXT) | instid1(VALU_DEP_2)
	v_add_co_ci_u32_e64 v8, s5, s23, v8, s5
	v_add_co_u32 v7, s5, v7, v66
	s_delay_alu instid0(VALU_DEP_1)
	v_add_co_ci_u32_e64 v8, s5, 0, v8, s5
	flat_load_b32 v143, v[7:8] offset:16
.LBB58_29:
	s_or_b32 exec_lo, exec_lo, s6
	v_lshlrev_b32_e32 v7, 2, v72
	v_lshl_or_b32 v144, v5, 4, v66
	v_lshlrev_b32_e32 v73, 4, v70
	s_cmp_lt_i32 s18, 9
	s_delay_alu instid0(VALU_DEP_3)
	v_lshl_add_u32 v76, v0, 4, v7
	s_waitcnt vmcnt(0) lgkmcnt(0)
	ds_store_2addr_stride64_b32 v76, v2, v1 offset1:4
	ds_store_2addr_stride64_b32 v76, v4, v3 offset0:8 offset1:12
	ds_store_b32 v144, v6 offset:8192
	s_waitcnt lgkmcnt(0)
	s_barrier
	buffer_gl0_inv
	ds_load_b128 v[32:35], v73
	ds_load_b128 v[28:31], v73 offset:512
	ds_load_b128 v[24:27], v73 offset:1024
	;; [unrolled: 1-line block ×7, first 2 shown]
	v_lshlrev_b32_e32 v74, 4, v71
	ds_load_b128 v[60:63], v74 offset:8192
	ds_load_b128 v[56:59], v74 offset:8320
	;; [unrolled: 1-line block ×8, first 2 shown]
	ds_store_2addr_stride64_b32 v76, v68, v121 offset0:16 offset1:20
	ds_store_2addr_stride64_b32 v76, v69, v130 offset0:24 offset1:28
	ds_store_b32 v144, v143 offset:9216
	s_waitcnt lgkmcnt(0)
	s_barrier
	buffer_gl0_inv
	v_dual_add_f32 v77, v33, v61 :: v_dual_add_f32 v78, v32, v60
	v_add_f32_e32 v79, v28, v60
	v_add_f32_e32 v81, v16, v60
	;; [unrolled: 1-line block ×4, first 2 shown]
	v_min3_f32 v77, v78, v77, 0x7f7fffff
	v_add_f32_e32 v78, v29, v61
	s_delay_alu instid0(VALU_DEP_1) | instskip(SKIP_1) | instid1(VALU_DEP_1)
	v_min3_f32 v78, v79, v78, 0x7f7fffff
	v_add_f32_e32 v79, v25, v61
	v_min3_f32 v79, v80, v79, 0x7f7fffff
	v_add_f32_e32 v80, v17, v61
	s_delay_alu instid0(VALU_DEP_1) | instskip(SKIP_1) | instid1(VALU_DEP_1)
	v_min3_f32 v80, v81, v80, 0x7f7fffff
	v_add_f32_e32 v81, v13, v61
	v_min3_f32 v117, v82, v81, 0x7f7fffff
	v_dual_add_f32 v81, v9, v61 :: v_dual_add_f32 v82, v8, v60
	s_delay_alu instid0(VALU_DEP_1) | instskip(SKIP_2) | instid1(VALU_DEP_2)
	v_min3_f32 v118, v82, v81, 0x7f7fffff
	v_dual_add_f32 v81, v5, v61 :: v_dual_add_f32 v82, v4, v60
	v_dual_add_f32 v61, v1, v61 :: v_dual_add_f32 v60, v0, v60
	v_min3_f32 v119, v82, v81, 0x7f7fffff
	v_add_f32_e32 v81, v4, v36
	s_delay_alu instid0(VALU_DEP_3) | instskip(SKIP_1) | instid1(VALU_DEP_1)
	v_min3_f32 v120, v60, v61, 0x7f7fffff
	v_dual_add_f32 v60, v33, v57 :: v_dual_add_f32 v61, v32, v56
	v_min3_f32 v116, v61, v60, 0x7f7fffff
	v_dual_add_f32 v60, v29, v57 :: v_dual_add_f32 v61, v28, v56
	s_delay_alu instid0(VALU_DEP_1) | instskip(SKIP_1) | instid1(VALU_DEP_1)
	v_min3_f32 v115, v61, v60, 0x7f7fffff
	v_dual_add_f32 v60, v25, v57 :: v_dual_add_f32 v61, v24, v56
	v_min3_f32 v114, v61, v60, 0x7f7fffff
	v_dual_add_f32 v60, v17, v57 :: v_dual_add_f32 v61, v16, v56
	s_delay_alu instid0(VALU_DEP_1) | instskip(SKIP_1) | instid1(VALU_DEP_1)
	v_min3_f32 v113, v61, v60, 0x7f7fffff
	v_dual_add_f32 v60, v13, v57 :: v_dual_add_f32 v61, v12, v56
	v_min3_f32 v112, v61, v60, 0x7f7fffff
	v_dual_add_f32 v60, v9, v57 :: v_dual_add_f32 v61, v8, v56
	s_delay_alu instid0(VALU_DEP_1) | instskip(SKIP_2) | instid1(VALU_DEP_1)
	v_min3_f32 v111, v61, v60, 0x7f7fffff
	v_dual_add_f32 v60, v5, v57 :: v_dual_add_f32 v61, v4, v56
	v_dual_add_f32 v57, v1, v57 :: v_dual_add_f32 v56, v0, v56
	v_min3_f32 v109, v56, v57, 0x7f7fffff
	v_dual_add_f32 v56, v33, v53 :: v_dual_add_f32 v57, v32, v52
	s_delay_alu instid0(VALU_DEP_4) | instskip(NEXT) | instid1(VALU_DEP_2)
	v_min3_f32 v110, v61, v60, 0x7f7fffff
	v_min3_f32 v108, v57, v56, 0x7f7fffff
	v_dual_add_f32 v56, v29, v53 :: v_dual_add_f32 v57, v28, v52
	s_delay_alu instid0(VALU_DEP_1) | instskip(SKIP_1) | instid1(VALU_DEP_1)
	v_min3_f32 v107, v57, v56, 0x7f7fffff
	v_dual_add_f32 v56, v25, v53 :: v_dual_add_f32 v57, v24, v52
	v_min3_f32 v106, v57, v56, 0x7f7fffff
	v_dual_add_f32 v56, v17, v53 :: v_dual_add_f32 v57, v16, v52
	s_delay_alu instid0(VALU_DEP_1) | instskip(SKIP_1) | instid1(VALU_DEP_1)
	v_min3_f32 v105, v57, v56, 0x7f7fffff
	v_dual_add_f32 v56, v13, v53 :: v_dual_add_f32 v57, v12, v52
	v_min3_f32 v104, v57, v56, 0x7f7fffff
	v_dual_add_f32 v56, v9, v53 :: v_dual_add_f32 v57, v8, v52
	s_delay_alu instid0(VALU_DEP_1) | instskip(SKIP_2) | instid1(VALU_DEP_1)
	v_min3_f32 v103, v57, v56, 0x7f7fffff
	v_dual_add_f32 v56, v5, v53 :: v_dual_add_f32 v57, v4, v52
	v_dual_add_f32 v53, v1, v53 :: v_dual_add_f32 v52, v0, v52
	v_min3_f32 v101, v52, v53, 0x7f7fffff
	v_dual_add_f32 v52, v33, v49 :: v_dual_add_f32 v53, v32, v48
	s_delay_alu instid0(VALU_DEP_4) | instskip(NEXT) | instid1(VALU_DEP_2)
	v_min3_f32 v102, v57, v56, 0x7f7fffff
	v_min3_f32 v100, v53, v52, 0x7f7fffff
	v_dual_add_f32 v52, v29, v49 :: v_dual_add_f32 v53, v28, v48
	s_delay_alu instid0(VALU_DEP_1) | instskip(SKIP_1) | instid1(VALU_DEP_1)
	v_min3_f32 v99, v53, v52, 0x7f7fffff
	v_dual_add_f32 v52, v25, v49 :: v_dual_add_f32 v53, v24, v48
	v_min3_f32 v98, v53, v52, 0x7f7fffff
	v_dual_add_f32 v52, v17, v49 :: v_dual_add_f32 v53, v16, v48
	s_delay_alu instid0(VALU_DEP_1) | instskip(SKIP_1) | instid1(VALU_DEP_1)
	v_min3_f32 v97, v53, v52, 0x7f7fffff
	v_dual_add_f32 v52, v13, v49 :: v_dual_add_f32 v53, v12, v48
	v_min3_f32 v96, v53, v52, 0x7f7fffff
	v_dual_add_f32 v52, v9, v49 :: v_dual_add_f32 v53, v8, v48
	s_delay_alu instid0(VALU_DEP_1) | instskip(SKIP_2) | instid1(VALU_DEP_1)
	v_min3_f32 v95, v53, v52, 0x7f7fffff
	v_dual_add_f32 v52, v5, v49 :: v_dual_add_f32 v53, v4, v48
	v_dual_add_f32 v49, v1, v49 :: v_dual_add_f32 v48, v0, v48
	v_min3_f32 v93, v48, v49, 0x7f7fffff
	v_dual_add_f32 v48, v33, v45 :: v_dual_add_f32 v49, v32, v44
	s_delay_alu instid0(VALU_DEP_4) | instskip(NEXT) | instid1(VALU_DEP_2)
	v_min3_f32 v94, v53, v52, 0x7f7fffff
	v_min3_f32 v92, v49, v48, 0x7f7fffff
	v_dual_add_f32 v48, v29, v45 :: v_dual_add_f32 v49, v28, v44
	s_delay_alu instid0(VALU_DEP_1) | instskip(SKIP_1) | instid1(VALU_DEP_1)
	v_min3_f32 v91, v49, v48, 0x7f7fffff
	v_dual_add_f32 v48, v25, v45 :: v_dual_add_f32 v49, v24, v44
	v_min3_f32 v90, v49, v48, 0x7f7fffff
	v_dual_add_f32 v48, v17, v45 :: v_dual_add_f32 v49, v16, v44
	s_delay_alu instid0(VALU_DEP_1) | instskip(SKIP_1) | instid1(VALU_DEP_1)
	v_min3_f32 v89, v49, v48, 0x7f7fffff
	v_dual_add_f32 v48, v13, v45 :: v_dual_add_f32 v49, v12, v44
	v_min3_f32 v88, v49, v48, 0x7f7fffff
	v_dual_add_f32 v48, v9, v45 :: v_dual_add_f32 v49, v8, v44
	s_delay_alu instid0(VALU_DEP_1) | instskip(SKIP_2) | instid1(VALU_DEP_1)
	v_min3_f32 v87, v49, v48, 0x7f7fffff
	v_dual_add_f32 v48, v5, v45 :: v_dual_add_f32 v49, v4, v44
	v_dual_add_f32 v45, v1, v45 :: v_dual_add_f32 v44, v0, v44
	v_min3_f32 v85, v44, v45, 0x7f7fffff
	v_dual_add_f32 v44, v33, v41 :: v_dual_add_f32 v45, v32, v40
	s_delay_alu instid0(VALU_DEP_4) | instskip(NEXT) | instid1(VALU_DEP_2)
	v_min3_f32 v86, v49, v48, 0x7f7fffff
	v_min3_f32 v84, v45, v44, 0x7f7fffff
	v_dual_add_f32 v44, v29, v41 :: v_dual_add_f32 v45, v28, v40
	s_delay_alu instid0(VALU_DEP_1) | instskip(SKIP_1) | instid1(VALU_DEP_1)
	v_min3_f32 v83, v45, v44, 0x7f7fffff
	v_dual_add_f32 v44, v25, v41 :: v_dual_add_f32 v45, v24, v40
	v_min3_f32 v82, v45, v44, 0x7f7fffff
	v_dual_add_f32 v44, v17, v41 :: v_dual_add_f32 v45, v16, v40
	s_delay_alu instid0(VALU_DEP_1) | instskip(SKIP_1) | instid1(VALU_DEP_1)
	v_min3_f32 v61, v45, v44, 0x7f7fffff
	v_dual_add_f32 v44, v13, v41 :: v_dual_add_f32 v45, v12, v40
	v_min3_f32 v60, v45, v44, 0x7f7fffff
	v_dual_add_f32 v44, v9, v41 :: v_dual_add_f32 v45, v8, v40
	s_delay_alu instid0(VALU_DEP_1) | instskip(SKIP_3) | instid1(VALU_DEP_2)
	v_min3_f32 v57, v45, v44, 0x7f7fffff
	v_dual_add_f32 v44, v5, v41 :: v_dual_add_f32 v45, v4, v40
	v_dual_add_f32 v41, v1, v41 :: v_dual_add_f32 v40, v0, v40
	v_add_f32_e32 v4, v4, v20
	v_min3_f32 v53, v40, v41, 0x7f7fffff
	v_dual_add_f32 v40, v33, v37 :: v_dual_add_f32 v41, v32, v36
	v_min3_f32 v56, v45, v44, 0x7f7fffff
	v_dual_add_f32 v33, v33, v21 :: v_dual_add_f32 v32, v32, v20
	s_delay_alu instid0(VALU_DEP_3) | instskip(SKIP_1) | instid1(VALU_DEP_3)
	v_min3_f32 v52, v41, v40, 0x7f7fffff
	v_dual_add_f32 v40, v29, v37 :: v_dual_add_f32 v41, v28, v36
	v_min3_f32 v32, v32, v33, 0x7f7fffff
	v_dual_add_f32 v29, v29, v21 :: v_dual_add_f32 v28, v28, v20
	s_delay_alu instid0(VALU_DEP_3) | instskip(SKIP_1) | instid1(VALU_DEP_3)
	;; [unrolled: 5-line block ×4, first 2 shown]
	v_min3_f32 v45, v41, v40, 0x7f7fffff
	v_dual_add_f32 v40, v13, v37 :: v_dual_add_f32 v41, v12, v36
	v_min3_f32 v16, v16, v17, 0x7f7fffff
	v_dual_add_f32 v13, v13, v21 :: v_dual_add_f32 v12, v12, v20
	s_delay_alu instid0(VALU_DEP_3)
	v_min3_f32 v44, v41, v40, 0x7f7fffff
	v_dual_add_f32 v40, v9, v37 :: v_dual_add_f32 v41, v8, v36
	v_add_f32_e32 v36, v0, v36
	v_add_f32_e32 v0, v0, v20
	v_min3_f32 v12, v12, v13, 0x7f7fffff
	v_dual_add_f32 v9, v9, v21 :: v_dual_add_f32 v8, v8, v20
	v_min3_f32 v41, v41, v40, 0x7f7fffff
	v_add_f32_e32 v40, v5, v37
	v_add_f32_e32 v37, v1, v37
	;; [unrolled: 1-line block ×4, first 2 shown]
	v_min3_f32 v8, v8, v9, 0x7f7fffff
	v_min3_f32 v40, v81, v40, 0x7f7fffff
	;; [unrolled: 1-line block ×5, first 2 shown]
	v_add_f32_e32 v1, v35, v63
	v_add_f32_e32 v5, v34, v62
	s_delay_alu instid0(VALU_DEP_1) | instskip(SKIP_2) | instid1(VALU_DEP_1)
	v_min3_f32 v142, v5, v1, v77
	v_add_f32_e32 v1, v31, v63
	v_add_f32_e32 v5, v30, v62
	v_min3_f32 v141, v5, v1, v78
	v_add_f32_e32 v1, v27, v63
	v_add_f32_e32 v5, v26, v62
	s_delay_alu instid0(VALU_DEP_1) | instskip(SKIP_2) | instid1(VALU_DEP_1)
	v_min3_f32 v81, v5, v1, v79
	v_add_f32_e32 v1, v19, v63
	v_add_f32_e32 v5, v18, v62
	v_min3_f32 v79, v5, v1, v80
	;; [unrolled: 7-line block ×27, first 2 shown]
	v_add_f32_e32 v1, v7, v39
	v_add_f32_e32 v5, v6, v38
	s_delay_alu instid0(VALU_DEP_1) | instskip(SKIP_3) | instid1(VALU_DEP_2)
	v_min3_f32 v90, v5, v1, v40
	v_add_f32_e32 v1, v3, v39
	v_add_f32_e32 v5, v2, v38
	;; [unrolled: 1-line block ×3, first 2 shown]
	v_min3_f32 v89, v5, v1, v36
	v_add_f32_e32 v1, v35, v23
	v_add_f32_e32 v5, v34, v22
	s_delay_alu instid0(VALU_DEP_1) | instskip(SKIP_2) | instid1(VALU_DEP_1)
	v_min3_f32 v88, v5, v1, v32
	v_add_f32_e32 v1, v31, v23
	v_add_f32_e32 v5, v30, v22
	v_min3_f32 v87, v5, v1, v28
	v_add_f32_e32 v1, v27, v23
	v_add_f32_e32 v5, v26, v22
	s_delay_alu instid0(VALU_DEP_1) | instskip(SKIP_2) | instid1(VALU_DEP_1)
	v_min3_f32 v86, v5, v1, v24
	v_add_f32_e32 v1, v19, v23
	v_add_f32_e32 v5, v18, v22
	v_min3_f32 v85, v5, v1, v16
	v_add_f32_e32 v1, v15, v23
	v_add_f32_e32 v5, v14, v22
	s_delay_alu instid0(VALU_DEP_1) | instskip(SKIP_2) | instid1(VALU_DEP_1)
	v_min3_f32 v84, v5, v1, v12
	v_add_f32_e32 v1, v11, v23
	v_add_f32_e32 v5, v10, v22
	v_min3_f32 v83, v5, v1, v8
	v_add_f32_e32 v1, v7, v23
	v_add_f32_e32 v5, v6, v22
	s_delay_alu instid0(VALU_DEP_1) | instskip(SKIP_1) | instid1(VALU_DEP_1)
	v_min3_f32 v82, v5, v1, v4
	v_add_f32_e32 v1, v3, v23
	v_min3_f32 v92, v2, v1, v0
	s_cbranch_scc1 .LBB58_52
; %bb.30:
	v_mad_i64_i32 v[0:1], null, s27, v67, 0
	v_add_nc_u32_e32 v2, 8, v72
	v_add_nc_u32_e32 v4, 12, v72
	;; [unrolled: 1-line block ×6, first 2 shown]
	v_lshlrev_b64 v[0:1], 2, v[0:1]
	v_lshl_add_u32 v145, v70, 4, 0x1000
	v_lshl_add_u32 v146, v71, 4, 0x2400
	s_delay_alu instid0(VALU_DEP_3) | instskip(NEXT) | instid1(VALU_DEP_1)
	v_add_co_u32 v5, s5, v0, v66
	v_add_co_ci_u32_e64 v6, s5, 0, v1, s5
	v_mad_i64_i32 v[0:1], null, v2, s8, 0
	s_delay_alu instid0(VALU_DEP_3) | instskip(SKIP_1) | instid1(VALU_DEP_4)
	v_add_co_u32 v7, s5, v5, s22
	v_mad_i64_i32 v[2:3], null, v4, s8, 0
	v_add_co_ci_u32_e64 v6, s5, s23, v6, s5
	v_lshlrev_b64 v[4:5], 2, v[64:65]
	s_delay_alu instid0(VALU_DEP_4) | instskip(NEXT) | instid1(VALU_DEP_1)
	v_add_co_u32 v64, s5, v7, 48
	v_add_co_ci_u32_e64 v65, s5, 0, v6, s5
	v_lshlrev_b64 v[66:67], 2, v[0:1]
	s_delay_alu instid0(VALU_DEP_4)
	v_add_co_u32 v147, s5, s20, v4
	v_lshlrev_b64 v[68:69], 2, v[2:3]
	v_add_co_ci_u32_e64 v148, s5, s21, v5, s5
	s_add_i32 s20, s18, -8
	s_lshl_b64 s[8:9], s[8:9], 5
	s_mov_b32 s21, 0
	s_branch .LBB58_32
.LBB58_31:                              ;   in Loop: Header=BB58_32 Depth=1
	s_or_b32 exec_lo, exec_lo, s5
	ds_load_b128 v[88:91], v130
	ds_load_b128 v[154:157], v73
	ds_load_b128 v[158:161], v73 offset:512
	ds_load_b128 v[162:165], v73 offset:1024
	;; [unrolled: 1-line block ×14, first 2 shown]
	v_add_co_u32 v64, s5, v64, 32
	s_delay_alu instid0(VALU_DEP_1)
	v_add_co_ci_u32_e64 v65, s5, 0, v65, s5
	v_add_co_u32 v147, s5, v147, s8
	s_waitcnt lgkmcnt(14)
	v_dual_add_f32 v10, v155, v89 :: v_dual_add_f32 v11, v154, v88
	s_waitcnt lgkmcnt(13)
	v_dual_add_f32 v14, v159, v89 :: v_dual_add_f32 v15, v158, v88
	;; [unrolled: 2-line block ×3, first 2 shown]
	s_waitcnt lgkmcnt(11)
	v_add_f32_e32 v31, v167, v89
	v_min3_f32 v10, v11, v10, v44
	v_min3_f32 v11, v15, v14, v45
	v_add_f32_e32 v15, v166, v88
	v_min3_f32 v14, v19, v18, v48
	s_waitcnt lgkmcnt(10)
	v_dual_add_f32 v18, v171, v89 :: v_dual_add_f32 v19, v170, v88
	s_waitcnt lgkmcnt(9)
	v_dual_add_f32 v34, v175, v89 :: v_dual_add_f32 v35, v174, v88
	;; [unrolled: 2-line block ×4, first 2 shown]
	v_min3_f32 v0, v15, v31, v0
	v_min3_f32 v1, v19, v18, v1
	;; [unrolled: 1-line block ×4, first 2 shown]
	s_waitcnt lgkmcnt(6)
	v_dual_add_f32 v31, v155, v93 :: v_dual_add_f32 v38, v158, v92
	v_dual_add_f32 v35, v159, v93 :: v_dual_add_f32 v34, v154, v92
	;; [unrolled: 1-line block ×4, first 2 shown]
	s_delay_alu instid0(VALU_DEP_3)
	v_min3_f32 v5, v38, v35, v5
	v_add_f32_e32 v38, v175, v93
	v_min3_f32 v19, v45, v44, v53
	v_dual_add_f32 v44, v162, v92 :: v_dual_add_f32 v45, v167, v93
	v_min3_f32 v4, v34, v31, v4
	v_min3_f32 v35, v52, v49, v60
	s_waitcnt lgkmcnt(5)
	v_dual_add_f32 v49, v182, v92 :: v_dual_add_f32 v52, v155, v97
	v_min3_f32 v31, v44, v39, v56
	v_min3_f32 v34, v48, v45, v57
	v_dual_add_f32 v39, v174, v92 :: v_dual_add_f32 v44, v179, v93
	v_dual_add_f32 v45, v178, v92 :: v_dual_add_f32 v48, v183, v93
	;; [unrolled: 1-line block ×3, first 2 shown]
	v_add_f32_e32 v57, v158, v96
	s_delay_alu instid0(VALU_DEP_4) | instskip(NEXT) | instid1(VALU_DEP_4)
	v_min3_f32 v8, v39, v38, v8
	v_min3_f32 v9, v45, v44, v9
	v_min3_f32 v38, v49, v48, v58
	v_min3_f32 v39, v53, v52, v59
	v_dual_add_f32 v45, v163, v97 :: v_dual_add_f32 v52, v166, v96
	v_dual_add_f32 v49, v167, v97 :: v_dual_add_f32 v48, v162, v96
	;; [unrolled: 1-line block ×3, first 2 shown]
	v_add_f32_e32 v59, v179, v97
	s_delay_alu instid0(VALU_DEP_3)
	v_min3_f32 v13, v52, v49, v13
	v_add_f32_e32 v52, v183, v97
	v_min3_f32 v44, v57, v56, v61
	v_dual_add_f32 v56, v170, v96 :: v_dual_add_f32 v57, v175, v97
	v_add_f32_e32 v60, v178, v96
	v_min3_f32 v12, v48, v45, v12
	s_waitcnt lgkmcnt(4)
	v_add_f32_e32 v61, v166, v100
	v_min3_f32 v45, v56, v53, v54
	v_min3_f32 v48, v58, v57, v55
	v_dual_add_f32 v53, v182, v96 :: v_dual_add_f32 v54, v155, v101
	v_dual_add_f32 v55, v154, v100 :: v_dual_add_f32 v56, v159, v101
	;; [unrolled: 1-line block ×3, first 2 shown]
	s_delay_alu instid0(VALU_DEP_3) | instskip(NEXT) | instid1(VALU_DEP_3)
	v_min3_f32 v16, v53, v52, v16
	v_min3_f32 v17, v55, v54, v17
	v_add_f32_e32 v55, v171, v101
	s_delay_alu instid0(VALU_DEP_4)
	v_min3_f32 v52, v57, v56, v63
	v_add_f32_e32 v56, v170, v100
	v_min3_f32 v49, v60, v59, v62
	v_dual_add_f32 v59, v162, v100 :: v_dual_add_f32 v60, v167, v101
	v_dual_add_f32 v57, v175, v101 :: v_dual_add_f32 v62, v182, v100
	s_waitcnt lgkmcnt(3)
	v_add_f32_e32 v63, v155, v187
	s_delay_alu instid0(VALU_DEP_3)
	v_min3_f32 v53, v59, v58, v77
	v_dual_add_f32 v58, v174, v100 :: v_dual_add_f32 v59, v179, v101
	v_min3_f32 v20, v56, v55, v20
	v_add_f32_e32 v56, v159, v187
	v_min3_f32 v54, v61, v60, v78
	v_dual_add_f32 v60, v178, v100 :: v_dual_add_f32 v61, v183, v101
	v_add_f32_e32 v78, v174, v186
	v_add_f32_e32 v77, v154, v186
	v_min3_f32 v21, v58, v57, v21
	v_add_f32_e32 v58, v163, v187
	v_min3_f32 v50, v60, v59, v50
	;; [unrolled: 2-line block ×3, first 2 shown]
	v_dual_add_f32 v62, v171, v187 :: v_dual_add_f32 v57, v158, v186
	v_dual_add_f32 v60, v167, v187 :: v_dual_add_f32 v61, v166, v186
	s_delay_alu instid0(VALU_DEP_4)
	v_min3_f32 v25, v59, v58, v25
	v_add_f32_e32 v58, v178, v186
	v_min3_f32 v55, v77, v63, v79
	v_add_f32_e32 v77, v175, v187
	v_add_f32_e32 v63, v170, v186
	v_min3_f32 v24, v57, v56, v24
	v_add_f32_e32 v59, v183, v187
	v_add_f32_e32 v57, v179, v187
	v_min3_f32 v56, v78, v77, v80
	s_waitcnt lgkmcnt(2)
	v_add_f32_e32 v78, v163, v191
	v_min3_f32 v46, v61, v60, v46
	v_dual_add_f32 v60, v182, v186 :: v_dual_add_f32 v61, v155, v191
	v_add_f32_e32 v80, v178, v190
	v_add_f32_e32 v77, v158, v190
	;; [unrolled: 1-line block ×3, first 2 shown]
	s_delay_alu instid0(VALU_DEP_4)
	v_min3_f32 v29, v60, v59, v29
	v_add_f32_e32 v60, v167, v191
	v_min3_f32 v47, v63, v62, v47
	v_dual_add_f32 v62, v154, v190 :: v_dual_add_f32 v63, v159, v191
	v_min3_f32 v28, v58, v57, v28
	v_min3_f32 v59, v79, v78, v83
	v_add_f32_e32 v78, v174, v190
	s_delay_alu instid0(VALU_DEP_4)
	v_min3_f32 v57, v62, v61, v81
	v_dual_add_f32 v61, v166, v190 :: v_dual_add_f32 v62, v171, v191
	v_min3_f32 v58, v77, v63, v82
	v_add_f32_e32 v63, v170, v190
	v_add_f32_e32 v77, v175, v191
	;; [unrolled: 1-line block ×3, first 2 shown]
	v_dual_add_f32 v81, v183, v191 :: v_dual_add_f32 v82, v182, v190
	s_waitcnt lgkmcnt(1)
	v_add_f32_e32 v83, v170, v194
	v_add_co_ci_u32_e64 v148, s5, s9, v148, s5
	v_min3_f32 v43, v80, v79, v43
	v_dual_add_f32 v79, v162, v194 :: v_dual_add_f32 v80, v167, v195
	v_min3_f32 v32, v61, v60, v32
	v_min3_f32 v60, v82, v81, v84
	v_add_f32_e32 v61, v155, v195
	v_dual_add_f32 v81, v166, v194 :: v_dual_add_f32 v82, v171, v195
	v_min3_f32 v33, v63, v62, v33
	v_add_f32_e32 v62, v154, v194
	v_min3_f32 v42, v78, v77, v42
	s_waitcnt lgkmcnt(0)
	v_dual_add_f32 v63, v159, v195 :: v_dual_add_f32 v84, v154, v198
	v_dual_add_f32 v77, v158, v194 :: v_dual_add_f32 v78, v163, v195
	s_add_i32 s21, s21, 8
	s_waitcnt vmcnt(0)
	ds_store_2addr_stride64_b32 v143, v149, v151 offset1:4
	ds_store_2addr_stride64_b32 v143, v150, v153 offset0:8 offset1:12
	ds_store_b32 v144, v152
	s_cmp_ge_i32 s21, s20
	v_min3_f32 v37, v77, v63, v37
	v_min3_f32 v63, v83, v82, v87
	v_dual_add_f32 v77, v175, v195 :: v_dual_add_f32 v82, v182, v194
	v_min3_f32 v36, v62, v61, v36
	v_min3_f32 v61, v79, v78, v85
	;; [unrolled: 1-line block ×3, first 2 shown]
	v_add_f32_e32 v86, v158, v198
	v_dual_add_f32 v78, v174, v194 :: v_dual_add_f32 v79, v179, v195
	v_dual_add_f32 v80, v178, v194 :: v_dual_add_f32 v81, v183, v195
	v_add_f32_e32 v83, v155, v199
	v_add_f32_e32 v85, v159, v199
	s_delay_alu instid0(VALU_DEP_4)
	v_min3_f32 v40, v78, v77, v40
	v_dual_add_f32 v77, v163, v199 :: v_dual_add_f32 v78, v162, v198
	v_min3_f32 v41, v80, v79, v41
	v_dual_add_f32 v79, v167, v199 :: v_dual_add_f32 v80, v166, v198
	;; [unrolled: 2-line block ×10, first 2 shown]
	v_min3_f32 v142, v80, v79, v10
	v_min3_f32 v141, v82, v81, v11
	v_dual_add_f32 v10, v172, v90 :: v_dual_add_f32 v11, v177, v91
	v_add_f32_e32 v80, v181, v91
	v_add_f32_e32 v82, v180, v90
	v_min3_f32 v81, v84, v83, v14
	v_dual_add_f32 v14, v176, v90 :: v_dual_add_f32 v83, v185, v91
	v_add_f32_e32 v84, v184, v90
	v_min3_f32 v79, v86, v85, v0
	v_add_f32_e32 v0, v173, v91
	v_dual_add_f32 v85, v157, v95 :: v_dual_add_f32 v86, v156, v94
	v_min3_f32 v2, v78, v77, v2
	v_min3_f32 v78, v14, v11, v15
	v_add_f32_e32 v14, v168, v94
	v_min3_f32 v77, v10, v0, v1
	v_min3_f32 v80, v82, v80, v18
	;; [unrolled: 1-line block ×3, first 2 shown]
	v_dual_add_f32 v0, v161, v95 :: v_dual_add_f32 v1, v160, v94
	v_add_f32_e32 v4, v165, v95
	v_add_f32_e32 v10, v164, v94
	v_min3_f32 v140, v84, v83, v19
	v_dual_add_f32 v11, v169, v95 :: v_dual_add_f32 v18, v172, v94
	v_dual_add_f32 v15, v173, v95 :: v_dual_add_f32 v82, v176, v94
	v_add_f32_e32 v19, v177, v95
	v_min3_f32 v138, v1, v0, v5
	v_min3_f32 v137, v10, v4, v31
	v_add_f32_e32 v10, v156, v98
	v_min3_f32 v136, v14, v11, v34
	v_min3_f32 v135, v18, v15, v35
	;; [unrolled: 1-line block ×3, first 2 shown]
	v_dual_add_f32 v0, v181, v95 :: v_dual_add_f32 v1, v180, v94
	v_dual_add_f32 v4, v185, v95 :: v_dual_add_f32 v5, v184, v94
	v_add_f32_e32 v8, v157, v99
	v_dual_add_f32 v11, v161, v99 :: v_dual_add_f32 v14, v160, v98
	v_dual_add_f32 v15, v165, v99 :: v_dual_add_f32 v18, v164, v98
	v_min3_f32 v133, v1, v0, v9
	v_min3_f32 v132, v5, v4, v38
	v_min3_f32 v131, v10, v8, v39
	v_min3_f32 v129, v14, v11, v44
	v_min3_f32 v128, v18, v15, v12
	v_dual_add_f32 v0, v169, v99 :: v_dual_add_f32 v1, v168, v98
	v_dual_add_f32 v4, v173, v99 :: v_dual_add_f32 v5, v172, v98
	;; [unrolled: 1-line block ×4, first 2 shown]
	v_add_f32_e32 v12, v185, v99
	v_add_f32_e32 v14, v184, v98
	v_min3_f32 v127, v1, v0, v13
	v_add_f32_e32 v1, v156, v102
	v_min3_f32 v126, v5, v4, v45
	v_min3_f32 v125, v9, v8, v48
	v_min3_f32 v124, v11, v10, v49
	v_min3_f32 v123, v14, v12, v16
	v_dual_add_f32 v0, v157, v103 :: v_dual_add_f32 v5, v160, v102
	v_dual_add_f32 v4, v161, v103 :: v_dual_add_f32 v9, v164, v102
	v_dual_add_f32 v8, v165, v103 :: v_dual_add_f32 v11, v168, v102
	v_dual_add_f32 v10, v169, v103 :: v_dual_add_f32 v13, v172, v102
	v_add_f32_e32 v12, v173, v103
	v_min3_f32 v122, v1, v0, v17
	v_add_f32_e32 v1, v176, v102
	v_min3_f32 v120, v5, v4, v52
	v_min3_f32 v119, v9, v8, v53
	v_min3_f32 v118, v11, v10, v54
	v_min3_f32 v117, v13, v12, v20
	v_dual_add_f32 v0, v177, v103 :: v_dual_add_f32 v5, v180, v102
	v_dual_add_f32 v4, v181, v103 :: v_dual_add_f32 v9, v184, v102
	v_dual_add_f32 v8, v185, v103 :: v_dual_add_f32 v11, v156, v188
	v_dual_add_f32 v10, v157, v189 :: v_dual_add_f32 v13, v160, v188
	;; [unrolled: 11-line block ×8, first 2 shown]
	v_add_f32_e32 v12, v185, v201
	v_min3_f32 v85, v1, v0, v23
	v_min3_f32 v84, v5, v4, v3
	;; [unrolled: 1-line block ×5, first 2 shown]
	s_waitcnt lgkmcnt(0)
	s_barrier
	buffer_gl0_inv
	s_cbranch_scc1 .LBB58_52
.LBB58_32:                              ; =>This Inner Loop Header: Depth=1
	v_dual_mov_b32 v151, 0x7f7fffff :: v_dual_add_nc_u32 v150, s21, v72
	v_mov_b32_e32 v152, 0x7f7fffff
	s_delay_alu instid0(VALU_DEP_2) | instskip(NEXT) | instid1(VALU_DEP_1)
	v_add_nc_u32_e32 v0, 8, v150
	v_cmp_le_i32_e64 s5, s18, v0
	s_delay_alu instid0(VALU_DEP_1) | instskip(NEXT) | instid1(SALU_CYCLE_1)
	s_or_b32 s6, vcc_lo, s5
	s_xor_b32 s6, s6, -1
	s_delay_alu instid0(SALU_CYCLE_1)
	s_and_saveexec_b32 s22, s6
	s_cbranch_execz .LBB58_34
; %bb.33:                               ;   in Loop: Header=BB58_32 Depth=1
	v_add_co_u32 v0, s6, v147, v66
	s_delay_alu instid0(VALU_DEP_1)
	v_add_co_ci_u32_e64 v1, s6, v148, v67, s6
	flat_load_b32 v152, v[0:1]
.LBB58_34:                              ;   in Loop: Header=BB58_32 Depth=1
	s_or_b32 exec_lo, exec_lo, s22
	s_or_b32 s6, s2, s5
	s_delay_alu instid0(SALU_CYCLE_1) | instskip(NEXT) | instid1(SALU_CYCLE_1)
	s_xor_b32 s6, s6, -1
	s_and_saveexec_b32 s22, s6
	s_cbranch_execz .LBB58_36
; %bb.35:                               ;   in Loop: Header=BB58_32 Depth=1
	v_add_co_u32 v0, s6, v147, v66
	s_delay_alu instid0(VALU_DEP_1)
	v_add_co_ci_u32_e64 v1, s6, v148, v67, s6
	flat_load_b32 v151, v[0:1] offset:256
.LBB58_36:                              ;   in Loop: Header=BB58_32 Depth=1
	s_or_b32 exec_lo, exec_lo, s22
	v_mov_b32_e32 v153, 0x7f7fffff
	v_mov_b32_e32 v155, 0x7f7fffff
	s_or_b32 s6, s3, s5
	s_delay_alu instid0(SALU_CYCLE_1) | instskip(NEXT) | instid1(SALU_CYCLE_1)
	s_xor_b32 s6, s6, -1
	s_and_saveexec_b32 s22, s6
	s_cbranch_execz .LBB58_38
; %bb.37:                               ;   in Loop: Header=BB58_32 Depth=1
	v_add_co_u32 v0, s6, v147, v66
	s_delay_alu instid0(VALU_DEP_1)
	v_add_co_ci_u32_e64 v1, s6, v148, v67, s6
	flat_load_b32 v155, v[0:1] offset:512
.LBB58_38:                              ;   in Loop: Header=BB58_32 Depth=1
	s_or_b32 exec_lo, exec_lo, s22
	s_or_b32 s5, s4, s5
	s_delay_alu instid0(SALU_CYCLE_1) | instskip(NEXT) | instid1(SALU_CYCLE_1)
	s_xor_b32 s5, s5, -1
	s_and_saveexec_b32 s6, s5
	s_cbranch_execz .LBB58_40
; %bb.39:                               ;   in Loop: Header=BB58_32 Depth=1
	v_add_co_u32 v0, s5, v147, v66
	s_delay_alu instid0(VALU_DEP_1)
	v_add_co_ci_u32_e64 v1, s5, v148, v67, s5
	flat_load_b32 v153, v[0:1] offset:768
.LBB58_40:                              ;   in Loop: Header=BB58_32 Depth=1
	s_or_b32 exec_lo, exec_lo, s6
	v_dual_mov_b32 v149, 0x7f7fffff :: v_dual_add_nc_u32 v154, s21, v75
	v_mov_b32_e32 v156, 0x7f7fffff
	s_delay_alu instid0(VALU_DEP_2) | instskip(NEXT) | instid1(VALU_DEP_1)
	v_add_nc_u32_e32 v0, 8, v154
	v_cmp_gt_i32_e64 s5, s18, v0
	s_delay_alu instid0(VALU_DEP_1) | instskip(NEXT) | instid1(SALU_CYCLE_1)
	s_and_b32 s5, s5, s26
	s_and_saveexec_b32 s6, s5
	s_cbranch_execz .LBB58_42
; %bb.41:                               ;   in Loop: Header=BB58_32 Depth=1
	v_add_co_u32 v0, s5, -16, v64
	s_delay_alu instid0(VALU_DEP_1)
	v_add_co_ci_u32_e64 v1, s5, -1, v65, s5
	flat_load_b32 v156, v[0:1]
.LBB58_42:                              ;   in Loop: Header=BB58_32 Depth=1
	s_or_b32 exec_lo, exec_lo, s6
	ds_load_b128 v[32:35], v145
	ds_load_b128 v[28:31], v145 offset:512
	ds_load_b128 v[24:27], v145 offset:1024
	;; [unrolled: 1-line block ×7, first 2 shown]
	ds_load_b128 v[60:63], v146
	ds_load_b128 v[56:59], v146 offset:128
	ds_load_b128 v[52:55], v146 offset:256
	;; [unrolled: 1-line block ×7, first 2 shown]
	v_add_nc_u32_e32 v150, 12, v150
	s_waitcnt vmcnt(0) lgkmcnt(16)
	ds_store_2addr_stride64_b32 v76, v152, v151 offset1:4
	ds_store_2addr_stride64_b32 v76, v155, v153 offset0:8 offset1:12
	ds_store_b32 v121, v156
	s_waitcnt lgkmcnt(0)
	s_barrier
	buffer_gl0_inv
	v_cmp_le_i32_e64 s5, s18, v150
	s_delay_alu instid0(VALU_DEP_1) | instskip(NEXT) | instid1(SALU_CYCLE_1)
	s_or_b32 s6, vcc_lo, s5
	s_xor_b32 s6, s6, -1
	s_delay_alu instid0(SALU_CYCLE_1)
	s_and_saveexec_b32 s22, s6
	s_cbranch_execz .LBB58_44
; %bb.43:                               ;   in Loop: Header=BB58_32 Depth=1
	v_add_co_u32 v149, s6, v147, v68
	s_delay_alu instid0(VALU_DEP_1)
	v_add_co_ci_u32_e64 v150, s6, v148, v69, s6
	flat_load_b32 v149, v[149:150]
.LBB58_44:                              ;   in Loop: Header=BB58_32 Depth=1
	s_or_b32 exec_lo, exec_lo, s22
	v_dual_mov_b32 v150, 0x7f7fffff :: v_dual_mov_b32 v151, 0x7f7fffff
	s_or_b32 s6, s2, s5
	s_delay_alu instid0(SALU_CYCLE_1) | instskip(NEXT) | instid1(SALU_CYCLE_1)
	s_xor_b32 s6, s6, -1
	s_and_saveexec_b32 s22, s6
	s_cbranch_execz .LBB58_46
; %bb.45:                               ;   in Loop: Header=BB58_32 Depth=1
	v_add_co_u32 v151, s6, v147, v68
	s_delay_alu instid0(VALU_DEP_1)
	v_add_co_ci_u32_e64 v152, s6, v148, v69, s6
	flat_load_b32 v151, v[151:152] offset:256
.LBB58_46:                              ;   in Loop: Header=BB58_32 Depth=1
	s_or_b32 exec_lo, exec_lo, s22
	s_or_b32 s6, s3, s5
	s_delay_alu instid0(SALU_CYCLE_1) | instskip(NEXT) | instid1(SALU_CYCLE_1)
	s_xor_b32 s6, s6, -1
	s_and_saveexec_b32 s22, s6
	s_cbranch_execz .LBB58_48
; %bb.47:                               ;   in Loop: Header=BB58_32 Depth=1
	v_add_co_u32 v152, s6, v147, v68
	s_delay_alu instid0(VALU_DEP_1)
	v_add_co_ci_u32_e64 v153, s6, v148, v69, s6
	flat_load_b32 v150, v[152:153] offset:512
.LBB58_48:                              ;   in Loop: Header=BB58_32 Depth=1
	s_or_b32 exec_lo, exec_lo, s22
	v_dual_mov_b32 v152, 0x7f7fffff :: v_dual_mov_b32 v153, 0x7f7fffff
	s_or_b32 s5, s4, s5
	s_delay_alu instid0(SALU_CYCLE_1) | instskip(NEXT) | instid1(SALU_CYCLE_1)
	s_xor_b32 s5, s5, -1
	s_and_saveexec_b32 s6, s5
	s_cbranch_execz .LBB58_50
; %bb.49:                               ;   in Loop: Header=BB58_32 Depth=1
	v_add_co_u32 v155, s5, v147, v68
	s_delay_alu instid0(VALU_DEP_1)
	v_add_co_ci_u32_e64 v156, s5, v148, v69, s5
	flat_load_b32 v153, v[155:156] offset:768
.LBB58_50:                              ;   in Loop: Header=BB58_32 Depth=1
	s_or_b32 exec_lo, exec_lo, s6
	v_dual_add_f32 v155, v33, v61 :: v_dual_add_f32 v156, v32, v60
	v_dual_add_f32 v157, v29, v61 :: v_dual_add_f32 v158, v28, v60
	;; [unrolled: 1-line block ×4, first 2 shown]
	s_delay_alu instid0(VALU_DEP_4) | instskip(NEXT) | instid1(VALU_DEP_4)
	v_min3_f32 v142, v156, v155, v142
	v_min3_f32 v141, v158, v157, v141
	s_delay_alu instid0(VALU_DEP_4)
	v_min3_f32 v81, v160, v159, v81
	v_dual_add_f32 v155, v17, v61 :: v_dual_add_f32 v156, v16, v60
	v_min3_f32 v79, v162, v161, v79
	v_dual_add_f32 v157, v9, v61 :: v_dual_add_f32 v158, v8, v60
	v_dual_add_f32 v159, v5, v61 :: v_dual_add_f32 v160, v4, v60
	;; [unrolled: 1-line block ×4, first 2 shown]
	v_min3_f32 v77, v156, v155, v77
	v_min3_f32 v78, v158, v157, v78
	s_delay_alu instid0(VALU_DEP_4)
	v_min3_f32 v60, v60, v61, v140
	v_add_f32_e32 v140, v28, v56
	v_min3_f32 v61, v162, v161, v139
	v_add_f32_e32 v139, v29, v57
	v_dual_add_f32 v155, v25, v57 :: v_dual_add_f32 v156, v24, v56
	v_dual_add_f32 v157, v21, v57 :: v_dual_add_f32 v158, v20, v56
	v_min3_f32 v80, v160, v159, v80
	v_dual_add_f32 v159, v17, v57 :: v_dual_add_f32 v160, v16, v56
	v_dual_add_f32 v161, v9, v57 :: v_dual_add_f32 v162, v8, v56
	v_min3_f32 v138, v140, v139, v138
	v_min3_f32 v137, v156, v155, v137
	;; [unrolled: 1-line block ×3, first 2 shown]
	v_dual_add_f32 v139, v5, v57 :: v_dual_add_f32 v140, v4, v56
	v_dual_add_f32 v57, v1, v57 :: v_dual_add_f32 v56, v0, v56
	v_dual_add_f32 v155, v33, v53 :: v_dual_add_f32 v156, v32, v52
	v_dual_add_f32 v157, v29, v53 :: v_dual_add_f32 v158, v28, v52
	v_min3_f32 v135, v160, v159, v135
	v_dual_add_f32 v159, v25, v53 :: v_dual_add_f32 v160, v24, v52
	v_min3_f32 v133, v140, v139, v133
	v_min3_f32 v132, v56, v57, v132
	;; [unrolled: 1-line block ×4, first 2 shown]
	v_dual_add_f32 v56, v21, v53 :: v_dual_add_f32 v57, v20, v52
	v_dual_add_f32 v139, v17, v53 :: v_dual_add_f32 v140, v16, v52
	;; [unrolled: 1-line block ×5, first 2 shown]
	v_min3_f32 v127, v57, v56, v127
	v_min3_f32 v126, v140, v139, v126
	v_min3_f32 v125, v156, v155, v125
	v_dual_add_f32 v56, v29, v49 :: v_dual_add_f32 v57, v28, v48
	v_min3_f32 v123, v52, v53, v123
	v_dual_add_f32 v52, v33, v49 :: v_dual_add_f32 v53, v32, v48
	v_dual_add_f32 v139, v25, v49 :: v_dual_add_f32 v140, v24, v48
	;; [unrolled: 1-line block ×3, first 2 shown]
	v_min3_f32 v124, v158, v157, v124
	v_dual_add_f32 v157, v17, v49 :: v_dual_add_f32 v158, v16, v48
	v_min3_f32 v122, v53, v52, v122
	v_min3_f32 v120, v57, v56, v120
	;; [unrolled: 1-line block ×4, first 2 shown]
	v_dual_add_f32 v52, v9, v49 :: v_dual_add_f32 v53, v8, v48
	v_dual_add_f32 v56, v5, v49 :: v_dual_add_f32 v57, v4, v48
	;; [unrolled: 1-line block ×5, first 2 shown]
	v_min3_f32 v116, v53, v52, v116
	v_min3_f32 v115, v57, v56, v115
	;; [unrolled: 1-line block ×5, first 2 shown]
	v_dual_add_f32 v48, v25, v45 :: v_dual_add_f32 v49, v24, v44
	v_dual_add_f32 v52, v21, v45 :: v_dual_add_f32 v53, v20, v44
	v_dual_add_f32 v56, v17, v45 :: v_dual_add_f32 v57, v16, v44
	v_dual_add_f32 v139, v9, v45 :: v_dual_add_f32 v140, v8, v44
	v_dual_add_f32 v155, v5, v45 :: v_dual_add_f32 v156, v4, v44
	v_dual_add_f32 v45, v1, v45 :: v_dual_add_f32 v44, v0, v44
	v_min3_f32 v111, v49, v48, v111
	v_min3_f32 v110, v53, v52, v110
	;; [unrolled: 1-line block ×3, first 2 shown]
	v_dual_add_f32 v48, v33, v41 :: v_dual_add_f32 v49, v32, v40
	v_dual_add_f32 v52, v29, v41 :: v_dual_add_f32 v53, v28, v40
	;; [unrolled: 1-line block ×3, first 2 shown]
	v_min3_f32 v106, v44, v45, v106
	v_dual_add_f32 v44, v17, v41 :: v_dual_add_f32 v45, v16, v40
	v_min3_f32 v108, v140, v139, v108
	v_dual_add_f32 v139, v21, v41 :: v_dual_add_f32 v140, v20, v40
	v_min3_f32 v105, v49, v48, v105
	v_min3_f32 v104, v53, v52, v104
	v_min3_f32 v103, v57, v56, v103
	v_dual_add_f32 v48, v9, v41 :: v_dual_add_f32 v49, v8, v40
	v_dual_add_f32 v52, v5, v41 :: v_dual_add_f32 v53, v4, v40
	;; [unrolled: 1-line block ×4, first 2 shown]
	v_min3_f32 v101, v45, v44, v101
	v_dual_add_f32 v44, v29, v37 :: v_dual_add_f32 v45, v28, v36
	v_min3_f32 v100, v49, v48, v100
	v_min3_f32 v99, v53, v52, v99
	;; [unrolled: 1-line block ×4, first 2 shown]
	v_dual_add_f32 v48, v25, v37 :: v_dual_add_f32 v49, v24, v36
	v_dual_add_f32 v52, v21, v37 :: v_dual_add_f32 v53, v20, v36
	;; [unrolled: 1-line block ×4, first 2 shown]
	v_min3_f32 v96, v45, v44, v96
	v_dual_add_f32 v44, v5, v37 :: v_dual_add_f32 v45, v4, v36
	v_dual_add_f32 v37, v1, v37 :: v_dual_add_f32 v36, v0, v36
	;; [unrolled: 1-line block ×6, first 2 shown]
	v_min3_f32 v107, v156, v155, v107
	v_min3_f32 v102, v140, v139, v102
	v_dual_add_f32 v33, v33, v13 :: v_dual_add_f32 v32, v32, v12
	v_dual_add_f32 v29, v29, v13 :: v_dual_add_f32 v28, v28, v12
	;; [unrolled: 1-line block ×4, first 2 shown]
	v_min3_f32 v140, v16, v17, v84
	v_min3_f32 v155, v8, v9, v83
	;; [unrolled: 1-line block ×4, first 2 shown]
	v_dual_add_f32 v0, v35, v63 :: v_dual_add_f32 v1, v34, v62
	v_dual_add_f32 v4, v31, v63 :: v_dual_add_f32 v5, v30, v62
	;; [unrolled: 1-line block ×5, first 2 shown]
	v_min3_f32 v95, v49, v48, v95
	v_min3_f32 v90, v45, v44, v90
	;; [unrolled: 1-line block ×8, first 2 shown]
	v_dual_add_f32 v4, v11, v63 :: v_dual_add_f32 v5, v10, v62
	v_dual_add_f32 v8, v7, v63 :: v_dual_add_f32 v9, v6, v62
	;; [unrolled: 1-line block ×5, first 2 shown]
	v_min3_f32 v134, v162, v161, v134
	v_min3_f32 v94, v53, v52, v94
	;; [unrolled: 1-line block ×9, first 2 shown]
	v_dual_add_f32 v8, v27, v59 :: v_dual_add_f32 v9, v26, v58
	v_dual_add_f32 v12, v23, v59 :: v_dual_add_f32 v13, v22, v58
	;; [unrolled: 1-line block ×5, first 2 shown]
	v_min3_f32 v128, v160, v159, v128
	v_min3_f32 v93, v57, v56, v93
	;; [unrolled: 1-line block ×8, first 2 shown]
	v_dual_add_f32 v12, v3, v59 :: v_dual_add_f32 v13, v2, v58
	v_dual_add_f32 v16, v35, v55 :: v_dual_add_f32 v17, v34, v54
	;; [unrolled: 1-line block ×5, first 2 shown]
	v_min3_f32 v88, v32, v33, v88
	v_min3_f32 v58, v13, v12, v132
	;; [unrolled: 1-line block ×6, first 2 shown]
	v_dual_add_f32 v16, v19, v55 :: v_dual_add_f32 v17, v18, v54
	v_dual_add_f32 v20, v11, v55 :: v_dual_add_f32 v21, v10, v54
	;; [unrolled: 1-line block ×5, first 2 shown]
	v_min3_f32 v117, v158, v157, v117
	v_min3_f32 v89, v36, v37, v89
	;; [unrolled: 1-line block ×7, first 2 shown]
	v_dual_add_f32 v20, v31, v51 :: v_dual_add_f32 v21, v30, v50
	v_dual_add_f32 v24, v27, v51 :: v_dual_add_f32 v25, v26, v50
	;; [unrolled: 1-line block ×5, first 2 shown]
	v_min3_f32 v63, v21, v20, v120
	v_min3_f32 v77, v25, v24, v119
	;; [unrolled: 1-line block ×5, first 2 shown]
	v_dual_add_f32 v24, v7, v51 :: v_dual_add_f32 v25, v6, v50
	v_dual_add_f32 v28, v3, v51 :: v_dual_add_f32 v29, v2, v50
	;; [unrolled: 1-line block ×5, first 2 shown]
	v_min3_f32 v50, v25, v24, v115
	v_min3_f32 v51, v29, v28, v114
	;; [unrolled: 1-line block ×4, first 2 shown]
	v_dual_add_f32 v28, v23, v47 :: v_dual_add_f32 v29, v22, v46
	v_dual_add_f32 v32, v19, v47 :: v_dual_add_f32 v33, v18, v46
	;; [unrolled: 1-line block ×4, first 2 shown]
	v_min3_f32 v25, v81, v80, v111
	v_dual_add_f32 v81, v7, v47 :: v_dual_add_f32 v82, v6, v46
	v_min3_f32 v46, v29, v28, v110
	v_min3_f32 v47, v33, v32, v109
	;; [unrolled: 1-line block ×4, first 2 shown]
	v_dual_add_f32 v32, v35, v43 :: v_dual_add_f32 v33, v34, v42
	v_dual_add_f32 v36, v31, v43 :: v_dual_add_f32 v37, v30, v42
	v_dual_add_f32 v83, v27, v43 :: v_dual_add_f32 v84, v26, v42
	v_dual_add_f32 v85, v23, v43 :: v_dual_add_f32 v86, v22, v42
	v_dual_add_f32 v87, v19, v43 :: v_dual_add_f32 v106, v18, v42
	v_min3_f32 v28, v82, v81, v107
	v_min3_f32 v81, v33, v32, v105
	v_min3_f32 v82, v37, v36, v104
	v_min3_f32 v83, v84, v83, v103
	v_min3_f32 v32, v86, v85, v102
	v_min3_f32 v33, v106, v87, v101
	v_dual_add_f32 v36, v11, v43 :: v_dual_add_f32 v37, v10, v42
	v_dual_add_f32 v84, v7, v43 :: v_dual_add_f32 v85, v6, v42
	v_dual_add_f32 v86, v3, v43 :: v_dual_add_f32 v87, v2, v42
	v_dual_add_f32 v101, v35, v39 :: v_dual_add_f32 v102, v34, v38
	v_dual_add_f32 v103, v31, v39 :: v_dual_add_f32 v104, v30, v38
	v_min3_f32 v42, v37, v36, v100
	v_min3_f32 v43, v85, v84, v99
	;; [unrolled: 1-line block ×5, first 2 shown]
	v_dual_add_f32 v40, v27, v39 :: v_dual_add_f32 v41, v26, v38
	v_dual_add_f32 v102, v7, v39 :: v_dual_add_f32 v103, v6, v38
	;; [unrolled: 1-line block ×7, first 2 shown]
	v_min3_f32 v85, v41, v40, v95
	v_min3_f32 v41, v103, v102, v90
	v_add_f32_e32 v90, v27, v15
	v_min3_f32 v27, v34, v35, v88
	v_dual_add_f32 v11, v11, v15 :: v_dual_add_nc_u32 v34, 12, v154
	v_min3_f32 v86, v87, v86, v94
	v_min3_f32 v87, v99, v96, v93
	;; [unrolled: 1-line block ×3, first 2 shown]
	v_dual_add_f32 v39, v3, v39 :: v_dual_add_f32 v38, v2, v38
	v_add_f32_e32 v91, v26, v14
	v_dual_add_f32 v23, v23, v15 :: v_dual_add_f32 v18, v18, v14
	v_add_f32_e32 v93, v22, v14
	v_min3_f32 v30, v30, v31, v97
	v_dual_add_f32 v19, v19, v15 :: v_dual_add_f32 v10, v10, v14
	v_dual_add_f32 v7, v7, v15 :: v_dual_add_f32 v2, v2, v14
	v_add_f32_e32 v31, v6, v14
	v_add_f32_e32 v15, v3, v15
	v_cmp_gt_i32_e64 s5, s18, v34
	v_min3_f32 v26, v38, v39, v89
	v_min3_f32 v22, v91, v90, v98
	;; [unrolled: 1-line block ×7, first 2 shown]
	s_and_b32 s6, s5, s26
	s_delay_alu instid0(SALU_CYCLE_1)
	s_and_saveexec_b32 s5, s6
	s_cbranch_execz .LBB58_31
; %bb.51:                               ;   in Loop: Header=BB58_32 Depth=1
	flat_load_b32 v152, v[64:65]
	s_branch .LBB58_31
.LBB58_52:
	s_clause 0x2
	s_load_b64 s[2:3], s[0:1], 0x70
	s_load_b32 s18, s[0:1], 0x50
	s_load_b32 s9, s[0:1], 0x68
	ds_load_b128 v[32:35], v73 offset:4096
	ds_load_b128 v[28:31], v73 offset:4608
	;; [unrolled: 1-line block ×12, first 2 shown]
	v_add_nc_u32_e32 v130, s25, v71
	ds_load_b128 v[44:47], v74 offset:9728
	ds_load_b128 v[40:43], v74 offset:9856
	;; [unrolled: 1-line block ×4, first 2 shown]
	v_cndmask_b32_e64 v121, 0, 1, s7
	v_cmp_gt_i32_e64 s8, s17, v130
	s_waitcnt lgkmcnt(0)
	s_mul_i32 s0, s15, s3
	v_mad_i64_i32 v[64:65], null, v130, s18, 0
	v_mad_i64_i32 v[66:67], null, v130, s9, 0
	s_mul_hi_u32 s1, s15, s2
	s_mul_i32 s3, s24, s2
	s_add_i32 s1, s1, s0
	s_mul_i32 s0, s15, s2
	s_delay_alu instid0(VALU_DEP_2) | instskip(SKIP_1) | instid1(VALU_DEP_2)
	v_lshlrev_b64 v[68:69], 2, v[64:65]
	s_add_i32 s1, s1, s3
	v_lshlrev_b64 v[65:66], 2, v[66:67]
	v_add_nc_u32_e32 v64, s14, v70
	s_lshl_b64 s[0:1], s[0:1], 2
	s_delay_alu instid0(SALU_CYCLE_1)
	s_add_u32 s10, s10, s0
	v_add_co_u32 v145, vcc_lo, s12, v68
	v_add_co_ci_u32_e32 v146, vcc_lo, s13, v69, vcc_lo
	s_addc_u32 s11, s11, s1
	v_add_co_u32 v143, vcc_lo, s10, v65
	v_cmp_gt_i32_e64 s0, s16, v64
	v_add_co_ci_u32_e32 v144, vcc_lo, s11, v66, vcc_lo
	v_ashrrev_i32_e32 v65, 31, v64
	s_delay_alu instid0(VALU_DEP_3) | instskip(NEXT) | instid1(SALU_CYCLE_1)
	s_and_b32 s2, s0, s8
	s_and_saveexec_b32 s1, s2
	s_cbranch_execz .LBB58_57
; %bb.53:
	s_delay_alu instid0(VALU_DEP_1)
	v_lshlrev_b64 v[66:67], 2, v[64:65]
	s_and_not1_b32 vcc_lo, exec_lo, s7
	s_cbranch_vccnz .LBB58_55
; %bb.54:
	s_delay_alu instid0(VALU_DEP_1) | instskip(NEXT) | instid1(VALU_DEP_2)
	v_add_co_u32 v68, vcc_lo, v145, v66
	v_add_co_ci_u32_e32 v69, vcc_lo, v146, v67, vcc_lo
	flat_load_b32 v68, v[68:69]
	s_waitcnt vmcnt(0) lgkmcnt(0)
	v_mul_f32_e32 v68, s19, v68
	s_branch .LBB58_56
.LBB58_55:
	v_mov_b32_e32 v68, 0
.LBB58_56:
	v_dual_add_f32 v69, v33, v61 :: v_dual_add_f32 v70, v32, v60
	v_dual_add_f32 v71, v35, v63 :: v_dual_add_f32 v72, v34, v62
	v_add_co_u32 v66, vcc_lo, v143, v66
	s_delay_alu instid0(VALU_DEP_3) | instskip(SKIP_1) | instid1(VALU_DEP_4)
	v_min3_f32 v69, v70, v69, v142
	v_add_co_ci_u32_e32 v67, vcc_lo, v144, v67, vcc_lo
	v_min_f32_e32 v70, v72, v71
	s_delay_alu instid0(VALU_DEP_1)
	v_min3_f32 v68, v68, v70, v69
	global_store_b32 v[66:67], v68, off
.LBB58_57:
	s_or_b32 exec_lo, exec_lo, s1
	v_add_nc_u32_e32 v66, 32, v64
	s_delay_alu instid0(VALU_DEP_1) | instskip(SKIP_1) | instid1(VALU_DEP_2)
	v_cmp_gt_i32_e64 s1, s16, v66
	v_ashrrev_i32_e32 v67, 31, v66
	s_and_b32 s3, s1, s8
	s_delay_alu instid0(SALU_CYCLE_1)
	s_and_saveexec_b32 s2, s3
	s_cbranch_execz .LBB58_62
; %bb.58:
	v_cmp_ne_u32_e32 vcc_lo, 1, v121
	v_lshlrev_b64 v[68:69], 2, v[66:67]
	s_cbranch_vccnz .LBB58_60
; %bb.59:
	s_delay_alu instid0(VALU_DEP_1) | instskip(NEXT) | instid1(VALU_DEP_2)
	v_add_co_u32 v70, vcc_lo, v145, v68
	v_add_co_ci_u32_e32 v71, vcc_lo, v146, v69, vcc_lo
	flat_load_b32 v70, v[70:71]
	s_waitcnt vmcnt(0) lgkmcnt(0)
	v_mul_f32_e32 v70, s19, v70
	s_branch .LBB58_61
.LBB58_60:
	v_mov_b32_e32 v70, 0
.LBB58_61:
	v_dual_add_f32 v71, v29, v61 :: v_dual_add_f32 v72, v28, v60
	v_dual_add_f32 v73, v31, v63 :: v_dual_add_f32 v74, v30, v62
	s_delay_alu instid0(VALU_DEP_4) | instskip(NEXT) | instid1(VALU_DEP_3)
	v_add_co_u32 v68, vcc_lo, v143, v68
	v_min3_f32 v71, v72, v71, v141
	v_add_co_ci_u32_e32 v69, vcc_lo, v144, v69, vcc_lo
	s_delay_alu instid0(VALU_DEP_4) | instskip(NEXT) | instid1(VALU_DEP_1)
	v_min_f32_e32 v72, v74, v73
	v_min3_f32 v70, v70, v72, v71
	global_store_b32 v[68:69], v70, off
.LBB58_62:
	s_or_b32 exec_lo, exec_lo, s2
	v_add_nc_u32_e32 v68, 64, v64
	s_delay_alu instid0(VALU_DEP_1) | instskip(SKIP_1) | instid1(VALU_DEP_2)
	v_cmp_gt_i32_e64 s2, s16, v68
	v_ashrrev_i32_e32 v69, 31, v68
	s_and_b32 s4, s2, s8
	s_delay_alu instid0(SALU_CYCLE_1)
	s_and_saveexec_b32 s3, s4
	s_cbranch_execz .LBB58_67
; %bb.63:
	v_cmp_ne_u32_e32 vcc_lo, 1, v121
	v_lshlrev_b64 v[70:71], 2, v[68:69]
	s_cbranch_vccnz .LBB58_65
; %bb.64:
	s_delay_alu instid0(VALU_DEP_1) | instskip(NEXT) | instid1(VALU_DEP_2)
	v_add_co_u32 v72, vcc_lo, v145, v70
	v_add_co_ci_u32_e32 v73, vcc_lo, v146, v71, vcc_lo
	flat_load_b32 v72, v[72:73]
	s_waitcnt vmcnt(0) lgkmcnt(0)
	v_mul_f32_e32 v72, s19, v72
	s_branch .LBB58_66
.LBB58_65:
	v_mov_b32_e32 v72, 0
.LBB58_66:
	v_dual_add_f32 v73, v25, v61 :: v_dual_add_f32 v74, v24, v60
	v_dual_add_f32 v75, v27, v63 :: v_dual_add_f32 v76, v26, v62
	s_delay_alu instid0(VALU_DEP_4) | instskip(NEXT) | instid1(VALU_DEP_3)
	v_add_co_u32 v70, vcc_lo, v143, v70
	v_min3_f32 v73, v74, v73, v81
	v_add_co_ci_u32_e32 v71, vcc_lo, v144, v71, vcc_lo
	s_delay_alu instid0(VALU_DEP_4) | instskip(NEXT) | instid1(VALU_DEP_1)
	v_min_f32_e32 v74, v76, v75
	v_min3_f32 v72, v72, v74, v73
	global_store_b32 v[70:71], v72, off
.LBB58_67:
	s_or_b32 exec_lo, exec_lo, s3
	v_add_nc_u32_e32 v70, 0x60, v64
	s_delay_alu instid0(VALU_DEP_1) | instskip(SKIP_1) | instid1(VALU_DEP_2)
	v_cmp_gt_i32_e64 s3, s16, v70
	v_ashrrev_i32_e32 v71, 31, v70
	s_and_b32 s5, s3, s8
	s_delay_alu instid0(SALU_CYCLE_1)
	s_and_saveexec_b32 s4, s5
	s_cbranch_execz .LBB58_72
; %bb.68:
	v_cmp_ne_u32_e32 vcc_lo, 1, v121
	v_lshlrev_b64 v[72:73], 2, v[70:71]
	s_cbranch_vccnz .LBB58_70
; %bb.69:
	s_delay_alu instid0(VALU_DEP_1) | instskip(NEXT) | instid1(VALU_DEP_2)
	v_add_co_u32 v74, vcc_lo, v145, v72
	v_add_co_ci_u32_e32 v75, vcc_lo, v146, v73, vcc_lo
	flat_load_b32 v74, v[74:75]
	s_waitcnt vmcnt(0) lgkmcnt(0)
	v_mul_f32_e32 v74, s19, v74
	s_branch .LBB58_71
.LBB58_70:
	v_mov_b32_e32 v74, 0
.LBB58_71:
	v_dual_add_f32 v75, v21, v61 :: v_dual_add_f32 v76, v20, v60
	v_add_f32_e32 v81, v23, v63
	v_add_f32_e32 v141, v22, v62
	v_add_co_u32 v72, vcc_lo, v143, v72
	s_delay_alu instid0(VALU_DEP_4) | instskip(SKIP_1) | instid1(VALU_DEP_4)
	v_min3_f32 v75, v76, v75, v79
	v_add_co_ci_u32_e32 v73, vcc_lo, v144, v73, vcc_lo
	v_min_f32_e32 v76, v141, v81
	s_delay_alu instid0(VALU_DEP_1)
	v_min3_f32 v74, v74, v76, v75
	global_store_b32 v[72:73], v74, off
.LBB58_72:
	s_or_b32 exec_lo, exec_lo, s4
	v_add_nc_u32_e32 v72, 0x80, v64
	s_delay_alu instid0(VALU_DEP_1) | instskip(SKIP_1) | instid1(VALU_DEP_2)
	v_cmp_gt_i32_e64 s4, s16, v72
	v_ashrrev_i32_e32 v73, 31, v72
	s_and_b32 s6, s4, s8
	s_delay_alu instid0(SALU_CYCLE_1)
	s_and_saveexec_b32 s5, s6
	s_cbranch_execz .LBB58_77
; %bb.73:
	v_cmp_ne_u32_e32 vcc_lo, 1, v121
	v_lshlrev_b64 v[74:75], 2, v[72:73]
	s_cbranch_vccnz .LBB58_75
; %bb.74:
	s_delay_alu instid0(VALU_DEP_1) | instskip(NEXT) | instid1(VALU_DEP_2)
	v_add_co_u32 v141, vcc_lo, v145, v74
	v_add_co_ci_u32_e32 v142, vcc_lo, v146, v75, vcc_lo
	flat_load_b32 v76, v[141:142]
	s_waitcnt vmcnt(0) lgkmcnt(0)
	v_mul_f32_e32 v76, s19, v76
	s_branch .LBB58_76
.LBB58_75:
	v_mov_b32_e32 v76, 0
.LBB58_76:
	v_dual_add_f32 v79, v17, v61 :: v_dual_add_f32 v142, v18, v62
	v_add_f32_e32 v81, v16, v60
	v_add_f32_e32 v141, v19, v63
	v_add_co_u32 v74, vcc_lo, v143, v74
	v_add_co_ci_u32_e32 v75, vcc_lo, v144, v75, vcc_lo
	s_delay_alu instid0(VALU_DEP_4) | instskip(NEXT) | instid1(VALU_DEP_4)
	v_min3_f32 v77, v81, v79, v77
	v_min_f32_e32 v79, v142, v141
	s_delay_alu instid0(VALU_DEP_1)
	v_min3_f32 v76, v76, v79, v77
	global_store_b32 v[74:75], v76, off
.LBB58_77:
	s_or_b32 exec_lo, exec_lo, s5
	v_add_nc_u32_e32 v74, 0xa0, v64
	s_delay_alu instid0(VALU_DEP_1) | instskip(SKIP_1) | instid1(VALU_DEP_2)
	v_cmp_gt_i32_e64 s5, s16, v74
	v_ashrrev_i32_e32 v75, 31, v74
	s_and_b32 s7, s5, s8
	s_delay_alu instid0(SALU_CYCLE_1)
	s_and_saveexec_b32 s6, s7
	s_cbranch_execz .LBB58_82
; %bb.78:
	v_cmp_ne_u32_e32 vcc_lo, 1, v121
	v_lshlrev_b64 v[76:77], 2, v[74:75]
	s_cbranch_vccnz .LBB58_80
; %bb.79:
	s_delay_alu instid0(VALU_DEP_1) | instskip(NEXT) | instid1(VALU_DEP_2)
	v_add_co_u32 v141, vcc_lo, v145, v76
	v_add_co_ci_u32_e32 v142, vcc_lo, v146, v77, vcc_lo
	flat_load_b32 v79, v[141:142]
	s_waitcnt vmcnt(0) lgkmcnt(0)
	v_mul_f32_e32 v79, s19, v79
	s_branch .LBB58_81
.LBB58_80:
	v_mov_b32_e32 v79, 0
.LBB58_81:
	v_dual_add_f32 v81, v13, v61 :: v_dual_add_f32 v142, v15, v63
	v_add_f32_e32 v141, v12, v60
	v_add_f32_e32 v147, v14, v62
	v_add_co_u32 v76, vcc_lo, v143, v76
	v_add_co_ci_u32_e32 v77, vcc_lo, v144, v77, vcc_lo
	s_delay_alu instid0(VALU_DEP_4) | instskip(NEXT) | instid1(VALU_DEP_4)
	v_min3_f32 v78, v141, v81, v78
	v_min_f32_e32 v81, v147, v142
	s_delay_alu instid0(VALU_DEP_1)
	v_min3_f32 v78, v79, v81, v78
	global_store_b32 v[76:77], v78, off
.LBB58_82:
	s_or_b32 exec_lo, exec_lo, s6
	v_add_nc_u32_e32 v76, 0xc0, v64
	s_delay_alu instid0(VALU_DEP_1) | instskip(SKIP_1) | instid1(VALU_DEP_2)
	v_cmp_gt_i32_e64 s6, s16, v76
	v_ashrrev_i32_e32 v77, 31, v76
	s_and_b32 s14, s6, s8
	s_delay_alu instid0(SALU_CYCLE_1)
	s_and_saveexec_b32 s7, s14
	s_cbranch_execz .LBB58_87
; %bb.83:
	v_cmp_ne_u32_e32 vcc_lo, 1, v121
	v_lshlrev_b64 v[78:79], 2, v[76:77]
	s_cbranch_vccnz .LBB58_85
; %bb.84:
	s_delay_alu instid0(VALU_DEP_1) | instskip(NEXT) | instid1(VALU_DEP_2)
	v_add_co_u32 v141, vcc_lo, v145, v78
	v_add_co_ci_u32_e32 v142, vcc_lo, v146, v79, vcc_lo
	flat_load_b32 v81, v[141:142]
	s_waitcnt vmcnt(0) lgkmcnt(0)
	v_mul_f32_e32 v81, s19, v81
	s_branch .LBB58_86
.LBB58_85:
	v_mov_b32_e32 v81, 0
.LBB58_86:
	v_dual_add_f32 v141, v9, v61 :: v_dual_add_f32 v142, v8, v60
	v_dual_add_f32 v147, v11, v63 :: v_dual_add_f32 v148, v10, v62
	s_delay_alu instid0(VALU_DEP_4) | instskip(NEXT) | instid1(VALU_DEP_3)
	v_add_co_u32 v78, vcc_lo, v143, v78
	v_min3_f32 v80, v142, v141, v80
	v_add_co_ci_u32_e32 v79, vcc_lo, v144, v79, vcc_lo
	s_delay_alu instid0(VALU_DEP_4) | instskip(NEXT) | instid1(VALU_DEP_1)
	v_min_f32_e32 v141, v148, v147
	v_min3_f32 v80, v81, v141, v80
	global_store_b32 v[78:79], v80, off
.LBB58_87:
	s_or_b32 exec_lo, exec_lo, s7
	v_add_nc_u32_e32 v78, 0xe0, v64
	s_delay_alu instid0(VALU_DEP_1) | instskip(SKIP_1) | instid1(VALU_DEP_2)
	v_cmp_gt_i32_e64 s7, s16, v78
	v_ashrrev_i32_e32 v79, 31, v78
	s_and_b32 s14, s7, s8
	s_delay_alu instid0(SALU_CYCLE_1)
	s_and_saveexec_b32 s8, s14
	s_cbranch_execz .LBB58_92
; %bb.88:
	v_cmp_ne_u32_e32 vcc_lo, 1, v121
	v_lshlrev_b64 v[80:81], 2, v[78:79]
	s_cbranch_vccnz .LBB58_90
; %bb.89:
	s_delay_alu instid0(VALU_DEP_1) | instskip(NEXT) | instid1(VALU_DEP_2)
	v_add_co_u32 v141, vcc_lo, v145, v80
	v_add_co_ci_u32_e32 v142, vcc_lo, v146, v81, vcc_lo
	flat_load_b32 v141, v[141:142]
	s_waitcnt vmcnt(0) lgkmcnt(0)
	v_mul_f32_e32 v141, s19, v141
	s_branch .LBB58_91
.LBB58_90:
	v_mov_b32_e32 v141, 0
.LBB58_91:
	v_dual_add_f32 v61, v1, v61 :: v_dual_add_f32 v60, v0, v60
	v_dual_add_f32 v63, v3, v63 :: v_dual_add_f32 v62, v2, v62
	s_delay_alu instid0(VALU_DEP_2) | instskip(NEXT) | instid1(VALU_DEP_2)
	v_min3_f32 v60, v60, v61, v140
	v_min_f32_e32 v61, v62, v63
	s_delay_alu instid0(VALU_DEP_1)
	v_min3_f32 v62, v141, v61, v60
	v_add_co_u32 v60, vcc_lo, v143, v80
	v_add_co_ci_u32_e32 v61, vcc_lo, v144, v81, vcc_lo
	global_store_b32 v[60:61], v62, off
.LBB58_92:
	s_or_b32 exec_lo, exec_lo, s8
	v_add_nc_u32_e32 v80, 8, v130
	s_delay_alu instid0(VALU_DEP_1) | instskip(SKIP_2) | instid1(VALU_DEP_3)
	v_mad_i64_i32 v[60:61], null, v80, s18, 0
	v_mad_i64_i32 v[62:63], null, v80, s9, 0
	v_cmp_gt_i32_e64 s8, s17, v80
	v_lshlrev_b64 v[60:61], 2, v[60:61]
	s_delay_alu instid0(VALU_DEP_2) | instskip(NEXT) | instid1(VALU_DEP_3)
	s_and_b32 s15, s0, s8
	v_lshlrev_b64 v[62:63], 2, v[62:63]
	s_delay_alu instid0(VALU_DEP_2) | instskip(NEXT) | instid1(VALU_DEP_3)
	v_add_co_u32 v80, vcc_lo, s12, v60
	v_add_co_ci_u32_e32 v81, vcc_lo, s13, v61, vcc_lo
	s_delay_alu instid0(VALU_DEP_3) | instskip(NEXT) | instid1(VALU_DEP_4)
	v_add_co_u32 v62, vcc_lo, s10, v62
	v_add_co_ci_u32_e32 v63, vcc_lo, s11, v63, vcc_lo
	s_and_saveexec_b32 s14, s15
	s_cbranch_execnz .LBB58_100
; %bb.93:
	s_or_b32 exec_lo, exec_lo, s14
	s_and_b32 s15, s1, s8
	s_delay_alu instid0(SALU_CYCLE_1)
	s_and_saveexec_b32 s14, s15
	s_cbranch_execnz .LBB58_104
.LBB58_94:
	s_or_b32 exec_lo, exec_lo, s14
	s_and_b32 s15, s2, s8
	s_delay_alu instid0(SALU_CYCLE_1)
	s_and_saveexec_b32 s14, s15
	s_cbranch_execnz .LBB58_108
.LBB58_95:
	s_or_b32 exec_lo, exec_lo, s14
	s_and_b32 s15, s3, s8
	s_delay_alu instid0(SALU_CYCLE_1)
	s_and_saveexec_b32 s14, s15
	s_cbranch_execnz .LBB58_112
.LBB58_96:
	s_or_b32 exec_lo, exec_lo, s14
	s_and_b32 s15, s4, s8
	s_delay_alu instid0(SALU_CYCLE_1)
	s_and_saveexec_b32 s14, s15
	s_cbranch_execnz .LBB58_116
.LBB58_97:
	s_or_b32 exec_lo, exec_lo, s14
	s_and_b32 s15, s5, s8
	s_delay_alu instid0(SALU_CYCLE_1)
	s_and_saveexec_b32 s14, s15
	s_cbranch_execnz .LBB58_120
.LBB58_98:
	s_or_b32 exec_lo, exec_lo, s14
	s_and_b32 s15, s6, s8
	s_delay_alu instid0(SALU_CYCLE_1)
	s_and_saveexec_b32 s14, s15
	s_cbranch_execnz .LBB58_124
.LBB58_99:
	s_or_b32 exec_lo, exec_lo, s14
	s_and_b32 s14, s7, s8
	s_delay_alu instid0(SALU_CYCLE_1)
	s_and_saveexec_b32 s8, s14
	s_cbranch_execnz .LBB58_128
	s_branch .LBB58_132
.LBB58_100:
	v_cmp_ne_u32_e32 vcc_lo, 1, v121
	v_lshlrev_b64 v[60:61], 2, v[64:65]
	s_cbranch_vccnz .LBB58_102
; %bb.101:
	s_delay_alu instid0(VALU_DEP_1) | instskip(NEXT) | instid1(VALU_DEP_2)
	v_add_co_u32 v140, vcc_lo, v80, v60
	v_add_co_ci_u32_e32 v141, vcc_lo, v81, v61, vcc_lo
	flat_load_b32 v140, v[140:141]
	s_waitcnt vmcnt(0) lgkmcnt(0)
	v_mul_f32_e32 v140, s19, v140
	s_branch .LBB58_103
.LBB58_102:
	v_mov_b32_e32 v140, 0
.LBB58_103:
	v_dual_add_f32 v141, v33, v57 :: v_dual_add_f32 v142, v32, v56
	v_dual_add_f32 v143, v35, v59 :: v_dual_add_f32 v144, v34, v58
	s_delay_alu instid0(VALU_DEP_4) | instskip(NEXT) | instid1(VALU_DEP_3)
	v_add_co_u32 v60, vcc_lo, v62, v60
	v_min3_f32 v139, v142, v141, v139
	v_add_co_ci_u32_e32 v61, vcc_lo, v63, v61, vcc_lo
	s_delay_alu instid0(VALU_DEP_4) | instskip(NEXT) | instid1(VALU_DEP_1)
	v_min_f32_e32 v141, v144, v143
	v_min3_f32 v139, v140, v141, v139
	global_store_b32 v[60:61], v139, off
	s_or_b32 exec_lo, exec_lo, s14
	s_and_b32 s15, s1, s8
	s_delay_alu instid0(SALU_CYCLE_1)
	s_and_saveexec_b32 s14, s15
	s_cbranch_execz .LBB58_94
.LBB58_104:
	v_cmp_ne_u32_e32 vcc_lo, 1, v121
	v_lshlrev_b64 v[60:61], 2, v[66:67]
	s_cbranch_vccnz .LBB58_106
; %bb.105:
	s_delay_alu instid0(VALU_DEP_1) | instskip(NEXT) | instid1(VALU_DEP_2)
	v_add_co_u32 v139, vcc_lo, v80, v60
	v_add_co_ci_u32_e32 v140, vcc_lo, v81, v61, vcc_lo
	flat_load_b32 v139, v[139:140]
	s_waitcnt vmcnt(0) lgkmcnt(0)
	v_mul_f32_e32 v139, s19, v139
	s_branch .LBB58_107
.LBB58_106:
	v_mov_b32_e32 v139, 0
.LBB58_107:
	v_dual_add_f32 v140, v29, v57 :: v_dual_add_f32 v141, v28, v56
	v_dual_add_f32 v142, v31, v59 :: v_dual_add_f32 v143, v30, v58
	s_delay_alu instid0(VALU_DEP_4) | instskip(NEXT) | instid1(VALU_DEP_3)
	v_add_co_u32 v60, vcc_lo, v62, v60
	v_min3_f32 v138, v141, v140, v138
	v_add_co_ci_u32_e32 v61, vcc_lo, v63, v61, vcc_lo
	s_delay_alu instid0(VALU_DEP_4) | instskip(NEXT) | instid1(VALU_DEP_1)
	v_min_f32_e32 v140, v143, v142
	v_min3_f32 v138, v139, v140, v138
	global_store_b32 v[60:61], v138, off
	s_or_b32 exec_lo, exec_lo, s14
	s_and_b32 s15, s2, s8
	s_delay_alu instid0(SALU_CYCLE_1)
	s_and_saveexec_b32 s14, s15
	s_cbranch_execz .LBB58_95
.LBB58_108:
	v_cmp_ne_u32_e32 vcc_lo, 1, v121
	v_lshlrev_b64 v[60:61], 2, v[68:69]
	s_cbranch_vccnz .LBB58_110
; %bb.109:
	s_delay_alu instid0(VALU_DEP_1) | instskip(NEXT) | instid1(VALU_DEP_2)
	v_add_co_u32 v138, vcc_lo, v80, v60
	v_add_co_ci_u32_e32 v139, vcc_lo, v81, v61, vcc_lo
	flat_load_b32 v138, v[138:139]
	s_waitcnt vmcnt(0) lgkmcnt(0)
	v_mul_f32_e32 v138, s19, v138
	s_branch .LBB58_111
.LBB58_110:
	v_mov_b32_e32 v138, 0
.LBB58_111:
	v_dual_add_f32 v139, v25, v57 :: v_dual_add_f32 v140, v24, v56
	v_dual_add_f32 v141, v27, v59 :: v_dual_add_f32 v142, v26, v58
	s_delay_alu instid0(VALU_DEP_4) | instskip(NEXT) | instid1(VALU_DEP_3)
	v_add_co_u32 v60, vcc_lo, v62, v60
	v_min3_f32 v137, v140, v139, v137
	v_add_co_ci_u32_e32 v61, vcc_lo, v63, v61, vcc_lo
	s_delay_alu instid0(VALU_DEP_4) | instskip(NEXT) | instid1(VALU_DEP_1)
	v_min_f32_e32 v139, v142, v141
	v_min3_f32 v137, v138, v139, v137
	global_store_b32 v[60:61], v137, off
	s_or_b32 exec_lo, exec_lo, s14
	s_and_b32 s15, s3, s8
	s_delay_alu instid0(SALU_CYCLE_1)
	s_and_saveexec_b32 s14, s15
	s_cbranch_execz .LBB58_96
.LBB58_112:
	v_cmp_ne_u32_e32 vcc_lo, 1, v121
	v_lshlrev_b64 v[60:61], 2, v[70:71]
	s_cbranch_vccnz .LBB58_114
; %bb.113:
	s_delay_alu instid0(VALU_DEP_1) | instskip(NEXT) | instid1(VALU_DEP_2)
	v_add_co_u32 v137, vcc_lo, v80, v60
	v_add_co_ci_u32_e32 v138, vcc_lo, v81, v61, vcc_lo
	flat_load_b32 v137, v[137:138]
	s_waitcnt vmcnt(0) lgkmcnt(0)
	v_mul_f32_e32 v137, s19, v137
	s_branch .LBB58_115
.LBB58_114:
	v_mov_b32_e32 v137, 0
.LBB58_115:
	v_dual_add_f32 v138, v21, v57 :: v_dual_add_f32 v139, v20, v56
	v_dual_add_f32 v140, v23, v59 :: v_dual_add_f32 v141, v22, v58
	s_delay_alu instid0(VALU_DEP_4) | instskip(NEXT) | instid1(VALU_DEP_3)
	v_add_co_u32 v60, vcc_lo, v62, v60
	v_min3_f32 v136, v139, v138, v136
	v_add_co_ci_u32_e32 v61, vcc_lo, v63, v61, vcc_lo
	s_delay_alu instid0(VALU_DEP_4) | instskip(NEXT) | instid1(VALU_DEP_1)
	v_min_f32_e32 v138, v141, v140
	v_min3_f32 v136, v137, v138, v136
	global_store_b32 v[60:61], v136, off
	s_or_b32 exec_lo, exec_lo, s14
	s_and_b32 s15, s4, s8
	s_delay_alu instid0(SALU_CYCLE_1)
	s_and_saveexec_b32 s14, s15
	s_cbranch_execz .LBB58_97
.LBB58_116:
	v_cmp_ne_u32_e32 vcc_lo, 1, v121
	v_lshlrev_b64 v[60:61], 2, v[72:73]
	s_cbranch_vccnz .LBB58_118
; %bb.117:
	s_delay_alu instid0(VALU_DEP_1) | instskip(NEXT) | instid1(VALU_DEP_2)
	v_add_co_u32 v136, vcc_lo, v80, v60
	v_add_co_ci_u32_e32 v137, vcc_lo, v81, v61, vcc_lo
	flat_load_b32 v136, v[136:137]
	s_waitcnt vmcnt(0) lgkmcnt(0)
	v_mul_f32_e32 v136, s19, v136
	s_branch .LBB58_119
.LBB58_118:
	v_mov_b32_e32 v136, 0
.LBB58_119:
	v_dual_add_f32 v137, v17, v57 :: v_dual_add_f32 v138, v16, v56
	v_dual_add_f32 v139, v19, v59 :: v_dual_add_f32 v140, v18, v58
	s_delay_alu instid0(VALU_DEP_4) | instskip(NEXT) | instid1(VALU_DEP_3)
	v_add_co_u32 v60, vcc_lo, v62, v60
	v_min3_f32 v135, v138, v137, v135
	v_add_co_ci_u32_e32 v61, vcc_lo, v63, v61, vcc_lo
	s_delay_alu instid0(VALU_DEP_4) | instskip(NEXT) | instid1(VALU_DEP_1)
	v_min_f32_e32 v137, v140, v139
	v_min3_f32 v135, v136, v137, v135
	global_store_b32 v[60:61], v135, off
	s_or_b32 exec_lo, exec_lo, s14
	s_and_b32 s15, s5, s8
	s_delay_alu instid0(SALU_CYCLE_1)
	s_and_saveexec_b32 s14, s15
	s_cbranch_execz .LBB58_98
.LBB58_120:
	v_cmp_ne_u32_e32 vcc_lo, 1, v121
	v_lshlrev_b64 v[60:61], 2, v[74:75]
	s_cbranch_vccnz .LBB58_122
; %bb.121:
	s_delay_alu instid0(VALU_DEP_1) | instskip(NEXT) | instid1(VALU_DEP_2)
	v_add_co_u32 v135, vcc_lo, v80, v60
	v_add_co_ci_u32_e32 v136, vcc_lo, v81, v61, vcc_lo
	flat_load_b32 v135, v[135:136]
	s_waitcnt vmcnt(0) lgkmcnt(0)
	v_mul_f32_e32 v135, s19, v135
	s_branch .LBB58_123
.LBB58_122:
	v_mov_b32_e32 v135, 0
.LBB58_123:
	v_dual_add_f32 v136, v13, v57 :: v_dual_add_f32 v137, v12, v56
	v_dual_add_f32 v138, v15, v59 :: v_dual_add_f32 v139, v14, v58
	s_delay_alu instid0(VALU_DEP_4) | instskip(NEXT) | instid1(VALU_DEP_3)
	v_add_co_u32 v60, vcc_lo, v62, v60
	v_min3_f32 v134, v137, v136, v134
	v_add_co_ci_u32_e32 v61, vcc_lo, v63, v61, vcc_lo
	s_delay_alu instid0(VALU_DEP_4) | instskip(NEXT) | instid1(VALU_DEP_1)
	v_min_f32_e32 v136, v139, v138
	v_min3_f32 v134, v135, v136, v134
	global_store_b32 v[60:61], v134, off
	s_or_b32 exec_lo, exec_lo, s14
	s_and_b32 s15, s6, s8
	s_delay_alu instid0(SALU_CYCLE_1)
	s_and_saveexec_b32 s14, s15
	s_cbranch_execz .LBB58_99
.LBB58_124:
	v_cmp_ne_u32_e32 vcc_lo, 1, v121
	v_lshlrev_b64 v[60:61], 2, v[76:77]
	s_cbranch_vccnz .LBB58_126
; %bb.125:
	s_delay_alu instid0(VALU_DEP_1) | instskip(NEXT) | instid1(VALU_DEP_2)
	v_add_co_u32 v134, vcc_lo, v80, v60
	v_add_co_ci_u32_e32 v135, vcc_lo, v81, v61, vcc_lo
	flat_load_b32 v134, v[134:135]
	s_waitcnt vmcnt(0) lgkmcnt(0)
	v_mul_f32_e32 v134, s19, v134
	s_branch .LBB58_127
.LBB58_126:
	v_mov_b32_e32 v134, 0
.LBB58_127:
	v_dual_add_f32 v135, v9, v57 :: v_dual_add_f32 v136, v8, v56
	v_dual_add_f32 v137, v11, v59 :: v_dual_add_f32 v138, v10, v58
	s_delay_alu instid0(VALU_DEP_4) | instskip(NEXT) | instid1(VALU_DEP_3)
	v_add_co_u32 v60, vcc_lo, v62, v60
	v_min3_f32 v133, v136, v135, v133
	v_add_co_ci_u32_e32 v61, vcc_lo, v63, v61, vcc_lo
	s_delay_alu instid0(VALU_DEP_4) | instskip(NEXT) | instid1(VALU_DEP_1)
	v_min_f32_e32 v135, v138, v137
	v_min3_f32 v133, v134, v135, v133
	global_store_b32 v[60:61], v133, off
	s_or_b32 exec_lo, exec_lo, s14
	s_and_b32 s14, s7, s8
	s_delay_alu instid0(SALU_CYCLE_1)
	s_and_saveexec_b32 s8, s14
	s_cbranch_execz .LBB58_132
.LBB58_128:
	v_cmp_ne_u32_e32 vcc_lo, 1, v121
	v_lshlrev_b64 v[60:61], 2, v[78:79]
	s_cbranch_vccnz .LBB58_130
; %bb.129:
	s_delay_alu instid0(VALU_DEP_1) | instskip(NEXT) | instid1(VALU_DEP_2)
	v_add_co_u32 v80, vcc_lo, v80, v60
	v_add_co_ci_u32_e32 v81, vcc_lo, v81, v61, vcc_lo
	flat_load_b32 v80, v[80:81]
	s_waitcnt vmcnt(0) lgkmcnt(0)
	v_mul_f32_e32 v80, s19, v80
	s_branch .LBB58_131
.LBB58_130:
	v_mov_b32_e32 v80, 0
.LBB58_131:
	v_dual_add_f32 v57, v1, v57 :: v_dual_add_f32 v56, v0, v56
	v_dual_add_f32 v59, v3, v59 :: v_dual_add_f32 v58, v2, v58
	s_delay_alu instid0(VALU_DEP_2) | instskip(NEXT) | instid1(VALU_DEP_2)
	v_min3_f32 v56, v56, v57, v132
	v_min_f32_e32 v57, v58, v59
	s_delay_alu instid0(VALU_DEP_1)
	v_min3_f32 v58, v80, v57, v56
	v_add_co_u32 v56, vcc_lo, v62, v60
	v_add_co_ci_u32_e32 v57, vcc_lo, v63, v61, vcc_lo
	global_store_b32 v[56:57], v58, off
.LBB58_132:
	s_or_b32 exec_lo, exec_lo, s8
	v_add_nc_u32_e32 v60, 16, v130
	s_delay_alu instid0(VALU_DEP_1) | instskip(SKIP_2) | instid1(VALU_DEP_3)
	v_mad_i64_i32 v[56:57], null, v60, s18, 0
	v_mad_i64_i32 v[58:59], null, v60, s9, 0
	v_cmp_gt_i32_e64 s8, s17, v60
	v_lshlrev_b64 v[56:57], 2, v[56:57]
	s_delay_alu instid0(VALU_DEP_2) | instskip(NEXT) | instid1(VALU_DEP_3)
	s_and_b32 s15, s0, s8
	v_lshlrev_b64 v[58:59], 2, v[58:59]
	s_delay_alu instid0(VALU_DEP_2) | instskip(NEXT) | instid1(VALU_DEP_3)
	v_add_co_u32 v60, vcc_lo, s12, v56
	v_add_co_ci_u32_e32 v61, vcc_lo, s13, v57, vcc_lo
	s_delay_alu instid0(VALU_DEP_3) | instskip(NEXT) | instid1(VALU_DEP_4)
	v_add_co_u32 v58, vcc_lo, s10, v58
	v_add_co_ci_u32_e32 v59, vcc_lo, s11, v59, vcc_lo
	s_and_saveexec_b32 s14, s15
	s_cbranch_execnz .LBB58_140
; %bb.133:
	s_or_b32 exec_lo, exec_lo, s14
	s_and_b32 s15, s1, s8
	s_delay_alu instid0(SALU_CYCLE_1)
	s_and_saveexec_b32 s14, s15
	s_cbranch_execnz .LBB58_144
.LBB58_134:
	s_or_b32 exec_lo, exec_lo, s14
	s_and_b32 s15, s2, s8
	s_delay_alu instid0(SALU_CYCLE_1)
	s_and_saveexec_b32 s14, s15
	s_cbranch_execnz .LBB58_148
.LBB58_135:
	s_or_b32 exec_lo, exec_lo, s14
	s_and_b32 s15, s3, s8
	s_delay_alu instid0(SALU_CYCLE_1)
	s_and_saveexec_b32 s14, s15
	s_cbranch_execnz .LBB58_152
.LBB58_136:
	s_or_b32 exec_lo, exec_lo, s14
	s_and_b32 s15, s4, s8
	s_delay_alu instid0(SALU_CYCLE_1)
	s_and_saveexec_b32 s14, s15
	s_cbranch_execnz .LBB58_156
.LBB58_137:
	s_or_b32 exec_lo, exec_lo, s14
	s_and_b32 s15, s5, s8
	s_delay_alu instid0(SALU_CYCLE_1)
	s_and_saveexec_b32 s14, s15
	s_cbranch_execnz .LBB58_160
.LBB58_138:
	s_or_b32 exec_lo, exec_lo, s14
	s_and_b32 s15, s6, s8
	s_delay_alu instid0(SALU_CYCLE_1)
	s_and_saveexec_b32 s14, s15
	s_cbranch_execnz .LBB58_164
.LBB58_139:
	s_or_b32 exec_lo, exec_lo, s14
	s_and_b32 s14, s7, s8
	s_delay_alu instid0(SALU_CYCLE_1)
	s_and_saveexec_b32 s8, s14
	s_cbranch_execnz .LBB58_168
	s_branch .LBB58_172
.LBB58_140:
	v_cmp_ne_u32_e32 vcc_lo, 1, v121
	v_lshlrev_b64 v[56:57], 2, v[64:65]
	s_cbranch_vccnz .LBB58_142
; %bb.141:
	s_delay_alu instid0(VALU_DEP_1) | instskip(NEXT) | instid1(VALU_DEP_2)
	v_add_co_u32 v62, vcc_lo, v60, v56
	v_add_co_ci_u32_e32 v63, vcc_lo, v61, v57, vcc_lo
	flat_load_b32 v62, v[62:63]
	s_waitcnt vmcnt(0) lgkmcnt(0)
	v_mul_f32_e32 v62, s19, v62
	s_branch .LBB58_143
.LBB58_142:
	v_mov_b32_e32 v62, 0
.LBB58_143:
	v_dual_add_f32 v63, v33, v53 :: v_dual_add_f32 v80, v32, v52
	v_dual_add_f32 v81, v35, v55 :: v_dual_add_f32 v132, v34, v54
	s_delay_alu instid0(VALU_DEP_4) | instskip(NEXT) | instid1(VALU_DEP_3)
	v_add_co_u32 v56, vcc_lo, v58, v56
	v_min3_f32 v63, v80, v63, v131
	v_add_co_ci_u32_e32 v57, vcc_lo, v59, v57, vcc_lo
	s_delay_alu instid0(VALU_DEP_4) | instskip(NEXT) | instid1(VALU_DEP_1)
	v_min_f32_e32 v80, v132, v81
	v_min3_f32 v62, v62, v80, v63
	global_store_b32 v[56:57], v62, off
	s_or_b32 exec_lo, exec_lo, s14
	s_and_b32 s15, s1, s8
	s_delay_alu instid0(SALU_CYCLE_1)
	s_and_saveexec_b32 s14, s15
	s_cbranch_execz .LBB58_134
.LBB58_144:
	v_cmp_ne_u32_e32 vcc_lo, 1, v121
	v_lshlrev_b64 v[56:57], 2, v[66:67]
	s_cbranch_vccnz .LBB58_146
; %bb.145:
	s_delay_alu instid0(VALU_DEP_1) | instskip(NEXT) | instid1(VALU_DEP_2)
	v_add_co_u32 v62, vcc_lo, v60, v56
	v_add_co_ci_u32_e32 v63, vcc_lo, v61, v57, vcc_lo
	flat_load_b32 v62, v[62:63]
	s_waitcnt vmcnt(0) lgkmcnt(0)
	v_mul_f32_e32 v62, s19, v62
	s_branch .LBB58_147
.LBB58_146:
	v_mov_b32_e32 v62, 0
.LBB58_147:
	v_dual_add_f32 v63, v29, v53 :: v_dual_add_f32 v80, v28, v52
	v_add_f32_e32 v81, v31, v55
	v_add_f32_e32 v131, v30, v54
	v_add_co_u32 v56, vcc_lo, v58, v56
	s_delay_alu instid0(VALU_DEP_4) | instskip(SKIP_1) | instid1(VALU_DEP_4)
	v_min3_f32 v63, v80, v63, v129
	v_add_co_ci_u32_e32 v57, vcc_lo, v59, v57, vcc_lo
	v_min_f32_e32 v80, v131, v81
	s_delay_alu instid0(VALU_DEP_1) | instskip(SKIP_3) | instid1(SALU_CYCLE_1)
	v_min3_f32 v62, v62, v80, v63
	global_store_b32 v[56:57], v62, off
	s_or_b32 exec_lo, exec_lo, s14
	s_and_b32 s15, s2, s8
	s_and_saveexec_b32 s14, s15
	s_cbranch_execz .LBB58_135
.LBB58_148:
	v_cmp_ne_u32_e32 vcc_lo, 1, v121
	v_lshlrev_b64 v[56:57], 2, v[68:69]
	s_cbranch_vccnz .LBB58_150
; %bb.149:
	s_delay_alu instid0(VALU_DEP_1) | instskip(NEXT) | instid1(VALU_DEP_2)
	v_add_co_u32 v62, vcc_lo, v60, v56
	v_add_co_ci_u32_e32 v63, vcc_lo, v61, v57, vcc_lo
	flat_load_b32 v62, v[62:63]
	s_waitcnt vmcnt(0) lgkmcnt(0)
	v_mul_f32_e32 v62, s19, v62
	s_branch .LBB58_151
.LBB58_150:
	v_mov_b32_e32 v62, 0
.LBB58_151:
	v_dual_add_f32 v63, v25, v53 :: v_dual_add_f32 v80, v24, v52
	v_add_f32_e32 v81, v27, v55
	v_add_f32_e32 v129, v26, v54
	v_add_co_u32 v56, vcc_lo, v58, v56
	s_delay_alu instid0(VALU_DEP_4) | instskip(SKIP_1) | instid1(VALU_DEP_4)
	v_min3_f32 v63, v80, v63, v128
	v_add_co_ci_u32_e32 v57, vcc_lo, v59, v57, vcc_lo
	v_min_f32_e32 v80, v129, v81
	s_delay_alu instid0(VALU_DEP_1) | instskip(SKIP_3) | instid1(SALU_CYCLE_1)
	v_min3_f32 v62, v62, v80, v63
	global_store_b32 v[56:57], v62, off
	s_or_b32 exec_lo, exec_lo, s14
	s_and_b32 s15, s3, s8
	s_and_saveexec_b32 s14, s15
	s_cbranch_execz .LBB58_136
.LBB58_152:
	v_cmp_ne_u32_e32 vcc_lo, 1, v121
	v_lshlrev_b64 v[56:57], 2, v[70:71]
	s_cbranch_vccnz .LBB58_154
; %bb.153:
	s_delay_alu instid0(VALU_DEP_1) | instskip(NEXT) | instid1(VALU_DEP_2)
	v_add_co_u32 v62, vcc_lo, v60, v56
	v_add_co_ci_u32_e32 v63, vcc_lo, v61, v57, vcc_lo
	flat_load_b32 v62, v[62:63]
	s_waitcnt vmcnt(0) lgkmcnt(0)
	v_mul_f32_e32 v62, s19, v62
	s_branch .LBB58_155
.LBB58_154:
	v_mov_b32_e32 v62, 0
.LBB58_155:
	v_dual_add_f32 v63, v21, v53 :: v_dual_add_f32 v80, v20, v52
	v_dual_add_f32 v81, v23, v55 :: v_dual_add_f32 v128, v22, v54
	s_delay_alu instid0(VALU_DEP_4) | instskip(NEXT) | instid1(VALU_DEP_3)
	v_add_co_u32 v56, vcc_lo, v58, v56
	v_min3_f32 v63, v80, v63, v127
	v_add_co_ci_u32_e32 v57, vcc_lo, v59, v57, vcc_lo
	s_delay_alu instid0(VALU_DEP_4) | instskip(NEXT) | instid1(VALU_DEP_1)
	v_min_f32_e32 v80, v128, v81
	v_min3_f32 v62, v62, v80, v63
	global_store_b32 v[56:57], v62, off
	s_or_b32 exec_lo, exec_lo, s14
	s_and_b32 s15, s4, s8
	s_delay_alu instid0(SALU_CYCLE_1)
	s_and_saveexec_b32 s14, s15
	s_cbranch_execz .LBB58_137
.LBB58_156:
	v_cmp_ne_u32_e32 vcc_lo, 1, v121
	v_lshlrev_b64 v[56:57], 2, v[72:73]
	s_cbranch_vccnz .LBB58_158
; %bb.157:
	s_delay_alu instid0(VALU_DEP_1) | instskip(NEXT) | instid1(VALU_DEP_2)
	v_add_co_u32 v62, vcc_lo, v60, v56
	v_add_co_ci_u32_e32 v63, vcc_lo, v61, v57, vcc_lo
	flat_load_b32 v62, v[62:63]
	s_waitcnt vmcnt(0) lgkmcnt(0)
	v_mul_f32_e32 v62, s19, v62
	s_branch .LBB58_159
.LBB58_158:
	v_mov_b32_e32 v62, 0
.LBB58_159:
	v_dual_add_f32 v63, v17, v53 :: v_dual_add_f32 v80, v16, v52
	v_add_f32_e32 v81, v19, v55
	v_add_f32_e32 v127, v18, v54
	v_add_co_u32 v56, vcc_lo, v58, v56
	s_delay_alu instid0(VALU_DEP_4) | instskip(SKIP_1) | instid1(VALU_DEP_4)
	v_min3_f32 v63, v80, v63, v126
	v_add_co_ci_u32_e32 v57, vcc_lo, v59, v57, vcc_lo
	v_min_f32_e32 v80, v127, v81
	s_delay_alu instid0(VALU_DEP_1) | instskip(SKIP_3) | instid1(SALU_CYCLE_1)
	v_min3_f32 v62, v62, v80, v63
	global_store_b32 v[56:57], v62, off
	s_or_b32 exec_lo, exec_lo, s14
	s_and_b32 s15, s5, s8
	s_and_saveexec_b32 s14, s15
	s_cbranch_execz .LBB58_138
.LBB58_160:
	v_cmp_ne_u32_e32 vcc_lo, 1, v121
	v_lshlrev_b64 v[56:57], 2, v[74:75]
	s_cbranch_vccnz .LBB58_162
; %bb.161:
	s_delay_alu instid0(VALU_DEP_1) | instskip(NEXT) | instid1(VALU_DEP_2)
	v_add_co_u32 v62, vcc_lo, v60, v56
	v_add_co_ci_u32_e32 v63, vcc_lo, v61, v57, vcc_lo
	flat_load_b32 v62, v[62:63]
	s_waitcnt vmcnt(0) lgkmcnt(0)
	v_mul_f32_e32 v62, s19, v62
	s_branch .LBB58_163
.LBB58_162:
	v_mov_b32_e32 v62, 0
.LBB58_163:
	v_dual_add_f32 v63, v13, v53 :: v_dual_add_f32 v80, v12, v52
	v_dual_add_f32 v81, v15, v55 :: v_dual_add_f32 v126, v14, v54
	s_delay_alu instid0(VALU_DEP_4) | instskip(NEXT) | instid1(VALU_DEP_3)
	v_add_co_u32 v56, vcc_lo, v58, v56
	v_min3_f32 v63, v80, v63, v125
	v_add_co_ci_u32_e32 v57, vcc_lo, v59, v57, vcc_lo
	s_delay_alu instid0(VALU_DEP_4) | instskip(NEXT) | instid1(VALU_DEP_1)
	v_min_f32_e32 v80, v126, v81
	v_min3_f32 v62, v62, v80, v63
	global_store_b32 v[56:57], v62, off
	s_or_b32 exec_lo, exec_lo, s14
	s_and_b32 s15, s6, s8
	s_delay_alu instid0(SALU_CYCLE_1)
	s_and_saveexec_b32 s14, s15
	s_cbranch_execz .LBB58_139
.LBB58_164:
	v_cmp_ne_u32_e32 vcc_lo, 1, v121
	v_lshlrev_b64 v[56:57], 2, v[76:77]
	s_cbranch_vccnz .LBB58_166
; %bb.165:
	s_delay_alu instid0(VALU_DEP_1) | instskip(NEXT) | instid1(VALU_DEP_2)
	v_add_co_u32 v62, vcc_lo, v60, v56
	v_add_co_ci_u32_e32 v63, vcc_lo, v61, v57, vcc_lo
	flat_load_b32 v62, v[62:63]
	s_waitcnt vmcnt(0) lgkmcnt(0)
	v_mul_f32_e32 v62, s19, v62
	s_branch .LBB58_167
.LBB58_166:
	v_mov_b32_e32 v62, 0
.LBB58_167:
	v_dual_add_f32 v63, v9, v53 :: v_dual_add_f32 v80, v8, v52
	v_add_f32_e32 v81, v11, v55
	v_add_f32_e32 v125, v10, v54
	v_add_co_u32 v56, vcc_lo, v58, v56
	s_delay_alu instid0(VALU_DEP_4) | instskip(SKIP_1) | instid1(VALU_DEP_4)
	v_min3_f32 v63, v80, v63, v124
	v_add_co_ci_u32_e32 v57, vcc_lo, v59, v57, vcc_lo
	v_min_f32_e32 v80, v125, v81
	s_delay_alu instid0(VALU_DEP_1) | instskip(SKIP_3) | instid1(SALU_CYCLE_1)
	v_min3_f32 v62, v62, v80, v63
	global_store_b32 v[56:57], v62, off
	s_or_b32 exec_lo, exec_lo, s14
	s_and_b32 s14, s7, s8
	s_and_saveexec_b32 s8, s14
	s_cbranch_execz .LBB58_172
.LBB58_168:
	v_cmp_ne_u32_e32 vcc_lo, 1, v121
	v_lshlrev_b64 v[56:57], 2, v[78:79]
	s_cbranch_vccnz .LBB58_170
; %bb.169:
	s_delay_alu instid0(VALU_DEP_1) | instskip(NEXT) | instid1(VALU_DEP_2)
	v_add_co_u32 v60, vcc_lo, v60, v56
	v_add_co_ci_u32_e32 v61, vcc_lo, v61, v57, vcc_lo
	flat_load_b32 v60, v[60:61]
	s_waitcnt vmcnt(0) lgkmcnt(0)
	v_mul_f32_e32 v60, s19, v60
	s_branch .LBB58_171
.LBB58_170:
	v_mov_b32_e32 v60, 0
.LBB58_171:
	v_dual_add_f32 v53, v1, v53 :: v_dual_add_f32 v52, v0, v52
	v_dual_add_f32 v55, v3, v55 :: v_dual_add_f32 v54, v2, v54
	s_delay_alu instid0(VALU_DEP_2) | instskip(NEXT) | instid1(VALU_DEP_2)
	v_min3_f32 v52, v52, v53, v123
	v_min_f32_e32 v53, v54, v55
	s_delay_alu instid0(VALU_DEP_1)
	v_min3_f32 v54, v60, v53, v52
	v_add_co_u32 v52, vcc_lo, v58, v56
	v_add_co_ci_u32_e32 v53, vcc_lo, v59, v57, vcc_lo
	global_store_b32 v[52:53], v54, off
.LBB58_172:
	s_or_b32 exec_lo, exec_lo, s8
	v_add_nc_u32_e32 v56, 24, v130
	s_delay_alu instid0(VALU_DEP_1) | instskip(SKIP_2) | instid1(VALU_DEP_3)
	v_mad_i64_i32 v[52:53], null, v56, s18, 0
	v_mad_i64_i32 v[54:55], null, v56, s9, 0
	v_cmp_gt_i32_e64 s8, s17, v56
	v_lshlrev_b64 v[52:53], 2, v[52:53]
	s_delay_alu instid0(VALU_DEP_2) | instskip(NEXT) | instid1(VALU_DEP_3)
	s_and_b32 s15, s0, s8
	v_lshlrev_b64 v[54:55], 2, v[54:55]
	s_delay_alu instid0(VALU_DEP_2) | instskip(NEXT) | instid1(VALU_DEP_3)
	v_add_co_u32 v56, vcc_lo, s12, v52
	v_add_co_ci_u32_e32 v57, vcc_lo, s13, v53, vcc_lo
	s_delay_alu instid0(VALU_DEP_3) | instskip(NEXT) | instid1(VALU_DEP_4)
	v_add_co_u32 v54, vcc_lo, s10, v54
	v_add_co_ci_u32_e32 v55, vcc_lo, s11, v55, vcc_lo
	s_and_saveexec_b32 s14, s15
	s_cbranch_execnz .LBB58_180
; %bb.173:
	s_or_b32 exec_lo, exec_lo, s14
	s_and_b32 s15, s1, s8
	s_delay_alu instid0(SALU_CYCLE_1)
	s_and_saveexec_b32 s14, s15
	s_cbranch_execnz .LBB58_184
.LBB58_174:
	s_or_b32 exec_lo, exec_lo, s14
	s_and_b32 s15, s2, s8
	s_delay_alu instid0(SALU_CYCLE_1)
	s_and_saveexec_b32 s14, s15
	s_cbranch_execnz .LBB58_188
.LBB58_175:
	s_or_b32 exec_lo, exec_lo, s14
	s_and_b32 s15, s3, s8
	s_delay_alu instid0(SALU_CYCLE_1)
	s_and_saveexec_b32 s14, s15
	s_cbranch_execnz .LBB58_192
.LBB58_176:
	s_or_b32 exec_lo, exec_lo, s14
	s_and_b32 s15, s4, s8
	s_delay_alu instid0(SALU_CYCLE_1)
	s_and_saveexec_b32 s14, s15
	s_cbranch_execnz .LBB58_196
.LBB58_177:
	s_or_b32 exec_lo, exec_lo, s14
	s_and_b32 s15, s5, s8
	s_delay_alu instid0(SALU_CYCLE_1)
	s_and_saveexec_b32 s14, s15
	s_cbranch_execnz .LBB58_200
.LBB58_178:
	s_or_b32 exec_lo, exec_lo, s14
	s_and_b32 s15, s6, s8
	s_delay_alu instid0(SALU_CYCLE_1)
	s_and_saveexec_b32 s14, s15
	s_cbranch_execnz .LBB58_204
.LBB58_179:
	s_or_b32 exec_lo, exec_lo, s14
	s_and_b32 s14, s7, s8
	s_delay_alu instid0(SALU_CYCLE_1)
	s_and_saveexec_b32 s8, s14
	s_cbranch_execnz .LBB58_208
	s_branch .LBB58_212
.LBB58_180:
	v_cmp_ne_u32_e32 vcc_lo, 1, v121
	v_lshlrev_b64 v[52:53], 2, v[64:65]
	s_cbranch_vccnz .LBB58_182
; %bb.181:
	s_delay_alu instid0(VALU_DEP_1) | instskip(NEXT) | instid1(VALU_DEP_2)
	v_add_co_u32 v58, vcc_lo, v56, v52
	v_add_co_ci_u32_e32 v59, vcc_lo, v57, v53, vcc_lo
	flat_load_b32 v58, v[58:59]
	s_waitcnt vmcnt(0) lgkmcnt(0)
	v_mul_f32_e32 v58, s19, v58
	s_branch .LBB58_183
.LBB58_182:
	v_mov_b32_e32 v58, 0
.LBB58_183:
	v_dual_add_f32 v59, v33, v49 :: v_dual_add_f32 v60, v32, v48
	v_dual_add_f32 v61, v35, v51 :: v_dual_add_f32 v62, v34, v50
	s_delay_alu instid0(VALU_DEP_4) | instskip(NEXT) | instid1(VALU_DEP_3)
	v_add_co_u32 v52, vcc_lo, v54, v52
	v_min3_f32 v59, v60, v59, v122
	v_add_co_ci_u32_e32 v53, vcc_lo, v55, v53, vcc_lo
	s_delay_alu instid0(VALU_DEP_4) | instskip(NEXT) | instid1(VALU_DEP_1)
	v_min_f32_e32 v60, v62, v61
	v_min3_f32 v58, v58, v60, v59
	global_store_b32 v[52:53], v58, off
	s_or_b32 exec_lo, exec_lo, s14
	s_and_b32 s15, s1, s8
	s_delay_alu instid0(SALU_CYCLE_1)
	s_and_saveexec_b32 s14, s15
	s_cbranch_execz .LBB58_174
.LBB58_184:
	v_cmp_ne_u32_e32 vcc_lo, 1, v121
	v_lshlrev_b64 v[52:53], 2, v[66:67]
	s_cbranch_vccnz .LBB58_186
; %bb.185:
	s_delay_alu instid0(VALU_DEP_1) | instskip(NEXT) | instid1(VALU_DEP_2)
	v_add_co_u32 v58, vcc_lo, v56, v52
	v_add_co_ci_u32_e32 v59, vcc_lo, v57, v53, vcc_lo
	flat_load_b32 v58, v[58:59]
	s_waitcnt vmcnt(0) lgkmcnt(0)
	v_mul_f32_e32 v58, s19, v58
	s_branch .LBB58_187
.LBB58_186:
	v_mov_b32_e32 v58, 0
.LBB58_187:
	v_dual_add_f32 v59, v29, v49 :: v_dual_add_f32 v60, v28, v48
	v_dual_add_f32 v61, v31, v51 :: v_dual_add_f32 v62, v30, v50
	s_delay_alu instid0(VALU_DEP_4) | instskip(NEXT) | instid1(VALU_DEP_3)
	v_add_co_u32 v52, vcc_lo, v54, v52
	v_min3_f32 v59, v60, v59, v120
	v_add_co_ci_u32_e32 v53, vcc_lo, v55, v53, vcc_lo
	s_delay_alu instid0(VALU_DEP_4) | instskip(NEXT) | instid1(VALU_DEP_1)
	v_min_f32_e32 v60, v62, v61
	v_min3_f32 v58, v58, v60, v59
	global_store_b32 v[52:53], v58, off
	s_or_b32 exec_lo, exec_lo, s14
	s_and_b32 s15, s2, s8
	s_delay_alu instid0(SALU_CYCLE_1)
	s_and_saveexec_b32 s14, s15
	s_cbranch_execz .LBB58_175
.LBB58_188:
	v_cmp_ne_u32_e32 vcc_lo, 1, v121
	v_lshlrev_b64 v[52:53], 2, v[68:69]
	s_cbranch_vccnz .LBB58_190
; %bb.189:
	s_delay_alu instid0(VALU_DEP_1) | instskip(NEXT) | instid1(VALU_DEP_2)
	v_add_co_u32 v58, vcc_lo, v56, v52
	v_add_co_ci_u32_e32 v59, vcc_lo, v57, v53, vcc_lo
	flat_load_b32 v58, v[58:59]
	s_waitcnt vmcnt(0) lgkmcnt(0)
	v_mul_f32_e32 v58, s19, v58
	s_branch .LBB58_191
.LBB58_190:
	v_mov_b32_e32 v58, 0
.LBB58_191:
	v_dual_add_f32 v59, v25, v49 :: v_dual_add_f32 v60, v24, v48
	v_dual_add_f32 v61, v27, v51 :: v_dual_add_f32 v62, v26, v50
	s_delay_alu instid0(VALU_DEP_4) | instskip(NEXT) | instid1(VALU_DEP_3)
	v_add_co_u32 v52, vcc_lo, v54, v52
	v_min3_f32 v59, v60, v59, v119
	v_add_co_ci_u32_e32 v53, vcc_lo, v55, v53, vcc_lo
	s_delay_alu instid0(VALU_DEP_4) | instskip(NEXT) | instid1(VALU_DEP_1)
	v_min_f32_e32 v60, v62, v61
	v_min3_f32 v58, v58, v60, v59
	global_store_b32 v[52:53], v58, off
	s_or_b32 exec_lo, exec_lo, s14
	s_and_b32 s15, s3, s8
	s_delay_alu instid0(SALU_CYCLE_1)
	s_and_saveexec_b32 s14, s15
	s_cbranch_execz .LBB58_176
.LBB58_192:
	v_cmp_ne_u32_e32 vcc_lo, 1, v121
	v_lshlrev_b64 v[52:53], 2, v[70:71]
	s_cbranch_vccnz .LBB58_194
; %bb.193:
	s_delay_alu instid0(VALU_DEP_1) | instskip(NEXT) | instid1(VALU_DEP_2)
	v_add_co_u32 v58, vcc_lo, v56, v52
	v_add_co_ci_u32_e32 v59, vcc_lo, v57, v53, vcc_lo
	flat_load_b32 v58, v[58:59]
	s_waitcnt vmcnt(0) lgkmcnt(0)
	v_mul_f32_e32 v58, s19, v58
	s_branch .LBB58_195
.LBB58_194:
	v_mov_b32_e32 v58, 0
.LBB58_195:
	v_dual_add_f32 v59, v21, v49 :: v_dual_add_f32 v60, v20, v48
	v_dual_add_f32 v61, v23, v51 :: v_dual_add_f32 v62, v22, v50
	s_delay_alu instid0(VALU_DEP_4) | instskip(NEXT) | instid1(VALU_DEP_3)
	v_add_co_u32 v52, vcc_lo, v54, v52
	v_min3_f32 v59, v60, v59, v118
	v_add_co_ci_u32_e32 v53, vcc_lo, v55, v53, vcc_lo
	s_delay_alu instid0(VALU_DEP_4) | instskip(NEXT) | instid1(VALU_DEP_1)
	v_min_f32_e32 v60, v62, v61
	v_min3_f32 v58, v58, v60, v59
	global_store_b32 v[52:53], v58, off
	s_or_b32 exec_lo, exec_lo, s14
	s_and_b32 s15, s4, s8
	s_delay_alu instid0(SALU_CYCLE_1)
	s_and_saveexec_b32 s14, s15
	s_cbranch_execz .LBB58_177
.LBB58_196:
	v_cmp_ne_u32_e32 vcc_lo, 1, v121
	v_lshlrev_b64 v[52:53], 2, v[72:73]
	s_cbranch_vccnz .LBB58_198
; %bb.197:
	s_delay_alu instid0(VALU_DEP_1) | instskip(NEXT) | instid1(VALU_DEP_2)
	v_add_co_u32 v58, vcc_lo, v56, v52
	v_add_co_ci_u32_e32 v59, vcc_lo, v57, v53, vcc_lo
	flat_load_b32 v58, v[58:59]
	s_waitcnt vmcnt(0) lgkmcnt(0)
	v_mul_f32_e32 v58, s19, v58
	s_branch .LBB58_199
.LBB58_198:
	v_mov_b32_e32 v58, 0
.LBB58_199:
	v_dual_add_f32 v59, v17, v49 :: v_dual_add_f32 v60, v16, v48
	v_dual_add_f32 v61, v19, v51 :: v_dual_add_f32 v62, v18, v50
	s_delay_alu instid0(VALU_DEP_4) | instskip(NEXT) | instid1(VALU_DEP_3)
	v_add_co_u32 v52, vcc_lo, v54, v52
	v_min3_f32 v59, v60, v59, v117
	v_add_co_ci_u32_e32 v53, vcc_lo, v55, v53, vcc_lo
	s_delay_alu instid0(VALU_DEP_4) | instskip(NEXT) | instid1(VALU_DEP_1)
	v_min_f32_e32 v60, v62, v61
	v_min3_f32 v58, v58, v60, v59
	global_store_b32 v[52:53], v58, off
	s_or_b32 exec_lo, exec_lo, s14
	s_and_b32 s15, s5, s8
	s_delay_alu instid0(SALU_CYCLE_1)
	s_and_saveexec_b32 s14, s15
	s_cbranch_execz .LBB58_178
.LBB58_200:
	v_cmp_ne_u32_e32 vcc_lo, 1, v121
	v_lshlrev_b64 v[52:53], 2, v[74:75]
	s_cbranch_vccnz .LBB58_202
; %bb.201:
	s_delay_alu instid0(VALU_DEP_1) | instskip(NEXT) | instid1(VALU_DEP_2)
	v_add_co_u32 v58, vcc_lo, v56, v52
	v_add_co_ci_u32_e32 v59, vcc_lo, v57, v53, vcc_lo
	flat_load_b32 v58, v[58:59]
	s_waitcnt vmcnt(0) lgkmcnt(0)
	v_mul_f32_e32 v58, s19, v58
	s_branch .LBB58_203
.LBB58_202:
	v_mov_b32_e32 v58, 0
.LBB58_203:
	v_dual_add_f32 v59, v13, v49 :: v_dual_add_f32 v60, v12, v48
	v_dual_add_f32 v61, v15, v51 :: v_dual_add_f32 v62, v14, v50
	s_delay_alu instid0(VALU_DEP_4) | instskip(NEXT) | instid1(VALU_DEP_3)
	v_add_co_u32 v52, vcc_lo, v54, v52
	v_min3_f32 v59, v60, v59, v116
	v_add_co_ci_u32_e32 v53, vcc_lo, v55, v53, vcc_lo
	s_delay_alu instid0(VALU_DEP_4) | instskip(NEXT) | instid1(VALU_DEP_1)
	v_min_f32_e32 v60, v62, v61
	v_min3_f32 v58, v58, v60, v59
	global_store_b32 v[52:53], v58, off
	s_or_b32 exec_lo, exec_lo, s14
	s_and_b32 s15, s6, s8
	s_delay_alu instid0(SALU_CYCLE_1)
	s_and_saveexec_b32 s14, s15
	s_cbranch_execz .LBB58_179
.LBB58_204:
	v_cmp_ne_u32_e32 vcc_lo, 1, v121
	v_lshlrev_b64 v[52:53], 2, v[76:77]
	s_cbranch_vccnz .LBB58_206
; %bb.205:
	s_delay_alu instid0(VALU_DEP_1) | instskip(NEXT) | instid1(VALU_DEP_2)
	v_add_co_u32 v58, vcc_lo, v56, v52
	v_add_co_ci_u32_e32 v59, vcc_lo, v57, v53, vcc_lo
	flat_load_b32 v58, v[58:59]
	s_waitcnt vmcnt(0) lgkmcnt(0)
	v_mul_f32_e32 v58, s19, v58
	s_branch .LBB58_207
.LBB58_206:
	v_mov_b32_e32 v58, 0
.LBB58_207:
	v_dual_add_f32 v59, v9, v49 :: v_dual_add_f32 v60, v8, v48
	v_dual_add_f32 v61, v11, v51 :: v_dual_add_f32 v62, v10, v50
	s_delay_alu instid0(VALU_DEP_4) | instskip(NEXT) | instid1(VALU_DEP_3)
	v_add_co_u32 v52, vcc_lo, v54, v52
	v_min3_f32 v59, v60, v59, v115
	v_add_co_ci_u32_e32 v53, vcc_lo, v55, v53, vcc_lo
	s_delay_alu instid0(VALU_DEP_4) | instskip(NEXT) | instid1(VALU_DEP_1)
	v_min_f32_e32 v60, v62, v61
	v_min3_f32 v58, v58, v60, v59
	global_store_b32 v[52:53], v58, off
	s_or_b32 exec_lo, exec_lo, s14
	s_and_b32 s14, s7, s8
	s_delay_alu instid0(SALU_CYCLE_1)
	s_and_saveexec_b32 s8, s14
	s_cbranch_execz .LBB58_212
.LBB58_208:
	v_cmp_ne_u32_e32 vcc_lo, 1, v121
	v_lshlrev_b64 v[52:53], 2, v[78:79]
	s_cbranch_vccnz .LBB58_210
; %bb.209:
	s_delay_alu instid0(VALU_DEP_1) | instskip(NEXT) | instid1(VALU_DEP_2)
	v_add_co_u32 v56, vcc_lo, v56, v52
	v_add_co_ci_u32_e32 v57, vcc_lo, v57, v53, vcc_lo
	flat_load_b32 v56, v[56:57]
	s_waitcnt vmcnt(0) lgkmcnt(0)
	v_mul_f32_e32 v56, s19, v56
	s_branch .LBB58_211
.LBB58_210:
	v_mov_b32_e32 v56, 0
.LBB58_211:
	v_dual_add_f32 v49, v1, v49 :: v_dual_add_f32 v48, v0, v48
	v_dual_add_f32 v51, v3, v51 :: v_dual_add_f32 v50, v2, v50
	s_delay_alu instid0(VALU_DEP_2) | instskip(NEXT) | instid1(VALU_DEP_2)
	v_min3_f32 v48, v48, v49, v114
	v_min_f32_e32 v49, v50, v51
	s_delay_alu instid0(VALU_DEP_1)
	v_min3_f32 v50, v56, v49, v48
	v_add_co_u32 v48, vcc_lo, v54, v52
	v_add_co_ci_u32_e32 v49, vcc_lo, v55, v53, vcc_lo
	global_store_b32 v[48:49], v50, off
.LBB58_212:
	s_or_b32 exec_lo, exec_lo, s8
	v_add_nc_u32_e32 v52, 32, v130
	s_delay_alu instid0(VALU_DEP_1) | instskip(SKIP_2) | instid1(VALU_DEP_3)
	v_mad_i64_i32 v[48:49], null, v52, s18, 0
	v_mad_i64_i32 v[50:51], null, v52, s9, 0
	v_cmp_gt_i32_e64 s8, s17, v52
	v_lshlrev_b64 v[48:49], 2, v[48:49]
	s_delay_alu instid0(VALU_DEP_2) | instskip(NEXT) | instid1(VALU_DEP_3)
	s_and_b32 s15, s0, s8
	v_lshlrev_b64 v[50:51], 2, v[50:51]
	s_delay_alu instid0(VALU_DEP_2) | instskip(NEXT) | instid1(VALU_DEP_3)
	v_add_co_u32 v52, vcc_lo, s12, v48
	v_add_co_ci_u32_e32 v53, vcc_lo, s13, v49, vcc_lo
	s_delay_alu instid0(VALU_DEP_3) | instskip(NEXT) | instid1(VALU_DEP_4)
	v_add_co_u32 v50, vcc_lo, s10, v50
	v_add_co_ci_u32_e32 v51, vcc_lo, s11, v51, vcc_lo
	s_and_saveexec_b32 s14, s15
	s_cbranch_execnz .LBB58_220
; %bb.213:
	s_or_b32 exec_lo, exec_lo, s14
	s_and_b32 s15, s1, s8
	s_delay_alu instid0(SALU_CYCLE_1)
	s_and_saveexec_b32 s14, s15
	s_cbranch_execnz .LBB58_224
.LBB58_214:
	s_or_b32 exec_lo, exec_lo, s14
	s_and_b32 s15, s2, s8
	s_delay_alu instid0(SALU_CYCLE_1)
	s_and_saveexec_b32 s14, s15
	s_cbranch_execnz .LBB58_228
.LBB58_215:
	s_or_b32 exec_lo, exec_lo, s14
	s_and_b32 s15, s3, s8
	s_delay_alu instid0(SALU_CYCLE_1)
	s_and_saveexec_b32 s14, s15
	s_cbranch_execnz .LBB58_232
.LBB58_216:
	s_or_b32 exec_lo, exec_lo, s14
	s_and_b32 s15, s4, s8
	s_delay_alu instid0(SALU_CYCLE_1)
	s_and_saveexec_b32 s14, s15
	s_cbranch_execnz .LBB58_236
.LBB58_217:
	s_or_b32 exec_lo, exec_lo, s14
	s_and_b32 s15, s5, s8
	s_delay_alu instid0(SALU_CYCLE_1)
	s_and_saveexec_b32 s14, s15
	s_cbranch_execnz .LBB58_240
.LBB58_218:
	s_or_b32 exec_lo, exec_lo, s14
	s_and_b32 s15, s6, s8
	s_delay_alu instid0(SALU_CYCLE_1)
	s_and_saveexec_b32 s14, s15
	s_cbranch_execnz .LBB58_244
.LBB58_219:
	s_or_b32 exec_lo, exec_lo, s14
	s_and_b32 s14, s7, s8
	s_delay_alu instid0(SALU_CYCLE_1)
	s_and_saveexec_b32 s8, s14
	s_cbranch_execnz .LBB58_248
	s_branch .LBB58_252
.LBB58_220:
	v_cmp_ne_u32_e32 vcc_lo, 1, v121
	v_lshlrev_b64 v[48:49], 2, v[64:65]
	s_cbranch_vccnz .LBB58_222
; %bb.221:
	s_delay_alu instid0(VALU_DEP_1) | instskip(NEXT) | instid1(VALU_DEP_2)
	v_add_co_u32 v54, vcc_lo, v52, v48
	v_add_co_ci_u32_e32 v55, vcc_lo, v53, v49, vcc_lo
	flat_load_b32 v54, v[54:55]
	s_waitcnt vmcnt(0) lgkmcnt(0)
	v_mul_f32_e32 v54, s19, v54
	s_branch .LBB58_223
.LBB58_222:
	v_mov_b32_e32 v54, 0
.LBB58_223:
	v_dual_add_f32 v55, v33, v45 :: v_dual_add_f32 v56, v32, v44
	v_dual_add_f32 v57, v35, v47 :: v_dual_add_f32 v58, v34, v46
	s_delay_alu instid0(VALU_DEP_4) | instskip(NEXT) | instid1(VALU_DEP_3)
	v_add_co_u32 v48, vcc_lo, v50, v48
	v_min3_f32 v55, v56, v55, v113
	v_add_co_ci_u32_e32 v49, vcc_lo, v51, v49, vcc_lo
	s_delay_alu instid0(VALU_DEP_4) | instskip(NEXT) | instid1(VALU_DEP_1)
	v_min_f32_e32 v56, v58, v57
	v_min3_f32 v54, v54, v56, v55
	global_store_b32 v[48:49], v54, off
	s_or_b32 exec_lo, exec_lo, s14
	s_and_b32 s15, s1, s8
	s_delay_alu instid0(SALU_CYCLE_1)
	s_and_saveexec_b32 s14, s15
	s_cbranch_execz .LBB58_214
.LBB58_224:
	v_cmp_ne_u32_e32 vcc_lo, 1, v121
	v_lshlrev_b64 v[48:49], 2, v[66:67]
	s_cbranch_vccnz .LBB58_226
; %bb.225:
	s_delay_alu instid0(VALU_DEP_1) | instskip(NEXT) | instid1(VALU_DEP_2)
	v_add_co_u32 v54, vcc_lo, v52, v48
	v_add_co_ci_u32_e32 v55, vcc_lo, v53, v49, vcc_lo
	flat_load_b32 v54, v[54:55]
	s_waitcnt vmcnt(0) lgkmcnt(0)
	v_mul_f32_e32 v54, s19, v54
	s_branch .LBB58_227
.LBB58_226:
	v_mov_b32_e32 v54, 0
.LBB58_227:
	v_dual_add_f32 v55, v29, v45 :: v_dual_add_f32 v56, v28, v44
	v_dual_add_f32 v57, v31, v47 :: v_dual_add_f32 v58, v30, v46
	s_delay_alu instid0(VALU_DEP_4) | instskip(NEXT) | instid1(VALU_DEP_3)
	v_add_co_u32 v48, vcc_lo, v50, v48
	v_min3_f32 v55, v56, v55, v112
	v_add_co_ci_u32_e32 v49, vcc_lo, v51, v49, vcc_lo
	s_delay_alu instid0(VALU_DEP_4) | instskip(NEXT) | instid1(VALU_DEP_1)
	v_min_f32_e32 v56, v58, v57
	v_min3_f32 v54, v54, v56, v55
	global_store_b32 v[48:49], v54, off
	s_or_b32 exec_lo, exec_lo, s14
	s_and_b32 s15, s2, s8
	s_delay_alu instid0(SALU_CYCLE_1)
	s_and_saveexec_b32 s14, s15
	s_cbranch_execz .LBB58_215
.LBB58_228:
	v_cmp_ne_u32_e32 vcc_lo, 1, v121
	v_lshlrev_b64 v[48:49], 2, v[68:69]
	s_cbranch_vccnz .LBB58_230
; %bb.229:
	s_delay_alu instid0(VALU_DEP_1) | instskip(NEXT) | instid1(VALU_DEP_2)
	v_add_co_u32 v54, vcc_lo, v52, v48
	v_add_co_ci_u32_e32 v55, vcc_lo, v53, v49, vcc_lo
	flat_load_b32 v54, v[54:55]
	s_waitcnt vmcnt(0) lgkmcnt(0)
	v_mul_f32_e32 v54, s19, v54
	s_branch .LBB58_231
.LBB58_230:
	v_mov_b32_e32 v54, 0
.LBB58_231:
	v_dual_add_f32 v55, v25, v45 :: v_dual_add_f32 v56, v24, v44
	v_dual_add_f32 v57, v27, v47 :: v_dual_add_f32 v58, v26, v46
	s_delay_alu instid0(VALU_DEP_4) | instskip(NEXT) | instid1(VALU_DEP_3)
	v_add_co_u32 v48, vcc_lo, v50, v48
	v_min3_f32 v55, v56, v55, v111
	v_add_co_ci_u32_e32 v49, vcc_lo, v51, v49, vcc_lo
	s_delay_alu instid0(VALU_DEP_4) | instskip(NEXT) | instid1(VALU_DEP_1)
	v_min_f32_e32 v56, v58, v57
	v_min3_f32 v54, v54, v56, v55
	global_store_b32 v[48:49], v54, off
	s_or_b32 exec_lo, exec_lo, s14
	s_and_b32 s15, s3, s8
	s_delay_alu instid0(SALU_CYCLE_1)
	s_and_saveexec_b32 s14, s15
	s_cbranch_execz .LBB58_216
.LBB58_232:
	v_cmp_ne_u32_e32 vcc_lo, 1, v121
	v_lshlrev_b64 v[48:49], 2, v[70:71]
	s_cbranch_vccnz .LBB58_234
; %bb.233:
	s_delay_alu instid0(VALU_DEP_1) | instskip(NEXT) | instid1(VALU_DEP_2)
	v_add_co_u32 v54, vcc_lo, v52, v48
	v_add_co_ci_u32_e32 v55, vcc_lo, v53, v49, vcc_lo
	flat_load_b32 v54, v[54:55]
	s_waitcnt vmcnt(0) lgkmcnt(0)
	v_mul_f32_e32 v54, s19, v54
	s_branch .LBB58_235
.LBB58_234:
	v_mov_b32_e32 v54, 0
.LBB58_235:
	v_dual_add_f32 v55, v21, v45 :: v_dual_add_f32 v56, v20, v44
	v_dual_add_f32 v57, v23, v47 :: v_dual_add_f32 v58, v22, v46
	s_delay_alu instid0(VALU_DEP_4) | instskip(NEXT) | instid1(VALU_DEP_3)
	v_add_co_u32 v48, vcc_lo, v50, v48
	v_min3_f32 v55, v56, v55, v110
	v_add_co_ci_u32_e32 v49, vcc_lo, v51, v49, vcc_lo
	s_delay_alu instid0(VALU_DEP_4) | instskip(NEXT) | instid1(VALU_DEP_1)
	v_min_f32_e32 v56, v58, v57
	v_min3_f32 v54, v54, v56, v55
	global_store_b32 v[48:49], v54, off
	s_or_b32 exec_lo, exec_lo, s14
	s_and_b32 s15, s4, s8
	s_delay_alu instid0(SALU_CYCLE_1)
	s_and_saveexec_b32 s14, s15
	s_cbranch_execz .LBB58_217
.LBB58_236:
	v_cmp_ne_u32_e32 vcc_lo, 1, v121
	v_lshlrev_b64 v[48:49], 2, v[72:73]
	s_cbranch_vccnz .LBB58_238
; %bb.237:
	s_delay_alu instid0(VALU_DEP_1) | instskip(NEXT) | instid1(VALU_DEP_2)
	v_add_co_u32 v54, vcc_lo, v52, v48
	v_add_co_ci_u32_e32 v55, vcc_lo, v53, v49, vcc_lo
	flat_load_b32 v54, v[54:55]
	s_waitcnt vmcnt(0) lgkmcnt(0)
	v_mul_f32_e32 v54, s19, v54
	s_branch .LBB58_239
.LBB58_238:
	v_mov_b32_e32 v54, 0
.LBB58_239:
	v_dual_add_f32 v55, v17, v45 :: v_dual_add_f32 v56, v16, v44
	v_dual_add_f32 v57, v19, v47 :: v_dual_add_f32 v58, v18, v46
	s_delay_alu instid0(VALU_DEP_4) | instskip(NEXT) | instid1(VALU_DEP_3)
	v_add_co_u32 v48, vcc_lo, v50, v48
	v_min3_f32 v55, v56, v55, v109
	v_add_co_ci_u32_e32 v49, vcc_lo, v51, v49, vcc_lo
	s_delay_alu instid0(VALU_DEP_4) | instskip(NEXT) | instid1(VALU_DEP_1)
	v_min_f32_e32 v56, v58, v57
	v_min3_f32 v54, v54, v56, v55
	global_store_b32 v[48:49], v54, off
	s_or_b32 exec_lo, exec_lo, s14
	s_and_b32 s15, s5, s8
	s_delay_alu instid0(SALU_CYCLE_1)
	s_and_saveexec_b32 s14, s15
	s_cbranch_execz .LBB58_218
.LBB58_240:
	v_cmp_ne_u32_e32 vcc_lo, 1, v121
	v_lshlrev_b64 v[48:49], 2, v[74:75]
	s_cbranch_vccnz .LBB58_242
; %bb.241:
	s_delay_alu instid0(VALU_DEP_1) | instskip(NEXT) | instid1(VALU_DEP_2)
	v_add_co_u32 v54, vcc_lo, v52, v48
	v_add_co_ci_u32_e32 v55, vcc_lo, v53, v49, vcc_lo
	flat_load_b32 v54, v[54:55]
	s_waitcnt vmcnt(0) lgkmcnt(0)
	v_mul_f32_e32 v54, s19, v54
	s_branch .LBB58_243
.LBB58_242:
	v_mov_b32_e32 v54, 0
.LBB58_243:
	v_dual_add_f32 v55, v13, v45 :: v_dual_add_f32 v56, v12, v44
	v_dual_add_f32 v57, v15, v47 :: v_dual_add_f32 v58, v14, v46
	s_delay_alu instid0(VALU_DEP_4) | instskip(NEXT) | instid1(VALU_DEP_3)
	v_add_co_u32 v48, vcc_lo, v50, v48
	v_min3_f32 v55, v56, v55, v108
	v_add_co_ci_u32_e32 v49, vcc_lo, v51, v49, vcc_lo
	s_delay_alu instid0(VALU_DEP_4) | instskip(NEXT) | instid1(VALU_DEP_1)
	v_min_f32_e32 v56, v58, v57
	v_min3_f32 v54, v54, v56, v55
	global_store_b32 v[48:49], v54, off
	s_or_b32 exec_lo, exec_lo, s14
	s_and_b32 s15, s6, s8
	s_delay_alu instid0(SALU_CYCLE_1)
	s_and_saveexec_b32 s14, s15
	s_cbranch_execz .LBB58_219
.LBB58_244:
	v_cmp_ne_u32_e32 vcc_lo, 1, v121
	v_lshlrev_b64 v[48:49], 2, v[76:77]
	s_cbranch_vccnz .LBB58_246
; %bb.245:
	s_delay_alu instid0(VALU_DEP_1) | instskip(NEXT) | instid1(VALU_DEP_2)
	v_add_co_u32 v54, vcc_lo, v52, v48
	v_add_co_ci_u32_e32 v55, vcc_lo, v53, v49, vcc_lo
	flat_load_b32 v54, v[54:55]
	s_waitcnt vmcnt(0) lgkmcnt(0)
	v_mul_f32_e32 v54, s19, v54
	s_branch .LBB58_247
.LBB58_246:
	v_mov_b32_e32 v54, 0
.LBB58_247:
	v_dual_add_f32 v55, v9, v45 :: v_dual_add_f32 v56, v8, v44
	v_dual_add_f32 v57, v11, v47 :: v_dual_add_f32 v58, v10, v46
	s_delay_alu instid0(VALU_DEP_4) | instskip(NEXT) | instid1(VALU_DEP_3)
	v_add_co_u32 v48, vcc_lo, v50, v48
	v_min3_f32 v55, v56, v55, v107
	v_add_co_ci_u32_e32 v49, vcc_lo, v51, v49, vcc_lo
	s_delay_alu instid0(VALU_DEP_4) | instskip(NEXT) | instid1(VALU_DEP_1)
	v_min_f32_e32 v56, v58, v57
	v_min3_f32 v54, v54, v56, v55
	global_store_b32 v[48:49], v54, off
	s_or_b32 exec_lo, exec_lo, s14
	s_and_b32 s14, s7, s8
	s_delay_alu instid0(SALU_CYCLE_1)
	s_and_saveexec_b32 s8, s14
	s_cbranch_execz .LBB58_252
.LBB58_248:
	v_cmp_ne_u32_e32 vcc_lo, 1, v121
	v_lshlrev_b64 v[48:49], 2, v[78:79]
	s_cbranch_vccnz .LBB58_250
; %bb.249:
	s_delay_alu instid0(VALU_DEP_1) | instskip(NEXT) | instid1(VALU_DEP_2)
	v_add_co_u32 v52, vcc_lo, v52, v48
	v_add_co_ci_u32_e32 v53, vcc_lo, v53, v49, vcc_lo
	flat_load_b32 v52, v[52:53]
	s_waitcnt vmcnt(0) lgkmcnt(0)
	v_mul_f32_e32 v52, s19, v52
	s_branch .LBB58_251
.LBB58_250:
	v_mov_b32_e32 v52, 0
.LBB58_251:
	v_dual_add_f32 v45, v1, v45 :: v_dual_add_f32 v44, v0, v44
	v_dual_add_f32 v47, v3, v47 :: v_dual_add_f32 v46, v2, v46
	s_delay_alu instid0(VALU_DEP_2) | instskip(NEXT) | instid1(VALU_DEP_2)
	v_min3_f32 v44, v44, v45, v106
	v_min_f32_e32 v45, v46, v47
	s_delay_alu instid0(VALU_DEP_1)
	v_min3_f32 v46, v52, v45, v44
	v_add_co_u32 v44, vcc_lo, v50, v48
	v_add_co_ci_u32_e32 v45, vcc_lo, v51, v49, vcc_lo
	global_store_b32 v[44:45], v46, off
.LBB58_252:
	s_or_b32 exec_lo, exec_lo, s8
	v_add_nc_u32_e32 v48, 40, v130
	s_delay_alu instid0(VALU_DEP_1) | instskip(SKIP_2) | instid1(VALU_DEP_3)
	v_mad_i64_i32 v[44:45], null, v48, s18, 0
	v_mad_i64_i32 v[46:47], null, v48, s9, 0
	v_cmp_gt_i32_e64 s8, s17, v48
	v_lshlrev_b64 v[44:45], 2, v[44:45]
	s_delay_alu instid0(VALU_DEP_2) | instskip(NEXT) | instid1(VALU_DEP_3)
	s_and_b32 s15, s0, s8
	v_lshlrev_b64 v[46:47], 2, v[46:47]
	s_delay_alu instid0(VALU_DEP_2) | instskip(NEXT) | instid1(VALU_DEP_3)
	v_add_co_u32 v48, vcc_lo, s12, v44
	v_add_co_ci_u32_e32 v49, vcc_lo, s13, v45, vcc_lo
	s_delay_alu instid0(VALU_DEP_3) | instskip(NEXT) | instid1(VALU_DEP_4)
	v_add_co_u32 v46, vcc_lo, s10, v46
	v_add_co_ci_u32_e32 v47, vcc_lo, s11, v47, vcc_lo
	s_and_saveexec_b32 s14, s15
	s_cbranch_execnz .LBB58_260
; %bb.253:
	s_or_b32 exec_lo, exec_lo, s14
	s_and_b32 s15, s1, s8
	s_delay_alu instid0(SALU_CYCLE_1)
	s_and_saveexec_b32 s14, s15
	s_cbranch_execnz .LBB58_264
.LBB58_254:
	s_or_b32 exec_lo, exec_lo, s14
	s_and_b32 s15, s2, s8
	s_delay_alu instid0(SALU_CYCLE_1)
	s_and_saveexec_b32 s14, s15
	s_cbranch_execnz .LBB58_268
.LBB58_255:
	s_or_b32 exec_lo, exec_lo, s14
	s_and_b32 s15, s3, s8
	s_delay_alu instid0(SALU_CYCLE_1)
	s_and_saveexec_b32 s14, s15
	s_cbranch_execnz .LBB58_272
.LBB58_256:
	s_or_b32 exec_lo, exec_lo, s14
	s_and_b32 s15, s4, s8
	s_delay_alu instid0(SALU_CYCLE_1)
	s_and_saveexec_b32 s14, s15
	s_cbranch_execnz .LBB58_276
.LBB58_257:
	s_or_b32 exec_lo, exec_lo, s14
	s_and_b32 s15, s5, s8
	s_delay_alu instid0(SALU_CYCLE_1)
	s_and_saveexec_b32 s14, s15
	s_cbranch_execnz .LBB58_280
.LBB58_258:
	s_or_b32 exec_lo, exec_lo, s14
	s_and_b32 s15, s6, s8
	s_delay_alu instid0(SALU_CYCLE_1)
	s_and_saveexec_b32 s14, s15
	s_cbranch_execnz .LBB58_284
.LBB58_259:
	s_or_b32 exec_lo, exec_lo, s14
	s_and_b32 s14, s7, s8
	s_delay_alu instid0(SALU_CYCLE_1)
	s_and_saveexec_b32 s8, s14
	s_cbranch_execnz .LBB58_288
	s_branch .LBB58_292
.LBB58_260:
	v_cmp_ne_u32_e32 vcc_lo, 1, v121
	v_lshlrev_b64 v[44:45], 2, v[64:65]
	s_cbranch_vccnz .LBB58_262
; %bb.261:
	s_delay_alu instid0(VALU_DEP_1) | instskip(NEXT) | instid1(VALU_DEP_2)
	v_add_co_u32 v50, vcc_lo, v48, v44
	v_add_co_ci_u32_e32 v51, vcc_lo, v49, v45, vcc_lo
	flat_load_b32 v50, v[50:51]
	s_waitcnt vmcnt(0) lgkmcnt(0)
	v_mul_f32_e32 v50, s19, v50
	s_branch .LBB58_263
.LBB58_262:
	v_mov_b32_e32 v50, 0
.LBB58_263:
	v_dual_add_f32 v51, v33, v41 :: v_dual_add_f32 v52, v32, v40
	v_dual_add_f32 v53, v35, v43 :: v_dual_add_f32 v54, v34, v42
	s_delay_alu instid0(VALU_DEP_4) | instskip(NEXT) | instid1(VALU_DEP_3)
	v_add_co_u32 v44, vcc_lo, v46, v44
	v_min3_f32 v51, v52, v51, v105
	v_add_co_ci_u32_e32 v45, vcc_lo, v47, v45, vcc_lo
	s_delay_alu instid0(VALU_DEP_4) | instskip(NEXT) | instid1(VALU_DEP_1)
	v_min_f32_e32 v52, v54, v53
	v_min3_f32 v50, v50, v52, v51
	global_store_b32 v[44:45], v50, off
	s_or_b32 exec_lo, exec_lo, s14
	s_and_b32 s15, s1, s8
	s_delay_alu instid0(SALU_CYCLE_1)
	s_and_saveexec_b32 s14, s15
	s_cbranch_execz .LBB58_254
.LBB58_264:
	v_cmp_ne_u32_e32 vcc_lo, 1, v121
	v_lshlrev_b64 v[44:45], 2, v[66:67]
	s_cbranch_vccnz .LBB58_266
; %bb.265:
	s_delay_alu instid0(VALU_DEP_1) | instskip(NEXT) | instid1(VALU_DEP_2)
	v_add_co_u32 v50, vcc_lo, v48, v44
	v_add_co_ci_u32_e32 v51, vcc_lo, v49, v45, vcc_lo
	flat_load_b32 v50, v[50:51]
	s_waitcnt vmcnt(0) lgkmcnt(0)
	v_mul_f32_e32 v50, s19, v50
	s_branch .LBB58_267
.LBB58_266:
	v_mov_b32_e32 v50, 0
.LBB58_267:
	v_dual_add_f32 v51, v29, v41 :: v_dual_add_f32 v52, v28, v40
	v_dual_add_f32 v53, v31, v43 :: v_dual_add_f32 v54, v30, v42
	s_delay_alu instid0(VALU_DEP_4) | instskip(NEXT) | instid1(VALU_DEP_3)
	v_add_co_u32 v44, vcc_lo, v46, v44
	v_min3_f32 v51, v52, v51, v104
	v_add_co_ci_u32_e32 v45, vcc_lo, v47, v45, vcc_lo
	s_delay_alu instid0(VALU_DEP_4) | instskip(NEXT) | instid1(VALU_DEP_1)
	v_min_f32_e32 v52, v54, v53
	v_min3_f32 v50, v50, v52, v51
	global_store_b32 v[44:45], v50, off
	s_or_b32 exec_lo, exec_lo, s14
	s_and_b32 s15, s2, s8
	s_delay_alu instid0(SALU_CYCLE_1)
	s_and_saveexec_b32 s14, s15
	s_cbranch_execz .LBB58_255
.LBB58_268:
	v_cmp_ne_u32_e32 vcc_lo, 1, v121
	v_lshlrev_b64 v[44:45], 2, v[68:69]
	s_cbranch_vccnz .LBB58_270
; %bb.269:
	s_delay_alu instid0(VALU_DEP_1) | instskip(NEXT) | instid1(VALU_DEP_2)
	v_add_co_u32 v50, vcc_lo, v48, v44
	v_add_co_ci_u32_e32 v51, vcc_lo, v49, v45, vcc_lo
	flat_load_b32 v50, v[50:51]
	s_waitcnt vmcnt(0) lgkmcnt(0)
	v_mul_f32_e32 v50, s19, v50
	s_branch .LBB58_271
.LBB58_270:
	v_mov_b32_e32 v50, 0
.LBB58_271:
	v_dual_add_f32 v51, v25, v41 :: v_dual_add_f32 v52, v24, v40
	v_dual_add_f32 v53, v27, v43 :: v_dual_add_f32 v54, v26, v42
	s_delay_alu instid0(VALU_DEP_4) | instskip(NEXT) | instid1(VALU_DEP_3)
	v_add_co_u32 v44, vcc_lo, v46, v44
	v_min3_f32 v51, v52, v51, v103
	v_add_co_ci_u32_e32 v45, vcc_lo, v47, v45, vcc_lo
	s_delay_alu instid0(VALU_DEP_4) | instskip(NEXT) | instid1(VALU_DEP_1)
	v_min_f32_e32 v52, v54, v53
	v_min3_f32 v50, v50, v52, v51
	global_store_b32 v[44:45], v50, off
	s_or_b32 exec_lo, exec_lo, s14
	s_and_b32 s15, s3, s8
	s_delay_alu instid0(SALU_CYCLE_1)
	s_and_saveexec_b32 s14, s15
	s_cbranch_execz .LBB58_256
.LBB58_272:
	v_cmp_ne_u32_e32 vcc_lo, 1, v121
	v_lshlrev_b64 v[44:45], 2, v[70:71]
	s_cbranch_vccnz .LBB58_274
; %bb.273:
	s_delay_alu instid0(VALU_DEP_1) | instskip(NEXT) | instid1(VALU_DEP_2)
	v_add_co_u32 v50, vcc_lo, v48, v44
	v_add_co_ci_u32_e32 v51, vcc_lo, v49, v45, vcc_lo
	flat_load_b32 v50, v[50:51]
	s_waitcnt vmcnt(0) lgkmcnt(0)
	v_mul_f32_e32 v50, s19, v50
	s_branch .LBB58_275
.LBB58_274:
	v_mov_b32_e32 v50, 0
.LBB58_275:
	v_dual_add_f32 v51, v21, v41 :: v_dual_add_f32 v52, v20, v40
	v_dual_add_f32 v53, v23, v43 :: v_dual_add_f32 v54, v22, v42
	s_delay_alu instid0(VALU_DEP_4) | instskip(NEXT) | instid1(VALU_DEP_3)
	v_add_co_u32 v44, vcc_lo, v46, v44
	v_min3_f32 v51, v52, v51, v102
	v_add_co_ci_u32_e32 v45, vcc_lo, v47, v45, vcc_lo
	s_delay_alu instid0(VALU_DEP_4) | instskip(NEXT) | instid1(VALU_DEP_1)
	v_min_f32_e32 v52, v54, v53
	v_min3_f32 v50, v50, v52, v51
	global_store_b32 v[44:45], v50, off
	s_or_b32 exec_lo, exec_lo, s14
	s_and_b32 s15, s4, s8
	s_delay_alu instid0(SALU_CYCLE_1)
	s_and_saveexec_b32 s14, s15
	s_cbranch_execz .LBB58_257
.LBB58_276:
	v_cmp_ne_u32_e32 vcc_lo, 1, v121
	v_lshlrev_b64 v[44:45], 2, v[72:73]
	s_cbranch_vccnz .LBB58_278
; %bb.277:
	s_delay_alu instid0(VALU_DEP_1) | instskip(NEXT) | instid1(VALU_DEP_2)
	v_add_co_u32 v50, vcc_lo, v48, v44
	v_add_co_ci_u32_e32 v51, vcc_lo, v49, v45, vcc_lo
	flat_load_b32 v50, v[50:51]
	s_waitcnt vmcnt(0) lgkmcnt(0)
	v_mul_f32_e32 v50, s19, v50
	s_branch .LBB58_279
.LBB58_278:
	v_mov_b32_e32 v50, 0
.LBB58_279:
	v_dual_add_f32 v51, v17, v41 :: v_dual_add_f32 v52, v16, v40
	v_dual_add_f32 v53, v19, v43 :: v_dual_add_f32 v54, v18, v42
	s_delay_alu instid0(VALU_DEP_4) | instskip(NEXT) | instid1(VALU_DEP_3)
	v_add_co_u32 v44, vcc_lo, v46, v44
	v_min3_f32 v51, v52, v51, v101
	v_add_co_ci_u32_e32 v45, vcc_lo, v47, v45, vcc_lo
	s_delay_alu instid0(VALU_DEP_4) | instskip(NEXT) | instid1(VALU_DEP_1)
	v_min_f32_e32 v52, v54, v53
	v_min3_f32 v50, v50, v52, v51
	global_store_b32 v[44:45], v50, off
	s_or_b32 exec_lo, exec_lo, s14
	s_and_b32 s15, s5, s8
	s_delay_alu instid0(SALU_CYCLE_1)
	s_and_saveexec_b32 s14, s15
	s_cbranch_execz .LBB58_258
.LBB58_280:
	v_cmp_ne_u32_e32 vcc_lo, 1, v121
	v_lshlrev_b64 v[44:45], 2, v[74:75]
	s_cbranch_vccnz .LBB58_282
; %bb.281:
	s_delay_alu instid0(VALU_DEP_1) | instskip(NEXT) | instid1(VALU_DEP_2)
	v_add_co_u32 v50, vcc_lo, v48, v44
	v_add_co_ci_u32_e32 v51, vcc_lo, v49, v45, vcc_lo
	flat_load_b32 v50, v[50:51]
	s_waitcnt vmcnt(0) lgkmcnt(0)
	v_mul_f32_e32 v50, s19, v50
	s_branch .LBB58_283
.LBB58_282:
	v_mov_b32_e32 v50, 0
.LBB58_283:
	v_dual_add_f32 v51, v13, v41 :: v_dual_add_f32 v52, v12, v40
	v_dual_add_f32 v53, v15, v43 :: v_dual_add_f32 v54, v14, v42
	s_delay_alu instid0(VALU_DEP_4) | instskip(NEXT) | instid1(VALU_DEP_3)
	v_add_co_u32 v44, vcc_lo, v46, v44
	v_min3_f32 v51, v52, v51, v100
	v_add_co_ci_u32_e32 v45, vcc_lo, v47, v45, vcc_lo
	s_delay_alu instid0(VALU_DEP_4) | instskip(NEXT) | instid1(VALU_DEP_1)
	v_min_f32_e32 v52, v54, v53
	v_min3_f32 v50, v50, v52, v51
	global_store_b32 v[44:45], v50, off
	s_or_b32 exec_lo, exec_lo, s14
	s_and_b32 s15, s6, s8
	s_delay_alu instid0(SALU_CYCLE_1)
	s_and_saveexec_b32 s14, s15
	s_cbranch_execz .LBB58_259
.LBB58_284:
	v_cmp_ne_u32_e32 vcc_lo, 1, v121
	v_lshlrev_b64 v[44:45], 2, v[76:77]
	s_cbranch_vccnz .LBB58_286
; %bb.285:
	s_delay_alu instid0(VALU_DEP_1) | instskip(NEXT) | instid1(VALU_DEP_2)
	v_add_co_u32 v50, vcc_lo, v48, v44
	v_add_co_ci_u32_e32 v51, vcc_lo, v49, v45, vcc_lo
	flat_load_b32 v50, v[50:51]
	s_waitcnt vmcnt(0) lgkmcnt(0)
	v_mul_f32_e32 v50, s19, v50
	s_branch .LBB58_287
.LBB58_286:
	v_mov_b32_e32 v50, 0
.LBB58_287:
	v_dual_add_f32 v51, v9, v41 :: v_dual_add_f32 v52, v8, v40
	v_dual_add_f32 v53, v11, v43 :: v_dual_add_f32 v54, v10, v42
	s_delay_alu instid0(VALU_DEP_4) | instskip(NEXT) | instid1(VALU_DEP_3)
	v_add_co_u32 v44, vcc_lo, v46, v44
	v_min3_f32 v51, v52, v51, v99
	v_add_co_ci_u32_e32 v45, vcc_lo, v47, v45, vcc_lo
	s_delay_alu instid0(VALU_DEP_4) | instskip(NEXT) | instid1(VALU_DEP_1)
	v_min_f32_e32 v52, v54, v53
	v_min3_f32 v50, v50, v52, v51
	global_store_b32 v[44:45], v50, off
	s_or_b32 exec_lo, exec_lo, s14
	s_and_b32 s14, s7, s8
	s_delay_alu instid0(SALU_CYCLE_1)
	s_and_saveexec_b32 s8, s14
	s_cbranch_execz .LBB58_292
.LBB58_288:
	v_cmp_ne_u32_e32 vcc_lo, 1, v121
	v_lshlrev_b64 v[44:45], 2, v[78:79]
	s_cbranch_vccnz .LBB58_290
; %bb.289:
	s_delay_alu instid0(VALU_DEP_1) | instskip(NEXT) | instid1(VALU_DEP_2)
	v_add_co_u32 v48, vcc_lo, v48, v44
	v_add_co_ci_u32_e32 v49, vcc_lo, v49, v45, vcc_lo
	flat_load_b32 v48, v[48:49]
	s_waitcnt vmcnt(0) lgkmcnt(0)
	v_mul_f32_e32 v48, s19, v48
	s_branch .LBB58_291
.LBB58_290:
	v_mov_b32_e32 v48, 0
.LBB58_291:
	v_dual_add_f32 v41, v1, v41 :: v_dual_add_f32 v40, v0, v40
	v_dual_add_f32 v43, v3, v43 :: v_dual_add_f32 v42, v2, v42
	s_delay_alu instid0(VALU_DEP_2) | instskip(NEXT) | instid1(VALU_DEP_2)
	v_min3_f32 v40, v40, v41, v98
	v_min_f32_e32 v41, v42, v43
	s_delay_alu instid0(VALU_DEP_1)
	v_min3_f32 v42, v48, v41, v40
	v_add_co_u32 v40, vcc_lo, v46, v44
	v_add_co_ci_u32_e32 v41, vcc_lo, v47, v45, vcc_lo
	global_store_b32 v[40:41], v42, off
.LBB58_292:
	s_or_b32 exec_lo, exec_lo, s8
	v_add_nc_u32_e32 v44, 48, v130
	s_delay_alu instid0(VALU_DEP_1) | instskip(SKIP_2) | instid1(VALU_DEP_3)
	v_mad_i64_i32 v[40:41], null, v44, s18, 0
	v_mad_i64_i32 v[42:43], null, v44, s9, 0
	v_cmp_gt_i32_e64 s8, s17, v44
	v_lshlrev_b64 v[40:41], 2, v[40:41]
	s_delay_alu instid0(VALU_DEP_2) | instskip(NEXT) | instid1(VALU_DEP_3)
	s_and_b32 s15, s0, s8
	v_lshlrev_b64 v[42:43], 2, v[42:43]
	s_delay_alu instid0(VALU_DEP_2) | instskip(NEXT) | instid1(VALU_DEP_3)
	v_add_co_u32 v44, vcc_lo, s12, v40
	v_add_co_ci_u32_e32 v45, vcc_lo, s13, v41, vcc_lo
	s_delay_alu instid0(VALU_DEP_3) | instskip(NEXT) | instid1(VALU_DEP_4)
	v_add_co_u32 v42, vcc_lo, s10, v42
	v_add_co_ci_u32_e32 v43, vcc_lo, s11, v43, vcc_lo
	s_and_saveexec_b32 s14, s15
	s_cbranch_execnz .LBB58_300
; %bb.293:
	s_or_b32 exec_lo, exec_lo, s14
	s_and_b32 s15, s1, s8
	s_delay_alu instid0(SALU_CYCLE_1)
	s_and_saveexec_b32 s14, s15
	s_cbranch_execnz .LBB58_304
.LBB58_294:
	s_or_b32 exec_lo, exec_lo, s14
	s_and_b32 s15, s2, s8
	s_delay_alu instid0(SALU_CYCLE_1)
	s_and_saveexec_b32 s14, s15
	s_cbranch_execnz .LBB58_308
.LBB58_295:
	s_or_b32 exec_lo, exec_lo, s14
	s_and_b32 s15, s3, s8
	s_delay_alu instid0(SALU_CYCLE_1)
	s_and_saveexec_b32 s14, s15
	s_cbranch_execnz .LBB58_312
.LBB58_296:
	s_or_b32 exec_lo, exec_lo, s14
	s_and_b32 s15, s4, s8
	s_delay_alu instid0(SALU_CYCLE_1)
	s_and_saveexec_b32 s14, s15
	s_cbranch_execnz .LBB58_316
.LBB58_297:
	s_or_b32 exec_lo, exec_lo, s14
	s_and_b32 s15, s5, s8
	s_delay_alu instid0(SALU_CYCLE_1)
	s_and_saveexec_b32 s14, s15
	s_cbranch_execnz .LBB58_320
.LBB58_298:
	s_or_b32 exec_lo, exec_lo, s14
	s_and_b32 s15, s6, s8
	s_delay_alu instid0(SALU_CYCLE_1)
	s_and_saveexec_b32 s14, s15
	s_cbranch_execnz .LBB58_324
.LBB58_299:
	s_or_b32 exec_lo, exec_lo, s14
	s_and_b32 s14, s7, s8
	s_delay_alu instid0(SALU_CYCLE_1)
	s_and_saveexec_b32 s8, s14
	s_cbranch_execnz .LBB58_328
	s_branch .LBB58_332
.LBB58_300:
	v_cmp_ne_u32_e32 vcc_lo, 1, v121
	v_lshlrev_b64 v[40:41], 2, v[64:65]
	s_cbranch_vccnz .LBB58_302
; %bb.301:
	s_delay_alu instid0(VALU_DEP_1) | instskip(NEXT) | instid1(VALU_DEP_2)
	v_add_co_u32 v46, vcc_lo, v44, v40
	v_add_co_ci_u32_e32 v47, vcc_lo, v45, v41, vcc_lo
	flat_load_b32 v46, v[46:47]
	s_waitcnt vmcnt(0) lgkmcnt(0)
	v_mul_f32_e32 v46, s19, v46
	s_branch .LBB58_303
.LBB58_302:
	v_mov_b32_e32 v46, 0
.LBB58_303:
	v_dual_add_f32 v47, v33, v37 :: v_dual_add_f32 v48, v32, v36
	v_dual_add_f32 v49, v35, v39 :: v_dual_add_f32 v50, v34, v38
	s_delay_alu instid0(VALU_DEP_4) | instskip(NEXT) | instid1(VALU_DEP_3)
	v_add_co_u32 v40, vcc_lo, v42, v40
	v_min3_f32 v47, v48, v47, v97
	v_add_co_ci_u32_e32 v41, vcc_lo, v43, v41, vcc_lo
	s_delay_alu instid0(VALU_DEP_4) | instskip(NEXT) | instid1(VALU_DEP_1)
	v_min_f32_e32 v48, v50, v49
	v_min3_f32 v46, v46, v48, v47
	global_store_b32 v[40:41], v46, off
	s_or_b32 exec_lo, exec_lo, s14
	s_and_b32 s15, s1, s8
	s_delay_alu instid0(SALU_CYCLE_1)
	s_and_saveexec_b32 s14, s15
	s_cbranch_execz .LBB58_294
.LBB58_304:
	v_cmp_ne_u32_e32 vcc_lo, 1, v121
	v_lshlrev_b64 v[40:41], 2, v[66:67]
	s_cbranch_vccnz .LBB58_306
; %bb.305:
	s_delay_alu instid0(VALU_DEP_1) | instskip(NEXT) | instid1(VALU_DEP_2)
	v_add_co_u32 v46, vcc_lo, v44, v40
	v_add_co_ci_u32_e32 v47, vcc_lo, v45, v41, vcc_lo
	flat_load_b32 v46, v[46:47]
	s_waitcnt vmcnt(0) lgkmcnt(0)
	v_mul_f32_e32 v46, s19, v46
	s_branch .LBB58_307
.LBB58_306:
	v_mov_b32_e32 v46, 0
.LBB58_307:
	v_dual_add_f32 v47, v29, v37 :: v_dual_add_f32 v48, v28, v36
	v_dual_add_f32 v49, v31, v39 :: v_dual_add_f32 v50, v30, v38
	s_delay_alu instid0(VALU_DEP_4) | instskip(NEXT) | instid1(VALU_DEP_3)
	v_add_co_u32 v40, vcc_lo, v42, v40
	v_min3_f32 v47, v48, v47, v96
	v_add_co_ci_u32_e32 v41, vcc_lo, v43, v41, vcc_lo
	s_delay_alu instid0(VALU_DEP_4) | instskip(NEXT) | instid1(VALU_DEP_1)
	v_min_f32_e32 v48, v50, v49
	v_min3_f32 v46, v46, v48, v47
	global_store_b32 v[40:41], v46, off
	s_or_b32 exec_lo, exec_lo, s14
	s_and_b32 s15, s2, s8
	s_delay_alu instid0(SALU_CYCLE_1)
	s_and_saveexec_b32 s14, s15
	s_cbranch_execz .LBB58_295
.LBB58_308:
	v_cmp_ne_u32_e32 vcc_lo, 1, v121
	v_lshlrev_b64 v[40:41], 2, v[68:69]
	s_cbranch_vccnz .LBB58_310
; %bb.309:
	s_delay_alu instid0(VALU_DEP_1) | instskip(NEXT) | instid1(VALU_DEP_2)
	v_add_co_u32 v46, vcc_lo, v44, v40
	v_add_co_ci_u32_e32 v47, vcc_lo, v45, v41, vcc_lo
	flat_load_b32 v46, v[46:47]
	s_waitcnt vmcnt(0) lgkmcnt(0)
	v_mul_f32_e32 v46, s19, v46
	s_branch .LBB58_311
.LBB58_310:
	v_mov_b32_e32 v46, 0
.LBB58_311:
	v_dual_add_f32 v47, v25, v37 :: v_dual_add_f32 v48, v24, v36
	v_dual_add_f32 v49, v27, v39 :: v_dual_add_f32 v50, v26, v38
	s_delay_alu instid0(VALU_DEP_4) | instskip(NEXT) | instid1(VALU_DEP_3)
	v_add_co_u32 v40, vcc_lo, v42, v40
	v_min3_f32 v47, v48, v47, v95
	v_add_co_ci_u32_e32 v41, vcc_lo, v43, v41, vcc_lo
	s_delay_alu instid0(VALU_DEP_4) | instskip(NEXT) | instid1(VALU_DEP_1)
	v_min_f32_e32 v48, v50, v49
	v_min3_f32 v46, v46, v48, v47
	global_store_b32 v[40:41], v46, off
	s_or_b32 exec_lo, exec_lo, s14
	s_and_b32 s15, s3, s8
	s_delay_alu instid0(SALU_CYCLE_1)
	s_and_saveexec_b32 s14, s15
	s_cbranch_execz .LBB58_296
.LBB58_312:
	v_cmp_ne_u32_e32 vcc_lo, 1, v121
	v_lshlrev_b64 v[40:41], 2, v[70:71]
	s_cbranch_vccnz .LBB58_314
; %bb.313:
	s_delay_alu instid0(VALU_DEP_1) | instskip(NEXT) | instid1(VALU_DEP_2)
	v_add_co_u32 v46, vcc_lo, v44, v40
	v_add_co_ci_u32_e32 v47, vcc_lo, v45, v41, vcc_lo
	flat_load_b32 v46, v[46:47]
	s_waitcnt vmcnt(0) lgkmcnt(0)
	v_mul_f32_e32 v46, s19, v46
	s_branch .LBB58_315
.LBB58_314:
	v_mov_b32_e32 v46, 0
.LBB58_315:
	v_dual_add_f32 v47, v21, v37 :: v_dual_add_f32 v48, v20, v36
	v_dual_add_f32 v49, v23, v39 :: v_dual_add_f32 v50, v22, v38
	s_delay_alu instid0(VALU_DEP_4) | instskip(NEXT) | instid1(VALU_DEP_3)
	v_add_co_u32 v40, vcc_lo, v42, v40
	v_min3_f32 v47, v48, v47, v94
	v_add_co_ci_u32_e32 v41, vcc_lo, v43, v41, vcc_lo
	s_delay_alu instid0(VALU_DEP_4) | instskip(NEXT) | instid1(VALU_DEP_1)
	v_min_f32_e32 v48, v50, v49
	v_min3_f32 v46, v46, v48, v47
	global_store_b32 v[40:41], v46, off
	s_or_b32 exec_lo, exec_lo, s14
	s_and_b32 s15, s4, s8
	s_delay_alu instid0(SALU_CYCLE_1)
	s_and_saveexec_b32 s14, s15
	s_cbranch_execz .LBB58_297
.LBB58_316:
	v_cmp_ne_u32_e32 vcc_lo, 1, v121
	v_lshlrev_b64 v[40:41], 2, v[72:73]
	s_cbranch_vccnz .LBB58_318
; %bb.317:
	s_delay_alu instid0(VALU_DEP_1) | instskip(NEXT) | instid1(VALU_DEP_2)
	v_add_co_u32 v46, vcc_lo, v44, v40
	v_add_co_ci_u32_e32 v47, vcc_lo, v45, v41, vcc_lo
	flat_load_b32 v46, v[46:47]
	s_waitcnt vmcnt(0) lgkmcnt(0)
	v_mul_f32_e32 v46, s19, v46
	s_branch .LBB58_319
.LBB58_318:
	v_mov_b32_e32 v46, 0
.LBB58_319:
	v_dual_add_f32 v47, v17, v37 :: v_dual_add_f32 v48, v16, v36
	v_dual_add_f32 v49, v19, v39 :: v_dual_add_f32 v50, v18, v38
	s_delay_alu instid0(VALU_DEP_4) | instskip(NEXT) | instid1(VALU_DEP_3)
	v_add_co_u32 v40, vcc_lo, v42, v40
	v_min3_f32 v47, v48, v47, v93
	v_add_co_ci_u32_e32 v41, vcc_lo, v43, v41, vcc_lo
	s_delay_alu instid0(VALU_DEP_4) | instskip(NEXT) | instid1(VALU_DEP_1)
	v_min_f32_e32 v48, v50, v49
	v_min3_f32 v46, v46, v48, v47
	global_store_b32 v[40:41], v46, off
	s_or_b32 exec_lo, exec_lo, s14
	s_and_b32 s15, s5, s8
	s_delay_alu instid0(SALU_CYCLE_1)
	s_and_saveexec_b32 s14, s15
	s_cbranch_execz .LBB58_298
.LBB58_320:
	v_cmp_ne_u32_e32 vcc_lo, 1, v121
	v_lshlrev_b64 v[40:41], 2, v[74:75]
	s_cbranch_vccnz .LBB58_322
; %bb.321:
	s_delay_alu instid0(VALU_DEP_1) | instskip(NEXT) | instid1(VALU_DEP_2)
	v_add_co_u32 v46, vcc_lo, v44, v40
	v_add_co_ci_u32_e32 v47, vcc_lo, v45, v41, vcc_lo
	flat_load_b32 v46, v[46:47]
	s_waitcnt vmcnt(0) lgkmcnt(0)
	v_mul_f32_e32 v46, s19, v46
	s_branch .LBB58_323
.LBB58_322:
	v_mov_b32_e32 v46, 0
.LBB58_323:
	v_dual_add_f32 v47, v13, v37 :: v_dual_add_f32 v48, v12, v36
	v_dual_add_f32 v49, v15, v39 :: v_dual_add_f32 v50, v14, v38
	s_delay_alu instid0(VALU_DEP_4) | instskip(NEXT) | instid1(VALU_DEP_3)
	v_add_co_u32 v40, vcc_lo, v42, v40
	v_min3_f32 v47, v48, v47, v91
	v_add_co_ci_u32_e32 v41, vcc_lo, v43, v41, vcc_lo
	s_delay_alu instid0(VALU_DEP_4) | instskip(NEXT) | instid1(VALU_DEP_1)
	v_min_f32_e32 v48, v50, v49
	v_min3_f32 v46, v46, v48, v47
	global_store_b32 v[40:41], v46, off
	s_or_b32 exec_lo, exec_lo, s14
	s_and_b32 s15, s6, s8
	s_delay_alu instid0(SALU_CYCLE_1)
	s_and_saveexec_b32 s14, s15
	s_cbranch_execz .LBB58_299
.LBB58_324:
	v_cmp_ne_u32_e32 vcc_lo, 1, v121
	v_lshlrev_b64 v[40:41], 2, v[76:77]
	s_cbranch_vccnz .LBB58_326
; %bb.325:
	s_delay_alu instid0(VALU_DEP_1) | instskip(NEXT) | instid1(VALU_DEP_2)
	v_add_co_u32 v46, vcc_lo, v44, v40
	v_add_co_ci_u32_e32 v47, vcc_lo, v45, v41, vcc_lo
	flat_load_b32 v46, v[46:47]
	s_waitcnt vmcnt(0) lgkmcnt(0)
	v_mul_f32_e32 v46, s19, v46
	s_branch .LBB58_327
.LBB58_326:
	v_mov_b32_e32 v46, 0
.LBB58_327:
	v_dual_add_f32 v47, v9, v37 :: v_dual_add_f32 v48, v8, v36
	v_dual_add_f32 v49, v11, v39 :: v_dual_add_f32 v50, v10, v38
	s_delay_alu instid0(VALU_DEP_4) | instskip(NEXT) | instid1(VALU_DEP_3)
	v_add_co_u32 v40, vcc_lo, v42, v40
	v_min3_f32 v47, v48, v47, v90
	v_add_co_ci_u32_e32 v41, vcc_lo, v43, v41, vcc_lo
	s_delay_alu instid0(VALU_DEP_4) | instskip(NEXT) | instid1(VALU_DEP_1)
	v_min_f32_e32 v48, v50, v49
	v_min3_f32 v46, v46, v48, v47
	global_store_b32 v[40:41], v46, off
	s_or_b32 exec_lo, exec_lo, s14
	s_and_b32 s14, s7, s8
	s_delay_alu instid0(SALU_CYCLE_1)
	s_and_saveexec_b32 s8, s14
	s_cbranch_execz .LBB58_332
.LBB58_328:
	v_cmp_ne_u32_e32 vcc_lo, 1, v121
	v_lshlrev_b64 v[40:41], 2, v[78:79]
	s_cbranch_vccnz .LBB58_330
; %bb.329:
	s_delay_alu instid0(VALU_DEP_1) | instskip(NEXT) | instid1(VALU_DEP_2)
	v_add_co_u32 v44, vcc_lo, v44, v40
	v_add_co_ci_u32_e32 v45, vcc_lo, v45, v41, vcc_lo
	flat_load_b32 v44, v[44:45]
	s_waitcnt vmcnt(0) lgkmcnt(0)
	v_mul_f32_e32 v44, s19, v44
	s_branch .LBB58_331
.LBB58_330:
	v_mov_b32_e32 v44, 0
.LBB58_331:
	v_dual_add_f32 v37, v1, v37 :: v_dual_add_f32 v36, v0, v36
	v_dual_add_f32 v39, v3, v39 :: v_dual_add_f32 v38, v2, v38
	s_delay_alu instid0(VALU_DEP_2) | instskip(NEXT) | instid1(VALU_DEP_2)
	v_min3_f32 v36, v36, v37, v89
	v_min_f32_e32 v37, v38, v39
	s_delay_alu instid0(VALU_DEP_1)
	v_min3_f32 v38, v44, v37, v36
	v_add_co_u32 v36, vcc_lo, v42, v40
	v_add_co_ci_u32_e32 v37, vcc_lo, v43, v41, vcc_lo
	global_store_b32 v[36:37], v38, off
.LBB58_332:
	s_or_b32 exec_lo, exec_lo, s8
	v_add_nc_u32_e32 v40, 56, v130
	s_delay_alu instid0(VALU_DEP_1) | instskip(SKIP_2) | instid1(VALU_DEP_3)
	v_mad_i64_i32 v[36:37], null, v40, s18, 0
	v_mad_i64_i32 v[38:39], null, v40, s9, 0
	v_cmp_gt_i32_e64 s8, s17, v40
	v_lshlrev_b64 v[36:37], 2, v[36:37]
	s_delay_alu instid0(VALU_DEP_2) | instskip(NEXT) | instid1(VALU_DEP_3)
	s_and_b32 s9, s0, s8
	v_lshlrev_b64 v[38:39], 2, v[38:39]
	s_delay_alu instid0(VALU_DEP_2) | instskip(NEXT) | instid1(VALU_DEP_3)
	v_add_co_u32 v40, vcc_lo, s12, v36
	v_add_co_ci_u32_e32 v41, vcc_lo, s13, v37, vcc_lo
	s_delay_alu instid0(VALU_DEP_3) | instskip(NEXT) | instid1(VALU_DEP_4)
	v_add_co_u32 v38, vcc_lo, s10, v38
	v_add_co_ci_u32_e32 v39, vcc_lo, s11, v39, vcc_lo
	s_and_saveexec_b32 s0, s9
	s_cbranch_execnz .LBB58_341
; %bb.333:
	s_or_b32 exec_lo, exec_lo, s0
	s_and_b32 s1, s1, s8
	s_delay_alu instid0(SALU_CYCLE_1)
	s_and_saveexec_b32 s0, s1
	s_cbranch_execnz .LBB58_345
.LBB58_334:
	s_or_b32 exec_lo, exec_lo, s0
	s_and_b32 s1, s2, s8
	s_delay_alu instid0(SALU_CYCLE_1)
	s_and_saveexec_b32 s0, s1
	s_cbranch_execnz .LBB58_349
.LBB58_335:
	s_or_b32 exec_lo, exec_lo, s0
	s_and_b32 s1, s3, s8
	s_delay_alu instid0(SALU_CYCLE_1)
	s_and_saveexec_b32 s0, s1
	s_cbranch_execnz .LBB58_353
.LBB58_336:
	s_or_b32 exec_lo, exec_lo, s0
	s_and_b32 s1, s4, s8
	s_delay_alu instid0(SALU_CYCLE_1)
	s_and_saveexec_b32 s0, s1
	s_cbranch_execnz .LBB58_357
.LBB58_337:
	s_or_b32 exec_lo, exec_lo, s0
	s_and_b32 s1, s5, s8
	s_delay_alu instid0(SALU_CYCLE_1)
	s_and_saveexec_b32 s0, s1
	s_cbranch_execnz .LBB58_361
.LBB58_338:
	s_or_b32 exec_lo, exec_lo, s0
	s_and_b32 s1, s6, s8
	s_delay_alu instid0(SALU_CYCLE_1)
	s_and_saveexec_b32 s0, s1
	s_cbranch_execnz .LBB58_365
.LBB58_339:
	s_or_b32 exec_lo, exec_lo, s0
	s_and_b32 s0, s7, s8
	s_delay_alu instid0(SALU_CYCLE_1)
	s_and_saveexec_b32 s1, s0
	s_cbranch_execnz .LBB58_369
.LBB58_340:
	s_nop 0
	s_sendmsg sendmsg(MSG_DEALLOC_VGPRS)
	s_endpgm
.LBB58_341:
	v_cmp_ne_u32_e32 vcc_lo, 1, v121
	v_lshlrev_b64 v[36:37], 2, v[64:65]
	s_cbranch_vccnz .LBB58_343
; %bb.342:
	s_delay_alu instid0(VALU_DEP_1) | instskip(NEXT) | instid1(VALU_DEP_2)
	v_add_co_u32 v42, vcc_lo, v40, v36
	v_add_co_ci_u32_e32 v43, vcc_lo, v41, v37, vcc_lo
	flat_load_b32 v42, v[42:43]
	s_waitcnt vmcnt(0) lgkmcnt(0)
	v_mul_f32_e32 v42, s19, v42
	s_branch .LBB58_344
.LBB58_343:
	v_mov_b32_e32 v42, 0
.LBB58_344:
	v_dual_add_f32 v33, v33, v5 :: v_dual_add_f32 v32, v32, v4
	v_dual_add_f32 v35, v35, v7 :: v_dual_add_f32 v34, v34, v6
	s_delay_alu instid0(VALU_DEP_2) | instskip(NEXT) | instid1(VALU_DEP_2)
	v_min3_f32 v32, v32, v33, v88
	v_min_f32_e32 v33, v34, v35
	s_delay_alu instid0(VALU_DEP_1)
	v_min3_f32 v34, v42, v33, v32
	v_add_co_u32 v32, vcc_lo, v38, v36
	v_add_co_ci_u32_e32 v33, vcc_lo, v39, v37, vcc_lo
	global_store_b32 v[32:33], v34, off
	s_or_b32 exec_lo, exec_lo, s0
	s_and_b32 s1, s1, s8
	s_delay_alu instid0(SALU_CYCLE_1)
	s_and_saveexec_b32 s0, s1
	s_cbranch_execz .LBB58_334
.LBB58_345:
	v_cmp_ne_u32_e32 vcc_lo, 1, v121
	v_lshlrev_b64 v[32:33], 2, v[66:67]
	s_cbranch_vccnz .LBB58_347
; %bb.346:
	s_delay_alu instid0(VALU_DEP_1) | instskip(NEXT) | instid1(VALU_DEP_2)
	v_add_co_u32 v34, vcc_lo, v40, v32
	v_add_co_ci_u32_e32 v35, vcc_lo, v41, v33, vcc_lo
	flat_load_b32 v34, v[34:35]
	s_waitcnt vmcnt(0) lgkmcnt(0)
	v_mul_f32_e32 v34, s19, v34
	s_branch .LBB58_348
.LBB58_347:
	v_mov_b32_e32 v34, 0
.LBB58_348:
	v_dual_add_f32 v29, v29, v5 :: v_dual_add_f32 v28, v28, v4
	v_dual_add_f32 v31, v31, v7 :: v_dual_add_f32 v30, v30, v6
	s_delay_alu instid0(VALU_DEP_2) | instskip(NEXT) | instid1(VALU_DEP_2)
	v_min3_f32 v28, v28, v29, v87
	v_min_f32_e32 v29, v30, v31
	s_delay_alu instid0(VALU_DEP_1)
	v_min3_f32 v30, v34, v29, v28
	v_add_co_u32 v28, vcc_lo, v38, v32
	v_add_co_ci_u32_e32 v29, vcc_lo, v39, v33, vcc_lo
	global_store_b32 v[28:29], v30, off
	s_or_b32 exec_lo, exec_lo, s0
	s_and_b32 s1, s2, s8
	s_delay_alu instid0(SALU_CYCLE_1)
	s_and_saveexec_b32 s0, s1
	s_cbranch_execz .LBB58_335
.LBB58_349:
	v_cmp_ne_u32_e32 vcc_lo, 1, v121
	v_lshlrev_b64 v[28:29], 2, v[68:69]
	s_cbranch_vccnz .LBB58_351
; %bb.350:
	s_delay_alu instid0(VALU_DEP_1) | instskip(NEXT) | instid1(VALU_DEP_2)
	v_add_co_u32 v30, vcc_lo, v40, v28
	v_add_co_ci_u32_e32 v31, vcc_lo, v41, v29, vcc_lo
	flat_load_b32 v30, v[30:31]
	s_waitcnt vmcnt(0) lgkmcnt(0)
	v_mul_f32_e32 v30, s19, v30
	s_branch .LBB58_352
.LBB58_351:
	v_mov_b32_e32 v30, 0
.LBB58_352:
	v_dual_add_f32 v25, v25, v5 :: v_dual_add_f32 v24, v24, v4
	v_dual_add_f32 v27, v27, v7 :: v_dual_add_f32 v26, v26, v6
	s_delay_alu instid0(VALU_DEP_2) | instskip(NEXT) | instid1(VALU_DEP_2)
	v_min3_f32 v24, v24, v25, v86
	v_min_f32_e32 v25, v26, v27
	s_delay_alu instid0(VALU_DEP_1)
	v_min3_f32 v26, v30, v25, v24
	v_add_co_u32 v24, vcc_lo, v38, v28
	v_add_co_ci_u32_e32 v25, vcc_lo, v39, v29, vcc_lo
	global_store_b32 v[24:25], v26, off
	s_or_b32 exec_lo, exec_lo, s0
	s_and_b32 s1, s3, s8
	s_delay_alu instid0(SALU_CYCLE_1)
	s_and_saveexec_b32 s0, s1
	s_cbranch_execz .LBB58_336
.LBB58_353:
	v_cmp_ne_u32_e32 vcc_lo, 1, v121
	v_lshlrev_b64 v[24:25], 2, v[70:71]
	s_cbranch_vccnz .LBB58_355
; %bb.354:
	s_delay_alu instid0(VALU_DEP_1) | instskip(NEXT) | instid1(VALU_DEP_2)
	v_add_co_u32 v26, vcc_lo, v40, v24
	v_add_co_ci_u32_e32 v27, vcc_lo, v41, v25, vcc_lo
	flat_load_b32 v26, v[26:27]
	s_waitcnt vmcnt(0) lgkmcnt(0)
	v_mul_f32_e32 v26, s19, v26
	s_branch .LBB58_356
.LBB58_355:
	v_mov_b32_e32 v26, 0
.LBB58_356:
	v_dual_add_f32 v21, v21, v5 :: v_dual_add_f32 v20, v20, v4
	v_dual_add_f32 v23, v23, v7 :: v_dual_add_f32 v22, v22, v6
	s_delay_alu instid0(VALU_DEP_2) | instskip(NEXT) | instid1(VALU_DEP_2)
	v_min3_f32 v20, v20, v21, v85
	v_min_f32_e32 v21, v22, v23
	s_delay_alu instid0(VALU_DEP_1)
	v_min3_f32 v22, v26, v21, v20
	v_add_co_u32 v20, vcc_lo, v38, v24
	v_add_co_ci_u32_e32 v21, vcc_lo, v39, v25, vcc_lo
	global_store_b32 v[20:21], v22, off
	s_or_b32 exec_lo, exec_lo, s0
	s_and_b32 s1, s4, s8
	s_delay_alu instid0(SALU_CYCLE_1)
	s_and_saveexec_b32 s0, s1
	s_cbranch_execz .LBB58_337
.LBB58_357:
	v_cmp_ne_u32_e32 vcc_lo, 1, v121
	v_lshlrev_b64 v[20:21], 2, v[72:73]
	s_cbranch_vccnz .LBB58_359
; %bb.358:
	s_delay_alu instid0(VALU_DEP_1) | instskip(NEXT) | instid1(VALU_DEP_2)
	v_add_co_u32 v22, vcc_lo, v40, v20
	v_add_co_ci_u32_e32 v23, vcc_lo, v41, v21, vcc_lo
	flat_load_b32 v22, v[22:23]
	s_waitcnt vmcnt(0) lgkmcnt(0)
	v_mul_f32_e32 v22, s19, v22
	s_branch .LBB58_360
.LBB58_359:
	v_mov_b32_e32 v22, 0
.LBB58_360:
	v_dual_add_f32 v17, v17, v5 :: v_dual_add_f32 v16, v16, v4
	v_dual_add_f32 v19, v19, v7 :: v_dual_add_f32 v18, v18, v6
	s_delay_alu instid0(VALU_DEP_2) | instskip(NEXT) | instid1(VALU_DEP_2)
	v_min3_f32 v16, v16, v17, v84
	v_min_f32_e32 v17, v18, v19
	s_delay_alu instid0(VALU_DEP_1)
	v_min3_f32 v18, v22, v17, v16
	v_add_co_u32 v16, vcc_lo, v38, v20
	v_add_co_ci_u32_e32 v17, vcc_lo, v39, v21, vcc_lo
	global_store_b32 v[16:17], v18, off
	s_or_b32 exec_lo, exec_lo, s0
	s_and_b32 s1, s5, s8
	s_delay_alu instid0(SALU_CYCLE_1)
	s_and_saveexec_b32 s0, s1
	s_cbranch_execz .LBB58_338
.LBB58_361:
	v_cmp_ne_u32_e32 vcc_lo, 1, v121
	v_lshlrev_b64 v[16:17], 2, v[74:75]
	s_cbranch_vccnz .LBB58_363
; %bb.362:
	s_delay_alu instid0(VALU_DEP_1) | instskip(NEXT) | instid1(VALU_DEP_2)
	v_add_co_u32 v18, vcc_lo, v40, v16
	v_add_co_ci_u32_e32 v19, vcc_lo, v41, v17, vcc_lo
	flat_load_b32 v18, v[18:19]
	s_waitcnt vmcnt(0) lgkmcnt(0)
	v_mul_f32_e32 v18, s19, v18
	s_branch .LBB58_364
.LBB58_363:
	v_mov_b32_e32 v18, 0
.LBB58_364:
	v_dual_add_f32 v13, v13, v5 :: v_dual_add_f32 v12, v12, v4
	v_dual_add_f32 v15, v15, v7 :: v_dual_add_f32 v14, v14, v6
	s_delay_alu instid0(VALU_DEP_2) | instskip(NEXT) | instid1(VALU_DEP_2)
	v_min3_f32 v12, v12, v13, v83
	v_min_f32_e32 v13, v14, v15
	s_delay_alu instid0(VALU_DEP_1)
	v_min3_f32 v14, v18, v13, v12
	v_add_co_u32 v12, vcc_lo, v38, v16
	v_add_co_ci_u32_e32 v13, vcc_lo, v39, v17, vcc_lo
	global_store_b32 v[12:13], v14, off
	s_or_b32 exec_lo, exec_lo, s0
	s_and_b32 s1, s6, s8
	s_delay_alu instid0(SALU_CYCLE_1)
	s_and_saveexec_b32 s0, s1
	s_cbranch_execz .LBB58_339
.LBB58_365:
	v_cmp_ne_u32_e32 vcc_lo, 1, v121
	v_lshlrev_b64 v[12:13], 2, v[76:77]
	s_cbranch_vccnz .LBB58_367
; %bb.366:
	s_delay_alu instid0(VALU_DEP_1) | instskip(NEXT) | instid1(VALU_DEP_2)
	v_add_co_u32 v14, vcc_lo, v40, v12
	v_add_co_ci_u32_e32 v15, vcc_lo, v41, v13, vcc_lo
	flat_load_b32 v14, v[14:15]
	s_waitcnt vmcnt(0) lgkmcnt(0)
	v_mul_f32_e32 v14, s19, v14
	s_branch .LBB58_368
.LBB58_367:
	v_mov_b32_e32 v14, 0
.LBB58_368:
	v_dual_add_f32 v9, v9, v5 :: v_dual_add_f32 v8, v8, v4
	v_dual_add_f32 v11, v11, v7 :: v_dual_add_f32 v10, v10, v6
	s_delay_alu instid0(VALU_DEP_2) | instskip(NEXT) | instid1(VALU_DEP_2)
	v_min3_f32 v8, v8, v9, v82
	v_min_f32_e32 v9, v10, v11
	s_delay_alu instid0(VALU_DEP_1)
	v_min3_f32 v10, v14, v9, v8
	v_add_co_u32 v8, vcc_lo, v38, v12
	v_add_co_ci_u32_e32 v9, vcc_lo, v39, v13, vcc_lo
	global_store_b32 v[8:9], v10, off
	s_or_b32 exec_lo, exec_lo, s0
	s_and_b32 s0, s7, s8
	s_delay_alu instid0(SALU_CYCLE_1)
	s_and_saveexec_b32 s1, s0
	s_cbranch_execz .LBB58_340
.LBB58_369:
	v_cmp_ne_u32_e32 vcc_lo, 1, v121
	v_lshlrev_b64 v[8:9], 2, v[78:79]
	s_cbranch_vccnz .LBB58_371
; %bb.370:
	s_delay_alu instid0(VALU_DEP_1) | instskip(NEXT) | instid1(VALU_DEP_2)
	v_add_co_u32 v10, vcc_lo, v40, v8
	v_add_co_ci_u32_e32 v11, vcc_lo, v41, v9, vcc_lo
	flat_load_b32 v10, v[10:11]
	s_waitcnt vmcnt(0) lgkmcnt(0)
	v_mul_f32_e32 v10, s19, v10
	s_branch .LBB58_372
.LBB58_371:
	v_mov_b32_e32 v10, 0
.LBB58_372:
	v_dual_add_f32 v1, v1, v5 :: v_dual_add_f32 v0, v0, v4
	v_dual_add_f32 v3, v3, v7 :: v_dual_add_f32 v2, v2, v6
	s_delay_alu instid0(VALU_DEP_2) | instskip(NEXT) | instid1(VALU_DEP_2)
	v_min3_f32 v0, v0, v1, v92
	v_min_f32_e32 v1, v2, v3
	s_delay_alu instid0(VALU_DEP_1)
	v_min3_f32 v2, v10, v1, v0
	v_add_co_u32 v0, vcc_lo, v38, v8
	v_add_co_ci_u32_e32 v1, vcc_lo, v39, v9, vcc_lo
	global_store_b32 v[0:1], v2, off
	s_nop 0
	s_sendmsg sendmsg(MSG_DEALLOC_VGPRS)
	s_endpgm
	.section	.rodata,"a",@progbits
	.p2align	6, 0x0
	.amdhsa_kernel _ZN12_GLOBAL__N_120geam_min_plus_kernelIf15HIP_vector_typeIfLj2EEfLi32ELi8ELi256ELi64ELi4ELi64ELi4ELi4ELi64ELc78ELc78ELb1ELb1ELb1EfKffEEviiiT16_PT17_ilS6_ilS4_S6_ilPT18_ili26rocblas_geam_ex_operation_
		.amdhsa_group_segment_fixed_size 10240
		.amdhsa_private_segment_fixed_size 0
		.amdhsa_kernarg_size 128
		.amdhsa_user_sgpr_count 14
		.amdhsa_user_sgpr_dispatch_ptr 0
		.amdhsa_user_sgpr_queue_ptr 0
		.amdhsa_user_sgpr_kernarg_segment_ptr 1
		.amdhsa_user_sgpr_dispatch_id 0
		.amdhsa_user_sgpr_private_segment_size 0
		.amdhsa_wavefront_size32 1
		.amdhsa_uses_dynamic_stack 0
		.amdhsa_enable_private_segment 0
		.amdhsa_system_sgpr_workgroup_id_x 1
		.amdhsa_system_sgpr_workgroup_id_y 0
		.amdhsa_system_sgpr_workgroup_id_z 1
		.amdhsa_system_sgpr_workgroup_info 0
		.amdhsa_system_vgpr_workitem_id 1
		.amdhsa_next_free_vgpr 202
		.amdhsa_next_free_sgpr 29
		.amdhsa_reserve_vcc 1
		.amdhsa_float_round_mode_32 0
		.amdhsa_float_round_mode_16_64 0
		.amdhsa_float_denorm_mode_32 3
		.amdhsa_float_denorm_mode_16_64 3
		.amdhsa_dx10_clamp 1
		.amdhsa_ieee_mode 1
		.amdhsa_fp16_overflow 0
		.amdhsa_workgroup_processor_mode 1
		.amdhsa_memory_ordered 1
		.amdhsa_forward_progress 0
		.amdhsa_shared_vgpr_count 0
		.amdhsa_exception_fp_ieee_invalid_op 0
		.amdhsa_exception_fp_denorm_src 0
		.amdhsa_exception_fp_ieee_div_zero 0
		.amdhsa_exception_fp_ieee_overflow 0
		.amdhsa_exception_fp_ieee_underflow 0
		.amdhsa_exception_fp_ieee_inexact 0
		.amdhsa_exception_int_div_zero 0
	.end_amdhsa_kernel
	.section	.text._ZN12_GLOBAL__N_120geam_min_plus_kernelIf15HIP_vector_typeIfLj2EEfLi32ELi8ELi256ELi64ELi4ELi64ELi4ELi4ELi64ELc78ELc78ELb1ELb1ELb1EfKffEEviiiT16_PT17_ilS6_ilS4_S6_ilPT18_ili26rocblas_geam_ex_operation_,"axG",@progbits,_ZN12_GLOBAL__N_120geam_min_plus_kernelIf15HIP_vector_typeIfLj2EEfLi32ELi8ELi256ELi64ELi4ELi64ELi4ELi4ELi64ELc78ELc78ELb1ELb1ELb1EfKffEEviiiT16_PT17_ilS6_ilS4_S6_ilPT18_ili26rocblas_geam_ex_operation_,comdat
.Lfunc_end58:
	.size	_ZN12_GLOBAL__N_120geam_min_plus_kernelIf15HIP_vector_typeIfLj2EEfLi32ELi8ELi256ELi64ELi4ELi64ELi4ELi4ELi64ELc78ELc78ELb1ELb1ELb1EfKffEEviiiT16_PT17_ilS6_ilS4_S6_ilPT18_ili26rocblas_geam_ex_operation_, .Lfunc_end58-_ZN12_GLOBAL__N_120geam_min_plus_kernelIf15HIP_vector_typeIfLj2EEfLi32ELi8ELi256ELi64ELi4ELi64ELi4ELi4ELi64ELc78ELc78ELb1ELb1ELb1EfKffEEviiiT16_PT17_ilS6_ilS4_S6_ilPT18_ili26rocblas_geam_ex_operation_
                                        ; -- End function
	.section	.AMDGPU.csdata,"",@progbits
; Kernel info:
; codeLenInByte = 20716
; NumSgprs: 31
; NumVgprs: 202
; ScratchSize: 0
; MemoryBound: 0
; FloatMode: 240
; IeeeMode: 1
; LDSByteSize: 10240 bytes/workgroup (compile time only)
; SGPRBlocks: 3
; VGPRBlocks: 25
; NumSGPRsForWavesPerEU: 31
; NumVGPRsForWavesPerEU: 202
; Occupancy: 7
; WaveLimiterHint : 0
; COMPUTE_PGM_RSRC2:SCRATCH_EN: 0
; COMPUTE_PGM_RSRC2:USER_SGPR: 14
; COMPUTE_PGM_RSRC2:TRAP_HANDLER: 0
; COMPUTE_PGM_RSRC2:TGID_X_EN: 1
; COMPUTE_PGM_RSRC2:TGID_Y_EN: 0
; COMPUTE_PGM_RSRC2:TGID_Z_EN: 1
; COMPUTE_PGM_RSRC2:TIDIG_COMP_CNT: 1
	.section	.text._ZN12_GLOBAL__N_120geam_min_plus_kernelIf15HIP_vector_typeIfLj2EEfLi32ELi8ELi256ELi64ELi4ELi64ELi4ELi4ELi64ELc78ELc78ELb0ELb1ELb1EfKffEEviiiT16_PT17_ilS6_ilS4_S6_ilPT18_ili26rocblas_geam_ex_operation_,"axG",@progbits,_ZN12_GLOBAL__N_120geam_min_plus_kernelIf15HIP_vector_typeIfLj2EEfLi32ELi8ELi256ELi64ELi4ELi64ELi4ELi4ELi64ELc78ELc78ELb0ELb1ELb1EfKffEEviiiT16_PT17_ilS6_ilS4_S6_ilPT18_ili26rocblas_geam_ex_operation_,comdat
	.globl	_ZN12_GLOBAL__N_120geam_min_plus_kernelIf15HIP_vector_typeIfLj2EEfLi32ELi8ELi256ELi64ELi4ELi64ELi4ELi4ELi64ELc78ELc78ELb0ELb1ELb1EfKffEEviiiT16_PT17_ilS6_ilS4_S6_ilPT18_ili26rocblas_geam_ex_operation_ ; -- Begin function _ZN12_GLOBAL__N_120geam_min_plus_kernelIf15HIP_vector_typeIfLj2EEfLi32ELi8ELi256ELi64ELi4ELi64ELi4ELi4ELi64ELc78ELc78ELb0ELb1ELb1EfKffEEviiiT16_PT17_ilS6_ilS4_S6_ilPT18_ili26rocblas_geam_ex_operation_
	.p2align	8
	.type	_ZN12_GLOBAL__N_120geam_min_plus_kernelIf15HIP_vector_typeIfLj2EEfLi32ELi8ELi256ELi64ELi4ELi64ELi4ELi4ELi64ELc78ELc78ELb0ELb1ELb1EfKffEEviiiT16_PT17_ilS6_ilS4_S6_ilPT18_ili26rocblas_geam_ex_operation_,@function
_ZN12_GLOBAL__N_120geam_min_plus_kernelIf15HIP_vector_typeIfLj2EEfLi32ELi8ELi256ELi64ELi4ELi64ELi4ELi4ELi64ELc78ELc78ELb0ELb1ELb1EfKffEEviiiT16_PT17_ilS6_ilS4_S6_ilPT18_ili26rocblas_geam_ex_operation_: ; @_ZN12_GLOBAL__N_120geam_min_plus_kernelIf15HIP_vector_typeIfLj2EEfLi32ELi8ELi256ELi64ELi4ELi64ELi4ELi4ELi64ELc78ELc78ELb0ELb1ELb1EfKffEEviiiT16_PT17_ilS6_ilS4_S6_ilPT18_ili26rocblas_geam_ex_operation_
; %bb.0:
	s_clause 0x1
	s_load_b128 s[16:19], s[0:1], 0x0
	s_load_b128 s[4:7], s[0:1], 0x20
	s_waitcnt lgkmcnt(0)
	v_cmp_eq_f32_e64 s2, s19, 0
	s_delay_alu instid0(VALU_DEP_1)
	s_and_b32 vcc_lo, exec_lo, s2
	s_cbranch_vccnz .LBB59_3
; %bb.1:
	s_load_b64 s[8:9], s[0:1], 0x10
	s_mul_i32 s3, s15, s5
	s_mul_hi_u32 s5, s15, s4
	s_mul_i32 s4, s15, s4
	s_add_i32 s5, s5, s3
	s_delay_alu instid0(SALU_CYCLE_1)
	s_lshl_b64 s[4:5], s[4:5], 2
	s_waitcnt lgkmcnt(0)
	s_add_u32 s20, s8, s4
	s_addc_u32 s21, s9, s5
	s_and_not1_b32 vcc_lo, exec_lo, s2
	s_cbranch_vccnz .LBB59_4
.LBB59_2:
	s_mov_b32 s26, 0
	s_mov_b64 s[22:23], 0
	s_cbranch_execz .LBB59_5
	s_branch .LBB59_6
.LBB59_3:
	s_mov_b64 s[20:21], 0
	s_and_not1_b32 vcc_lo, exec_lo, s2
	s_cbranch_vccz .LBB59_2
.LBB59_4:
	s_mov_b32 s26, -1
                                        ; implicit-def: $sgpr22_sgpr23
.LBB59_5:
	s_load_b64 s[2:3], s[0:1], 0x38
	s_mov_b32 s26, 0
	s_waitcnt lgkmcnt(0)
	s_mul_i32 s3, s15, s3
	s_mul_hi_u32 s4, s15, s2
	s_mul_i32 s2, s15, s2
	s_add_i32 s3, s4, s3
	s_delay_alu instid0(SALU_CYCLE_1) | instskip(NEXT) | instid1(SALU_CYCLE_1)
	s_lshl_b64 s[2:3], s[2:3], 2
	s_add_u32 s22, s6, s2
	s_addc_u32 s23, s7, s3
.LBB59_6:
	s_clause 0x1
	s_load_b32 s24, s[0:1], 0x40
	s_load_b128 s[8:11], s[0:1], 0x58
	s_waitcnt lgkmcnt(0)
	v_cmp_eq_f32_e64 s2, s24, 0
	v_cmp_neq_f32_e64 s25, s24, 0
	s_delay_alu instid0(VALU_DEP_2)
	s_and_b32 vcc_lo, exec_lo, s2
	s_cbranch_vccnz .LBB59_8
; %bb.7:
	s_load_b64 s[2:3], s[0:1], 0x48
	s_mul_i32 s4, s15, s9
	s_mul_hi_u32 s5, s15, s8
	s_delay_alu instid0(SALU_CYCLE_1) | instskip(SKIP_1) | instid1(SALU_CYCLE_1)
	s_add_i32 s4, s5, s4
	s_mul_i32 s5, s26, s8
	s_add_i32 s5, s4, s5
	s_mul_i32 s4, s15, s8
	s_delay_alu instid0(SALU_CYCLE_1)
	s_lshl_b64 s[4:5], s[4:5], 2
	s_waitcnt lgkmcnt(0)
	s_add_u32 s12, s2, s4
	s_addc_u32 s13, s3, s5
	s_branch .LBB59_9
.LBB59_8:
	s_mov_b64 s[12:13], 0
.LBB59_9:
	s_add_i32 s2, s16, -1
	v_and_b32_e32 v68, 0x3ff, v0
	s_ashr_i32 s3, s2, 31
	v_bfe_u32 v69, v0, 10, 10
	s_lshr_b32 s3, s3, 24
	s_load_b32 s27, s[0:1], 0x18
	s_add_i32 s2, s2, s3
	s_delay_alu instid0(VALU_DEP_1) | instskip(SKIP_1) | instid1(SALU_CYCLE_1)
	v_lshl_add_u32 v5, v69, 5, v68
	s_ashr_i32 s2, s2, 8
	s_add_i32 s3, s2, 1
	s_not_b32 s2, s2
	v_cvt_f32_u32_e32 v1, s3
	v_lshrrev_b32_e32 v70, 6, v5
	v_and_b32_e32 v0, 63, v5
	s_delay_alu instid0(VALU_DEP_3) | instskip(SKIP_2) | instid1(VALU_DEP_1)
	v_rcp_iflag_f32_e32 v1, v1
	s_waitcnt_depctr 0xfff
	v_mul_f32_e32 v1, 0x4f7ffffe, v1
	v_cvt_u32_f32_e32 v1, v1
	s_delay_alu instid0(VALU_DEP_1) | instskip(NEXT) | instid1(VALU_DEP_1)
	v_readfirstlane_b32 s4, v1
	s_mul_i32 s2, s2, s4
	s_delay_alu instid0(SALU_CYCLE_1) | instskip(NEXT) | instid1(SALU_CYCLE_1)
	s_mul_hi_u32 s2, s4, s2
	s_add_i32 s4, s4, s2
	s_delay_alu instid0(SALU_CYCLE_1) | instskip(NEXT) | instid1(SALU_CYCLE_1)
	s_mul_hi_u32 s2, s14, s4
	s_mul_i32 s4, s2, s3
	s_add_i32 s5, s2, 1
	s_sub_i32 s4, s14, s4
	s_delay_alu instid0(SALU_CYCLE_1)
	s_sub_i32 s6, s4, s3
	s_cmp_ge_u32 s4, s3
	s_cselect_b32 s2, s5, s2
	s_cselect_b32 s4, s6, s4
	s_add_i32 s5, s2, 1
	s_cmp_ge_u32 s4, s3
	s_cselect_b32 s6, s5, s2
	s_add_i32 s28, s18, -1
	s_mul_i32 s2, s6, s3
	v_min_i32_e32 v3, s28, v70
	s_sub_i32 s2, s14, s2
	v_cmp_le_i32_e64 s5, s18, v70
	s_lshl_b32 s8, s2, 8
	v_cmp_eq_f32_e64 s14, s19, 0
	s_waitcnt lgkmcnt(0)
	v_mad_i64_i32 v[1:2], null, s27, v3, 0
	v_or_b32_e32 v64, s8, v0
	s_delay_alu instid0(VALU_DEP_1) | instskip(NEXT) | instid1(VALU_DEP_3)
	v_cmp_le_i32_e32 vcc_lo, s16, v64
	v_lshlrev_b64 v[2:3], 2, v[1:2]
	v_ashrrev_i32_e32 v65, 31, v64
	s_or_b32 s3, vcc_lo, s5
	s_delay_alu instid0(VALU_DEP_2) | instskip(SKIP_1) | instid1(VALU_DEP_4)
	v_add_co_u32 v6, s2, s20, v2
	v_cndmask_b32_e64 v1, 0, 0x7f7fffff, s3
	v_add_co_ci_u32_e64 v7, s2, s21, v3, s2
	s_or_b32 s2, s14, s3
	s_delay_alu instid0(SALU_CYCLE_1) | instskip(NEXT) | instid1(SALU_CYCLE_1)
	s_xor_b32 s2, s2, -1
	s_and_saveexec_b32 s3, s2
	s_cbranch_execz .LBB59_11
; %bb.10:
	v_lshlrev_b64 v[1:2], 2, v[64:65]
	s_delay_alu instid0(VALU_DEP_1) | instskip(NEXT) | instid1(VALU_DEP_1)
	v_add_co_u32 v1, s2, v6, v1
	v_add_co_ci_u32_e64 v2, s2, v7, v2, s2
	flat_load_b32 v1, v[1:2]
	s_waitcnt vmcnt(0) lgkmcnt(0)
	v_mul_f32_e32 v1, s19, v1
.LBB59_11:
	s_or_b32 exec_lo, exec_lo, s3
	v_or_b32_e32 v2, 64, v64
	s_delay_alu instid0(VALU_DEP_1) | instskip(NEXT) | instid1(VALU_DEP_1)
	v_cmp_le_i32_e64 s2, s16, v2
	s_or_b32 s3, s2, s5
	s_delay_alu instid0(SALU_CYCLE_1) | instskip(SKIP_1) | instid1(SALU_CYCLE_1)
	v_cndmask_b32_e64 v2, 0, 0x7f7fffff, s3
	s_or_b32 s3, s14, s3
	s_xor_b32 s3, s3, -1
	s_delay_alu instid0(SALU_CYCLE_1)
	s_and_saveexec_b32 s4, s3
	s_cbranch_execz .LBB59_13
; %bb.12:
	v_lshlrev_b64 v[2:3], 2, v[64:65]
	s_delay_alu instid0(VALU_DEP_1) | instskip(NEXT) | instid1(VALU_DEP_1)
	v_add_co_u32 v2, s3, v6, v2
	v_add_co_ci_u32_e64 v3, s3, v7, v3, s3
	flat_load_b32 v2, v[2:3] offset:256
	s_waitcnt vmcnt(0) lgkmcnt(0)
	v_mul_f32_e32 v2, s19, v2
.LBB59_13:
	s_or_b32 exec_lo, exec_lo, s4
	v_or_b32_e32 v3, 0x80, v64
	s_delay_alu instid0(VALU_DEP_1) | instskip(NEXT) | instid1(VALU_DEP_1)
	v_cmp_le_i32_e64 s3, s16, v3
	s_or_b32 s4, s3, s5
	s_delay_alu instid0(SALU_CYCLE_1) | instskip(SKIP_1) | instid1(SALU_CYCLE_1)
	v_cndmask_b32_e64 v3, 0, 0x7f7fffff, s4
	s_or_b32 s4, s14, s4
	s_xor_b32 s4, s4, -1
	s_delay_alu instid0(SALU_CYCLE_1)
	s_and_saveexec_b32 s7, s4
	s_cbranch_execz .LBB59_15
; %bb.14:
	v_lshlrev_b64 v[3:4], 2, v[64:65]
	s_delay_alu instid0(VALU_DEP_1) | instskip(NEXT) | instid1(VALU_DEP_1)
	v_add_co_u32 v3, s4, v6, v3
	v_add_co_ci_u32_e64 v4, s4, v7, v4, s4
	flat_load_b32 v3, v[3:4] offset:512
	s_waitcnt vmcnt(0) lgkmcnt(0)
	v_mul_f32_e32 v3, s19, v3
.LBB59_15:
	;; [unrolled: 21-line block ×3, first 2 shown]
	s_or_b32 exec_lo, exec_lo, s7
	v_lshrrev_b32_e32 v5, 2, v5
	s_load_b32 s29, s[0:1], 0x30
	s_lshl_b32 s9, s6, 6
	v_and_b32_e32 v73, 3, v68
	s_delay_alu instid0(VALU_DEP_2) | instskip(NEXT) | instid1(VALU_DEP_2)
	v_add_nc_u32_e32 v66, s9, v5
	v_cmp_le_i32_e64 s6, s18, v73
	s_delay_alu instid0(VALU_DEP_2) | instskip(NEXT) | instid1(VALU_DEP_1)
	v_cmp_le_i32_e64 s5, s17, v66
	s_or_b32 s6, s6, s5
	s_delay_alu instid0(SALU_CYCLE_1) | instskip(SKIP_1) | instid1(SALU_CYCLE_1)
	v_cndmask_b32_e64 v6, 0, 0x7f7fffff, s6
	s_or_b32 s6, s14, s6
	s_xor_b32 s6, s6, -1
	s_delay_alu instid0(SALU_CYCLE_1)
	s_and_saveexec_b32 s7, s6
	s_cbranch_execz .LBB59_19
; %bb.18:
	s_waitcnt lgkmcnt(0)
	v_mad_i64_i32 v[6:7], null, v66, s29, 0
	v_min_u32_e32 v8, s28, v73
	s_delay_alu instid0(VALU_DEP_1) | instskip(NEXT) | instid1(VALU_DEP_3)
	v_lshlrev_b32_e32 v8, 2, v8
	v_lshlrev_b64 v[6:7], 2, v[6:7]
	s_delay_alu instid0(VALU_DEP_1) | instskip(NEXT) | instid1(VALU_DEP_1)
	v_add_co_u32 v6, s6, s22, v6
	v_add_co_ci_u32_e64 v7, s6, s23, v7, s6
	s_delay_alu instid0(VALU_DEP_2) | instskip(NEXT) | instid1(VALU_DEP_1)
	v_add_co_u32 v6, s6, v6, v8
	v_add_co_ci_u32_e64 v7, s6, 0, v7, s6
	flat_load_b32 v6, v[6:7]
	s_waitcnt vmcnt(0) lgkmcnt(0)
	v_mul_f32_e32 v6, s19, v6
.LBB59_19:
	s_or_b32 exec_lo, exec_lo, s7
	v_add_nc_u32_e32 v9, 4, v70
	s_delay_alu instid0(VALU_DEP_1) | instskip(SKIP_1) | instid1(VALU_DEP_2)
	v_min_i32_e32 v10, s28, v9
	v_cmp_le_i32_e64 s6, s18, v9
	v_mad_i64_i32 v[7:8], null, s27, v10, 0
	s_delay_alu instid0(VALU_DEP_1) | instskip(NEXT) | instid1(VALU_DEP_1)
	v_lshlrev_b64 v[7:8], 2, v[7:8]
	v_add_co_u32 v7, s7, s20, v7
	s_delay_alu instid0(VALU_DEP_1) | instskip(SKIP_1) | instid1(SALU_CYCLE_1)
	v_add_co_ci_u32_e64 v8, s7, s21, v8, s7
	s_or_b32 s7, vcc_lo, s6
	v_cndmask_b32_e64 v67, 0, 0x7f7fffff, s7
	s_or_b32 s7, s14, s7
	s_delay_alu instid0(SALU_CYCLE_1) | instskip(NEXT) | instid1(SALU_CYCLE_1)
	s_xor_b32 s7, s7, -1
	s_and_saveexec_b32 s30, s7
	s_cbranch_execz .LBB59_21
; %bb.20:
	v_lshlrev_b64 v[9:10], 2, v[64:65]
	s_delay_alu instid0(VALU_DEP_1) | instskip(NEXT) | instid1(VALU_DEP_1)
	v_add_co_u32 v9, s7, v7, v9
	v_add_co_ci_u32_e64 v10, s7, v8, v10, s7
	flat_load_b32 v9, v[9:10]
	s_waitcnt vmcnt(0) lgkmcnt(0)
	v_mul_f32_e32 v67, s19, v9
.LBB59_21:
	s_or_b32 exec_lo, exec_lo, s30
	s_or_b32 s7, s2, s6
	s_delay_alu instid0(SALU_CYCLE_1) | instskip(SKIP_1) | instid1(SALU_CYCLE_1)
	v_cndmask_b32_e64 v121, 0, 0x7f7fffff, s7
	s_or_b32 s7, s14, s7
	s_xor_b32 s7, s7, -1
	s_delay_alu instid0(SALU_CYCLE_1)
	s_and_saveexec_b32 s30, s7
	s_cbranch_execz .LBB59_23
; %bb.22:
	v_lshlrev_b64 v[9:10], 2, v[64:65]
	s_delay_alu instid0(VALU_DEP_1) | instskip(NEXT) | instid1(VALU_DEP_1)
	v_add_co_u32 v9, s7, v7, v9
	v_add_co_ci_u32_e64 v10, s7, v8, v10, s7
	flat_load_b32 v9, v[9:10] offset:256
	s_waitcnt vmcnt(0) lgkmcnt(0)
	v_mul_f32_e32 v121, s19, v9
.LBB59_23:
	s_or_b32 exec_lo, exec_lo, s30
	s_or_b32 s7, s3, s6
	s_delay_alu instid0(SALU_CYCLE_1) | instskip(SKIP_1) | instid1(SALU_CYCLE_1)
	v_cndmask_b32_e64 v132, 0, 0x7f7fffff, s7
	s_or_b32 s7, s14, s7
	s_xor_b32 s7, s7, -1
	s_delay_alu instid0(SALU_CYCLE_1)
	s_and_saveexec_b32 s30, s7
	s_cbranch_execz .LBB59_25
; %bb.24:
	v_lshlrev_b64 v[9:10], 2, v[64:65]
	s_delay_alu instid0(VALU_DEP_1) | instskip(NEXT) | instid1(VALU_DEP_1)
	v_add_co_u32 v9, s7, v7, v9
	v_add_co_ci_u32_e64 v10, s7, v8, v10, s7
	flat_load_b32 v9, v[9:10] offset:512
	s_waitcnt vmcnt(0) lgkmcnt(0)
	v_mul_f32_e32 v132, s19, v9
.LBB59_25:
	;; [unrolled: 18-line block ×3, first 2 shown]
	s_or_b32 exec_lo, exec_lo, s7
	v_or_b32_e32 v7, 4, v73
	s_delay_alu instid0(VALU_DEP_1) | instskip(NEXT) | instid1(VALU_DEP_1)
	v_cmp_le_i32_e64 s6, s18, v7
	s_or_b32 s6, s6, s5
	s_delay_alu instid0(SALU_CYCLE_1) | instskip(SKIP_1) | instid1(SALU_CYCLE_1)
	v_cndmask_b32_e64 v144, 0, 0x7f7fffff, s6
	s_or_b32 s6, s14, s6
	s_xor_b32 s6, s6, -1
	s_delay_alu instid0(SALU_CYCLE_1)
	s_and_saveexec_b32 s7, s6
	s_cbranch_execz .LBB59_29
; %bb.28:
	s_waitcnt lgkmcnt(0)
	v_mad_i64_i32 v[8:9], null, v66, s29, 0
	v_min_u32_e32 v10, s28, v7
	s_delay_alu instid0(VALU_DEP_2) | instskip(NEXT) | instid1(VALU_DEP_2)
	v_lshlrev_b64 v[7:8], 2, v[8:9]
	v_lshlrev_b32_e32 v9, 2, v10
	s_delay_alu instid0(VALU_DEP_2) | instskip(NEXT) | instid1(VALU_DEP_1)
	v_add_co_u32 v7, s6, s22, v7
	v_add_co_ci_u32_e64 v8, s6, s23, v8, s6
	s_delay_alu instid0(VALU_DEP_2) | instskip(NEXT) | instid1(VALU_DEP_1)
	v_add_co_u32 v7, s6, v7, v9
	v_add_co_ci_u32_e64 v8, s6, 0, v8, s6
	flat_load_b32 v7, v[7:8]
	s_waitcnt vmcnt(0) lgkmcnt(0)
	v_mul_f32_e32 v144, s19, v7
.LBB59_29:
	s_or_b32 exec_lo, exec_lo, s7
	v_lshlrev_b32_e32 v7, 2, v70
	v_lshlrev_b32_e32 v142, 2, v73
	;; [unrolled: 1-line block ×3, first 2 shown]
	s_cmp_lt_i32 s18, 9
	s_delay_alu instid0(VALU_DEP_3) | instskip(NEXT) | instid1(VALU_DEP_3)
	v_lshl_add_u32 v74, v0, 4, v7
	v_lshl_or_b32 v143, v5, 4, v142
	ds_store_2addr_stride64_b32 v74, v1, v2 offset1:4
	ds_store_2addr_stride64_b32 v74, v3, v4 offset0:8 offset1:12
	ds_store_b32 v143, v6 offset:8192
	s_waitcnt lgkmcnt(0)
	s_barrier
	buffer_gl0_inv
	ds_load_b128 v[32:35], v71
	ds_load_b128 v[28:31], v71 offset:512
	ds_load_b128 v[24:27], v71 offset:1024
	;; [unrolled: 1-line block ×7, first 2 shown]
	v_lshlrev_b32_e32 v72, 4, v69
	ds_load_b128 v[60:63], v72 offset:8192
	ds_load_b128 v[56:59], v72 offset:8320
	;; [unrolled: 1-line block ×8, first 2 shown]
	ds_store_2addr_stride64_b32 v74, v67, v121 offset0:16 offset1:20
	ds_store_2addr_stride64_b32 v74, v132, v141 offset0:24 offset1:28
	ds_store_b32 v143, v144 offset:9216
	s_waitcnt lgkmcnt(0)
	s_barrier
	buffer_gl0_inv
	v_add_f32_e32 v79, v16, v60
	v_dual_add_f32 v75, v33, v61 :: v_dual_add_f32 v78, v24, v60
	v_add_f32_e32 v76, v32, v60
	v_add_f32_e32 v77, v28, v60
	;; [unrolled: 1-line block ×4, first 2 shown]
	s_delay_alu instid0(VALU_DEP_4) | instskip(SKIP_1) | instid1(VALU_DEP_1)
	v_min3_f32 v75, v76, v75, 0x7f7fffff
	v_add_f32_e32 v76, v29, v61
	v_min3_f32 v76, v77, v76, 0x7f7fffff
	v_add_f32_e32 v77, v25, v61
	s_delay_alu instid0(VALU_DEP_1) | instskip(SKIP_1) | instid1(VALU_DEP_1)
	v_min3_f32 v77, v78, v77, 0x7f7fffff
	v_add_f32_e32 v78, v17, v61
	v_min3_f32 v78, v79, v78, 0x7f7fffff
	v_add_f32_e32 v79, v13, v61
	s_delay_alu instid0(VALU_DEP_1) | instskip(SKIP_1) | instid1(VALU_DEP_1)
	v_min3_f32 v80, v80, v79, 0x7f7fffff
	v_add_f32_e32 v79, v9, v61
	v_min3_f32 v117, v81, v79, 0x7f7fffff
	v_add_f32_e32 v79, v5, v61
	v_add_f32_e32 v81, v4, v60
	v_dual_add_f32 v61, v1, v61 :: v_dual_add_f32 v60, v0, v60
	s_delay_alu instid0(VALU_DEP_1) | instskip(SKIP_1) | instid1(VALU_DEP_1)
	v_min3_f32 v119, v60, v61, 0x7f7fffff
	v_dual_add_f32 v60, v33, v57 :: v_dual_add_f32 v61, v32, v56
	v_min3_f32 v116, v61, v60, 0x7f7fffff
	v_dual_add_f32 v60, v29, v57 :: v_dual_add_f32 v61, v28, v56
	s_delay_alu instid0(VALU_DEP_1) | instskip(SKIP_1) | instid1(VALU_DEP_1)
	v_min3_f32 v115, v61, v60, 0x7f7fffff
	v_dual_add_f32 v60, v25, v57 :: v_dual_add_f32 v61, v24, v56
	v_min3_f32 v114, v61, v60, 0x7f7fffff
	;; [unrolled: 5-line block ×3, first 2 shown]
	v_dual_add_f32 v60, v9, v57 :: v_dual_add_f32 v61, v8, v56
	s_delay_alu instid0(VALU_DEP_1) | instskip(SKIP_2) | instid1(VALU_DEP_1)
	v_min3_f32 v111, v61, v60, 0x7f7fffff
	v_dual_add_f32 v60, v5, v57 :: v_dual_add_f32 v61, v4, v56
	v_dual_add_f32 v57, v1, v57 :: v_dual_add_f32 v56, v0, v56
	v_min3_f32 v109, v56, v57, 0x7f7fffff
	v_dual_add_f32 v56, v33, v53 :: v_dual_add_f32 v57, v32, v52
	s_delay_alu instid0(VALU_DEP_4) | instskip(NEXT) | instid1(VALU_DEP_2)
	v_min3_f32 v110, v61, v60, 0x7f7fffff
	v_min3_f32 v108, v57, v56, 0x7f7fffff
	v_dual_add_f32 v56, v29, v53 :: v_dual_add_f32 v57, v28, v52
	s_delay_alu instid0(VALU_DEP_1) | instskip(SKIP_1) | instid1(VALU_DEP_1)
	v_min3_f32 v107, v57, v56, 0x7f7fffff
	v_dual_add_f32 v56, v25, v53 :: v_dual_add_f32 v57, v24, v52
	v_min3_f32 v106, v57, v56, 0x7f7fffff
	v_dual_add_f32 v56, v17, v53 :: v_dual_add_f32 v57, v16, v52
	s_delay_alu instid0(VALU_DEP_1) | instskip(SKIP_1) | instid1(VALU_DEP_1)
	v_min3_f32 v105, v57, v56, 0x7f7fffff
	v_dual_add_f32 v56, v13, v53 :: v_dual_add_f32 v57, v12, v52
	v_min3_f32 v104, v57, v56, 0x7f7fffff
	v_dual_add_f32 v56, v9, v53 :: v_dual_add_f32 v57, v8, v52
	s_delay_alu instid0(VALU_DEP_1) | instskip(SKIP_4) | instid1(VALU_DEP_3)
	v_min3_f32 v103, v57, v56, 0x7f7fffff
	v_dual_add_f32 v56, v5, v53 :: v_dual_add_f32 v57, v4, v52
	v_dual_add_f32 v53, v1, v53 :: v_dual_add_f32 v52, v0, v52
	v_min3_f32 v118, v81, v79, 0x7f7fffff
	v_add_f32_e32 v79, v4, v36
	v_min3_f32 v101, v52, v53, 0x7f7fffff
	v_dual_add_f32 v52, v33, v49 :: v_dual_add_f32 v53, v32, v48
	v_min3_f32 v102, v57, v56, 0x7f7fffff
	s_delay_alu instid0(VALU_DEP_2) | instskip(SKIP_1) | instid1(VALU_DEP_1)
	v_min3_f32 v100, v53, v52, 0x7f7fffff
	v_dual_add_f32 v52, v29, v49 :: v_dual_add_f32 v53, v28, v48
	v_min3_f32 v99, v53, v52, 0x7f7fffff
	v_dual_add_f32 v52, v25, v49 :: v_dual_add_f32 v53, v24, v48
	s_delay_alu instid0(VALU_DEP_1) | instskip(SKIP_1) | instid1(VALU_DEP_1)
	v_min3_f32 v98, v53, v52, 0x7f7fffff
	v_dual_add_f32 v52, v17, v49 :: v_dual_add_f32 v53, v16, v48
	v_min3_f32 v97, v53, v52, 0x7f7fffff
	v_dual_add_f32 v52, v13, v49 :: v_dual_add_f32 v53, v12, v48
	s_delay_alu instid0(VALU_DEP_1) | instskip(SKIP_1) | instid1(VALU_DEP_1)
	v_min3_f32 v96, v53, v52, 0x7f7fffff
	v_dual_add_f32 v52, v9, v49 :: v_dual_add_f32 v53, v8, v48
	v_min3_f32 v95, v53, v52, 0x7f7fffff
	v_dual_add_f32 v52, v5, v49 :: v_dual_add_f32 v53, v4, v48
	v_dual_add_f32 v49, v1, v49 :: v_dual_add_f32 v48, v0, v48
	s_delay_alu instid0(VALU_DEP_1) | instskip(SKIP_1) | instid1(VALU_DEP_4)
	v_min3_f32 v93, v48, v49, 0x7f7fffff
	v_dual_add_f32 v48, v33, v45 :: v_dual_add_f32 v49, v32, v44
	v_min3_f32 v94, v53, v52, 0x7f7fffff
	s_delay_alu instid0(VALU_DEP_2) | instskip(SKIP_1) | instid1(VALU_DEP_1)
	v_min3_f32 v92, v49, v48, 0x7f7fffff
	v_dual_add_f32 v48, v29, v45 :: v_dual_add_f32 v49, v28, v44
	v_min3_f32 v91, v49, v48, 0x7f7fffff
	v_dual_add_f32 v48, v25, v45 :: v_dual_add_f32 v49, v24, v44
	s_delay_alu instid0(VALU_DEP_1) | instskip(SKIP_1) | instid1(VALU_DEP_1)
	v_min3_f32 v90, v49, v48, 0x7f7fffff
	v_dual_add_f32 v48, v17, v45 :: v_dual_add_f32 v49, v16, v44
	v_min3_f32 v89, v49, v48, 0x7f7fffff
	v_dual_add_f32 v48, v13, v45 :: v_dual_add_f32 v49, v12, v44
	s_delay_alu instid0(VALU_DEP_1) | instskip(SKIP_1) | instid1(VALU_DEP_1)
	v_min3_f32 v88, v49, v48, 0x7f7fffff
	v_dual_add_f32 v48, v9, v45 :: v_dual_add_f32 v49, v8, v44
	v_min3_f32 v87, v49, v48, 0x7f7fffff
	v_dual_add_f32 v48, v5, v45 :: v_dual_add_f32 v49, v4, v44
	v_dual_add_f32 v45, v1, v45 :: v_dual_add_f32 v44, v0, v44
	s_delay_alu instid0(VALU_DEP_1) | instskip(SKIP_1) | instid1(VALU_DEP_4)
	v_min3_f32 v85, v44, v45, 0x7f7fffff
	v_dual_add_f32 v44, v33, v41 :: v_dual_add_f32 v45, v32, v40
	v_min3_f32 v86, v49, v48, 0x7f7fffff
	s_delay_alu instid0(VALU_DEP_2) | instskip(SKIP_1) | instid1(VALU_DEP_1)
	v_min3_f32 v84, v45, v44, 0x7f7fffff
	v_dual_add_f32 v44, v29, v41 :: v_dual_add_f32 v45, v28, v40
	v_min3_f32 v83, v45, v44, 0x7f7fffff
	v_dual_add_f32 v44, v25, v41 :: v_dual_add_f32 v45, v24, v40
	s_delay_alu instid0(VALU_DEP_1) | instskip(SKIP_1) | instid1(VALU_DEP_1)
	v_min3_f32 v82, v45, v44, 0x7f7fffff
	v_dual_add_f32 v44, v17, v41 :: v_dual_add_f32 v45, v16, v40
	v_min3_f32 v61, v45, v44, 0x7f7fffff
	v_dual_add_f32 v44, v13, v41 :: v_dual_add_f32 v45, v12, v40
	s_delay_alu instid0(VALU_DEP_1) | instskip(SKIP_1) | instid1(VALU_DEP_1)
	v_min3_f32 v60, v45, v44, 0x7f7fffff
	v_dual_add_f32 v44, v9, v41 :: v_dual_add_f32 v45, v8, v40
	v_min3_f32 v57, v45, v44, 0x7f7fffff
	v_dual_add_f32 v44, v5, v41 :: v_dual_add_f32 v45, v4, v40
	v_dual_add_f32 v41, v1, v41 :: v_dual_add_f32 v40, v0, v40
	v_add_f32_e32 v4, v4, v20
	s_delay_alu instid0(VALU_DEP_2) | instskip(SKIP_3) | instid1(VALU_DEP_3)
	v_min3_f32 v53, v40, v41, 0x7f7fffff
	v_dual_add_f32 v40, v33, v37 :: v_dual_add_f32 v41, v32, v36
	v_min3_f32 v56, v45, v44, 0x7f7fffff
	v_dual_add_f32 v33, v33, v21 :: v_dual_add_f32 v32, v32, v20
	;; [unrolled: 2-line block ×3, first 2 shown]
	v_dual_add_f32 v29, v29, v21 :: v_dual_add_f32 v28, v28, v20
	s_delay_alu instid0(VALU_DEP_2) | instskip(SKIP_2) | instid1(VALU_DEP_2)
	v_min3_f32 v49, v41, v40, 0x7f7fffff
	v_dual_add_f32 v40, v25, v37 :: v_dual_add_f32 v41, v24, v36
	v_dual_add_f32 v24, v24, v20 :: v_dual_add_f32 v25, v25, v21
	v_min3_f32 v48, v41, v40, 0x7f7fffff
	v_dual_add_f32 v40, v17, v37 :: v_dual_add_f32 v41, v16, v36
	v_dual_add_f32 v17, v17, v21 :: v_dual_add_f32 v16, v16, v20
	v_min3_f32 v32, v32, v33, 0x7f7fffff
	s_delay_alu instid0(VALU_DEP_3) | instskip(SKIP_4) | instid1(VALU_DEP_4)
	v_min3_f32 v45, v41, v40, 0x7f7fffff
	v_dual_add_f32 v40, v13, v37 :: v_dual_add_f32 v41, v12, v36
	v_dual_add_f32 v13, v13, v21 :: v_dual_add_f32 v12, v12, v20
	v_min3_f32 v28, v28, v29, 0x7f7fffff
	v_min3_f32 v16, v16, v17, 0x7f7fffff
	;; [unrolled: 1-line block ×3, first 2 shown]
	v_dual_add_f32 v40, v9, v37 :: v_dual_add_f32 v41, v8, v36
	v_add_f32_e32 v36, v0, v36
	v_add_f32_e32 v0, v0, v20
	v_add_f32_e32 v8, v8, v20
	v_min3_f32 v24, v24, v25, 0x7f7fffff
	v_min3_f32 v41, v41, v40, 0x7f7fffff
	v_add_f32_e32 v40, v5, v37
	v_add_f32_e32 v37, v1, v37
	v_add_f32_e32 v5, v5, v21
	v_add_f32_e32 v1, v1, v21
	v_min3_f32 v12, v12, v13, 0x7f7fffff
	v_min3_f32 v40, v79, v40, 0x7f7fffff
	;; [unrolled: 1-line block ×5, first 2 shown]
	v_add_f32_e32 v1, v35, v63
	v_add_f32_e32 v5, v34, v62
	;; [unrolled: 1-line block ×3, first 2 shown]
	s_delay_alu instid0(VALU_DEP_2) | instskip(SKIP_2) | instid1(VALU_DEP_4)
	v_min3_f32 v81, v5, v1, v75
	v_add_f32_e32 v1, v31, v63
	v_add_f32_e32 v5, v30, v62
	v_min3_f32 v8, v8, v9, 0x7f7fffff
	s_delay_alu instid0(VALU_DEP_2) | instskip(SKIP_2) | instid1(VALU_DEP_1)
	v_min3_f32 v79, v5, v1, v76
	v_add_f32_e32 v1, v27, v63
	v_add_f32_e32 v5, v26, v62
	v_min3_f32 v77, v5, v1, v77
	v_add_f32_e32 v1, v19, v63
	v_add_f32_e32 v5, v18, v62
	s_delay_alu instid0(VALU_DEP_1) | instskip(SKIP_2) | instid1(VALU_DEP_1)
	v_min3_f32 v75, v5, v1, v78
	v_add_f32_e32 v1, v15, v63
	v_add_f32_e32 v5, v14, v62
	v_min3_f32 v76, v5, v1, v80
	v_add_f32_e32 v1, v11, v63
	v_add_f32_e32 v5, v10, v62
	s_delay_alu instid0(VALU_DEP_1) | instskip(SKIP_2) | instid1(VALU_DEP_1)
	;; [unrolled: 7-line block ×26, first 2 shown]
	v_min3_f32 v91, v5, v1, v41
	v_add_f32_e32 v1, v7, v39
	v_add_f32_e32 v5, v6, v38
	v_min3_f32 v90, v5, v1, v40
	v_add_f32_e32 v1, v3, v39
	v_add_f32_e32 v5, v2, v38
	;; [unrolled: 1-line block ×3, first 2 shown]
	s_delay_alu instid0(VALU_DEP_2) | instskip(SKIP_2) | instid1(VALU_DEP_1)
	v_min3_f32 v89, v5, v1, v36
	v_add_f32_e32 v1, v35, v23
	v_add_f32_e32 v5, v34, v22
	v_min3_f32 v88, v5, v1, v32
	v_add_f32_e32 v1, v31, v23
	v_add_f32_e32 v5, v30, v22
	s_delay_alu instid0(VALU_DEP_1) | instskip(SKIP_2) | instid1(VALU_DEP_1)
	v_min3_f32 v87, v5, v1, v28
	v_add_f32_e32 v1, v27, v23
	v_add_f32_e32 v5, v26, v22
	v_min3_f32 v86, v5, v1, v24
	v_add_f32_e32 v1, v19, v23
	v_add_f32_e32 v5, v18, v22
	s_delay_alu instid0(VALU_DEP_1) | instskip(SKIP_2) | instid1(VALU_DEP_1)
	;; [unrolled: 7-line block ×3, first 2 shown]
	v_min3_f32 v83, v5, v1, v8
	v_add_f32_e32 v1, v7, v23
	v_add_f32_e32 v5, v6, v22
	v_min3_f32 v82, v5, v1, v4
	v_add_f32_e32 v1, v3, v23
	s_delay_alu instid0(VALU_DEP_1)
	v_min3_f32 v92, v2, v1, v0
	s_cbranch_scc1 .LBB59_52
; %bb.30:
	v_mad_i64_i32 v[0:1], null, s29, v66, 0
	v_lshlrev_b64 v[64:65], 2, v[64:65]
	v_add_nc_u32_e32 v121, 0x2000, v143
	v_add_nc_u32_e32 v132, 0x2000, v72
	;; [unrolled: 1-line block ×4, first 2 shown]
	v_lshl_add_u32 v144, v68, 4, 0x1000
	v_lshlrev_b64 v[0:1], 2, v[0:1]
	s_delay_alu instid0(VALU_DEP_1) | instskip(NEXT) | instid1(VALU_DEP_1)
	v_add_co_u32 v0, s6, v0, v142
	v_add_co_ci_u32_e64 v1, s6, 0, v1, s6
	v_lshl_add_u32 v142, v69, 4, 0x2400
	s_delay_alu instid0(VALU_DEP_3) | instskip(NEXT) | instid1(VALU_DEP_1)
	v_add_co_u32 v0, s6, v0, s22
	v_add_co_ci_u32_e64 v1, s6, s23, v1, s6
	s_add_i32 s22, s18, -8
	s_delay_alu instid0(VALU_DEP_2) | instskip(NEXT) | instid1(VALU_DEP_1)
	v_add_co_u32 v66, s6, v0, 48
	v_add_co_ci_u32_e64 v67, s6, 0, v1, s6
	s_mov_b32 s23, 0
	s_branch .LBB59_32
.LBB59_31:                              ;   in Loop: Header=BB59_32 Depth=1
	s_or_b32 exec_lo, exec_lo, s6
	ds_load_b128 v[87:90], v132
	ds_load_b128 v[149:152], v71
	ds_load_b128 v[153:156], v71 offset:512
	ds_load_b128 v[157:160], v71 offset:1024
	;; [unrolled: 1-line block ×14, first 2 shown]
	v_add_co_u32 v66, s6, v66, 32
	s_delay_alu instid0(VALU_DEP_1)
	v_add_co_ci_u32_e64 v67, s6, 0, v67, s6
	s_add_i32 s23, s23, 8
	ds_store_2addr_stride64_b32 v141, v145, v146 offset1:4
	ds_store_2addr_stride64_b32 v141, v147, v148 offset0:8 offset1:12
	ds_store_b32 v143, v0
	s_waitcnt lgkmcnt(17)
	v_dual_add_f32 v19, v150, v88 :: v_dual_add_f32 v22, v149, v87
	s_waitcnt lgkmcnt(16)
	v_dual_add_f32 v23, v154, v88 :: v_dual_add_f32 v26, v153, v87
	;; [unrolled: 2-line block ×3, first 2 shown]
	s_waitcnt lgkmcnt(14)
	v_add_f32_e32 v31, v162, v88
	v_min3_f32 v19, v22, v19, v44
	v_min3_f32 v22, v26, v23, v45
	v_add_f32_e32 v26, v161, v87
	v_min3_f32 v23, v30, v27, v48
	s_waitcnt lgkmcnt(13)
	v_dual_add_f32 v27, v166, v88 :: v_dual_add_f32 v30, v165, v87
	s_waitcnt lgkmcnt(12)
	v_dual_add_f32 v34, v170, v88 :: v_dual_add_f32 v35, v169, v87
	;; [unrolled: 2-line block ×4, first 2 shown]
	v_min3_f32 v1, v26, v31, v1
	v_min3_f32 v4, v30, v27, v4
	;; [unrolled: 1-line block ×5, first 2 shown]
	s_waitcnt lgkmcnt(9)
	v_dual_add_f32 v31, v150, v92 :: v_dual_add_f32 v34, v149, v91
	v_dual_add_f32 v35, v154, v92 :: v_dual_add_f32 v38, v153, v91
	;; [unrolled: 1-line block ×5, first 2 shown]
	v_min3_f32 v5, v34, v31, v5
	v_min3_f32 v8, v38, v35, v8
	;; [unrolled: 1-line block ×5, first 2 shown]
	v_dual_add_f32 v38, v170, v92 :: v_dual_add_f32 v39, v169, v91
	v_dual_add_f32 v44, v174, v92 :: v_dual_add_f32 v45, v173, v91
	;; [unrolled: 1-line block ×3, first 2 shown]
	s_waitcnt lgkmcnt(8)
	v_dual_add_f32 v52, v150, v96 :: v_dual_add_f32 v53, v149, v95
	v_dual_add_f32 v56, v154, v96 :: v_dual_add_f32 v57, v153, v95
	v_min3_f32 v9, v39, v38, v9
	v_min3_f32 v12, v45, v44, v12
	;; [unrolled: 1-line block ×5, first 2 shown]
	v_dual_add_f32 v45, v158, v96 :: v_dual_add_f32 v48, v157, v95
	v_dual_add_f32 v49, v162, v96 :: v_dual_add_f32 v52, v161, v95
	;; [unrolled: 1-line block ×5, first 2 shown]
	v_min3_f32 v13, v48, v45, v13
	v_min3_f32 v16, v52, v49, v16
	;; [unrolled: 1-line block ×5, first 2 shown]
	v_dual_add_f32 v52, v178, v96 :: v_dual_add_f32 v53, v177, v95
	s_waitcnt lgkmcnt(7)
	v_dual_add_f32 v54, v150, v100 :: v_dual_add_f32 v55, v149, v99
	v_dual_add_f32 v56, v154, v100 :: v_dual_add_f32 v57, v153, v99
	;; [unrolled: 1-line block ×4, first 2 shown]
	v_min3_f32 v17, v53, v52, v17
	v_min3_f32 v20, v55, v54, v20
	v_min3_f32 v52, v57, v56, v63
	v_min3_f32 v53, v59, v58, v75
	v_min3_f32 v54, v61, v60, v76
	v_dual_add_f32 v55, v166, v100 :: v_dual_add_f32 v56, v165, v99
	v_dual_add_f32 v57, v170, v100 :: v_dual_add_f32 v58, v169, v99
	;; [unrolled: 1-line block ×4, first 2 shown]
	s_waitcnt lgkmcnt(6)
	v_dual_add_f32 v63, v150, v104 :: v_dual_add_f32 v76, v169, v103
	v_add_f32_e32 v75, v149, v103
	v_min3_f32 v21, v56, v55, v21
	v_add_f32_e32 v56, v154, v104
	v_min3_f32 v24, v58, v57, v24
	v_min3_f32 v50, v60, v59, v50
	;; [unrolled: 1-line block ×4, first 2 shown]
	v_dual_add_f32 v57, v153, v103 :: v_dual_add_f32 v58, v158, v104
	v_dual_add_f32 v59, v157, v103 :: v_dual_add_f32 v60, v162, v104
	v_dual_add_f32 v61, v161, v103 :: v_dual_add_f32 v62, v166, v104
	v_add_f32_e32 v63, v165, v103
	v_add_f32_e32 v75, v170, v104
	v_min3_f32 v25, v57, v56, v25
	v_min3_f32 v28, v59, v58, v28
	v_add_f32_e32 v58, v173, v103
	v_min3_f32 v46, v61, v60, v46
	v_min3_f32 v56, v76, v75, v78
	v_dual_add_f32 v57, v174, v104 :: v_dual_add_f32 v60, v177, v103
	v_add_f32_e32 v59, v178, v104
	s_waitcnt lgkmcnt(5)
	v_add_f32_e32 v61, v150, v182
	v_dual_add_f32 v75, v153, v181 :: v_dual_add_f32 v76, v158, v182
	v_min3_f32 v47, v63, v62, v47
	v_dual_add_f32 v62, v149, v181 :: v_dual_add_f32 v63, v154, v182
	v_add_f32_e32 v78, v173, v181
	v_add_f32_e32 v77, v157, v181
	v_min3_f32 v29, v58, v57, v29
	v_min3_f32 v32, v60, v59, v32
	v_add_f32_e32 v60, v162, v182
	v_min3_f32 v58, v75, v63, v80
	v_min3_f32 v59, v77, v76, v81
	v_add_f32_e32 v63, v165, v181
	v_dual_add_f32 v75, v170, v182 :: v_dual_add_f32 v80, v177, v181
	v_add_f32_e32 v76, v169, v181
	v_min3_f32 v57, v62, v61, v79
	v_dual_add_f32 v61, v161, v181 :: v_dual_add_f32 v62, v166, v182
	v_add_f32_e32 v77, v174, v182
	v_add_f32_e32 v79, v178, v182
	v_min3_f32 v43, v76, v75, v43
	s_waitcnt lgkmcnt(4)
	v_add_f32_e32 v75, v154, v186
	v_min3_f32 v36, v63, v62, v36
	v_add_f32_e32 v62, v150, v186
	v_min3_f32 v33, v61, v60, v33
	v_add_f32_e32 v63, v149, v185
	v_add_f32_e32 v76, v153, v185
	v_min3_f32 v60, v78, v77, v82
	v_dual_add_f32 v77, v158, v186 :: v_dual_add_f32 v82, v165, v185
	v_add_f32_e32 v78, v157, v185
	v_min3_f32 v61, v80, v79, v83
	v_dual_add_f32 v79, v162, v186 :: v_dual_add_f32 v80, v161, v185
	v_add_f32_e32 v81, v166, v186
	v_min3_f32 v37, v63, v62, v37
	v_min3_f32 v40, v76, v75, v40
	;; [unrolled: 1-line block ×3, first 2 shown]
	v_dual_add_f32 v78, v173, v185 :: v_dual_add_f32 v75, v170, v186
	v_add_f32_e32 v76, v169, v185
	v_min3_f32 v63, v80, v79, v85
	v_dual_add_f32 v80, v177, v185 :: v_dual_add_f32 v77, v174, v186
	v_add_f32_e32 v79, v178, v186
	v_min3_f32 v82, v82, v81, v86
	s_waitcnt lgkmcnt(3)
	v_add_f32_e32 v81, v150, v190
	v_min3_f32 v41, v76, v75, v41
	v_add_f32_e32 v76, v157, v189
	v_min3_f32 v42, v78, v77, v42
	;; [unrolled: 2-line block ×3, first 2 shown]
	v_dual_add_f32 v80, v165, v189 :: v_dual_add_f32 v79, v166, v190
	v_dual_add_f32 v84, v154, v190 :: v_dual_add_f32 v85, v153, v189
	v_add_f32_e32 v83, v149, v189
	v_add_f32_e32 v75, v158, v190
	s_delay_alu instid0(VALU_DEP_4) | instskip(SKIP_2) | instid1(VALU_DEP_4)
	v_min3_f32 v7, v80, v79, v7
	v_dual_add_f32 v79, v156, v90 :: v_dual_add_f32 v80, v155, v89
	v_add_f32_e32 v77, v162, v190
	v_min3_f32 v2, v76, v75, v2
	v_dual_add_f32 v75, v178, v190 :: v_dual_add_f32 v86, v163, v89
	s_delay_alu instid0(VALU_DEP_4)
	v_min3_f32 v79, v80, v79, v22
	v_add_f32_e32 v80, v176, v90
	v_min3_f32 v18, v85, v84, v18
	v_dual_add_f32 v84, v174, v190 :: v_dual_add_f32 v85, v173, v189
	v_min3_f32 v3, v78, v77, v3
	v_dual_add_f32 v76, v177, v189 :: v_dual_add_f32 v77, v152, v90
	v_add_f32_e32 v78, v151, v89
	s_delay_alu instid0(VALU_DEP_4)
	v_min3_f32 v15, v85, v84, v15
	v_add_f32_e32 v85, v164, v90
	v_add_f32_e32 v22, v172, v90
	v_min3_f32 v11, v83, v81, v11
	v_dual_add_f32 v81, v170, v190 :: v_dual_add_f32 v84, v159, v89
	v_add_f32_e32 v83, v169, v189
	v_min3_f32 v6, v76, v75, v6
	v_min3_f32 v75, v86, v85, v1
	v_add_f32_e32 v1, v168, v90
	v_add_f32_e32 v85, v179, v89
	v_min3_f32 v14, v83, v81, v14
	v_min3_f32 v81, v78, v77, v19
	v_add_f32_e32 v19, v167, v89
	v_add_f32_e32 v83, v160, v90
	v_dual_add_f32 v86, v152, v94 :: v_dual_add_f32 v87, v151, v93
	s_cmp_ge_i32 s23, s22
	s_delay_alu instid0(VALU_DEP_3)
	v_min3_f32 v76, v19, v1, v4
	v_dual_add_f32 v1, v156, v94 :: v_dual_add_f32 v4, v155, v93
	v_add_f32_e32 v19, v159, v93
	s_waitcnt lgkmcnt(0)
	s_barrier
	buffer_gl0_inv
	v_min3_f32 v138, v4, v1, v8
	v_add_f32_e32 v8, v179, v93
	v_min3_f32 v77, v84, v83, v23
	v_add_f32_e32 v23, v171, v89
	v_dual_add_f32 v83, v175, v89 :: v_dual_add_f32 v84, v180, v90
	v_dual_add_f32 v1, v176, v94 :: v_dual_add_f32 v4, v175, v93
	s_delay_alu instid0(VALU_DEP_3) | instskip(SKIP_2) | instid1(VALU_DEP_4)
	v_min3_f32 v78, v23, v22, v26
	v_dual_add_f32 v22, v164, v94 :: v_dual_add_f32 v23, v163, v93
	v_add_f32_e32 v26, v168, v94
	v_min3_f32 v133, v4, v1, v12
	v_dual_add_f32 v1, v164, v98 :: v_dual_add_f32 v4, v163, v97
	s_delay_alu instid0(VALU_DEP_4)
	v_min3_f32 v136, v23, v22, v34
	v_add_f32_e32 v22, v156, v98
	v_min3_f32 v140, v85, v84, v30
	v_add_f32_e32 v30, v172, v94
	v_min3_f32 v80, v83, v80, v27
	v_add_f32_e32 v27, v167, v93
	v_add_f32_e32 v83, v171, v93
	v_add_f32_e32 v23, v155, v97
	v_min3_f32 v127, v4, v1, v16
	v_add_f32_e32 v4, v151, v101
	v_min3_f32 v135, v27, v26, v35
	;; [unrolled: 2-line block ×4, first 2 shown]
	v_dual_add_f32 v9, v152, v98 :: v_dual_add_f32 v16, v163, v101
	v_add_f32_e32 v27, v159, v97
	v_min3_f32 v129, v23, v22, v44
	v_add_f32_e32 v22, v180, v98
	v_min3_f32 v137, v19, v5, v31
	;; [unrolled: 2-line block ×3, first 2 shown]
	v_add_f32_e32 v13, v176, v98
	v_dual_add_f32 v5, v180, v94 :: v_dual_add_f32 v12, v171, v97
	s_delay_alu instid0(VALU_DEP_4) | instskip(SKIP_4) | instid1(VALU_DEP_4)
	v_min3_f32 v130, v19, v9, v39
	v_add_f32_e32 v19, v175, v97
	v_add_f32_e32 v9, v172, v98
	v_add_f32_e32 v1, v152, v102
	v_add_f32_e32 v23, v179, v97
	v_min3_f32 v124, v19, v13, v49
	v_add_f32_e32 v13, v164, v102
	v_min3_f32 v125, v12, v9, v48
	v_dual_add_f32 v9, v160, v102 :: v_dual_add_f32 v12, v159, v101
	v_min3_f32 v131, v8, v5, v38
	v_dual_add_f32 v5, v168, v98 :: v_dual_add_f32 v8, v167, v97
	;; [unrolled: 2-line block ×3, first 2 shown]
	v_min3_f32 v119, v12, v9, v53
	s_delay_alu instid0(VALU_DEP_4) | instskip(SKIP_4) | instid1(VALU_DEP_4)
	v_min3_f32 v126, v8, v5, v45
	v_dual_add_f32 v5, v156, v102 :: v_dual_add_f32 v8, v155, v101
	v_dual_add_f32 v9, v180, v102 :: v_dual_add_f32 v12, v179, v101
	v_min3_f32 v113, v16, v13, v55
	v_dual_add_f32 v13, v172, v106 :: v_dual_add_f32 v16, v171, v105
	v_min3_f32 v120, v8, v5, v52
	;; [unrolled: 2-line block ×3, first 2 shown]
	s_delay_alu instid0(VALU_DEP_4)
	v_min3_f32 v108, v16, v13, v56
	v_add_f32_e32 v16, v159, v183
	v_min3_f32 v114, v12, v9, v51
	v_dual_add_f32 v9, v168, v106 :: v_dual_add_f32 v12, v167, v105
	v_dual_add_f32 v1, v172, v102 :: v_dual_add_f32 v4, v171, v101
	v_add_f32_e32 v13, v160, v184
	v_min3_f32 v123, v23, v22, v17
	s_delay_alu instid0(VALU_DEP_4)
	v_min3_f32 v109, v12, v9, v47
	v_add_f32_e32 v12, v155, v183
	v_min3_f32 v115, v8, v5, v50
	v_dual_add_f32 v5, v164, v106 :: v_dual_add_f32 v8, v163, v105
	v_add_f32_e32 v17, v168, v102
	v_add_f32_e32 v19, v167, v101
	;; [unrolled: 1-line block ×3, first 2 shown]
	v_min3_f32 v103, v16, v13, v59
	v_add_f32_e32 v16, v179, v183
	v_min3_f32 v110, v8, v5, v46
	v_add_f32_e32 v8, v151, v183
	v_min3_f32 v116, v4, v1, v24
	v_dual_add_f32 v1, v160, v106 :: v_dual_add_f32 v4, v159, v105
	v_min3_f32 v104, v12, v9, v58
	v_dual_add_f32 v12, v175, v183 :: v_dual_add_f32 v9, v176, v184
	v_add_f32_e32 v13, v180, v184
	s_delay_alu instid0(VALU_DEP_4)
	v_min3_f32 v111, v4, v1, v28
	v_add_f32_e32 v4, v179, v105
	v_min3_f32 v117, v19, v17, v21
	v_add_f32_e32 v17, v156, v106
	v_add_f32_e32 v19, v155, v105
	;; [unrolled: 1-line block ×3, first 2 shown]
	v_min3_f32 v99, v12, v9, v60
	v_min3_f32 v98, v16, v13, v61
	v_add_f32_e32 v16, v167, v187
	v_min3_f32 v112, v19, v17, v25
	v_dual_add_f32 v17, v176, v106 :: v_dual_add_f32 v12, v163, v187
	v_add_f32_e32 v19, v175, v105
	v_add_f32_e32 v13, v168, v188
	v_min3_f32 v106, v4, v1, v32
	v_dual_add_f32 v1, v168, v184 :: v_dual_add_f32 v4, v167, v183
	s_delay_alu instid0(VALU_DEP_4)
	v_min3_f32 v107, v19, v17, v29
	v_add_f32_e32 v17, v164, v184
	v_add_f32_e32 v19, v163, v183
	v_min3_f32 v93, v16, v13, v82
	v_dual_add_f32 v16, v155, v191 :: v_dual_add_f32 v5, v152, v184
	v_add_f32_e32 v9, v164, v188
	s_delay_alu instid0(VALU_DEP_4)
	v_min3_f32 v102, v19, v17, v33
	v_add_f32_e32 v17, v152, v188
	v_add_f32_e32 v19, v151, v187
	;; [unrolled: 1-line block ×3, first 2 shown]
	v_min3_f32 v94, v12, v9, v63
	v_dual_add_f32 v9, v152, v192 :: v_dual_add_f32 v12, v151, v191
	s_delay_alu instid0(VALU_DEP_4)
	v_min3_f32 v97, v19, v17, v37
	v_add_f32_e32 v17, v172, v188
	v_add_f32_e32 v19, v171, v187
	v_min3_f32 v87, v16, v13, v18
	v_min3_f32 v88, v12, v9, v11
	v_add_f32_e32 v9, v171, v191
	v_add_f32_e32 v11, v175, v191
	v_min3_f32 v91, v19, v17, v41
	v_add_f32_e32 v17, v160, v192
	v_dual_add_f32 v19, v159, v191 :: v_dual_add_f32 v12, v180, v192
	v_add_f32_e32 v13, v179, v191
	s_delay_alu instid0(VALU_DEP_2) | instskip(SKIP_4) | instid1(VALU_DEP_2)
	v_min3_f32 v86, v19, v17, v2
	v_add_f32_e32 v2, v163, v191
	v_min3_f32 v101, v4, v1, v36
	v_dual_add_f32 v1, v156, v188 :: v_dual_add_f32 v4, v155, v187
	v_min3_f32 v92, v13, v12, v6
	v_min3_f32 v96, v4, v1, v40
	v_add_f32_e32 v4, v175, v187
	v_min3_f32 v105, v8, v5, v57
	v_dual_add_f32 v5, v172, v184 :: v_dual_add_f32 v8, v171, v183
	v_add_f32_e32 v1, v176, v188
	s_delay_alu instid0(VALU_DEP_2) | instskip(SKIP_1) | instid1(VALU_DEP_3)
	v_min3_f32 v100, v8, v5, v43
	v_dual_add_f32 v5, v160, v188 :: v_dual_add_f32 v8, v159, v187
	v_min3_f32 v90, v4, v1, v42
	v_add_f32_e32 v1, v164, v192
	v_add_f32_e32 v4, v168, v192
	s_delay_alu instid0(VALU_DEP_4) | instskip(SKIP_1) | instid1(VALU_DEP_4)
	v_min3_f32 v95, v8, v5, v62
	v_dual_add_f32 v5, v180, v188 :: v_dual_add_f32 v8, v179, v187
	v_min3_f32 v85, v2, v1, v3
	s_delay_alu instid0(VALU_DEP_2) | instskip(SKIP_2) | instid1(VALU_DEP_2)
	v_min3_f32 v89, v8, v5, v10
	v_dual_add_f32 v5, v167, v191 :: v_dual_add_f32 v8, v172, v192
	v_add_f32_e32 v10, v176, v192
	v_min3_f32 v84, v5, v4, v7
	s_delay_alu instid0(VALU_DEP_3) | instskip(NEXT) | instid1(VALU_DEP_3)
	v_min3_f32 v83, v9, v8, v14
	v_min3_f32 v82, v11, v10, v15
	s_cbranch_scc1 .LBB59_52
.LBB59_32:                              ; =>This Inner Loop Header: Depth=1
	v_add_nc_u32_e32 v4, s23, v70
	s_delay_alu instid0(VALU_DEP_1) | instskip(NEXT) | instid1(VALU_DEP_1)
	v_add_nc_u32_e32 v2, 8, v4
	v_min_i32_e32 v3, s28, v2
	v_cmp_le_i32_e64 s6, s18, v2
	s_delay_alu instid0(VALU_DEP_2) | instskip(NEXT) | instid1(VALU_DEP_1)
	v_mad_i64_i32 v[0:1], null, v3, s27, 0
	v_lshlrev_b64 v[0:1], 2, v[0:1]
	s_delay_alu instid0(VALU_DEP_1) | instskip(NEXT) | instid1(VALU_DEP_1)
	v_add_co_u32 v0, s7, s20, v0
	v_add_co_ci_u32_e64 v1, s7, s21, v1, s7
	s_or_b32 s7, vcc_lo, s6
	s_delay_alu instid0(SALU_CYCLE_1) | instskip(SKIP_1) | instid1(SALU_CYCLE_1)
	v_cndmask_b32_e64 v145, 0, 0x7f7fffff, s7
	s_or_b32 s7, s14, s7
	s_xor_b32 s7, s7, -1
	s_delay_alu instid0(SALU_CYCLE_1)
	s_and_saveexec_b32 s29, s7
	s_cbranch_execz .LBB59_34
; %bb.33:                               ;   in Loop: Header=BB59_32 Depth=1
	v_add_co_u32 v2, s7, v0, v64
	s_delay_alu instid0(VALU_DEP_1)
	v_add_co_ci_u32_e64 v3, s7, v1, v65, s7
	flat_load_b32 v2, v[2:3]
	s_waitcnt vmcnt(0) lgkmcnt(0)
	v_mul_f32_e32 v145, s19, v2
.LBB59_34:                              ;   in Loop: Header=BB59_32 Depth=1
	s_or_b32 exec_lo, exec_lo, s29
	s_or_b32 s7, s2, s6
	s_delay_alu instid0(SALU_CYCLE_1) | instskip(SKIP_1) | instid1(SALU_CYCLE_1)
	v_cndmask_b32_e64 v146, 0, 0x7f7fffff, s7
	s_or_b32 s7, s14, s7
	s_xor_b32 s7, s7, -1
	s_delay_alu instid0(SALU_CYCLE_1)
	s_and_saveexec_b32 s29, s7
	s_cbranch_execz .LBB59_36
; %bb.35:                               ;   in Loop: Header=BB59_32 Depth=1
	v_add_co_u32 v2, s7, v0, v64
	s_delay_alu instid0(VALU_DEP_1)
	v_add_co_ci_u32_e64 v3, s7, v1, v65, s7
	flat_load_b32 v2, v[2:3] offset:256
	s_waitcnt vmcnt(0) lgkmcnt(0)
	v_mul_f32_e32 v146, s19, v2
.LBB59_36:                              ;   in Loop: Header=BB59_32 Depth=1
	s_or_b32 exec_lo, exec_lo, s29
	s_or_b32 s7, s3, s6
	s_delay_alu instid0(SALU_CYCLE_1) | instskip(SKIP_1) | instid1(SALU_CYCLE_1)
	v_cndmask_b32_e64 v147, 0, 0x7f7fffff, s7
	s_or_b32 s7, s14, s7
	s_xor_b32 s7, s7, -1
	s_delay_alu instid0(SALU_CYCLE_1)
	s_and_saveexec_b32 s29, s7
	s_cbranch_execz .LBB59_38
; %bb.37:                               ;   in Loop: Header=BB59_32 Depth=1
	v_add_co_u32 v2, s7, v0, v64
	s_delay_alu instid0(VALU_DEP_1)
	v_add_co_ci_u32_e64 v3, s7, v1, v65, s7
	flat_load_b32 v2, v[2:3] offset:512
	s_waitcnt vmcnt(0) lgkmcnt(0)
	v_mul_f32_e32 v147, s19, v2
.LBB59_38:                              ;   in Loop: Header=BB59_32 Depth=1
	;; [unrolled: 17-line block ×3, first 2 shown]
	s_or_b32 exec_lo, exec_lo, s7
	v_add_nc_u32_e32 v149, s23, v73
	s_delay_alu instid0(VALU_DEP_1) | instskip(NEXT) | instid1(VALU_DEP_1)
	v_add_nc_u32_e32 v0, 8, v149
	v_cmp_le_i32_e64 s6, s18, v0
	s_delay_alu instid0(VALU_DEP_1) | instskip(NEXT) | instid1(SALU_CYCLE_1)
	s_or_b32 s6, s6, s5
	v_cndmask_b32_e64 v150, 0, 0x7f7fffff, s6
	s_or_b32 s6, s14, s6
	s_delay_alu instid0(SALU_CYCLE_1) | instskip(NEXT) | instid1(SALU_CYCLE_1)
	s_xor_b32 s6, s6, -1
	s_and_saveexec_b32 s7, s6
	s_cbranch_execz .LBB59_42
; %bb.41:                               ;   in Loop: Header=BB59_32 Depth=1
	v_add_co_u32 v0, s6, -16, v66
	s_delay_alu instid0(VALU_DEP_1)
	v_add_co_ci_u32_e64 v1, s6, -1, v67, s6
	flat_load_b32 v0, v[0:1]
	s_waitcnt vmcnt(0) lgkmcnt(0)
	v_mul_f32_e32 v150, s19, v0
.LBB59_42:                              ;   in Loop: Header=BB59_32 Depth=1
	s_or_b32 exec_lo, exec_lo, s7
	v_add_nc_u32_e32 v153, 12, v4
	ds_load_b128 v[20:23], v144
	ds_load_b128 v[16:19], v144 offset:512
	ds_load_b128 v[8:11], v144 offset:1024
	;; [unrolled: 1-line block ×7, first 2 shown]
	ds_load_b128 v[60:63], v142
	ds_load_b128 v[56:59], v142 offset:128
	ds_load_b128 v[52:55], v142 offset:256
	;; [unrolled: 1-line block ×3, first 2 shown]
	v_min_i32_e32 v28, s28, v153
	v_cmp_le_i32_e64 s6, s18, v153
	s_delay_alu instid0(VALU_DEP_2)
	v_mad_i64_i32 v[151:152], null, v28, s27, 0
	ds_load_b128 v[44:47], v142 offset:512
	ds_load_b128 v[40:43], v142 offset:640
	;; [unrolled: 1-line block ×4, first 2 shown]
	ds_store_2addr_stride64_b32 v74, v145, v146 offset1:4
	ds_store_b32 v121, v150
	s_or_b32 s29, vcc_lo, s6
	ds_store_2addr_stride64_b32 v74, v147, v148 offset0:8 offset1:12
	s_waitcnt lgkmcnt(0)
	v_lshlrev_b64 v[145:146], 2, v[151:152]
	s_barrier
	buffer_gl0_inv
	v_add_co_u32 v150, s7, s20, v145
	s_delay_alu instid0(VALU_DEP_1) | instskip(SKIP_2) | instid1(SALU_CYCLE_1)
	v_add_co_ci_u32_e64 v151, s7, s21, v146, s7
	v_cndmask_b32_e64 v145, 0, 0x7f7fffff, s29
	s_or_b32 s7, s14, s29
	s_xor_b32 s7, s7, -1
	s_delay_alu instid0(SALU_CYCLE_1)
	s_and_saveexec_b32 s29, s7
	s_cbranch_execz .LBB59_44
; %bb.43:                               ;   in Loop: Header=BB59_32 Depth=1
	v_add_co_u32 v145, s7, v150, v64
	s_delay_alu instid0(VALU_DEP_1)
	v_add_co_ci_u32_e64 v146, s7, v151, v65, s7
	flat_load_b32 v145, v[145:146]
	s_waitcnt vmcnt(0) lgkmcnt(0)
	v_mul_f32_e32 v145, s19, v145
.LBB59_44:                              ;   in Loop: Header=BB59_32 Depth=1
	s_or_b32 exec_lo, exec_lo, s29
	s_or_b32 s7, s2, s6
	s_delay_alu instid0(SALU_CYCLE_1) | instskip(SKIP_1) | instid1(SALU_CYCLE_1)
	v_cndmask_b32_e64 v146, 0, 0x7f7fffff, s7
	s_or_b32 s7, s14, s7
	s_xor_b32 s7, s7, -1
	s_delay_alu instid0(SALU_CYCLE_1)
	s_and_saveexec_b32 s29, s7
	s_cbranch_execz .LBB59_46
; %bb.45:                               ;   in Loop: Header=BB59_32 Depth=1
	v_add_co_u32 v146, s7, v150, v64
	s_delay_alu instid0(VALU_DEP_1)
	v_add_co_ci_u32_e64 v147, s7, v151, v65, s7
	flat_load_b32 v146, v[146:147] offset:256
	s_waitcnt vmcnt(0) lgkmcnt(0)
	v_mul_f32_e32 v146, s19, v146
.LBB59_46:                              ;   in Loop: Header=BB59_32 Depth=1
	s_or_b32 exec_lo, exec_lo, s29
	s_or_b32 s7, s3, s6
	s_delay_alu instid0(SALU_CYCLE_1) | instskip(SKIP_1) | instid1(SALU_CYCLE_1)
	v_cndmask_b32_e64 v147, 0, 0x7f7fffff, s7
	s_or_b32 s7, s14, s7
	s_xor_b32 s7, s7, -1
	s_delay_alu instid0(SALU_CYCLE_1)
	s_and_saveexec_b32 s29, s7
	s_cbranch_execz .LBB59_48
; %bb.47:                               ;   in Loop: Header=BB59_32 Depth=1
	v_add_co_u32 v147, s7, v150, v64
	s_delay_alu instid0(VALU_DEP_1)
	v_add_co_ci_u32_e64 v148, s7, v151, v65, s7
	flat_load_b32 v147, v[147:148] offset:512
	s_waitcnt vmcnt(0) lgkmcnt(0)
	v_mul_f32_e32 v147, s19, v147
.LBB59_48:                              ;   in Loop: Header=BB59_32 Depth=1
	;; [unrolled: 17-line block ×3, first 2 shown]
	s_or_b32 exec_lo, exec_lo, s7
	v_dual_add_f32 v150, v21, v61 :: v_dual_add_f32 v151, v20, v60
	v_dual_add_f32 v152, v17, v61 :: v_dual_add_f32 v153, v16, v60
	;; [unrolled: 1-line block ×4, first 2 shown]
	s_delay_alu instid0(VALU_DEP_4) | instskip(NEXT) | instid1(VALU_DEP_4)
	v_min3_f32 v81, v151, v150, v81
	v_min3_f32 v79, v153, v152, v79
	s_delay_alu instid0(VALU_DEP_4)
	v_min3_f32 v77, v155, v154, v77
	v_dual_add_f32 v150, v33, v61 :: v_dual_add_f32 v151, v32, v60
	v_min3_f32 v75, v157, v156, v75
	v_dual_add_f32 v152, v25, v61 :: v_dual_add_f32 v153, v24, v60
	v_dual_add_f32 v154, v13, v61 :: v_dual_add_f32 v155, v12, v60
	;; [unrolled: 1-line block ×4, first 2 shown]
	v_min3_f32 v76, v151, v150, v76
	v_min3_f32 v78, v153, v152, v78
	s_delay_alu instid0(VALU_DEP_4)
	v_min3_f32 v60, v60, v61, v140
	v_add_f32_e32 v140, v16, v56
	v_min3_f32 v61, v157, v156, v139
	v_add_f32_e32 v139, v17, v57
	v_dual_add_f32 v150, v9, v57 :: v_dual_add_f32 v151, v8, v56
	v_dual_add_f32 v152, v1, v57 :: v_dual_add_f32 v153, v0, v56
	v_min3_f32 v80, v155, v154, v80
	v_dual_add_f32 v154, v33, v57 :: v_dual_add_f32 v155, v32, v56
	v_dual_add_f32 v156, v25, v57 :: v_dual_add_f32 v157, v24, v56
	v_min3_f32 v138, v140, v139, v138
	v_min3_f32 v137, v151, v150, v137
	v_min3_f32 v136, v153, v152, v136
	v_dual_add_f32 v139, v13, v57 :: v_dual_add_f32 v140, v12, v56
	v_dual_add_f32 v57, v5, v57 :: v_dual_add_f32 v56, v4, v56
	;; [unrolled: 1-line block ×4, first 2 shown]
	v_min3_f32 v135, v155, v154, v135
	v_dual_add_f32 v154, v9, v53 :: v_dual_add_f32 v155, v8, v52
	v_min3_f32 v133, v140, v139, v133
	v_min3_f32 v131, v56, v57, v131
	;; [unrolled: 1-line block ×4, first 2 shown]
	v_dual_add_f32 v56, v1, v53 :: v_dual_add_f32 v57, v0, v52
	v_dual_add_f32 v139, v33, v53 :: v_dual_add_f32 v140, v32, v52
	;; [unrolled: 1-line block ×5, first 2 shown]
	v_min3_f32 v127, v57, v56, v127
	v_dual_add_f32 v56, v17, v49 :: v_dual_add_f32 v57, v16, v48
	v_min3_f32 v126, v140, v139, v126
	s_delay_alu instid0(VALU_DEP_4)
	v_min3_f32 v123, v52, v53, v123
	v_dual_add_f32 v52, v21, v49 :: v_dual_add_f32 v53, v20, v48
	v_min3_f32 v125, v151, v150, v125
	v_min3_f32 v124, v153, v152, v124
	v_dual_add_f32 v139, v9, v49 :: v_dual_add_f32 v140, v8, v48
	v_dual_add_f32 v150, v1, v49 :: v_dual_add_f32 v151, v0, v48
	v_dual_add_f32 v152, v33, v49 :: v_dual_add_f32 v153, v32, v48
	v_min3_f32 v122, v53, v52, v122
	v_min3_f32 v120, v57, v56, v120
	v_dual_add_f32 v52, v25, v49 :: v_dual_add_f32 v53, v24, v48
	v_dual_add_f32 v56, v13, v49 :: v_dual_add_f32 v57, v12, v48
	;; [unrolled: 5-line block ×3, first 2 shown]
	v_min3_f32 v116, v53, v52, v116
	v_min3_f32 v115, v57, v56, v115
	;; [unrolled: 1-line block ×3, first 2 shown]
	v_dual_add_f32 v48, v9, v45 :: v_dual_add_f32 v49, v8, v44
	v_dual_add_f32 v52, v1, v45 :: v_dual_add_f32 v53, v0, v44
	;; [unrolled: 1-line block ×3, first 2 shown]
	v_min3_f32 v113, v140, v139, v113
	v_min3_f32 v112, v151, v150, v112
	v_dual_add_f32 v139, v25, v45 :: v_dual_add_f32 v140, v24, v44
	v_dual_add_f32 v150, v13, v45 :: v_dual_add_f32 v151, v12, v44
	v_min3_f32 v111, v49, v48, v111
	v_min3_f32 v110, v53, v52, v110
	;; [unrolled: 1-line block ×3, first 2 shown]
	v_dual_add_f32 v45, v5, v45 :: v_dual_add_f32 v44, v4, v44
	v_dual_add_f32 v48, v21, v41 :: v_dual_add_f32 v49, v20, v40
	;; [unrolled: 1-line block ×4, first 2 shown]
	v_min3_f32 v108, v140, v139, v108
	v_dual_add_f32 v139, v1, v41 :: v_dual_add_f32 v140, v0, v40
	v_min3_f32 v106, v44, v45, v106
	v_min3_f32 v105, v49, v48, v105
	;; [unrolled: 1-line block ×4, first 2 shown]
	v_dual_add_f32 v44, v33, v41 :: v_dual_add_f32 v45, v32, v40
	v_dual_add_f32 v48, v25, v41 :: v_dual_add_f32 v49, v24, v40
	v_dual_add_f32 v52, v13, v41 :: v_dual_add_f32 v53, v12, v40
	v_dual_add_f32 v41, v5, v41 :: v_dual_add_f32 v40, v4, v40
	v_dual_add_f32 v56, v21, v37 :: v_dual_add_f32 v57, v20, v36
	v_min3_f32 v101, v45, v44, v101
	v_min3_f32 v100, v49, v48, v100
	s_delay_alu instid0(VALU_DEP_4)
	v_min3_f32 v40, v40, v41, v98
	v_dual_add_f32 v44, v17, v37 :: v_dual_add_f32 v45, v16, v36
	v_min3_f32 v41, v57, v56, v97
	v_dual_add_f32 v48, v9, v37 :: v_dual_add_f32 v49, v8, v36
	v_dual_add_f32 v97, v25, v37 :: v_dual_add_f32 v98, v24, v36
	v_dual_add_f32 v17, v17, v29 :: v_dual_add_f32 v16, v16, v28
	v_dual_add_f32 v9, v9, v29 :: v_dual_add_f32 v8, v8, v28
	v_min3_f32 v99, v53, v52, v99
	v_dual_add_f32 v52, v1, v37 :: v_dual_add_f32 v53, v0, v36
	v_dual_add_f32 v56, v33, v37 :: v_dual_add_f32 v57, v32, v36
	v_min3_f32 v96, v45, v44, v96
	v_min3_f32 v91, v98, v97, v91
	v_dual_add_f32 v44, v13, v37 :: v_dual_add_f32 v45, v12, v36
	v_dual_add_f32 v37, v5, v37 :: v_dual_add_f32 v36, v4, v36
	;; [unrolled: 1-line block ×3, first 2 shown]
	v_min3_f32 v87, v16, v17, v87
	v_min3_f32 v97, v8, v9, v86
	v_dual_add_f32 v1, v1, v29 :: v_dual_add_f32 v0, v0, v28
	v_dual_add_f32 v8, v33, v29 :: v_dual_add_f32 v9, v32, v28
	v_dual_add_f32 v16, v25, v29 :: v_dual_add_f32 v17, v24, v28
	v_dual_add_f32 v13, v13, v29 :: v_dual_add_f32 v12, v12, v28
	v_dual_add_f32 v5, v5, v29 :: v_dual_add_f32 v4, v4, v28
	v_min3_f32 v102, v140, v139, v102
	v_min3_f32 v88, v20, v21, v88
	v_min3_f32 v0, v0, v1, v85
	v_min3_f32 v98, v9, v8, v84
	v_min3_f32 v139, v17, v16, v83
	v_min3_f32 v140, v12, v13, v82
	v_min3_f32 v92, v4, v5, v92
	v_dual_add_f32 v1, v23, v63 :: v_dual_add_f32 v4, v22, v62
	v_dual_add_f32 v5, v19, v63 :: v_dual_add_f32 v8, v18, v62
	v_dual_add_f32 v9, v11, v63 :: v_dual_add_f32 v12, v10, v62
	v_dual_add_f32 v13, v3, v63 :: v_dual_add_f32 v16, v2, v62
	v_dual_add_f32 v17, v35, v63 :: v_dual_add_f32 v20, v34, v62
	v_min3_f32 v95, v49, v48, v95
	v_min3_f32 v90, v45, v44, v90
	v_min3_f32 v44, v4, v1, v81
	v_min3_f32 v45, v8, v5, v79
	v_min3_f32 v48, v12, v9, v77
	;; [unrolled: 12-line block ×5, first 2 shown]
	v_min3_f32 v16, v32, v29, v127
	v_dual_add_f32 v17, v35, v55 :: v_dual_add_f32 v20, v34, v54
	v_dual_add_f32 v21, v27, v55 :: v_dual_add_f32 v24, v26, v54
	;; [unrolled: 1-line block ×5, first 2 shown]
	v_min3_f32 v117, v153, v152, v117
	v_min3_f32 v54, v20, v17, v126
	;; [unrolled: 1-line block ×6, first 2 shown]
	v_dual_add_f32 v21, v19, v51 :: v_dual_add_f32 v24, v18, v50
	v_dual_add_f32 v25, v11, v51 :: v_dual_add_f32 v28, v10, v50
	;; [unrolled: 1-line block ×4, first 2 shown]
	v_add_f32_e32 v37, v27, v51
	v_add_f32_e32 v77, v26, v50
	v_min3_f32 v63, v24, v21, v120
	v_min3_f32 v75, v28, v25, v119
	;; [unrolled: 1-line block ×4, first 2 shown]
	v_dual_add_f32 v25, v15, v51 :: v_dual_add_f32 v32, v6, v50
	v_add_f32_e32 v28, v14, v50
	v_min3_f32 v24, v77, v37, v116
	v_dual_add_f32 v29, v7, v51 :: v_dual_add_f32 v36, v22, v46
	v_dual_add_f32 v33, v23, v47 :: v_dual_add_f32 v78, v18, v46
	;; [unrolled: 1-line block ×3, first 2 shown]
	v_add_f32_e32 v79, v11, v47
	v_min3_f32 v107, v151, v150, v107
	v_min3_f32 v50, v28, v25, v115
	;; [unrolled: 1-line block ×3, first 2 shown]
	v_add_f32_e32 v32, v2, v46
	v_min3_f32 v77, v36, v33, v113
	v_min3_f32 v25, v78, v37, v112
	;; [unrolled: 1-line block ×3, first 2 shown]
	v_dual_add_f32 v29, v3, v47 :: v_dual_add_f32 v36, v34, v46
	v_dual_add_f32 v33, v35, v47 :: v_dual_add_f32 v78, v26, v46
	;; [unrolled: 1-line block ×4, first 2 shown]
	v_add_f32_e32 v81, v7, v47
	v_min3_f32 v46, v32, v29, v110
	v_min3_f32 v47, v36, v33, v109
	v_add_f32_e32 v36, v22, v42
	v_min3_f32 v78, v78, v37, v108
	v_min3_f32 v29, v80, v79, v107
	;; [unrolled: 1-line block ×3, first 2 shown]
	v_dual_add_f32 v33, v23, v43 :: v_dual_add_f32 v80, v18, v42
	v_dual_add_f32 v37, v19, v43 :: v_dual_add_f32 v82, v10, v42
	;; [unrolled: 1-line block ×4, first 2 shown]
	v_add_f32_e32 v85, v35, v43
	v_min3_f32 v79, v36, v33, v105
	v_min3_f32 v80, v80, v37, v104
	;; [unrolled: 1-line block ×3, first 2 shown]
	v_add_f32_e32 v82, v26, v42
	v_min3_f32 v33, v84, v83, v102
	v_min3_f32 v36, v86, v85, v101
	v_dual_add_f32 v37, v27, v43 :: v_dual_add_f32 v84, v14, v42
	v_dual_add_f32 v83, v15, v43 :: v_dual_add_f32 v42, v6, v42
	v_add_f32_e32 v85, v7, v43
	v_dual_add_f32 v86, v23, v39 :: v_dual_add_f32 v101, v22, v38
	v_dual_add_f32 v102, v19, v39 :: v_dual_add_f32 v103, v18, v38
	v_min3_f32 v43, v82, v37, v100
	v_min3_f32 v82, v84, v83, v99
	;; [unrolled: 1-line block ×5, first 2 shown]
	v_add_f32_e32 v96, v35, v39
	v_dual_add_f32 v41, v11, v39 :: v_dual_add_f32 v86, v2, v38
	v_dual_add_f32 v42, v10, v38 :: v_dual_add_f32 v85, v3, v39
	;; [unrolled: 1-line block ×4, first 2 shown]
	v_add_f32_e32 v103, v14, v38
	v_dual_add_f32 v39, v7, v39 :: v_dual_add_f32 v22, v22, v30
	v_dual_add_f32 v23, v23, v31 :: v_dual_add_f32 v18, v18, v30
	v_min3_f32 v84, v42, v41, v95
	s_delay_alu instid0(VALU_DEP_4)
	v_min3_f32 v42, v103, v102, v90
	v_add_f32_e32 v19, v19, v31
	v_add_f32_e32 v90, v11, v31
	v_min3_f32 v11, v22, v23, v88
	v_dual_add_f32 v23, v26, v30 :: v_dual_add_nc_u32 v26, 12, v149
	v_add_f32_e32 v38, v6, v38
	v_min3_f32 v85, v86, v85, v94
	v_min3_f32 v86, v99, v96, v93
	v_dual_add_f32 v3, v3, v31 :: v_dual_add_f32 v6, v6, v30
	v_dual_add_f32 v93, v2, v30 :: v_dual_add_f32 v22, v27, v31
	v_cmp_le_i32_e64 s6, s18, v26
	v_min3_f32 v41, v101, v100, v91
	v_add_f32_e32 v91, v10, v30
	v_min3_f32 v18, v18, v19, v87
	v_min3_f32 v3, v93, v3, v0
	v_dual_add_f32 v0, v35, v31 :: v_dual_add_f32 v19, v34, v30
	v_add_f32_e32 v15, v15, v31
	v_add_f32_e32 v27, v14, v30
	;; [unrolled: 1-line block ×3, first 2 shown]
	s_or_b32 s6, s6, s5
	v_min3_f32 v10, v38, v39, v89
	v_min3_f32 v2, v91, v90, v97
	v_min3_f32 v7, v19, v0, v98
	v_min3_f32 v14, v23, v22, v139
	v_min3_f32 v15, v27, v15, v140
	v_min3_f32 v6, v6, v31, v92
	v_cndmask_b32_e64 v0, 0, 0x7f7fffff, s6
	s_or_b32 s6, s14, s6
	s_delay_alu instid0(SALU_CYCLE_1) | instskip(NEXT) | instid1(SALU_CYCLE_1)
	s_xor_b32 s7, s6, -1
	s_and_saveexec_b32 s6, s7
	s_cbranch_execz .LBB59_31
; %bb.51:                               ;   in Loop: Header=BB59_32 Depth=1
	flat_load_b32 v0, v[66:67]
	s_waitcnt vmcnt(0) lgkmcnt(0)
	v_mul_f32_e32 v0, s19, v0
	s_branch .LBB59_31
.LBB59_52:
	s_clause 0x2
	s_load_b64 s[2:3], s[0:1], 0x70
	s_load_b32 s18, s[0:1], 0x50
	s_load_b32 s14, s[0:1], 0x68
	ds_load_b128 v[32:35], v71 offset:4096
	ds_load_b128 v[28:31], v71 offset:4608
	;; [unrolled: 1-line block ×12, first 2 shown]
	v_add_nc_u32_e32 v132, s9, v69
	ds_load_b128 v[44:47], v72 offset:9728
	ds_load_b128 v[40:43], v72 offset:9856
	;; [unrolled: 1-line block ×4, first 2 shown]
	v_cndmask_b32_e64 v121, 0, 1, s25
	s_waitcnt lgkmcnt(0)
	s_mul_i32 s0, s15, s3
	v_mad_i64_i32 v[64:65], null, v132, s18, 0
	v_mad_i64_i32 v[66:67], null, v132, s14, 0
	s_mul_hi_u32 s1, s15, s2
	s_mul_i32 s3, s26, s2
	s_add_i32 s1, s1, s0
	s_mul_i32 s0, s15, s2
	s_delay_alu instid0(VALU_DEP_2) | instskip(SKIP_1) | instid1(VALU_DEP_2)
	v_lshlrev_b64 v[69:70], 2, v[64:65]
	s_add_i32 s1, s1, s3
	v_lshlrev_b64 v[65:66], 2, v[66:67]
	v_add_nc_u32_e32 v64, s8, v68
	s_lshl_b64 s[0:1], s[0:1], 2
	v_cmp_gt_i32_e64 s8, s17, v132
	v_add_co_u32 v143, vcc_lo, s12, v69
	s_add_u32 s9, s10, s0
	v_add_co_ci_u32_e32 v144, vcc_lo, s13, v70, vcc_lo
	s_addc_u32 s10, s11, s1
	v_add_co_u32 v141, vcc_lo, s9, v65
	v_cmp_gt_i32_e64 s0, s16, v64
	v_add_co_ci_u32_e32 v142, vcc_lo, s10, v66, vcc_lo
	v_ashrrev_i32_e32 v65, 31, v64
	s_delay_alu instid0(VALU_DEP_3) | instskip(NEXT) | instid1(SALU_CYCLE_1)
	s_and_b32 s2, s0, s8
	s_and_saveexec_b32 s1, s2
	s_cbranch_execz .LBB59_57
; %bb.53:
	s_delay_alu instid0(VALU_DEP_1)
	v_lshlrev_b64 v[66:67], 2, v[64:65]
	s_and_not1_b32 vcc_lo, exec_lo, s25
	s_cbranch_vccnz .LBB59_55
; %bb.54:
	s_delay_alu instid0(VALU_DEP_1) | instskip(NEXT) | instid1(VALU_DEP_2)
	v_add_co_u32 v68, vcc_lo, v143, v66
	v_add_co_ci_u32_e32 v69, vcc_lo, v144, v67, vcc_lo
	flat_load_b32 v68, v[68:69]
	s_waitcnt vmcnt(0) lgkmcnt(0)
	v_mul_f32_e32 v68, s24, v68
	s_branch .LBB59_56
.LBB59_55:
	v_mov_b32_e32 v68, 0
.LBB59_56:
	v_dual_add_f32 v69, v33, v61 :: v_dual_add_f32 v70, v32, v60
	v_dual_add_f32 v71, v35, v63 :: v_dual_add_f32 v72, v34, v62
	v_add_co_u32 v66, vcc_lo, v141, v66
	s_delay_alu instid0(VALU_DEP_3) | instskip(SKIP_1) | instid1(VALU_DEP_4)
	v_min3_f32 v69, v70, v69, v81
	v_add_co_ci_u32_e32 v67, vcc_lo, v142, v67, vcc_lo
	v_min_f32_e32 v70, v72, v71
	s_delay_alu instid0(VALU_DEP_1)
	v_min3_f32 v68, v68, v70, v69
	global_store_b32 v[66:67], v68, off
.LBB59_57:
	s_or_b32 exec_lo, exec_lo, s1
	v_add_nc_u32_e32 v66, 32, v64
	s_delay_alu instid0(VALU_DEP_1) | instskip(SKIP_1) | instid1(VALU_DEP_2)
	v_cmp_gt_i32_e64 s1, s16, v66
	v_ashrrev_i32_e32 v67, 31, v66
	s_and_b32 s3, s1, s8
	s_delay_alu instid0(SALU_CYCLE_1)
	s_and_saveexec_b32 s2, s3
	s_cbranch_execz .LBB59_62
; %bb.58:
	v_cmp_ne_u32_e32 vcc_lo, 1, v121
	v_lshlrev_b64 v[68:69], 2, v[66:67]
	s_cbranch_vccnz .LBB59_60
; %bb.59:
	s_delay_alu instid0(VALU_DEP_1) | instskip(NEXT) | instid1(VALU_DEP_2)
	v_add_co_u32 v70, vcc_lo, v143, v68
	v_add_co_ci_u32_e32 v71, vcc_lo, v144, v69, vcc_lo
	flat_load_b32 v70, v[70:71]
	s_waitcnt vmcnt(0) lgkmcnt(0)
	v_mul_f32_e32 v70, s24, v70
	s_branch .LBB59_61
.LBB59_60:
	v_mov_b32_e32 v70, 0
.LBB59_61:
	v_dual_add_f32 v71, v29, v61 :: v_dual_add_f32 v72, v28, v60
	v_dual_add_f32 v73, v31, v63 :: v_dual_add_f32 v74, v30, v62
	s_delay_alu instid0(VALU_DEP_4) | instskip(NEXT) | instid1(VALU_DEP_3)
	v_add_co_u32 v68, vcc_lo, v141, v68
	v_min3_f32 v71, v72, v71, v79
	v_add_co_ci_u32_e32 v69, vcc_lo, v142, v69, vcc_lo
	s_delay_alu instid0(VALU_DEP_4) | instskip(NEXT) | instid1(VALU_DEP_1)
	v_min_f32_e32 v72, v74, v73
	v_min3_f32 v70, v70, v72, v71
	global_store_b32 v[68:69], v70, off
.LBB59_62:
	s_or_b32 exec_lo, exec_lo, s2
	v_add_nc_u32_e32 v68, 64, v64
	s_delay_alu instid0(VALU_DEP_1) | instskip(SKIP_1) | instid1(VALU_DEP_2)
	v_cmp_gt_i32_e64 s2, s16, v68
	v_ashrrev_i32_e32 v69, 31, v68
	s_and_b32 s4, s2, s8
	s_delay_alu instid0(SALU_CYCLE_1)
	s_and_saveexec_b32 s3, s4
	s_cbranch_execz .LBB59_67
; %bb.63:
	v_cmp_ne_u32_e32 vcc_lo, 1, v121
	v_lshlrev_b64 v[70:71], 2, v[68:69]
	s_cbranch_vccnz .LBB59_65
; %bb.64:
	s_delay_alu instid0(VALU_DEP_1) | instskip(NEXT) | instid1(VALU_DEP_2)
	v_add_co_u32 v72, vcc_lo, v143, v70
	v_add_co_ci_u32_e32 v73, vcc_lo, v144, v71, vcc_lo
	flat_load_b32 v72, v[72:73]
	s_waitcnt vmcnt(0) lgkmcnt(0)
	v_mul_f32_e32 v72, s24, v72
	s_branch .LBB59_66
.LBB59_65:
	v_mov_b32_e32 v72, 0
.LBB59_66:
	v_dual_add_f32 v73, v25, v61 :: v_dual_add_f32 v74, v24, v60
	v_add_f32_e32 v79, v27, v63
	v_add_f32_e32 v81, v26, v62
	v_add_co_u32 v70, vcc_lo, v141, v70
	s_delay_alu instid0(VALU_DEP_4) | instskip(SKIP_1) | instid1(VALU_DEP_4)
	v_min3_f32 v73, v74, v73, v77
	v_add_co_ci_u32_e32 v71, vcc_lo, v142, v71, vcc_lo
	v_min_f32_e32 v74, v81, v79
	s_delay_alu instid0(VALU_DEP_1)
	v_min3_f32 v72, v72, v74, v73
	global_store_b32 v[70:71], v72, off
.LBB59_67:
	s_or_b32 exec_lo, exec_lo, s3
	v_add_nc_u32_e32 v70, 0x60, v64
	s_delay_alu instid0(VALU_DEP_1) | instskip(SKIP_1) | instid1(VALU_DEP_2)
	v_cmp_gt_i32_e64 s3, s16, v70
	v_ashrrev_i32_e32 v71, 31, v70
	s_and_b32 s5, s3, s8
	s_delay_alu instid0(SALU_CYCLE_1)
	s_and_saveexec_b32 s4, s5
	s_cbranch_execz .LBB59_72
; %bb.68:
	v_cmp_ne_u32_e32 vcc_lo, 1, v121
	v_lshlrev_b64 v[72:73], 2, v[70:71]
	s_cbranch_vccnz .LBB59_70
; %bb.69:
	s_delay_alu instid0(VALU_DEP_1) | instskip(NEXT) | instid1(VALU_DEP_2)
	v_add_co_u32 v145, vcc_lo, v143, v72
	v_add_co_ci_u32_e32 v146, vcc_lo, v144, v73, vcc_lo
	flat_load_b32 v74, v[145:146]
	s_waitcnt vmcnt(0) lgkmcnt(0)
	v_mul_f32_e32 v74, s24, v74
	s_branch .LBB59_71
.LBB59_70:
	v_mov_b32_e32 v74, 0
.LBB59_71:
	v_add_f32_e32 v77, v21, v61
	v_add_f32_e32 v79, v20, v60
	;; [unrolled: 1-line block ×4, first 2 shown]
	v_add_co_u32 v72, vcc_lo, v141, v72
	s_delay_alu instid0(VALU_DEP_4) | instskip(SKIP_1) | instid1(VALU_DEP_4)
	v_min3_f32 v75, v79, v77, v75
	v_add_co_ci_u32_e32 v73, vcc_lo, v142, v73, vcc_lo
	v_min_f32_e32 v77, v145, v81
	s_delay_alu instid0(VALU_DEP_1)
	v_min3_f32 v74, v74, v77, v75
	global_store_b32 v[72:73], v74, off
.LBB59_72:
	s_or_b32 exec_lo, exec_lo, s4
	v_add_nc_u32_e32 v72, 0x80, v64
	s_delay_alu instid0(VALU_DEP_1) | instskip(SKIP_1) | instid1(VALU_DEP_2)
	v_cmp_gt_i32_e64 s4, s16, v72
	v_ashrrev_i32_e32 v73, 31, v72
	s_and_b32 s6, s4, s8
	s_delay_alu instid0(SALU_CYCLE_1)
	s_and_saveexec_b32 s5, s6
	s_cbranch_execz .LBB59_77
; %bb.73:
	v_cmp_ne_u32_e32 vcc_lo, 1, v121
	v_lshlrev_b64 v[74:75], 2, v[72:73]
	s_cbranch_vccnz .LBB59_75
; %bb.74:
	s_delay_alu instid0(VALU_DEP_1) | instskip(NEXT) | instid1(VALU_DEP_2)
	v_add_co_u32 v145, vcc_lo, v143, v74
	v_add_co_ci_u32_e32 v146, vcc_lo, v144, v75, vcc_lo
	flat_load_b32 v77, v[145:146]
	s_waitcnt vmcnt(0) lgkmcnt(0)
	v_mul_f32_e32 v77, s24, v77
	s_branch .LBB59_76
.LBB59_75:
	v_mov_b32_e32 v77, 0
.LBB59_76:
	v_dual_add_f32 v79, v17, v61 :: v_dual_add_f32 v146, v18, v62
	v_add_f32_e32 v81, v16, v60
	v_add_f32_e32 v145, v19, v63
	v_add_co_u32 v74, vcc_lo, v141, v74
	v_add_co_ci_u32_e32 v75, vcc_lo, v142, v75, vcc_lo
	s_delay_alu instid0(VALU_DEP_4) | instskip(NEXT) | instid1(VALU_DEP_4)
	v_min3_f32 v76, v81, v79, v76
	v_min_f32_e32 v79, v146, v145
	s_delay_alu instid0(VALU_DEP_1)
	v_min3_f32 v76, v77, v79, v76
	global_store_b32 v[74:75], v76, off
.LBB59_77:
	s_or_b32 exec_lo, exec_lo, s5
	v_add_nc_u32_e32 v74, 0xa0, v64
	s_delay_alu instid0(VALU_DEP_1) | instskip(SKIP_1) | instid1(VALU_DEP_2)
	v_cmp_gt_i32_e64 s5, s16, v74
	v_ashrrev_i32_e32 v75, 31, v74
	s_and_b32 s7, s5, s8
	s_delay_alu instid0(SALU_CYCLE_1)
	s_and_saveexec_b32 s6, s7
	s_cbranch_execz .LBB59_82
; %bb.78:
	v_cmp_ne_u32_e32 vcc_lo, 1, v121
	v_lshlrev_b64 v[76:77], 2, v[74:75]
	s_cbranch_vccnz .LBB59_80
; %bb.79:
	s_delay_alu instid0(VALU_DEP_1) | instskip(NEXT) | instid1(VALU_DEP_2)
	v_add_co_u32 v145, vcc_lo, v143, v76
	v_add_co_ci_u32_e32 v146, vcc_lo, v144, v77, vcc_lo
	flat_load_b32 v79, v[145:146]
	s_waitcnt vmcnt(0) lgkmcnt(0)
	v_mul_f32_e32 v79, s24, v79
	s_branch .LBB59_81
.LBB59_80:
	v_mov_b32_e32 v79, 0
.LBB59_81:
	v_dual_add_f32 v81, v13, v61 :: v_dual_add_f32 v146, v15, v63
	v_add_f32_e32 v145, v12, v60
	v_add_f32_e32 v147, v14, v62
	v_add_co_u32 v76, vcc_lo, v141, v76
	v_add_co_ci_u32_e32 v77, vcc_lo, v142, v77, vcc_lo
	s_delay_alu instid0(VALU_DEP_4) | instskip(NEXT) | instid1(VALU_DEP_4)
	v_min3_f32 v78, v145, v81, v78
	v_min_f32_e32 v81, v147, v146
	s_delay_alu instid0(VALU_DEP_1)
	v_min3_f32 v78, v79, v81, v78
	global_store_b32 v[76:77], v78, off
.LBB59_82:
	s_or_b32 exec_lo, exec_lo, s6
	v_add_nc_u32_e32 v76, 0xc0, v64
	s_delay_alu instid0(VALU_DEP_1) | instskip(SKIP_1) | instid1(VALU_DEP_2)
	v_cmp_gt_i32_e64 s6, s16, v76
	v_ashrrev_i32_e32 v77, 31, v76
	s_and_b32 s11, s6, s8
	s_delay_alu instid0(SALU_CYCLE_1)
	s_and_saveexec_b32 s7, s11
	s_cbranch_execz .LBB59_87
; %bb.83:
	v_cmp_ne_u32_e32 vcc_lo, 1, v121
	v_lshlrev_b64 v[78:79], 2, v[76:77]
	s_cbranch_vccnz .LBB59_85
; %bb.84:
	s_delay_alu instid0(VALU_DEP_1) | instskip(NEXT) | instid1(VALU_DEP_2)
	v_add_co_u32 v145, vcc_lo, v143, v78
	v_add_co_ci_u32_e32 v146, vcc_lo, v144, v79, vcc_lo
	flat_load_b32 v81, v[145:146]
	s_waitcnt vmcnt(0) lgkmcnt(0)
	v_mul_f32_e32 v81, s24, v81
	s_branch .LBB59_86
.LBB59_85:
	v_mov_b32_e32 v81, 0
.LBB59_86:
	v_dual_add_f32 v145, v9, v61 :: v_dual_add_f32 v146, v8, v60
	v_dual_add_f32 v147, v11, v63 :: v_dual_add_f32 v148, v10, v62
	s_delay_alu instid0(VALU_DEP_4) | instskip(NEXT) | instid1(VALU_DEP_3)
	v_add_co_u32 v78, vcc_lo, v141, v78
	v_min3_f32 v80, v146, v145, v80
	v_add_co_ci_u32_e32 v79, vcc_lo, v142, v79, vcc_lo
	s_delay_alu instid0(VALU_DEP_4) | instskip(NEXT) | instid1(VALU_DEP_1)
	v_min_f32_e32 v145, v148, v147
	v_min3_f32 v80, v81, v145, v80
	global_store_b32 v[78:79], v80, off
.LBB59_87:
	s_or_b32 exec_lo, exec_lo, s7
	v_add_nc_u32_e32 v78, 0xe0, v64
	s_delay_alu instid0(VALU_DEP_1) | instskip(SKIP_1) | instid1(VALU_DEP_2)
	v_cmp_gt_i32_e64 s7, s16, v78
	v_ashrrev_i32_e32 v79, 31, v78
	s_and_b32 s11, s7, s8
	s_delay_alu instid0(SALU_CYCLE_1)
	s_and_saveexec_b32 s8, s11
	s_cbranch_execz .LBB59_92
; %bb.88:
	v_cmp_ne_u32_e32 vcc_lo, 1, v121
	v_lshlrev_b64 v[80:81], 2, v[78:79]
	s_cbranch_vccnz .LBB59_90
; %bb.89:
	s_delay_alu instid0(VALU_DEP_1) | instskip(NEXT) | instid1(VALU_DEP_2)
	v_add_co_u32 v143, vcc_lo, v143, v80
	v_add_co_ci_u32_e32 v144, vcc_lo, v144, v81, vcc_lo
	flat_load_b32 v143, v[143:144]
	s_waitcnt vmcnt(0) lgkmcnt(0)
	v_mul_f32_e32 v143, s24, v143
	s_branch .LBB59_91
.LBB59_90:
	v_mov_b32_e32 v143, 0
.LBB59_91:
	v_dual_add_f32 v61, v1, v61 :: v_dual_add_f32 v60, v0, v60
	v_dual_add_f32 v63, v3, v63 :: v_dual_add_f32 v62, v2, v62
	s_delay_alu instid0(VALU_DEP_2) | instskip(NEXT) | instid1(VALU_DEP_2)
	v_min3_f32 v60, v60, v61, v140
	v_min_f32_e32 v61, v62, v63
	s_delay_alu instid0(VALU_DEP_1)
	v_min3_f32 v62, v143, v61, v60
	v_add_co_u32 v60, vcc_lo, v141, v80
	v_add_co_ci_u32_e32 v61, vcc_lo, v142, v81, vcc_lo
	global_store_b32 v[60:61], v62, off
.LBB59_92:
	s_or_b32 exec_lo, exec_lo, s8
	v_add_nc_u32_e32 v80, 8, v132
	s_delay_alu instid0(VALU_DEP_1) | instskip(SKIP_2) | instid1(VALU_DEP_3)
	v_mad_i64_i32 v[60:61], null, v80, s18, 0
	v_mad_i64_i32 v[62:63], null, v80, s14, 0
	v_cmp_gt_i32_e64 s8, s17, v80
	v_lshlrev_b64 v[60:61], 2, v[60:61]
	s_delay_alu instid0(VALU_DEP_2) | instskip(NEXT) | instid1(VALU_DEP_3)
	s_and_b32 s15, s0, s8
	v_lshlrev_b64 v[62:63], 2, v[62:63]
	s_delay_alu instid0(VALU_DEP_2) | instskip(NEXT) | instid1(VALU_DEP_3)
	v_add_co_u32 v80, vcc_lo, s12, v60
	v_add_co_ci_u32_e32 v81, vcc_lo, s13, v61, vcc_lo
	s_delay_alu instid0(VALU_DEP_3) | instskip(NEXT) | instid1(VALU_DEP_4)
	v_add_co_u32 v62, vcc_lo, s9, v62
	v_add_co_ci_u32_e32 v63, vcc_lo, s10, v63, vcc_lo
	s_and_saveexec_b32 s11, s15
	s_cbranch_execnz .LBB59_100
; %bb.93:
	s_or_b32 exec_lo, exec_lo, s11
	s_and_b32 s15, s1, s8
	s_delay_alu instid0(SALU_CYCLE_1)
	s_and_saveexec_b32 s11, s15
	s_cbranch_execnz .LBB59_104
.LBB59_94:
	s_or_b32 exec_lo, exec_lo, s11
	s_and_b32 s15, s2, s8
	s_delay_alu instid0(SALU_CYCLE_1)
	s_and_saveexec_b32 s11, s15
	s_cbranch_execnz .LBB59_108
.LBB59_95:
	s_or_b32 exec_lo, exec_lo, s11
	s_and_b32 s15, s3, s8
	s_delay_alu instid0(SALU_CYCLE_1)
	s_and_saveexec_b32 s11, s15
	s_cbranch_execnz .LBB59_112
.LBB59_96:
	s_or_b32 exec_lo, exec_lo, s11
	s_and_b32 s15, s4, s8
	s_delay_alu instid0(SALU_CYCLE_1)
	s_and_saveexec_b32 s11, s15
	s_cbranch_execnz .LBB59_116
.LBB59_97:
	s_or_b32 exec_lo, exec_lo, s11
	s_and_b32 s15, s5, s8
	s_delay_alu instid0(SALU_CYCLE_1)
	s_and_saveexec_b32 s11, s15
	s_cbranch_execnz .LBB59_120
.LBB59_98:
	s_or_b32 exec_lo, exec_lo, s11
	s_and_b32 s15, s6, s8
	s_delay_alu instid0(SALU_CYCLE_1)
	s_and_saveexec_b32 s11, s15
	s_cbranch_execnz .LBB59_124
.LBB59_99:
	s_or_b32 exec_lo, exec_lo, s11
	s_and_b32 s11, s7, s8
	s_delay_alu instid0(SALU_CYCLE_1)
	s_and_saveexec_b32 s8, s11
	s_cbranch_execnz .LBB59_128
	s_branch .LBB59_132
.LBB59_100:
	v_cmp_ne_u32_e32 vcc_lo, 1, v121
	v_lshlrev_b64 v[60:61], 2, v[64:65]
	s_cbranch_vccnz .LBB59_102
; %bb.101:
	s_delay_alu instid0(VALU_DEP_1) | instskip(NEXT) | instid1(VALU_DEP_2)
	v_add_co_u32 v140, vcc_lo, v80, v60
	v_add_co_ci_u32_e32 v141, vcc_lo, v81, v61, vcc_lo
	flat_load_b32 v140, v[140:141]
	s_waitcnt vmcnt(0) lgkmcnt(0)
	v_mul_f32_e32 v140, s24, v140
	s_branch .LBB59_103
.LBB59_102:
	v_mov_b32_e32 v140, 0
.LBB59_103:
	v_dual_add_f32 v141, v33, v57 :: v_dual_add_f32 v142, v32, v56
	v_dual_add_f32 v143, v35, v59 :: v_dual_add_f32 v144, v34, v58
	s_delay_alu instid0(VALU_DEP_4) | instskip(NEXT) | instid1(VALU_DEP_3)
	v_add_co_u32 v60, vcc_lo, v62, v60
	v_min3_f32 v139, v142, v141, v139
	v_add_co_ci_u32_e32 v61, vcc_lo, v63, v61, vcc_lo
	s_delay_alu instid0(VALU_DEP_4) | instskip(NEXT) | instid1(VALU_DEP_1)
	v_min_f32_e32 v141, v144, v143
	v_min3_f32 v139, v140, v141, v139
	global_store_b32 v[60:61], v139, off
	s_or_b32 exec_lo, exec_lo, s11
	s_and_b32 s15, s1, s8
	s_delay_alu instid0(SALU_CYCLE_1)
	s_and_saveexec_b32 s11, s15
	s_cbranch_execz .LBB59_94
.LBB59_104:
	v_cmp_ne_u32_e32 vcc_lo, 1, v121
	v_lshlrev_b64 v[60:61], 2, v[66:67]
	s_cbranch_vccnz .LBB59_106
; %bb.105:
	s_delay_alu instid0(VALU_DEP_1) | instskip(NEXT) | instid1(VALU_DEP_2)
	v_add_co_u32 v139, vcc_lo, v80, v60
	v_add_co_ci_u32_e32 v140, vcc_lo, v81, v61, vcc_lo
	flat_load_b32 v139, v[139:140]
	s_waitcnt vmcnt(0) lgkmcnt(0)
	v_mul_f32_e32 v139, s24, v139
	s_branch .LBB59_107
.LBB59_106:
	v_mov_b32_e32 v139, 0
.LBB59_107:
	v_dual_add_f32 v140, v29, v57 :: v_dual_add_f32 v141, v28, v56
	v_dual_add_f32 v142, v31, v59 :: v_dual_add_f32 v143, v30, v58
	s_delay_alu instid0(VALU_DEP_4) | instskip(NEXT) | instid1(VALU_DEP_3)
	v_add_co_u32 v60, vcc_lo, v62, v60
	v_min3_f32 v138, v141, v140, v138
	v_add_co_ci_u32_e32 v61, vcc_lo, v63, v61, vcc_lo
	s_delay_alu instid0(VALU_DEP_4) | instskip(NEXT) | instid1(VALU_DEP_1)
	v_min_f32_e32 v140, v143, v142
	v_min3_f32 v138, v139, v140, v138
	global_store_b32 v[60:61], v138, off
	s_or_b32 exec_lo, exec_lo, s11
	s_and_b32 s15, s2, s8
	s_delay_alu instid0(SALU_CYCLE_1)
	s_and_saveexec_b32 s11, s15
	s_cbranch_execz .LBB59_95
.LBB59_108:
	v_cmp_ne_u32_e32 vcc_lo, 1, v121
	v_lshlrev_b64 v[60:61], 2, v[68:69]
	s_cbranch_vccnz .LBB59_110
; %bb.109:
	s_delay_alu instid0(VALU_DEP_1) | instskip(NEXT) | instid1(VALU_DEP_2)
	v_add_co_u32 v138, vcc_lo, v80, v60
	v_add_co_ci_u32_e32 v139, vcc_lo, v81, v61, vcc_lo
	flat_load_b32 v138, v[138:139]
	s_waitcnt vmcnt(0) lgkmcnt(0)
	v_mul_f32_e32 v138, s24, v138
	s_branch .LBB59_111
.LBB59_110:
	v_mov_b32_e32 v138, 0
.LBB59_111:
	v_dual_add_f32 v139, v25, v57 :: v_dual_add_f32 v140, v24, v56
	v_dual_add_f32 v141, v27, v59 :: v_dual_add_f32 v142, v26, v58
	s_delay_alu instid0(VALU_DEP_4) | instskip(NEXT) | instid1(VALU_DEP_3)
	v_add_co_u32 v60, vcc_lo, v62, v60
	v_min3_f32 v137, v140, v139, v137
	v_add_co_ci_u32_e32 v61, vcc_lo, v63, v61, vcc_lo
	s_delay_alu instid0(VALU_DEP_4) | instskip(NEXT) | instid1(VALU_DEP_1)
	v_min_f32_e32 v139, v142, v141
	v_min3_f32 v137, v138, v139, v137
	global_store_b32 v[60:61], v137, off
	s_or_b32 exec_lo, exec_lo, s11
	s_and_b32 s15, s3, s8
	s_delay_alu instid0(SALU_CYCLE_1)
	s_and_saveexec_b32 s11, s15
	s_cbranch_execz .LBB59_96
.LBB59_112:
	v_cmp_ne_u32_e32 vcc_lo, 1, v121
	v_lshlrev_b64 v[60:61], 2, v[70:71]
	s_cbranch_vccnz .LBB59_114
; %bb.113:
	s_delay_alu instid0(VALU_DEP_1) | instskip(NEXT) | instid1(VALU_DEP_2)
	v_add_co_u32 v137, vcc_lo, v80, v60
	v_add_co_ci_u32_e32 v138, vcc_lo, v81, v61, vcc_lo
	flat_load_b32 v137, v[137:138]
	s_waitcnt vmcnt(0) lgkmcnt(0)
	v_mul_f32_e32 v137, s24, v137
	s_branch .LBB59_115
.LBB59_114:
	v_mov_b32_e32 v137, 0
.LBB59_115:
	v_dual_add_f32 v138, v21, v57 :: v_dual_add_f32 v139, v20, v56
	v_dual_add_f32 v140, v23, v59 :: v_dual_add_f32 v141, v22, v58
	s_delay_alu instid0(VALU_DEP_4) | instskip(NEXT) | instid1(VALU_DEP_3)
	v_add_co_u32 v60, vcc_lo, v62, v60
	v_min3_f32 v136, v139, v138, v136
	v_add_co_ci_u32_e32 v61, vcc_lo, v63, v61, vcc_lo
	s_delay_alu instid0(VALU_DEP_4) | instskip(NEXT) | instid1(VALU_DEP_1)
	v_min_f32_e32 v138, v141, v140
	v_min3_f32 v136, v137, v138, v136
	global_store_b32 v[60:61], v136, off
	s_or_b32 exec_lo, exec_lo, s11
	s_and_b32 s15, s4, s8
	s_delay_alu instid0(SALU_CYCLE_1)
	s_and_saveexec_b32 s11, s15
	s_cbranch_execz .LBB59_97
.LBB59_116:
	v_cmp_ne_u32_e32 vcc_lo, 1, v121
	v_lshlrev_b64 v[60:61], 2, v[72:73]
	s_cbranch_vccnz .LBB59_118
; %bb.117:
	s_delay_alu instid0(VALU_DEP_1) | instskip(NEXT) | instid1(VALU_DEP_2)
	v_add_co_u32 v136, vcc_lo, v80, v60
	v_add_co_ci_u32_e32 v137, vcc_lo, v81, v61, vcc_lo
	flat_load_b32 v136, v[136:137]
	s_waitcnt vmcnt(0) lgkmcnt(0)
	v_mul_f32_e32 v136, s24, v136
	s_branch .LBB59_119
.LBB59_118:
	v_mov_b32_e32 v136, 0
.LBB59_119:
	v_dual_add_f32 v137, v17, v57 :: v_dual_add_f32 v138, v16, v56
	v_dual_add_f32 v139, v19, v59 :: v_dual_add_f32 v140, v18, v58
	s_delay_alu instid0(VALU_DEP_4) | instskip(NEXT) | instid1(VALU_DEP_3)
	v_add_co_u32 v60, vcc_lo, v62, v60
	v_min3_f32 v135, v138, v137, v135
	v_add_co_ci_u32_e32 v61, vcc_lo, v63, v61, vcc_lo
	s_delay_alu instid0(VALU_DEP_4) | instskip(NEXT) | instid1(VALU_DEP_1)
	v_min_f32_e32 v137, v140, v139
	v_min3_f32 v135, v136, v137, v135
	global_store_b32 v[60:61], v135, off
	s_or_b32 exec_lo, exec_lo, s11
	s_and_b32 s15, s5, s8
	s_delay_alu instid0(SALU_CYCLE_1)
	s_and_saveexec_b32 s11, s15
	s_cbranch_execz .LBB59_98
.LBB59_120:
	v_cmp_ne_u32_e32 vcc_lo, 1, v121
	v_lshlrev_b64 v[60:61], 2, v[74:75]
	s_cbranch_vccnz .LBB59_122
; %bb.121:
	s_delay_alu instid0(VALU_DEP_1) | instskip(NEXT) | instid1(VALU_DEP_2)
	v_add_co_u32 v135, vcc_lo, v80, v60
	v_add_co_ci_u32_e32 v136, vcc_lo, v81, v61, vcc_lo
	flat_load_b32 v135, v[135:136]
	s_waitcnt vmcnt(0) lgkmcnt(0)
	v_mul_f32_e32 v135, s24, v135
	s_branch .LBB59_123
.LBB59_122:
	v_mov_b32_e32 v135, 0
.LBB59_123:
	v_dual_add_f32 v136, v13, v57 :: v_dual_add_f32 v137, v12, v56
	v_dual_add_f32 v138, v15, v59 :: v_dual_add_f32 v139, v14, v58
	s_delay_alu instid0(VALU_DEP_4) | instskip(NEXT) | instid1(VALU_DEP_3)
	v_add_co_u32 v60, vcc_lo, v62, v60
	v_min3_f32 v134, v137, v136, v134
	v_add_co_ci_u32_e32 v61, vcc_lo, v63, v61, vcc_lo
	s_delay_alu instid0(VALU_DEP_4) | instskip(NEXT) | instid1(VALU_DEP_1)
	v_min_f32_e32 v136, v139, v138
	v_min3_f32 v134, v135, v136, v134
	global_store_b32 v[60:61], v134, off
	s_or_b32 exec_lo, exec_lo, s11
	s_and_b32 s15, s6, s8
	s_delay_alu instid0(SALU_CYCLE_1)
	s_and_saveexec_b32 s11, s15
	s_cbranch_execz .LBB59_99
.LBB59_124:
	v_cmp_ne_u32_e32 vcc_lo, 1, v121
	v_lshlrev_b64 v[60:61], 2, v[76:77]
	s_cbranch_vccnz .LBB59_126
; %bb.125:
	s_delay_alu instid0(VALU_DEP_1) | instskip(NEXT) | instid1(VALU_DEP_2)
	v_add_co_u32 v134, vcc_lo, v80, v60
	v_add_co_ci_u32_e32 v135, vcc_lo, v81, v61, vcc_lo
	flat_load_b32 v134, v[134:135]
	s_waitcnt vmcnt(0) lgkmcnt(0)
	v_mul_f32_e32 v134, s24, v134
	s_branch .LBB59_127
.LBB59_126:
	v_mov_b32_e32 v134, 0
.LBB59_127:
	v_dual_add_f32 v135, v9, v57 :: v_dual_add_f32 v136, v8, v56
	v_dual_add_f32 v137, v11, v59 :: v_dual_add_f32 v138, v10, v58
	s_delay_alu instid0(VALU_DEP_4) | instskip(NEXT) | instid1(VALU_DEP_3)
	v_add_co_u32 v60, vcc_lo, v62, v60
	v_min3_f32 v133, v136, v135, v133
	v_add_co_ci_u32_e32 v61, vcc_lo, v63, v61, vcc_lo
	s_delay_alu instid0(VALU_DEP_4) | instskip(NEXT) | instid1(VALU_DEP_1)
	v_min_f32_e32 v135, v138, v137
	v_min3_f32 v133, v134, v135, v133
	global_store_b32 v[60:61], v133, off
	s_or_b32 exec_lo, exec_lo, s11
	s_and_b32 s11, s7, s8
	s_delay_alu instid0(SALU_CYCLE_1)
	s_and_saveexec_b32 s8, s11
	s_cbranch_execz .LBB59_132
.LBB59_128:
	v_cmp_ne_u32_e32 vcc_lo, 1, v121
	v_lshlrev_b64 v[60:61], 2, v[78:79]
	s_cbranch_vccnz .LBB59_130
; %bb.129:
	s_delay_alu instid0(VALU_DEP_1) | instskip(NEXT) | instid1(VALU_DEP_2)
	v_add_co_u32 v80, vcc_lo, v80, v60
	v_add_co_ci_u32_e32 v81, vcc_lo, v81, v61, vcc_lo
	flat_load_b32 v80, v[80:81]
	s_waitcnt vmcnt(0) lgkmcnt(0)
	v_mul_f32_e32 v80, s24, v80
	s_branch .LBB59_131
.LBB59_130:
	v_mov_b32_e32 v80, 0
.LBB59_131:
	v_dual_add_f32 v57, v1, v57 :: v_dual_add_f32 v56, v0, v56
	v_dual_add_f32 v59, v3, v59 :: v_dual_add_f32 v58, v2, v58
	s_delay_alu instid0(VALU_DEP_2) | instskip(NEXT) | instid1(VALU_DEP_2)
	v_min3_f32 v56, v56, v57, v131
	v_min_f32_e32 v57, v58, v59
	s_delay_alu instid0(VALU_DEP_1)
	v_min3_f32 v58, v80, v57, v56
	v_add_co_u32 v56, vcc_lo, v62, v60
	v_add_co_ci_u32_e32 v57, vcc_lo, v63, v61, vcc_lo
	global_store_b32 v[56:57], v58, off
.LBB59_132:
	s_or_b32 exec_lo, exec_lo, s8
	v_add_nc_u32_e32 v60, 16, v132
	s_delay_alu instid0(VALU_DEP_1) | instskip(SKIP_2) | instid1(VALU_DEP_3)
	v_mad_i64_i32 v[56:57], null, v60, s18, 0
	v_mad_i64_i32 v[58:59], null, v60, s14, 0
	v_cmp_gt_i32_e64 s8, s17, v60
	v_lshlrev_b64 v[56:57], 2, v[56:57]
	s_delay_alu instid0(VALU_DEP_2) | instskip(NEXT) | instid1(VALU_DEP_3)
	s_and_b32 s15, s0, s8
	v_lshlrev_b64 v[58:59], 2, v[58:59]
	s_delay_alu instid0(VALU_DEP_2) | instskip(NEXT) | instid1(VALU_DEP_3)
	v_add_co_u32 v60, vcc_lo, s12, v56
	v_add_co_ci_u32_e32 v61, vcc_lo, s13, v57, vcc_lo
	s_delay_alu instid0(VALU_DEP_3) | instskip(NEXT) | instid1(VALU_DEP_4)
	v_add_co_u32 v58, vcc_lo, s9, v58
	v_add_co_ci_u32_e32 v59, vcc_lo, s10, v59, vcc_lo
	s_and_saveexec_b32 s11, s15
	s_cbranch_execnz .LBB59_140
; %bb.133:
	s_or_b32 exec_lo, exec_lo, s11
	s_and_b32 s15, s1, s8
	s_delay_alu instid0(SALU_CYCLE_1)
	s_and_saveexec_b32 s11, s15
	s_cbranch_execnz .LBB59_144
.LBB59_134:
	s_or_b32 exec_lo, exec_lo, s11
	s_and_b32 s15, s2, s8
	s_delay_alu instid0(SALU_CYCLE_1)
	s_and_saveexec_b32 s11, s15
	s_cbranch_execnz .LBB59_148
.LBB59_135:
	s_or_b32 exec_lo, exec_lo, s11
	s_and_b32 s15, s3, s8
	s_delay_alu instid0(SALU_CYCLE_1)
	s_and_saveexec_b32 s11, s15
	s_cbranch_execnz .LBB59_152
.LBB59_136:
	s_or_b32 exec_lo, exec_lo, s11
	s_and_b32 s15, s4, s8
	s_delay_alu instid0(SALU_CYCLE_1)
	s_and_saveexec_b32 s11, s15
	s_cbranch_execnz .LBB59_156
.LBB59_137:
	s_or_b32 exec_lo, exec_lo, s11
	s_and_b32 s15, s5, s8
	s_delay_alu instid0(SALU_CYCLE_1)
	s_and_saveexec_b32 s11, s15
	s_cbranch_execnz .LBB59_160
.LBB59_138:
	s_or_b32 exec_lo, exec_lo, s11
	s_and_b32 s15, s6, s8
	s_delay_alu instid0(SALU_CYCLE_1)
	s_and_saveexec_b32 s11, s15
	s_cbranch_execnz .LBB59_164
.LBB59_139:
	s_or_b32 exec_lo, exec_lo, s11
	s_and_b32 s11, s7, s8
	s_delay_alu instid0(SALU_CYCLE_1)
	s_and_saveexec_b32 s8, s11
	s_cbranch_execnz .LBB59_168
	s_branch .LBB59_172
.LBB59_140:
	v_cmp_ne_u32_e32 vcc_lo, 1, v121
	v_lshlrev_b64 v[56:57], 2, v[64:65]
	s_cbranch_vccnz .LBB59_142
; %bb.141:
	s_delay_alu instid0(VALU_DEP_1) | instskip(NEXT) | instid1(VALU_DEP_2)
	v_add_co_u32 v62, vcc_lo, v60, v56
	v_add_co_ci_u32_e32 v63, vcc_lo, v61, v57, vcc_lo
	flat_load_b32 v62, v[62:63]
	s_waitcnt vmcnt(0) lgkmcnt(0)
	v_mul_f32_e32 v62, s24, v62
	s_branch .LBB59_143
.LBB59_142:
	v_mov_b32_e32 v62, 0
.LBB59_143:
	v_dual_add_f32 v63, v33, v53 :: v_dual_add_f32 v80, v32, v52
	v_add_f32_e32 v81, v35, v55
	v_add_f32_e32 v131, v34, v54
	v_add_co_u32 v56, vcc_lo, v58, v56
	s_delay_alu instid0(VALU_DEP_4) | instskip(SKIP_1) | instid1(VALU_DEP_4)
	v_min3_f32 v63, v80, v63, v130
	v_add_co_ci_u32_e32 v57, vcc_lo, v59, v57, vcc_lo
	v_min_f32_e32 v80, v131, v81
	s_delay_alu instid0(VALU_DEP_1) | instskip(SKIP_3) | instid1(SALU_CYCLE_1)
	v_min3_f32 v62, v62, v80, v63
	global_store_b32 v[56:57], v62, off
	s_or_b32 exec_lo, exec_lo, s11
	s_and_b32 s15, s1, s8
	s_and_saveexec_b32 s11, s15
	s_cbranch_execz .LBB59_134
.LBB59_144:
	v_cmp_ne_u32_e32 vcc_lo, 1, v121
	v_lshlrev_b64 v[56:57], 2, v[66:67]
	s_cbranch_vccnz .LBB59_146
; %bb.145:
	s_delay_alu instid0(VALU_DEP_1) | instskip(NEXT) | instid1(VALU_DEP_2)
	v_add_co_u32 v62, vcc_lo, v60, v56
	v_add_co_ci_u32_e32 v63, vcc_lo, v61, v57, vcc_lo
	flat_load_b32 v62, v[62:63]
	s_waitcnt vmcnt(0) lgkmcnt(0)
	v_mul_f32_e32 v62, s24, v62
	s_branch .LBB59_147
.LBB59_146:
	v_mov_b32_e32 v62, 0
.LBB59_147:
	v_dual_add_f32 v63, v29, v53 :: v_dual_add_f32 v80, v28, v52
	v_dual_add_f32 v81, v31, v55 :: v_dual_add_f32 v130, v30, v54
	s_delay_alu instid0(VALU_DEP_4) | instskip(NEXT) | instid1(VALU_DEP_3)
	v_add_co_u32 v56, vcc_lo, v58, v56
	v_min3_f32 v63, v80, v63, v129
	v_add_co_ci_u32_e32 v57, vcc_lo, v59, v57, vcc_lo
	s_delay_alu instid0(VALU_DEP_4) | instskip(NEXT) | instid1(VALU_DEP_1)
	v_min_f32_e32 v80, v130, v81
	v_min3_f32 v62, v62, v80, v63
	global_store_b32 v[56:57], v62, off
	s_or_b32 exec_lo, exec_lo, s11
	s_and_b32 s15, s2, s8
	s_delay_alu instid0(SALU_CYCLE_1)
	s_and_saveexec_b32 s11, s15
	s_cbranch_execz .LBB59_135
.LBB59_148:
	v_cmp_ne_u32_e32 vcc_lo, 1, v121
	v_lshlrev_b64 v[56:57], 2, v[68:69]
	s_cbranch_vccnz .LBB59_150
; %bb.149:
	s_delay_alu instid0(VALU_DEP_1) | instskip(NEXT) | instid1(VALU_DEP_2)
	v_add_co_u32 v62, vcc_lo, v60, v56
	v_add_co_ci_u32_e32 v63, vcc_lo, v61, v57, vcc_lo
	flat_load_b32 v62, v[62:63]
	s_waitcnt vmcnt(0) lgkmcnt(0)
	v_mul_f32_e32 v62, s24, v62
	s_branch .LBB59_151
.LBB59_150:
	v_mov_b32_e32 v62, 0
.LBB59_151:
	v_dual_add_f32 v63, v25, v53 :: v_dual_add_f32 v80, v24, v52
	v_add_f32_e32 v81, v27, v55
	v_add_f32_e32 v129, v26, v54
	v_add_co_u32 v56, vcc_lo, v58, v56
	s_delay_alu instid0(VALU_DEP_4) | instskip(SKIP_1) | instid1(VALU_DEP_4)
	v_min3_f32 v63, v80, v63, v128
	v_add_co_ci_u32_e32 v57, vcc_lo, v59, v57, vcc_lo
	v_min_f32_e32 v80, v129, v81
	s_delay_alu instid0(VALU_DEP_1) | instskip(SKIP_3) | instid1(SALU_CYCLE_1)
	v_min3_f32 v62, v62, v80, v63
	global_store_b32 v[56:57], v62, off
	s_or_b32 exec_lo, exec_lo, s11
	s_and_b32 s15, s3, s8
	s_and_saveexec_b32 s11, s15
	s_cbranch_execz .LBB59_136
.LBB59_152:
	v_cmp_ne_u32_e32 vcc_lo, 1, v121
	v_lshlrev_b64 v[56:57], 2, v[70:71]
	s_cbranch_vccnz .LBB59_154
; %bb.153:
	s_delay_alu instid0(VALU_DEP_1) | instskip(NEXT) | instid1(VALU_DEP_2)
	v_add_co_u32 v62, vcc_lo, v60, v56
	v_add_co_ci_u32_e32 v63, vcc_lo, v61, v57, vcc_lo
	flat_load_b32 v62, v[62:63]
	s_waitcnt vmcnt(0) lgkmcnt(0)
	v_mul_f32_e32 v62, s24, v62
	s_branch .LBB59_155
.LBB59_154:
	v_mov_b32_e32 v62, 0
.LBB59_155:
	v_dual_add_f32 v63, v21, v53 :: v_dual_add_f32 v80, v20, v52
	v_dual_add_f32 v81, v23, v55 :: v_dual_add_f32 v128, v22, v54
	s_delay_alu instid0(VALU_DEP_4) | instskip(NEXT) | instid1(VALU_DEP_3)
	v_add_co_u32 v56, vcc_lo, v58, v56
	v_min3_f32 v63, v80, v63, v127
	v_add_co_ci_u32_e32 v57, vcc_lo, v59, v57, vcc_lo
	s_delay_alu instid0(VALU_DEP_4) | instskip(NEXT) | instid1(VALU_DEP_1)
	v_min_f32_e32 v80, v128, v81
	v_min3_f32 v62, v62, v80, v63
	global_store_b32 v[56:57], v62, off
	s_or_b32 exec_lo, exec_lo, s11
	s_and_b32 s15, s4, s8
	s_delay_alu instid0(SALU_CYCLE_1)
	s_and_saveexec_b32 s11, s15
	s_cbranch_execz .LBB59_137
.LBB59_156:
	v_cmp_ne_u32_e32 vcc_lo, 1, v121
	v_lshlrev_b64 v[56:57], 2, v[72:73]
	s_cbranch_vccnz .LBB59_158
; %bb.157:
	s_delay_alu instid0(VALU_DEP_1) | instskip(NEXT) | instid1(VALU_DEP_2)
	v_add_co_u32 v62, vcc_lo, v60, v56
	v_add_co_ci_u32_e32 v63, vcc_lo, v61, v57, vcc_lo
	flat_load_b32 v62, v[62:63]
	s_waitcnt vmcnt(0) lgkmcnt(0)
	v_mul_f32_e32 v62, s24, v62
	s_branch .LBB59_159
.LBB59_158:
	v_mov_b32_e32 v62, 0
.LBB59_159:
	v_dual_add_f32 v63, v17, v53 :: v_dual_add_f32 v80, v16, v52
	v_add_f32_e32 v81, v19, v55
	v_add_f32_e32 v127, v18, v54
	v_add_co_u32 v56, vcc_lo, v58, v56
	s_delay_alu instid0(VALU_DEP_4) | instskip(SKIP_1) | instid1(VALU_DEP_4)
	v_min3_f32 v63, v80, v63, v126
	v_add_co_ci_u32_e32 v57, vcc_lo, v59, v57, vcc_lo
	v_min_f32_e32 v80, v127, v81
	s_delay_alu instid0(VALU_DEP_1) | instskip(SKIP_3) | instid1(SALU_CYCLE_1)
	v_min3_f32 v62, v62, v80, v63
	global_store_b32 v[56:57], v62, off
	s_or_b32 exec_lo, exec_lo, s11
	s_and_b32 s15, s5, s8
	s_and_saveexec_b32 s11, s15
	s_cbranch_execz .LBB59_138
.LBB59_160:
	v_cmp_ne_u32_e32 vcc_lo, 1, v121
	v_lshlrev_b64 v[56:57], 2, v[74:75]
	s_cbranch_vccnz .LBB59_162
; %bb.161:
	s_delay_alu instid0(VALU_DEP_1) | instskip(NEXT) | instid1(VALU_DEP_2)
	v_add_co_u32 v62, vcc_lo, v60, v56
	v_add_co_ci_u32_e32 v63, vcc_lo, v61, v57, vcc_lo
	flat_load_b32 v62, v[62:63]
	s_waitcnt vmcnt(0) lgkmcnt(0)
	v_mul_f32_e32 v62, s24, v62
	s_branch .LBB59_163
.LBB59_162:
	v_mov_b32_e32 v62, 0
.LBB59_163:
	v_dual_add_f32 v63, v13, v53 :: v_dual_add_f32 v80, v12, v52
	v_dual_add_f32 v81, v15, v55 :: v_dual_add_f32 v126, v14, v54
	s_delay_alu instid0(VALU_DEP_4) | instskip(NEXT) | instid1(VALU_DEP_3)
	v_add_co_u32 v56, vcc_lo, v58, v56
	v_min3_f32 v63, v80, v63, v125
	v_add_co_ci_u32_e32 v57, vcc_lo, v59, v57, vcc_lo
	s_delay_alu instid0(VALU_DEP_4) | instskip(NEXT) | instid1(VALU_DEP_1)
	v_min_f32_e32 v80, v126, v81
	v_min3_f32 v62, v62, v80, v63
	global_store_b32 v[56:57], v62, off
	s_or_b32 exec_lo, exec_lo, s11
	s_and_b32 s15, s6, s8
	s_delay_alu instid0(SALU_CYCLE_1)
	s_and_saveexec_b32 s11, s15
	s_cbranch_execz .LBB59_139
.LBB59_164:
	v_cmp_ne_u32_e32 vcc_lo, 1, v121
	v_lshlrev_b64 v[56:57], 2, v[76:77]
	s_cbranch_vccnz .LBB59_166
; %bb.165:
	s_delay_alu instid0(VALU_DEP_1) | instskip(NEXT) | instid1(VALU_DEP_2)
	v_add_co_u32 v62, vcc_lo, v60, v56
	v_add_co_ci_u32_e32 v63, vcc_lo, v61, v57, vcc_lo
	flat_load_b32 v62, v[62:63]
	s_waitcnt vmcnt(0) lgkmcnt(0)
	v_mul_f32_e32 v62, s24, v62
	s_branch .LBB59_167
.LBB59_166:
	v_mov_b32_e32 v62, 0
.LBB59_167:
	v_dual_add_f32 v63, v9, v53 :: v_dual_add_f32 v80, v8, v52
	v_add_f32_e32 v81, v11, v55
	v_add_f32_e32 v125, v10, v54
	v_add_co_u32 v56, vcc_lo, v58, v56
	s_delay_alu instid0(VALU_DEP_4) | instskip(SKIP_1) | instid1(VALU_DEP_4)
	v_min3_f32 v63, v80, v63, v124
	v_add_co_ci_u32_e32 v57, vcc_lo, v59, v57, vcc_lo
	v_min_f32_e32 v80, v125, v81
	s_delay_alu instid0(VALU_DEP_1) | instskip(SKIP_3) | instid1(SALU_CYCLE_1)
	v_min3_f32 v62, v62, v80, v63
	global_store_b32 v[56:57], v62, off
	s_or_b32 exec_lo, exec_lo, s11
	s_and_b32 s11, s7, s8
	s_and_saveexec_b32 s8, s11
	s_cbranch_execz .LBB59_172
.LBB59_168:
	v_cmp_ne_u32_e32 vcc_lo, 1, v121
	v_lshlrev_b64 v[56:57], 2, v[78:79]
	s_cbranch_vccnz .LBB59_170
; %bb.169:
	s_delay_alu instid0(VALU_DEP_1) | instskip(NEXT) | instid1(VALU_DEP_2)
	v_add_co_u32 v60, vcc_lo, v60, v56
	v_add_co_ci_u32_e32 v61, vcc_lo, v61, v57, vcc_lo
	flat_load_b32 v60, v[60:61]
	s_waitcnt vmcnt(0) lgkmcnt(0)
	v_mul_f32_e32 v60, s24, v60
	s_branch .LBB59_171
.LBB59_170:
	v_mov_b32_e32 v60, 0
.LBB59_171:
	v_dual_add_f32 v53, v1, v53 :: v_dual_add_f32 v52, v0, v52
	v_dual_add_f32 v55, v3, v55 :: v_dual_add_f32 v54, v2, v54
	s_delay_alu instid0(VALU_DEP_2) | instskip(NEXT) | instid1(VALU_DEP_2)
	v_min3_f32 v52, v52, v53, v123
	v_min_f32_e32 v53, v54, v55
	s_delay_alu instid0(VALU_DEP_1)
	v_min3_f32 v54, v60, v53, v52
	v_add_co_u32 v52, vcc_lo, v58, v56
	v_add_co_ci_u32_e32 v53, vcc_lo, v59, v57, vcc_lo
	global_store_b32 v[52:53], v54, off
.LBB59_172:
	s_or_b32 exec_lo, exec_lo, s8
	v_add_nc_u32_e32 v56, 24, v132
	s_delay_alu instid0(VALU_DEP_1) | instskip(SKIP_2) | instid1(VALU_DEP_3)
	v_mad_i64_i32 v[52:53], null, v56, s18, 0
	v_mad_i64_i32 v[54:55], null, v56, s14, 0
	v_cmp_gt_i32_e64 s8, s17, v56
	v_lshlrev_b64 v[52:53], 2, v[52:53]
	s_delay_alu instid0(VALU_DEP_2) | instskip(NEXT) | instid1(VALU_DEP_3)
	s_and_b32 s15, s0, s8
	v_lshlrev_b64 v[54:55], 2, v[54:55]
	s_delay_alu instid0(VALU_DEP_2) | instskip(NEXT) | instid1(VALU_DEP_3)
	v_add_co_u32 v56, vcc_lo, s12, v52
	v_add_co_ci_u32_e32 v57, vcc_lo, s13, v53, vcc_lo
	s_delay_alu instid0(VALU_DEP_3) | instskip(NEXT) | instid1(VALU_DEP_4)
	v_add_co_u32 v54, vcc_lo, s9, v54
	v_add_co_ci_u32_e32 v55, vcc_lo, s10, v55, vcc_lo
	s_and_saveexec_b32 s11, s15
	s_cbranch_execnz .LBB59_180
; %bb.173:
	s_or_b32 exec_lo, exec_lo, s11
	s_and_b32 s15, s1, s8
	s_delay_alu instid0(SALU_CYCLE_1)
	s_and_saveexec_b32 s11, s15
	s_cbranch_execnz .LBB59_184
.LBB59_174:
	s_or_b32 exec_lo, exec_lo, s11
	s_and_b32 s15, s2, s8
	s_delay_alu instid0(SALU_CYCLE_1)
	s_and_saveexec_b32 s11, s15
	s_cbranch_execnz .LBB59_188
.LBB59_175:
	s_or_b32 exec_lo, exec_lo, s11
	s_and_b32 s15, s3, s8
	s_delay_alu instid0(SALU_CYCLE_1)
	s_and_saveexec_b32 s11, s15
	s_cbranch_execnz .LBB59_192
.LBB59_176:
	s_or_b32 exec_lo, exec_lo, s11
	s_and_b32 s15, s4, s8
	s_delay_alu instid0(SALU_CYCLE_1)
	s_and_saveexec_b32 s11, s15
	s_cbranch_execnz .LBB59_196
.LBB59_177:
	s_or_b32 exec_lo, exec_lo, s11
	s_and_b32 s15, s5, s8
	s_delay_alu instid0(SALU_CYCLE_1)
	s_and_saveexec_b32 s11, s15
	s_cbranch_execnz .LBB59_200
.LBB59_178:
	s_or_b32 exec_lo, exec_lo, s11
	s_and_b32 s15, s6, s8
	s_delay_alu instid0(SALU_CYCLE_1)
	s_and_saveexec_b32 s11, s15
	s_cbranch_execnz .LBB59_204
.LBB59_179:
	s_or_b32 exec_lo, exec_lo, s11
	s_and_b32 s11, s7, s8
	s_delay_alu instid0(SALU_CYCLE_1)
	s_and_saveexec_b32 s8, s11
	s_cbranch_execnz .LBB59_208
	s_branch .LBB59_212
.LBB59_180:
	v_cmp_ne_u32_e32 vcc_lo, 1, v121
	v_lshlrev_b64 v[52:53], 2, v[64:65]
	s_cbranch_vccnz .LBB59_182
; %bb.181:
	s_delay_alu instid0(VALU_DEP_1) | instskip(NEXT) | instid1(VALU_DEP_2)
	v_add_co_u32 v58, vcc_lo, v56, v52
	v_add_co_ci_u32_e32 v59, vcc_lo, v57, v53, vcc_lo
	flat_load_b32 v58, v[58:59]
	s_waitcnt vmcnt(0) lgkmcnt(0)
	v_mul_f32_e32 v58, s24, v58
	s_branch .LBB59_183
.LBB59_182:
	v_mov_b32_e32 v58, 0
.LBB59_183:
	v_dual_add_f32 v59, v33, v49 :: v_dual_add_f32 v60, v32, v48
	v_dual_add_f32 v61, v35, v51 :: v_dual_add_f32 v62, v34, v50
	s_delay_alu instid0(VALU_DEP_4) | instskip(NEXT) | instid1(VALU_DEP_3)
	v_add_co_u32 v52, vcc_lo, v54, v52
	v_min3_f32 v59, v60, v59, v122
	v_add_co_ci_u32_e32 v53, vcc_lo, v55, v53, vcc_lo
	s_delay_alu instid0(VALU_DEP_4) | instskip(NEXT) | instid1(VALU_DEP_1)
	v_min_f32_e32 v60, v62, v61
	v_min3_f32 v58, v58, v60, v59
	global_store_b32 v[52:53], v58, off
	s_or_b32 exec_lo, exec_lo, s11
	s_and_b32 s15, s1, s8
	s_delay_alu instid0(SALU_CYCLE_1)
	s_and_saveexec_b32 s11, s15
	s_cbranch_execz .LBB59_174
.LBB59_184:
	v_cmp_ne_u32_e32 vcc_lo, 1, v121
	v_lshlrev_b64 v[52:53], 2, v[66:67]
	s_cbranch_vccnz .LBB59_186
; %bb.185:
	s_delay_alu instid0(VALU_DEP_1) | instskip(NEXT) | instid1(VALU_DEP_2)
	v_add_co_u32 v58, vcc_lo, v56, v52
	v_add_co_ci_u32_e32 v59, vcc_lo, v57, v53, vcc_lo
	flat_load_b32 v58, v[58:59]
	s_waitcnt vmcnt(0) lgkmcnt(0)
	v_mul_f32_e32 v58, s24, v58
	s_branch .LBB59_187
.LBB59_186:
	v_mov_b32_e32 v58, 0
.LBB59_187:
	v_dual_add_f32 v59, v29, v49 :: v_dual_add_f32 v60, v28, v48
	v_dual_add_f32 v61, v31, v51 :: v_dual_add_f32 v62, v30, v50
	s_delay_alu instid0(VALU_DEP_4) | instskip(NEXT) | instid1(VALU_DEP_3)
	v_add_co_u32 v52, vcc_lo, v54, v52
	v_min3_f32 v59, v60, v59, v120
	v_add_co_ci_u32_e32 v53, vcc_lo, v55, v53, vcc_lo
	s_delay_alu instid0(VALU_DEP_4) | instskip(NEXT) | instid1(VALU_DEP_1)
	v_min_f32_e32 v60, v62, v61
	v_min3_f32 v58, v58, v60, v59
	global_store_b32 v[52:53], v58, off
	s_or_b32 exec_lo, exec_lo, s11
	s_and_b32 s15, s2, s8
	s_delay_alu instid0(SALU_CYCLE_1)
	s_and_saveexec_b32 s11, s15
	s_cbranch_execz .LBB59_175
.LBB59_188:
	v_cmp_ne_u32_e32 vcc_lo, 1, v121
	v_lshlrev_b64 v[52:53], 2, v[68:69]
	s_cbranch_vccnz .LBB59_190
; %bb.189:
	s_delay_alu instid0(VALU_DEP_1) | instskip(NEXT) | instid1(VALU_DEP_2)
	v_add_co_u32 v58, vcc_lo, v56, v52
	v_add_co_ci_u32_e32 v59, vcc_lo, v57, v53, vcc_lo
	flat_load_b32 v58, v[58:59]
	s_waitcnt vmcnt(0) lgkmcnt(0)
	v_mul_f32_e32 v58, s24, v58
	s_branch .LBB59_191
.LBB59_190:
	v_mov_b32_e32 v58, 0
.LBB59_191:
	v_dual_add_f32 v59, v25, v49 :: v_dual_add_f32 v60, v24, v48
	v_dual_add_f32 v61, v27, v51 :: v_dual_add_f32 v62, v26, v50
	s_delay_alu instid0(VALU_DEP_4) | instskip(NEXT) | instid1(VALU_DEP_3)
	v_add_co_u32 v52, vcc_lo, v54, v52
	v_min3_f32 v59, v60, v59, v119
	v_add_co_ci_u32_e32 v53, vcc_lo, v55, v53, vcc_lo
	s_delay_alu instid0(VALU_DEP_4) | instskip(NEXT) | instid1(VALU_DEP_1)
	v_min_f32_e32 v60, v62, v61
	v_min3_f32 v58, v58, v60, v59
	global_store_b32 v[52:53], v58, off
	s_or_b32 exec_lo, exec_lo, s11
	s_and_b32 s15, s3, s8
	s_delay_alu instid0(SALU_CYCLE_1)
	s_and_saveexec_b32 s11, s15
	s_cbranch_execz .LBB59_176
.LBB59_192:
	v_cmp_ne_u32_e32 vcc_lo, 1, v121
	v_lshlrev_b64 v[52:53], 2, v[70:71]
	s_cbranch_vccnz .LBB59_194
; %bb.193:
	s_delay_alu instid0(VALU_DEP_1) | instskip(NEXT) | instid1(VALU_DEP_2)
	v_add_co_u32 v58, vcc_lo, v56, v52
	v_add_co_ci_u32_e32 v59, vcc_lo, v57, v53, vcc_lo
	flat_load_b32 v58, v[58:59]
	s_waitcnt vmcnt(0) lgkmcnt(0)
	v_mul_f32_e32 v58, s24, v58
	s_branch .LBB59_195
.LBB59_194:
	v_mov_b32_e32 v58, 0
.LBB59_195:
	v_dual_add_f32 v59, v21, v49 :: v_dual_add_f32 v60, v20, v48
	v_dual_add_f32 v61, v23, v51 :: v_dual_add_f32 v62, v22, v50
	s_delay_alu instid0(VALU_DEP_4) | instskip(NEXT) | instid1(VALU_DEP_3)
	v_add_co_u32 v52, vcc_lo, v54, v52
	v_min3_f32 v59, v60, v59, v118
	v_add_co_ci_u32_e32 v53, vcc_lo, v55, v53, vcc_lo
	s_delay_alu instid0(VALU_DEP_4) | instskip(NEXT) | instid1(VALU_DEP_1)
	v_min_f32_e32 v60, v62, v61
	v_min3_f32 v58, v58, v60, v59
	global_store_b32 v[52:53], v58, off
	s_or_b32 exec_lo, exec_lo, s11
	s_and_b32 s15, s4, s8
	s_delay_alu instid0(SALU_CYCLE_1)
	s_and_saveexec_b32 s11, s15
	s_cbranch_execz .LBB59_177
.LBB59_196:
	v_cmp_ne_u32_e32 vcc_lo, 1, v121
	v_lshlrev_b64 v[52:53], 2, v[72:73]
	s_cbranch_vccnz .LBB59_198
; %bb.197:
	s_delay_alu instid0(VALU_DEP_1) | instskip(NEXT) | instid1(VALU_DEP_2)
	v_add_co_u32 v58, vcc_lo, v56, v52
	v_add_co_ci_u32_e32 v59, vcc_lo, v57, v53, vcc_lo
	flat_load_b32 v58, v[58:59]
	s_waitcnt vmcnt(0) lgkmcnt(0)
	v_mul_f32_e32 v58, s24, v58
	s_branch .LBB59_199
.LBB59_198:
	v_mov_b32_e32 v58, 0
.LBB59_199:
	v_dual_add_f32 v59, v17, v49 :: v_dual_add_f32 v60, v16, v48
	v_dual_add_f32 v61, v19, v51 :: v_dual_add_f32 v62, v18, v50
	s_delay_alu instid0(VALU_DEP_4) | instskip(NEXT) | instid1(VALU_DEP_3)
	v_add_co_u32 v52, vcc_lo, v54, v52
	v_min3_f32 v59, v60, v59, v117
	v_add_co_ci_u32_e32 v53, vcc_lo, v55, v53, vcc_lo
	s_delay_alu instid0(VALU_DEP_4) | instskip(NEXT) | instid1(VALU_DEP_1)
	v_min_f32_e32 v60, v62, v61
	v_min3_f32 v58, v58, v60, v59
	global_store_b32 v[52:53], v58, off
	s_or_b32 exec_lo, exec_lo, s11
	s_and_b32 s15, s5, s8
	s_delay_alu instid0(SALU_CYCLE_1)
	s_and_saveexec_b32 s11, s15
	s_cbranch_execz .LBB59_178
.LBB59_200:
	v_cmp_ne_u32_e32 vcc_lo, 1, v121
	v_lshlrev_b64 v[52:53], 2, v[74:75]
	s_cbranch_vccnz .LBB59_202
; %bb.201:
	s_delay_alu instid0(VALU_DEP_1) | instskip(NEXT) | instid1(VALU_DEP_2)
	v_add_co_u32 v58, vcc_lo, v56, v52
	v_add_co_ci_u32_e32 v59, vcc_lo, v57, v53, vcc_lo
	flat_load_b32 v58, v[58:59]
	s_waitcnt vmcnt(0) lgkmcnt(0)
	v_mul_f32_e32 v58, s24, v58
	s_branch .LBB59_203
.LBB59_202:
	v_mov_b32_e32 v58, 0
.LBB59_203:
	v_dual_add_f32 v59, v13, v49 :: v_dual_add_f32 v60, v12, v48
	v_dual_add_f32 v61, v15, v51 :: v_dual_add_f32 v62, v14, v50
	s_delay_alu instid0(VALU_DEP_4) | instskip(NEXT) | instid1(VALU_DEP_3)
	v_add_co_u32 v52, vcc_lo, v54, v52
	v_min3_f32 v59, v60, v59, v116
	v_add_co_ci_u32_e32 v53, vcc_lo, v55, v53, vcc_lo
	s_delay_alu instid0(VALU_DEP_4) | instskip(NEXT) | instid1(VALU_DEP_1)
	v_min_f32_e32 v60, v62, v61
	v_min3_f32 v58, v58, v60, v59
	global_store_b32 v[52:53], v58, off
	s_or_b32 exec_lo, exec_lo, s11
	s_and_b32 s15, s6, s8
	s_delay_alu instid0(SALU_CYCLE_1)
	s_and_saveexec_b32 s11, s15
	s_cbranch_execz .LBB59_179
.LBB59_204:
	v_cmp_ne_u32_e32 vcc_lo, 1, v121
	v_lshlrev_b64 v[52:53], 2, v[76:77]
	s_cbranch_vccnz .LBB59_206
; %bb.205:
	s_delay_alu instid0(VALU_DEP_1) | instskip(NEXT) | instid1(VALU_DEP_2)
	v_add_co_u32 v58, vcc_lo, v56, v52
	v_add_co_ci_u32_e32 v59, vcc_lo, v57, v53, vcc_lo
	flat_load_b32 v58, v[58:59]
	s_waitcnt vmcnt(0) lgkmcnt(0)
	v_mul_f32_e32 v58, s24, v58
	s_branch .LBB59_207
.LBB59_206:
	v_mov_b32_e32 v58, 0
.LBB59_207:
	v_dual_add_f32 v59, v9, v49 :: v_dual_add_f32 v60, v8, v48
	v_dual_add_f32 v61, v11, v51 :: v_dual_add_f32 v62, v10, v50
	s_delay_alu instid0(VALU_DEP_4) | instskip(NEXT) | instid1(VALU_DEP_3)
	v_add_co_u32 v52, vcc_lo, v54, v52
	v_min3_f32 v59, v60, v59, v115
	v_add_co_ci_u32_e32 v53, vcc_lo, v55, v53, vcc_lo
	s_delay_alu instid0(VALU_DEP_4) | instskip(NEXT) | instid1(VALU_DEP_1)
	v_min_f32_e32 v60, v62, v61
	v_min3_f32 v58, v58, v60, v59
	global_store_b32 v[52:53], v58, off
	s_or_b32 exec_lo, exec_lo, s11
	s_and_b32 s11, s7, s8
	s_delay_alu instid0(SALU_CYCLE_1)
	s_and_saveexec_b32 s8, s11
	s_cbranch_execz .LBB59_212
.LBB59_208:
	v_cmp_ne_u32_e32 vcc_lo, 1, v121
	v_lshlrev_b64 v[52:53], 2, v[78:79]
	s_cbranch_vccnz .LBB59_210
; %bb.209:
	s_delay_alu instid0(VALU_DEP_1) | instskip(NEXT) | instid1(VALU_DEP_2)
	v_add_co_u32 v56, vcc_lo, v56, v52
	v_add_co_ci_u32_e32 v57, vcc_lo, v57, v53, vcc_lo
	flat_load_b32 v56, v[56:57]
	s_waitcnt vmcnt(0) lgkmcnt(0)
	v_mul_f32_e32 v56, s24, v56
	s_branch .LBB59_211
.LBB59_210:
	v_mov_b32_e32 v56, 0
.LBB59_211:
	v_dual_add_f32 v49, v1, v49 :: v_dual_add_f32 v48, v0, v48
	v_dual_add_f32 v51, v3, v51 :: v_dual_add_f32 v50, v2, v50
	s_delay_alu instid0(VALU_DEP_2) | instskip(NEXT) | instid1(VALU_DEP_2)
	v_min3_f32 v48, v48, v49, v114
	v_min_f32_e32 v49, v50, v51
	s_delay_alu instid0(VALU_DEP_1)
	v_min3_f32 v50, v56, v49, v48
	v_add_co_u32 v48, vcc_lo, v54, v52
	v_add_co_ci_u32_e32 v49, vcc_lo, v55, v53, vcc_lo
	global_store_b32 v[48:49], v50, off
.LBB59_212:
	s_or_b32 exec_lo, exec_lo, s8
	v_add_nc_u32_e32 v52, 32, v132
	s_delay_alu instid0(VALU_DEP_1) | instskip(SKIP_2) | instid1(VALU_DEP_3)
	v_mad_i64_i32 v[48:49], null, v52, s18, 0
	v_mad_i64_i32 v[50:51], null, v52, s14, 0
	v_cmp_gt_i32_e64 s8, s17, v52
	v_lshlrev_b64 v[48:49], 2, v[48:49]
	s_delay_alu instid0(VALU_DEP_2) | instskip(NEXT) | instid1(VALU_DEP_3)
	s_and_b32 s15, s0, s8
	v_lshlrev_b64 v[50:51], 2, v[50:51]
	s_delay_alu instid0(VALU_DEP_2) | instskip(NEXT) | instid1(VALU_DEP_3)
	v_add_co_u32 v52, vcc_lo, s12, v48
	v_add_co_ci_u32_e32 v53, vcc_lo, s13, v49, vcc_lo
	s_delay_alu instid0(VALU_DEP_3) | instskip(NEXT) | instid1(VALU_DEP_4)
	v_add_co_u32 v50, vcc_lo, s9, v50
	v_add_co_ci_u32_e32 v51, vcc_lo, s10, v51, vcc_lo
	s_and_saveexec_b32 s11, s15
	s_cbranch_execnz .LBB59_220
; %bb.213:
	s_or_b32 exec_lo, exec_lo, s11
	s_and_b32 s15, s1, s8
	s_delay_alu instid0(SALU_CYCLE_1)
	s_and_saveexec_b32 s11, s15
	s_cbranch_execnz .LBB59_224
.LBB59_214:
	s_or_b32 exec_lo, exec_lo, s11
	s_and_b32 s15, s2, s8
	s_delay_alu instid0(SALU_CYCLE_1)
	s_and_saveexec_b32 s11, s15
	s_cbranch_execnz .LBB59_228
.LBB59_215:
	s_or_b32 exec_lo, exec_lo, s11
	s_and_b32 s15, s3, s8
	s_delay_alu instid0(SALU_CYCLE_1)
	s_and_saveexec_b32 s11, s15
	s_cbranch_execnz .LBB59_232
.LBB59_216:
	s_or_b32 exec_lo, exec_lo, s11
	s_and_b32 s15, s4, s8
	s_delay_alu instid0(SALU_CYCLE_1)
	s_and_saveexec_b32 s11, s15
	s_cbranch_execnz .LBB59_236
.LBB59_217:
	s_or_b32 exec_lo, exec_lo, s11
	s_and_b32 s15, s5, s8
	s_delay_alu instid0(SALU_CYCLE_1)
	s_and_saveexec_b32 s11, s15
	s_cbranch_execnz .LBB59_240
.LBB59_218:
	s_or_b32 exec_lo, exec_lo, s11
	s_and_b32 s15, s6, s8
	s_delay_alu instid0(SALU_CYCLE_1)
	s_and_saveexec_b32 s11, s15
	s_cbranch_execnz .LBB59_244
.LBB59_219:
	s_or_b32 exec_lo, exec_lo, s11
	s_and_b32 s11, s7, s8
	s_delay_alu instid0(SALU_CYCLE_1)
	s_and_saveexec_b32 s8, s11
	s_cbranch_execnz .LBB59_248
	s_branch .LBB59_252
.LBB59_220:
	v_cmp_ne_u32_e32 vcc_lo, 1, v121
	v_lshlrev_b64 v[48:49], 2, v[64:65]
	s_cbranch_vccnz .LBB59_222
; %bb.221:
	s_delay_alu instid0(VALU_DEP_1) | instskip(NEXT) | instid1(VALU_DEP_2)
	v_add_co_u32 v54, vcc_lo, v52, v48
	v_add_co_ci_u32_e32 v55, vcc_lo, v53, v49, vcc_lo
	flat_load_b32 v54, v[54:55]
	s_waitcnt vmcnt(0) lgkmcnt(0)
	v_mul_f32_e32 v54, s24, v54
	s_branch .LBB59_223
.LBB59_222:
	v_mov_b32_e32 v54, 0
.LBB59_223:
	v_dual_add_f32 v55, v33, v45 :: v_dual_add_f32 v56, v32, v44
	v_dual_add_f32 v57, v35, v47 :: v_dual_add_f32 v58, v34, v46
	s_delay_alu instid0(VALU_DEP_4) | instskip(NEXT) | instid1(VALU_DEP_3)
	v_add_co_u32 v48, vcc_lo, v50, v48
	v_min3_f32 v55, v56, v55, v113
	v_add_co_ci_u32_e32 v49, vcc_lo, v51, v49, vcc_lo
	s_delay_alu instid0(VALU_DEP_4) | instskip(NEXT) | instid1(VALU_DEP_1)
	v_min_f32_e32 v56, v58, v57
	v_min3_f32 v54, v54, v56, v55
	global_store_b32 v[48:49], v54, off
	s_or_b32 exec_lo, exec_lo, s11
	s_and_b32 s15, s1, s8
	s_delay_alu instid0(SALU_CYCLE_1)
	s_and_saveexec_b32 s11, s15
	s_cbranch_execz .LBB59_214
.LBB59_224:
	v_cmp_ne_u32_e32 vcc_lo, 1, v121
	v_lshlrev_b64 v[48:49], 2, v[66:67]
	s_cbranch_vccnz .LBB59_226
; %bb.225:
	s_delay_alu instid0(VALU_DEP_1) | instskip(NEXT) | instid1(VALU_DEP_2)
	v_add_co_u32 v54, vcc_lo, v52, v48
	v_add_co_ci_u32_e32 v55, vcc_lo, v53, v49, vcc_lo
	flat_load_b32 v54, v[54:55]
	s_waitcnt vmcnt(0) lgkmcnt(0)
	v_mul_f32_e32 v54, s24, v54
	s_branch .LBB59_227
.LBB59_226:
	v_mov_b32_e32 v54, 0
.LBB59_227:
	v_dual_add_f32 v55, v29, v45 :: v_dual_add_f32 v56, v28, v44
	v_dual_add_f32 v57, v31, v47 :: v_dual_add_f32 v58, v30, v46
	s_delay_alu instid0(VALU_DEP_4) | instskip(NEXT) | instid1(VALU_DEP_3)
	v_add_co_u32 v48, vcc_lo, v50, v48
	v_min3_f32 v55, v56, v55, v112
	v_add_co_ci_u32_e32 v49, vcc_lo, v51, v49, vcc_lo
	s_delay_alu instid0(VALU_DEP_4) | instskip(NEXT) | instid1(VALU_DEP_1)
	v_min_f32_e32 v56, v58, v57
	v_min3_f32 v54, v54, v56, v55
	global_store_b32 v[48:49], v54, off
	s_or_b32 exec_lo, exec_lo, s11
	s_and_b32 s15, s2, s8
	s_delay_alu instid0(SALU_CYCLE_1)
	s_and_saveexec_b32 s11, s15
	s_cbranch_execz .LBB59_215
.LBB59_228:
	v_cmp_ne_u32_e32 vcc_lo, 1, v121
	v_lshlrev_b64 v[48:49], 2, v[68:69]
	s_cbranch_vccnz .LBB59_230
; %bb.229:
	s_delay_alu instid0(VALU_DEP_1) | instskip(NEXT) | instid1(VALU_DEP_2)
	v_add_co_u32 v54, vcc_lo, v52, v48
	v_add_co_ci_u32_e32 v55, vcc_lo, v53, v49, vcc_lo
	flat_load_b32 v54, v[54:55]
	s_waitcnt vmcnt(0) lgkmcnt(0)
	v_mul_f32_e32 v54, s24, v54
	s_branch .LBB59_231
.LBB59_230:
	v_mov_b32_e32 v54, 0
.LBB59_231:
	v_dual_add_f32 v55, v25, v45 :: v_dual_add_f32 v56, v24, v44
	v_dual_add_f32 v57, v27, v47 :: v_dual_add_f32 v58, v26, v46
	s_delay_alu instid0(VALU_DEP_4) | instskip(NEXT) | instid1(VALU_DEP_3)
	v_add_co_u32 v48, vcc_lo, v50, v48
	v_min3_f32 v55, v56, v55, v111
	v_add_co_ci_u32_e32 v49, vcc_lo, v51, v49, vcc_lo
	s_delay_alu instid0(VALU_DEP_4) | instskip(NEXT) | instid1(VALU_DEP_1)
	v_min_f32_e32 v56, v58, v57
	v_min3_f32 v54, v54, v56, v55
	global_store_b32 v[48:49], v54, off
	s_or_b32 exec_lo, exec_lo, s11
	s_and_b32 s15, s3, s8
	s_delay_alu instid0(SALU_CYCLE_1)
	s_and_saveexec_b32 s11, s15
	s_cbranch_execz .LBB59_216
.LBB59_232:
	v_cmp_ne_u32_e32 vcc_lo, 1, v121
	v_lshlrev_b64 v[48:49], 2, v[70:71]
	s_cbranch_vccnz .LBB59_234
; %bb.233:
	s_delay_alu instid0(VALU_DEP_1) | instskip(NEXT) | instid1(VALU_DEP_2)
	v_add_co_u32 v54, vcc_lo, v52, v48
	v_add_co_ci_u32_e32 v55, vcc_lo, v53, v49, vcc_lo
	flat_load_b32 v54, v[54:55]
	s_waitcnt vmcnt(0) lgkmcnt(0)
	v_mul_f32_e32 v54, s24, v54
	s_branch .LBB59_235
.LBB59_234:
	v_mov_b32_e32 v54, 0
.LBB59_235:
	v_dual_add_f32 v55, v21, v45 :: v_dual_add_f32 v56, v20, v44
	v_dual_add_f32 v57, v23, v47 :: v_dual_add_f32 v58, v22, v46
	s_delay_alu instid0(VALU_DEP_4) | instskip(NEXT) | instid1(VALU_DEP_3)
	v_add_co_u32 v48, vcc_lo, v50, v48
	v_min3_f32 v55, v56, v55, v110
	v_add_co_ci_u32_e32 v49, vcc_lo, v51, v49, vcc_lo
	s_delay_alu instid0(VALU_DEP_4) | instskip(NEXT) | instid1(VALU_DEP_1)
	v_min_f32_e32 v56, v58, v57
	v_min3_f32 v54, v54, v56, v55
	global_store_b32 v[48:49], v54, off
	s_or_b32 exec_lo, exec_lo, s11
	s_and_b32 s15, s4, s8
	s_delay_alu instid0(SALU_CYCLE_1)
	s_and_saveexec_b32 s11, s15
	s_cbranch_execz .LBB59_217
.LBB59_236:
	v_cmp_ne_u32_e32 vcc_lo, 1, v121
	v_lshlrev_b64 v[48:49], 2, v[72:73]
	s_cbranch_vccnz .LBB59_238
; %bb.237:
	s_delay_alu instid0(VALU_DEP_1) | instskip(NEXT) | instid1(VALU_DEP_2)
	v_add_co_u32 v54, vcc_lo, v52, v48
	v_add_co_ci_u32_e32 v55, vcc_lo, v53, v49, vcc_lo
	flat_load_b32 v54, v[54:55]
	s_waitcnt vmcnt(0) lgkmcnt(0)
	v_mul_f32_e32 v54, s24, v54
	s_branch .LBB59_239
.LBB59_238:
	v_mov_b32_e32 v54, 0
.LBB59_239:
	v_dual_add_f32 v55, v17, v45 :: v_dual_add_f32 v56, v16, v44
	v_dual_add_f32 v57, v19, v47 :: v_dual_add_f32 v58, v18, v46
	s_delay_alu instid0(VALU_DEP_4) | instskip(NEXT) | instid1(VALU_DEP_3)
	v_add_co_u32 v48, vcc_lo, v50, v48
	v_min3_f32 v55, v56, v55, v109
	v_add_co_ci_u32_e32 v49, vcc_lo, v51, v49, vcc_lo
	s_delay_alu instid0(VALU_DEP_4) | instskip(NEXT) | instid1(VALU_DEP_1)
	v_min_f32_e32 v56, v58, v57
	v_min3_f32 v54, v54, v56, v55
	global_store_b32 v[48:49], v54, off
	s_or_b32 exec_lo, exec_lo, s11
	s_and_b32 s15, s5, s8
	s_delay_alu instid0(SALU_CYCLE_1)
	s_and_saveexec_b32 s11, s15
	s_cbranch_execz .LBB59_218
.LBB59_240:
	v_cmp_ne_u32_e32 vcc_lo, 1, v121
	v_lshlrev_b64 v[48:49], 2, v[74:75]
	s_cbranch_vccnz .LBB59_242
; %bb.241:
	s_delay_alu instid0(VALU_DEP_1) | instskip(NEXT) | instid1(VALU_DEP_2)
	v_add_co_u32 v54, vcc_lo, v52, v48
	v_add_co_ci_u32_e32 v55, vcc_lo, v53, v49, vcc_lo
	flat_load_b32 v54, v[54:55]
	s_waitcnt vmcnt(0) lgkmcnt(0)
	v_mul_f32_e32 v54, s24, v54
	s_branch .LBB59_243
.LBB59_242:
	v_mov_b32_e32 v54, 0
.LBB59_243:
	v_dual_add_f32 v55, v13, v45 :: v_dual_add_f32 v56, v12, v44
	v_dual_add_f32 v57, v15, v47 :: v_dual_add_f32 v58, v14, v46
	s_delay_alu instid0(VALU_DEP_4) | instskip(NEXT) | instid1(VALU_DEP_3)
	v_add_co_u32 v48, vcc_lo, v50, v48
	v_min3_f32 v55, v56, v55, v108
	v_add_co_ci_u32_e32 v49, vcc_lo, v51, v49, vcc_lo
	s_delay_alu instid0(VALU_DEP_4) | instskip(NEXT) | instid1(VALU_DEP_1)
	v_min_f32_e32 v56, v58, v57
	v_min3_f32 v54, v54, v56, v55
	global_store_b32 v[48:49], v54, off
	s_or_b32 exec_lo, exec_lo, s11
	s_and_b32 s15, s6, s8
	s_delay_alu instid0(SALU_CYCLE_1)
	s_and_saveexec_b32 s11, s15
	s_cbranch_execz .LBB59_219
.LBB59_244:
	v_cmp_ne_u32_e32 vcc_lo, 1, v121
	v_lshlrev_b64 v[48:49], 2, v[76:77]
	s_cbranch_vccnz .LBB59_246
; %bb.245:
	s_delay_alu instid0(VALU_DEP_1) | instskip(NEXT) | instid1(VALU_DEP_2)
	v_add_co_u32 v54, vcc_lo, v52, v48
	v_add_co_ci_u32_e32 v55, vcc_lo, v53, v49, vcc_lo
	flat_load_b32 v54, v[54:55]
	s_waitcnt vmcnt(0) lgkmcnt(0)
	v_mul_f32_e32 v54, s24, v54
	s_branch .LBB59_247
.LBB59_246:
	v_mov_b32_e32 v54, 0
.LBB59_247:
	v_dual_add_f32 v55, v9, v45 :: v_dual_add_f32 v56, v8, v44
	v_dual_add_f32 v57, v11, v47 :: v_dual_add_f32 v58, v10, v46
	s_delay_alu instid0(VALU_DEP_4) | instskip(NEXT) | instid1(VALU_DEP_3)
	v_add_co_u32 v48, vcc_lo, v50, v48
	v_min3_f32 v55, v56, v55, v107
	v_add_co_ci_u32_e32 v49, vcc_lo, v51, v49, vcc_lo
	s_delay_alu instid0(VALU_DEP_4) | instskip(NEXT) | instid1(VALU_DEP_1)
	v_min_f32_e32 v56, v58, v57
	v_min3_f32 v54, v54, v56, v55
	global_store_b32 v[48:49], v54, off
	s_or_b32 exec_lo, exec_lo, s11
	s_and_b32 s11, s7, s8
	s_delay_alu instid0(SALU_CYCLE_1)
	s_and_saveexec_b32 s8, s11
	s_cbranch_execz .LBB59_252
.LBB59_248:
	v_cmp_ne_u32_e32 vcc_lo, 1, v121
	v_lshlrev_b64 v[48:49], 2, v[78:79]
	s_cbranch_vccnz .LBB59_250
; %bb.249:
	s_delay_alu instid0(VALU_DEP_1) | instskip(NEXT) | instid1(VALU_DEP_2)
	v_add_co_u32 v52, vcc_lo, v52, v48
	v_add_co_ci_u32_e32 v53, vcc_lo, v53, v49, vcc_lo
	flat_load_b32 v52, v[52:53]
	s_waitcnt vmcnt(0) lgkmcnt(0)
	v_mul_f32_e32 v52, s24, v52
	s_branch .LBB59_251
.LBB59_250:
	v_mov_b32_e32 v52, 0
.LBB59_251:
	v_dual_add_f32 v45, v1, v45 :: v_dual_add_f32 v44, v0, v44
	v_dual_add_f32 v47, v3, v47 :: v_dual_add_f32 v46, v2, v46
	s_delay_alu instid0(VALU_DEP_2) | instskip(NEXT) | instid1(VALU_DEP_2)
	v_min3_f32 v44, v44, v45, v106
	v_min_f32_e32 v45, v46, v47
	s_delay_alu instid0(VALU_DEP_1)
	v_min3_f32 v46, v52, v45, v44
	v_add_co_u32 v44, vcc_lo, v50, v48
	v_add_co_ci_u32_e32 v45, vcc_lo, v51, v49, vcc_lo
	global_store_b32 v[44:45], v46, off
.LBB59_252:
	s_or_b32 exec_lo, exec_lo, s8
	v_add_nc_u32_e32 v48, 40, v132
	s_delay_alu instid0(VALU_DEP_1) | instskip(SKIP_2) | instid1(VALU_DEP_3)
	v_mad_i64_i32 v[44:45], null, v48, s18, 0
	v_mad_i64_i32 v[46:47], null, v48, s14, 0
	v_cmp_gt_i32_e64 s8, s17, v48
	v_lshlrev_b64 v[44:45], 2, v[44:45]
	s_delay_alu instid0(VALU_DEP_2) | instskip(NEXT) | instid1(VALU_DEP_3)
	s_and_b32 s15, s0, s8
	v_lshlrev_b64 v[46:47], 2, v[46:47]
	s_delay_alu instid0(VALU_DEP_2) | instskip(NEXT) | instid1(VALU_DEP_3)
	v_add_co_u32 v48, vcc_lo, s12, v44
	v_add_co_ci_u32_e32 v49, vcc_lo, s13, v45, vcc_lo
	s_delay_alu instid0(VALU_DEP_3) | instskip(NEXT) | instid1(VALU_DEP_4)
	v_add_co_u32 v46, vcc_lo, s9, v46
	v_add_co_ci_u32_e32 v47, vcc_lo, s10, v47, vcc_lo
	s_and_saveexec_b32 s11, s15
	s_cbranch_execnz .LBB59_260
; %bb.253:
	s_or_b32 exec_lo, exec_lo, s11
	s_and_b32 s15, s1, s8
	s_delay_alu instid0(SALU_CYCLE_1)
	s_and_saveexec_b32 s11, s15
	s_cbranch_execnz .LBB59_264
.LBB59_254:
	s_or_b32 exec_lo, exec_lo, s11
	s_and_b32 s15, s2, s8
	s_delay_alu instid0(SALU_CYCLE_1)
	s_and_saveexec_b32 s11, s15
	s_cbranch_execnz .LBB59_268
.LBB59_255:
	s_or_b32 exec_lo, exec_lo, s11
	s_and_b32 s15, s3, s8
	s_delay_alu instid0(SALU_CYCLE_1)
	s_and_saveexec_b32 s11, s15
	s_cbranch_execnz .LBB59_272
.LBB59_256:
	s_or_b32 exec_lo, exec_lo, s11
	s_and_b32 s15, s4, s8
	s_delay_alu instid0(SALU_CYCLE_1)
	s_and_saveexec_b32 s11, s15
	s_cbranch_execnz .LBB59_276
.LBB59_257:
	s_or_b32 exec_lo, exec_lo, s11
	s_and_b32 s15, s5, s8
	s_delay_alu instid0(SALU_CYCLE_1)
	s_and_saveexec_b32 s11, s15
	s_cbranch_execnz .LBB59_280
.LBB59_258:
	s_or_b32 exec_lo, exec_lo, s11
	s_and_b32 s15, s6, s8
	s_delay_alu instid0(SALU_CYCLE_1)
	s_and_saveexec_b32 s11, s15
	s_cbranch_execnz .LBB59_284
.LBB59_259:
	s_or_b32 exec_lo, exec_lo, s11
	s_and_b32 s11, s7, s8
	s_delay_alu instid0(SALU_CYCLE_1)
	s_and_saveexec_b32 s8, s11
	s_cbranch_execnz .LBB59_288
	s_branch .LBB59_292
.LBB59_260:
	v_cmp_ne_u32_e32 vcc_lo, 1, v121
	v_lshlrev_b64 v[44:45], 2, v[64:65]
	s_cbranch_vccnz .LBB59_262
; %bb.261:
	s_delay_alu instid0(VALU_DEP_1) | instskip(NEXT) | instid1(VALU_DEP_2)
	v_add_co_u32 v50, vcc_lo, v48, v44
	v_add_co_ci_u32_e32 v51, vcc_lo, v49, v45, vcc_lo
	flat_load_b32 v50, v[50:51]
	s_waitcnt vmcnt(0) lgkmcnt(0)
	v_mul_f32_e32 v50, s24, v50
	s_branch .LBB59_263
.LBB59_262:
	v_mov_b32_e32 v50, 0
.LBB59_263:
	v_dual_add_f32 v51, v33, v41 :: v_dual_add_f32 v52, v32, v40
	v_dual_add_f32 v53, v35, v43 :: v_dual_add_f32 v54, v34, v42
	s_delay_alu instid0(VALU_DEP_4) | instskip(NEXT) | instid1(VALU_DEP_3)
	v_add_co_u32 v44, vcc_lo, v46, v44
	v_min3_f32 v51, v52, v51, v105
	v_add_co_ci_u32_e32 v45, vcc_lo, v47, v45, vcc_lo
	s_delay_alu instid0(VALU_DEP_4) | instskip(NEXT) | instid1(VALU_DEP_1)
	v_min_f32_e32 v52, v54, v53
	v_min3_f32 v50, v50, v52, v51
	global_store_b32 v[44:45], v50, off
	s_or_b32 exec_lo, exec_lo, s11
	s_and_b32 s15, s1, s8
	s_delay_alu instid0(SALU_CYCLE_1)
	s_and_saveexec_b32 s11, s15
	s_cbranch_execz .LBB59_254
.LBB59_264:
	v_cmp_ne_u32_e32 vcc_lo, 1, v121
	v_lshlrev_b64 v[44:45], 2, v[66:67]
	s_cbranch_vccnz .LBB59_266
; %bb.265:
	s_delay_alu instid0(VALU_DEP_1) | instskip(NEXT) | instid1(VALU_DEP_2)
	v_add_co_u32 v50, vcc_lo, v48, v44
	v_add_co_ci_u32_e32 v51, vcc_lo, v49, v45, vcc_lo
	flat_load_b32 v50, v[50:51]
	s_waitcnt vmcnt(0) lgkmcnt(0)
	v_mul_f32_e32 v50, s24, v50
	s_branch .LBB59_267
.LBB59_266:
	v_mov_b32_e32 v50, 0
.LBB59_267:
	v_dual_add_f32 v51, v29, v41 :: v_dual_add_f32 v52, v28, v40
	v_dual_add_f32 v53, v31, v43 :: v_dual_add_f32 v54, v30, v42
	s_delay_alu instid0(VALU_DEP_4) | instskip(NEXT) | instid1(VALU_DEP_3)
	v_add_co_u32 v44, vcc_lo, v46, v44
	v_min3_f32 v51, v52, v51, v104
	v_add_co_ci_u32_e32 v45, vcc_lo, v47, v45, vcc_lo
	s_delay_alu instid0(VALU_DEP_4) | instskip(NEXT) | instid1(VALU_DEP_1)
	v_min_f32_e32 v52, v54, v53
	v_min3_f32 v50, v50, v52, v51
	global_store_b32 v[44:45], v50, off
	s_or_b32 exec_lo, exec_lo, s11
	s_and_b32 s15, s2, s8
	s_delay_alu instid0(SALU_CYCLE_1)
	s_and_saveexec_b32 s11, s15
	s_cbranch_execz .LBB59_255
.LBB59_268:
	v_cmp_ne_u32_e32 vcc_lo, 1, v121
	v_lshlrev_b64 v[44:45], 2, v[68:69]
	s_cbranch_vccnz .LBB59_270
; %bb.269:
	s_delay_alu instid0(VALU_DEP_1) | instskip(NEXT) | instid1(VALU_DEP_2)
	v_add_co_u32 v50, vcc_lo, v48, v44
	v_add_co_ci_u32_e32 v51, vcc_lo, v49, v45, vcc_lo
	flat_load_b32 v50, v[50:51]
	s_waitcnt vmcnt(0) lgkmcnt(0)
	v_mul_f32_e32 v50, s24, v50
	s_branch .LBB59_271
.LBB59_270:
	v_mov_b32_e32 v50, 0
.LBB59_271:
	v_dual_add_f32 v51, v25, v41 :: v_dual_add_f32 v52, v24, v40
	v_dual_add_f32 v53, v27, v43 :: v_dual_add_f32 v54, v26, v42
	s_delay_alu instid0(VALU_DEP_4) | instskip(NEXT) | instid1(VALU_DEP_3)
	v_add_co_u32 v44, vcc_lo, v46, v44
	v_min3_f32 v51, v52, v51, v103
	v_add_co_ci_u32_e32 v45, vcc_lo, v47, v45, vcc_lo
	s_delay_alu instid0(VALU_DEP_4) | instskip(NEXT) | instid1(VALU_DEP_1)
	v_min_f32_e32 v52, v54, v53
	v_min3_f32 v50, v50, v52, v51
	global_store_b32 v[44:45], v50, off
	s_or_b32 exec_lo, exec_lo, s11
	s_and_b32 s15, s3, s8
	s_delay_alu instid0(SALU_CYCLE_1)
	s_and_saveexec_b32 s11, s15
	s_cbranch_execz .LBB59_256
.LBB59_272:
	v_cmp_ne_u32_e32 vcc_lo, 1, v121
	v_lshlrev_b64 v[44:45], 2, v[70:71]
	s_cbranch_vccnz .LBB59_274
; %bb.273:
	s_delay_alu instid0(VALU_DEP_1) | instskip(NEXT) | instid1(VALU_DEP_2)
	v_add_co_u32 v50, vcc_lo, v48, v44
	v_add_co_ci_u32_e32 v51, vcc_lo, v49, v45, vcc_lo
	flat_load_b32 v50, v[50:51]
	s_waitcnt vmcnt(0) lgkmcnt(0)
	v_mul_f32_e32 v50, s24, v50
	s_branch .LBB59_275
.LBB59_274:
	v_mov_b32_e32 v50, 0
.LBB59_275:
	v_dual_add_f32 v51, v21, v41 :: v_dual_add_f32 v52, v20, v40
	v_dual_add_f32 v53, v23, v43 :: v_dual_add_f32 v54, v22, v42
	s_delay_alu instid0(VALU_DEP_4) | instskip(NEXT) | instid1(VALU_DEP_3)
	v_add_co_u32 v44, vcc_lo, v46, v44
	v_min3_f32 v51, v52, v51, v102
	v_add_co_ci_u32_e32 v45, vcc_lo, v47, v45, vcc_lo
	s_delay_alu instid0(VALU_DEP_4) | instskip(NEXT) | instid1(VALU_DEP_1)
	v_min_f32_e32 v52, v54, v53
	v_min3_f32 v50, v50, v52, v51
	global_store_b32 v[44:45], v50, off
	s_or_b32 exec_lo, exec_lo, s11
	s_and_b32 s15, s4, s8
	s_delay_alu instid0(SALU_CYCLE_1)
	s_and_saveexec_b32 s11, s15
	s_cbranch_execz .LBB59_257
.LBB59_276:
	v_cmp_ne_u32_e32 vcc_lo, 1, v121
	v_lshlrev_b64 v[44:45], 2, v[72:73]
	s_cbranch_vccnz .LBB59_278
; %bb.277:
	s_delay_alu instid0(VALU_DEP_1) | instskip(NEXT) | instid1(VALU_DEP_2)
	v_add_co_u32 v50, vcc_lo, v48, v44
	v_add_co_ci_u32_e32 v51, vcc_lo, v49, v45, vcc_lo
	flat_load_b32 v50, v[50:51]
	s_waitcnt vmcnt(0) lgkmcnt(0)
	v_mul_f32_e32 v50, s24, v50
	s_branch .LBB59_279
.LBB59_278:
	v_mov_b32_e32 v50, 0
.LBB59_279:
	v_dual_add_f32 v51, v17, v41 :: v_dual_add_f32 v52, v16, v40
	v_dual_add_f32 v53, v19, v43 :: v_dual_add_f32 v54, v18, v42
	s_delay_alu instid0(VALU_DEP_4) | instskip(NEXT) | instid1(VALU_DEP_3)
	v_add_co_u32 v44, vcc_lo, v46, v44
	v_min3_f32 v51, v52, v51, v101
	v_add_co_ci_u32_e32 v45, vcc_lo, v47, v45, vcc_lo
	s_delay_alu instid0(VALU_DEP_4) | instskip(NEXT) | instid1(VALU_DEP_1)
	v_min_f32_e32 v52, v54, v53
	v_min3_f32 v50, v50, v52, v51
	global_store_b32 v[44:45], v50, off
	s_or_b32 exec_lo, exec_lo, s11
	s_and_b32 s15, s5, s8
	s_delay_alu instid0(SALU_CYCLE_1)
	s_and_saveexec_b32 s11, s15
	s_cbranch_execz .LBB59_258
.LBB59_280:
	v_cmp_ne_u32_e32 vcc_lo, 1, v121
	v_lshlrev_b64 v[44:45], 2, v[74:75]
	s_cbranch_vccnz .LBB59_282
; %bb.281:
	s_delay_alu instid0(VALU_DEP_1) | instskip(NEXT) | instid1(VALU_DEP_2)
	v_add_co_u32 v50, vcc_lo, v48, v44
	v_add_co_ci_u32_e32 v51, vcc_lo, v49, v45, vcc_lo
	flat_load_b32 v50, v[50:51]
	s_waitcnt vmcnt(0) lgkmcnt(0)
	v_mul_f32_e32 v50, s24, v50
	s_branch .LBB59_283
.LBB59_282:
	v_mov_b32_e32 v50, 0
.LBB59_283:
	v_dual_add_f32 v51, v13, v41 :: v_dual_add_f32 v52, v12, v40
	v_dual_add_f32 v53, v15, v43 :: v_dual_add_f32 v54, v14, v42
	s_delay_alu instid0(VALU_DEP_4) | instskip(NEXT) | instid1(VALU_DEP_3)
	v_add_co_u32 v44, vcc_lo, v46, v44
	v_min3_f32 v51, v52, v51, v100
	v_add_co_ci_u32_e32 v45, vcc_lo, v47, v45, vcc_lo
	s_delay_alu instid0(VALU_DEP_4) | instskip(NEXT) | instid1(VALU_DEP_1)
	v_min_f32_e32 v52, v54, v53
	v_min3_f32 v50, v50, v52, v51
	global_store_b32 v[44:45], v50, off
	s_or_b32 exec_lo, exec_lo, s11
	s_and_b32 s15, s6, s8
	s_delay_alu instid0(SALU_CYCLE_1)
	s_and_saveexec_b32 s11, s15
	s_cbranch_execz .LBB59_259
.LBB59_284:
	v_cmp_ne_u32_e32 vcc_lo, 1, v121
	v_lshlrev_b64 v[44:45], 2, v[76:77]
	s_cbranch_vccnz .LBB59_286
; %bb.285:
	s_delay_alu instid0(VALU_DEP_1) | instskip(NEXT) | instid1(VALU_DEP_2)
	v_add_co_u32 v50, vcc_lo, v48, v44
	v_add_co_ci_u32_e32 v51, vcc_lo, v49, v45, vcc_lo
	flat_load_b32 v50, v[50:51]
	s_waitcnt vmcnt(0) lgkmcnt(0)
	v_mul_f32_e32 v50, s24, v50
	s_branch .LBB59_287
.LBB59_286:
	v_mov_b32_e32 v50, 0
.LBB59_287:
	v_dual_add_f32 v51, v9, v41 :: v_dual_add_f32 v52, v8, v40
	v_dual_add_f32 v53, v11, v43 :: v_dual_add_f32 v54, v10, v42
	s_delay_alu instid0(VALU_DEP_4) | instskip(NEXT) | instid1(VALU_DEP_3)
	v_add_co_u32 v44, vcc_lo, v46, v44
	v_min3_f32 v51, v52, v51, v99
	v_add_co_ci_u32_e32 v45, vcc_lo, v47, v45, vcc_lo
	s_delay_alu instid0(VALU_DEP_4) | instskip(NEXT) | instid1(VALU_DEP_1)
	v_min_f32_e32 v52, v54, v53
	v_min3_f32 v50, v50, v52, v51
	global_store_b32 v[44:45], v50, off
	s_or_b32 exec_lo, exec_lo, s11
	s_and_b32 s11, s7, s8
	s_delay_alu instid0(SALU_CYCLE_1)
	s_and_saveexec_b32 s8, s11
	s_cbranch_execz .LBB59_292
.LBB59_288:
	v_cmp_ne_u32_e32 vcc_lo, 1, v121
	v_lshlrev_b64 v[44:45], 2, v[78:79]
	s_cbranch_vccnz .LBB59_290
; %bb.289:
	s_delay_alu instid0(VALU_DEP_1) | instskip(NEXT) | instid1(VALU_DEP_2)
	v_add_co_u32 v48, vcc_lo, v48, v44
	v_add_co_ci_u32_e32 v49, vcc_lo, v49, v45, vcc_lo
	flat_load_b32 v48, v[48:49]
	s_waitcnt vmcnt(0) lgkmcnt(0)
	v_mul_f32_e32 v48, s24, v48
	s_branch .LBB59_291
.LBB59_290:
	v_mov_b32_e32 v48, 0
.LBB59_291:
	v_dual_add_f32 v41, v1, v41 :: v_dual_add_f32 v40, v0, v40
	v_dual_add_f32 v43, v3, v43 :: v_dual_add_f32 v42, v2, v42
	s_delay_alu instid0(VALU_DEP_2) | instskip(NEXT) | instid1(VALU_DEP_2)
	v_min3_f32 v40, v40, v41, v98
	v_min_f32_e32 v41, v42, v43
	s_delay_alu instid0(VALU_DEP_1)
	v_min3_f32 v42, v48, v41, v40
	v_add_co_u32 v40, vcc_lo, v46, v44
	v_add_co_ci_u32_e32 v41, vcc_lo, v47, v45, vcc_lo
	global_store_b32 v[40:41], v42, off
.LBB59_292:
	s_or_b32 exec_lo, exec_lo, s8
	v_add_nc_u32_e32 v44, 48, v132
	s_delay_alu instid0(VALU_DEP_1) | instskip(SKIP_2) | instid1(VALU_DEP_3)
	v_mad_i64_i32 v[40:41], null, v44, s18, 0
	v_mad_i64_i32 v[42:43], null, v44, s14, 0
	v_cmp_gt_i32_e64 s8, s17, v44
	v_lshlrev_b64 v[40:41], 2, v[40:41]
	s_delay_alu instid0(VALU_DEP_2) | instskip(NEXT) | instid1(VALU_DEP_3)
	s_and_b32 s15, s0, s8
	v_lshlrev_b64 v[42:43], 2, v[42:43]
	s_delay_alu instid0(VALU_DEP_2) | instskip(NEXT) | instid1(VALU_DEP_3)
	v_add_co_u32 v44, vcc_lo, s12, v40
	v_add_co_ci_u32_e32 v45, vcc_lo, s13, v41, vcc_lo
	s_delay_alu instid0(VALU_DEP_3) | instskip(NEXT) | instid1(VALU_DEP_4)
	v_add_co_u32 v42, vcc_lo, s9, v42
	v_add_co_ci_u32_e32 v43, vcc_lo, s10, v43, vcc_lo
	s_and_saveexec_b32 s11, s15
	s_cbranch_execnz .LBB59_300
; %bb.293:
	s_or_b32 exec_lo, exec_lo, s11
	s_and_b32 s15, s1, s8
	s_delay_alu instid0(SALU_CYCLE_1)
	s_and_saveexec_b32 s11, s15
	s_cbranch_execnz .LBB59_304
.LBB59_294:
	s_or_b32 exec_lo, exec_lo, s11
	s_and_b32 s15, s2, s8
	s_delay_alu instid0(SALU_CYCLE_1)
	s_and_saveexec_b32 s11, s15
	s_cbranch_execnz .LBB59_308
.LBB59_295:
	s_or_b32 exec_lo, exec_lo, s11
	s_and_b32 s15, s3, s8
	s_delay_alu instid0(SALU_CYCLE_1)
	s_and_saveexec_b32 s11, s15
	s_cbranch_execnz .LBB59_312
.LBB59_296:
	s_or_b32 exec_lo, exec_lo, s11
	s_and_b32 s15, s4, s8
	s_delay_alu instid0(SALU_CYCLE_1)
	s_and_saveexec_b32 s11, s15
	s_cbranch_execnz .LBB59_316
.LBB59_297:
	s_or_b32 exec_lo, exec_lo, s11
	s_and_b32 s15, s5, s8
	s_delay_alu instid0(SALU_CYCLE_1)
	s_and_saveexec_b32 s11, s15
	s_cbranch_execnz .LBB59_320
.LBB59_298:
	s_or_b32 exec_lo, exec_lo, s11
	s_and_b32 s15, s6, s8
	s_delay_alu instid0(SALU_CYCLE_1)
	s_and_saveexec_b32 s11, s15
	s_cbranch_execnz .LBB59_324
.LBB59_299:
	s_or_b32 exec_lo, exec_lo, s11
	s_and_b32 s11, s7, s8
	s_delay_alu instid0(SALU_CYCLE_1)
	s_and_saveexec_b32 s8, s11
	s_cbranch_execnz .LBB59_328
	s_branch .LBB59_332
.LBB59_300:
	v_cmp_ne_u32_e32 vcc_lo, 1, v121
	v_lshlrev_b64 v[40:41], 2, v[64:65]
	s_cbranch_vccnz .LBB59_302
; %bb.301:
	s_delay_alu instid0(VALU_DEP_1) | instskip(NEXT) | instid1(VALU_DEP_2)
	v_add_co_u32 v46, vcc_lo, v44, v40
	v_add_co_ci_u32_e32 v47, vcc_lo, v45, v41, vcc_lo
	flat_load_b32 v46, v[46:47]
	s_waitcnt vmcnt(0) lgkmcnt(0)
	v_mul_f32_e32 v46, s24, v46
	s_branch .LBB59_303
.LBB59_302:
	v_mov_b32_e32 v46, 0
.LBB59_303:
	v_dual_add_f32 v47, v33, v37 :: v_dual_add_f32 v48, v32, v36
	v_dual_add_f32 v49, v35, v39 :: v_dual_add_f32 v50, v34, v38
	s_delay_alu instid0(VALU_DEP_4) | instskip(NEXT) | instid1(VALU_DEP_3)
	v_add_co_u32 v40, vcc_lo, v42, v40
	v_min3_f32 v47, v48, v47, v97
	v_add_co_ci_u32_e32 v41, vcc_lo, v43, v41, vcc_lo
	s_delay_alu instid0(VALU_DEP_4) | instskip(NEXT) | instid1(VALU_DEP_1)
	v_min_f32_e32 v48, v50, v49
	v_min3_f32 v46, v46, v48, v47
	global_store_b32 v[40:41], v46, off
	s_or_b32 exec_lo, exec_lo, s11
	s_and_b32 s15, s1, s8
	s_delay_alu instid0(SALU_CYCLE_1)
	s_and_saveexec_b32 s11, s15
	s_cbranch_execz .LBB59_294
.LBB59_304:
	v_cmp_ne_u32_e32 vcc_lo, 1, v121
	v_lshlrev_b64 v[40:41], 2, v[66:67]
	s_cbranch_vccnz .LBB59_306
; %bb.305:
	s_delay_alu instid0(VALU_DEP_1) | instskip(NEXT) | instid1(VALU_DEP_2)
	v_add_co_u32 v46, vcc_lo, v44, v40
	v_add_co_ci_u32_e32 v47, vcc_lo, v45, v41, vcc_lo
	flat_load_b32 v46, v[46:47]
	s_waitcnt vmcnt(0) lgkmcnt(0)
	v_mul_f32_e32 v46, s24, v46
	s_branch .LBB59_307
.LBB59_306:
	v_mov_b32_e32 v46, 0
.LBB59_307:
	v_dual_add_f32 v47, v29, v37 :: v_dual_add_f32 v48, v28, v36
	v_dual_add_f32 v49, v31, v39 :: v_dual_add_f32 v50, v30, v38
	s_delay_alu instid0(VALU_DEP_4) | instskip(NEXT) | instid1(VALU_DEP_3)
	v_add_co_u32 v40, vcc_lo, v42, v40
	v_min3_f32 v47, v48, v47, v96
	v_add_co_ci_u32_e32 v41, vcc_lo, v43, v41, vcc_lo
	s_delay_alu instid0(VALU_DEP_4) | instskip(NEXT) | instid1(VALU_DEP_1)
	v_min_f32_e32 v48, v50, v49
	v_min3_f32 v46, v46, v48, v47
	global_store_b32 v[40:41], v46, off
	s_or_b32 exec_lo, exec_lo, s11
	s_and_b32 s15, s2, s8
	s_delay_alu instid0(SALU_CYCLE_1)
	s_and_saveexec_b32 s11, s15
	s_cbranch_execz .LBB59_295
.LBB59_308:
	v_cmp_ne_u32_e32 vcc_lo, 1, v121
	v_lshlrev_b64 v[40:41], 2, v[68:69]
	s_cbranch_vccnz .LBB59_310
; %bb.309:
	s_delay_alu instid0(VALU_DEP_1) | instskip(NEXT) | instid1(VALU_DEP_2)
	v_add_co_u32 v46, vcc_lo, v44, v40
	v_add_co_ci_u32_e32 v47, vcc_lo, v45, v41, vcc_lo
	flat_load_b32 v46, v[46:47]
	s_waitcnt vmcnt(0) lgkmcnt(0)
	v_mul_f32_e32 v46, s24, v46
	s_branch .LBB59_311
.LBB59_310:
	v_mov_b32_e32 v46, 0
.LBB59_311:
	v_dual_add_f32 v47, v25, v37 :: v_dual_add_f32 v48, v24, v36
	v_dual_add_f32 v49, v27, v39 :: v_dual_add_f32 v50, v26, v38
	s_delay_alu instid0(VALU_DEP_4) | instskip(NEXT) | instid1(VALU_DEP_3)
	v_add_co_u32 v40, vcc_lo, v42, v40
	v_min3_f32 v47, v48, v47, v95
	v_add_co_ci_u32_e32 v41, vcc_lo, v43, v41, vcc_lo
	s_delay_alu instid0(VALU_DEP_4) | instskip(NEXT) | instid1(VALU_DEP_1)
	v_min_f32_e32 v48, v50, v49
	v_min3_f32 v46, v46, v48, v47
	global_store_b32 v[40:41], v46, off
	s_or_b32 exec_lo, exec_lo, s11
	s_and_b32 s15, s3, s8
	s_delay_alu instid0(SALU_CYCLE_1)
	s_and_saveexec_b32 s11, s15
	s_cbranch_execz .LBB59_296
.LBB59_312:
	v_cmp_ne_u32_e32 vcc_lo, 1, v121
	v_lshlrev_b64 v[40:41], 2, v[70:71]
	s_cbranch_vccnz .LBB59_314
; %bb.313:
	s_delay_alu instid0(VALU_DEP_1) | instskip(NEXT) | instid1(VALU_DEP_2)
	v_add_co_u32 v46, vcc_lo, v44, v40
	v_add_co_ci_u32_e32 v47, vcc_lo, v45, v41, vcc_lo
	flat_load_b32 v46, v[46:47]
	s_waitcnt vmcnt(0) lgkmcnt(0)
	v_mul_f32_e32 v46, s24, v46
	s_branch .LBB59_315
.LBB59_314:
	v_mov_b32_e32 v46, 0
.LBB59_315:
	v_dual_add_f32 v47, v21, v37 :: v_dual_add_f32 v48, v20, v36
	v_dual_add_f32 v49, v23, v39 :: v_dual_add_f32 v50, v22, v38
	s_delay_alu instid0(VALU_DEP_4) | instskip(NEXT) | instid1(VALU_DEP_3)
	v_add_co_u32 v40, vcc_lo, v42, v40
	v_min3_f32 v47, v48, v47, v94
	v_add_co_ci_u32_e32 v41, vcc_lo, v43, v41, vcc_lo
	s_delay_alu instid0(VALU_DEP_4) | instskip(NEXT) | instid1(VALU_DEP_1)
	v_min_f32_e32 v48, v50, v49
	v_min3_f32 v46, v46, v48, v47
	global_store_b32 v[40:41], v46, off
	s_or_b32 exec_lo, exec_lo, s11
	s_and_b32 s15, s4, s8
	s_delay_alu instid0(SALU_CYCLE_1)
	s_and_saveexec_b32 s11, s15
	s_cbranch_execz .LBB59_297
.LBB59_316:
	v_cmp_ne_u32_e32 vcc_lo, 1, v121
	v_lshlrev_b64 v[40:41], 2, v[72:73]
	s_cbranch_vccnz .LBB59_318
; %bb.317:
	s_delay_alu instid0(VALU_DEP_1) | instskip(NEXT) | instid1(VALU_DEP_2)
	v_add_co_u32 v46, vcc_lo, v44, v40
	v_add_co_ci_u32_e32 v47, vcc_lo, v45, v41, vcc_lo
	flat_load_b32 v46, v[46:47]
	s_waitcnt vmcnt(0) lgkmcnt(0)
	v_mul_f32_e32 v46, s24, v46
	s_branch .LBB59_319
.LBB59_318:
	v_mov_b32_e32 v46, 0
.LBB59_319:
	v_dual_add_f32 v47, v17, v37 :: v_dual_add_f32 v48, v16, v36
	v_dual_add_f32 v49, v19, v39 :: v_dual_add_f32 v50, v18, v38
	s_delay_alu instid0(VALU_DEP_4) | instskip(NEXT) | instid1(VALU_DEP_3)
	v_add_co_u32 v40, vcc_lo, v42, v40
	v_min3_f32 v47, v48, v47, v93
	v_add_co_ci_u32_e32 v41, vcc_lo, v43, v41, vcc_lo
	s_delay_alu instid0(VALU_DEP_4) | instskip(NEXT) | instid1(VALU_DEP_1)
	v_min_f32_e32 v48, v50, v49
	v_min3_f32 v46, v46, v48, v47
	global_store_b32 v[40:41], v46, off
	s_or_b32 exec_lo, exec_lo, s11
	s_and_b32 s15, s5, s8
	s_delay_alu instid0(SALU_CYCLE_1)
	s_and_saveexec_b32 s11, s15
	s_cbranch_execz .LBB59_298
.LBB59_320:
	v_cmp_ne_u32_e32 vcc_lo, 1, v121
	v_lshlrev_b64 v[40:41], 2, v[74:75]
	s_cbranch_vccnz .LBB59_322
; %bb.321:
	s_delay_alu instid0(VALU_DEP_1) | instskip(NEXT) | instid1(VALU_DEP_2)
	v_add_co_u32 v46, vcc_lo, v44, v40
	v_add_co_ci_u32_e32 v47, vcc_lo, v45, v41, vcc_lo
	flat_load_b32 v46, v[46:47]
	s_waitcnt vmcnt(0) lgkmcnt(0)
	v_mul_f32_e32 v46, s24, v46
	s_branch .LBB59_323
.LBB59_322:
	v_mov_b32_e32 v46, 0
.LBB59_323:
	v_dual_add_f32 v47, v13, v37 :: v_dual_add_f32 v48, v12, v36
	v_dual_add_f32 v49, v15, v39 :: v_dual_add_f32 v50, v14, v38
	s_delay_alu instid0(VALU_DEP_4) | instskip(NEXT) | instid1(VALU_DEP_3)
	v_add_co_u32 v40, vcc_lo, v42, v40
	v_min3_f32 v47, v48, v47, v91
	v_add_co_ci_u32_e32 v41, vcc_lo, v43, v41, vcc_lo
	s_delay_alu instid0(VALU_DEP_4) | instskip(NEXT) | instid1(VALU_DEP_1)
	v_min_f32_e32 v48, v50, v49
	v_min3_f32 v46, v46, v48, v47
	global_store_b32 v[40:41], v46, off
	s_or_b32 exec_lo, exec_lo, s11
	s_and_b32 s15, s6, s8
	s_delay_alu instid0(SALU_CYCLE_1)
	s_and_saveexec_b32 s11, s15
	s_cbranch_execz .LBB59_299
.LBB59_324:
	v_cmp_ne_u32_e32 vcc_lo, 1, v121
	v_lshlrev_b64 v[40:41], 2, v[76:77]
	s_cbranch_vccnz .LBB59_326
; %bb.325:
	s_delay_alu instid0(VALU_DEP_1) | instskip(NEXT) | instid1(VALU_DEP_2)
	v_add_co_u32 v46, vcc_lo, v44, v40
	v_add_co_ci_u32_e32 v47, vcc_lo, v45, v41, vcc_lo
	flat_load_b32 v46, v[46:47]
	s_waitcnt vmcnt(0) lgkmcnt(0)
	v_mul_f32_e32 v46, s24, v46
	s_branch .LBB59_327
.LBB59_326:
	v_mov_b32_e32 v46, 0
.LBB59_327:
	v_dual_add_f32 v47, v9, v37 :: v_dual_add_f32 v48, v8, v36
	v_dual_add_f32 v49, v11, v39 :: v_dual_add_f32 v50, v10, v38
	s_delay_alu instid0(VALU_DEP_4) | instskip(NEXT) | instid1(VALU_DEP_3)
	v_add_co_u32 v40, vcc_lo, v42, v40
	v_min3_f32 v47, v48, v47, v90
	v_add_co_ci_u32_e32 v41, vcc_lo, v43, v41, vcc_lo
	s_delay_alu instid0(VALU_DEP_4) | instskip(NEXT) | instid1(VALU_DEP_1)
	v_min_f32_e32 v48, v50, v49
	v_min3_f32 v46, v46, v48, v47
	global_store_b32 v[40:41], v46, off
	s_or_b32 exec_lo, exec_lo, s11
	s_and_b32 s11, s7, s8
	s_delay_alu instid0(SALU_CYCLE_1)
	s_and_saveexec_b32 s8, s11
	s_cbranch_execz .LBB59_332
.LBB59_328:
	v_cmp_ne_u32_e32 vcc_lo, 1, v121
	v_lshlrev_b64 v[40:41], 2, v[78:79]
	s_cbranch_vccnz .LBB59_330
; %bb.329:
	s_delay_alu instid0(VALU_DEP_1) | instskip(NEXT) | instid1(VALU_DEP_2)
	v_add_co_u32 v44, vcc_lo, v44, v40
	v_add_co_ci_u32_e32 v45, vcc_lo, v45, v41, vcc_lo
	flat_load_b32 v44, v[44:45]
	s_waitcnt vmcnt(0) lgkmcnt(0)
	v_mul_f32_e32 v44, s24, v44
	s_branch .LBB59_331
.LBB59_330:
	v_mov_b32_e32 v44, 0
.LBB59_331:
	v_dual_add_f32 v37, v1, v37 :: v_dual_add_f32 v36, v0, v36
	v_dual_add_f32 v39, v3, v39 :: v_dual_add_f32 v38, v2, v38
	s_delay_alu instid0(VALU_DEP_2) | instskip(NEXT) | instid1(VALU_DEP_2)
	v_min3_f32 v36, v36, v37, v89
	v_min_f32_e32 v37, v38, v39
	s_delay_alu instid0(VALU_DEP_1)
	v_min3_f32 v38, v44, v37, v36
	v_add_co_u32 v36, vcc_lo, v42, v40
	v_add_co_ci_u32_e32 v37, vcc_lo, v43, v41, vcc_lo
	global_store_b32 v[36:37], v38, off
.LBB59_332:
	s_or_b32 exec_lo, exec_lo, s8
	v_add_nc_u32_e32 v40, 56, v132
	s_delay_alu instid0(VALU_DEP_1) | instskip(SKIP_2) | instid1(VALU_DEP_3)
	v_mad_i64_i32 v[36:37], null, v40, s18, 0
	v_mad_i64_i32 v[38:39], null, v40, s14, 0
	v_cmp_gt_i32_e64 s8, s17, v40
	v_lshlrev_b64 v[36:37], 2, v[36:37]
	s_delay_alu instid0(VALU_DEP_3) | instskip(NEXT) | instid1(VALU_DEP_2)
	v_lshlrev_b64 v[38:39], 2, v[38:39]
	v_add_co_u32 v40, vcc_lo, s12, v36
	s_delay_alu instid0(VALU_DEP_3) | instskip(NEXT) | instid1(VALU_DEP_3)
	v_add_co_ci_u32_e32 v41, vcc_lo, s13, v37, vcc_lo
	v_add_co_u32 v38, vcc_lo, s9, v38
	s_delay_alu instid0(VALU_DEP_4) | instskip(SKIP_1) | instid1(SALU_CYCLE_1)
	v_add_co_ci_u32_e32 v39, vcc_lo, s10, v39, vcc_lo
	s_and_b32 s9, s0, s8
	s_and_saveexec_b32 s0, s9
	s_cbranch_execnz .LBB59_341
; %bb.333:
	s_or_b32 exec_lo, exec_lo, s0
	s_and_b32 s1, s1, s8
	s_delay_alu instid0(SALU_CYCLE_1)
	s_and_saveexec_b32 s0, s1
	s_cbranch_execnz .LBB59_345
.LBB59_334:
	s_or_b32 exec_lo, exec_lo, s0
	s_and_b32 s1, s2, s8
	s_delay_alu instid0(SALU_CYCLE_1)
	s_and_saveexec_b32 s0, s1
	s_cbranch_execnz .LBB59_349
.LBB59_335:
	s_or_b32 exec_lo, exec_lo, s0
	s_and_b32 s1, s3, s8
	s_delay_alu instid0(SALU_CYCLE_1)
	s_and_saveexec_b32 s0, s1
	s_cbranch_execnz .LBB59_353
.LBB59_336:
	s_or_b32 exec_lo, exec_lo, s0
	s_and_b32 s1, s4, s8
	s_delay_alu instid0(SALU_CYCLE_1)
	s_and_saveexec_b32 s0, s1
	s_cbranch_execnz .LBB59_357
.LBB59_337:
	s_or_b32 exec_lo, exec_lo, s0
	s_and_b32 s1, s5, s8
	s_delay_alu instid0(SALU_CYCLE_1)
	s_and_saveexec_b32 s0, s1
	s_cbranch_execnz .LBB59_361
.LBB59_338:
	s_or_b32 exec_lo, exec_lo, s0
	s_and_b32 s1, s6, s8
	s_delay_alu instid0(SALU_CYCLE_1)
	s_and_saveexec_b32 s0, s1
	s_cbranch_execnz .LBB59_365
.LBB59_339:
	s_or_b32 exec_lo, exec_lo, s0
	s_and_b32 s0, s7, s8
	s_delay_alu instid0(SALU_CYCLE_1)
	s_and_saveexec_b32 s1, s0
	s_cbranch_execnz .LBB59_369
.LBB59_340:
	s_nop 0
	s_sendmsg sendmsg(MSG_DEALLOC_VGPRS)
	s_endpgm
.LBB59_341:
	v_cmp_ne_u32_e32 vcc_lo, 1, v121
	v_lshlrev_b64 v[36:37], 2, v[64:65]
	s_cbranch_vccnz .LBB59_343
; %bb.342:
	s_delay_alu instid0(VALU_DEP_1) | instskip(NEXT) | instid1(VALU_DEP_2)
	v_add_co_u32 v42, vcc_lo, v40, v36
	v_add_co_ci_u32_e32 v43, vcc_lo, v41, v37, vcc_lo
	flat_load_b32 v42, v[42:43]
	s_waitcnt vmcnt(0) lgkmcnt(0)
	v_mul_f32_e32 v42, s24, v42
	s_branch .LBB59_344
.LBB59_343:
	v_mov_b32_e32 v42, 0
.LBB59_344:
	v_dual_add_f32 v33, v33, v5 :: v_dual_add_f32 v32, v32, v4
	v_dual_add_f32 v35, v35, v7 :: v_dual_add_f32 v34, v34, v6
	s_delay_alu instid0(VALU_DEP_2) | instskip(NEXT) | instid1(VALU_DEP_2)
	v_min3_f32 v32, v32, v33, v88
	v_min_f32_e32 v33, v34, v35
	s_delay_alu instid0(VALU_DEP_1)
	v_min3_f32 v34, v42, v33, v32
	v_add_co_u32 v32, vcc_lo, v38, v36
	v_add_co_ci_u32_e32 v33, vcc_lo, v39, v37, vcc_lo
	global_store_b32 v[32:33], v34, off
	s_or_b32 exec_lo, exec_lo, s0
	s_and_b32 s1, s1, s8
	s_delay_alu instid0(SALU_CYCLE_1)
	s_and_saveexec_b32 s0, s1
	s_cbranch_execz .LBB59_334
.LBB59_345:
	v_cmp_ne_u32_e32 vcc_lo, 1, v121
	v_lshlrev_b64 v[32:33], 2, v[66:67]
	s_cbranch_vccnz .LBB59_347
; %bb.346:
	s_delay_alu instid0(VALU_DEP_1) | instskip(NEXT) | instid1(VALU_DEP_2)
	v_add_co_u32 v34, vcc_lo, v40, v32
	v_add_co_ci_u32_e32 v35, vcc_lo, v41, v33, vcc_lo
	flat_load_b32 v34, v[34:35]
	s_waitcnt vmcnt(0) lgkmcnt(0)
	v_mul_f32_e32 v34, s24, v34
	s_branch .LBB59_348
.LBB59_347:
	v_mov_b32_e32 v34, 0
.LBB59_348:
	v_dual_add_f32 v29, v29, v5 :: v_dual_add_f32 v28, v28, v4
	v_dual_add_f32 v31, v31, v7 :: v_dual_add_f32 v30, v30, v6
	s_delay_alu instid0(VALU_DEP_2) | instskip(NEXT) | instid1(VALU_DEP_2)
	v_min3_f32 v28, v28, v29, v87
	v_min_f32_e32 v29, v30, v31
	s_delay_alu instid0(VALU_DEP_1)
	v_min3_f32 v30, v34, v29, v28
	v_add_co_u32 v28, vcc_lo, v38, v32
	v_add_co_ci_u32_e32 v29, vcc_lo, v39, v33, vcc_lo
	global_store_b32 v[28:29], v30, off
	s_or_b32 exec_lo, exec_lo, s0
	s_and_b32 s1, s2, s8
	s_delay_alu instid0(SALU_CYCLE_1)
	s_and_saveexec_b32 s0, s1
	s_cbranch_execz .LBB59_335
.LBB59_349:
	v_cmp_ne_u32_e32 vcc_lo, 1, v121
	v_lshlrev_b64 v[28:29], 2, v[68:69]
	s_cbranch_vccnz .LBB59_351
; %bb.350:
	s_delay_alu instid0(VALU_DEP_1) | instskip(NEXT) | instid1(VALU_DEP_2)
	v_add_co_u32 v30, vcc_lo, v40, v28
	v_add_co_ci_u32_e32 v31, vcc_lo, v41, v29, vcc_lo
	flat_load_b32 v30, v[30:31]
	s_waitcnt vmcnt(0) lgkmcnt(0)
	v_mul_f32_e32 v30, s24, v30
	s_branch .LBB59_352
.LBB59_351:
	v_mov_b32_e32 v30, 0
.LBB59_352:
	v_dual_add_f32 v25, v25, v5 :: v_dual_add_f32 v24, v24, v4
	v_dual_add_f32 v27, v27, v7 :: v_dual_add_f32 v26, v26, v6
	s_delay_alu instid0(VALU_DEP_2) | instskip(NEXT) | instid1(VALU_DEP_2)
	v_min3_f32 v24, v24, v25, v86
	v_min_f32_e32 v25, v26, v27
	s_delay_alu instid0(VALU_DEP_1)
	v_min3_f32 v26, v30, v25, v24
	v_add_co_u32 v24, vcc_lo, v38, v28
	v_add_co_ci_u32_e32 v25, vcc_lo, v39, v29, vcc_lo
	global_store_b32 v[24:25], v26, off
	s_or_b32 exec_lo, exec_lo, s0
	s_and_b32 s1, s3, s8
	s_delay_alu instid0(SALU_CYCLE_1)
	s_and_saveexec_b32 s0, s1
	s_cbranch_execz .LBB59_336
.LBB59_353:
	v_cmp_ne_u32_e32 vcc_lo, 1, v121
	v_lshlrev_b64 v[24:25], 2, v[70:71]
	s_cbranch_vccnz .LBB59_355
; %bb.354:
	s_delay_alu instid0(VALU_DEP_1) | instskip(NEXT) | instid1(VALU_DEP_2)
	v_add_co_u32 v26, vcc_lo, v40, v24
	v_add_co_ci_u32_e32 v27, vcc_lo, v41, v25, vcc_lo
	flat_load_b32 v26, v[26:27]
	s_waitcnt vmcnt(0) lgkmcnt(0)
	v_mul_f32_e32 v26, s24, v26
	s_branch .LBB59_356
.LBB59_355:
	v_mov_b32_e32 v26, 0
.LBB59_356:
	v_dual_add_f32 v21, v21, v5 :: v_dual_add_f32 v20, v20, v4
	v_dual_add_f32 v23, v23, v7 :: v_dual_add_f32 v22, v22, v6
	s_delay_alu instid0(VALU_DEP_2) | instskip(NEXT) | instid1(VALU_DEP_2)
	v_min3_f32 v20, v20, v21, v85
	v_min_f32_e32 v21, v22, v23
	s_delay_alu instid0(VALU_DEP_1)
	v_min3_f32 v22, v26, v21, v20
	v_add_co_u32 v20, vcc_lo, v38, v24
	v_add_co_ci_u32_e32 v21, vcc_lo, v39, v25, vcc_lo
	global_store_b32 v[20:21], v22, off
	s_or_b32 exec_lo, exec_lo, s0
	s_and_b32 s1, s4, s8
	s_delay_alu instid0(SALU_CYCLE_1)
	s_and_saveexec_b32 s0, s1
	s_cbranch_execz .LBB59_337
.LBB59_357:
	v_cmp_ne_u32_e32 vcc_lo, 1, v121
	v_lshlrev_b64 v[20:21], 2, v[72:73]
	s_cbranch_vccnz .LBB59_359
; %bb.358:
	s_delay_alu instid0(VALU_DEP_1) | instskip(NEXT) | instid1(VALU_DEP_2)
	v_add_co_u32 v22, vcc_lo, v40, v20
	v_add_co_ci_u32_e32 v23, vcc_lo, v41, v21, vcc_lo
	flat_load_b32 v22, v[22:23]
	s_waitcnt vmcnt(0) lgkmcnt(0)
	v_mul_f32_e32 v22, s24, v22
	s_branch .LBB59_360
.LBB59_359:
	v_mov_b32_e32 v22, 0
.LBB59_360:
	v_dual_add_f32 v17, v17, v5 :: v_dual_add_f32 v16, v16, v4
	v_dual_add_f32 v19, v19, v7 :: v_dual_add_f32 v18, v18, v6
	s_delay_alu instid0(VALU_DEP_2) | instskip(NEXT) | instid1(VALU_DEP_2)
	v_min3_f32 v16, v16, v17, v84
	v_min_f32_e32 v17, v18, v19
	s_delay_alu instid0(VALU_DEP_1)
	v_min3_f32 v18, v22, v17, v16
	v_add_co_u32 v16, vcc_lo, v38, v20
	v_add_co_ci_u32_e32 v17, vcc_lo, v39, v21, vcc_lo
	global_store_b32 v[16:17], v18, off
	s_or_b32 exec_lo, exec_lo, s0
	s_and_b32 s1, s5, s8
	s_delay_alu instid0(SALU_CYCLE_1)
	s_and_saveexec_b32 s0, s1
	s_cbranch_execz .LBB59_338
.LBB59_361:
	v_cmp_ne_u32_e32 vcc_lo, 1, v121
	v_lshlrev_b64 v[16:17], 2, v[74:75]
	s_cbranch_vccnz .LBB59_363
; %bb.362:
	s_delay_alu instid0(VALU_DEP_1) | instskip(NEXT) | instid1(VALU_DEP_2)
	v_add_co_u32 v18, vcc_lo, v40, v16
	v_add_co_ci_u32_e32 v19, vcc_lo, v41, v17, vcc_lo
	flat_load_b32 v18, v[18:19]
	s_waitcnt vmcnt(0) lgkmcnt(0)
	v_mul_f32_e32 v18, s24, v18
	s_branch .LBB59_364
.LBB59_363:
	v_mov_b32_e32 v18, 0
.LBB59_364:
	v_dual_add_f32 v13, v13, v5 :: v_dual_add_f32 v12, v12, v4
	v_dual_add_f32 v15, v15, v7 :: v_dual_add_f32 v14, v14, v6
	s_delay_alu instid0(VALU_DEP_2) | instskip(NEXT) | instid1(VALU_DEP_2)
	v_min3_f32 v12, v12, v13, v83
	v_min_f32_e32 v13, v14, v15
	s_delay_alu instid0(VALU_DEP_1)
	v_min3_f32 v14, v18, v13, v12
	v_add_co_u32 v12, vcc_lo, v38, v16
	v_add_co_ci_u32_e32 v13, vcc_lo, v39, v17, vcc_lo
	global_store_b32 v[12:13], v14, off
	s_or_b32 exec_lo, exec_lo, s0
	s_and_b32 s1, s6, s8
	s_delay_alu instid0(SALU_CYCLE_1)
	s_and_saveexec_b32 s0, s1
	s_cbranch_execz .LBB59_339
.LBB59_365:
	v_cmp_ne_u32_e32 vcc_lo, 1, v121
	v_lshlrev_b64 v[12:13], 2, v[76:77]
	s_cbranch_vccnz .LBB59_367
; %bb.366:
	s_delay_alu instid0(VALU_DEP_1) | instskip(NEXT) | instid1(VALU_DEP_2)
	v_add_co_u32 v14, vcc_lo, v40, v12
	v_add_co_ci_u32_e32 v15, vcc_lo, v41, v13, vcc_lo
	flat_load_b32 v14, v[14:15]
	s_waitcnt vmcnt(0) lgkmcnt(0)
	v_mul_f32_e32 v14, s24, v14
	s_branch .LBB59_368
.LBB59_367:
	v_mov_b32_e32 v14, 0
.LBB59_368:
	v_dual_add_f32 v9, v9, v5 :: v_dual_add_f32 v8, v8, v4
	v_dual_add_f32 v11, v11, v7 :: v_dual_add_f32 v10, v10, v6
	s_delay_alu instid0(VALU_DEP_2) | instskip(NEXT) | instid1(VALU_DEP_2)
	v_min3_f32 v8, v8, v9, v82
	v_min_f32_e32 v9, v10, v11
	s_delay_alu instid0(VALU_DEP_1)
	v_min3_f32 v10, v14, v9, v8
	v_add_co_u32 v8, vcc_lo, v38, v12
	v_add_co_ci_u32_e32 v9, vcc_lo, v39, v13, vcc_lo
	global_store_b32 v[8:9], v10, off
	s_or_b32 exec_lo, exec_lo, s0
	s_and_b32 s0, s7, s8
	s_delay_alu instid0(SALU_CYCLE_1)
	s_and_saveexec_b32 s1, s0
	s_cbranch_execz .LBB59_340
.LBB59_369:
	v_cmp_ne_u32_e32 vcc_lo, 1, v121
	v_lshlrev_b64 v[8:9], 2, v[78:79]
	s_cbranch_vccnz .LBB59_371
; %bb.370:
	s_delay_alu instid0(VALU_DEP_1) | instskip(NEXT) | instid1(VALU_DEP_2)
	v_add_co_u32 v10, vcc_lo, v40, v8
	v_add_co_ci_u32_e32 v11, vcc_lo, v41, v9, vcc_lo
	flat_load_b32 v10, v[10:11]
	s_waitcnt vmcnt(0) lgkmcnt(0)
	v_mul_f32_e32 v10, s24, v10
	s_branch .LBB59_372
.LBB59_371:
	v_mov_b32_e32 v10, 0
.LBB59_372:
	v_dual_add_f32 v1, v1, v5 :: v_dual_add_f32 v0, v0, v4
	v_dual_add_f32 v3, v3, v7 :: v_dual_add_f32 v2, v2, v6
	s_delay_alu instid0(VALU_DEP_2) | instskip(NEXT) | instid1(VALU_DEP_2)
	v_min3_f32 v0, v0, v1, v92
	v_min_f32_e32 v1, v2, v3
	s_delay_alu instid0(VALU_DEP_1)
	v_min3_f32 v2, v10, v1, v0
	v_add_co_u32 v0, vcc_lo, v38, v8
	v_add_co_ci_u32_e32 v1, vcc_lo, v39, v9, vcc_lo
	global_store_b32 v[0:1], v2, off
	s_nop 0
	s_sendmsg sendmsg(MSG_DEALLOC_VGPRS)
	s_endpgm
	.section	.rodata,"a",@progbits
	.p2align	6, 0x0
	.amdhsa_kernel _ZN12_GLOBAL__N_120geam_min_plus_kernelIf15HIP_vector_typeIfLj2EEfLi32ELi8ELi256ELi64ELi4ELi64ELi4ELi4ELi64ELc78ELc78ELb0ELb1ELb1EfKffEEviiiT16_PT17_ilS6_ilS4_S6_ilPT18_ili26rocblas_geam_ex_operation_
		.amdhsa_group_segment_fixed_size 10240
		.amdhsa_private_segment_fixed_size 0
		.amdhsa_kernarg_size 128
		.amdhsa_user_sgpr_count 14
		.amdhsa_user_sgpr_dispatch_ptr 0
		.amdhsa_user_sgpr_queue_ptr 0
		.amdhsa_user_sgpr_kernarg_segment_ptr 1
		.amdhsa_user_sgpr_dispatch_id 0
		.amdhsa_user_sgpr_private_segment_size 0
		.amdhsa_wavefront_size32 1
		.amdhsa_uses_dynamic_stack 0
		.amdhsa_enable_private_segment 0
		.amdhsa_system_sgpr_workgroup_id_x 1
		.amdhsa_system_sgpr_workgroup_id_y 0
		.amdhsa_system_sgpr_workgroup_id_z 1
		.amdhsa_system_sgpr_workgroup_info 0
		.amdhsa_system_vgpr_workitem_id 1
		.amdhsa_next_free_vgpr 193
		.amdhsa_next_free_sgpr 31
		.amdhsa_reserve_vcc 1
		.amdhsa_float_round_mode_32 0
		.amdhsa_float_round_mode_16_64 0
		.amdhsa_float_denorm_mode_32 3
		.amdhsa_float_denorm_mode_16_64 3
		.amdhsa_dx10_clamp 1
		.amdhsa_ieee_mode 1
		.amdhsa_fp16_overflow 0
		.amdhsa_workgroup_processor_mode 1
		.amdhsa_memory_ordered 1
		.amdhsa_forward_progress 0
		.amdhsa_shared_vgpr_count 0
		.amdhsa_exception_fp_ieee_invalid_op 0
		.amdhsa_exception_fp_denorm_src 0
		.amdhsa_exception_fp_ieee_div_zero 0
		.amdhsa_exception_fp_ieee_overflow 0
		.amdhsa_exception_fp_ieee_underflow 0
		.amdhsa_exception_fp_ieee_inexact 0
		.amdhsa_exception_int_div_zero 0
	.end_amdhsa_kernel
	.section	.text._ZN12_GLOBAL__N_120geam_min_plus_kernelIf15HIP_vector_typeIfLj2EEfLi32ELi8ELi256ELi64ELi4ELi64ELi4ELi4ELi64ELc78ELc78ELb0ELb1ELb1EfKffEEviiiT16_PT17_ilS6_ilS4_S6_ilPT18_ili26rocblas_geam_ex_operation_,"axG",@progbits,_ZN12_GLOBAL__N_120geam_min_plus_kernelIf15HIP_vector_typeIfLj2EEfLi32ELi8ELi256ELi64ELi4ELi64ELi4ELi4ELi64ELc78ELc78ELb0ELb1ELb1EfKffEEviiiT16_PT17_ilS6_ilS4_S6_ilPT18_ili26rocblas_geam_ex_operation_,comdat
.Lfunc_end59:
	.size	_ZN12_GLOBAL__N_120geam_min_plus_kernelIf15HIP_vector_typeIfLj2EEfLi32ELi8ELi256ELi64ELi4ELi64ELi4ELi4ELi64ELc78ELc78ELb0ELb1ELb1EfKffEEviiiT16_PT17_ilS6_ilS4_S6_ilPT18_ili26rocblas_geam_ex_operation_, .Lfunc_end59-_ZN12_GLOBAL__N_120geam_min_plus_kernelIf15HIP_vector_typeIfLj2EEfLi32ELi8ELi256ELi64ELi4ELi64ELi4ELi4ELi64ELc78ELc78ELb0ELb1ELb1EfKffEEviiiT16_PT17_ilS6_ilS4_S6_ilPT18_ili26rocblas_geam_ex_operation_
                                        ; -- End function
	.section	.AMDGPU.csdata,"",@progbits
; Kernel info:
; codeLenInByte = 21176
; NumSgprs: 33
; NumVgprs: 193
; ScratchSize: 0
; MemoryBound: 0
; FloatMode: 240
; IeeeMode: 1
; LDSByteSize: 10240 bytes/workgroup (compile time only)
; SGPRBlocks: 4
; VGPRBlocks: 24
; NumSGPRsForWavesPerEU: 33
; NumVGPRsForWavesPerEU: 193
; Occupancy: 7
; WaveLimiterHint : 0
; COMPUTE_PGM_RSRC2:SCRATCH_EN: 0
; COMPUTE_PGM_RSRC2:USER_SGPR: 14
; COMPUTE_PGM_RSRC2:TRAP_HANDLER: 0
; COMPUTE_PGM_RSRC2:TGID_X_EN: 1
; COMPUTE_PGM_RSRC2:TGID_Y_EN: 0
; COMPUTE_PGM_RSRC2:TGID_Z_EN: 1
; COMPUTE_PGM_RSRC2:TIDIG_COMP_CNT: 1
	.section	.text._ZN12_GLOBAL__N_120geam_min_plus_kernelIf15HIP_vector_typeIfLj2EEfLi32ELi8ELi128ELi128ELi4ELi4ELi64ELi4ELi64ELc84ELc78ELb0ELb0ELb1EPKfS3_fEEviiiT16_PT17_ilS7_ilS5_S7_ilPT18_ili26rocblas_geam_ex_operation_,"axG",@progbits,_ZN12_GLOBAL__N_120geam_min_plus_kernelIf15HIP_vector_typeIfLj2EEfLi32ELi8ELi128ELi128ELi4ELi4ELi64ELi4ELi64ELc84ELc78ELb0ELb0ELb1EPKfS3_fEEviiiT16_PT17_ilS7_ilS5_S7_ilPT18_ili26rocblas_geam_ex_operation_,comdat
	.globl	_ZN12_GLOBAL__N_120geam_min_plus_kernelIf15HIP_vector_typeIfLj2EEfLi32ELi8ELi128ELi128ELi4ELi4ELi64ELi4ELi64ELc84ELc78ELb0ELb0ELb1EPKfS3_fEEviiiT16_PT17_ilS7_ilS5_S7_ilPT18_ili26rocblas_geam_ex_operation_ ; -- Begin function _ZN12_GLOBAL__N_120geam_min_plus_kernelIf15HIP_vector_typeIfLj2EEfLi32ELi8ELi128ELi128ELi4ELi4ELi64ELi4ELi64ELc84ELc78ELb0ELb0ELb1EPKfS3_fEEviiiT16_PT17_ilS7_ilS5_S7_ilPT18_ili26rocblas_geam_ex_operation_
	.p2align	8
	.type	_ZN12_GLOBAL__N_120geam_min_plus_kernelIf15HIP_vector_typeIfLj2EEfLi32ELi8ELi128ELi128ELi4ELi4ELi64ELi4ELi64ELc84ELc78ELb0ELb0ELb1EPKfS3_fEEviiiT16_PT17_ilS7_ilS5_S7_ilPT18_ili26rocblas_geam_ex_operation_,@function
_ZN12_GLOBAL__N_120geam_min_plus_kernelIf15HIP_vector_typeIfLj2EEfLi32ELi8ELi128ELi128ELi4ELi4ELi64ELi4ELi64ELc84ELc78ELb0ELb0ELb1EPKfS3_fEEviiiT16_PT17_ilS7_ilS5_S7_ilPT18_ili26rocblas_geam_ex_operation_: ; @_ZN12_GLOBAL__N_120geam_min_plus_kernelIf15HIP_vector_typeIfLj2EEfLi32ELi8ELi128ELi128ELi4ELi4ELi64ELi4ELi64ELc84ELc78ELb0ELb0ELb1EPKfS3_fEEviiiT16_PT17_ilS7_ilS5_S7_ilPT18_ili26rocblas_geam_ex_operation_
; %bb.0:
	s_clause 0x1
	s_load_b128 s[16:19], s[0:1], 0x10
	s_load_b128 s[4:7], s[0:1], 0x28
	s_mov_b32 s12, s15
	s_mov_b32 s13, 0
	s_delay_alu instid0(SALU_CYCLE_1)
	s_lshl_b64 s[2:3], s[12:13], 2
	s_waitcnt lgkmcnt(0)
	s_add_u32 s8, s16, s2
	s_addc_u32 s9, s17, s3
	s_mov_b64 s[16:17], 0
	s_load_b32 s15, s[8:9], 0x0
	s_clause 0x1
	s_load_b128 s[8:11], s[0:1], 0x40
	s_load_b64 s[20:21], s[0:1], 0x50
	s_waitcnt lgkmcnt(0)
	v_cmp_eq_f32_e64 s13, s15, 0
	v_cmp_neq_f32_e64 s22, s15, 0
	s_add_u32 s2, s10, s2
	s_addc_u32 s3, s11, s3
	s_mov_b64 s[10:11], 0
	s_and_b32 vcc_lo, exec_lo, s13
	s_cbranch_vccnz .LBB60_2
; %bb.1:
	s_mul_i32 s5, s12, s5
	s_mul_hi_u32 s10, s12, s4
	s_mul_i32 s4, s12, s4
	s_add_i32 s5, s10, s5
	s_delay_alu instid0(SALU_CYCLE_1) | instskip(NEXT) | instid1(SALU_CYCLE_1)
	s_lshl_b64 s[4:5], s[4:5], 2
	s_add_u32 s10, s18, s4
	s_addc_u32 s11, s19, s5
.LBB60_2:
	s_load_b32 s13, s[2:3], 0x0
	v_cndmask_b32_e64 v1, 0, 1, s22
	s_and_not1_b32 vcc_lo, exec_lo, s22
	s_delay_alu instid0(VALU_DEP_1)
	v_cmp_ne_u32_e64 s3, 1, v1
	s_cbranch_vccnz .LBB60_4
; %bb.3:
	s_mul_i32 s2, s12, s9
	s_mul_hi_u32 s4, s12, s8
	s_delay_alu instid0(SALU_CYCLE_1) | instskip(SKIP_1) | instid1(SALU_CYCLE_1)
	s_add_i32 s5, s4, s2
	s_mul_i32 s4, s12, s8
	s_lshl_b64 s[4:5], s[4:5], 2
	s_delay_alu instid0(SALU_CYCLE_1)
	s_add_u32 s16, s6, s4
	s_addc_u32 s17, s7, s5
.LBB60_4:
	s_load_b128 s[4:7], s[0:1], 0x60
	s_waitcnt lgkmcnt(0)
	v_cmp_eq_f32_e64 s2, s13, 0
	s_delay_alu instid0(VALU_DEP_1) | instskip(NEXT) | instid1(SALU_CYCLE_1)
	s_and_b32 s2, exec_lo, s2
	s_mov_b32 vcc_lo, s2
	s_cbranch_vccnz .LBB60_6
; %bb.5:
	s_mul_i32 s5, s12, s5
	s_mul_hi_u32 s8, s12, s4
	s_mul_i32 s4, s12, s4
	s_add_i32 s5, s8, s5
	s_delay_alu instid0(SALU_CYCLE_1) | instskip(NEXT) | instid1(SALU_CYCLE_1)
	s_lshl_b64 s[4:5], s[4:5], 2
	s_add_u32 s8, s20, s4
	s_addc_u32 s9, s21, s5
	s_branch .LBB60_7
.LBB60_6:
	s_mov_b64 s[8:9], 0
.LBB60_7:
	s_clause 0x1
	s_load_b32 s5, s[0:1], 0x0
	s_load_b32 s4, s[0:1], 0x20
	v_and_b32_e32 v81, 0x3ff, v0
	v_bfe_u32 v80, v0, 10, 10
	s_delay_alu instid0(VALU_DEP_1) | instskip(NEXT) | instid1(VALU_DEP_1)
	v_lshl_add_u32 v0, v80, 5, v81
	v_lshrrev_b32_e32 v0, 2, v0
	s_waitcnt lgkmcnt(0)
	s_add_i32 s5, s5, -1
	s_delay_alu instid0(SALU_CYCLE_1) | instskip(NEXT) | instid1(SALU_CYCLE_1)
	s_ashr_i32 s18, s5, 31
	s_lshr_b32 s18, s18, 25
	s_delay_alu instid0(SALU_CYCLE_1) | instskip(NEXT) | instid1(SALU_CYCLE_1)
	s_add_i32 s5, s5, s18
	s_ashr_i32 s5, s5, 7
	s_delay_alu instid0(SALU_CYCLE_1) | instskip(SKIP_2) | instid1(VALU_DEP_1)
	s_add_i32 s18, s5, 1
	s_not_b32 s5, s5
	v_cvt_f32_u32_e32 v1, s18
	v_rcp_iflag_f32_e32 v1, v1
	s_waitcnt_depctr 0xfff
	v_mul_f32_e32 v1, 0x4f7ffffe, v1
	s_delay_alu instid0(VALU_DEP_1) | instskip(NEXT) | instid1(VALU_DEP_1)
	v_cvt_u32_f32_e32 v1, v1
	v_readfirstlane_b32 s19, v1
	v_and_b32_e32 v1, 3, v81
	s_delay_alu instid0(VALU_DEP_2) | instskip(NEXT) | instid1(VALU_DEP_1)
	s_mul_i32 s5, s5, s19
	v_lshlrev_b32_e32 v82, 2, v1
	s_mul_hi_u32 s5, s19, s5
	s_delay_alu instid0(SALU_CYCLE_1) | instskip(NEXT) | instid1(SALU_CYCLE_1)
	s_add_i32 s19, s19, s5
	s_mul_hi_u32 s5, s14, s19
	s_delay_alu instid0(SALU_CYCLE_1) | instskip(SKIP_2) | instid1(SALU_CYCLE_1)
	s_mul_i32 s19, s5, s18
	s_add_i32 s20, s5, 1
	s_sub_i32 s19, s14, s19
	s_sub_i32 s21, s19, s18
	s_cmp_ge_u32 s19, s18
	s_cselect_b32 s5, s20, s5
	s_cselect_b32 s19, s21, s19
	s_add_i32 s20, s5, 1
	s_cmp_ge_u32 s19, s18
	s_cselect_b32 s19, s20, s5
	s_and_b32 vcc_lo, exec_lo, s3
	s_mul_i32 s5, s19, s18
	s_delay_alu instid0(SALU_CYCLE_1) | instskip(NEXT) | instid1(SALU_CYCLE_1)
	s_sub_i32 s5, s14, s5
	s_lshl_b32 s5, s5, 7
	s_delay_alu instid0(SALU_CYCLE_1) | instskip(NEXT) | instid1(VALU_DEP_1)
	v_add_nc_u32_e32 v84, s5, v0
	v_add_nc_u32_e32 v85, 64, v84
	s_cbranch_vccnz .LBB60_9
; %bb.8:
	v_mad_i64_i32 v[1:2], null, v84, s4, 0
	s_delay_alu instid0(VALU_DEP_2) | instskip(SKIP_1) | instid1(VALU_DEP_1)
	v_mad_i64_i32 v[3:4], null, v85, s4, 0
	v_add_co_u32 v5, s14, s10, v82
	v_add_co_ci_u32_e64 v6, null, s11, 0, s14
	s_delay_alu instid0(VALU_DEP_4) | instskip(NEXT) | instid1(VALU_DEP_4)
	v_lshlrev_b64 v[1:2], 2, v[1:2]
	v_lshlrev_b64 v[3:4], 2, v[3:4]
	s_delay_alu instid0(VALU_DEP_2) | instskip(NEXT) | instid1(VALU_DEP_3)
	v_add_co_u32 v1, vcc_lo, v5, v1
	v_add_co_ci_u32_e32 v2, vcc_lo, v6, v2, vcc_lo
	s_delay_alu instid0(VALU_DEP_3) | instskip(NEXT) | instid1(VALU_DEP_4)
	v_add_co_u32 v3, vcc_lo, v5, v3
	v_add_co_ci_u32_e32 v4, vcc_lo, v6, v4, vcc_lo
	s_clause 0x1
	flat_load_b32 v1, v[1:2]
	flat_load_b32 v2, v[3:4]
	s_waitcnt vmcnt(0) lgkmcnt(0)
	v_dual_mul_f32 v1, s15, v1 :: v_dual_mul_f32 v2, s15, v2
	s_branch .LBB60_10
.LBB60_9:
	v_dual_mov_b32 v1, 0 :: v_dual_mov_b32 v2, 0
.LBB60_10:
	s_load_b32 s18, s[0:1], 0x38
	s_lshl_b32 s14, s19, 7
	s_and_b32 vcc_lo, exec_lo, s3
	v_add_nc_u32_e32 v133, s14, v0
	s_delay_alu instid0(VALU_DEP_1)
	v_add_nc_u32_e32 v151, 64, v133
	s_cbranch_vccnz .LBB60_14
; %bb.11:
	s_waitcnt lgkmcnt(0)
	v_mad_i64_i32 v[3:4], null, v133, s18, 0
	s_delay_alu instid0(VALU_DEP_2) | instskip(SKIP_1) | instid1(VALU_DEP_1)
	v_mad_i64_i32 v[5:6], null, v151, s18, 0
	v_add_co_u32 v7, s19, s16, v82
	v_add_co_ci_u32_e64 v8, null, s17, 0, s19
	s_delay_alu instid0(VALU_DEP_4) | instskip(NEXT) | instid1(VALU_DEP_4)
	v_lshlrev_b64 v[3:4], 2, v[3:4]
	v_lshlrev_b64 v[5:6], 2, v[5:6]
	s_delay_alu instid0(VALU_DEP_2) | instskip(NEXT) | instid1(VALU_DEP_3)
	v_add_co_u32 v3, vcc_lo, v7, v3
	v_add_co_ci_u32_e32 v4, vcc_lo, v8, v4, vcc_lo
	s_delay_alu instid0(VALU_DEP_3) | instskip(NEXT) | instid1(VALU_DEP_4)
	v_add_co_u32 v5, vcc_lo, v7, v5
	v_add_co_ci_u32_e32 v6, vcc_lo, v8, v6, vcc_lo
	s_clause 0x1
	flat_load_b32 v3, v[3:4]
	flat_load_b32 v4, v[5:6]
	s_waitcnt vmcnt(0) lgkmcnt(0)
	v_dual_mul_f32 v3, s15, v3 :: v_dual_mul_f32 v4, s15, v4
	s_and_b32 vcc_lo, exec_lo, s3
	s_cbranch_vccnz .LBB60_15
.LBB60_12:
	v_mad_i64_i32 v[5:6], null, v84, s4, 0
	v_mad_i64_i32 v[7:8], null, v85, s4, 0
	v_add_co_u32 v9, s19, s10, v82
	s_delay_alu instid0(VALU_DEP_1) | instskip(NEXT) | instid1(VALU_DEP_4)
	v_add_co_ci_u32_e64 v10, null, s11, 0, s19
	v_lshlrev_b64 v[5:6], 2, v[5:6]
	s_delay_alu instid0(VALU_DEP_4) | instskip(NEXT) | instid1(VALU_DEP_2)
	v_lshlrev_b64 v[7:8], 2, v[7:8]
	v_add_co_u32 v5, vcc_lo, v9, v5
	s_delay_alu instid0(VALU_DEP_3) | instskip(NEXT) | instid1(VALU_DEP_3)
	v_add_co_ci_u32_e32 v6, vcc_lo, v10, v6, vcc_lo
	v_add_co_u32 v7, vcc_lo, v9, v7
	s_delay_alu instid0(VALU_DEP_4)
	v_add_co_ci_u32_e32 v8, vcc_lo, v10, v8, vcc_lo
	s_clause 0x1
	flat_load_b32 v5, v[5:6] offset:16
	flat_load_b32 v6, v[7:8] offset:16
	s_waitcnt vmcnt(0) lgkmcnt(0)
	v_dual_mul_f32 v154, s15, v5 :: v_dual_mul_f32 v155, s15, v6
	s_and_b32 vcc_lo, exec_lo, s3
	s_cbranch_vccnz .LBB60_16
.LBB60_13:
	s_waitcnt lgkmcnt(0)
	v_mad_i64_i32 v[5:6], null, v133, s18, 0
	v_mad_i64_i32 v[7:8], null, v151, s18, 0
	v_add_co_u32 v9, s19, s16, v82
	s_delay_alu instid0(VALU_DEP_1) | instskip(NEXT) | instid1(VALU_DEP_4)
	v_add_co_ci_u32_e64 v10, null, s17, 0, s19
	v_lshlrev_b64 v[5:6], 2, v[5:6]
	s_delay_alu instid0(VALU_DEP_4) | instskip(NEXT) | instid1(VALU_DEP_2)
	v_lshlrev_b64 v[7:8], 2, v[7:8]
	v_add_co_u32 v5, vcc_lo, v9, v5
	s_delay_alu instid0(VALU_DEP_3) | instskip(NEXT) | instid1(VALU_DEP_3)
	v_add_co_ci_u32_e32 v6, vcc_lo, v10, v6, vcc_lo
	v_add_co_u32 v7, vcc_lo, v9, v7
	s_delay_alu instid0(VALU_DEP_4)
	v_add_co_ci_u32_e32 v8, vcc_lo, v10, v8, vcc_lo
	s_clause 0x1
	flat_load_b32 v5, v[5:6] offset:16
	flat_load_b32 v6, v[7:8] offset:16
	s_waitcnt vmcnt(0) lgkmcnt(0)
	v_dual_mul_f32 v156, s15, v5 :: v_dual_mul_f32 v157, s15, v6
	s_branch .LBB60_17
.LBB60_14:
	v_dual_mov_b32 v3, 0 :: v_dual_mov_b32 v4, 0
	s_and_b32 vcc_lo, exec_lo, s3
	s_cbranch_vccz .LBB60_12
.LBB60_15:
	v_dual_mov_b32 v154, 0 :: v_dual_mov_b32 v155, 0
	s_and_b32 vcc_lo, exec_lo, s3
	s_cbranch_vccz .LBB60_13
.LBB60_16:
	v_dual_mov_b32 v156, 0 :: v_dual_mov_b32 v157, 0
.LBB60_17:
	v_lshl_or_b32 v83, v0, 4, v82
	v_lshlrev_b32_e32 v86, 4, v81
	s_load_b32 s19, s[0:1], 0x8
	ds_store_2addr_stride64_b32 v83, v1, v2 offset1:4
	ds_store_2addr_stride64_b32 v83, v3, v4 offset0:16 offset1:20
	s_waitcnt lgkmcnt(0)
	s_barrier
	buffer_gl0_inv
	ds_load_b128 v[16:19], v86
	ds_load_b128 v[12:15], v86 offset:512
	ds_load_b128 v[8:11], v86 offset:1024
	;; [unrolled: 1-line block ×3, first 2 shown]
	v_lshlrev_b32_e32 v87, 4, v80
	ds_load_b128 v[76:79], v87 offset:4096
	ds_load_b128 v[72:75], v87 offset:4224
	;; [unrolled: 1-line block ×16, first 2 shown]
	ds_store_2addr_stride64_b32 v83, v154, v155 offset0:8 offset1:12
	ds_store_2addr_stride64_b32 v83, v156, v157 offset0:24 offset1:28
	s_waitcnt lgkmcnt(0)
	s_barrier
	buffer_gl0_inv
	s_cmp_lt_i32 s19, 9
	v_dual_add_f32 v88, v17, v77 :: v_dual_add_f32 v89, v16, v76
	s_delay_alu instid0(VALU_DEP_1) | instskip(SKIP_2) | instid1(VALU_DEP_2)
	v_min3_f32 v115, v89, v88, 0x7f7fffff
	v_dual_add_f32 v88, v13, v77 :: v_dual_add_f32 v89, v12, v76
	v_add_f32_e32 v119, v8, v20
	v_min3_f32 v116, v89, v88, 0x7f7fffff
	v_dual_add_f32 v88, v9, v77 :: v_dual_add_f32 v89, v8, v76
	v_dual_add_f32 v77, v1, v77 :: v_dual_add_f32 v76, v0, v76
	s_delay_alu instid0(VALU_DEP_2) | instskip(NEXT) | instid1(VALU_DEP_2)
	v_min3_f32 v117, v89, v88, 0x7f7fffff
	v_min3_f32 v118, v76, v77, 0x7f7fffff
	v_dual_add_f32 v76, v17, v73 :: v_dual_add_f32 v77, v16, v72
	s_delay_alu instid0(VALU_DEP_1) | instskip(SKIP_1) | instid1(VALU_DEP_1)
	v_min3_f32 v114, v77, v76, 0x7f7fffff
	v_dual_add_f32 v76, v13, v73 :: v_dual_add_f32 v77, v12, v72
	v_min3_f32 v113, v77, v76, 0x7f7fffff
	v_dual_add_f32 v76, v9, v73 :: v_dual_add_f32 v77, v8, v72
	v_dual_add_f32 v73, v1, v73 :: v_dual_add_f32 v72, v0, v72
	s_delay_alu instid0(VALU_DEP_2) | instskip(NEXT) | instid1(VALU_DEP_2)
	v_min3_f32 v112, v77, v76, 0x7f7fffff
	v_min3_f32 v111, v72, v73, 0x7f7fffff
	v_dual_add_f32 v72, v17, v69 :: v_dual_add_f32 v73, v16, v68
	s_delay_alu instid0(VALU_DEP_1) | instskip(SKIP_1) | instid1(VALU_DEP_1)
	v_min3_f32 v110, v73, v72, 0x7f7fffff
	v_dual_add_f32 v72, v13, v69 :: v_dual_add_f32 v73, v12, v68
	;; [unrolled: 10-line block ×13, first 2 shown]
	v_min3_f32 v33, v29, v28, 0x7f7fffff
	v_dual_add_f32 v28, v9, v25 :: v_dual_add_f32 v29, v8, v24
	v_dual_add_f32 v25, v1, v25 :: v_dual_add_f32 v24, v0, v24
	v_add_f32_e32 v8, v8, v4
	s_delay_alu instid0(VALU_DEP_3) | instskip(NEXT) | instid1(VALU_DEP_3)
	v_min3_f32 v32, v29, v28, 0x7f7fffff
	v_min3_f32 v29, v24, v25, 0x7f7fffff
	v_dual_add_f32 v24, v17, v21 :: v_dual_add_f32 v25, v16, v20
	v_dual_add_f32 v17, v17, v5 :: v_dual_add_f32 v16, v16, v4
	s_delay_alu instid0(VALU_DEP_2) | instskip(SKIP_4) | instid1(VALU_DEP_4)
	v_min3_f32 v28, v25, v24, 0x7f7fffff
	v_dual_add_f32 v24, v13, v21 :: v_dual_add_f32 v25, v12, v20
	v_add_f32_e32 v20, v0, v20
	v_dual_add_f32 v0, v0, v4 :: v_dual_add_f32 v13, v13, v5
	v_add_f32_e32 v12, v12, v4
	v_min3_f32 v25, v25, v24, 0x7f7fffff
	v_add_f32_e32 v24, v9, v21
	v_add_f32_e32 v21, v1, v21
	;; [unrolled: 1-line block ×3, first 2 shown]
	v_dual_add_f32 v9, v9, v5 :: v_dual_add_f32 v4, v18, v78
	s_delay_alu instid0(VALU_DEP_4) | instskip(NEXT) | instid1(VALU_DEP_4)
	v_min3_f32 v24, v119, v24, 0x7f7fffff
	v_min3_f32 v20, v20, v21, 0x7f7fffff
	s_delay_alu instid0(VALU_DEP_4) | instskip(SKIP_4) | instid1(VALU_DEP_4)
	v_min3_f32 v0, v0, v1, 0x7f7fffff
	v_add_f32_e32 v1, v19, v79
	v_min3_f32 v16, v16, v17, 0x7f7fffff
	v_min3_f32 v12, v12, v13, 0x7f7fffff
	;; [unrolled: 1-line block ×4, first 2 shown]
	v_dual_add_f32 v1, v15, v79 :: v_dual_add_f32 v4, v14, v78
	s_delay_alu instid0(VALU_DEP_1) | instskip(SKIP_1) | instid1(VALU_DEP_1)
	v_min3_f32 v150, v4, v1, v116
	v_dual_add_f32 v1, v11, v79 :: v_dual_add_f32 v4, v10, v78
	v_min3_f32 v152, v4, v1, v117
	v_dual_add_f32 v1, v3, v79 :: v_dual_add_f32 v4, v2, v78
	s_delay_alu instid0(VALU_DEP_1) | instskip(SKIP_1) | instid1(VALU_DEP_1)
	v_min3_f32 v148, v4, v1, v118
	v_dual_add_f32 v1, v19, v75 :: v_dual_add_f32 v4, v18, v74
	v_min3_f32 v149, v4, v1, v114
	;; [unrolled: 5-line block ×29, first 2 shown]
	v_dual_add_f32 v1, v3, v23 :: v_dual_add_f32 v4, v2, v22
	v_add_f32_e32 v2, v2, v6
	s_delay_alu instid0(VALU_DEP_2) | instskip(SKIP_1) | instid1(VALU_DEP_1)
	v_min3_f32 v90, v4, v1, v20
	v_dual_add_f32 v1, v19, v7 :: v_dual_add_f32 v4, v18, v6
	v_min3_f32 v91, v4, v1, v16
	v_dual_add_f32 v1, v15, v7 :: v_dual_add_f32 v4, v14, v6
	s_delay_alu instid0(VALU_DEP_1) | instskip(SKIP_1) | instid1(VALU_DEP_1)
	v_min3_f32 v88, v4, v1, v12
	v_dual_add_f32 v1, v11, v7 :: v_dual_add_f32 v4, v10, v6
	v_min3_f32 v89, v4, v1, v8
	v_add_f32_e32 v1, v3, v7
	s_delay_alu instid0(VALU_DEP_1)
	v_min3_f32 v98, v2, v1, v0
	s_cbranch_scc1 .LBB60_31
; %bb.18:
	v_mad_i64_i32 v[0:1], null, s18, v151, 0
	v_mad_i64_i32 v[2:3], null, s18, v133, 0
	;; [unrolled: 1-line block ×4, first 2 shown]
	s_delay_alu instid0(VALU_DEP_4)
	v_lshlrev_b64 v[0:1], 2, v[0:1]
	v_add_nc_u32_e32 v154, 0x1000, v83
	v_lshlrev_b64 v[2:3], 2, v[2:3]
	v_add_nc_u32_e32 v151, 0x1000, v87
	v_add_nc_u32_e32 v133, 0x800, v83
	;; [unrolled: 1-line block ×3, first 2 shown]
	v_add_co_u32 v84, vcc_lo, s16, v0
	v_add_co_ci_u32_e32 v85, vcc_lo, s17, v1, vcc_lo
	v_lshlrev_b64 v[0:1], 2, v[4:5]
	v_add_co_u32 v158, vcc_lo, s16, v2
	v_add_co_ci_u32_e32 v159, vcc_lo, s17, v3, vcc_lo
	v_lshlrev_b64 v[2:3], 2, v[6:7]
	s_delay_alu instid0(VALU_DEP_4) | instskip(SKIP_2) | instid1(VALU_DEP_4)
	v_add_co_u32 v160, vcc_lo, s10, v0
	v_add_co_ci_u32_e32 v161, vcc_lo, s11, v1, vcc_lo
	v_lshl_add_u32 v156, v81, 4, 0x800
	v_add_co_u32 v162, vcc_lo, s10, v2
	v_lshl_add_u32 v157, v80, 4, 0x1800
	v_add_co_ci_u32_e32 v163, vcc_lo, s11, v3, vcc_lo
	s_add_i32 s19, s19, -8
	s_mov_b32 s10, 0
	s_and_b32 s4, exec_lo, s22
	s_branch .LBB60_21
.LBB60_19:                              ;   in Loop: Header=BB60_21 Depth=1
	v_add_co_u32 v0, vcc_lo, v158, v82
	v_add_co_ci_u32_e32 v1, vcc_lo, 0, v159, vcc_lo
	v_add_co_u32 v14, vcc_lo, v84, v82
	v_add_co_ci_u32_e32 v15, vcc_lo, 0, v85, vcc_lo
	flat_load_b32 v0, v[0:1] offset:48
	flat_load_b32 v1, v[14:15] offset:48
	s_waitcnt vmcnt(0) lgkmcnt(0)
	v_dual_mul_f32 v0, s15, v0 :: v_dual_mul_f32 v1, s15, v1
.LBB60_20:                              ;   in Loop: Header=BB60_21 Depth=1
	ds_load_b128 v[73:76], v151
	ds_load_b128 v[88:91], v86
	ds_load_b128 v[166:169], v86 offset:512
	ds_load_b128 v[170:173], v86 offset:1024
	;; [unrolled: 1-line block ×18, first 2 shown]
	v_add_co_u32 v84, vcc_lo, v84, 32
	s_waitcnt lgkmcnt(18)
	v_dual_add_f32 v11, v89, v74 :: v_dual_add_f32 v14, v88, v73
	s_waitcnt lgkmcnt(17)
	v_dual_add_f32 v15, v167, v74 :: v_dual_add_f32 v18, v166, v73
	;; [unrolled: 2-line block ×3, first 2 shown]
	v_min3_f32 v11, v14, v11, v28
	s_waitcnt lgkmcnt(14)
	v_add_f32_e32 v23, v88, v92
	v_min3_f32 v14, v18, v15, v29
	v_add_f32_e32 v18, v175, v74
	v_min3_f32 v15, v22, v19, v32
	v_add_f32_e32 v19, v174, v73
	v_add_f32_e32 v22, v89, v93
	v_dual_add_f32 v28, v167, v93 :: v_dual_add_f32 v29, v166, v92
	v_dual_add_f32 v32, v171, v93 :: v_dual_add_f32 v73, v170, v92
	v_dual_add_f32 v74, v175, v93 :: v_dual_add_f32 v77, v174, v92
	v_min3_f32 v4, v19, v18, v4
	v_min3_f32 v18, v23, v22, v33
	;; [unrolled: 1-line block ×5, first 2 shown]
	s_waitcnt lgkmcnt(13)
	v_dual_add_f32 v28, v89, v97 :: v_dual_add_f32 v29, v88, v96
	v_dual_add_f32 v32, v167, v97 :: v_dual_add_f32 v33, v166, v96
	v_dual_add_f32 v36, v171, v97 :: v_dual_add_f32 v37, v170, v96
	v_dual_add_f32 v40, v175, v97 :: v_dual_add_f32 v73, v174, v96
	s_waitcnt lgkmcnt(12)
	v_dual_add_f32 v74, v89, v101 :: v_dual_add_f32 v77, v88, v100
	v_min3_f32 v5, v29, v28, v5
	v_min3_f32 v28, v33, v32, v41
	;; [unrolled: 1-line block ×5, first 2 shown]
	v_dual_add_f32 v36, v167, v101 :: v_dual_add_f32 v37, v166, v100
	v_dual_add_f32 v40, v171, v101 :: v_dual_add_f32 v41, v170, v100
	;; [unrolled: 1-line block ×3, first 2 shown]
	s_waitcnt lgkmcnt(11)
	v_dual_add_f32 v48, v89, v105 :: v_dual_add_f32 v73, v88, v104
	v_dual_add_f32 v74, v167, v105 :: v_dual_add_f32 v77, v166, v104
	v_min3_f32 v8, v37, v36, v8
	v_min3_f32 v36, v41, v40, v49
	;; [unrolled: 1-line block ×5, first 2 shown]
	v_dual_add_f32 v44, v171, v105 :: v_dual_add_f32 v45, v170, v104
	v_dual_add_f32 v48, v175, v105 :: v_dual_add_f32 v49, v174, v104
	s_waitcnt lgkmcnt(10)
	v_dual_add_f32 v52, v89, v109 :: v_dual_add_f32 v53, v88, v108
	v_dual_add_f32 v56, v167, v109 :: v_dual_add_f32 v73, v166, v108
	;; [unrolled: 1-line block ×3, first 2 shown]
	v_min3_f32 v9, v45, v44, v9
	v_min3_f32 v44, v49, v48, v57
	;; [unrolled: 1-line block ×5, first 2 shown]
	v_dual_add_f32 v52, v175, v109 :: v_dual_add_f32 v53, v174, v108
	s_waitcnt lgkmcnt(9)
	v_dual_add_f32 v56, v89, v113 :: v_dual_add_f32 v57, v88, v112
	v_dual_add_f32 v58, v167, v113 :: v_dual_add_f32 v59, v166, v112
	;; [unrolled: 1-line block ×4, first 2 shown]
	v_min3_f32 v12, v53, v52, v12
	v_min3_f32 v52, v57, v56, v54
	;; [unrolled: 1-line block ×5, first 2 shown]
	s_waitcnt lgkmcnt(8)
	v_dual_add_f32 v56, v89, v117 :: v_dual_add_f32 v57, v88, v116
	v_dual_add_f32 v58, v167, v117 :: v_dual_add_f32 v59, v166, v116
	v_dual_add_f32 v60, v171, v117 :: v_dual_add_f32 v61, v170, v116
	v_dual_add_f32 v62, v175, v117 :: v_dual_add_f32 v73, v174, v116
	s_waitcnt lgkmcnt(7)
	v_dual_add_f32 v74, v89, v179 :: v_dual_add_f32 v77, v88, v178
	v_min3_f32 v13, v57, v56, v13
	v_min3_f32 v50, v59, v58, v50
	v_min3_f32 v51, v61, v60, v51
	v_min3_f32 v56, v73, v62, v63
	v_min3_f32 v57, v77, v74, v64
	v_dual_add_f32 v58, v167, v179 :: v_dual_add_f32 v59, v166, v178
	v_dual_add_f32 v60, v171, v179 :: v_dual_add_f32 v61, v170, v178
	;; [unrolled: 1-line block ×3, first 2 shown]
	s_waitcnt lgkmcnt(6)
	v_dual_add_f32 v64, v89, v183 :: v_dual_add_f32 v73, v88, v182
	v_dual_add_f32 v74, v167, v183 :: v_dual_add_f32 v77, v166, v182
	v_min3_f32 v16, v59, v58, v16
	v_min3_f32 v46, v61, v60, v46
	;; [unrolled: 1-line block ×5, first 2 shown]
	v_dual_add_f32 v60, v171, v183 :: v_dual_add_f32 v61, v170, v182
	v_dual_add_f32 v62, v175, v183 :: v_dual_add_f32 v63, v174, v182
	s_waitcnt lgkmcnt(5)
	v_dual_add_f32 v64, v89, v187 :: v_dual_add_f32 v65, v88, v186
	v_dual_add_f32 v66, v167, v187 :: v_dual_add_f32 v73, v166, v186
	;; [unrolled: 1-line block ×3, first 2 shown]
	v_min3_f32 v17, v61, v60, v17
	v_min3_f32 v38, v63, v62, v38
	;; [unrolled: 1-line block ×5, first 2 shown]
	v_dual_add_f32 v60, v175, v187 :: v_dual_add_f32 v61, v174, v186
	s_waitcnt lgkmcnt(4)
	v_dual_add_f32 v62, v89, v191 :: v_dual_add_f32 v63, v88, v190
	v_dual_add_f32 v64, v167, v191 :: v_dual_add_f32 v65, v166, v190
	;; [unrolled: 1-line block ×4, first 2 shown]
	v_min3_f32 v20, v61, v60, v20
	v_min3_f32 v34, v63, v62, v34
	;; [unrolled: 1-line block ×5, first 2 shown]
	s_waitcnt lgkmcnt(3)
	v_dual_add_f32 v62, v89, v195 :: v_dual_add_f32 v63, v88, v194
	v_dual_add_f32 v64, v167, v195 :: v_dual_add_f32 v65, v166, v194
	;; [unrolled: 1-line block ×4, first 2 shown]
	s_waitcnt lgkmcnt(2)
	v_dual_add_f32 v74, v89, v199 :: v_dual_add_f32 v77, v88, v198
	v_min3_f32 v21, v63, v62, v21
	v_min3_f32 v30, v65, v64, v30
	;; [unrolled: 1-line block ×5, first 2 shown]
	v_dual_add_f32 v64, v167, v199 :: v_dual_add_f32 v65, v166, v198
	v_dual_add_f32 v66, v171, v199 :: v_dual_add_f32 v67, v170, v198
	;; [unrolled: 1-line block ×3, first 2 shown]
	s_waitcnt lgkmcnt(1)
	v_dual_add_f32 v70, v89, v203 :: v_dual_add_f32 v73, v88, v202
	v_dual_add_f32 v74, v167, v203 :: v_dual_add_f32 v77, v166, v202
	v_min3_f32 v24, v65, v64, v24
	v_min3_f32 v26, v67, v66, v26
	;; [unrolled: 1-line block ×5, first 2 shown]
	v_dual_add_f32 v66, v171, v203 :: v_dual_add_f32 v67, v170, v202
	v_dual_add_f32 v68, v175, v203 :: v_dual_add_f32 v69, v174, v202
	s_waitcnt lgkmcnt(0)
	v_dual_add_f32 v70, v89, v207 :: v_dual_add_f32 v71, v88, v206
	v_dual_add_f32 v72, v167, v207 :: v_dual_add_f32 v73, v166, v206
	v_dual_add_f32 v74, v171, v207 :: v_dual_add_f32 v77, v170, v206
	v_min3_f32 v25, v67, v66, v25
	v_min3_f32 v3, v69, v68, v3
	v_min3_f32 v6, v71, v70, v6
	v_min3_f32 v7, v73, v72, v7
	v_min3_f32 v10, v77, v74, v10
	v_dual_add_f32 v66, v175, v207 :: v_dual_add_f32 v67, v174, v206
	v_dual_add_f32 v68, v91, v76 :: v_dual_add_f32 v69, v90, v75
	v_dual_add_f32 v70, v169, v76 :: v_dual_add_f32 v71, v168, v75
	v_dual_add_f32 v72, v173, v76 :: v_dual_add_f32 v73, v172, v75
	v_dual_add_f32 v74, v177, v76 :: v_dual_add_f32 v75, v176, v75
	v_min3_f32 v2, v67, v66, v2
	v_min3_f32 v153, v69, v68, v11
	v_min3_f32 v150, v71, v70, v14
	v_min3_f32 v152, v73, v72, v15
	v_min3_f32 v148, v75, v74, v4
	v_dual_add_f32 v4, v91, v95 :: v_dual_add_f32 v11, v90, v94
	v_dual_add_f32 v14, v169, v95 :: v_dual_add_f32 v15, v168, v94
	v_dual_add_f32 v66, v173, v95 :: v_dual_add_f32 v67, v172, v94
	v_dual_add_f32 v68, v177, v95 :: v_dual_add_f32 v69, v176, v94
	v_dual_add_f32 v70, v91, v99 :: v_dual_add_f32 v71, v90, v98
	v_min3_f32 v149, v11, v4, v18
	v_min3_f32 v146, v15, v14, v19
	v_min3_f32 v147, v67, v66, v22
	v_min3_f32 v144, v69, v68, v23
	v_min3_f32 v145, v71, v70, v5
	v_dual_add_f32 v4, v169, v99 :: v_dual_add_f32 v5, v168, v98
	v_dual_add_f32 v11, v173, v99 :: v_dual_add_f32 v14, v172, v98
	v_dual_add_f32 v15, v177, v99 :: v_dual_add_f32 v18, v176, v98
	v_dual_add_f32 v19, v91, v103 :: v_dual_add_f32 v22, v90, v102
	v_dual_add_f32 v23, v169, v103 :: v_dual_add_f32 v66, v168, v102
	v_min3_f32 v142, v5, v4, v28
	v_min3_f32 v143, v14, v11, v29
	v_min3_f32 v140, v18, v15, v32
	v_min3_f32 v141, v22, v19, v33
	v_min3_f32 v138, v66, v23, v8
	v_dual_add_f32 v4, v173, v103 :: v_dual_add_f32 v5, v172, v102
	v_dual_add_f32 v8, v177, v103 :: v_dual_add_f32 v11, v176, v102
	v_dual_add_f32 v14, v91, v107 :: v_dual_add_f32 v15, v90, v106
	v_dual_add_f32 v18, v169, v107 :: v_dual_add_f32 v19, v168, v106
	v_dual_add_f32 v22, v173, v107 :: v_dual_add_f32 v23, v172, v106
	v_min3_f32 v139, v5, v4, v36
	v_min3_f32 v136, v11, v8, v37
	v_min3_f32 v137, v15, v14, v40
	v_min3_f32 v135, v19, v18, v41
	v_min3_f32 v134, v23, v22, v9
	v_dual_add_f32 v4, v177, v107 :: v_dual_add_f32 v5, v176, v106
	v_dual_add_f32 v8, v91, v111 :: v_dual_add_f32 v9, v90, v110
	v_dual_add_f32 v11, v169, v111 :: v_dual_add_f32 v14, v168, v110
	v_dual_add_f32 v15, v173, v111 :: v_dual_add_f32 v18, v172, v110
	v_dual_add_f32 v19, v177, v111 :: v_dual_add_f32 v22, v176, v110
	v_min3_f32 v131, v5, v4, v44
	v_min3_f32 v132, v9, v8, v45
	v_min3_f32 v129, v14, v11, v48
	v_min3_f32 v130, v18, v15, v49
	v_min3_f32 v127, v22, v19, v12
	v_dual_add_f32 v4, v91, v115 :: v_dual_add_f32 v5, v90, v114
	v_dual_add_f32 v8, v169, v115 :: v_dual_add_f32 v9, v168, v114
	v_dual_add_f32 v11, v173, v115 :: v_dual_add_f32 v12, v172, v114
	v_dual_add_f32 v14, v177, v115 :: v_dual_add_f32 v15, v176, v114
	v_dual_add_f32 v18, v91, v119 :: v_dual_add_f32 v19, v90, v118
	v_min3_f32 v128, v5, v4, v52
	v_min3_f32 v125, v9, v8, v53
	v_min3_f32 v126, v12, v11, v54
	v_min3_f32 v123, v15, v14, v55
	v_min3_f32 v124, v19, v18, v13
	v_dual_add_f32 v4, v169, v119 :: v_dual_add_f32 v5, v168, v118
	v_dual_add_f32 v8, v173, v119 :: v_dual_add_f32 v9, v172, v118
	v_dual_add_f32 v11, v177, v119 :: v_dual_add_f32 v12, v176, v118
	v_dual_add_f32 v13, v91, v181 :: v_dual_add_f32 v14, v90, v180
	v_dual_add_f32 v15, v169, v181 :: v_dual_add_f32 v18, v168, v180
	v_min3_f32 v121, v5, v4, v50
	v_min3_f32 v122, v9, v8, v51
	v_min3_f32 v119, v12, v11, v56
	v_min3_f32 v120, v14, v13, v57
	v_min3_f32 v117, v18, v15, v16
	v_dual_add_f32 v4, v173, v181 :: v_dual_add_f32 v5, v172, v180
	v_dual_add_f32 v8, v177, v181 :: v_dual_add_f32 v9, v176, v180
	v_dual_add_f32 v11, v91, v185 :: v_dual_add_f32 v12, v90, v184
	v_dual_add_f32 v13, v169, v185 :: v_dual_add_f32 v14, v168, v184
	v_dual_add_f32 v15, v173, v185 :: v_dual_add_f32 v16, v172, v184
	v_min3_f32 v118, v5, v4, v46
	v_min3_f32 v115, v9, v8, v47
	v_min3_f32 v116, v12, v11, v58
	v_min3_f32 v114, v14, v13, v59
	v_min3_f32 v113, v16, v15, v17
	v_dual_add_f32 v4, v177, v185 :: v_dual_add_f32 v5, v176, v184
	v_dual_add_f32 v8, v91, v189 :: v_dual_add_f32 v9, v90, v188
	v_dual_add_f32 v11, v169, v189 :: v_dual_add_f32 v12, v168, v188
	v_dual_add_f32 v13, v173, v189 :: v_dual_add_f32 v14, v172, v188
	v_dual_add_f32 v15, v177, v189 :: v_dual_add_f32 v16, v176, v188
	v_min3_f32 v111, v5, v4, v38
	v_min3_f32 v112, v9, v8, v39
	v_min3_f32 v109, v12, v11, v42
	v_min3_f32 v110, v14, v13, v43
	v_min3_f32 v107, v16, v15, v20
	v_dual_add_f32 v4, v91, v193 :: v_dual_add_f32 v5, v90, v192
	v_dual_add_f32 v8, v169, v193 :: v_dual_add_f32 v9, v168, v192
	v_dual_add_f32 v11, v173, v193 :: v_dual_add_f32 v12, v172, v192
	v_dual_add_f32 v13, v177, v193 :: v_dual_add_f32 v14, v176, v192
	v_dual_add_f32 v15, v91, v197 :: v_dual_add_f32 v16, v90, v196
	v_min3_f32 v108, v5, v4, v34
	v_min3_f32 v105, v9, v8, v35
	v_min3_f32 v106, v12, v11, v60
	v_min3_f32 v103, v14, v13, v61
	v_min3_f32 v104, v16, v15, v21
	v_dual_add_f32 v4, v169, v197 :: v_dual_add_f32 v5, v168, v196
	v_dual_add_f32 v8, v173, v197 :: v_dual_add_f32 v9, v172, v196
	v_dual_add_f32 v11, v177, v197 :: v_dual_add_f32 v12, v176, v196
	v_dual_add_f32 v13, v91, v201 :: v_dual_add_f32 v14, v90, v200
	v_dual_add_f32 v15, v169, v201 :: v_dual_add_f32 v16, v168, v200
	v_min3_f32 v101, v5, v4, v30
	v_min3_f32 v102, v9, v8, v31
	v_min3_f32 v99, v12, v11, v62
	v_min3_f32 v100, v14, v13, v63
	v_min3_f32 v96, v16, v15, v24
	v_dual_add_f32 v4, v173, v201 :: v_dual_add_f32 v5, v172, v200
	v_dual_add_f32 v8, v177, v201 :: v_dual_add_f32 v9, v176, v200
	v_dual_add_f32 v11, v91, v205 :: v_dual_add_f32 v12, v90, v204
	v_dual_add_f32 v13, v169, v205 :: v_dual_add_f32 v14, v168, v204
	;; [unrolled: 1-line block ×3, first 2 shown]
	v_add_co_ci_u32_e32 v85, vcc_lo, 0, v85, vcc_lo
	v_add_co_u32 v158, vcc_lo, v158, 32
	v_add_co_ci_u32_e32 v159, vcc_lo, 0, v159, vcc_lo
	v_min3_f32 v97, v5, v4, v26
	v_min3_f32 v94, v9, v8, v27
	v_min3_f32 v95, v12, v11, v64
	v_min3_f32 v93, v14, v13, v65
	v_min3_f32 v92, v16, v15, v25
	v_dual_add_f32 v4, v177, v205 :: v_dual_add_f32 v5, v176, v204
	v_dual_add_f32 v8, v91, v209 :: v_dual_add_f32 v9, v90, v208
	;; [unrolled: 1-line block ×5, first 2 shown]
	v_add_co_u32 v160, vcc_lo, v160, 32
	v_add_co_ci_u32_e32 v161, vcc_lo, 0, v161, vcc_lo
	v_add_co_u32 v162, vcc_lo, v162, 32
	v_min3_f32 v90, v5, v4, v3
	v_min3_f32 v91, v9, v8, v6
	;; [unrolled: 1-line block ×5, first 2 shown]
	v_add_co_ci_u32_e32 v163, vcc_lo, 0, v163, vcc_lo
	s_add_i32 s10, s10, 8
	ds_store_2addr_stride64_b32 v133, v164, v165 offset1:4
	ds_store_2addr_stride64_b32 v155, v0, v1 offset1:4
	s_cmp_ge_i32 s10, s19
	s_waitcnt lgkmcnt(0)
	s_barrier
	buffer_gl0_inv
	s_cbranch_scc1 .LBB60_31
.LBB60_21:                              ; =>This Inner Loop Header: Depth=1
	s_and_b32 vcc_lo, exec_lo, s3
	s_cbranch_vccnz .LBB60_24
; %bb.22:                               ;   in Loop: Header=BB60_21 Depth=1
	v_add_co_u32 v0, vcc_lo, v162, v82
	v_add_co_ci_u32_e32 v1, vcc_lo, 0, v163, vcc_lo
	v_add_co_u32 v2, vcc_lo, v160, v82
	v_add_co_ci_u32_e32 v3, vcc_lo, 0, v161, vcc_lo
	flat_load_b32 v0, v[0:1] offset:32
	flat_load_b32 v1, v[2:3] offset:32
	s_waitcnt vmcnt(0) lgkmcnt(0)
	v_dual_mul_f32 v164, s15, v0 :: v_dual_mul_f32 v165, s15, v1
	s_and_b32 vcc_lo, exec_lo, s3
	s_cbranch_vccnz .LBB60_25
.LBB60_23:                              ;   in Loop: Header=BB60_21 Depth=1
	v_add_co_u32 v0, vcc_lo, v158, v82
	v_add_co_ci_u32_e32 v1, vcc_lo, 0, v159, vcc_lo
	v_add_co_u32 v2, vcc_lo, v84, v82
	v_add_co_ci_u32_e32 v3, vcc_lo, 0, v85, vcc_lo
	flat_load_b32 v0, v[0:1] offset:32
	flat_load_b32 v1, v[2:3] offset:32
	s_waitcnt vmcnt(0) lgkmcnt(0)
	v_dual_mul_f32 v166, s15, v0 :: v_dual_mul_f32 v167, s15, v1
	s_branch .LBB60_26
.LBB60_24:                              ;   in Loop: Header=BB60_21 Depth=1
	v_dual_mov_b32 v164, 0 :: v_dual_mov_b32 v165, 0
	s_and_b32 vcc_lo, exec_lo, s3
	s_cbranch_vccz .LBB60_23
.LBB60_25:                              ;   in Loop: Header=BB60_21 Depth=1
	v_dual_mov_b32 v166, 0 :: v_dual_mov_b32 v167, 0
.LBB60_26:                              ;   in Loop: Header=BB60_21 Depth=1
	ds_load_b128 v[12:15], v156
	ds_load_b128 v[8:11], v156 offset:512
	ds_load_b128 v[4:7], v156 offset:1024
	;; [unrolled: 1-line block ×3, first 2 shown]
	ds_load_b128 v[76:79], v157
	ds_load_b128 v[72:75], v157 offset:128
	ds_load_b128 v[68:71], v157 offset:256
	;; [unrolled: 1-line block ×15, first 2 shown]
	s_mov_b32 vcc_lo, s4
	ds_store_2addr_stride64_b32 v83, v164, v165 offset1:4
	ds_store_2addr_stride64_b32 v154, v166, v167 offset1:4
	s_waitcnt lgkmcnt(0)
	s_barrier
	buffer_gl0_inv
	s_cbranch_vccz .LBB60_28
; %bb.27:                               ;   in Loop: Header=BB60_21 Depth=1
	v_add_co_u32 v164, vcc_lo, v162, v82
	v_add_co_ci_u32_e32 v165, vcc_lo, 0, v163, vcc_lo
	flat_load_b32 v164, v[164:165] offset:48
	v_add_co_u32 v165, vcc_lo, v160, v82
	v_add_co_ci_u32_e32 v166, vcc_lo, 0, v161, vcc_lo
	flat_load_b32 v165, v[165:166] offset:48
	s_waitcnt vmcnt(0) lgkmcnt(0)
	v_dual_mul_f32 v164, s15, v164 :: v_dual_mul_f32 v165, s15, v165
	s_branch .LBB60_29
.LBB60_28:                              ;   in Loop: Header=BB60_21 Depth=1
	v_dual_mov_b32 v164, 0 :: v_dual_mov_b32 v165, 0
.LBB60_29:                              ;   in Loop: Header=BB60_21 Depth=1
	v_dual_add_f32 v166, v13, v77 :: v_dual_add_f32 v167, v12, v76
	v_dual_add_f32 v168, v9, v77 :: v_dual_add_f32 v169, v8, v76
	;; [unrolled: 1-line block ×3, first 2 shown]
	s_delay_alu instid0(VALU_DEP_3) | instskip(SKIP_1) | instid1(VALU_DEP_4)
	v_min3_f32 v153, v167, v166, v153
	v_dual_add_f32 v77, v1, v77 :: v_dual_add_f32 v76, v0, v76
	v_min3_f32 v150, v169, v168, v150
	s_delay_alu instid0(VALU_DEP_4)
	v_min3_f32 v152, v171, v170, v152
	v_dual_add_f32 v166, v13, v73 :: v_dual_add_f32 v167, v12, v72
	v_dual_add_f32 v168, v9, v73 :: v_dual_add_f32 v169, v8, v72
	;; [unrolled: 1-line block ×4, first 2 shown]
	v_min3_f32 v76, v76, v77, v148
	v_min3_f32 v77, v167, v166, v149
	;; [unrolled: 1-line block ×3, first 2 shown]
	v_dual_add_f32 v148, v9, v69 :: v_dual_add_f32 v149, v8, v68
	v_min3_f32 v72, v72, v73, v144
	v_dual_add_f32 v73, v13, v69 :: v_dual_add_f32 v144, v12, v68
	v_dual_add_f32 v166, v5, v69 :: v_dual_add_f32 v167, v4, v68
	;; [unrolled: 1-line block ×4, first 2 shown]
	s_delay_alu instid0(VALU_DEP_4) | instskip(SKIP_1) | instid1(VALU_DEP_4)
	v_min3_f32 v73, v144, v73, v145
	v_min3_f32 v142, v149, v148, v142
	;; [unrolled: 1-line block ×3, first 2 shown]
	v_add_f32_e32 v140, v9, v65
	v_min3_f32 v69, v169, v168, v141
	v_dual_add_f32 v141, v8, v64 :: v_dual_add_f32 v144, v5, v65
	v_add_f32_e32 v145, v4, v64
	v_dual_add_f32 v65, v1, v65 :: v_dual_add_f32 v64, v0, v64
	v_dual_add_f32 v148, v13, v61 :: v_dual_add_f32 v149, v12, v60
	v_min3_f32 v143, v167, v166, v143
	v_dual_add_f32 v166, v9, v61 :: v_dual_add_f32 v167, v8, v60
	v_min3_f32 v138, v141, v140, v138
	v_min3_f32 v64, v64, v65, v136
	;; [unrolled: 1-line block ×3, first 2 shown]
	v_dual_add_f32 v136, v5, v61 :: v_dual_add_f32 v137, v4, v60
	v_dual_add_f32 v61, v1, v61 :: v_dual_add_f32 v60, v0, v60
	v_dual_add_f32 v140, v13, v57 :: v_dual_add_f32 v141, v12, v56
	v_min3_f32 v139, v145, v144, v139
	v_dual_add_f32 v144, v9, v57 :: v_dual_add_f32 v145, v8, v56
	v_dual_add_f32 v148, v5, v57 :: v_dual_add_f32 v149, v4, v56
	v_min3_f32 v134, v137, v136, v134
	v_min3_f32 v60, v60, v61, v131
	;; [unrolled: 1-line block ×3, first 2 shown]
	v_dual_add_f32 v57, v1, v57 :: v_dual_add_f32 v56, v0, v56
	v_dual_add_f32 v131, v13, v53 :: v_dual_add_f32 v132, v12, v52
	;; [unrolled: 1-line block ×5, first 2 shown]
	v_min3_f32 v127, v56, v57, v127
	v_min3_f32 v128, v132, v131, v128
	v_dual_add_f32 v56, v9, v49 :: v_dual_add_f32 v57, v8, v48
	s_delay_alu instid0(VALU_DEP_4)
	v_min3_f32 v123, v52, v53, v123
	v_dual_add_f32 v52, v13, v49 :: v_dual_add_f32 v53, v12, v48
	v_dual_add_f32 v131, v5, v49 :: v_dual_add_f32 v132, v4, v48
	;; [unrolled: 1-line block ×3, first 2 shown]
	v_min3_f32 v125, v137, v136, v125
	v_dual_add_f32 v136, v13, v45 :: v_dual_add_f32 v137, v12, v44
	v_min3_f32 v124, v53, v52, v124
	s_delay_alu instid0(VALU_DEP_4)
	v_min3_f32 v119, v48, v49, v119
	v_dual_add_f32 v48, v9, v45 :: v_dual_add_f32 v49, v8, v44
	v_dual_add_f32 v52, v5, v45 :: v_dual_add_f32 v53, v4, v44
	;; [unrolled: 1-line block ×3, first 2 shown]
	v_min3_f32 v121, v57, v56, v121
	v_min3_f32 v122, v132, v131, v122
	v_dual_add_f32 v56, v13, v41 :: v_dual_add_f32 v57, v12, v40
	v_dual_add_f32 v131, v9, v41 :: v_dual_add_f32 v132, v8, v40
	v_min3_f32 v117, v49, v48, v117
	v_min3_f32 v115, v44, v45, v115
	v_dual_add_f32 v44, v5, v41 :: v_dual_add_f32 v45, v4, v40
	v_dual_add_f32 v41, v1, v41 :: v_dual_add_f32 v40, v0, v40
	;; [unrolled: 1-line block ×3, first 2 shown]
	v_min3_f32 v118, v53, v52, v118
	v_min3_f32 v116, v57, v56, v116
	v_dual_add_f32 v52, v9, v37 :: v_dual_add_f32 v53, v8, v36
	v_dual_add_f32 v56, v5, v37 :: v_dual_add_f32 v57, v4, v36
	v_min3_f32 v113, v45, v44, v113
	v_min3_f32 v111, v40, v41, v111
	;; [unrolled: 1-line block ×3, first 2 shown]
	v_dual_add_f32 v37, v1, v37 :: v_dual_add_f32 v36, v0, v36
	v_dual_add_f32 v40, v13, v33 :: v_dual_add_f32 v41, v12, v32
	;; [unrolled: 1-line block ×5, first 2 shown]
	v_min3_f32 v107, v36, v37, v107
	v_min3_f32 v108, v41, v40, v108
	v_dual_add_f32 v36, v9, v29 :: v_dual_add_f32 v37, v8, v28
	s_delay_alu instid0(VALU_DEP_4)
	v_min3_f32 v103, v32, v33, v103
	v_dual_add_f32 v32, v13, v29 :: v_dual_add_f32 v33, v12, v28
	v_dual_add_f32 v40, v5, v29 :: v_dual_add_f32 v41, v4, v28
	;; [unrolled: 1-line block ×3, first 2 shown]
	v_min3_f32 v105, v45, v44, v105
	v_dual_add_f32 v44, v13, v25 :: v_dual_add_f32 v45, v12, v24
	v_min3_f32 v104, v33, v32, v104
	s_delay_alu instid0(VALU_DEP_4)
	v_min3_f32 v99, v28, v29, v99
	v_dual_add_f32 v28, v9, v25 :: v_dual_add_f32 v29, v8, v24
	v_dual_add_f32 v32, v5, v25 :: v_dual_add_f32 v33, v4, v24
	;; [unrolled: 1-line block ×3, first 2 shown]
	v_min3_f32 v101, v37, v36, v101
	v_min3_f32 v102, v41, v40, v102
	v_dual_add_f32 v36, v13, v21 :: v_dual_add_f32 v37, v12, v20
	v_dual_add_f32 v40, v9, v21 :: v_dual_add_f32 v41, v8, v20
	v_min3_f32 v96, v29, v28, v96
	v_min3_f32 v25, v24, v25, v94
	v_add_f32_e32 v24, v5, v21
	v_dual_add_f32 v28, v4, v20 :: v_dual_add_f32 v21, v1, v21
	v_dual_add_f32 v20, v0, v20 :: v_dual_add_f32 v13, v13, v17
	;; [unrolled: 1-line block ×5, first 2 shown]
	s_delay_alu instid0(VALU_DEP_3) | instskip(NEXT) | instid1(VALU_DEP_3)
	v_min3_f32 v91, v12, v13, v91
	v_min3_f32 v88, v8, v9, v88
	v_dual_add_f32 v0, v0, v16 :: v_dual_add_f32 v9, v10, v78
	s_delay_alu instid0(VALU_DEP_4)
	v_min3_f32 v89, v4, v5, v89
	v_dual_add_f32 v4, v15, v79 :: v_dual_add_f32 v13, v6, v78
	v_dual_add_f32 v5, v14, v78 :: v_dual_add_f32 v8, v11, v79
	;; [unrolled: 1-line block ×3, first 2 shown]
	v_add_f32_e32 v16, v3, v79
	v_min3_f32 v147, v171, v170, v147
	v_min3_f32 v97, v33, v32, v97
	;; [unrolled: 1-line block ×6, first 2 shown]
	v_add_f32_e32 v9, v10, v74
	v_min3_f32 v4, v17, v16, v76
	v_add_f32_e32 v1, v15, v75
	v_add_f32_e32 v5, v14, v74
	v_min3_f32 v32, v13, v12, v152
	v_dual_add_f32 v8, v11, v75 :: v_dual_add_f32 v13, v6, v74
	v_dual_add_f32 v12, v7, v75 :: v_dual_add_f32 v17, v2, v74
	v_add_f32_e32 v16, v3, v75
	v_min3_f32 v94, v37, v36, v95
	v_min3_f32 v93, v41, v40, v93
	;; [unrolled: 1-line block ×3, first 2 shown]
	v_dual_add_f32 v21, v14, v70 :: v_dual_add_f32 v20, v15, v71
	v_min3_f32 v36, v9, v8, v146
	v_min3_f32 v37, v13, v12, v147
	;; [unrolled: 1-line block ×3, first 2 shown]
	v_add_f32_e32 v8, v10, v70
	v_min3_f32 v33, v5, v1, v77
	v_dual_add_f32 v1, v11, v71 :: v_dual_add_f32 v12, v6, v70
	v_dual_add_f32 v9, v7, v71 :: v_dual_add_f32 v16, v2, v70
	v_add_f32_e32 v13, v3, v71
	v_min3_f32 v100, v45, v44, v100
	v_dual_add_f32 v17, v15, v67 :: v_dual_add_f32 v24, v10, v66
	s_delay_alu instid0(VALU_DEP_4)
	v_min3_f32 v44, v12, v9, v143
	v_add_f32_e32 v9, v6, v66
	v_min3_f32 v5, v21, v20, v73
	v_dual_add_f32 v20, v14, v66 :: v_dual_add_f32 v21, v11, v67
	v_min3_f32 v45, v16, v13, v68
	v_dual_add_f32 v12, v3, v67 :: v_dual_add_f32 v13, v2, v66
	v_min3_f32 v135, v167, v166, v135
	v_min3_f32 v109, v53, v52, v109
	;; [unrolled: 1-line block ×6, first 2 shown]
	v_add_f32_e32 v1, v7, v67
	v_dual_add_f32 v16, v15, v63 :: v_dual_add_f32 v17, v14, v62
	v_dual_add_f32 v20, v11, v63 :: v_dual_add_f32 v57, v6, v62
	v_min3_f32 v52, v13, v12, v64
	v_add_f32_e32 v12, v2, v62
	v_min3_f32 v8, v24, v21, v138
	v_dual_add_f32 v21, v10, v62 :: v_dual_add_f32 v24, v7, v63
	v_min3_f32 v129, v145, v144, v129
	v_min3_f32 v130, v149, v148, v130
	;; [unrolled: 1-line block ×3, first 2 shown]
	s_delay_alu instid0(VALU_DEP_4)
	v_min3_f32 v56, v21, v20, v135
	v_dual_add_f32 v13, v15, v59 :: v_dual_add_f32 v16, v14, v58
	v_min3_f32 v49, v9, v1, v139
	v_min3_f32 v9, v57, v24, v134
	v_dual_add_f32 v24, v6, v58 :: v_dual_add_f32 v1, v3, v63
	v_dual_add_f32 v20, v10, v58 :: v_dual_add_f32 v17, v11, v59
	;; [unrolled: 1-line block ×4, first 2 shown]
	v_min3_f32 v126, v141, v140, v126
	v_min3_f32 v57, v12, v1, v60
	;; [unrolled: 1-line block ×5, first 2 shown]
	v_add_f32_e32 v1, v15, v55
	v_dual_add_f32 v13, v14, v54 :: v_dual_add_f32 v16, v11, v55
	v_dual_add_f32 v21, v6, v54 :: v_dual_add_f32 v24, v3, v55
	v_add_f32_e32 v62, v2, v54
	v_min3_f32 v59, v20, v17, v129
	v_dual_add_f32 v17, v10, v54 :: v_dual_add_f32 v20, v7, v55
	v_add_f32_e32 v63, v15, v51
	v_min3_f32 v120, v137, v136, v120
	v_min3_f32 v62, v62, v24, v123
	s_delay_alu instid0(VALU_DEP_4)
	v_min3_f32 v55, v17, v16, v125
	v_min3_f32 v61, v21, v20, v126
	v_add_f32_e32 v20, v6, v50
	v_add_f32_e32 v16, v10, v50
	v_min3_f32 v54, v13, v1, v128
	v_min3_f32 v13, v64, v63, v124
	v_dual_add_f32 v1, v11, v51 :: v_dual_add_f32 v24, v2, v50
	v_add_f32_e32 v17, v7, v51
	v_add_f32_e32 v21, v3, v51
	v_dual_add_f32 v64, v15, v47 :: v_dual_add_f32 v65, v14, v46
	v_dual_add_f32 v66, v11, v47 :: v_dual_add_f32 v67, v10, v46
	v_min3_f32 v114, v132, v131, v114
	v_min3_f32 v50, v16, v1, v121
	;; [unrolled: 1-line block ×6, first 2 shown]
	v_add_f32_e32 v1, v7, v47
	v_dual_add_f32 v17, v6, v46 :: v_dual_add_f32 v20, v3, v47
	v_dual_add_f32 v21, v2, v46 :: v_dual_add_f32 v24, v15, v43
	;; [unrolled: 1-line block ×4, first 2 shown]
	v_add_f32_e32 v69, v6, v42
	v_min3_f32 v46, v17, v1, v118
	v_min3_f32 v47, v21, v20, v115
	;; [unrolled: 1-line block ×4, first 2 shown]
	v_dual_add_f32 v1, v3, v43 :: v_dual_add_f32 v70, v2, v38
	v_dual_add_f32 v20, v2, v42 :: v_dual_add_f32 v21, v15, v39
	v_add_f32_e32 v24, v14, v38
	v_add_f32_e32 v42, v11, v39
	v_min3_f32 v17, v69, v68, v113
	v_add_f32_e32 v43, v10, v38
	v_dual_add_f32 v67, v7, v39 :: v_dual_add_f32 v68, v6, v38
	v_add_f32_e32 v69, v3, v39
	v_min3_f32 v38, v20, v1, v111
	v_min3_f32 v39, v24, v21, v112
	v_dual_add_f32 v1, v15, v35 :: v_dual_add_f32 v74, v14, v26
	s_delay_alu instid0(VALU_DEP_4)
	v_min3_f32 v20, v70, v69, v107
	v_dual_add_f32 v21, v14, v34 :: v_dual_add_f32 v24, v11, v35
	v_min3_f32 v42, v43, v42, v109
	v_min3_f32 v43, v68, v67, v110
	v_dual_add_f32 v68, v7, v35 :: v_dual_add_f32 v67, v10, v34
	v_dual_add_f32 v70, v3, v35 :: v_dual_add_f32 v69, v6, v34
	v_dual_add_f32 v72, v15, v31 :: v_dual_add_f32 v71, v2, v34
	v_add_f32_e32 v73, v14, v30
	v_min3_f32 v34, v21, v1, v108
	v_min3_f32 v35, v67, v24, v105
	;; [unrolled: 1-line block ×5, first 2 shown]
	v_dual_add_f32 v1, v11, v31 :: v_dual_add_f32 v76, v10, v26
	v_dual_add_f32 v24, v10, v30 :: v_dual_add_f32 v69, v7, v31
	;; [unrolled: 1-line block ×5, first 2 shown]
	s_delay_alu instid0(VALU_DEP_4) | instskip(NEXT) | instid1(VALU_DEP_4)
	v_min3_f32 v30, v24, v1, v101
	v_min3_f32 v31, v70, v69, v102
	v_add_f32_e32 v1, v7, v27
	s_delay_alu instid0(VALU_DEP_4)
	v_min3_f32 v24, v76, v75, v96
	v_add_f32_e32 v76, v10, v22
	v_min3_f32 v70, v74, v73, v100
	v_dual_add_f32 v73, v15, v23 :: v_dual_add_f32 v10, v10, v18
	v_add_f32_e32 v74, v14, v22
	v_min3_f32 v69, v72, v71, v99
	v_add_f32_e32 v71, v6, v26
	v_dual_add_f32 v27, v3, v27 :: v_dual_add_f32 v14, v14, v18
	v_dual_add_f32 v72, v2, v26 :: v_dual_add_f32 v75, v11, v23
	v_dual_add_f32 v77, v7, v23 :: v_dual_add_f32 v22, v2, v22
	v_add_f32_e32 v2, v2, v18
	v_min3_f32 v26, v71, v1, v97
	v_min3_f32 v71, v74, v73, v94
	v_add_f32_e32 v1, v3, v23
	v_add_f32_e32 v15, v15, v19
	;; [unrolled: 1-line block ×6, first 2 shown]
	v_min3_f32 v27, v72, v27, v25
	v_min3_f32 v72, v76, v75, v93
	;; [unrolled: 1-line block ×8, first 2 shown]
	s_and_b32 vcc_lo, exec_lo, s3
	s_cbranch_vccz .LBB60_19
; %bb.30:                               ;   in Loop: Header=BB60_21 Depth=1
	v_dual_mov_b32 v0, 0 :: v_dual_mov_b32 v1, 0
	s_branch .LBB60_20
.LBB60_31:
	ds_load_b128 v[16:19], v86 offset:2048
	ds_load_b128 v[76:79], v87 offset:6144
	s_clause 0x2
	s_load_b64 s[10:11], s[0:1], 0x78
	s_load_b32 s3, s[0:1], 0x70
	s_load_b32 s0, s[0:1], 0x58
	v_add_nc_u32_e32 v133, s14, v80
	s_waitcnt lgkmcnt(0)
	v_dual_add_f32 v5, v16, v76 :: v_dual_add_nc_u32 v84, s5, v81
	v_add_f32_e32 v4, v17, v77
	s_delay_alu instid0(VALU_DEP_3)
	v_mad_i64_i32 v[0:1], null, v133, s3, 0
	v_mad_i64_i32 v[2:3], null, v133, s0, 0
	s_mul_i32 s1, s12, s11
	s_mul_hi_u32 s5, s12, s10
	s_mul_i32 s4, s12, s10
	s_add_i32 s5, s5, s1
	s_delay_alu instid0(VALU_DEP_2)
	v_lshlrev_b64 v[0:1], 2, v[0:1]
	v_dual_add_f32 v7, v18, v78 :: v_dual_add_nc_u32 v82, 32, v84
	v_add_f32_e32 v6, v19, v79
	v_min3_f32 v4, v5, v4, v153
	s_lshl_b64 s[4:5], s[4:5], 2
	v_lshlrev_b64 v[2:3], 2, v[2:3]
	s_add_u32 s1, s6, s4
	v_ashrrev_i32_e32 v85, 31, v84
	s_addc_u32 s4, s7, s5
	v_min3_f32 v4, v7, v6, v4
	v_add_co_u32 v151, vcc_lo, s1, v0
	v_add_co_ci_u32_e32 v153, vcc_lo, s4, v1, vcc_lo
	v_add_co_u32 v154, vcc_lo, s8, v2
	v_lshlrev_b64 v[80:81], 2, v[84:85]
	v_max_f32_e32 v85, v4, v4
	v_ashrrev_i32_e32 v83, 31, v82
	v_add_co_ci_u32_e32 v155, vcc_lo, s9, v3, vcc_lo
	s_mov_b32 vcc_lo, s2
	s_cbranch_vccz .LBB60_33
; %bb.32:
	v_add_co_u32 v0, vcc_lo, v151, v80
	v_min_f32_e32 v2, 0, v85
	v_add_co_ci_u32_e32 v1, vcc_lo, v153, v81, vcc_lo
	s_mov_b32 s5, 0
	global_store_b32 v[0:1], v2, off
	s_branch .LBB60_34
.LBB60_33:
	s_mov_b32 s5, -1
.LBB60_34:
	ds_load_b128 v[12:15], v86 offset:2560
	ds_load_b128 v[8:11], v86 offset:3072
	ds_load_b128 v[0:3], v86 offset:3584
	ds_load_b128 v[72:75], v87 offset:6272
	ds_load_b128 v[68:71], v87 offset:6400
	ds_load_b128 v[64:67], v87 offset:6528
	ds_load_b128 v[60:63], v87 offset:6656
	ds_load_b128 v[56:59], v87 offset:6784
	ds_load_b128 v[52:55], v87 offset:6912
	ds_load_b128 v[48:51], v87 offset:7040
	ds_load_b128 v[44:47], v87 offset:7168
	ds_load_b128 v[40:43], v87 offset:7296
	ds_load_b128 v[36:39], v87 offset:7424
	ds_load_b128 v[32:35], v87 offset:7552
	ds_load_b128 v[28:31], v87 offset:7680
	ds_load_b128 v[24:27], v87 offset:7808
	ds_load_b128 v[20:23], v87 offset:7936
	ds_load_b128 v[4:7], v87 offset:8064
	v_lshlrev_b64 v[82:83], 2, v[82:83]
	s_and_not1_b32 vcc_lo, exec_lo, s5
	s_cbranch_vccnz .LBB60_36
; %bb.35:
	v_add_co_u32 v86, vcc_lo, v154, v80
	v_add_co_ci_u32_e32 v87, vcc_lo, v155, v81, vcc_lo
	flat_load_b32 v86, v[86:87]
	s_waitcnt vmcnt(0) lgkmcnt(0)
	v_mul_f32_e32 v156, s13, v86
	v_add_co_u32 v86, vcc_lo, v151, v80
	v_add_co_ci_u32_e32 v87, vcc_lo, v153, v81, vcc_lo
	s_delay_alu instid0(VALU_DEP_3)
	v_min_f32_e32 v85, v156, v85
	v_add_co_u32 v156, vcc_lo, v154, v82
	v_add_co_ci_u32_e32 v157, vcc_lo, v155, v83, vcc_lo
	global_store_b32 v[86:87], v85, off
	flat_load_b32 v85, v[156:157]
	s_waitcnt vmcnt(0) lgkmcnt(0)
	v_mul_f32_e32 v85, s13, v85
	s_branch .LBB60_37
.LBB60_36:
	v_mov_b32_e32 v85, s5
.LBB60_37:
	s_waitcnt lgkmcnt(16)
	v_dual_add_f32 v86, v9, v77 :: v_dual_add_f32 v87, v8, v76
	v_add_f32_e32 v158, v15, v79
	v_add_f32_e32 v160, v10, v78
	v_dual_add_f32 v156, v13, v77 :: v_dual_add_f32 v157, v12, v76
	s_delay_alu instid0(VALU_DEP_4) | instskip(SKIP_2) | instid1(VALU_DEP_4)
	v_min3_f32 v87, v87, v86, v152
	v_dual_add_f32 v152, v14, v78 :: v_dual_add_f32 v159, v11, v79
	v_add_nc_u32_e32 v86, 64, v84
	v_min3_f32 v150, v157, v156, v150
	v_add_nc_u32_e32 v84, 0x60, v84
	s_delay_alu instid0(VALU_DEP_4) | instskip(SKIP_3) | instid1(VALU_DEP_4)
	v_min_f32_e32 v152, v152, v158
	v_min3_f32 v158, v160, v159, v87
	v_ashrrev_i32_e32 v87, 31, v86
	v_add_co_u32 v156, vcc_lo, v151, v82
	v_min3_f32 v152, v85, v152, v150
	v_add_co_ci_u32_e32 v157, vcc_lo, v153, v83, vcc_lo
	s_delay_alu instid0(VALU_DEP_4)
	v_lshlrev_b64 v[86:87], 2, v[86:87]
	v_ashrrev_i32_e32 v85, 31, v84
	v_max_f32_e32 v150, v158, v158
	s_mov_b32 vcc_lo, s2
	global_store_b32 v[156:157], v152, off
	s_cbranch_vccz .LBB60_40
; %bb.38:
	v_add_co_u32 v156, vcc_lo, v151, v86
	v_min_f32_e32 v152, 0, v150
	v_add_co_ci_u32_e32 v157, vcc_lo, v153, v87, vcc_lo
	s_mov_b32 s5, 0
	global_store_b32 v[156:157], v152, off
	v_lshlrev_b64 v[84:85], 2, v[84:85]
	s_cbranch_execz .LBB60_41
; %bb.39:
	v_mov_b32_e32 v150, s5
	s_branch .LBB60_42
.LBB60_40:
	s_mov_b32 s5, -1
	v_lshlrev_b64 v[84:85], 2, v[84:85]
.LBB60_41:
	v_add_co_u32 v156, vcc_lo, v154, v86
	v_add_co_ci_u32_e32 v157, vcc_lo, v155, v87, vcc_lo
	flat_load_b32 v152, v[156:157]
	v_add_co_u32 v156, vcc_lo, v151, v86
	v_add_co_ci_u32_e32 v157, vcc_lo, v153, v87, vcc_lo
	v_add_co_u32 v154, vcc_lo, v154, v84
	v_add_co_ci_u32_e32 v155, vcc_lo, v155, v85, vcc_lo
	s_waitcnt vmcnt(0) lgkmcnt(0)
	v_mul_f32_e32 v152, s13, v152
	s_delay_alu instid0(VALU_DEP_1)
	v_min_f32_e32 v150, v152, v150
	global_store_b32 v[156:157], v150, off
	flat_load_b32 v150, v[154:155]
	s_waitcnt vmcnt(0) lgkmcnt(0)
	v_mul_f32_e32 v150, s13, v150
.LBB60_42:
	s_waitcnt lgkmcnt(14)
	v_dual_add_f32 v152, v17, v73 :: v_dual_add_f32 v79, v3, v79
	v_dual_add_f32 v154, v16, v72 :: v_dual_add_f32 v155, v18, v74
	v_dual_add_f32 v77, v1, v77 :: v_dual_add_f32 v76, v0, v76
	v_add_f32_e32 v78, v2, v78
	s_delay_alu instid0(VALU_DEP_3) | instskip(SKIP_4) | instid1(VALU_DEP_4)
	v_min3_f32 v149, v154, v152, v149
	v_add_nc_u32_e32 v152, 8, v133
	v_add_f32_e32 v154, v19, v75
	v_min3_f32 v148, v76, v77, v148
	v_min_f32_e32 v156, v78, v79
	v_mad_i64_i32 v[76:77], null, v152, s3, 0
	v_mad_i64_i32 v[78:79], null, v152, s0, 0
	v_min3_f32 v152, v155, v154, v149
	v_add_co_u32 v149, vcc_lo, v151, v84
	v_min3_f32 v154, v150, v156, v148
	v_lshlrev_b64 v[76:77], 2, v[76:77]
	v_add_co_ci_u32_e32 v150, vcc_lo, v153, v85, vcc_lo
	v_lshlrev_b64 v[78:79], 2, v[78:79]
	v_max_f32_e32 v148, v152, v152
	s_delay_alu instid0(VALU_DEP_4) | instskip(SKIP_1) | instid1(VALU_DEP_4)
	v_add_co_u32 v76, vcc_lo, s1, v76
	v_add_co_ci_u32_e32 v77, vcc_lo, s4, v77, vcc_lo
	v_add_co_u32 v78, vcc_lo, s8, v78
	v_add_co_ci_u32_e32 v79, vcc_lo, s9, v79, vcc_lo
	s_mov_b32 vcc_lo, s2
	global_store_b32 v[149:150], v154, off
	s_cbranch_vccz .LBB60_45
; %bb.43:
	v_add_co_u32 v149, vcc_lo, v76, v80
	v_min_f32_e32 v151, 0, v148
	v_add_co_ci_u32_e32 v150, vcc_lo, v77, v81, vcc_lo
	s_mov_b32 s5, 0
	global_store_b32 v[149:150], v151, off
	s_cbranch_execz .LBB60_46
; %bb.44:
	v_mov_b32_e32 v148, s5
	s_branch .LBB60_47
.LBB60_45:
	s_mov_b32 s5, -1
.LBB60_46:
	v_add_co_u32 v149, vcc_lo, v78, v80
	v_add_co_ci_u32_e32 v150, vcc_lo, v79, v81, vcc_lo
	flat_load_b32 v149, v[149:150]
	s_waitcnt vmcnt(0) lgkmcnt(0)
	v_mul_f32_e32 v151, s13, v149
	v_add_co_u32 v149, vcc_lo, v76, v80
	v_add_co_ci_u32_e32 v150, vcc_lo, v77, v81, vcc_lo
	s_delay_alu instid0(VALU_DEP_3)
	v_min_f32_e32 v148, v151, v148
	v_add_co_u32 v151, vcc_lo, v78, v82
	v_add_co_ci_u32_e32 v152, vcc_lo, v79, v83, vcc_lo
	global_store_b32 v[149:150], v148, off
	flat_load_b32 v148, v[151:152]
	s_waitcnt vmcnt(0) lgkmcnt(0)
	v_mul_f32_e32 v148, s13, v148
.LBB60_47:
	v_dual_add_f32 v149, v13, v73 :: v_dual_add_f32 v150, v12, v72
	v_dual_add_f32 v151, v9, v73 :: v_dual_add_f32 v152, v8, v72
	;; [unrolled: 1-line block ×3, first 2 shown]
	s_delay_alu instid0(VALU_DEP_3) | instskip(SKIP_1) | instid1(VALU_DEP_4)
	v_min3_f32 v146, v150, v149, v146
	v_dual_add_f32 v149, v11, v75 :: v_dual_add_f32 v150, v10, v74
	v_min3_f32 v147, v152, v151, v147
	s_delay_alu instid0(VALU_DEP_4) | instskip(NEXT) | instid1(VALU_DEP_2)
	v_min_f32_e32 v151, v154, v153
	v_min3_f32 v149, v150, v149, v147
	v_add_co_u32 v147, vcc_lo, v76, v82
	s_delay_alu instid0(VALU_DEP_3) | instskip(SKIP_1) | instid1(VALU_DEP_4)
	v_min3_f32 v150, v148, v151, v146
	v_add_co_ci_u32_e32 v148, vcc_lo, v77, v83, vcc_lo
	v_max_f32_e32 v146, v149, v149
	s_mov_b32 vcc_lo, s2
	global_store_b32 v[147:148], v150, off
	s_cbranch_vccz .LBB60_50
; %bb.48:
	v_add_co_u32 v147, vcc_lo, v76, v86
	v_min_f32_e32 v149, 0, v146
	v_add_co_ci_u32_e32 v148, vcc_lo, v77, v87, vcc_lo
	s_mov_b32 s5, 0
	global_store_b32 v[147:148], v149, off
	s_cbranch_execz .LBB60_51
; %bb.49:
	v_mov_b32_e32 v78, s5
	s_branch .LBB60_52
.LBB60_50:
	s_mov_b32 s5, -1
.LBB60_51:
	v_add_co_u32 v147, vcc_lo, v78, v86
	v_add_co_ci_u32_e32 v148, vcc_lo, v79, v87, vcc_lo
	flat_load_b32 v147, v[147:148]
	s_waitcnt vmcnt(0) lgkmcnt(0)
	v_mul_f32_e32 v149, s13, v147
	v_add_co_u32 v147, vcc_lo, v76, v86
	v_add_co_ci_u32_e32 v148, vcc_lo, v77, v87, vcc_lo
	v_add_co_u32 v78, vcc_lo, v78, v84
	s_delay_alu instid0(VALU_DEP_4)
	v_min_f32_e32 v146, v149, v146
	v_add_co_ci_u32_e32 v79, vcc_lo, v79, v85, vcc_lo
	global_store_b32 v[147:148], v146, off
	flat_load_b32 v78, v[78:79]
	s_waitcnt vmcnt(0) lgkmcnt(0)
	v_mul_f32_e32 v78, s13, v78
.LBB60_52:
	s_waitcnt lgkmcnt(13)
	v_dual_add_f32 v79, v17, v69 :: v_dual_add_f32 v146, v16, v68
	v_dual_add_f32 v73, v1, v73 :: v_dual_add_f32 v72, v0, v72
	;; [unrolled: 1-line block ×3, first 2 shown]
	s_delay_alu instid0(VALU_DEP_3) | instskip(SKIP_1) | instid1(VALU_DEP_4)
	v_min3_f32 v79, v146, v79, v145
	v_add_nc_u32_e32 v145, 16, v133
	v_min3_f32 v144, v72, v73, v144
	v_dual_add_f32 v146, v19, v71 :: v_dual_add_f32 v147, v18, v70
	v_min_f32_e32 v148, v74, v75
	s_delay_alu instid0(VALU_DEP_4) | instskip(SKIP_1) | instid1(VALU_DEP_3)
	v_mad_i64_i32 v[72:73], null, v145, s3, 0
	v_mad_i64_i32 v[74:75], null, v145, s0, 0
	v_min3_f32 v144, v78, v148, v144
	v_add_co_u32 v78, vcc_lo, v76, v84
	v_min3_f32 v145, v147, v146, v79
	v_lshlrev_b64 v[72:73], 2, v[72:73]
	v_add_co_ci_u32_e32 v79, vcc_lo, v77, v85, vcc_lo
	v_lshlrev_b64 v[74:75], 2, v[74:75]
	s_delay_alu instid0(VALU_DEP_4) | instskip(NEXT) | instid1(VALU_DEP_4)
	v_max_f32_e32 v76, v145, v145
	v_add_co_u32 v72, vcc_lo, s1, v72
	v_add_co_ci_u32_e32 v73, vcc_lo, s4, v73, vcc_lo
	s_delay_alu instid0(VALU_DEP_4)
	v_add_co_u32 v74, vcc_lo, s8, v74
	v_add_co_ci_u32_e32 v75, vcc_lo, s9, v75, vcc_lo
	s_mov_b32 vcc_lo, s2
	global_store_b32 v[78:79], v144, off
	s_cbranch_vccz .LBB60_55
; %bb.53:
	v_add_co_u32 v77, vcc_lo, v72, v80
	v_min_f32_e32 v79, 0, v76
	v_add_co_ci_u32_e32 v78, vcc_lo, v73, v81, vcc_lo
	s_mov_b32 s5, 0
	global_store_b32 v[77:78], v79, off
	s_cbranch_execz .LBB60_56
; %bb.54:
	v_mov_b32_e32 v76, s5
	s_branch .LBB60_57
.LBB60_55:
	s_mov_b32 s5, -1
.LBB60_56:
	v_add_co_u32 v77, vcc_lo, v74, v80
	v_add_co_ci_u32_e32 v78, vcc_lo, v75, v81, vcc_lo
	flat_load_b32 v77, v[77:78]
	s_waitcnt vmcnt(0) lgkmcnt(0)
	v_mul_f32_e32 v79, s13, v77
	v_add_co_u32 v77, vcc_lo, v72, v80
	v_add_co_ci_u32_e32 v78, vcc_lo, v73, v81, vcc_lo
	v_add_co_u32 v144, vcc_lo, v74, v82
	s_delay_alu instid0(VALU_DEP_4)
	v_min_f32_e32 v76, v79, v76
	v_add_co_ci_u32_e32 v145, vcc_lo, v75, v83, vcc_lo
	global_store_b32 v[77:78], v76, off
	flat_load_b32 v76, v[144:145]
	s_waitcnt vmcnt(0) lgkmcnt(0)
	v_mul_f32_e32 v76, s13, v76
.LBB60_57:
	v_dual_add_f32 v77, v13, v69 :: v_dual_add_f32 v78, v12, v68
	v_dual_add_f32 v79, v9, v69 :: v_dual_add_f32 v144, v8, v68
	;; [unrolled: 1-line block ×3, first 2 shown]
	s_delay_alu instid0(VALU_DEP_3) | instskip(SKIP_1) | instid1(VALU_DEP_4)
	v_min3_f32 v77, v78, v77, v142
	v_add_f32_e32 v142, v10, v70
	v_min3_f32 v78, v144, v79, v143
	v_add_f32_e32 v79, v11, v71
	s_delay_alu instid0(VALU_DEP_1) | instskip(SKIP_1) | instid1(VALU_DEP_1)
	v_min3_f32 v79, v142, v79, v78
	v_min_f32_e32 v143, v146, v145
	v_min3_f32 v142, v76, v143, v77
	s_delay_alu instid0(VALU_DEP_3)
	v_max_f32_e32 v76, v79, v79
	v_add_co_u32 v77, vcc_lo, v72, v82
	v_add_co_ci_u32_e32 v78, vcc_lo, v73, v83, vcc_lo
	s_mov_b32 vcc_lo, s2
	global_store_b32 v[77:78], v142, off
	s_cbranch_vccz .LBB60_60
; %bb.58:
	v_add_co_u32 v77, vcc_lo, v72, v86
	v_min_f32_e32 v79, 0, v76
	v_add_co_ci_u32_e32 v78, vcc_lo, v73, v87, vcc_lo
	s_mov_b32 s5, 0
	global_store_b32 v[77:78], v79, off
	s_cbranch_execz .LBB60_61
; %bb.59:
	v_mov_b32_e32 v74, s5
	s_branch .LBB60_62
.LBB60_60:
	s_mov_b32 s5, -1
.LBB60_61:
	v_add_co_u32 v77, vcc_lo, v74, v86
	v_add_co_ci_u32_e32 v78, vcc_lo, v75, v87, vcc_lo
	flat_load_b32 v77, v[77:78]
	s_waitcnt vmcnt(0) lgkmcnt(0)
	v_mul_f32_e32 v79, s13, v77
	v_add_co_u32 v77, vcc_lo, v72, v86
	v_add_co_ci_u32_e32 v78, vcc_lo, v73, v87, vcc_lo
	v_add_co_u32 v74, vcc_lo, v74, v84
	s_delay_alu instid0(VALU_DEP_4)
	v_min_f32_e32 v76, v79, v76
	v_add_co_ci_u32_e32 v75, vcc_lo, v75, v85, vcc_lo
	global_store_b32 v[77:78], v76, off
	flat_load_b32 v74, v[74:75]
	s_waitcnt vmcnt(0) lgkmcnt(0)
	v_mul_f32_e32 v74, s13, v74
.LBB60_62:
	s_waitcnt lgkmcnt(12)
	v_dual_add_f32 v75, v17, v65 :: v_dual_add_f32 v76, v16, v64
	v_dual_add_f32 v69, v1, v69 :: v_dual_add_f32 v68, v0, v68
	;; [unrolled: 1-line block ×3, first 2 shown]
	s_delay_alu instid0(VALU_DEP_3) | instskip(SKIP_1) | instid1(VALU_DEP_4)
	v_min3_f32 v75, v76, v75, v141
	v_add_nc_u32_e32 v76, 24, v133
	v_min3_f32 v77, v68, v69, v140
	v_dual_add_f32 v78, v19, v67 :: v_dual_add_f32 v79, v18, v66
	v_min_f32_e32 v140, v70, v71
	s_delay_alu instid0(VALU_DEP_4) | instskip(SKIP_1) | instid1(VALU_DEP_3)
	v_mad_i64_i32 v[68:69], null, v76, s3, 0
	v_mad_i64_i32 v[70:71], null, v76, s0, 0
	v_min3_f32 v77, v74, v140, v77
	v_add_co_u32 v74, vcc_lo, v72, v84
	v_min3_f32 v76, v79, v78, v75
	v_lshlrev_b64 v[68:69], 2, v[68:69]
	v_add_co_ci_u32_e32 v75, vcc_lo, v73, v85, vcc_lo
	v_lshlrev_b64 v[70:71], 2, v[70:71]
	s_delay_alu instid0(VALU_DEP_4) | instskip(NEXT) | instid1(VALU_DEP_4)
	v_max_f32_e32 v72, v76, v76
	v_add_co_u32 v68, vcc_lo, s1, v68
	v_add_co_ci_u32_e32 v69, vcc_lo, s4, v69, vcc_lo
	s_delay_alu instid0(VALU_DEP_4)
	v_add_co_u32 v70, vcc_lo, s8, v70
	v_add_co_ci_u32_e32 v71, vcc_lo, s9, v71, vcc_lo
	s_mov_b32 vcc_lo, s2
	global_store_b32 v[74:75], v77, off
	s_cbranch_vccz .LBB60_65
; %bb.63:
	v_add_co_u32 v73, vcc_lo, v68, v80
	v_min_f32_e32 v75, 0, v72
	v_add_co_ci_u32_e32 v74, vcc_lo, v69, v81, vcc_lo
	s_mov_b32 s5, 0
	global_store_b32 v[73:74], v75, off
	s_cbranch_execz .LBB60_66
; %bb.64:
	v_mov_b32_e32 v72, s5
	s_branch .LBB60_67
.LBB60_65:
	s_mov_b32 s5, -1
.LBB60_66:
	v_add_co_u32 v73, vcc_lo, v70, v80
	v_add_co_ci_u32_e32 v74, vcc_lo, v71, v81, vcc_lo
	flat_load_b32 v73, v[73:74]
	s_waitcnt vmcnt(0) lgkmcnt(0)
	v_mul_f32_e32 v75, s13, v73
	v_add_co_u32 v73, vcc_lo, v68, v80
	v_add_co_ci_u32_e32 v74, vcc_lo, v69, v81, vcc_lo
	s_delay_alu instid0(VALU_DEP_3)
	v_min_f32_e32 v72, v75, v72
	v_add_co_u32 v75, vcc_lo, v70, v82
	v_add_co_ci_u32_e32 v76, vcc_lo, v71, v83, vcc_lo
	global_store_b32 v[73:74], v72, off
	flat_load_b32 v72, v[75:76]
	s_waitcnt vmcnt(0) lgkmcnt(0)
	v_mul_f32_e32 v72, s13, v72
.LBB60_67:
	v_dual_add_f32 v73, v13, v65 :: v_dual_add_f32 v74, v12, v64
	v_dual_add_f32 v75, v9, v65 :: v_dual_add_f32 v76, v8, v64
	;; [unrolled: 1-line block ×3, first 2 shown]
	s_delay_alu instid0(VALU_DEP_3) | instskip(NEXT) | instid1(VALU_DEP_3)
	v_min3_f32 v73, v74, v73, v138
	v_min3_f32 v74, v76, v75, v139
	v_dual_add_f32 v75, v11, v67 :: v_dual_add_f32 v76, v10, v66
	s_delay_alu instid0(VALU_DEP_1) | instskip(SKIP_1) | instid1(VALU_DEP_1)
	v_min3_f32 v75, v76, v75, v74
	v_min_f32_e32 v77, v78, v77
	v_min3_f32 v76, v72, v77, v73
	s_delay_alu instid0(VALU_DEP_3)
	v_max_f32_e32 v72, v75, v75
	v_add_co_u32 v73, vcc_lo, v68, v82
	v_add_co_ci_u32_e32 v74, vcc_lo, v69, v83, vcc_lo
	s_mov_b32 vcc_lo, s2
	global_store_b32 v[73:74], v76, off
	s_cbranch_vccz .LBB60_70
; %bb.68:
	v_add_co_u32 v73, vcc_lo, v68, v86
	v_min_f32_e32 v75, 0, v72
	v_add_co_ci_u32_e32 v74, vcc_lo, v69, v87, vcc_lo
	s_mov_b32 s5, 0
	global_store_b32 v[73:74], v75, off
	s_cbranch_execz .LBB60_71
; %bb.69:
	v_mov_b32_e32 v70, s5
	s_branch .LBB60_72
.LBB60_70:
	s_mov_b32 s5, -1
.LBB60_71:
	v_add_co_u32 v73, vcc_lo, v70, v86
	v_add_co_ci_u32_e32 v74, vcc_lo, v71, v87, vcc_lo
	flat_load_b32 v73, v[73:74]
	s_waitcnt vmcnt(0) lgkmcnt(0)
	v_mul_f32_e32 v75, s13, v73
	v_add_co_u32 v73, vcc_lo, v68, v86
	v_add_co_ci_u32_e32 v74, vcc_lo, v69, v87, vcc_lo
	v_add_co_u32 v70, vcc_lo, v70, v84
	s_delay_alu instid0(VALU_DEP_4)
	v_min_f32_e32 v72, v75, v72
	v_add_co_ci_u32_e32 v71, vcc_lo, v71, v85, vcc_lo
	global_store_b32 v[73:74], v72, off
	flat_load_b32 v70, v[70:71]
	s_waitcnt vmcnt(0) lgkmcnt(0)
	v_mul_f32_e32 v70, s13, v70
.LBB60_72:
	s_waitcnt lgkmcnt(11)
	v_dual_add_f32 v71, v17, v61 :: v_dual_add_f32 v72, v16, v60
	v_dual_add_f32 v65, v1, v65 :: v_dual_add_f32 v64, v0, v64
	;; [unrolled: 1-line block ×3, first 2 shown]
	s_delay_alu instid0(VALU_DEP_3) | instskip(SKIP_1) | instid1(VALU_DEP_4)
	v_min3_f32 v71, v72, v71, v137
	v_add_nc_u32_e32 v72, 32, v133
	v_min3_f32 v73, v64, v65, v136
	v_dual_add_f32 v74, v19, v63 :: v_dual_add_f32 v75, v18, v62
	v_min_f32_e32 v76, v66, v67
	s_delay_alu instid0(VALU_DEP_4) | instskip(SKIP_1) | instid1(VALU_DEP_3)
	v_mad_i64_i32 v[64:65], null, v72, s3, 0
	v_mad_i64_i32 v[66:67], null, v72, s0, 0
	v_min3_f32 v73, v70, v76, v73
	v_add_co_u32 v70, vcc_lo, v68, v84
	v_min3_f32 v72, v75, v74, v71
	v_lshlrev_b64 v[64:65], 2, v[64:65]
	v_add_co_ci_u32_e32 v71, vcc_lo, v69, v85, vcc_lo
	v_lshlrev_b64 v[66:67], 2, v[66:67]
	s_delay_alu instid0(VALU_DEP_4) | instskip(NEXT) | instid1(VALU_DEP_4)
	v_max_f32_e32 v68, v72, v72
	v_add_co_u32 v64, vcc_lo, s1, v64
	v_add_co_ci_u32_e32 v65, vcc_lo, s4, v65, vcc_lo
	s_delay_alu instid0(VALU_DEP_4)
	v_add_co_u32 v66, vcc_lo, s8, v66
	v_add_co_ci_u32_e32 v67, vcc_lo, s9, v67, vcc_lo
	s_mov_b32 vcc_lo, s2
	global_store_b32 v[70:71], v73, off
	s_cbranch_vccz .LBB60_75
; %bb.73:
	v_add_co_u32 v69, vcc_lo, v64, v80
	v_min_f32_e32 v71, 0, v68
	v_add_co_ci_u32_e32 v70, vcc_lo, v65, v81, vcc_lo
	s_mov_b32 s5, 0
	global_store_b32 v[69:70], v71, off
	s_cbranch_execz .LBB60_76
; %bb.74:
	v_mov_b32_e32 v68, s5
	s_branch .LBB60_77
.LBB60_75:
	s_mov_b32 s5, -1
.LBB60_76:
	v_add_co_u32 v69, vcc_lo, v66, v80
	v_add_co_ci_u32_e32 v70, vcc_lo, v67, v81, vcc_lo
	flat_load_b32 v69, v[69:70]
	s_waitcnt vmcnt(0) lgkmcnt(0)
	v_mul_f32_e32 v71, s13, v69
	v_add_co_u32 v69, vcc_lo, v64, v80
	v_add_co_ci_u32_e32 v70, vcc_lo, v65, v81, vcc_lo
	s_delay_alu instid0(VALU_DEP_3)
	v_min_f32_e32 v68, v71, v68
	v_add_co_u32 v71, vcc_lo, v66, v82
	v_add_co_ci_u32_e32 v72, vcc_lo, v67, v83, vcc_lo
	global_store_b32 v[69:70], v68, off
	flat_load_b32 v68, v[71:72]
	s_waitcnt vmcnt(0) lgkmcnt(0)
	v_mul_f32_e32 v68, s13, v68
.LBB60_77:
	v_dual_add_f32 v69, v13, v61 :: v_dual_add_f32 v70, v12, v60
	v_dual_add_f32 v71, v9, v61 :: v_dual_add_f32 v72, v8, v60
	;; [unrolled: 1-line block ×3, first 2 shown]
	s_delay_alu instid0(VALU_DEP_3) | instskip(NEXT) | instid1(VALU_DEP_3)
	v_min3_f32 v69, v70, v69, v135
	v_min3_f32 v70, v72, v71, v134
	v_dual_add_f32 v71, v11, v63 :: v_dual_add_f32 v72, v10, v62
	s_delay_alu instid0(VALU_DEP_1) | instskip(SKIP_1) | instid1(VALU_DEP_1)
	v_min3_f32 v71, v72, v71, v70
	v_min_f32_e32 v73, v74, v73
	v_min3_f32 v72, v68, v73, v69
	s_delay_alu instid0(VALU_DEP_3)
	v_max_f32_e32 v68, v71, v71
	v_add_co_u32 v69, vcc_lo, v64, v82
	v_add_co_ci_u32_e32 v70, vcc_lo, v65, v83, vcc_lo
	s_mov_b32 vcc_lo, s2
	global_store_b32 v[69:70], v72, off
	s_cbranch_vccz .LBB60_80
; %bb.78:
	v_add_co_u32 v69, vcc_lo, v64, v86
	v_min_f32_e32 v71, 0, v68
	v_add_co_ci_u32_e32 v70, vcc_lo, v65, v87, vcc_lo
	s_mov_b32 s5, 0
	global_store_b32 v[69:70], v71, off
	s_cbranch_execz .LBB60_81
; %bb.79:
	v_mov_b32_e32 v66, s5
	s_branch .LBB60_82
.LBB60_80:
	s_mov_b32 s5, -1
.LBB60_81:
	v_add_co_u32 v69, vcc_lo, v66, v86
	v_add_co_ci_u32_e32 v70, vcc_lo, v67, v87, vcc_lo
	flat_load_b32 v69, v[69:70]
	s_waitcnt vmcnt(0) lgkmcnt(0)
	v_mul_f32_e32 v71, s13, v69
	v_add_co_u32 v69, vcc_lo, v64, v86
	v_add_co_ci_u32_e32 v70, vcc_lo, v65, v87, vcc_lo
	v_add_co_u32 v66, vcc_lo, v66, v84
	s_delay_alu instid0(VALU_DEP_4)
	v_min_f32_e32 v68, v71, v68
	v_add_co_ci_u32_e32 v67, vcc_lo, v67, v85, vcc_lo
	global_store_b32 v[69:70], v68, off
	flat_load_b32 v66, v[66:67]
	s_waitcnt vmcnt(0) lgkmcnt(0)
	v_mul_f32_e32 v66, s13, v66
.LBB60_82:
	s_waitcnt lgkmcnt(10)
	v_dual_add_f32 v67, v17, v57 :: v_dual_add_f32 v68, v16, v56
	v_dual_add_f32 v61, v1, v61 :: v_dual_add_f32 v60, v0, v60
	;; [unrolled: 1-line block ×3, first 2 shown]
	s_delay_alu instid0(VALU_DEP_3) | instskip(SKIP_1) | instid1(VALU_DEP_4)
	v_min3_f32 v67, v68, v67, v132
	v_add_nc_u32_e32 v68, 40, v133
	v_min3_f32 v69, v60, v61, v131
	v_dual_add_f32 v70, v19, v59 :: v_dual_add_f32 v71, v18, v58
	v_min_f32_e32 v72, v62, v63
	s_delay_alu instid0(VALU_DEP_4) | instskip(SKIP_1) | instid1(VALU_DEP_3)
	v_mad_i64_i32 v[60:61], null, v68, s3, 0
	v_mad_i64_i32 v[62:63], null, v68, s0, 0
	v_min3_f32 v69, v66, v72, v69
	v_add_co_u32 v66, vcc_lo, v64, v84
	v_min3_f32 v68, v71, v70, v67
	v_lshlrev_b64 v[60:61], 2, v[60:61]
	v_add_co_ci_u32_e32 v67, vcc_lo, v65, v85, vcc_lo
	v_lshlrev_b64 v[62:63], 2, v[62:63]
	s_delay_alu instid0(VALU_DEP_4) | instskip(NEXT) | instid1(VALU_DEP_4)
	v_max_f32_e32 v64, v68, v68
	v_add_co_u32 v60, vcc_lo, s1, v60
	v_add_co_ci_u32_e32 v61, vcc_lo, s4, v61, vcc_lo
	s_delay_alu instid0(VALU_DEP_4)
	v_add_co_u32 v62, vcc_lo, s8, v62
	v_add_co_ci_u32_e32 v63, vcc_lo, s9, v63, vcc_lo
	s_mov_b32 vcc_lo, s2
	global_store_b32 v[66:67], v69, off
	s_cbranch_vccz .LBB60_85
; %bb.83:
	v_add_co_u32 v65, vcc_lo, v60, v80
	v_min_f32_e32 v67, 0, v64
	v_add_co_ci_u32_e32 v66, vcc_lo, v61, v81, vcc_lo
	s_mov_b32 s5, 0
	global_store_b32 v[65:66], v67, off
	s_cbranch_execz .LBB60_86
; %bb.84:
	v_mov_b32_e32 v64, s5
	s_branch .LBB60_87
.LBB60_85:
	s_mov_b32 s5, -1
.LBB60_86:
	v_add_co_u32 v65, vcc_lo, v62, v80
	v_add_co_ci_u32_e32 v66, vcc_lo, v63, v81, vcc_lo
	flat_load_b32 v65, v[65:66]
	s_waitcnt vmcnt(0) lgkmcnt(0)
	v_mul_f32_e32 v67, s13, v65
	v_add_co_u32 v65, vcc_lo, v60, v80
	v_add_co_ci_u32_e32 v66, vcc_lo, v61, v81, vcc_lo
	s_delay_alu instid0(VALU_DEP_3)
	v_min_f32_e32 v64, v67, v64
	v_add_co_u32 v67, vcc_lo, v62, v82
	v_add_co_ci_u32_e32 v68, vcc_lo, v63, v83, vcc_lo
	global_store_b32 v[65:66], v64, off
	flat_load_b32 v64, v[67:68]
	s_waitcnt vmcnt(0) lgkmcnt(0)
	v_mul_f32_e32 v64, s13, v64
.LBB60_87:
	v_dual_add_f32 v65, v13, v57 :: v_dual_add_f32 v66, v12, v56
	v_dual_add_f32 v67, v9, v57 :: v_dual_add_f32 v68, v8, v56
	;; [unrolled: 1-line block ×3, first 2 shown]
	s_delay_alu instid0(VALU_DEP_3) | instskip(NEXT) | instid1(VALU_DEP_3)
	v_min3_f32 v65, v66, v65, v129
	v_min3_f32 v66, v68, v67, v130
	v_dual_add_f32 v67, v11, v59 :: v_dual_add_f32 v68, v10, v58
	s_delay_alu instid0(VALU_DEP_1) | instskip(SKIP_1) | instid1(VALU_DEP_1)
	v_min3_f32 v67, v68, v67, v66
	v_min_f32_e32 v69, v70, v69
	v_min3_f32 v68, v64, v69, v65
	s_delay_alu instid0(VALU_DEP_3)
	v_max_f32_e32 v64, v67, v67
	v_add_co_u32 v65, vcc_lo, v60, v82
	v_add_co_ci_u32_e32 v66, vcc_lo, v61, v83, vcc_lo
	s_mov_b32 vcc_lo, s2
	global_store_b32 v[65:66], v68, off
	s_cbranch_vccz .LBB60_90
; %bb.88:
	v_add_co_u32 v65, vcc_lo, v60, v86
	v_min_f32_e32 v67, 0, v64
	v_add_co_ci_u32_e32 v66, vcc_lo, v61, v87, vcc_lo
	s_mov_b32 s5, 0
	global_store_b32 v[65:66], v67, off
	s_cbranch_execz .LBB60_91
; %bb.89:
	v_mov_b32_e32 v62, s5
	s_branch .LBB60_92
.LBB60_90:
	s_mov_b32 s5, -1
.LBB60_91:
	v_add_co_u32 v65, vcc_lo, v62, v86
	v_add_co_ci_u32_e32 v66, vcc_lo, v63, v87, vcc_lo
	flat_load_b32 v65, v[65:66]
	s_waitcnt vmcnt(0) lgkmcnt(0)
	v_mul_f32_e32 v67, s13, v65
	v_add_co_u32 v65, vcc_lo, v60, v86
	v_add_co_ci_u32_e32 v66, vcc_lo, v61, v87, vcc_lo
	v_add_co_u32 v62, vcc_lo, v62, v84
	s_delay_alu instid0(VALU_DEP_4)
	v_min_f32_e32 v64, v67, v64
	v_add_co_ci_u32_e32 v63, vcc_lo, v63, v85, vcc_lo
	global_store_b32 v[65:66], v64, off
	flat_load_b32 v62, v[62:63]
	s_waitcnt vmcnt(0) lgkmcnt(0)
	v_mul_f32_e32 v62, s13, v62
.LBB60_92:
	s_waitcnt lgkmcnt(9)
	v_dual_add_f32 v63, v17, v53 :: v_dual_add_f32 v64, v16, v52
	v_dual_add_f32 v57, v1, v57 :: v_dual_add_f32 v56, v0, v56
	;; [unrolled: 1-line block ×3, first 2 shown]
	s_delay_alu instid0(VALU_DEP_3) | instskip(SKIP_1) | instid1(VALU_DEP_4)
	v_min3_f32 v63, v64, v63, v128
	v_add_nc_u32_e32 v64, 48, v133
	v_min3_f32 v65, v56, v57, v127
	v_dual_add_f32 v66, v19, v55 :: v_dual_add_f32 v67, v18, v54
	v_min_f32_e32 v68, v58, v59
	s_delay_alu instid0(VALU_DEP_4) | instskip(SKIP_1) | instid1(VALU_DEP_3)
	v_mad_i64_i32 v[56:57], null, v64, s3, 0
	v_mad_i64_i32 v[58:59], null, v64, s0, 0
	v_min3_f32 v65, v62, v68, v65
	v_add_co_u32 v62, vcc_lo, v60, v84
	v_min3_f32 v64, v67, v66, v63
	v_lshlrev_b64 v[56:57], 2, v[56:57]
	v_add_co_ci_u32_e32 v63, vcc_lo, v61, v85, vcc_lo
	v_lshlrev_b64 v[58:59], 2, v[58:59]
	s_delay_alu instid0(VALU_DEP_4) | instskip(NEXT) | instid1(VALU_DEP_4)
	v_max_f32_e32 v60, v64, v64
	v_add_co_u32 v56, vcc_lo, s1, v56
	v_add_co_ci_u32_e32 v57, vcc_lo, s4, v57, vcc_lo
	s_delay_alu instid0(VALU_DEP_4)
	v_add_co_u32 v58, vcc_lo, s8, v58
	v_add_co_ci_u32_e32 v59, vcc_lo, s9, v59, vcc_lo
	s_mov_b32 vcc_lo, s2
	global_store_b32 v[62:63], v65, off
	s_cbranch_vccz .LBB60_95
; %bb.93:
	v_add_co_u32 v61, vcc_lo, v56, v80
	v_min_f32_e32 v63, 0, v60
	v_add_co_ci_u32_e32 v62, vcc_lo, v57, v81, vcc_lo
	s_mov_b32 s5, 0
	global_store_b32 v[61:62], v63, off
	s_cbranch_execz .LBB60_96
; %bb.94:
	v_mov_b32_e32 v60, s5
	s_branch .LBB60_97
.LBB60_95:
	s_mov_b32 s5, -1
.LBB60_96:
	v_add_co_u32 v61, vcc_lo, v58, v80
	v_add_co_ci_u32_e32 v62, vcc_lo, v59, v81, vcc_lo
	flat_load_b32 v61, v[61:62]
	s_waitcnt vmcnt(0) lgkmcnt(0)
	v_mul_f32_e32 v63, s13, v61
	v_add_co_u32 v61, vcc_lo, v56, v80
	v_add_co_ci_u32_e32 v62, vcc_lo, v57, v81, vcc_lo
	s_delay_alu instid0(VALU_DEP_3)
	v_min_f32_e32 v60, v63, v60
	v_add_co_u32 v63, vcc_lo, v58, v82
	v_add_co_ci_u32_e32 v64, vcc_lo, v59, v83, vcc_lo
	global_store_b32 v[61:62], v60, off
	flat_load_b32 v60, v[63:64]
	s_waitcnt vmcnt(0) lgkmcnt(0)
	v_mul_f32_e32 v60, s13, v60
.LBB60_97:
	v_dual_add_f32 v61, v13, v53 :: v_dual_add_f32 v62, v12, v52
	v_dual_add_f32 v63, v9, v53 :: v_dual_add_f32 v64, v8, v52
	;; [unrolled: 1-line block ×3, first 2 shown]
	s_delay_alu instid0(VALU_DEP_3) | instskip(NEXT) | instid1(VALU_DEP_3)
	v_min3_f32 v61, v62, v61, v125
	v_min3_f32 v62, v64, v63, v126
	v_dual_add_f32 v63, v11, v55 :: v_dual_add_f32 v64, v10, v54
	s_delay_alu instid0(VALU_DEP_1) | instskip(SKIP_1) | instid1(VALU_DEP_1)
	v_min3_f32 v63, v64, v63, v62
	v_min_f32_e32 v65, v66, v65
	v_min3_f32 v64, v60, v65, v61
	s_delay_alu instid0(VALU_DEP_3)
	v_max_f32_e32 v60, v63, v63
	v_add_co_u32 v61, vcc_lo, v56, v82
	v_add_co_ci_u32_e32 v62, vcc_lo, v57, v83, vcc_lo
	s_mov_b32 vcc_lo, s2
	global_store_b32 v[61:62], v64, off
	s_cbranch_vccz .LBB60_100
; %bb.98:
	v_add_co_u32 v61, vcc_lo, v56, v86
	v_min_f32_e32 v63, 0, v60
	v_add_co_ci_u32_e32 v62, vcc_lo, v57, v87, vcc_lo
	s_mov_b32 s5, 0
	global_store_b32 v[61:62], v63, off
	s_cbranch_execz .LBB60_101
; %bb.99:
	v_mov_b32_e32 v58, s5
	s_branch .LBB60_102
.LBB60_100:
	s_mov_b32 s5, -1
.LBB60_101:
	v_add_co_u32 v61, vcc_lo, v58, v86
	v_add_co_ci_u32_e32 v62, vcc_lo, v59, v87, vcc_lo
	flat_load_b32 v61, v[61:62]
	s_waitcnt vmcnt(0) lgkmcnt(0)
	v_mul_f32_e32 v63, s13, v61
	v_add_co_u32 v61, vcc_lo, v56, v86
	v_add_co_ci_u32_e32 v62, vcc_lo, v57, v87, vcc_lo
	v_add_co_u32 v58, vcc_lo, v58, v84
	s_delay_alu instid0(VALU_DEP_4)
	v_min_f32_e32 v60, v63, v60
	v_add_co_ci_u32_e32 v59, vcc_lo, v59, v85, vcc_lo
	global_store_b32 v[61:62], v60, off
	flat_load_b32 v58, v[58:59]
	s_waitcnt vmcnt(0) lgkmcnt(0)
	v_mul_f32_e32 v58, s13, v58
.LBB60_102:
	s_waitcnt lgkmcnt(8)
	v_dual_add_f32 v59, v17, v49 :: v_dual_add_f32 v60, v16, v48
	v_dual_add_f32 v53, v1, v53 :: v_dual_add_f32 v52, v0, v52
	;; [unrolled: 1-line block ×3, first 2 shown]
	s_delay_alu instid0(VALU_DEP_3) | instskip(SKIP_1) | instid1(VALU_DEP_4)
	v_min3_f32 v59, v60, v59, v124
	v_add_nc_u32_e32 v60, 56, v133
	v_min3_f32 v61, v52, v53, v123
	v_dual_add_f32 v62, v19, v51 :: v_dual_add_f32 v63, v18, v50
	v_min_f32_e32 v64, v54, v55
	s_delay_alu instid0(VALU_DEP_4) | instskip(SKIP_1) | instid1(VALU_DEP_3)
	v_mad_i64_i32 v[52:53], null, v60, s3, 0
	v_mad_i64_i32 v[54:55], null, v60, s0, 0
	v_min3_f32 v61, v58, v64, v61
	v_add_co_u32 v58, vcc_lo, v56, v84
	v_min3_f32 v60, v63, v62, v59
	v_lshlrev_b64 v[52:53], 2, v[52:53]
	v_add_co_ci_u32_e32 v59, vcc_lo, v57, v85, vcc_lo
	v_lshlrev_b64 v[54:55], 2, v[54:55]
	s_delay_alu instid0(VALU_DEP_4) | instskip(NEXT) | instid1(VALU_DEP_4)
	v_max_f32_e32 v56, v60, v60
	v_add_co_u32 v52, vcc_lo, s1, v52
	v_add_co_ci_u32_e32 v53, vcc_lo, s4, v53, vcc_lo
	s_delay_alu instid0(VALU_DEP_4)
	v_add_co_u32 v54, vcc_lo, s8, v54
	v_add_co_ci_u32_e32 v55, vcc_lo, s9, v55, vcc_lo
	s_mov_b32 vcc_lo, s2
	global_store_b32 v[58:59], v61, off
	s_cbranch_vccz .LBB60_105
; %bb.103:
	v_add_co_u32 v57, vcc_lo, v52, v80
	v_min_f32_e32 v59, 0, v56
	v_add_co_ci_u32_e32 v58, vcc_lo, v53, v81, vcc_lo
	s_mov_b32 s5, 0
	global_store_b32 v[57:58], v59, off
	s_cbranch_execz .LBB60_106
; %bb.104:
	v_mov_b32_e32 v56, s5
	s_branch .LBB60_107
.LBB60_105:
	s_mov_b32 s5, -1
.LBB60_106:
	v_add_co_u32 v57, vcc_lo, v54, v80
	v_add_co_ci_u32_e32 v58, vcc_lo, v55, v81, vcc_lo
	flat_load_b32 v57, v[57:58]
	s_waitcnt vmcnt(0) lgkmcnt(0)
	v_mul_f32_e32 v59, s13, v57
	v_add_co_u32 v57, vcc_lo, v52, v80
	v_add_co_ci_u32_e32 v58, vcc_lo, v53, v81, vcc_lo
	s_delay_alu instid0(VALU_DEP_3)
	v_min_f32_e32 v56, v59, v56
	v_add_co_u32 v59, vcc_lo, v54, v82
	v_add_co_ci_u32_e32 v60, vcc_lo, v55, v83, vcc_lo
	global_store_b32 v[57:58], v56, off
	flat_load_b32 v56, v[59:60]
	s_waitcnt vmcnt(0) lgkmcnt(0)
	v_mul_f32_e32 v56, s13, v56
.LBB60_107:
	v_dual_add_f32 v57, v13, v49 :: v_dual_add_f32 v58, v12, v48
	v_dual_add_f32 v59, v9, v49 :: v_dual_add_f32 v60, v8, v48
	;; [unrolled: 1-line block ×3, first 2 shown]
	s_delay_alu instid0(VALU_DEP_3) | instskip(NEXT) | instid1(VALU_DEP_3)
	v_min3_f32 v57, v58, v57, v121
	v_min3_f32 v58, v60, v59, v122
	v_dual_add_f32 v59, v11, v51 :: v_dual_add_f32 v60, v10, v50
	s_delay_alu instid0(VALU_DEP_1) | instskip(SKIP_1) | instid1(VALU_DEP_1)
	v_min3_f32 v59, v60, v59, v58
	v_min_f32_e32 v61, v62, v61
	v_min3_f32 v60, v56, v61, v57
	s_delay_alu instid0(VALU_DEP_3)
	v_max_f32_e32 v56, v59, v59
	v_add_co_u32 v57, vcc_lo, v52, v82
	v_add_co_ci_u32_e32 v58, vcc_lo, v53, v83, vcc_lo
	s_mov_b32 vcc_lo, s2
	global_store_b32 v[57:58], v60, off
	s_cbranch_vccz .LBB60_110
; %bb.108:
	v_add_co_u32 v57, vcc_lo, v52, v86
	v_min_f32_e32 v59, 0, v56
	v_add_co_ci_u32_e32 v58, vcc_lo, v53, v87, vcc_lo
	s_mov_b32 s5, 0
	global_store_b32 v[57:58], v59, off
	s_cbranch_execz .LBB60_111
; %bb.109:
	v_mov_b32_e32 v54, s5
	s_branch .LBB60_112
.LBB60_110:
	s_mov_b32 s5, -1
.LBB60_111:
	v_add_co_u32 v57, vcc_lo, v54, v86
	v_add_co_ci_u32_e32 v58, vcc_lo, v55, v87, vcc_lo
	flat_load_b32 v57, v[57:58]
	s_waitcnt vmcnt(0) lgkmcnt(0)
	v_mul_f32_e32 v59, s13, v57
	v_add_co_u32 v57, vcc_lo, v52, v86
	v_add_co_ci_u32_e32 v58, vcc_lo, v53, v87, vcc_lo
	v_add_co_u32 v54, vcc_lo, v54, v84
	s_delay_alu instid0(VALU_DEP_4)
	v_min_f32_e32 v56, v59, v56
	v_add_co_ci_u32_e32 v55, vcc_lo, v55, v85, vcc_lo
	global_store_b32 v[57:58], v56, off
	flat_load_b32 v54, v[54:55]
	s_waitcnt vmcnt(0) lgkmcnt(0)
	v_mul_f32_e32 v54, s13, v54
.LBB60_112:
	s_waitcnt lgkmcnt(7)
	v_dual_add_f32 v55, v17, v45 :: v_dual_add_f32 v56, v16, v44
	v_dual_add_f32 v49, v1, v49 :: v_dual_add_f32 v48, v0, v48
	;; [unrolled: 1-line block ×3, first 2 shown]
	s_delay_alu instid0(VALU_DEP_3) | instskip(SKIP_1) | instid1(VALU_DEP_4)
	v_min3_f32 v55, v56, v55, v120
	v_add_nc_u32_e32 v56, 64, v133
	v_min3_f32 v57, v48, v49, v119
	v_dual_add_f32 v58, v19, v47 :: v_dual_add_f32 v59, v18, v46
	v_min_f32_e32 v60, v50, v51
	s_delay_alu instid0(VALU_DEP_4) | instskip(SKIP_1) | instid1(VALU_DEP_3)
	v_mad_i64_i32 v[48:49], null, v56, s3, 0
	v_mad_i64_i32 v[50:51], null, v56, s0, 0
	v_min3_f32 v57, v54, v60, v57
	v_add_co_u32 v54, vcc_lo, v52, v84
	v_min3_f32 v56, v59, v58, v55
	v_lshlrev_b64 v[48:49], 2, v[48:49]
	v_add_co_ci_u32_e32 v55, vcc_lo, v53, v85, vcc_lo
	v_lshlrev_b64 v[50:51], 2, v[50:51]
	s_delay_alu instid0(VALU_DEP_4) | instskip(NEXT) | instid1(VALU_DEP_4)
	v_max_f32_e32 v52, v56, v56
	v_add_co_u32 v48, vcc_lo, s1, v48
	v_add_co_ci_u32_e32 v49, vcc_lo, s4, v49, vcc_lo
	s_delay_alu instid0(VALU_DEP_4)
	v_add_co_u32 v50, vcc_lo, s8, v50
	v_add_co_ci_u32_e32 v51, vcc_lo, s9, v51, vcc_lo
	s_mov_b32 vcc_lo, s2
	global_store_b32 v[54:55], v57, off
	s_cbranch_vccz .LBB60_115
; %bb.113:
	v_add_co_u32 v53, vcc_lo, v48, v80
	v_min_f32_e32 v55, 0, v52
	v_add_co_ci_u32_e32 v54, vcc_lo, v49, v81, vcc_lo
	s_mov_b32 s5, 0
	global_store_b32 v[53:54], v55, off
	s_cbranch_execz .LBB60_116
; %bb.114:
	v_mov_b32_e32 v52, s5
	s_branch .LBB60_117
.LBB60_115:
	s_mov_b32 s5, -1
.LBB60_116:
	v_add_co_u32 v53, vcc_lo, v50, v80
	v_add_co_ci_u32_e32 v54, vcc_lo, v51, v81, vcc_lo
	flat_load_b32 v53, v[53:54]
	s_waitcnt vmcnt(0) lgkmcnt(0)
	v_mul_f32_e32 v55, s13, v53
	v_add_co_u32 v53, vcc_lo, v48, v80
	v_add_co_ci_u32_e32 v54, vcc_lo, v49, v81, vcc_lo
	s_delay_alu instid0(VALU_DEP_3)
	v_min_f32_e32 v52, v55, v52
	v_add_co_u32 v55, vcc_lo, v50, v82
	v_add_co_ci_u32_e32 v56, vcc_lo, v51, v83, vcc_lo
	global_store_b32 v[53:54], v52, off
	flat_load_b32 v52, v[55:56]
	s_waitcnt vmcnt(0) lgkmcnt(0)
	v_mul_f32_e32 v52, s13, v52
.LBB60_117:
	v_dual_add_f32 v53, v13, v45 :: v_dual_add_f32 v54, v12, v44
	v_dual_add_f32 v55, v9, v45 :: v_dual_add_f32 v56, v8, v44
	;; [unrolled: 1-line block ×3, first 2 shown]
	s_delay_alu instid0(VALU_DEP_3) | instskip(NEXT) | instid1(VALU_DEP_3)
	v_min3_f32 v53, v54, v53, v117
	v_min3_f32 v54, v56, v55, v118
	v_dual_add_f32 v55, v11, v47 :: v_dual_add_f32 v56, v10, v46
	s_delay_alu instid0(VALU_DEP_1) | instskip(SKIP_1) | instid1(VALU_DEP_1)
	v_min3_f32 v55, v56, v55, v54
	v_min_f32_e32 v57, v58, v57
	v_min3_f32 v56, v52, v57, v53
	s_delay_alu instid0(VALU_DEP_3)
	v_max_f32_e32 v52, v55, v55
	v_add_co_u32 v53, vcc_lo, v48, v82
	v_add_co_ci_u32_e32 v54, vcc_lo, v49, v83, vcc_lo
	s_mov_b32 vcc_lo, s2
	global_store_b32 v[53:54], v56, off
	s_cbranch_vccz .LBB60_120
; %bb.118:
	v_add_co_u32 v53, vcc_lo, v48, v86
	v_min_f32_e32 v55, 0, v52
	v_add_co_ci_u32_e32 v54, vcc_lo, v49, v87, vcc_lo
	s_mov_b32 s5, 0
	global_store_b32 v[53:54], v55, off
	s_cbranch_execz .LBB60_121
; %bb.119:
	v_mov_b32_e32 v50, s5
	s_branch .LBB60_122
.LBB60_120:
	s_mov_b32 s5, -1
.LBB60_121:
	v_add_co_u32 v53, vcc_lo, v50, v86
	v_add_co_ci_u32_e32 v54, vcc_lo, v51, v87, vcc_lo
	flat_load_b32 v53, v[53:54]
	s_waitcnt vmcnt(0) lgkmcnt(0)
	v_mul_f32_e32 v55, s13, v53
	v_add_co_u32 v53, vcc_lo, v48, v86
	v_add_co_ci_u32_e32 v54, vcc_lo, v49, v87, vcc_lo
	v_add_co_u32 v50, vcc_lo, v50, v84
	s_delay_alu instid0(VALU_DEP_4)
	v_min_f32_e32 v52, v55, v52
	v_add_co_ci_u32_e32 v51, vcc_lo, v51, v85, vcc_lo
	global_store_b32 v[53:54], v52, off
	flat_load_b32 v50, v[50:51]
	s_waitcnt vmcnt(0) lgkmcnt(0)
	v_mul_f32_e32 v50, s13, v50
.LBB60_122:
	s_waitcnt lgkmcnt(6)
	v_dual_add_f32 v51, v17, v41 :: v_dual_add_f32 v52, v16, v40
	v_dual_add_f32 v45, v1, v45 :: v_dual_add_f32 v44, v0, v44
	;; [unrolled: 1-line block ×3, first 2 shown]
	s_delay_alu instid0(VALU_DEP_3) | instskip(SKIP_1) | instid1(VALU_DEP_4)
	v_min3_f32 v51, v52, v51, v116
	v_add_nc_u32_e32 v52, 0x48, v133
	v_min3_f32 v53, v44, v45, v115
	v_dual_add_f32 v54, v19, v43 :: v_dual_add_f32 v55, v18, v42
	v_min_f32_e32 v56, v46, v47
	s_delay_alu instid0(VALU_DEP_4) | instskip(SKIP_1) | instid1(VALU_DEP_3)
	v_mad_i64_i32 v[44:45], null, v52, s3, 0
	v_mad_i64_i32 v[46:47], null, v52, s0, 0
	v_min3_f32 v53, v50, v56, v53
	v_add_co_u32 v50, vcc_lo, v48, v84
	v_min3_f32 v52, v55, v54, v51
	v_lshlrev_b64 v[44:45], 2, v[44:45]
	v_add_co_ci_u32_e32 v51, vcc_lo, v49, v85, vcc_lo
	v_lshlrev_b64 v[46:47], 2, v[46:47]
	s_delay_alu instid0(VALU_DEP_4) | instskip(NEXT) | instid1(VALU_DEP_4)
	v_max_f32_e32 v48, v52, v52
	v_add_co_u32 v44, vcc_lo, s1, v44
	v_add_co_ci_u32_e32 v45, vcc_lo, s4, v45, vcc_lo
	s_delay_alu instid0(VALU_DEP_4)
	v_add_co_u32 v46, vcc_lo, s8, v46
	v_add_co_ci_u32_e32 v47, vcc_lo, s9, v47, vcc_lo
	s_mov_b32 vcc_lo, s2
	global_store_b32 v[50:51], v53, off
	s_cbranch_vccz .LBB60_125
; %bb.123:
	v_add_co_u32 v49, vcc_lo, v44, v80
	v_min_f32_e32 v51, 0, v48
	v_add_co_ci_u32_e32 v50, vcc_lo, v45, v81, vcc_lo
	s_mov_b32 s5, 0
	global_store_b32 v[49:50], v51, off
	s_cbranch_execz .LBB60_126
; %bb.124:
	v_mov_b32_e32 v48, s5
	s_branch .LBB60_127
.LBB60_125:
	s_mov_b32 s5, -1
.LBB60_126:
	v_add_co_u32 v49, vcc_lo, v46, v80
	v_add_co_ci_u32_e32 v50, vcc_lo, v47, v81, vcc_lo
	flat_load_b32 v49, v[49:50]
	s_waitcnt vmcnt(0) lgkmcnt(0)
	v_mul_f32_e32 v51, s13, v49
	v_add_co_u32 v49, vcc_lo, v44, v80
	v_add_co_ci_u32_e32 v50, vcc_lo, v45, v81, vcc_lo
	s_delay_alu instid0(VALU_DEP_3)
	v_min_f32_e32 v48, v51, v48
	v_add_co_u32 v51, vcc_lo, v46, v82
	v_add_co_ci_u32_e32 v52, vcc_lo, v47, v83, vcc_lo
	global_store_b32 v[49:50], v48, off
	flat_load_b32 v48, v[51:52]
	s_waitcnt vmcnt(0) lgkmcnt(0)
	v_mul_f32_e32 v48, s13, v48
.LBB60_127:
	v_dual_add_f32 v49, v13, v41 :: v_dual_add_f32 v50, v12, v40
	v_dual_add_f32 v51, v9, v41 :: v_dual_add_f32 v52, v8, v40
	v_dual_add_f32 v53, v15, v43 :: v_dual_add_f32 v54, v14, v42
	s_delay_alu instid0(VALU_DEP_3) | instskip(NEXT) | instid1(VALU_DEP_3)
	v_min3_f32 v49, v50, v49, v114
	v_min3_f32 v50, v52, v51, v113
	v_dual_add_f32 v51, v11, v43 :: v_dual_add_f32 v52, v10, v42
	s_delay_alu instid0(VALU_DEP_1) | instskip(SKIP_1) | instid1(VALU_DEP_1)
	v_min3_f32 v51, v52, v51, v50
	v_min_f32_e32 v53, v54, v53
	v_min3_f32 v52, v48, v53, v49
	s_delay_alu instid0(VALU_DEP_3)
	v_max_f32_e32 v48, v51, v51
	v_add_co_u32 v49, vcc_lo, v44, v82
	v_add_co_ci_u32_e32 v50, vcc_lo, v45, v83, vcc_lo
	s_mov_b32 vcc_lo, s2
	global_store_b32 v[49:50], v52, off
	s_cbranch_vccz .LBB60_130
; %bb.128:
	v_add_co_u32 v49, vcc_lo, v44, v86
	v_min_f32_e32 v51, 0, v48
	v_add_co_ci_u32_e32 v50, vcc_lo, v45, v87, vcc_lo
	s_mov_b32 s5, 0
	global_store_b32 v[49:50], v51, off
	s_cbranch_execz .LBB60_131
; %bb.129:
	v_mov_b32_e32 v46, s5
	s_branch .LBB60_132
.LBB60_130:
	s_mov_b32 s5, -1
.LBB60_131:
	v_add_co_u32 v49, vcc_lo, v46, v86
	v_add_co_ci_u32_e32 v50, vcc_lo, v47, v87, vcc_lo
	flat_load_b32 v49, v[49:50]
	s_waitcnt vmcnt(0) lgkmcnt(0)
	v_mul_f32_e32 v51, s13, v49
	v_add_co_u32 v49, vcc_lo, v44, v86
	v_add_co_ci_u32_e32 v50, vcc_lo, v45, v87, vcc_lo
	v_add_co_u32 v46, vcc_lo, v46, v84
	s_delay_alu instid0(VALU_DEP_4)
	v_min_f32_e32 v48, v51, v48
	v_add_co_ci_u32_e32 v47, vcc_lo, v47, v85, vcc_lo
	global_store_b32 v[49:50], v48, off
	flat_load_b32 v46, v[46:47]
	s_waitcnt vmcnt(0) lgkmcnt(0)
	v_mul_f32_e32 v46, s13, v46
.LBB60_132:
	s_waitcnt lgkmcnt(5)
	v_dual_add_f32 v47, v17, v37 :: v_dual_add_f32 v48, v16, v36
	v_dual_add_f32 v41, v1, v41 :: v_dual_add_f32 v40, v0, v40
	;; [unrolled: 1-line block ×3, first 2 shown]
	s_delay_alu instid0(VALU_DEP_3) | instskip(SKIP_1) | instid1(VALU_DEP_4)
	v_min3_f32 v47, v48, v47, v112
	v_add_nc_u32_e32 v48, 0x50, v133
	v_min3_f32 v49, v40, v41, v111
	v_dual_add_f32 v50, v19, v39 :: v_dual_add_f32 v51, v18, v38
	v_min_f32_e32 v52, v42, v43
	s_delay_alu instid0(VALU_DEP_4) | instskip(SKIP_1) | instid1(VALU_DEP_3)
	v_mad_i64_i32 v[40:41], null, v48, s3, 0
	v_mad_i64_i32 v[42:43], null, v48, s0, 0
	v_min3_f32 v49, v46, v52, v49
	v_add_co_u32 v46, vcc_lo, v44, v84
	v_min3_f32 v48, v51, v50, v47
	v_lshlrev_b64 v[40:41], 2, v[40:41]
	v_add_co_ci_u32_e32 v47, vcc_lo, v45, v85, vcc_lo
	v_lshlrev_b64 v[42:43], 2, v[42:43]
	s_delay_alu instid0(VALU_DEP_4) | instskip(NEXT) | instid1(VALU_DEP_4)
	v_max_f32_e32 v44, v48, v48
	v_add_co_u32 v40, vcc_lo, s1, v40
	v_add_co_ci_u32_e32 v41, vcc_lo, s4, v41, vcc_lo
	s_delay_alu instid0(VALU_DEP_4)
	v_add_co_u32 v42, vcc_lo, s8, v42
	v_add_co_ci_u32_e32 v43, vcc_lo, s9, v43, vcc_lo
	s_mov_b32 vcc_lo, s2
	global_store_b32 v[46:47], v49, off
	s_cbranch_vccz .LBB60_135
; %bb.133:
	v_add_co_u32 v45, vcc_lo, v40, v80
	v_min_f32_e32 v47, 0, v44
	v_add_co_ci_u32_e32 v46, vcc_lo, v41, v81, vcc_lo
	s_mov_b32 s5, 0
	global_store_b32 v[45:46], v47, off
	s_cbranch_execz .LBB60_136
; %bb.134:
	v_mov_b32_e32 v44, s5
	s_branch .LBB60_137
.LBB60_135:
	s_mov_b32 s5, -1
.LBB60_136:
	v_add_co_u32 v45, vcc_lo, v42, v80
	v_add_co_ci_u32_e32 v46, vcc_lo, v43, v81, vcc_lo
	flat_load_b32 v45, v[45:46]
	s_waitcnt vmcnt(0) lgkmcnt(0)
	v_mul_f32_e32 v47, s13, v45
	v_add_co_u32 v45, vcc_lo, v40, v80
	v_add_co_ci_u32_e32 v46, vcc_lo, v41, v81, vcc_lo
	s_delay_alu instid0(VALU_DEP_3)
	v_min_f32_e32 v44, v47, v44
	v_add_co_u32 v47, vcc_lo, v42, v82
	v_add_co_ci_u32_e32 v48, vcc_lo, v43, v83, vcc_lo
	global_store_b32 v[45:46], v44, off
	flat_load_b32 v44, v[47:48]
	s_waitcnt vmcnt(0) lgkmcnt(0)
	v_mul_f32_e32 v44, s13, v44
.LBB60_137:
	v_dual_add_f32 v45, v13, v37 :: v_dual_add_f32 v46, v12, v36
	v_dual_add_f32 v47, v9, v37 :: v_dual_add_f32 v48, v8, v36
	;; [unrolled: 1-line block ×3, first 2 shown]
	s_delay_alu instid0(VALU_DEP_3) | instskip(NEXT) | instid1(VALU_DEP_3)
	v_min3_f32 v45, v46, v45, v109
	v_min3_f32 v46, v48, v47, v110
	v_dual_add_f32 v47, v11, v39 :: v_dual_add_f32 v48, v10, v38
	s_delay_alu instid0(VALU_DEP_1) | instskip(SKIP_1) | instid1(VALU_DEP_1)
	v_min3_f32 v47, v48, v47, v46
	v_min_f32_e32 v49, v50, v49
	v_min3_f32 v48, v44, v49, v45
	s_delay_alu instid0(VALU_DEP_3)
	v_max_f32_e32 v44, v47, v47
	v_add_co_u32 v45, vcc_lo, v40, v82
	v_add_co_ci_u32_e32 v46, vcc_lo, v41, v83, vcc_lo
	s_mov_b32 vcc_lo, s2
	global_store_b32 v[45:46], v48, off
	s_cbranch_vccz .LBB60_140
; %bb.138:
	v_add_co_u32 v45, vcc_lo, v40, v86
	v_min_f32_e32 v47, 0, v44
	v_add_co_ci_u32_e32 v46, vcc_lo, v41, v87, vcc_lo
	s_mov_b32 s5, 0
	global_store_b32 v[45:46], v47, off
	s_cbranch_execz .LBB60_141
; %bb.139:
	v_mov_b32_e32 v42, s5
	s_branch .LBB60_142
.LBB60_140:
	s_mov_b32 s5, -1
.LBB60_141:
	v_add_co_u32 v45, vcc_lo, v42, v86
	v_add_co_ci_u32_e32 v46, vcc_lo, v43, v87, vcc_lo
	flat_load_b32 v45, v[45:46]
	s_waitcnt vmcnt(0) lgkmcnt(0)
	v_mul_f32_e32 v47, s13, v45
	v_add_co_u32 v45, vcc_lo, v40, v86
	v_add_co_ci_u32_e32 v46, vcc_lo, v41, v87, vcc_lo
	v_add_co_u32 v42, vcc_lo, v42, v84
	s_delay_alu instid0(VALU_DEP_4)
	v_min_f32_e32 v44, v47, v44
	v_add_co_ci_u32_e32 v43, vcc_lo, v43, v85, vcc_lo
	global_store_b32 v[45:46], v44, off
	flat_load_b32 v42, v[42:43]
	s_waitcnt vmcnt(0) lgkmcnt(0)
	v_mul_f32_e32 v42, s13, v42
.LBB60_142:
	s_waitcnt lgkmcnt(4)
	v_dual_add_f32 v43, v17, v33 :: v_dual_add_f32 v44, v16, v32
	v_dual_add_f32 v37, v1, v37 :: v_dual_add_f32 v36, v0, v36
	;; [unrolled: 1-line block ×3, first 2 shown]
	s_delay_alu instid0(VALU_DEP_3) | instskip(SKIP_1) | instid1(VALU_DEP_4)
	v_min3_f32 v43, v44, v43, v108
	v_add_nc_u32_e32 v44, 0x58, v133
	v_min3_f32 v45, v36, v37, v107
	v_dual_add_f32 v46, v19, v35 :: v_dual_add_f32 v47, v18, v34
	v_min_f32_e32 v48, v38, v39
	s_delay_alu instid0(VALU_DEP_4) | instskip(SKIP_1) | instid1(VALU_DEP_3)
	v_mad_i64_i32 v[36:37], null, v44, s3, 0
	v_mad_i64_i32 v[38:39], null, v44, s0, 0
	v_min3_f32 v45, v42, v48, v45
	v_add_co_u32 v42, vcc_lo, v40, v84
	v_min3_f32 v44, v47, v46, v43
	v_lshlrev_b64 v[36:37], 2, v[36:37]
	v_add_co_ci_u32_e32 v43, vcc_lo, v41, v85, vcc_lo
	v_lshlrev_b64 v[38:39], 2, v[38:39]
	s_delay_alu instid0(VALU_DEP_4) | instskip(NEXT) | instid1(VALU_DEP_4)
	v_max_f32_e32 v40, v44, v44
	v_add_co_u32 v36, vcc_lo, s1, v36
	v_add_co_ci_u32_e32 v37, vcc_lo, s4, v37, vcc_lo
	s_delay_alu instid0(VALU_DEP_4)
	v_add_co_u32 v38, vcc_lo, s8, v38
	v_add_co_ci_u32_e32 v39, vcc_lo, s9, v39, vcc_lo
	s_mov_b32 vcc_lo, s2
	global_store_b32 v[42:43], v45, off
	s_cbranch_vccz .LBB60_145
; %bb.143:
	v_add_co_u32 v41, vcc_lo, v36, v80
	v_min_f32_e32 v43, 0, v40
	v_add_co_ci_u32_e32 v42, vcc_lo, v37, v81, vcc_lo
	s_mov_b32 s5, 0
	global_store_b32 v[41:42], v43, off
	s_cbranch_execz .LBB60_146
; %bb.144:
	v_mov_b32_e32 v40, s5
	s_branch .LBB60_147
.LBB60_145:
	s_mov_b32 s5, -1
.LBB60_146:
	v_add_co_u32 v41, vcc_lo, v38, v80
	v_add_co_ci_u32_e32 v42, vcc_lo, v39, v81, vcc_lo
	flat_load_b32 v41, v[41:42]
	s_waitcnt vmcnt(0) lgkmcnt(0)
	v_mul_f32_e32 v43, s13, v41
	v_add_co_u32 v41, vcc_lo, v36, v80
	v_add_co_ci_u32_e32 v42, vcc_lo, v37, v81, vcc_lo
	s_delay_alu instid0(VALU_DEP_3)
	v_min_f32_e32 v40, v43, v40
	v_add_co_u32 v43, vcc_lo, v38, v82
	v_add_co_ci_u32_e32 v44, vcc_lo, v39, v83, vcc_lo
	global_store_b32 v[41:42], v40, off
	flat_load_b32 v40, v[43:44]
	s_waitcnt vmcnt(0) lgkmcnt(0)
	v_mul_f32_e32 v40, s13, v40
.LBB60_147:
	v_dual_add_f32 v41, v13, v33 :: v_dual_add_f32 v42, v12, v32
	v_dual_add_f32 v43, v9, v33 :: v_dual_add_f32 v44, v8, v32
	;; [unrolled: 1-line block ×3, first 2 shown]
	s_delay_alu instid0(VALU_DEP_3) | instskip(NEXT) | instid1(VALU_DEP_3)
	v_min3_f32 v41, v42, v41, v105
	v_min3_f32 v42, v44, v43, v106
	v_dual_add_f32 v43, v11, v35 :: v_dual_add_f32 v44, v10, v34
	s_delay_alu instid0(VALU_DEP_1) | instskip(SKIP_1) | instid1(VALU_DEP_1)
	v_min3_f32 v43, v44, v43, v42
	v_min_f32_e32 v45, v46, v45
	v_min3_f32 v44, v40, v45, v41
	s_delay_alu instid0(VALU_DEP_3)
	v_max_f32_e32 v40, v43, v43
	v_add_co_u32 v41, vcc_lo, v36, v82
	v_add_co_ci_u32_e32 v42, vcc_lo, v37, v83, vcc_lo
	s_mov_b32 vcc_lo, s2
	global_store_b32 v[41:42], v44, off
	s_cbranch_vccz .LBB60_150
; %bb.148:
	v_add_co_u32 v41, vcc_lo, v36, v86
	v_min_f32_e32 v43, 0, v40
	v_add_co_ci_u32_e32 v42, vcc_lo, v37, v87, vcc_lo
	s_mov_b32 s5, 0
	global_store_b32 v[41:42], v43, off
	s_cbranch_execz .LBB60_151
; %bb.149:
	v_mov_b32_e32 v38, s5
	s_branch .LBB60_152
.LBB60_150:
	s_mov_b32 s5, -1
.LBB60_151:
	v_add_co_u32 v41, vcc_lo, v38, v86
	v_add_co_ci_u32_e32 v42, vcc_lo, v39, v87, vcc_lo
	flat_load_b32 v41, v[41:42]
	s_waitcnt vmcnt(0) lgkmcnt(0)
	v_mul_f32_e32 v43, s13, v41
	v_add_co_u32 v41, vcc_lo, v36, v86
	v_add_co_ci_u32_e32 v42, vcc_lo, v37, v87, vcc_lo
	v_add_co_u32 v38, vcc_lo, v38, v84
	s_delay_alu instid0(VALU_DEP_4)
	v_min_f32_e32 v40, v43, v40
	v_add_co_ci_u32_e32 v39, vcc_lo, v39, v85, vcc_lo
	global_store_b32 v[41:42], v40, off
	flat_load_b32 v38, v[38:39]
	s_waitcnt vmcnt(0) lgkmcnt(0)
	v_mul_f32_e32 v38, s13, v38
.LBB60_152:
	s_waitcnt lgkmcnt(3)
	v_dual_add_f32 v39, v17, v29 :: v_dual_add_f32 v40, v16, v28
	v_dual_add_f32 v33, v1, v33 :: v_dual_add_f32 v32, v0, v32
	;; [unrolled: 1-line block ×3, first 2 shown]
	s_delay_alu instid0(VALU_DEP_3) | instskip(SKIP_1) | instid1(VALU_DEP_4)
	v_min3_f32 v39, v40, v39, v104
	v_add_nc_u32_e32 v40, 0x60, v133
	v_min3_f32 v41, v32, v33, v103
	v_dual_add_f32 v42, v19, v31 :: v_dual_add_f32 v43, v18, v30
	v_min_f32_e32 v44, v34, v35
	s_delay_alu instid0(VALU_DEP_4) | instskip(SKIP_1) | instid1(VALU_DEP_3)
	v_mad_i64_i32 v[32:33], null, v40, s3, 0
	v_mad_i64_i32 v[34:35], null, v40, s0, 0
	v_min3_f32 v41, v38, v44, v41
	v_add_co_u32 v38, vcc_lo, v36, v84
	v_min3_f32 v40, v43, v42, v39
	v_lshlrev_b64 v[32:33], 2, v[32:33]
	v_add_co_ci_u32_e32 v39, vcc_lo, v37, v85, vcc_lo
	v_lshlrev_b64 v[34:35], 2, v[34:35]
	s_delay_alu instid0(VALU_DEP_4) | instskip(NEXT) | instid1(VALU_DEP_4)
	v_max_f32_e32 v36, v40, v40
	v_add_co_u32 v32, vcc_lo, s1, v32
	v_add_co_ci_u32_e32 v33, vcc_lo, s4, v33, vcc_lo
	s_delay_alu instid0(VALU_DEP_4)
	v_add_co_u32 v34, vcc_lo, s8, v34
	v_add_co_ci_u32_e32 v35, vcc_lo, s9, v35, vcc_lo
	s_mov_b32 vcc_lo, s2
	global_store_b32 v[38:39], v41, off
	s_cbranch_vccz .LBB60_155
; %bb.153:
	v_add_co_u32 v37, vcc_lo, v32, v80
	v_min_f32_e32 v39, 0, v36
	v_add_co_ci_u32_e32 v38, vcc_lo, v33, v81, vcc_lo
	s_mov_b32 s5, 0
	global_store_b32 v[37:38], v39, off
	s_cbranch_execz .LBB60_156
; %bb.154:
	v_mov_b32_e32 v36, s5
	s_branch .LBB60_157
.LBB60_155:
	s_mov_b32 s5, -1
.LBB60_156:
	v_add_co_u32 v37, vcc_lo, v34, v80
	v_add_co_ci_u32_e32 v38, vcc_lo, v35, v81, vcc_lo
	flat_load_b32 v37, v[37:38]
	s_waitcnt vmcnt(0) lgkmcnt(0)
	v_mul_f32_e32 v39, s13, v37
	v_add_co_u32 v37, vcc_lo, v32, v80
	v_add_co_ci_u32_e32 v38, vcc_lo, v33, v81, vcc_lo
	s_delay_alu instid0(VALU_DEP_3)
	v_min_f32_e32 v36, v39, v36
	v_add_co_u32 v39, vcc_lo, v34, v82
	v_add_co_ci_u32_e32 v40, vcc_lo, v35, v83, vcc_lo
	global_store_b32 v[37:38], v36, off
	flat_load_b32 v36, v[39:40]
	s_waitcnt vmcnt(0) lgkmcnt(0)
	v_mul_f32_e32 v36, s13, v36
.LBB60_157:
	v_dual_add_f32 v37, v13, v29 :: v_dual_add_f32 v38, v12, v28
	v_dual_add_f32 v39, v9, v29 :: v_dual_add_f32 v40, v8, v28
	;; [unrolled: 1-line block ×3, first 2 shown]
	s_delay_alu instid0(VALU_DEP_3) | instskip(NEXT) | instid1(VALU_DEP_3)
	v_min3_f32 v37, v38, v37, v101
	v_min3_f32 v38, v40, v39, v102
	v_dual_add_f32 v39, v11, v31 :: v_dual_add_f32 v40, v10, v30
	s_delay_alu instid0(VALU_DEP_1) | instskip(SKIP_1) | instid1(VALU_DEP_1)
	v_min3_f32 v39, v40, v39, v38
	v_min_f32_e32 v41, v42, v41
	v_min3_f32 v40, v36, v41, v37
	s_delay_alu instid0(VALU_DEP_3)
	v_max_f32_e32 v36, v39, v39
	v_add_co_u32 v37, vcc_lo, v32, v82
	v_add_co_ci_u32_e32 v38, vcc_lo, v33, v83, vcc_lo
	s_mov_b32 vcc_lo, s2
	global_store_b32 v[37:38], v40, off
	s_cbranch_vccz .LBB60_160
; %bb.158:
	v_add_co_u32 v37, vcc_lo, v32, v86
	v_min_f32_e32 v39, 0, v36
	v_add_co_ci_u32_e32 v38, vcc_lo, v33, v87, vcc_lo
	s_mov_b32 s5, 0
	global_store_b32 v[37:38], v39, off
	s_cbranch_execz .LBB60_161
; %bb.159:
	v_mov_b32_e32 v34, s5
	s_branch .LBB60_162
.LBB60_160:
	s_mov_b32 s5, -1
.LBB60_161:
	v_add_co_u32 v37, vcc_lo, v34, v86
	v_add_co_ci_u32_e32 v38, vcc_lo, v35, v87, vcc_lo
	flat_load_b32 v37, v[37:38]
	s_waitcnt vmcnt(0) lgkmcnt(0)
	v_mul_f32_e32 v39, s13, v37
	v_add_co_u32 v37, vcc_lo, v32, v86
	v_add_co_ci_u32_e32 v38, vcc_lo, v33, v87, vcc_lo
	v_add_co_u32 v34, vcc_lo, v34, v84
	s_delay_alu instid0(VALU_DEP_4)
	v_min_f32_e32 v36, v39, v36
	v_add_co_ci_u32_e32 v35, vcc_lo, v35, v85, vcc_lo
	global_store_b32 v[37:38], v36, off
	flat_load_b32 v34, v[34:35]
	s_waitcnt vmcnt(0) lgkmcnt(0)
	v_mul_f32_e32 v34, s13, v34
.LBB60_162:
	s_waitcnt lgkmcnt(2)
	v_dual_add_f32 v35, v17, v25 :: v_dual_add_f32 v36, v16, v24
	v_dual_add_f32 v29, v1, v29 :: v_dual_add_f32 v28, v0, v28
	;; [unrolled: 1-line block ×3, first 2 shown]
	s_delay_alu instid0(VALU_DEP_3) | instskip(SKIP_1) | instid1(VALU_DEP_4)
	v_min3_f32 v35, v36, v35, v100
	v_add_nc_u32_e32 v36, 0x68, v133
	v_min3_f32 v37, v28, v29, v99
	v_dual_add_f32 v38, v19, v27 :: v_dual_add_f32 v39, v18, v26
	v_min_f32_e32 v40, v30, v31
	s_delay_alu instid0(VALU_DEP_4) | instskip(SKIP_1) | instid1(VALU_DEP_3)
	v_mad_i64_i32 v[28:29], null, v36, s3, 0
	v_mad_i64_i32 v[30:31], null, v36, s0, 0
	v_min3_f32 v37, v34, v40, v37
	v_add_co_u32 v34, vcc_lo, v32, v84
	v_min3_f32 v36, v39, v38, v35
	v_lshlrev_b64 v[28:29], 2, v[28:29]
	v_add_co_ci_u32_e32 v35, vcc_lo, v33, v85, vcc_lo
	v_lshlrev_b64 v[30:31], 2, v[30:31]
	s_delay_alu instid0(VALU_DEP_4) | instskip(NEXT) | instid1(VALU_DEP_4)
	v_max_f32_e32 v32, v36, v36
	v_add_co_u32 v28, vcc_lo, s1, v28
	v_add_co_ci_u32_e32 v29, vcc_lo, s4, v29, vcc_lo
	s_delay_alu instid0(VALU_DEP_4)
	v_add_co_u32 v30, vcc_lo, s8, v30
	v_add_co_ci_u32_e32 v31, vcc_lo, s9, v31, vcc_lo
	s_mov_b32 vcc_lo, s2
	global_store_b32 v[34:35], v37, off
	s_cbranch_vccz .LBB60_165
; %bb.163:
	v_add_co_u32 v33, vcc_lo, v28, v80
	v_min_f32_e32 v35, 0, v32
	v_add_co_ci_u32_e32 v34, vcc_lo, v29, v81, vcc_lo
	s_mov_b32 s5, 0
	global_store_b32 v[33:34], v35, off
	s_cbranch_execz .LBB60_166
; %bb.164:
	v_mov_b32_e32 v32, s5
	s_branch .LBB60_167
.LBB60_165:
	s_mov_b32 s5, -1
.LBB60_166:
	v_add_co_u32 v33, vcc_lo, v30, v80
	v_add_co_ci_u32_e32 v34, vcc_lo, v31, v81, vcc_lo
	flat_load_b32 v33, v[33:34]
	s_waitcnt vmcnt(0) lgkmcnt(0)
	v_mul_f32_e32 v35, s13, v33
	v_add_co_u32 v33, vcc_lo, v28, v80
	v_add_co_ci_u32_e32 v34, vcc_lo, v29, v81, vcc_lo
	s_delay_alu instid0(VALU_DEP_3)
	v_min_f32_e32 v32, v35, v32
	v_add_co_u32 v35, vcc_lo, v30, v82
	v_add_co_ci_u32_e32 v36, vcc_lo, v31, v83, vcc_lo
	global_store_b32 v[33:34], v32, off
	flat_load_b32 v32, v[35:36]
	s_waitcnt vmcnt(0) lgkmcnt(0)
	v_mul_f32_e32 v32, s13, v32
.LBB60_167:
	v_dual_add_f32 v33, v13, v25 :: v_dual_add_f32 v34, v12, v24
	v_dual_add_f32 v35, v9, v25 :: v_dual_add_f32 v36, v8, v24
	;; [unrolled: 1-line block ×3, first 2 shown]
	s_delay_alu instid0(VALU_DEP_3) | instskip(NEXT) | instid1(VALU_DEP_3)
	v_min3_f32 v33, v34, v33, v96
	v_min3_f32 v34, v36, v35, v97
	v_dual_add_f32 v35, v11, v27 :: v_dual_add_f32 v36, v10, v26
	s_delay_alu instid0(VALU_DEP_1) | instskip(SKIP_1) | instid1(VALU_DEP_1)
	v_min3_f32 v35, v36, v35, v34
	v_min_f32_e32 v37, v38, v37
	v_min3_f32 v36, v32, v37, v33
	s_delay_alu instid0(VALU_DEP_3)
	v_max_f32_e32 v32, v35, v35
	v_add_co_u32 v33, vcc_lo, v28, v82
	v_add_co_ci_u32_e32 v34, vcc_lo, v29, v83, vcc_lo
	s_mov_b32 vcc_lo, s2
	global_store_b32 v[33:34], v36, off
	s_cbranch_vccz .LBB60_170
; %bb.168:
	v_add_co_u32 v33, vcc_lo, v28, v86
	v_min_f32_e32 v35, 0, v32
	v_add_co_ci_u32_e32 v34, vcc_lo, v29, v87, vcc_lo
	s_mov_b32 s5, 0
	global_store_b32 v[33:34], v35, off
	s_cbranch_execz .LBB60_171
; %bb.169:
	v_mov_b32_e32 v30, s5
	s_branch .LBB60_172
.LBB60_170:
	s_mov_b32 s5, -1
.LBB60_171:
	v_add_co_u32 v33, vcc_lo, v30, v86
	v_add_co_ci_u32_e32 v34, vcc_lo, v31, v87, vcc_lo
	flat_load_b32 v33, v[33:34]
	s_waitcnt vmcnt(0) lgkmcnt(0)
	v_mul_f32_e32 v35, s13, v33
	v_add_co_u32 v33, vcc_lo, v28, v86
	v_add_co_ci_u32_e32 v34, vcc_lo, v29, v87, vcc_lo
	v_add_co_u32 v30, vcc_lo, v30, v84
	s_delay_alu instid0(VALU_DEP_4)
	v_min_f32_e32 v32, v35, v32
	v_add_co_ci_u32_e32 v31, vcc_lo, v31, v85, vcc_lo
	global_store_b32 v[33:34], v32, off
	flat_load_b32 v30, v[30:31]
	s_waitcnt vmcnt(0) lgkmcnt(0)
	v_mul_f32_e32 v30, s13, v30
.LBB60_172:
	s_waitcnt lgkmcnt(1)
	v_dual_add_f32 v31, v17, v21 :: v_dual_add_f32 v32, v16, v20
	v_dual_add_f32 v25, v1, v25 :: v_dual_add_f32 v24, v0, v24
	;; [unrolled: 1-line block ×3, first 2 shown]
	s_delay_alu instid0(VALU_DEP_3) | instskip(SKIP_1) | instid1(VALU_DEP_4)
	v_min3_f32 v31, v32, v31, v95
	v_add_nc_u32_e32 v32, 0x70, v133
	v_min3_f32 v33, v24, v25, v94
	v_dual_add_f32 v34, v19, v23 :: v_dual_add_f32 v35, v18, v22
	v_min_f32_e32 v36, v26, v27
	s_delay_alu instid0(VALU_DEP_4) | instskip(SKIP_1) | instid1(VALU_DEP_3)
	v_mad_i64_i32 v[24:25], null, v32, s3, 0
	v_mad_i64_i32 v[26:27], null, v32, s0, 0
	v_min3_f32 v33, v30, v36, v33
	v_add_co_u32 v30, vcc_lo, v28, v84
	v_min3_f32 v32, v35, v34, v31
	v_lshlrev_b64 v[24:25], 2, v[24:25]
	v_add_co_ci_u32_e32 v31, vcc_lo, v29, v85, vcc_lo
	v_lshlrev_b64 v[26:27], 2, v[26:27]
	s_delay_alu instid0(VALU_DEP_4) | instskip(NEXT) | instid1(VALU_DEP_4)
	v_max_f32_e32 v28, v32, v32
	v_add_co_u32 v24, vcc_lo, s1, v24
	v_add_co_ci_u32_e32 v25, vcc_lo, s4, v25, vcc_lo
	s_delay_alu instid0(VALU_DEP_4)
	v_add_co_u32 v26, vcc_lo, s8, v26
	v_add_co_ci_u32_e32 v27, vcc_lo, s9, v27, vcc_lo
	s_mov_b32 vcc_lo, s2
	global_store_b32 v[30:31], v33, off
	s_cbranch_vccz .LBB60_175
; %bb.173:
	v_add_co_u32 v29, vcc_lo, v24, v80
	v_min_f32_e32 v31, 0, v28
	v_add_co_ci_u32_e32 v30, vcc_lo, v25, v81, vcc_lo
	s_mov_b32 s5, 0
	global_store_b32 v[29:30], v31, off
	s_cbranch_execz .LBB60_176
; %bb.174:
	v_mov_b32_e32 v28, s5
	s_branch .LBB60_177
.LBB60_175:
	s_mov_b32 s5, -1
.LBB60_176:
	v_add_co_u32 v29, vcc_lo, v26, v80
	v_add_co_ci_u32_e32 v30, vcc_lo, v27, v81, vcc_lo
	flat_load_b32 v29, v[29:30]
	s_waitcnt vmcnt(0) lgkmcnt(0)
	v_mul_f32_e32 v31, s13, v29
	v_add_co_u32 v29, vcc_lo, v24, v80
	v_add_co_ci_u32_e32 v30, vcc_lo, v25, v81, vcc_lo
	s_delay_alu instid0(VALU_DEP_3)
	v_min_f32_e32 v28, v31, v28
	v_add_co_u32 v31, vcc_lo, v26, v82
	v_add_co_ci_u32_e32 v32, vcc_lo, v27, v83, vcc_lo
	global_store_b32 v[29:30], v28, off
	flat_load_b32 v28, v[31:32]
	s_waitcnt vmcnt(0) lgkmcnt(0)
	v_mul_f32_e32 v28, s13, v28
.LBB60_177:
	v_dual_add_f32 v29, v13, v21 :: v_dual_add_f32 v30, v12, v20
	v_dual_add_f32 v31, v9, v21 :: v_dual_add_f32 v32, v8, v20
	;; [unrolled: 1-line block ×3, first 2 shown]
	s_delay_alu instid0(VALU_DEP_3) | instskip(NEXT) | instid1(VALU_DEP_3)
	v_min3_f32 v29, v30, v29, v93
	v_min3_f32 v30, v32, v31, v92
	v_dual_add_f32 v31, v11, v23 :: v_dual_add_f32 v32, v10, v22
	s_delay_alu instid0(VALU_DEP_1) | instskip(SKIP_1) | instid1(VALU_DEP_1)
	v_min3_f32 v31, v32, v31, v30
	v_min_f32_e32 v33, v34, v33
	v_min3_f32 v32, v28, v33, v29
	s_delay_alu instid0(VALU_DEP_3)
	v_max_f32_e32 v28, v31, v31
	v_add_co_u32 v29, vcc_lo, v24, v82
	v_add_co_ci_u32_e32 v30, vcc_lo, v25, v83, vcc_lo
	s_mov_b32 vcc_lo, s2
	global_store_b32 v[29:30], v32, off
	s_cbranch_vccz .LBB60_180
; %bb.178:
	v_add_co_u32 v29, vcc_lo, v24, v86
	v_min_f32_e32 v31, 0, v28
	v_add_co_ci_u32_e32 v30, vcc_lo, v25, v87, vcc_lo
	s_mov_b32 s5, 0
	global_store_b32 v[29:30], v31, off
	s_cbranch_execz .LBB60_181
; %bb.179:
	v_mov_b32_e32 v26, s5
	s_branch .LBB60_182
.LBB60_180:
	s_mov_b32 s5, -1
.LBB60_181:
	v_add_co_u32 v29, vcc_lo, v26, v86
	v_add_co_ci_u32_e32 v30, vcc_lo, v27, v87, vcc_lo
	flat_load_b32 v29, v[29:30]
	s_waitcnt vmcnt(0) lgkmcnt(0)
	v_mul_f32_e32 v31, s13, v29
	v_add_co_u32 v29, vcc_lo, v24, v86
	v_add_co_ci_u32_e32 v30, vcc_lo, v25, v87, vcc_lo
	v_add_co_u32 v26, vcc_lo, v26, v84
	s_delay_alu instid0(VALU_DEP_4)
	v_min_f32_e32 v28, v31, v28
	v_add_co_ci_u32_e32 v27, vcc_lo, v27, v85, vcc_lo
	global_store_b32 v[29:30], v28, off
	flat_load_b32 v26, v[26:27]
	s_waitcnt vmcnt(0) lgkmcnt(0)
	v_mul_f32_e32 v26, s13, v26
.LBB60_182:
	v_dual_add_f32 v21, v1, v21 :: v_dual_add_f32 v20, v0, v20
	s_waitcnt lgkmcnt(0)
	v_dual_add_f32 v17, v17, v5 :: v_dual_add_f32 v16, v16, v4
	v_dual_add_f32 v22, v2, v22 :: v_dual_add_nc_u32 v27, 0x78, v133
	s_delay_alu instid0(VALU_DEP_3) | instskip(SKIP_1) | instid1(VALU_DEP_4)
	v_min3_f32 v20, v20, v21, v90
	v_add_f32_e32 v23, v3, v23
	v_min3_f32 v21, v16, v17, v91
	s_delay_alu instid0(VALU_DEP_4) | instskip(SKIP_3) | instid1(VALU_DEP_4)
	v_mad_i64_i32 v[16:17], null, v27, s3, 0
	v_dual_add_f32 v28, v19, v7 :: v_dual_add_f32 v29, v18, v6
	v_mad_i64_i32 v[18:19], null, v27, s0, 0
	v_min_f32_e32 v22, v22, v23
	v_lshlrev_b64 v[16:17], 2, v[16:17]
	s_delay_alu instid0(VALU_DEP_4)
	v_min3_f32 v23, v29, v28, v21
	v_add_co_u32 v21, vcc_lo, v24, v84
	v_lshlrev_b64 v[18:19], 2, v[18:19]
	v_min3_f32 v26, v26, v22, v20
	v_add_co_ci_u32_e32 v22, vcc_lo, v25, v85, vcc_lo
	v_add_co_u32 v16, vcc_lo, s1, v16
	v_add_co_ci_u32_e32 v17, vcc_lo, s4, v17, vcc_lo
	v_add_co_u32 v18, vcc_lo, s8, v18
	v_add_co_ci_u32_e32 v19, vcc_lo, s9, v19, vcc_lo
	v_max_f32_e32 v20, v23, v23
	s_mov_b32 vcc_lo, s2
	global_store_b32 v[21:22], v26, off
	s_cbranch_vccz .LBB60_185
; %bb.183:
	v_add_co_u32 v21, vcc_lo, v16, v80
	v_min_f32_e32 v23, 0, v20
	v_add_co_ci_u32_e32 v22, vcc_lo, v17, v81, vcc_lo
	s_mov_b32 s0, 0
	global_store_b32 v[21:22], v23, off
	s_cbranch_execz .LBB60_186
; %bb.184:
	v_mov_b32_e32 v20, s0
	s_branch .LBB60_187
.LBB60_185:
	s_mov_b32 s0, -1
.LBB60_186:
	v_add_co_u32 v21, vcc_lo, v18, v80
	v_add_co_ci_u32_e32 v22, vcc_lo, v19, v81, vcc_lo
	flat_load_b32 v21, v[21:22]
	s_waitcnt vmcnt(0) lgkmcnt(0)
	v_mul_f32_e32 v23, s13, v21
	v_add_co_u32 v21, vcc_lo, v16, v80
	v_add_co_ci_u32_e32 v22, vcc_lo, v17, v81, vcc_lo
	s_delay_alu instid0(VALU_DEP_3)
	v_min_f32_e32 v20, v23, v20
	v_add_co_u32 v23, vcc_lo, v18, v82
	v_add_co_ci_u32_e32 v24, vcc_lo, v19, v83, vcc_lo
	global_store_b32 v[21:22], v20, off
	flat_load_b32 v20, v[23:24]
	s_waitcnt vmcnt(0) lgkmcnt(0)
	v_mul_f32_e32 v20, s13, v20
.LBB60_187:
	v_dual_add_f32 v9, v9, v5 :: v_dual_add_f32 v8, v8, v4
	v_dual_add_f32 v13, v13, v5 :: v_dual_add_f32 v12, v12, v4
	;; [unrolled: 1-line block ×3, first 2 shown]
	s_delay_alu instid0(VALU_DEP_3) | instskip(SKIP_1) | instid1(VALU_DEP_4)
	v_min3_f32 v8, v8, v9, v89
	v_dual_add_f32 v9, v11, v7 :: v_dual_add_f32 v10, v10, v6
	v_min3_f32 v12, v12, v13, v88
	s_delay_alu instid0(VALU_DEP_2) | instskip(SKIP_3) | instid1(VALU_DEP_4)
	v_min3_f32 v8, v10, v9, v8
	v_min_f32_e32 v11, v14, v15
	v_add_co_u32 v9, vcc_lo, v16, v82
	v_add_co_ci_u32_e32 v10, vcc_lo, v17, v83, vcc_lo
	v_max_f32_e32 v8, v8, v8
	s_delay_alu instid0(VALU_DEP_4)
	v_min3_f32 v11, v20, v11, v12
	s_mov_b32 vcc_lo, s2
	global_store_b32 v[9:10], v11, off
	s_cbranch_vccz .LBB60_190
; %bb.188:
	v_add_co_u32 v9, vcc_lo, v16, v86
	v_min_f32_e32 v11, 0, v8
	v_add_co_ci_u32_e32 v10, vcc_lo, v17, v87, vcc_lo
	s_mov_b32 s0, 0
	global_store_b32 v[9:10], v11, off
	s_cbranch_execz .LBB60_191
; %bb.189:
	v_mov_b32_e32 v8, s0
	s_branch .LBB60_192
.LBB60_190:
	s_mov_b32 s0, -1
.LBB60_191:
	v_add_co_u32 v9, vcc_lo, v18, v86
	v_add_co_ci_u32_e32 v10, vcc_lo, v19, v87, vcc_lo
	flat_load_b32 v9, v[9:10]
	s_waitcnt vmcnt(0) lgkmcnt(0)
	v_mul_f32_e32 v11, s13, v9
	v_add_co_u32 v9, vcc_lo, v16, v86
	v_add_co_ci_u32_e32 v10, vcc_lo, v17, v87, vcc_lo
	s_delay_alu instid0(VALU_DEP_3)
	v_min_f32_e32 v8, v11, v8
	v_add_co_u32 v11, vcc_lo, v18, v84
	v_add_co_ci_u32_e32 v12, vcc_lo, v19, v85, vcc_lo
	global_store_b32 v[9:10], v8, off
	flat_load_b32 v8, v[11:12]
	s_waitcnt vmcnt(0) lgkmcnt(0)
	v_mul_f32_e32 v8, s13, v8
.LBB60_192:
	v_dual_add_f32 v3, v3, v7 :: v_dual_add_f32 v2, v2, v6
	v_dual_add_f32 v1, v1, v5 :: v_dual_add_f32 v0, v0, v4
	s_delay_alu instid0(VALU_DEP_2) | instskip(NEXT) | instid1(VALU_DEP_2)
	v_min_f32_e32 v2, v2, v3
	v_min3_f32 v0, v0, v1, v98
	s_delay_alu instid0(VALU_DEP_1)
	v_min3_f32 v2, v8, v2, v0
	v_add_co_u32 v0, vcc_lo, v16, v84
	v_add_co_ci_u32_e32 v1, vcc_lo, v17, v85, vcc_lo
	global_store_b32 v[0:1], v2, off
	s_nop 0
	s_sendmsg sendmsg(MSG_DEALLOC_VGPRS)
	s_endpgm
	.section	.rodata,"a",@progbits
	.p2align	6, 0x0
	.amdhsa_kernel _ZN12_GLOBAL__N_120geam_min_plus_kernelIf15HIP_vector_typeIfLj2EEfLi32ELi8ELi128ELi128ELi4ELi4ELi64ELi4ELi64ELc84ELc78ELb0ELb0ELb1EPKfS3_fEEviiiT16_PT17_ilS7_ilS5_S7_ilPT18_ili26rocblas_geam_ex_operation_
		.amdhsa_group_segment_fixed_size 8192
		.amdhsa_private_segment_fixed_size 0
		.amdhsa_kernarg_size 136
		.amdhsa_user_sgpr_count 14
		.amdhsa_user_sgpr_dispatch_ptr 0
		.amdhsa_user_sgpr_queue_ptr 0
		.amdhsa_user_sgpr_kernarg_segment_ptr 1
		.amdhsa_user_sgpr_dispatch_id 0
		.amdhsa_user_sgpr_private_segment_size 0
		.amdhsa_wavefront_size32 1
		.amdhsa_uses_dynamic_stack 0
		.amdhsa_enable_private_segment 0
		.amdhsa_system_sgpr_workgroup_id_x 1
		.amdhsa_system_sgpr_workgroup_id_y 0
		.amdhsa_system_sgpr_workgroup_id_z 1
		.amdhsa_system_sgpr_workgroup_info 0
		.amdhsa_system_vgpr_workitem_id 1
		.amdhsa_next_free_vgpr 210
		.amdhsa_next_free_sgpr 23
		.amdhsa_reserve_vcc 1
		.amdhsa_float_round_mode_32 0
		.amdhsa_float_round_mode_16_64 0
		.amdhsa_float_denorm_mode_32 3
		.amdhsa_float_denorm_mode_16_64 3
		.amdhsa_dx10_clamp 1
		.amdhsa_ieee_mode 1
		.amdhsa_fp16_overflow 0
		.amdhsa_workgroup_processor_mode 1
		.amdhsa_memory_ordered 1
		.amdhsa_forward_progress 0
		.amdhsa_shared_vgpr_count 0
		.amdhsa_exception_fp_ieee_invalid_op 0
		.amdhsa_exception_fp_denorm_src 0
		.amdhsa_exception_fp_ieee_div_zero 0
		.amdhsa_exception_fp_ieee_overflow 0
		.amdhsa_exception_fp_ieee_underflow 0
		.amdhsa_exception_fp_ieee_inexact 0
		.amdhsa_exception_int_div_zero 0
	.end_amdhsa_kernel
	.section	.text._ZN12_GLOBAL__N_120geam_min_plus_kernelIf15HIP_vector_typeIfLj2EEfLi32ELi8ELi128ELi128ELi4ELi4ELi64ELi4ELi64ELc84ELc78ELb0ELb0ELb1EPKfS3_fEEviiiT16_PT17_ilS7_ilS5_S7_ilPT18_ili26rocblas_geam_ex_operation_,"axG",@progbits,_ZN12_GLOBAL__N_120geam_min_plus_kernelIf15HIP_vector_typeIfLj2EEfLi32ELi8ELi128ELi128ELi4ELi4ELi64ELi4ELi64ELc84ELc78ELb0ELb0ELb1EPKfS3_fEEviiiT16_PT17_ilS7_ilS5_S7_ilPT18_ili26rocblas_geam_ex_operation_,comdat
.Lfunc_end60:
	.size	_ZN12_GLOBAL__N_120geam_min_plus_kernelIf15HIP_vector_typeIfLj2EEfLi32ELi8ELi128ELi128ELi4ELi4ELi64ELi4ELi64ELc84ELc78ELb0ELb0ELb1EPKfS3_fEEviiiT16_PT17_ilS7_ilS5_S7_ilPT18_ili26rocblas_geam_ex_operation_, .Lfunc_end60-_ZN12_GLOBAL__N_120geam_min_plus_kernelIf15HIP_vector_typeIfLj2EEfLi32ELi8ELi128ELi128ELi4ELi4ELi64ELi4ELi64ELc84ELc78ELb0ELb0ELb1EPKfS3_fEEviiiT16_PT17_ilS7_ilS5_S7_ilPT18_ili26rocblas_geam_ex_operation_
                                        ; -- End function
	.section	.AMDGPU.csdata,"",@progbits
; Kernel info:
; codeLenInByte = 18200
; NumSgprs: 25
; NumVgprs: 210
; ScratchSize: 0
; MemoryBound: 0
; FloatMode: 240
; IeeeMode: 1
; LDSByteSize: 8192 bytes/workgroup (compile time only)
; SGPRBlocks: 3
; VGPRBlocks: 26
; NumSGPRsForWavesPerEU: 25
; NumVGPRsForWavesPerEU: 210
; Occupancy: 7
; WaveLimiterHint : 0
; COMPUTE_PGM_RSRC2:SCRATCH_EN: 0
; COMPUTE_PGM_RSRC2:USER_SGPR: 14
; COMPUTE_PGM_RSRC2:TRAP_HANDLER: 0
; COMPUTE_PGM_RSRC2:TGID_X_EN: 1
; COMPUTE_PGM_RSRC2:TGID_Y_EN: 0
; COMPUTE_PGM_RSRC2:TGID_Z_EN: 1
; COMPUTE_PGM_RSRC2:TIDIG_COMP_CNT: 1
	.section	.text._ZN12_GLOBAL__N_120geam_min_plus_kernelIf15HIP_vector_typeIfLj2EEfLi32ELi8ELi128ELi128ELi4ELi4ELi64ELi4ELi64ELc84ELc78ELb1ELb0ELb1EfKffEEviiiT16_PT17_ilS6_ilS4_S6_ilPT18_ili26rocblas_geam_ex_operation_,"axG",@progbits,_ZN12_GLOBAL__N_120geam_min_plus_kernelIf15HIP_vector_typeIfLj2EEfLi32ELi8ELi128ELi128ELi4ELi4ELi64ELi4ELi64ELc84ELc78ELb1ELb0ELb1EfKffEEviiiT16_PT17_ilS6_ilS4_S6_ilPT18_ili26rocblas_geam_ex_operation_,comdat
	.globl	_ZN12_GLOBAL__N_120geam_min_plus_kernelIf15HIP_vector_typeIfLj2EEfLi32ELi8ELi128ELi128ELi4ELi4ELi64ELi4ELi64ELc84ELc78ELb1ELb0ELb1EfKffEEviiiT16_PT17_ilS6_ilS4_S6_ilPT18_ili26rocblas_geam_ex_operation_ ; -- Begin function _ZN12_GLOBAL__N_120geam_min_plus_kernelIf15HIP_vector_typeIfLj2EEfLi32ELi8ELi128ELi128ELi4ELi4ELi64ELi4ELi64ELc84ELc78ELb1ELb0ELb1EfKffEEviiiT16_PT17_ilS6_ilS4_S6_ilPT18_ili26rocblas_geam_ex_operation_
	.p2align	8
	.type	_ZN12_GLOBAL__N_120geam_min_plus_kernelIf15HIP_vector_typeIfLj2EEfLi32ELi8ELi128ELi128ELi4ELi4ELi64ELi4ELi64ELc84ELc78ELb1ELb0ELb1EfKffEEviiiT16_PT17_ilS6_ilS4_S6_ilPT18_ili26rocblas_geam_ex_operation_,@function
_ZN12_GLOBAL__N_120geam_min_plus_kernelIf15HIP_vector_typeIfLj2EEfLi32ELi8ELi128ELi128ELi4ELi4ELi64ELi4ELi64ELc84ELc78ELb1ELb0ELb1EfKffEEviiiT16_PT17_ilS6_ilS4_S6_ilPT18_ili26rocblas_geam_ex_operation_: ; @_ZN12_GLOBAL__N_120geam_min_plus_kernelIf15HIP_vector_typeIfLj2EEfLi32ELi8ELi128ELi128ELi4ELi4ELi64ELi4ELi64ELc84ELc78ELb1ELb0ELb1EfKffEEviiiT16_PT17_ilS6_ilS4_S6_ilPT18_ili26rocblas_geam_ex_operation_
; %bb.0:
	s_clause 0x1
	s_load_b64 s[8:9], s[0:1], 0x8
	s_load_b128 s[4:7], s[0:1], 0x20
	s_waitcnt lgkmcnt(0)
	v_cmp_eq_f32_e64 s2, s9, 0
	s_delay_alu instid0(VALU_DEP_1)
	s_and_b32 vcc_lo, exec_lo, s2
	s_cbranch_vccnz .LBB61_3
; %bb.1:
	s_load_b64 s[10:11], s[0:1], 0x10
	s_mul_i32 s3, s15, s5
	s_mul_hi_u32 s5, s15, s4
	s_mul_i32 s4, s15, s4
	s_add_i32 s5, s5, s3
	s_delay_alu instid0(SALU_CYCLE_1)
	s_lshl_b64 s[4:5], s[4:5], 2
	s_waitcnt lgkmcnt(0)
	s_add_u32 s10, s10, s4
	s_addc_u32 s11, s11, s5
	s_and_not1_b32 vcc_lo, exec_lo, s2
	s_cbranch_vccnz .LBB61_4
.LBB61_2:
	s_mov_b32 s9, 0
	s_mov_b64 s[12:13], 0
	s_cbranch_execz .LBB61_5
	s_branch .LBB61_6
.LBB61_3:
	s_mov_b64 s[10:11], 0
	s_and_not1_b32 vcc_lo, exec_lo, s2
	s_cbranch_vccz .LBB61_2
.LBB61_4:
	s_mov_b32 s9, -1
                                        ; implicit-def: $sgpr12_sgpr13
.LBB61_5:
	s_load_b64 s[2:3], s[0:1], 0x38
	s_mov_b32 s9, 0
	s_waitcnt lgkmcnt(0)
	s_mul_i32 s3, s15, s3
	s_mul_hi_u32 s4, s15, s2
	s_mul_i32 s2, s15, s2
	s_add_i32 s3, s4, s3
	s_delay_alu instid0(SALU_CYCLE_1) | instskip(NEXT) | instid1(SALU_CYCLE_1)
	s_lshl_b64 s[2:3], s[2:3], 2
	s_add_u32 s12, s6, s2
	s_addc_u32 s13, s7, s3
.LBB61_6:
	s_clause 0x1
	s_load_b32 s3, s[0:1], 0x40
	s_load_b128 s[4:7], s[0:1], 0x58
	s_waitcnt lgkmcnt(0)
	v_cmp_eq_f32_e64 s2, s3, 0
	s_delay_alu instid0(VALU_DEP_1) | instskip(NEXT) | instid1(SALU_CYCLE_1)
	s_and_b32 s2, exec_lo, s2
	s_mov_b32 vcc_lo, s2
	s_cbranch_vccnz .LBB61_8
; %bb.7:
	s_load_b64 s[16:17], s[0:1], 0x48
	s_mul_i32 s5, s15, s5
	s_mul_hi_u32 s18, s15, s4
	s_delay_alu instid0(SALU_CYCLE_1) | instskip(SKIP_3) | instid1(SALU_CYCLE_1)
	s_add_i32 s5, s18, s5
	s_mul_i32 s18, s9, s4
	s_mul_i32 s4, s15, s4
	s_add_i32 s5, s5, s18
	s_lshl_b64 s[4:5], s[4:5], 2
	s_waitcnt lgkmcnt(0)
	s_add_u32 s4, s16, s4
	s_addc_u32 s5, s17, s5
	s_branch .LBB61_9
.LBB61_8:
	s_mov_b64 s[4:5], 0
.LBB61_9:
	s_clause 0x2
	s_load_b32 s16, s[0:1], 0x0
	s_load_b32 s18, s[0:1], 0x18
	;; [unrolled: 1-line block ×3, first 2 shown]
	v_and_b32_e32 v89, 0x3ff, v0
	v_bfe_u32 v88, v0, 10, 10
	s_delay_alu instid0(VALU_DEP_2) | instskip(NEXT) | instid1(VALU_DEP_2)
	v_lshlrev_b32_e32 v90, 4, v89
	v_lshl_add_u32 v0, v88, 5, v89
	s_delay_alu instid0(VALU_DEP_1) | instskip(SKIP_2) | instid1(SALU_CYCLE_1)
	v_lshrrev_b32_e32 v8, 2, v0
	s_waitcnt lgkmcnt(0)
	s_add_i32 s16, s16, -1
	s_ashr_i32 s19, s16, 31
	s_delay_alu instid0(SALU_CYCLE_1) | instskip(NEXT) | instid1(SALU_CYCLE_1)
	s_lshr_b32 s19, s19, 25
	s_add_i32 s16, s16, s19
	s_delay_alu instid0(SALU_CYCLE_1) | instskip(NEXT) | instid1(SALU_CYCLE_1)
	s_ashr_i32 s16, s16, 7
	s_add_i32 s19, s16, 1
	s_not_b32 s16, s16
	v_cvt_f32_u32_e32 v1, s19
	s_delay_alu instid0(VALU_DEP_1) | instskip(SKIP_2) | instid1(VALU_DEP_1)
	v_rcp_iflag_f32_e32 v1, v1
	s_waitcnt_depctr 0xfff
	v_mul_f32_e32 v1, 0x4f7ffffe, v1
	v_cvt_u32_f32_e32 v1, v1
	s_delay_alu instid0(VALU_DEP_1) | instskip(SKIP_1) | instid1(VALU_DEP_2)
	v_readfirstlane_b32 s20, v1
	v_and_b32_e32 v1, 3, v89
	s_mul_i32 s16, s16, s20
	s_delay_alu instid0(VALU_DEP_1) | instskip(SKIP_1) | instid1(SALU_CYCLE_1)
	v_lshlrev_b32_e32 v92, 2, v1
	s_mul_hi_u32 s16, s20, s16
	s_add_i32 s20, s20, s16
	s_delay_alu instid0(VALU_DEP_1) | instskip(SKIP_1) | instid1(SALU_CYCLE_1)
	v_lshl_or_b32 v93, v8, 4, v92
	s_mul_hi_u32 s16, s14, s20
	s_mul_i32 s20, s16, s19
	s_add_i32 s21, s16, 1
	s_sub_i32 s20, s14, s20
	s_delay_alu instid0(SALU_CYCLE_1)
	s_sub_i32 s22, s20, s19
	s_cmp_ge_u32 s20, s19
	s_cselect_b32 s16, s21, s16
	s_cselect_b32 s20, s22, s20
	s_add_i32 s21, s16, 1
	s_cmp_ge_u32 s20, s19
	s_cselect_b32 s16, s21, s16
	s_delay_alu instid0(SALU_CYCLE_1)
	s_mul_i32 s19, s16, s19
	s_lshl_b32 s16, s16, 7
	s_sub_i32 s14, s14, s19
	v_add_co_u32 v4, s19, s10, v92
	s_lshl_b32 s14, s14, 7
	v_add_co_ci_u32_e64 v5, null, s11, 0, s19
	v_add_nc_u32_e32 v2, s14, v8
	s_cmp_lt_i32 s8, 9
	s_delay_alu instid0(VALU_DEP_1) | instskip(SKIP_1) | instid1(VALU_DEP_2)
	v_add_nc_u32_e32 v6, 64, v2
	v_mad_i64_i32 v[0:1], null, v2, s18, 0
	v_mad_i64_i32 v[2:3], null, v6, s18, 0
	v_add_nc_u32_e32 v6, s16, v8
	v_add_co_u32 v11, s18, s12, v92
	s_delay_alu instid0(VALU_DEP_4) | instskip(SKIP_3) | instid1(VALU_DEP_4)
	v_lshlrev_b64 v[80:81], 2, v[0:1]
	v_add_co_ci_u32_e64 v12, null, s13, 0, s18
	v_lshlrev_b64 v[82:83], 2, v[2:3]
	v_add_nc_u32_e32 v14, 64, v6
	v_add_co_u32 v0, vcc_lo, v4, v80
	v_add_co_ci_u32_e32 v1, vcc_lo, v5, v81, vcc_lo
	s_delay_alu instid0(VALU_DEP_4)
	v_add_co_u32 v2, vcc_lo, v4, v82
	v_add_co_ci_u32_e32 v3, vcc_lo, v5, v83, vcc_lo
	v_mad_i64_i32 v[4:5], null, v6, s17, 0
	v_mad_i64_i32 v[6:7], null, v14, s17, 0
	s_clause 0x1
	flat_load_b32 v9, v[0:1]
	flat_load_b32 v10, v[2:3]
	v_lshlrev_b64 v[84:85], 2, v[4:5]
	v_lshlrev_b64 v[86:87], 2, v[6:7]
	s_delay_alu instid0(VALU_DEP_2) | instskip(NEXT) | instid1(VALU_DEP_3)
	v_add_co_u32 v4, vcc_lo, v11, v84
	v_add_co_ci_u32_e32 v5, vcc_lo, v12, v85, vcc_lo
	s_delay_alu instid0(VALU_DEP_3) | instskip(NEXT) | instid1(VALU_DEP_4)
	v_add_co_u32 v6, vcc_lo, v11, v86
	v_add_co_ci_u32_e32 v7, vcc_lo, v12, v87, vcc_lo
	s_clause 0x1
	flat_load_b32 v13, v[4:5]
	flat_load_b32 v11, v[6:7]
	s_clause 0x1
	flat_load_b32 v157, v[0:1] offset:16
	flat_load_b32 v158, v[2:3] offset:16
	s_clause 0x1
	flat_load_b32 v159, v[4:5] offset:16
	flat_load_b32 v160, v[6:7] offset:16
	s_waitcnt vmcnt(6) lgkmcnt(6)
	ds_store_2addr_stride64_b32 v93, v9, v10 offset1:4
	s_waitcnt vmcnt(4) lgkmcnt(5)
	ds_store_2addr_stride64_b32 v93, v13, v11 offset0:16 offset1:20
	s_waitcnt vmcnt(0) lgkmcnt(0)
	s_barrier
	buffer_gl0_inv
	ds_load_b128 v[12:15], v90
	ds_load_b128 v[8:11], v90 offset:512
	ds_load_b128 v[4:7], v90 offset:1024
	;; [unrolled: 1-line block ×3, first 2 shown]
	v_lshlrev_b32_e32 v91, 4, v88
	ds_load_b128 v[76:79], v91 offset:4096
	ds_load_b128 v[72:75], v91 offset:4224
	;; [unrolled: 1-line block ×16, first 2 shown]
	ds_store_2addr_stride64_b32 v93, v157, v158 offset0:8 offset1:12
	ds_store_2addr_stride64_b32 v93, v159, v160 offset0:24 offset1:28
	s_waitcnt lgkmcnt(0)
	s_barrier
	buffer_gl0_inv
	v_dual_add_f32 v94, v13, v77 :: v_dual_add_f32 v95, v12, v76
	s_delay_alu instid0(VALU_DEP_1) | instskip(SKIP_1) | instid1(VALU_DEP_1)
	v_min3_f32 v122, v95, v94, 0x7f7fffff
	v_dual_add_f32 v94, v9, v77 :: v_dual_add_f32 v95, v8, v76
	v_min3_f32 v123, v95, v94, 0x7f7fffff
	v_dual_add_f32 v94, v5, v77 :: v_dual_add_f32 v95, v4, v76
	v_dual_add_f32 v77, v1, v77 :: v_dual_add_f32 v76, v0, v76
	s_delay_alu instid0(VALU_DEP_1) | instskip(SKIP_1) | instid1(VALU_DEP_1)
	v_min3_f32 v125, v76, v77, 0x7f7fffff
	v_dual_add_f32 v76, v13, v73 :: v_dual_add_f32 v77, v12, v72
	v_min3_f32 v121, v77, v76, 0x7f7fffff
	v_dual_add_f32 v76, v9, v73 :: v_dual_add_f32 v77, v8, v72
	v_min3_f32 v124, v95, v94, 0x7f7fffff
	s_delay_alu instid0(VALU_DEP_2) | instskip(SKIP_2) | instid1(VALU_DEP_1)
	v_min3_f32 v120, v77, v76, 0x7f7fffff
	v_dual_add_f32 v76, v5, v73 :: v_dual_add_f32 v77, v4, v72
	v_dual_add_f32 v73, v1, v73 :: v_dual_add_f32 v72, v0, v72
	v_min3_f32 v118, v72, v73, 0x7f7fffff
	v_dual_add_f32 v72, v13, v69 :: v_dual_add_f32 v73, v12, v68
	s_delay_alu instid0(VALU_DEP_1) | instskip(SKIP_2) | instid1(VALU_DEP_2)
	v_min3_f32 v117, v73, v72, 0x7f7fffff
	v_dual_add_f32 v72, v9, v69 :: v_dual_add_f32 v73, v8, v68
	v_min3_f32 v119, v77, v76, 0x7f7fffff
	v_min3_f32 v116, v73, v72, 0x7f7fffff
	v_dual_add_f32 v72, v5, v69 :: v_dual_add_f32 v73, v4, v68
	v_dual_add_f32 v69, v1, v69 :: v_dual_add_f32 v68, v0, v68
	s_delay_alu instid0(VALU_DEP_1) | instskip(SKIP_1) | instid1(VALU_DEP_1)
	v_min3_f32 v114, v68, v69, 0x7f7fffff
	v_dual_add_f32 v68, v13, v65 :: v_dual_add_f32 v69, v12, v64
	v_min3_f32 v113, v69, v68, 0x7f7fffff
	v_dual_add_f32 v68, v9, v65 :: v_dual_add_f32 v69, v8, v64
	v_min3_f32 v115, v73, v72, 0x7f7fffff
	s_delay_alu instid0(VALU_DEP_2) | instskip(SKIP_2) | instid1(VALU_DEP_1)
	v_min3_f32 v112, v69, v68, 0x7f7fffff
	v_dual_add_f32 v68, v5, v65 :: v_dual_add_f32 v69, v4, v64
	v_dual_add_f32 v65, v1, v65 :: v_dual_add_f32 v64, v0, v64
	v_min3_f32 v110, v64, v65, 0x7f7fffff
	v_dual_add_f32 v64, v13, v61 :: v_dual_add_f32 v65, v12, v60
	s_delay_alu instid0(VALU_DEP_1) | instskip(SKIP_2) | instid1(VALU_DEP_2)
	v_min3_f32 v109, v65, v64, 0x7f7fffff
	v_dual_add_f32 v64, v9, v61 :: v_dual_add_f32 v65, v8, v60
	v_min3_f32 v111, v69, v68, 0x7f7fffff
	v_min3_f32 v108, v65, v64, 0x7f7fffff
	v_dual_add_f32 v64, v5, v61 :: v_dual_add_f32 v65, v4, v60
	v_dual_add_f32 v61, v1, v61 :: v_dual_add_f32 v60, v0, v60
	s_delay_alu instid0(VALU_DEP_1) | instskip(SKIP_1) | instid1(VALU_DEP_1)
	v_min3_f32 v106, v60, v61, 0x7f7fffff
	v_dual_add_f32 v60, v13, v57 :: v_dual_add_f32 v61, v12, v56
	v_min3_f32 v105, v61, v60, 0x7f7fffff
	v_dual_add_f32 v60, v9, v57 :: v_dual_add_f32 v61, v8, v56
	v_min3_f32 v107, v65, v64, 0x7f7fffff
	s_delay_alu instid0(VALU_DEP_2) | instskip(SKIP_2) | instid1(VALU_DEP_1)
	v_min3_f32 v104, v61, v60, 0x7f7fffff
	v_dual_add_f32 v60, v5, v57 :: v_dual_add_f32 v61, v4, v56
	v_dual_add_f32 v57, v1, v57 :: v_dual_add_f32 v56, v0, v56
	v_min3_f32 v102, v56, v57, 0x7f7fffff
	v_dual_add_f32 v56, v13, v53 :: v_dual_add_f32 v57, v12, v52
	s_delay_alu instid0(VALU_DEP_1) | instskip(SKIP_2) | instid1(VALU_DEP_2)
	v_min3_f32 v101, v57, v56, 0x7f7fffff
	v_dual_add_f32 v56, v9, v53 :: v_dual_add_f32 v57, v8, v52
	v_min3_f32 v103, v61, v60, 0x7f7fffff
	v_min3_f32 v100, v57, v56, 0x7f7fffff
	v_dual_add_f32 v56, v5, v53 :: v_dual_add_f32 v57, v4, v52
	v_dual_add_f32 v53, v1, v53 :: v_dual_add_f32 v52, v0, v52
	s_delay_alu instid0(VALU_DEP_1) | instskip(SKIP_1) | instid1(VALU_DEP_1)
	v_min3_f32 v98, v52, v53, 0x7f7fffff
	v_dual_add_f32 v52, v13, v49 :: v_dual_add_f32 v53, v12, v48
	v_min3_f32 v97, v53, v52, 0x7f7fffff
	v_dual_add_f32 v52, v9, v49 :: v_dual_add_f32 v53, v8, v48
	v_min3_f32 v99, v57, v56, 0x7f7fffff
	s_delay_alu instid0(VALU_DEP_2) | instskip(SKIP_2) | instid1(VALU_DEP_1)
	v_min3_f32 v96, v53, v52, 0x7f7fffff
	v_dual_add_f32 v52, v5, v49 :: v_dual_add_f32 v53, v4, v48
	v_dual_add_f32 v49, v1, v49 :: v_dual_add_f32 v48, v0, v48
	v_min3_f32 v94, v48, v49, 0x7f7fffff
	v_dual_add_f32 v48, v13, v45 :: v_dual_add_f32 v49, v12, v44
	s_delay_alu instid0(VALU_DEP_1) | instskip(SKIP_2) | instid1(VALU_DEP_2)
	v_min3_f32 v77, v49, v48, 0x7f7fffff
	v_dual_add_f32 v48, v9, v45 :: v_dual_add_f32 v49, v8, v44
	v_min3_f32 v95, v53, v52, 0x7f7fffff
	v_min3_f32 v76, v49, v48, 0x7f7fffff
	v_dual_add_f32 v48, v5, v45 :: v_dual_add_f32 v49, v4, v44
	v_dual_add_f32 v45, v1, v45 :: v_dual_add_f32 v44, v0, v44
	s_delay_alu instid0(VALU_DEP_1) | instskip(SKIP_1) | instid1(VALU_DEP_1)
	v_min3_f32 v72, v44, v45, 0x7f7fffff
	v_dual_add_f32 v44, v13, v41 :: v_dual_add_f32 v45, v12, v40
	v_min3_f32 v69, v45, v44, 0x7f7fffff
	v_dual_add_f32 v44, v9, v41 :: v_dual_add_f32 v45, v8, v40
	v_min3_f32 v73, v49, v48, 0x7f7fffff
	v_add_f32_e32 v48, v4, v20
	s_delay_alu instid0(VALU_DEP_3) | instskip(SKIP_2) | instid1(VALU_DEP_1)
	v_min3_f32 v68, v45, v44, 0x7f7fffff
	v_dual_add_f32 v44, v5, v41 :: v_dual_add_f32 v45, v4, v40
	v_dual_add_f32 v41, v1, v41 :: v_dual_add_f32 v40, v0, v40
	v_min3_f32 v64, v40, v41, 0x7f7fffff
	v_dual_add_f32 v40, v13, v37 :: v_dual_add_f32 v41, v12, v36
	s_delay_alu instid0(VALU_DEP_1) | instskip(SKIP_2) | instid1(VALU_DEP_2)
	v_min3_f32 v61, v41, v40, 0x7f7fffff
	v_dual_add_f32 v40, v9, v37 :: v_dual_add_f32 v41, v8, v36
	v_min3_f32 v65, v45, v44, 0x7f7fffff
	v_min3_f32 v60, v41, v40, 0x7f7fffff
	v_dual_add_f32 v40, v5, v37 :: v_dual_add_f32 v41, v4, v36
	v_dual_add_f32 v37, v1, v37 :: v_dual_add_f32 v36, v0, v36
	s_delay_alu instid0(VALU_DEP_1) | instskip(SKIP_1) | instid1(VALU_DEP_1)
	v_min3_f32 v56, v36, v37, 0x7f7fffff
	v_dual_add_f32 v36, v13, v33 :: v_dual_add_f32 v37, v12, v32
	v_min3_f32 v53, v37, v36, 0x7f7fffff
	v_dual_add_f32 v36, v9, v33 :: v_dual_add_f32 v37, v8, v32
	v_min3_f32 v57, v41, v40, 0x7f7fffff
	s_delay_alu instid0(VALU_DEP_2) | instskip(SKIP_2) | instid1(VALU_DEP_1)
	v_min3_f32 v52, v37, v36, 0x7f7fffff
	v_dual_add_f32 v36, v5, v33 :: v_dual_add_f32 v37, v4, v32
	v_dual_add_f32 v33, v1, v33 :: v_dual_add_f32 v32, v0, v32
	v_min3_f32 v45, v32, v33, 0x7f7fffff
	v_dual_add_f32 v32, v13, v29 :: v_dual_add_f32 v33, v12, v28
	s_delay_alu instid0(VALU_DEP_1) | instskip(SKIP_2) | instid1(VALU_DEP_2)
	v_min3_f32 v44, v33, v32, 0x7f7fffff
	v_dual_add_f32 v32, v9, v29 :: v_dual_add_f32 v33, v8, v28
	v_min3_f32 v49, v37, v36, 0x7f7fffff
	v_min3_f32 v41, v33, v32, 0x7f7fffff
	v_dual_add_f32 v32, v5, v29 :: v_dual_add_f32 v33, v4, v28
	v_dual_add_f32 v29, v1, v29 :: v_dual_add_f32 v28, v0, v28
	s_delay_alu instid0(VALU_DEP_1) | instskip(SKIP_1) | instid1(VALU_DEP_1)
	v_min3_f32 v37, v28, v29, 0x7f7fffff
	v_dual_add_f32 v28, v13, v25 :: v_dual_add_f32 v29, v12, v24
	v_min3_f32 v36, v29, v28, 0x7f7fffff
	v_dual_add_f32 v28, v9, v25 :: v_dual_add_f32 v29, v8, v24
	v_min3_f32 v40, v33, v32, 0x7f7fffff
	s_delay_alu instid0(VALU_DEP_2) | instskip(SKIP_3) | instid1(VALU_DEP_3)
	v_min3_f32 v33, v29, v28, 0x7f7fffff
	v_dual_add_f32 v28, v5, v25 :: v_dual_add_f32 v29, v4, v24
	v_dual_add_f32 v25, v1, v25 :: v_dual_add_f32 v24, v0, v24
	v_add_f32_e32 v4, v4, v16
	v_min3_f32 v32, v29, v28, 0x7f7fffff
	s_delay_alu instid0(VALU_DEP_3) | instskip(SKIP_2) | instid1(VALU_DEP_2)
	v_min3_f32 v29, v24, v25, 0x7f7fffff
	v_dual_add_f32 v24, v13, v21 :: v_dual_add_f32 v25, v12, v20
	v_dual_add_f32 v13, v13, v17 :: v_dual_add_f32 v12, v12, v16
	v_min3_f32 v28, v25, v24, 0x7f7fffff
	v_dual_add_f32 v24, v9, v21 :: v_dual_add_f32 v25, v8, v20
	v_add_f32_e32 v20, v0, v20
	v_add_f32_e32 v8, v8, v16
	v_dual_add_f32 v0, v0, v16 :: v_dual_add_f32 v9, v9, v17
	s_delay_alu instid0(VALU_DEP_4)
	v_min3_f32 v25, v25, v24, 0x7f7fffff
	v_add_f32_e32 v24, v5, v21
	v_add_f32_e32 v21, v1, v21
	;; [unrolled: 1-line block ×4, first 2 shown]
	v_min3_f32 v12, v12, v13, 0x7f7fffff
	v_min3_f32 v24, v48, v24, 0x7f7fffff
	v_min3_f32 v20, v20, v21, 0x7f7fffff
	v_min3_f32 v4, v4, v5, 0x7f7fffff
	v_min3_f32 v0, v0, v1, 0x7f7fffff
	v_add_f32_e32 v1, v15, v79
	v_add_f32_e32 v5, v14, v78
	v_min3_f32 v8, v8, v9, 0x7f7fffff
	s_delay_alu instid0(VALU_DEP_2) | instskip(SKIP_2) | instid1(VALU_DEP_1)
	v_min3_f32 v48, v5, v1, v122
	v_add_f32_e32 v1, v11, v79
	v_add_f32_e32 v5, v10, v78
	v_min3_f32 v142, v5, v1, v123
	v_add_f32_e32 v1, v7, v79
	v_add_f32_e32 v5, v6, v78
	s_delay_alu instid0(VALU_DEP_1) | instskip(SKIP_2) | instid1(VALU_DEP_1)
	v_min3_f32 v150, v5, v1, v124
	v_add_f32_e32 v1, v3, v79
	v_add_f32_e32 v5, v2, v78
	v_min3_f32 v128, v5, v1, v125
	v_add_f32_e32 v1, v15, v75
	v_add_f32_e32 v5, v14, v74
	s_delay_alu instid0(VALU_DEP_1) | instskip(SKIP_2) | instid1(VALU_DEP_1)
	;; [unrolled: 7-line block ×28, first 2 shown]
	v_min3_f32 v109, v5, v1, v28
	v_add_f32_e32 v1, v11, v23
	v_add_f32_e32 v5, v10, v22
	v_min3_f32 v98, v5, v1, v25
	v_add_f32_e32 v1, v7, v23
	v_add_f32_e32 v5, v6, v22
	s_delay_alu instid0(VALU_DEP_1) | instskip(SKIP_3) | instid1(VALU_DEP_2)
	v_min3_f32 v101, v5, v1, v24
	v_add_f32_e32 v1, v3, v23
	v_add_f32_e32 v5, v2, v22
	v_add_f32_e32 v2, v2, v18
	v_min3_f32 v95, v5, v1, v20
	v_add_f32_e32 v1, v15, v19
	v_add_f32_e32 v5, v14, v18
	s_delay_alu instid0(VALU_DEP_1) | instskip(SKIP_2) | instid1(VALU_DEP_1)
	v_min3_f32 v99, v5, v1, v12
	v_add_f32_e32 v1, v11, v19
	v_add_f32_e32 v5, v10, v18
	v_min3_f32 v94, v5, v1, v8
	v_add_f32_e32 v1, v7, v19
	v_add_f32_e32 v5, v6, v18
	s_delay_alu instid0(VALU_DEP_1) | instskip(SKIP_1) | instid1(VALU_DEP_1)
	v_min3_f32 v96, v5, v1, v4
	v_add_f32_e32 v1, v3, v19
	v_min3_f32 v156, v2, v1, v0
	s_cbranch_scc1 .LBB61_12
; %bb.10:
	v_add_co_u32 v86, vcc_lo, s12, v86
	v_add_co_ci_u32_e32 v87, vcc_lo, s13, v87, vcc_lo
	v_add_co_u32 v84, vcc_lo, s12, v84
	v_add_co_ci_u32_e32 v85, vcc_lo, s13, v85, vcc_lo
	;; [unrolled: 2-line block ×3, first 2 shown]
	v_add_co_u32 v80, vcc_lo, s10, v80
	v_add_nc_u32_e32 v157, 0x1000, v93
	v_add_nc_u32_e32 v158, 0x1000, v91
	;; [unrolled: 1-line block ×4, first 2 shown]
	v_lshl_add_u32 v161, v89, 4, 0x800
	v_lshl_add_u32 v162, v88, 4, 0x1800
	v_add_co_ci_u32_e32 v81, vcc_lo, s11, v81, vcc_lo
	s_add_i32 s8, s8, -8
	s_mov_b32 s10, 0
.LBB61_11:                              ; =>This Inner Loop Header: Depth=1
	v_add_co_u32 v77, vcc_lo, v86, v92
	v_add_co_ci_u32_e32 v78, vcc_lo, 0, v87, vcc_lo
	v_add_co_u32 v164, vcc_lo, v84, v92
	v_add_co_ci_u32_e32 v165, vcc_lo, 0, v85, vcc_lo
	;; [unrolled: 2-line block ×4, first 2 shown]
	flat_load_b32 v166, v[171:172] offset:32
	flat_load_b32 v79, v[77:78] offset:32
	;; [unrolled: 1-line block ×4, first 2 shown]
	ds_load_b128 v[0:3], v161
	ds_load_b128 v[4:7], v161 offset:512
	ds_load_b128 v[8:11], v161 offset:1024
	;; [unrolled: 1-line block ×3, first 2 shown]
	ds_load_b128 v[12:15], v162
	ds_load_b128 v[20:23], v162 offset:128
	ds_load_b128 v[24:27], v162 offset:256
	;; [unrolled: 1-line block ×15, first 2 shown]
	v_add_co_u32 v86, vcc_lo, v86, 32
	v_add_co_ci_u32_e32 v87, vcc_lo, 0, v87, vcc_lo
	v_add_co_u32 v84, vcc_lo, v84, 32
	v_add_co_ci_u32_e32 v85, vcc_lo, 0, v85, vcc_lo
	;; [unrolled: 2-line block ×4, first 2 shown]
	s_add_i32 s10, s10, 8
	s_waitcnt vmcnt(0) lgkmcnt(20)
	ds_store_2addr_stride64_b32 v93, v175, v166 offset1:4
	ds_store_2addr_stride64_b32 v157, v163, v79 offset1:4
	s_waitcnt lgkmcnt(0)
	s_barrier
	buffer_gl0_inv
	flat_load_b32 v163, v[77:78] offset:48
	flat_load_b32 v164, v[164:165] offset:48
	;; [unrolled: 1-line block ×4, first 2 shown]
	v_add_f32_e32 v79, v17, v168
	v_add_f32_e32 v171, v16, v167
	v_dual_add_f32 v77, v19, v170 :: v_dual_add_f32 v78, v18, v169
	s_cmp_ge_i32 s10, s8
	s_delay_alu instid0(VALU_DEP_2) | instskip(SKIP_1) | instid1(VALU_DEP_2)
	v_min3_f32 v79, v171, v79, v156
	v_add_f32_e32 v171, v8, v167
	v_min3_f32 v156, v78, v77, v79
	v_add_f32_e32 v79, v9, v168
	v_dual_add_f32 v77, v11, v170 :: v_dual_add_f32 v78, v10, v169
	s_delay_alu instid0(VALU_DEP_2) | instskip(SKIP_2) | instid1(VALU_DEP_3)
	v_min3_f32 v79, v171, v79, v96
	v_add_f32_e32 v171, v4, v167
	v_add_f32_e32 v167, v0, v167
	v_min3_f32 v96, v78, v77, v79
	v_add_f32_e32 v79, v5, v168
	v_dual_add_f32 v77, v7, v170 :: v_dual_add_f32 v78, v6, v169
	s_delay_alu instid0(VALU_DEP_2) | instskip(NEXT) | instid1(VALU_DEP_1)
	v_min3_f32 v79, v171, v79, v94
	v_min3_f32 v94, v78, v77, v79
	v_add_f32_e32 v79, v1, v168
	v_dual_add_f32 v77, v3, v170 :: v_dual_add_f32 v78, v2, v169
	s_delay_alu instid0(VALU_DEP_2) | instskip(SKIP_1) | instid1(VALU_DEP_2)
	v_min3_f32 v79, v167, v79, v99
	v_add_f32_e32 v167, v16, v73
	v_min3_f32 v99, v78, v77, v79
	v_add_f32_e32 v79, v17, v74
	v_dual_add_f32 v77, v19, v76 :: v_dual_add_f32 v78, v18, v75
	s_delay_alu instid0(VALU_DEP_2) | instskip(SKIP_1) | instid1(VALU_DEP_2)
	v_min3_f32 v79, v167, v79, v95
	v_add_f32_e32 v167, v8, v73
	v_min3_f32 v95, v78, v77, v79
	v_add_f32_e32 v79, v9, v74
	v_dual_add_f32 v77, v11, v76 :: v_dual_add_f32 v78, v10, v75
	s_delay_alu instid0(VALU_DEP_2) | instskip(SKIP_2) | instid1(VALU_DEP_3)
	v_min3_f32 v79, v167, v79, v101
	v_add_f32_e32 v167, v4, v73
	v_add_f32_e32 v73, v0, v73
	v_min3_f32 v101, v78, v77, v79
	v_add_f32_e32 v79, v5, v74
	v_dual_add_f32 v74, v1, v74 :: v_dual_add_f32 v77, v7, v76
	v_add_f32_e32 v78, v6, v75
	v_dual_add_f32 v76, v3, v76 :: v_dual_add_f32 v75, v2, v75
	s_delay_alu instid0(VALU_DEP_3) | instskip(SKIP_1) | instid1(VALU_DEP_2)
	v_min3_f32 v73, v73, v74, v109
	v_add_f32_e32 v74, v18, v71
	v_min3_f32 v109, v75, v76, v73
	v_dual_add_f32 v75, v17, v70 :: v_dual_add_f32 v76, v16, v69
	v_add_f32_e32 v73, v19, v72
	s_delay_alu instid0(VALU_DEP_2) | instskip(SKIP_1) | instid1(VALU_DEP_2)
	v_min3_f32 v75, v76, v75, v97
	v_add_f32_e32 v76, v8, v69
	v_min3_f32 v97, v74, v73, v75
	v_add_f32_e32 v75, v9, v70
	v_dual_add_f32 v73, v11, v72 :: v_dual_add_f32 v74, v10, v71
	s_delay_alu instid0(VALU_DEP_2) | instskip(SKIP_2) | instid1(VALU_DEP_3)
	v_min3_f32 v75, v76, v75, v103
	v_add_f32_e32 v76, v4, v69
	v_add_f32_e32 v69, v0, v69
	v_min3_f32 v103, v74, v73, v75
	v_add_f32_e32 v75, v5, v70
	v_dual_add_f32 v70, v1, v70 :: v_dual_add_f32 v73, v7, v72
	v_add_f32_e32 v74, v6, v71
	v_dual_add_f32 v72, v3, v72 :: v_dual_add_f32 v71, v2, v71
	s_delay_alu instid0(VALU_DEP_3) | instskip(SKIP_1) | instid1(VALU_DEP_2)
	v_min3_f32 v69, v69, v70, v113
	v_add_f32_e32 v70, v18, v67
	v_min3_f32 v113, v71, v72, v69
	v_dual_add_f32 v71, v17, v66 :: v_dual_add_f32 v72, v16, v65
	v_add_f32_e32 v69, v19, v68
	s_delay_alu instid0(VALU_DEP_2) | instskip(SKIP_1) | instid1(VALU_DEP_2)
	v_min3_f32 v71, v72, v71, v102
	v_add_f32_e32 v72, v8, v65
	v_min3_f32 v102, v70, v69, v71
	v_add_f32_e32 v71, v9, v66
	v_dual_add_f32 v69, v11, v68 :: v_dual_add_f32 v70, v10, v67
	s_delay_alu instid0(VALU_DEP_2) | instskip(SKIP_2) | instid1(VALU_DEP_3)
	v_min3_f32 v71, v72, v71, v107
	v_add_f32_e32 v72, v4, v65
	v_add_f32_e32 v65, v0, v65
	v_min3_f32 v107, v70, v69, v71
	v_add_f32_e32 v71, v5, v66
	v_dual_add_f32 v66, v1, v66 :: v_dual_add_f32 v69, v7, v68
	v_add_f32_e32 v70, v6, v67
	v_dual_add_f32 v68, v3, v68 :: v_dual_add_f32 v67, v2, v67
	s_delay_alu instid0(VALU_DEP_3) | instskip(SKIP_2) | instid1(VALU_DEP_3)
	v_min3_f32 v65, v65, v66, v122
	v_add_f32_e32 v66, v18, v63
	v_min3_f32 v79, v167, v79, v98
	v_min3_f32 v122, v67, v68, v65
	v_dual_add_f32 v67, v17, v62 :: v_dual_add_f32 v68, v16, v61
	v_add_f32_e32 v65, v19, v64
	s_delay_alu instid0(VALU_DEP_4) | instskip(NEXT) | instid1(VALU_DEP_3)
	v_min3_f32 v98, v78, v77, v79
	v_min3_f32 v67, v68, v67, v104
	v_add_f32_e32 v68, v8, v61
	v_min3_f32 v75, v76, v75, v100
	s_delay_alu instid0(VALU_DEP_3) | instskip(SKIP_2) | instid1(VALU_DEP_4)
	v_min3_f32 v104, v66, v65, v67
	v_add_f32_e32 v67, v9, v62
	v_dual_add_f32 v65, v11, v64 :: v_dual_add_f32 v66, v10, v63
	v_min3_f32 v100, v74, v73, v75
	s_delay_alu instid0(VALU_DEP_3) | instskip(SKIP_2) | instid1(VALU_DEP_3)
	v_min3_f32 v67, v68, v67, v111
	v_add_f32_e32 v68, v4, v61
	v_add_f32_e32 v61, v0, v61
	v_min3_f32 v111, v66, v65, v67
	v_add_f32_e32 v67, v5, v62
	v_dual_add_f32 v62, v1, v62 :: v_dual_add_f32 v65, v7, v64
	v_add_f32_e32 v66, v6, v63
	v_dual_add_f32 v64, v3, v64 :: v_dual_add_f32 v63, v2, v63
	s_delay_alu instid0(VALU_DEP_3) | instskip(SKIP_1) | instid1(VALU_DEP_2)
	v_min3_f32 v61, v61, v62, v126
	v_add_f32_e32 v62, v18, v59
	v_min3_f32 v126, v63, v64, v61
	v_dual_add_f32 v63, v17, v58 :: v_dual_add_f32 v64, v16, v57
	v_add_f32_e32 v61, v19, v60
	s_delay_alu instid0(VALU_DEP_2) | instskip(SKIP_2) | instid1(VALU_DEP_3)
	v_min3_f32 v63, v64, v63, v108
	v_add_f32_e32 v64, v8, v57
	v_min3_f32 v71, v72, v71, v105
	v_min3_f32 v108, v62, v61, v63
	v_add_f32_e32 v63, v9, v58
	v_dual_add_f32 v61, v11, v60 :: v_dual_add_f32 v62, v10, v59
	s_delay_alu instid0(VALU_DEP_4) | instskip(NEXT) | instid1(VALU_DEP_3)
	v_min3_f32 v105, v70, v69, v71
	v_min3_f32 v63, v64, v63, v118
	v_add_f32_e32 v64, v4, v57
	v_add_f32_e32 v57, v0, v57
	s_delay_alu instid0(VALU_DEP_3) | instskip(SKIP_4) | instid1(VALU_DEP_3)
	v_min3_f32 v118, v62, v61, v63
	v_add_f32_e32 v63, v5, v58
	v_dual_add_f32 v58, v1, v58 :: v_dual_add_f32 v61, v7, v60
	v_add_f32_e32 v62, v6, v59
	v_dual_add_f32 v60, v3, v60 :: v_dual_add_f32 v59, v2, v59
	v_min3_f32 v57, v57, v58, v133
	v_add_f32_e32 v58, v18, v55
	s_delay_alu instid0(VALU_DEP_2) | instskip(SKIP_2) | instid1(VALU_DEP_2)
	v_min3_f32 v167, v59, v60, v57
	v_dual_add_f32 v59, v17, v54 :: v_dual_add_f32 v60, v16, v53
	v_add_f32_e32 v57, v19, v56
	v_min3_f32 v59, v60, v59, v112
	v_add_f32_e32 v60, v8, v53
	v_min3_f32 v67, v68, v67, v106
	s_delay_alu instid0(VALU_DEP_3) | instskip(SKIP_2) | instid1(VALU_DEP_4)
	v_min3_f32 v133, v58, v57, v59
	v_add_f32_e32 v59, v9, v54
	v_dual_add_f32 v57, v11, v56 :: v_dual_add_f32 v58, v10, v55
	v_min3_f32 v106, v66, v65, v67
	s_delay_alu instid0(VALU_DEP_3) | instskip(SKIP_2) | instid1(VALU_DEP_3)
	v_min3_f32 v59, v60, v59, v123
	v_add_f32_e32 v60, v4, v53
	v_add_f32_e32 v53, v0, v53
	v_min3_f32 v123, v58, v57, v59
	v_add_f32_e32 v59, v5, v54
	v_dual_add_f32 v54, v1, v54 :: v_dual_add_f32 v57, v7, v56
	v_add_f32_e32 v58, v6, v55
	v_dual_add_f32 v56, v3, v56 :: v_dual_add_f32 v55, v2, v55
	s_delay_alu instid0(VALU_DEP_3) | instskip(SKIP_1) | instid1(VALU_DEP_2)
	v_min3_f32 v53, v53, v54, v138
	v_add_f32_e32 v54, v18, v51
	v_min3_f32 v138, v55, v56, v53
	v_dual_add_f32 v55, v17, v50 :: v_dual_add_f32 v56, v16, v49
	v_add_f32_e32 v53, v19, v52
	s_delay_alu instid0(VALU_DEP_2) | instskip(SKIP_2) | instid1(VALU_DEP_3)
	v_min3_f32 v55, v56, v55, v110
	v_add_f32_e32 v56, v8, v49
	v_min3_f32 v63, v64, v63, v114
	v_min3_f32 v168, v54, v53, v55
	v_add_f32_e32 v55, v9, v50
	v_dual_add_f32 v53, v11, v52 :: v_dual_add_f32 v54, v10, v51
	s_delay_alu instid0(VALU_DEP_4) | instskip(NEXT) | instid1(VALU_DEP_3)
	v_min3_f32 v114, v62, v61, v63
	v_min3_f32 v55, v56, v55, v121
	v_add_f32_e32 v56, v4, v49
	v_add_f32_e32 v49, v0, v49
	s_delay_alu instid0(VALU_DEP_3) | instskip(SKIP_4) | instid1(VALU_DEP_3)
	v_min3_f32 v169, v54, v53, v55
	v_add_f32_e32 v55, v5, v50
	v_dual_add_f32 v50, v1, v50 :: v_dual_add_f32 v53, v7, v52
	v_add_f32_e32 v54, v6, v51
	v_dual_add_f32 v52, v3, v52 :: v_dual_add_f32 v51, v2, v51
	v_min3_f32 v49, v49, v50, v135
	v_add_f32_e32 v50, v18, v46
	s_delay_alu instid0(VALU_DEP_2) | instskip(SKIP_2) | instid1(VALU_DEP_2)
	v_min3_f32 v135, v51, v52, v49
	v_dual_add_f32 v51, v17, v45 :: v_dual_add_f32 v52, v16, v44
	v_add_f32_e32 v49, v19, v47
	v_min3_f32 v51, v52, v51, v115
	v_add_f32_e32 v52, v8, v44
	v_min3_f32 v59, v60, v59, v117
	s_delay_alu instid0(VALU_DEP_3) | instskip(SKIP_2) | instid1(VALU_DEP_4)
	v_min3_f32 v171, v50, v49, v51
	v_add_f32_e32 v51, v9, v45
	v_dual_add_f32 v49, v11, v47 :: v_dual_add_f32 v50, v10, v46
	v_min3_f32 v117, v58, v57, v59
	s_delay_alu instid0(VALU_DEP_3) | instskip(SKIP_2) | instid1(VALU_DEP_3)
	v_min3_f32 v51, v52, v51, v125
	v_add_f32_e32 v52, v4, v44
	v_add_f32_e32 v44, v0, v44
	v_min3_f32 v172, v50, v49, v51
	v_add_f32_e32 v51, v5, v45
	v_add_f32_e32 v45, v1, v45
	v_dual_add_f32 v49, v7, v47 :: v_dual_add_f32 v50, v6, v46
	v_dual_add_f32 v47, v3, v47 :: v_dual_add_f32 v46, v2, v46
	s_delay_alu instid0(VALU_DEP_3) | instskip(SKIP_1) | instid1(VALU_DEP_2)
	v_min3_f32 v44, v44, v45, v140
	v_add_f32_e32 v45, v18, v42
	v_min3_f32 v174, v46, v47, v44
	v_dual_add_f32 v46, v17, v41 :: v_dual_add_f32 v47, v16, v40
	v_add_f32_e32 v44, v19, v43
	s_delay_alu instid0(VALU_DEP_2) | instskip(SKIP_1) | instid1(VALU_DEP_2)
	v_min3_f32 v46, v47, v46, v120
	v_add_f32_e32 v47, v8, v40
	v_min3_f32 v175, v45, v44, v46
	v_add_f32_e32 v46, v9, v41
	v_dual_add_f32 v44, v11, v43 :: v_dual_add_f32 v45, v10, v42
	v_min3_f32 v55, v56, v55, v116
	s_delay_alu instid0(VALU_DEP_3) | instskip(SKIP_2) | instid1(VALU_DEP_4)
	v_min3_f32 v46, v47, v46, v131
	v_add_f32_e32 v47, v4, v40
	v_add_f32_e32 v40, v0, v40
	v_min3_f32 v170, v54, v53, v55
	s_delay_alu instid0(VALU_DEP_4) | instskip(SKIP_4) | instid1(VALU_DEP_3)
	v_min3_f32 v176, v45, v44, v46
	v_add_f32_e32 v46, v5, v41
	v_dual_add_f32 v41, v1, v41 :: v_dual_add_f32 v44, v7, v43
	v_add_f32_e32 v45, v6, v42
	v_dual_add_f32 v43, v3, v43 :: v_dual_add_f32 v42, v2, v42
	v_min3_f32 v40, v40, v41, v148
	v_add_f32_e32 v41, v18, v38
	s_delay_alu instid0(VALU_DEP_2) | instskip(SKIP_2) | instid1(VALU_DEP_2)
	v_min3_f32 v148, v42, v43, v40
	v_dual_add_f32 v42, v17, v37 :: v_dual_add_f32 v43, v16, v36
	v_add_f32_e32 v40, v19, v39
	v_min3_f32 v42, v43, v42, v124
	v_add_f32_e32 v43, v8, v36
	s_delay_alu instid0(VALU_DEP_2) | instskip(SKIP_3) | instid1(VALU_DEP_3)
	v_min3_f32 v178, v41, v40, v42
	v_add_f32_e32 v42, v9, v37
	v_dual_add_f32 v40, v11, v39 :: v_dual_add_f32 v41, v10, v38
	v_min3_f32 v51, v52, v51, v119
	v_min3_f32 v42, v43, v42, v137
	v_add_f32_e32 v43, v4, v36
	v_add_f32_e32 v36, v0, v36
	s_delay_alu instid0(VALU_DEP_4) | instskip(NEXT) | instid1(VALU_DEP_4)
	v_min3_f32 v173, v50, v49, v51
	v_min3_f32 v179, v41, v40, v42
	v_add_f32_e32 v42, v5, v37
	v_dual_add_f32 v37, v1, v37 :: v_dual_add_f32 v40, v7, v39
	v_add_f32_e32 v41, v6, v38
	v_dual_add_f32 v39, v3, v39 :: v_dual_add_f32 v38, v2, v38
	s_delay_alu instid0(VALU_DEP_3) | instskip(SKIP_1) | instid1(VALU_DEP_2)
	v_min3_f32 v36, v36, v37, v151
	v_add_f32_e32 v37, v18, v34
	v_min3_f32 v112, v38, v39, v36
	v_dual_add_f32 v38, v17, v33 :: v_dual_add_f32 v39, v16, v32
	v_add_f32_e32 v36, v19, v35
	s_delay_alu instid0(VALU_DEP_2) | instskip(SKIP_1) | instid1(VALU_DEP_2)
	v_min3_f32 v38, v39, v38, v132
	v_add_f32_e32 v39, v8, v32
	v_min3_f32 v115, v37, v36, v38
	v_add_f32_e32 v38, v9, v33
	v_dual_add_f32 v36, v11, v35 :: v_dual_add_f32 v37, v10, v34
	v_min3_f32 v46, v47, v46, v127
	s_delay_alu instid0(VALU_DEP_3) | instskip(SKIP_2) | instid1(VALU_DEP_4)
	v_min3_f32 v38, v39, v38, v146
	v_add_f32_e32 v39, v4, v32
	v_add_f32_e32 v32, v0, v32
	v_min3_f32 v177, v45, v44, v46
	s_delay_alu instid0(VALU_DEP_4) | instskip(SKIP_4) | instid1(VALU_DEP_3)
	v_min3_f32 v116, v37, v36, v38
	v_add_f32_e32 v38, v5, v33
	v_dual_add_f32 v33, v1, v33 :: v_dual_add_f32 v36, v7, v35
	v_add_f32_e32 v37, v6, v34
	v_dual_add_f32 v35, v3, v35 :: v_dual_add_f32 v34, v2, v34
	v_min3_f32 v32, v32, v33, v153
	v_add_f32_e32 v33, v18, v30
	s_delay_alu instid0(VALU_DEP_2) | instskip(SKIP_2) | instid1(VALU_DEP_2)
	v_min3_f32 v120, v34, v35, v32
	v_dual_add_f32 v34, v17, v29 :: v_dual_add_f32 v35, v16, v28
	v_add_f32_e32 v32, v19, v31
	v_min3_f32 v34, v35, v34, v136
	v_add_f32_e32 v35, v8, v28
	s_delay_alu instid0(VALU_DEP_2) | instskip(SKIP_3) | instid1(VALU_DEP_3)
	v_min3_f32 v121, v33, v32, v34
	v_add_f32_e32 v34, v9, v29
	v_dual_add_f32 v32, v11, v31 :: v_dual_add_f32 v33, v10, v30
	v_min3_f32 v42, v43, v42, v130
	v_min3_f32 v34, v35, v34, v149
	v_add_f32_e32 v35, v4, v28
	v_add_f32_e32 v28, v0, v28
	s_delay_alu instid0(VALU_DEP_4) | instskip(NEXT) | instid1(VALU_DEP_4)
	v_min3_f32 v110, v41, v40, v42
	v_min3_f32 v124, v33, v32, v34
	v_add_f32_e32 v34, v5, v29
	v_dual_add_f32 v29, v1, v29 :: v_dual_add_f32 v32, v7, v31
	v_add_f32_e32 v33, v6, v30
	v_dual_add_f32 v31, v3, v31 :: v_dual_add_f32 v30, v2, v30
	s_delay_alu instid0(VALU_DEP_3) | instskip(SKIP_1) | instid1(VALU_DEP_2)
	v_min3_f32 v28, v28, v29, v155
	v_add_f32_e32 v29, v18, v26
	v_min3_f32 v127, v30, v31, v28
	v_dual_add_f32 v30, v17, v25 :: v_dual_add_f32 v31, v16, v24
	v_add_f32_e32 v28, v19, v27
	s_delay_alu instid0(VALU_DEP_2) | instskip(SKIP_1) | instid1(VALU_DEP_2)
	v_min3_f32 v30, v31, v30, v134
	v_add_f32_e32 v31, v8, v24
	v_min3_f32 v130, v29, v28, v30
	v_add_f32_e32 v30, v9, v25
	v_dual_add_f32 v28, v11, v27 :: v_dual_add_f32 v29, v10, v26
	v_min3_f32 v38, v39, v38, v141
	s_delay_alu instid0(VALU_DEP_3) | instskip(SKIP_2) | instid1(VALU_DEP_4)
	v_min3_f32 v30, v31, v30, v147
	v_add_f32_e32 v31, v4, v24
	v_add_f32_e32 v24, v0, v24
	v_min3_f32 v119, v37, v36, v38
	s_delay_alu instid0(VALU_DEP_4) | instskip(SKIP_4) | instid1(VALU_DEP_3)
	v_min3_f32 v131, v29, v28, v30
	v_add_f32_e32 v30, v5, v25
	v_dual_add_f32 v25, v1, v25 :: v_dual_add_f32 v28, v7, v27
	v_add_f32_e32 v29, v6, v26
	v_dual_add_f32 v27, v3, v27 :: v_dual_add_f32 v26, v2, v26
	v_min3_f32 v24, v24, v25, v154
	v_add_f32_e32 v25, v18, v22
	v_add_f32_e32 v18, v18, v14
	s_delay_alu instid0(VALU_DEP_3) | instskip(SKIP_3) | instid1(VALU_DEP_3)
	v_min3_f32 v134, v26, v27, v24
	v_dual_add_f32 v26, v17, v21 :: v_dual_add_f32 v27, v16, v20
	v_dual_add_f32 v24, v19, v23 :: v_dual_add_f32 v17, v17, v13
	;; [unrolled: 1-line block ×3, first 2 shown]
	v_min3_f32 v26, v27, v26, v129
	v_add_f32_e32 v27, v8, v20
	v_add_f32_e32 v8, v8, v12
	s_delay_alu instid0(VALU_DEP_4) | instskip(NEXT) | instid1(VALU_DEP_4)
	v_min3_f32 v16, v16, v17, v128
	v_min3_f32 v129, v25, v24, v26
	v_add_f32_e32 v26, v9, v21
	v_dual_add_f32 v24, v11, v23 :: v_dual_add_f32 v25, v10, v22
	v_add_f32_e32 v9, v9, v13
	v_min3_f32 v34, v35, v34, v144
	s_delay_alu instid0(VALU_DEP_4)
	v_min3_f32 v26, v27, v26, v145
	v_add_f32_e32 v27, v4, v20
	v_add_f32_e32 v20, v0, v20
	;; [unrolled: 1-line block ×4, first 2 shown]
	v_min3_f32 v136, v25, v24, v26
	v_add_f32_e32 v26, v5, v21
	v_add_f32_e32 v21, v1, v21
	v_add_f32_e32 v5, v5, v13
	v_dual_add_f32 v1, v1, v13 :: v_dual_add_f32 v24, v7, v23
	v_add_f32_e32 v25, v6, v22
	v_min3_f32 v26, v27, v26, v139
	v_dual_add_f32 v23, v3, v23 :: v_dual_add_f32 v22, v2, v22
	v_min3_f32 v20, v20, v21, v152
	v_dual_add_f32 v11, v11, v15 :: v_dual_add_f32 v10, v10, v14
	v_min3_f32 v30, v31, v30, v143
	v_min3_f32 v8, v8, v9, v150
	v_dual_add_f32 v7, v7, v15 :: v_dual_add_f32 v6, v6, v14
	v_min3_f32 v4, v4, v5, v142
	v_dual_add_f32 v3, v3, v15 :: v_dual_add_f32 v2, v2, v14
	v_min3_f32 v0, v0, v1, v48
	v_min3_f32 v125, v33, v32, v34
	;; [unrolled: 1-line block ×9, first 2 shown]
	ds_load_b128 v[16:19], v90
	ds_load_b128 v[8:11], v90 offset:512
	ds_load_b128 v[4:7], v90 offset:1024
	;; [unrolled: 1-line block ×3, first 2 shown]
	ds_load_b128 v[76:79], v158
	ds_load_b128 v[72:75], v158 offset:128
	ds_load_b128 v[68:71], v158 offset:256
	;; [unrolled: 1-line block ×15, first 2 shown]
	s_waitcnt vmcnt(0) lgkmcnt(20)
	ds_store_2addr_stride64_b32 v159, v166, v165 offset1:4
	ds_store_2addr_stride64_b32 v160, v164, v163 offset1:4
	s_waitcnt lgkmcnt(0)
	s_barrier
	buffer_gl0_inv
	v_add_f32_e32 v142, v17, v77
	v_add_f32_e32 v144, v16, v76
	s_delay_alu instid0(VALU_DEP_1) | instskip(SKIP_2) | instid1(VALU_DEP_1)
	v_min3_f32 v128, v144, v142, v128
	v_add_f32_e32 v142, v9, v77
	v_add_f32_e32 v144, v8, v76
	v_min3_f32 v140, v144, v142, v140
	v_add_f32_e32 v142, v5, v77
	v_dual_add_f32 v144, v4, v76 :: v_dual_add_f32 v77, v1, v77
	v_add_f32_e32 v76, v0, v76
	s_delay_alu instid0(VALU_DEP_2) | instskip(NEXT) | instid1(VALU_DEP_2)
	v_min3_f32 v141, v144, v142, v141
	v_min3_f32 v143, v76, v77, v143
	v_dual_add_f32 v76, v17, v73 :: v_dual_add_f32 v77, v16, v72
	s_delay_alu instid0(VALU_DEP_1) | instskip(SKIP_1) | instid1(VALU_DEP_1)
	v_min3_f32 v139, v77, v76, v139
	v_dual_add_f32 v76, v9, v73 :: v_dual_add_f32 v77, v8, v72
	v_min3_f32 v137, v77, v76, v137
	v_dual_add_f32 v76, v5, v73 :: v_dual_add_f32 v77, v4, v72
	v_dual_add_f32 v73, v1, v73 :: v_dual_add_f32 v72, v0, v72
	s_delay_alu instid0(VALU_DEP_1) | instskip(SKIP_1) | instid1(VALU_DEP_1)
	v_min3_f32 v129, v72, v73, v129
	v_dual_add_f32 v72, v17, v69 :: v_dual_add_f32 v73, v16, v68
	v_min3_f32 v134, v73, v72, v134
	v_dual_add_f32 v72, v9, v69 :: v_dual_add_f32 v73, v8, v68
	s_delay_alu instid0(VALU_DEP_1) | instskip(SKIP_3) | instid1(VALU_DEP_2)
	v_min3_f32 v132, v73, v72, v132
	v_dual_add_f32 v72, v5, v69 :: v_dual_add_f32 v73, v4, v68
	v_dual_add_f32 v69, v1, v69 :: v_dual_add_f32 v68, v0, v68
	v_min3_f32 v136, v77, v76, v136
	v_min3_f32 v130, v68, v69, v130
	v_dual_add_f32 v68, v17, v65 :: v_dual_add_f32 v69, v16, v64
	s_delay_alu instid0(VALU_DEP_1) | instskip(SKIP_1) | instid1(VALU_DEP_1)
	v_min3_f32 v127, v69, v68, v127
	v_dual_add_f32 v68, v9, v65 :: v_dual_add_f32 v69, v8, v64
	v_min3_f32 v125, v69, v68, v125
	v_dual_add_f32 v68, v5, v65 :: v_dual_add_f32 v69, v4, v64
	v_dual_add_f32 v65, v1, v65 :: v_dual_add_f32 v64, v0, v64
	v_min3_f32 v131, v73, v72, v131
	s_delay_alu instid0(VALU_DEP_2) | instskip(SKIP_1) | instid1(VALU_DEP_1)
	v_min3_f32 v121, v64, v65, v121
	v_dual_add_f32 v64, v17, v61 :: v_dual_add_f32 v65, v16, v60
	v_min3_f32 v120, v65, v64, v120
	v_dual_add_f32 v64, v9, v61 :: v_dual_add_f32 v65, v8, v60
	s_delay_alu instid0(VALU_DEP_1) | instskip(SKIP_3) | instid1(VALU_DEP_2)
	v_min3_f32 v119, v65, v64, v119
	v_dual_add_f32 v64, v5, v61 :: v_dual_add_f32 v65, v4, v60
	v_dual_add_f32 v61, v1, v61 :: v_dual_add_f32 v60, v0, v60
	v_min3_f32 v124, v69, v68, v124
	v_min3_f32 v115, v60, v61, v115
	v_dual_add_f32 v60, v17, v57 :: v_dual_add_f32 v61, v16, v56
	s_delay_alu instid0(VALU_DEP_1) | instskip(SKIP_1) | instid1(VALU_DEP_1)
	v_min3_f32 v112, v61, v60, v112
	v_dual_add_f32 v60, v9, v57 :: v_dual_add_f32 v61, v8, v56
	v_min3_f32 v110, v61, v60, v110
	v_dual_add_f32 v60, v5, v57 :: v_dual_add_f32 v61, v4, v56
	v_dual_add_f32 v57, v1, v57 :: v_dual_add_f32 v56, v0, v56
	v_min3_f32 v116, v65, v64, v116
	v_add_f32_e32 v64, v4, v48
	s_delay_alu instid0(VALU_DEP_4) | instskip(SKIP_3) | instid1(VALU_DEP_1)
	v_min3_f32 v77, v61, v60, v179
	v_add_f32_e32 v60, v8, v48
	v_min3_f32 v73, v56, v57, v178
	v_dual_add_f32 v56, v17, v53 :: v_dual_add_f32 v57, v16, v52
	v_min3_f32 v65, v57, v56, v148
	v_dual_add_f32 v56, v9, v53 :: v_dual_add_f32 v57, v8, v52
	s_delay_alu instid0(VALU_DEP_1) | instskip(SKIP_2) | instid1(VALU_DEP_2)
	v_min3_f32 v61, v57, v56, v177
	v_dual_add_f32 v56, v5, v53 :: v_dual_add_f32 v57, v4, v52
	v_dual_add_f32 v53, v1, v53 :: v_dual_add_f32 v52, v0, v52
	v_min3_f32 v57, v57, v56, v176
	s_delay_alu instid0(VALU_DEP_2) | instskip(SKIP_2) | instid1(VALU_DEP_2)
	v_min3_f32 v56, v52, v53, v175
	v_dual_add_f32 v52, v17, v49 :: v_dual_add_f32 v53, v16, v48
	v_add_f32_e32 v48, v0, v48
	v_min3_f32 v53, v53, v52, v174
	v_add_f32_e32 v52, v9, v49
	s_delay_alu instid0(VALU_DEP_1) | instskip(SKIP_2) | instid1(VALU_DEP_2)
	v_min3_f32 v52, v60, v52, v173
	v_add_f32_e32 v60, v5, v49
	v_add_f32_e32 v49, v1, v49
	v_min3_f32 v172, v64, v60, v172
	s_delay_alu instid0(VALU_DEP_2) | instskip(SKIP_1) | instid1(VALU_DEP_1)
	v_min3_f32 v171, v48, v49, v171
	v_dual_add_f32 v48, v17, v45 :: v_dual_add_f32 v49, v16, v44
	v_min3_f32 v135, v49, v48, v135
	v_dual_add_f32 v48, v9, v45 :: v_dual_add_f32 v49, v8, v44
	s_delay_alu instid0(VALU_DEP_1) | instskip(SKIP_2) | instid1(VALU_DEP_1)
	v_min3_f32 v170, v49, v48, v170
	v_dual_add_f32 v48, v5, v45 :: v_dual_add_f32 v49, v4, v44
	v_dual_add_f32 v45, v1, v45 :: v_dual_add_f32 v44, v0, v44
	v_min3_f32 v168, v44, v45, v168
	v_dual_add_f32 v44, v17, v41 :: v_dual_add_f32 v45, v16, v40
	s_delay_alu instid0(VALU_DEP_4) | instskip(SKIP_1) | instid1(VALU_DEP_3)
	v_min3_f32 v169, v49, v48, v169
	v_add_f32_e32 v48, v4, v20
	v_min3_f32 v138, v45, v44, v138
	v_dual_add_f32 v44, v9, v41 :: v_dual_add_f32 v45, v8, v40
	s_delay_alu instid0(VALU_DEP_1) | instskip(SKIP_2) | instid1(VALU_DEP_1)
	v_min3_f32 v117, v45, v44, v117
	v_dual_add_f32 v44, v5, v41 :: v_dual_add_f32 v45, v4, v40
	v_dual_add_f32 v41, v1, v41 :: v_dual_add_f32 v40, v0, v40
	v_min3_f32 v133, v40, v41, v133
	v_dual_add_f32 v40, v17, v37 :: v_dual_add_f32 v41, v16, v36
	s_delay_alu instid0(VALU_DEP_4) | instskip(NEXT) | instid1(VALU_DEP_2)
	v_min3_f32 v123, v45, v44, v123
	v_min3_f32 v76, v41, v40, v167
	v_dual_add_f32 v40, v9, v37 :: v_dual_add_f32 v41, v8, v36
	s_delay_alu instid0(VALU_DEP_1) | instskip(SKIP_2) | instid1(VALU_DEP_1)
	v_min3_f32 v72, v41, v40, v114
	v_dual_add_f32 v40, v5, v37 :: v_dual_add_f32 v41, v4, v36
	v_dual_add_f32 v37, v1, v37 :: v_dual_add_f32 v36, v0, v36
	v_min3_f32 v68, v36, v37, v108
	v_dual_add_f32 v36, v17, v33 :: v_dual_add_f32 v37, v16, v32
	s_delay_alu instid0(VALU_DEP_4) | instskip(NEXT) | instid1(VALU_DEP_2)
	v_min3_f32 v69, v41, v40, v118
	;; [unrolled: 10-line block ×4, first 2 shown]
	v_min3_f32 v36, v29, v28, v113
	v_dual_add_f32 v28, v9, v25 :: v_dual_add_f32 v29, v8, v24
	s_delay_alu instid0(VALU_DEP_1) | instskip(SKIP_3) | instid1(VALU_DEP_3)
	v_min3_f32 v33, v29, v28, v100
	v_dual_add_f32 v28, v5, v25 :: v_dual_add_f32 v29, v4, v24
	v_dual_add_f32 v25, v1, v25 :: v_dual_add_f32 v24, v0, v24
	v_add_f32_e32 v4, v4, v12
	v_min3_f32 v32, v29, v28, v103
	s_delay_alu instid0(VALU_DEP_3) | instskip(SKIP_2) | instid1(VALU_DEP_2)
	v_min3_f32 v29, v24, v25, v97
	v_dual_add_f32 v24, v17, v21 :: v_dual_add_f32 v25, v16, v20
	v_dual_add_f32 v17, v17, v13 :: v_dual_add_f32 v16, v16, v12
	v_min3_f32 v28, v25, v24, v109
	v_dual_add_f32 v24, v9, v21 :: v_dual_add_f32 v25, v8, v20
	v_dual_add_f32 v20, v0, v20 :: v_dual_add_f32 v9, v9, v13
	v_add_f32_e32 v0, v0, v12
	v_add_f32_e32 v8, v8, v12
	s_delay_alu instid0(VALU_DEP_4)
	v_min3_f32 v25, v25, v24, v98
	v_add_f32_e32 v24, v5, v21
	v_add_f32_e32 v21, v1, v21
	;; [unrolled: 1-line block ×4, first 2 shown]
	v_min3_f32 v16, v16, v17, v99
	v_min3_f32 v24, v48, v24, v101
	;; [unrolled: 1-line block ×5, first 2 shown]
	v_add_f32_e32 v1, v19, v79
	v_add_f32_e32 v5, v18, v78
	v_min3_f32 v8, v8, v9, v94
	s_delay_alu instid0(VALU_DEP_2) | instskip(SKIP_2) | instid1(VALU_DEP_1)
	v_min3_f32 v48, v5, v1, v128
	v_add_f32_e32 v1, v11, v79
	v_add_f32_e32 v5, v10, v78
	v_min3_f32 v142, v5, v1, v140
	v_add_f32_e32 v1, v7, v79
	v_add_f32_e32 v5, v6, v78
	s_delay_alu instid0(VALU_DEP_1) | instskip(SKIP_2) | instid1(VALU_DEP_1)
	v_min3_f32 v150, v5, v1, v141
	v_add_f32_e32 v1, v3, v79
	v_add_f32_e32 v5, v2, v78
	v_min3_f32 v128, v5, v1, v143
	v_add_f32_e32 v1, v19, v75
	v_add_f32_e32 v5, v18, v74
	s_delay_alu instid0(VALU_DEP_1) | instskip(SKIP_2) | instid1(VALU_DEP_1)
	;; [unrolled: 7-line block ×28, first 2 shown]
	v_min3_f32 v109, v5, v1, v28
	v_add_f32_e32 v1, v11, v23
	v_add_f32_e32 v5, v10, v22
	v_min3_f32 v98, v5, v1, v25
	v_add_f32_e32 v1, v7, v23
	v_add_f32_e32 v5, v6, v22
	s_delay_alu instid0(VALU_DEP_1) | instskip(SKIP_3) | instid1(VALU_DEP_2)
	v_min3_f32 v101, v5, v1, v24
	v_add_f32_e32 v1, v3, v23
	v_add_f32_e32 v5, v2, v22
	;; [unrolled: 1-line block ×3, first 2 shown]
	v_min3_f32 v95, v5, v1, v20
	v_add_f32_e32 v1, v19, v15
	v_add_f32_e32 v5, v18, v14
	s_delay_alu instid0(VALU_DEP_1) | instskip(SKIP_2) | instid1(VALU_DEP_1)
	v_min3_f32 v99, v5, v1, v16
	v_add_f32_e32 v1, v11, v15
	v_add_f32_e32 v5, v10, v14
	v_min3_f32 v94, v5, v1, v8
	v_add_f32_e32 v1, v7, v15
	v_add_f32_e32 v5, v6, v14
	s_delay_alu instid0(VALU_DEP_1) | instskip(SKIP_1) | instid1(VALU_DEP_1)
	v_min3_f32 v96, v5, v1, v4
	v_add_f32_e32 v1, v3, v15
	v_min3_f32 v156, v2, v1, v0
	s_cbranch_scc0 .LBB61_11
.LBB61_12:
	s_clause 0x2
	s_load_b64 s[10:11], s[0:1], 0x70
	s_load_b32 s8, s[0:1], 0x68
	s_load_b32 s0, s[0:1], 0x50
	ds_load_b128 v[16:19], v90 offset:2048
	ds_load_b128 v[76:79], v91 offset:6144
	v_add_nc_u32_e32 v88, s16, v88
	v_add_nc_u32_e32 v84, s14, v89
	s_waitcnt lgkmcnt(0)
	s_mul_i32 s1, s15, s11
	s_delay_alu instid0(VALU_DEP_2)
	v_mad_i64_i32 v[0:1], null, v88, s8, 0
	v_add_f32_e32 v5, v16, v76
	v_mad_i64_i32 v[2:3], null, v88, s0, 0
	s_mul_hi_u32 s11, s15, s10
	v_add_f32_e32 v4, v17, v77
	s_mul_i32 s9, s9, s10
	s_add_i32 s1, s11, s1
	s_mul_i32 s10, s15, s10
	s_add_i32 s11, s1, s9
	v_lshlrev_b64 v[0:1], 2, v[0:1]
	v_dual_add_f32 v7, v18, v78 :: v_dual_add_nc_u32 v82, 32, v84
	v_add_f32_e32 v6, v19, v79
	v_min3_f32 v4, v5, v4, v48
	s_lshl_b64 s[10:11], s[10:11], 2
	v_lshlrev_b64 v[2:3], 2, v[2:3]
	s_add_u32 s1, s6, s10
	v_ashrrev_i32_e32 v85, 31, v84
	s_addc_u32 s6, s7, s11
	v_min3_f32 v4, v7, v6, v4
	v_add_co_u32 v89, vcc_lo, s1, v0
	v_add_co_ci_u32_e32 v92, vcc_lo, s6, v1, vcc_lo
	v_add_co_u32 v93, vcc_lo, s4, v2
	v_lshlrev_b64 v[80:81], 2, v[84:85]
	v_max_f32_e32 v85, v4, v4
	v_ashrrev_i32_e32 v83, 31, v82
	v_add_co_ci_u32_e32 v157, vcc_lo, s5, v3, vcc_lo
	s_mov_b32 vcc_lo, s2
	s_cbranch_vccz .LBB61_14
; %bb.13:
	v_add_co_u32 v0, vcc_lo, v89, v80
	v_min_f32_e32 v2, 0, v85
	v_add_co_ci_u32_e32 v1, vcc_lo, v92, v81, vcc_lo
	s_mov_b32 s7, 0
	global_store_b32 v[0:1], v2, off
	s_branch .LBB61_15
.LBB61_14:
	s_mov_b32 s7, -1
.LBB61_15:
	ds_load_b128 v[12:15], v90 offset:2560
	ds_load_b128 v[8:11], v90 offset:3072
	;; [unrolled: 1-line block ×18, first 2 shown]
	v_lshlrev_b64 v[82:83], 2, v[82:83]
	s_and_not1_b32 vcc_lo, exec_lo, s7
	s_cbranch_vccnz .LBB61_17
; %bb.16:
	v_add_co_u32 v86, vcc_lo, v93, v80
	v_add_co_ci_u32_e32 v87, vcc_lo, v157, v81, vcc_lo
	flat_load_b32 v86, v[86:87]
	s_waitcnt vmcnt(0) lgkmcnt(0)
	v_mul_f32_e32 v90, s3, v86
	v_add_co_u32 v86, vcc_lo, v89, v80
	v_add_co_ci_u32_e32 v87, vcc_lo, v92, v81, vcc_lo
	s_delay_alu instid0(VALU_DEP_3)
	v_min_f32_e32 v85, v90, v85
	v_add_co_u32 v90, vcc_lo, v93, v82
	v_add_co_ci_u32_e32 v91, vcc_lo, v157, v83, vcc_lo
	global_store_b32 v[86:87], v85, off
	flat_load_b32 v85, v[90:91]
	s_waitcnt vmcnt(0) lgkmcnt(0)
	v_mul_f32_e32 v85, s3, v85
	s_branch .LBB61_18
.LBB61_17:
	v_mov_b32_e32 v85, s7
.LBB61_18:
	s_waitcnt lgkmcnt(16)
	v_dual_add_f32 v86, v9, v77 :: v_dual_add_f32 v87, v8, v76
	v_dual_add_f32 v90, v13, v77 :: v_dual_add_f32 v91, v12, v76
	v_add_f32_e32 v158, v15, v79
	v_add_f32_e32 v159, v11, v79
	s_delay_alu instid0(VALU_DEP_4) | instskip(SKIP_4) | instid1(VALU_DEP_4)
	v_min3_f32 v87, v87, v86, v150
	v_add_f32_e32 v150, v14, v78
	v_add_f32_e32 v160, v10, v78
	v_add_nc_u32_e32 v86, 64, v84
	v_min3_f32 v90, v91, v90, v142
	v_dual_min_f32 v91, v150, v158 :: v_dual_add_nc_u32 v84, 0x60, v84
	s_delay_alu instid0(VALU_DEP_4) | instskip(NEXT) | instid1(VALU_DEP_4)
	v_min3_f32 v142, v160, v159, v87
	v_ashrrev_i32_e32 v87, 31, v86
	v_add_co_u32 v158, vcc_lo, v89, v82
	s_delay_alu instid0(VALU_DEP_4) | instskip(SKIP_1) | instid1(VALU_DEP_4)
	v_min3_f32 v91, v85, v91, v90
	v_add_co_ci_u32_e32 v159, vcc_lo, v92, v83, vcc_lo
	v_lshlrev_b64 v[86:87], 2, v[86:87]
	v_ashrrev_i32_e32 v85, 31, v84
	v_max_f32_e32 v90, v142, v142
	s_mov_b32 vcc_lo, s2
	global_store_b32 v[158:159], v91, off
	s_cbranch_vccz .LBB61_21
; %bb.19:
	v_add_co_u32 v158, vcc_lo, v89, v86
	v_min_f32_e32 v91, 0, v90
	v_add_co_ci_u32_e32 v159, vcc_lo, v92, v87, vcc_lo
	s_mov_b32 s7, 0
	global_store_b32 v[158:159], v91, off
	v_lshlrev_b64 v[84:85], 2, v[84:85]
	s_cbranch_execz .LBB61_22
; %bb.20:
	v_mov_b32_e32 v90, s7
	s_branch .LBB61_23
.LBB61_21:
	s_mov_b32 s7, -1
	v_lshlrev_b64 v[84:85], 2, v[84:85]
.LBB61_22:
	v_add_co_u32 v158, vcc_lo, v93, v86
	v_add_co_ci_u32_e32 v159, vcc_lo, v157, v87, vcc_lo
	flat_load_b32 v91, v[158:159]
	v_add_co_u32 v158, vcc_lo, v89, v86
	v_add_co_ci_u32_e32 v159, vcc_lo, v92, v87, vcc_lo
	s_waitcnt vmcnt(0) lgkmcnt(0)
	v_mul_f32_e32 v91, s3, v91
	s_delay_alu instid0(VALU_DEP_1)
	v_min_f32_e32 v142, v91, v90
	v_add_co_u32 v90, vcc_lo, v93, v84
	v_add_co_ci_u32_e32 v91, vcc_lo, v157, v85, vcc_lo
	global_store_b32 v[158:159], v142, off
	flat_load_b32 v90, v[90:91]
	s_waitcnt vmcnt(0) lgkmcnt(0)
	v_mul_f32_e32 v90, s3, v90
.LBB61_23:
	s_waitcnt lgkmcnt(14)
	v_dual_add_f32 v91, v17, v73 :: v_dual_add_f32 v78, v2, v78
	v_dual_add_f32 v93, v16, v72 :: v_dual_add_f32 v142, v19, v75
	;; [unrolled: 1-line block ×3, first 2 shown]
	v_add_f32_e32 v79, v3, v79
	s_delay_alu instid0(VALU_DEP_3) | instskip(SKIP_1) | instid1(VALU_DEP_4)
	v_min3_f32 v91, v93, v91, v152
	v_dual_add_f32 v150, v18, v74 :: v_dual_add_nc_u32 v93, 8, v88
	v_min3_f32 v128, v76, v77, v128
	s_delay_alu instid0(VALU_DEP_4) | instskip(NEXT) | instid1(VALU_DEP_3)
	v_min_f32_e32 v152, v78, v79
	v_mad_i64_i32 v[76:77], null, v93, s8, 0
	v_mad_i64_i32 v[78:79], null, v93, s0, 0
	s_delay_alu instid0(VALU_DEP_3)
	v_min3_f32 v128, v90, v152, v128
	v_add_co_u32 v90, vcc_lo, v89, v84
	v_min3_f32 v93, v150, v142, v91
	v_lshlrev_b64 v[76:77], 2, v[76:77]
	v_add_co_ci_u32_e32 v91, vcc_lo, v92, v85, vcc_lo
	v_lshlrev_b64 v[78:79], 2, v[78:79]
	s_delay_alu instid0(VALU_DEP_4) | instskip(NEXT) | instid1(VALU_DEP_4)
	v_max_f32_e32 v89, v93, v93
	v_add_co_u32 v76, vcc_lo, s1, v76
	v_add_co_ci_u32_e32 v77, vcc_lo, s6, v77, vcc_lo
	s_delay_alu instid0(VALU_DEP_4)
	v_add_co_u32 v78, vcc_lo, s4, v78
	v_add_co_ci_u32_e32 v79, vcc_lo, s5, v79, vcc_lo
	s_mov_b32 vcc_lo, s2
	global_store_b32 v[90:91], v128, off
	s_cbranch_vccz .LBB61_26
; %bb.24:
	v_add_co_u32 v90, vcc_lo, v76, v80
	v_min_f32_e32 v92, 0, v89
	v_add_co_ci_u32_e32 v91, vcc_lo, v77, v81, vcc_lo
	s_mov_b32 s7, 0
	global_store_b32 v[90:91], v92, off
	s_cbranch_execz .LBB61_27
; %bb.25:
	v_mov_b32_e32 v89, s7
	s_branch .LBB61_28
.LBB61_26:
	s_mov_b32 s7, -1
.LBB61_27:
	v_add_co_u32 v90, vcc_lo, v78, v80
	v_add_co_ci_u32_e32 v91, vcc_lo, v79, v81, vcc_lo
	flat_load_b32 v90, v[90:91]
	s_waitcnt vmcnt(0) lgkmcnt(0)
	v_mul_f32_e32 v92, s3, v90
	v_add_co_u32 v90, vcc_lo, v76, v80
	v_add_co_ci_u32_e32 v91, vcc_lo, v77, v81, vcc_lo
	s_delay_alu instid0(VALU_DEP_3)
	v_min_f32_e32 v89, v92, v89
	v_add_co_u32 v92, vcc_lo, v78, v82
	v_add_co_ci_u32_e32 v93, vcc_lo, v79, v83, vcc_lo
	global_store_b32 v[90:91], v89, off
	flat_load_b32 v89, v[92:93]
	s_waitcnt vmcnt(0) lgkmcnt(0)
	v_mul_f32_e32 v89, s3, v89
.LBB61_28:
	v_dual_add_f32 v90, v13, v73 :: v_dual_add_f32 v91, v12, v72
	v_dual_add_f32 v92, v9, v73 :: v_dual_add_f32 v93, v8, v72
	v_add_f32_e32 v128, v15, v75
	s_delay_alu instid0(VALU_DEP_3) | instskip(NEXT) | instid1(VALU_DEP_3)
	v_min3_f32 v90, v91, v90, v139
	v_min3_f32 v91, v93, v92, v145
	v_dual_add_f32 v93, v10, v74 :: v_dual_add_f32 v92, v11, v75
	s_delay_alu instid0(VALU_DEP_1) | instskip(SKIP_1) | instid1(VALU_DEP_1)
	v_min3_f32 v92, v93, v92, v91
	v_add_f32_e32 v142, v14, v74
	v_min_f32_e32 v128, v142, v128
	s_delay_alu instid0(VALU_DEP_1) | instskip(NEXT) | instid1(VALU_DEP_4)
	v_min3_f32 v93, v89, v128, v90
	v_max_f32_e32 v89, v92, v92
	v_add_co_u32 v90, vcc_lo, v76, v82
	v_add_co_ci_u32_e32 v91, vcc_lo, v77, v83, vcc_lo
	s_mov_b32 vcc_lo, s2
	global_store_b32 v[90:91], v93, off
	s_cbranch_vccz .LBB61_31
; %bb.29:
	v_add_co_u32 v90, vcc_lo, v76, v86
	v_min_f32_e32 v92, 0, v89
	v_add_co_ci_u32_e32 v91, vcc_lo, v77, v87, vcc_lo
	s_mov_b32 s7, 0
	global_store_b32 v[90:91], v92, off
	s_cbranch_execz .LBB61_32
; %bb.30:
	v_mov_b32_e32 v78, s7
	s_branch .LBB61_33
.LBB61_31:
	s_mov_b32 s7, -1
.LBB61_32:
	v_add_co_u32 v90, vcc_lo, v78, v86
	v_add_co_ci_u32_e32 v91, vcc_lo, v79, v87, vcc_lo
	flat_load_b32 v90, v[90:91]
	s_waitcnt vmcnt(0) lgkmcnt(0)
	v_mul_f32_e32 v92, s3, v90
	v_add_co_u32 v90, vcc_lo, v76, v86
	v_add_co_ci_u32_e32 v91, vcc_lo, v77, v87, vcc_lo
	v_add_co_u32 v78, vcc_lo, v78, v84
	s_delay_alu instid0(VALU_DEP_4)
	v_min_f32_e32 v89, v92, v89
	v_add_co_ci_u32_e32 v79, vcc_lo, v79, v85, vcc_lo
	global_store_b32 v[90:91], v89, off
	flat_load_b32 v78, v[78:79]
	s_waitcnt vmcnt(0) lgkmcnt(0)
	v_mul_f32_e32 v78, s3, v78
.LBB61_33:
	s_waitcnt lgkmcnt(13)
	v_dual_add_f32 v79, v17, v69 :: v_dual_add_f32 v74, v2, v74
	v_dual_add_f32 v89, v16, v68 :: v_dual_add_f32 v92, v18, v70
	;; [unrolled: 1-line block ×3, first 2 shown]
	v_add_f32_e32 v75, v3, v75
	s_delay_alu instid0(VALU_DEP_3) | instskip(SKIP_4) | instid1(VALU_DEP_4)
	v_min3_f32 v79, v89, v79, v154
	v_add_nc_u32_e32 v89, 16, v88
	v_add_f32_e32 v91, v19, v71
	v_min3_f32 v90, v72, v73, v129
	v_min_f32_e32 v93, v74, v75
	v_mad_i64_i32 v[72:73], null, v89, s8, 0
	v_mad_i64_i32 v[74:75], null, v89, s0, 0
	s_delay_alu instid0(VALU_DEP_3)
	v_min3_f32 v90, v78, v93, v90
	v_add_co_u32 v78, vcc_lo, v76, v84
	v_min3_f32 v89, v92, v91, v79
	v_lshlrev_b64 v[72:73], 2, v[72:73]
	v_add_co_ci_u32_e32 v79, vcc_lo, v77, v85, vcc_lo
	v_lshlrev_b64 v[74:75], 2, v[74:75]
	s_delay_alu instid0(VALU_DEP_4) | instskip(NEXT) | instid1(VALU_DEP_4)
	v_max_f32_e32 v76, v89, v89
	v_add_co_u32 v72, vcc_lo, s1, v72
	v_add_co_ci_u32_e32 v73, vcc_lo, s6, v73, vcc_lo
	s_delay_alu instid0(VALU_DEP_4)
	v_add_co_u32 v74, vcc_lo, s4, v74
	v_add_co_ci_u32_e32 v75, vcc_lo, s5, v75, vcc_lo
	s_mov_b32 vcc_lo, s2
	global_store_b32 v[78:79], v90, off
	s_cbranch_vccz .LBB61_36
; %bb.34:
	v_add_co_u32 v77, vcc_lo, v72, v80
	v_min_f32_e32 v79, 0, v76
	v_add_co_ci_u32_e32 v78, vcc_lo, v73, v81, vcc_lo
	s_mov_b32 s7, 0
	global_store_b32 v[77:78], v79, off
	s_cbranch_execz .LBB61_37
; %bb.35:
	v_mov_b32_e32 v76, s7
	s_branch .LBB61_38
.LBB61_36:
	s_mov_b32 s7, -1
.LBB61_37:
	v_add_co_u32 v77, vcc_lo, v74, v80
	v_add_co_ci_u32_e32 v78, vcc_lo, v75, v81, vcc_lo
	flat_load_b32 v77, v[77:78]
	s_waitcnt vmcnt(0) lgkmcnt(0)
	v_mul_f32_e32 v79, s3, v77
	v_add_co_u32 v77, vcc_lo, v72, v80
	v_add_co_ci_u32_e32 v78, vcc_lo, v73, v81, vcc_lo
	v_add_co_u32 v89, vcc_lo, v74, v82
	s_delay_alu instid0(VALU_DEP_4)
	v_min_f32_e32 v76, v79, v76
	v_add_co_ci_u32_e32 v90, vcc_lo, v75, v83, vcc_lo
	global_store_b32 v[77:78], v76, off
	flat_load_b32 v76, v[89:90]
	s_waitcnt vmcnt(0) lgkmcnt(0)
	v_mul_f32_e32 v76, s3, v76
.LBB61_38:
	v_dual_add_f32 v77, v13, v69 :: v_dual_add_f32 v78, v12, v68
	v_dual_add_f32 v79, v9, v69 :: v_dual_add_f32 v90, v15, v71
	v_add_f32_e32 v91, v14, v70
	v_add_f32_e32 v89, v8, v68
	s_delay_alu instid0(VALU_DEP_4) | instskip(NEXT) | instid1(VALU_DEP_3)
	v_min3_f32 v77, v78, v77, v143
	v_min_f32_e32 v90, v91, v90
	s_delay_alu instid0(VALU_DEP_3) | instskip(SKIP_2) | instid1(VALU_DEP_1)
	v_min3_f32 v78, v89, v79, v147
	v_add_f32_e32 v79, v11, v71
	v_add_f32_e32 v89, v10, v70
	v_min3_f32 v79, v89, v79, v78
	v_min3_f32 v89, v76, v90, v77
	v_add_co_u32 v77, vcc_lo, v72, v82
	v_add_co_ci_u32_e32 v78, vcc_lo, v73, v83, vcc_lo
	s_delay_alu instid0(VALU_DEP_4)
	v_max_f32_e32 v76, v79, v79
	s_mov_b32 vcc_lo, s2
	global_store_b32 v[77:78], v89, off
	s_cbranch_vccz .LBB61_41
; %bb.39:
	v_add_co_u32 v77, vcc_lo, v72, v86
	v_min_f32_e32 v79, 0, v76
	v_add_co_ci_u32_e32 v78, vcc_lo, v73, v87, vcc_lo
	s_mov_b32 s7, 0
	global_store_b32 v[77:78], v79, off
	s_cbranch_execz .LBB61_42
; %bb.40:
	v_mov_b32_e32 v74, s7
	s_branch .LBB61_43
.LBB61_41:
	s_mov_b32 s7, -1
.LBB61_42:
	v_add_co_u32 v77, vcc_lo, v74, v86
	v_add_co_ci_u32_e32 v78, vcc_lo, v75, v87, vcc_lo
	flat_load_b32 v77, v[77:78]
	s_waitcnt vmcnt(0) lgkmcnt(0)
	v_mul_f32_e32 v79, s3, v77
	v_add_co_u32 v77, vcc_lo, v72, v86
	v_add_co_ci_u32_e32 v78, vcc_lo, v73, v87, vcc_lo
	v_add_co_u32 v74, vcc_lo, v74, v84
	s_delay_alu instid0(VALU_DEP_4)
	v_min_f32_e32 v76, v79, v76
	v_add_co_ci_u32_e32 v75, vcc_lo, v75, v85, vcc_lo
	global_store_b32 v[77:78], v76, off
	flat_load_b32 v74, v[74:75]
	s_waitcnt vmcnt(0) lgkmcnt(0)
	v_mul_f32_e32 v74, s3, v74
.LBB61_43:
	s_waitcnt lgkmcnt(12)
	v_dual_add_f32 v75, v17, v65 :: v_dual_add_f32 v76, v16, v64
	v_dual_add_f32 v69, v1, v69 :: v_dual_add_f32 v68, v0, v68
	;; [unrolled: 1-line block ×3, first 2 shown]
	s_delay_alu instid0(VALU_DEP_3) | instskip(SKIP_1) | instid1(VALU_DEP_4)
	v_min3_f32 v75, v76, v75, v155
	v_add_nc_u32_e32 v76, 24, v88
	v_min3_f32 v77, v68, v69, v134
	v_dual_add_f32 v78, v19, v67 :: v_dual_add_f32 v79, v18, v66
	v_min_f32_e32 v89, v70, v71
	s_delay_alu instid0(VALU_DEP_4) | instskip(SKIP_1) | instid1(VALU_DEP_3)
	v_mad_i64_i32 v[68:69], null, v76, s8, 0
	v_mad_i64_i32 v[70:71], null, v76, s0, 0
	v_min3_f32 v77, v74, v89, v77
	v_add_co_u32 v74, vcc_lo, v72, v84
	v_min3_f32 v76, v79, v78, v75
	v_lshlrev_b64 v[68:69], 2, v[68:69]
	v_add_co_ci_u32_e32 v75, vcc_lo, v73, v85, vcc_lo
	v_lshlrev_b64 v[70:71], 2, v[70:71]
	s_delay_alu instid0(VALU_DEP_4) | instskip(NEXT) | instid1(VALU_DEP_4)
	v_max_f32_e32 v72, v76, v76
	v_add_co_u32 v68, vcc_lo, s1, v68
	v_add_co_ci_u32_e32 v69, vcc_lo, s6, v69, vcc_lo
	s_delay_alu instid0(VALU_DEP_4)
	v_add_co_u32 v70, vcc_lo, s4, v70
	v_add_co_ci_u32_e32 v71, vcc_lo, s5, v71, vcc_lo
	s_mov_b32 vcc_lo, s2
	global_store_b32 v[74:75], v77, off
	s_cbranch_vccz .LBB61_46
; %bb.44:
	v_add_co_u32 v73, vcc_lo, v68, v80
	v_min_f32_e32 v75, 0, v72
	v_add_co_ci_u32_e32 v74, vcc_lo, v69, v81, vcc_lo
	s_mov_b32 s7, 0
	global_store_b32 v[73:74], v75, off
	s_cbranch_execz .LBB61_47
; %bb.45:
	v_mov_b32_e32 v72, s7
	s_branch .LBB61_48
.LBB61_46:
	s_mov_b32 s7, -1
.LBB61_47:
	v_add_co_u32 v73, vcc_lo, v70, v80
	v_add_co_ci_u32_e32 v74, vcc_lo, v71, v81, vcc_lo
	flat_load_b32 v73, v[73:74]
	s_waitcnt vmcnt(0) lgkmcnt(0)
	v_mul_f32_e32 v75, s3, v73
	v_add_co_u32 v73, vcc_lo, v68, v80
	v_add_co_ci_u32_e32 v74, vcc_lo, v69, v81, vcc_lo
	s_delay_alu instid0(VALU_DEP_3)
	v_min_f32_e32 v72, v75, v72
	v_add_co_u32 v75, vcc_lo, v70, v82
	v_add_co_ci_u32_e32 v76, vcc_lo, v71, v83, vcc_lo
	global_store_b32 v[73:74], v72, off
	flat_load_b32 v72, v[75:76]
	s_waitcnt vmcnt(0) lgkmcnt(0)
	v_mul_f32_e32 v72, s3, v72
.LBB61_48:
	v_dual_add_f32 v73, v13, v65 :: v_dual_add_f32 v74, v12, v64
	v_dual_add_f32 v75, v9, v65 :: v_dual_add_f32 v76, v8, v64
	;; [unrolled: 1-line block ×3, first 2 shown]
	s_delay_alu instid0(VALU_DEP_3) | instskip(NEXT) | instid1(VALU_DEP_3)
	v_min3_f32 v73, v74, v73, v144
	v_min3_f32 v74, v76, v75, v149
	v_dual_add_f32 v75, v11, v67 :: v_dual_add_f32 v76, v10, v66
	s_delay_alu instid0(VALU_DEP_1) | instskip(SKIP_1) | instid1(VALU_DEP_1)
	v_min3_f32 v75, v76, v75, v74
	v_min_f32_e32 v77, v78, v77
	v_min3_f32 v76, v72, v77, v73
	s_delay_alu instid0(VALU_DEP_3)
	v_max_f32_e32 v72, v75, v75
	v_add_co_u32 v73, vcc_lo, v68, v82
	v_add_co_ci_u32_e32 v74, vcc_lo, v69, v83, vcc_lo
	s_mov_b32 vcc_lo, s2
	global_store_b32 v[73:74], v76, off
	s_cbranch_vccz .LBB61_51
; %bb.49:
	v_add_co_u32 v73, vcc_lo, v68, v86
	v_min_f32_e32 v75, 0, v72
	v_add_co_ci_u32_e32 v74, vcc_lo, v69, v87, vcc_lo
	s_mov_b32 s7, 0
	global_store_b32 v[73:74], v75, off
	s_cbranch_execz .LBB61_52
; %bb.50:
	v_mov_b32_e32 v70, s7
	s_branch .LBB61_53
.LBB61_51:
	s_mov_b32 s7, -1
.LBB61_52:
	v_add_co_u32 v73, vcc_lo, v70, v86
	v_add_co_ci_u32_e32 v74, vcc_lo, v71, v87, vcc_lo
	flat_load_b32 v73, v[73:74]
	s_waitcnt vmcnt(0) lgkmcnt(0)
	v_mul_f32_e32 v75, s3, v73
	v_add_co_u32 v73, vcc_lo, v68, v86
	v_add_co_ci_u32_e32 v74, vcc_lo, v69, v87, vcc_lo
	v_add_co_u32 v70, vcc_lo, v70, v84
	s_delay_alu instid0(VALU_DEP_4)
	v_min_f32_e32 v72, v75, v72
	v_add_co_ci_u32_e32 v71, vcc_lo, v71, v85, vcc_lo
	global_store_b32 v[73:74], v72, off
	flat_load_b32 v70, v[70:71]
	s_waitcnt vmcnt(0) lgkmcnt(0)
	v_mul_f32_e32 v70, s3, v70
.LBB61_53:
	s_waitcnt lgkmcnt(11)
	v_dual_add_f32 v71, v17, v61 :: v_dual_add_f32 v72, v16, v60
	v_dual_add_f32 v65, v1, v65 :: v_dual_add_f32 v64, v0, v64
	;; [unrolled: 1-line block ×3, first 2 shown]
	s_delay_alu instid0(VALU_DEP_3) | instskip(SKIP_1) | instid1(VALU_DEP_4)
	v_min3_f32 v71, v72, v71, v153
	v_add_nc_u32_e32 v72, 32, v88
	v_min3_f32 v73, v64, v65, v136
	v_dual_add_f32 v74, v19, v63 :: v_dual_add_f32 v75, v18, v62
	v_min_f32_e32 v76, v66, v67
	s_delay_alu instid0(VALU_DEP_4) | instskip(SKIP_1) | instid1(VALU_DEP_3)
	v_mad_i64_i32 v[64:65], null, v72, s8, 0
	v_mad_i64_i32 v[66:67], null, v72, s0, 0
	v_min3_f32 v73, v70, v76, v73
	v_add_co_u32 v70, vcc_lo, v68, v84
	v_min3_f32 v72, v75, v74, v71
	v_lshlrev_b64 v[64:65], 2, v[64:65]
	v_add_co_ci_u32_e32 v71, vcc_lo, v69, v85, vcc_lo
	v_lshlrev_b64 v[66:67], 2, v[66:67]
	s_delay_alu instid0(VALU_DEP_4) | instskip(NEXT) | instid1(VALU_DEP_4)
	v_max_f32_e32 v68, v72, v72
	v_add_co_u32 v64, vcc_lo, s1, v64
	v_add_co_ci_u32_e32 v65, vcc_lo, s6, v65, vcc_lo
	s_delay_alu instid0(VALU_DEP_4)
	v_add_co_u32 v66, vcc_lo, s4, v66
	v_add_co_ci_u32_e32 v67, vcc_lo, s5, v67, vcc_lo
	s_mov_b32 vcc_lo, s2
	global_store_b32 v[70:71], v73, off
	s_cbranch_vccz .LBB61_56
; %bb.54:
	v_add_co_u32 v69, vcc_lo, v64, v80
	v_min_f32_e32 v71, 0, v68
	v_add_co_ci_u32_e32 v70, vcc_lo, v65, v81, vcc_lo
	s_mov_b32 s7, 0
	global_store_b32 v[69:70], v71, off
	s_cbranch_execz .LBB61_57
; %bb.55:
	v_mov_b32_e32 v68, s7
	s_branch .LBB61_58
.LBB61_56:
	s_mov_b32 s7, -1
.LBB61_57:
	v_add_co_u32 v69, vcc_lo, v66, v80
	v_add_co_ci_u32_e32 v70, vcc_lo, v67, v81, vcc_lo
	flat_load_b32 v69, v[69:70]
	s_waitcnt vmcnt(0) lgkmcnt(0)
	v_mul_f32_e32 v71, s3, v69
	v_add_co_u32 v69, vcc_lo, v64, v80
	v_add_co_ci_u32_e32 v70, vcc_lo, v65, v81, vcc_lo
	s_delay_alu instid0(VALU_DEP_3)
	v_min_f32_e32 v68, v71, v68
	v_add_co_u32 v71, vcc_lo, v66, v82
	v_add_co_ci_u32_e32 v72, vcc_lo, v67, v83, vcc_lo
	global_store_b32 v[69:70], v68, off
	flat_load_b32 v68, v[71:72]
	s_waitcnt vmcnt(0) lgkmcnt(0)
	v_mul_f32_e32 v68, s3, v68
.LBB61_58:
	v_dual_add_f32 v69, v13, v61 :: v_dual_add_f32 v70, v12, v60
	v_dual_add_f32 v71, v9, v61 :: v_dual_add_f32 v72, v8, v60
	;; [unrolled: 1-line block ×3, first 2 shown]
	s_delay_alu instid0(VALU_DEP_3) | instskip(NEXT) | instid1(VALU_DEP_3)
	v_min3_f32 v69, v70, v69, v141
	v_min3_f32 v70, v72, v71, v146
	v_dual_add_f32 v71, v11, v63 :: v_dual_add_f32 v72, v10, v62
	s_delay_alu instid0(VALU_DEP_1) | instskip(SKIP_1) | instid1(VALU_DEP_1)
	v_min3_f32 v71, v72, v71, v70
	v_min_f32_e32 v73, v74, v73
	v_min3_f32 v72, v68, v73, v69
	s_delay_alu instid0(VALU_DEP_3)
	v_max_f32_e32 v68, v71, v71
	v_add_co_u32 v69, vcc_lo, v64, v82
	v_add_co_ci_u32_e32 v70, vcc_lo, v65, v83, vcc_lo
	s_mov_b32 vcc_lo, s2
	global_store_b32 v[69:70], v72, off
	s_cbranch_vccz .LBB61_61
; %bb.59:
	v_add_co_u32 v69, vcc_lo, v64, v86
	v_min_f32_e32 v71, 0, v68
	v_add_co_ci_u32_e32 v70, vcc_lo, v65, v87, vcc_lo
	s_mov_b32 s7, 0
	global_store_b32 v[69:70], v71, off
	s_cbranch_execz .LBB61_62
; %bb.60:
	v_mov_b32_e32 v66, s7
	s_branch .LBB61_63
.LBB61_61:
	s_mov_b32 s7, -1
.LBB61_62:
	v_add_co_u32 v69, vcc_lo, v66, v86
	v_add_co_ci_u32_e32 v70, vcc_lo, v67, v87, vcc_lo
	flat_load_b32 v69, v[69:70]
	s_waitcnt vmcnt(0) lgkmcnt(0)
	v_mul_f32_e32 v71, s3, v69
	v_add_co_u32 v69, vcc_lo, v64, v86
	v_add_co_ci_u32_e32 v70, vcc_lo, v65, v87, vcc_lo
	v_add_co_u32 v66, vcc_lo, v66, v84
	s_delay_alu instid0(VALU_DEP_4)
	v_min_f32_e32 v68, v71, v68
	v_add_co_ci_u32_e32 v67, vcc_lo, v67, v85, vcc_lo
	global_store_b32 v[69:70], v68, off
	flat_load_b32 v66, v[66:67]
	s_waitcnt vmcnt(0) lgkmcnt(0)
	v_mul_f32_e32 v66, s3, v66
.LBB61_63:
	s_waitcnt lgkmcnt(10)
	v_dual_add_f32 v67, v17, v57 :: v_dual_add_f32 v68, v16, v56
	v_dual_add_f32 v61, v1, v61 :: v_dual_add_f32 v60, v0, v60
	;; [unrolled: 1-line block ×3, first 2 shown]
	s_delay_alu instid0(VALU_DEP_3) | instskip(SKIP_1) | instid1(VALU_DEP_4)
	v_min3_f32 v67, v68, v67, v151
	v_add_nc_u32_e32 v68, 40, v88
	v_min3_f32 v69, v60, v61, v132
	v_dual_add_f32 v70, v19, v59 :: v_dual_add_f32 v71, v18, v58
	v_min_f32_e32 v72, v62, v63
	s_delay_alu instid0(VALU_DEP_4) | instskip(SKIP_1) | instid1(VALU_DEP_3)
	v_mad_i64_i32 v[60:61], null, v68, s8, 0
	v_mad_i64_i32 v[62:63], null, v68, s0, 0
	v_min3_f32 v69, v66, v72, v69
	v_add_co_u32 v66, vcc_lo, v64, v84
	v_min3_f32 v68, v71, v70, v67
	v_lshlrev_b64 v[60:61], 2, v[60:61]
	v_add_co_ci_u32_e32 v67, vcc_lo, v65, v85, vcc_lo
	v_lshlrev_b64 v[62:63], 2, v[62:63]
	s_delay_alu instid0(VALU_DEP_4) | instskip(NEXT) | instid1(VALU_DEP_4)
	v_max_f32_e32 v64, v68, v68
	v_add_co_u32 v60, vcc_lo, s1, v60
	v_add_co_ci_u32_e32 v61, vcc_lo, s6, v61, vcc_lo
	s_delay_alu instid0(VALU_DEP_4)
	v_add_co_u32 v62, vcc_lo, s4, v62
	v_add_co_ci_u32_e32 v63, vcc_lo, s5, v63, vcc_lo
	s_mov_b32 vcc_lo, s2
	global_store_b32 v[66:67], v69, off
	s_cbranch_vccz .LBB61_66
; %bb.64:
	v_add_co_u32 v65, vcc_lo, v60, v80
	v_min_f32_e32 v67, 0, v64
	v_add_co_ci_u32_e32 v66, vcc_lo, v61, v81, vcc_lo
	s_mov_b32 s7, 0
	global_store_b32 v[65:66], v67, off
	s_cbranch_execz .LBB61_67
; %bb.65:
	v_mov_b32_e32 v64, s7
	s_branch .LBB61_68
.LBB61_66:
	s_mov_b32 s7, -1
.LBB61_67:
	v_add_co_u32 v65, vcc_lo, v62, v80
	v_add_co_ci_u32_e32 v66, vcc_lo, v63, v81, vcc_lo
	flat_load_b32 v65, v[65:66]
	s_waitcnt vmcnt(0) lgkmcnt(0)
	v_mul_f32_e32 v67, s3, v65
	v_add_co_u32 v65, vcc_lo, v60, v80
	v_add_co_ci_u32_e32 v66, vcc_lo, v61, v81, vcc_lo
	s_delay_alu instid0(VALU_DEP_3)
	v_min_f32_e32 v64, v67, v64
	v_add_co_u32 v67, vcc_lo, v62, v82
	v_add_co_ci_u32_e32 v68, vcc_lo, v63, v83, vcc_lo
	global_store_b32 v[65:66], v64, off
	flat_load_b32 v64, v[67:68]
	s_waitcnt vmcnt(0) lgkmcnt(0)
	v_mul_f32_e32 v64, s3, v64
.LBB61_68:
	v_dual_add_f32 v65, v13, v57 :: v_dual_add_f32 v66, v12, v56
	v_dual_add_f32 v67, v9, v57 :: v_dual_add_f32 v68, v8, v56
	;; [unrolled: 1-line block ×3, first 2 shown]
	s_delay_alu instid0(VALU_DEP_3) | instskip(NEXT) | instid1(VALU_DEP_3)
	v_min3_f32 v65, v66, v65, v130
	v_min3_f32 v66, v68, v67, v137
	v_dual_add_f32 v67, v11, v59 :: v_dual_add_f32 v68, v10, v58
	s_delay_alu instid0(VALU_DEP_1) | instskip(SKIP_1) | instid1(VALU_DEP_1)
	v_min3_f32 v67, v68, v67, v66
	v_min_f32_e32 v69, v70, v69
	v_min3_f32 v68, v64, v69, v65
	s_delay_alu instid0(VALU_DEP_3)
	v_max_f32_e32 v64, v67, v67
	v_add_co_u32 v65, vcc_lo, v60, v82
	v_add_co_ci_u32_e32 v66, vcc_lo, v61, v83, vcc_lo
	s_mov_b32 vcc_lo, s2
	global_store_b32 v[65:66], v68, off
	s_cbranch_vccz .LBB61_71
; %bb.69:
	v_add_co_u32 v65, vcc_lo, v60, v86
	v_min_f32_e32 v67, 0, v64
	v_add_co_ci_u32_e32 v66, vcc_lo, v61, v87, vcc_lo
	s_mov_b32 s7, 0
	global_store_b32 v[65:66], v67, off
	s_cbranch_execz .LBB61_72
; %bb.70:
	v_mov_b32_e32 v62, s7
	s_branch .LBB61_73
.LBB61_71:
	s_mov_b32 s7, -1
.LBB61_72:
	v_add_co_u32 v65, vcc_lo, v62, v86
	v_add_co_ci_u32_e32 v66, vcc_lo, v63, v87, vcc_lo
	flat_load_b32 v65, v[65:66]
	s_waitcnt vmcnt(0) lgkmcnt(0)
	v_mul_f32_e32 v67, s3, v65
	v_add_co_u32 v65, vcc_lo, v60, v86
	v_add_co_ci_u32_e32 v66, vcc_lo, v61, v87, vcc_lo
	v_add_co_u32 v62, vcc_lo, v62, v84
	s_delay_alu instid0(VALU_DEP_4)
	v_min_f32_e32 v64, v67, v64
	v_add_co_ci_u32_e32 v63, vcc_lo, v63, v85, vcc_lo
	global_store_b32 v[65:66], v64, off
	flat_load_b32 v62, v[62:63]
	s_waitcnt vmcnt(0) lgkmcnt(0)
	v_mul_f32_e32 v62, s3, v62
.LBB61_73:
	s_waitcnt lgkmcnt(9)
	v_dual_add_f32 v63, v17, v53 :: v_dual_add_f32 v64, v16, v52
	v_dual_add_f32 v57, v1, v57 :: v_dual_add_f32 v56, v0, v56
	;; [unrolled: 1-line block ×3, first 2 shown]
	s_delay_alu instid0(VALU_DEP_3) | instskip(SKIP_1) | instid1(VALU_DEP_4)
	v_min3_f32 v63, v64, v63, v148
	v_add_nc_u32_e32 v64, 48, v88
	v_min3_f32 v65, v56, v57, v124
	v_dual_add_f32 v66, v19, v55 :: v_dual_add_f32 v67, v18, v54
	v_min_f32_e32 v68, v58, v59
	s_delay_alu instid0(VALU_DEP_4) | instskip(SKIP_1) | instid1(VALU_DEP_3)
	v_mad_i64_i32 v[56:57], null, v64, s8, 0
	v_mad_i64_i32 v[58:59], null, v64, s0, 0
	v_min3_f32 v65, v62, v68, v65
	v_add_co_u32 v62, vcc_lo, v60, v84
	v_min3_f32 v64, v67, v66, v63
	v_lshlrev_b64 v[56:57], 2, v[56:57]
	v_add_co_ci_u32_e32 v63, vcc_lo, v61, v85, vcc_lo
	v_lshlrev_b64 v[58:59], 2, v[58:59]
	s_delay_alu instid0(VALU_DEP_4) | instskip(NEXT) | instid1(VALU_DEP_4)
	v_max_f32_e32 v60, v64, v64
	v_add_co_u32 v56, vcc_lo, s1, v56
	v_add_co_ci_u32_e32 v57, vcc_lo, s6, v57, vcc_lo
	s_delay_alu instid0(VALU_DEP_4)
	v_add_co_u32 v58, vcc_lo, s4, v58
	v_add_co_ci_u32_e32 v59, vcc_lo, s5, v59, vcc_lo
	s_mov_b32 vcc_lo, s2
	global_store_b32 v[62:63], v65, off
	s_cbranch_vccz .LBB61_76
; %bb.74:
	v_add_co_u32 v61, vcc_lo, v56, v80
	v_min_f32_e32 v63, 0, v60
	v_add_co_ci_u32_e32 v62, vcc_lo, v57, v81, vcc_lo
	s_mov_b32 s7, 0
	global_store_b32 v[61:62], v63, off
	s_cbranch_execz .LBB61_77
; %bb.75:
	v_mov_b32_e32 v60, s7
	s_branch .LBB61_78
.LBB61_76:
	s_mov_b32 s7, -1
.LBB61_77:
	v_add_co_u32 v61, vcc_lo, v58, v80
	v_add_co_ci_u32_e32 v62, vcc_lo, v59, v81, vcc_lo
	flat_load_b32 v61, v[61:62]
	s_waitcnt vmcnt(0) lgkmcnt(0)
	v_mul_f32_e32 v63, s3, v61
	v_add_co_u32 v61, vcc_lo, v56, v80
	v_add_co_ci_u32_e32 v62, vcc_lo, v57, v81, vcc_lo
	s_delay_alu instid0(VALU_DEP_3)
	v_min_f32_e32 v60, v63, v60
	v_add_co_u32 v63, vcc_lo, v58, v82
	v_add_co_ci_u32_e32 v64, vcc_lo, v59, v83, vcc_lo
	global_store_b32 v[61:62], v60, off
	flat_load_b32 v60, v[63:64]
	s_waitcnt vmcnt(0) lgkmcnt(0)
	v_mul_f32_e32 v60, s3, v60
.LBB61_78:
	v_dual_add_f32 v61, v13, v53 :: v_dual_add_f32 v62, v12, v52
	v_dual_add_f32 v63, v9, v53 :: v_dual_add_f32 v64, v8, v52
	;; [unrolled: 1-line block ×3, first 2 shown]
	s_delay_alu instid0(VALU_DEP_3) | instskip(NEXT) | instid1(VALU_DEP_3)
	v_min3_f32 v61, v62, v61, v127
	v_min3_f32 v62, v64, v63, v131
	v_dual_add_f32 v63, v11, v55 :: v_dual_add_f32 v64, v10, v54
	s_delay_alu instid0(VALU_DEP_1) | instskip(SKIP_1) | instid1(VALU_DEP_1)
	v_min3_f32 v63, v64, v63, v62
	v_min_f32_e32 v65, v66, v65
	v_min3_f32 v64, v60, v65, v61
	s_delay_alu instid0(VALU_DEP_3)
	v_max_f32_e32 v60, v63, v63
	v_add_co_u32 v61, vcc_lo, v56, v82
	v_add_co_ci_u32_e32 v62, vcc_lo, v57, v83, vcc_lo
	s_mov_b32 vcc_lo, s2
	global_store_b32 v[61:62], v64, off
	s_cbranch_vccz .LBB61_81
; %bb.79:
	v_add_co_u32 v61, vcc_lo, v56, v86
	v_min_f32_e32 v63, 0, v60
	v_add_co_ci_u32_e32 v62, vcc_lo, v57, v87, vcc_lo
	s_mov_b32 s7, 0
	global_store_b32 v[61:62], v63, off
	s_cbranch_execz .LBB61_82
; %bb.80:
	v_mov_b32_e32 v58, s7
	s_branch .LBB61_83
.LBB61_81:
	s_mov_b32 s7, -1
.LBB61_82:
	v_add_co_u32 v61, vcc_lo, v58, v86
	v_add_co_ci_u32_e32 v62, vcc_lo, v59, v87, vcc_lo
	flat_load_b32 v61, v[61:62]
	s_waitcnt vmcnt(0) lgkmcnt(0)
	v_mul_f32_e32 v63, s3, v61
	v_add_co_u32 v61, vcc_lo, v56, v86
	v_add_co_ci_u32_e32 v62, vcc_lo, v57, v87, vcc_lo
	v_add_co_u32 v58, vcc_lo, v58, v84
	s_delay_alu instid0(VALU_DEP_4)
	v_min_f32_e32 v60, v63, v60
	v_add_co_ci_u32_e32 v59, vcc_lo, v59, v85, vcc_lo
	global_store_b32 v[61:62], v60, off
	flat_load_b32 v58, v[58:59]
	s_waitcnt vmcnt(0) lgkmcnt(0)
	v_mul_f32_e32 v58, s3, v58
.LBB61_83:
	s_waitcnt lgkmcnt(8)
	v_dual_add_f32 v59, v17, v49 :: v_dual_add_f32 v60, v16, v48
	v_dual_add_f32 v53, v1, v53 :: v_dual_add_f32 v52, v0, v52
	;; [unrolled: 1-line block ×3, first 2 shown]
	s_delay_alu instid0(VALU_DEP_3) | instskip(SKIP_1) | instid1(VALU_DEP_4)
	v_min3_f32 v59, v60, v59, v140
	v_add_nc_u32_e32 v60, 56, v88
	v_min3_f32 v61, v52, v53, v120
	v_dual_add_f32 v62, v19, v51 :: v_dual_add_f32 v63, v18, v50
	v_min_f32_e32 v64, v54, v55
	s_delay_alu instid0(VALU_DEP_4) | instskip(SKIP_1) | instid1(VALU_DEP_3)
	v_mad_i64_i32 v[52:53], null, v60, s8, 0
	v_mad_i64_i32 v[54:55], null, v60, s0, 0
	v_min3_f32 v61, v58, v64, v61
	v_add_co_u32 v58, vcc_lo, v56, v84
	v_min3_f32 v60, v63, v62, v59
	v_lshlrev_b64 v[52:53], 2, v[52:53]
	v_add_co_ci_u32_e32 v59, vcc_lo, v57, v85, vcc_lo
	v_lshlrev_b64 v[54:55], 2, v[54:55]
	s_delay_alu instid0(VALU_DEP_4) | instskip(NEXT) | instid1(VALU_DEP_4)
	v_max_f32_e32 v56, v60, v60
	v_add_co_u32 v52, vcc_lo, s1, v52
	v_add_co_ci_u32_e32 v53, vcc_lo, s6, v53, vcc_lo
	s_delay_alu instid0(VALU_DEP_4)
	v_add_co_u32 v54, vcc_lo, s4, v54
	v_add_co_ci_u32_e32 v55, vcc_lo, s5, v55, vcc_lo
	s_mov_b32 vcc_lo, s2
	global_store_b32 v[58:59], v61, off
	s_cbranch_vccz .LBB61_86
; %bb.84:
	v_add_co_u32 v57, vcc_lo, v52, v80
	v_min_f32_e32 v59, 0, v56
	v_add_co_ci_u32_e32 v58, vcc_lo, v53, v81, vcc_lo
	s_mov_b32 s7, 0
	global_store_b32 v[57:58], v59, off
	s_cbranch_execz .LBB61_87
; %bb.85:
	v_mov_b32_e32 v56, s7
	s_branch .LBB61_88
.LBB61_86:
	s_mov_b32 s7, -1
.LBB61_87:
	v_add_co_u32 v57, vcc_lo, v54, v80
	v_add_co_ci_u32_e32 v58, vcc_lo, v55, v81, vcc_lo
	flat_load_b32 v57, v[57:58]
	s_waitcnt vmcnt(0) lgkmcnt(0)
	v_mul_f32_e32 v59, s3, v57
	v_add_co_u32 v57, vcc_lo, v52, v80
	v_add_co_ci_u32_e32 v58, vcc_lo, v53, v81, vcc_lo
	s_delay_alu instid0(VALU_DEP_3)
	v_min_f32_e32 v56, v59, v56
	v_add_co_u32 v59, vcc_lo, v54, v82
	v_add_co_ci_u32_e32 v60, vcc_lo, v55, v83, vcc_lo
	global_store_b32 v[57:58], v56, off
	flat_load_b32 v56, v[59:60]
	s_waitcnt vmcnt(0) lgkmcnt(0)
	v_mul_f32_e32 v56, s3, v56
.LBB61_88:
	v_dual_add_f32 v57, v13, v49 :: v_dual_add_f32 v58, v12, v48
	v_dual_add_f32 v59, v9, v49 :: v_dual_add_f32 v60, v8, v48
	;; [unrolled: 1-line block ×3, first 2 shown]
	s_delay_alu instid0(VALU_DEP_3) | instskip(NEXT) | instid1(VALU_DEP_3)
	v_min3_f32 v57, v58, v57, v119
	v_min3_f32 v58, v60, v59, v125
	v_dual_add_f32 v59, v11, v51 :: v_dual_add_f32 v60, v10, v50
	s_delay_alu instid0(VALU_DEP_1) | instskip(SKIP_1) | instid1(VALU_DEP_1)
	v_min3_f32 v59, v60, v59, v58
	v_min_f32_e32 v61, v62, v61
	v_min3_f32 v60, v56, v61, v57
	s_delay_alu instid0(VALU_DEP_3)
	v_max_f32_e32 v56, v59, v59
	v_add_co_u32 v57, vcc_lo, v52, v82
	v_add_co_ci_u32_e32 v58, vcc_lo, v53, v83, vcc_lo
	s_mov_b32 vcc_lo, s2
	global_store_b32 v[57:58], v60, off
	s_cbranch_vccz .LBB61_91
; %bb.89:
	v_add_co_u32 v57, vcc_lo, v52, v86
	v_min_f32_e32 v59, 0, v56
	v_add_co_ci_u32_e32 v58, vcc_lo, v53, v87, vcc_lo
	s_mov_b32 s7, 0
	global_store_b32 v[57:58], v59, off
	s_cbranch_execz .LBB61_92
; %bb.90:
	v_mov_b32_e32 v54, s7
	s_branch .LBB61_93
.LBB61_91:
	s_mov_b32 s7, -1
.LBB61_92:
	v_add_co_u32 v57, vcc_lo, v54, v86
	v_add_co_ci_u32_e32 v58, vcc_lo, v55, v87, vcc_lo
	flat_load_b32 v57, v[57:58]
	s_waitcnt vmcnt(0) lgkmcnt(0)
	v_mul_f32_e32 v59, s3, v57
	v_add_co_u32 v57, vcc_lo, v52, v86
	v_add_co_ci_u32_e32 v58, vcc_lo, v53, v87, vcc_lo
	v_add_co_u32 v54, vcc_lo, v54, v84
	s_delay_alu instid0(VALU_DEP_4)
	v_min_f32_e32 v56, v59, v56
	v_add_co_ci_u32_e32 v55, vcc_lo, v55, v85, vcc_lo
	global_store_b32 v[57:58], v56, off
	flat_load_b32 v54, v[54:55]
	s_waitcnt vmcnt(0) lgkmcnt(0)
	v_mul_f32_e32 v54, s3, v54
.LBB61_93:
	s_waitcnt lgkmcnt(7)
	v_dual_add_f32 v55, v17, v45 :: v_dual_add_f32 v56, v16, v44
	v_dual_add_f32 v49, v1, v49 :: v_dual_add_f32 v48, v0, v48
	;; [unrolled: 1-line block ×3, first 2 shown]
	s_delay_alu instid0(VALU_DEP_3) | instskip(SKIP_1) | instid1(VALU_DEP_4)
	v_min3_f32 v55, v56, v55, v135
	v_add_nc_u32_e32 v56, 64, v88
	v_min3_f32 v57, v48, v49, v115
	v_dual_add_f32 v58, v19, v47 :: v_dual_add_f32 v59, v18, v46
	v_min_f32_e32 v60, v50, v51
	s_delay_alu instid0(VALU_DEP_4) | instskip(SKIP_1) | instid1(VALU_DEP_3)
	v_mad_i64_i32 v[48:49], null, v56, s8, 0
	v_mad_i64_i32 v[50:51], null, v56, s0, 0
	v_min3_f32 v57, v54, v60, v57
	v_add_co_u32 v54, vcc_lo, v52, v84
	v_min3_f32 v56, v59, v58, v55
	v_lshlrev_b64 v[48:49], 2, v[48:49]
	v_add_co_ci_u32_e32 v55, vcc_lo, v53, v85, vcc_lo
	v_lshlrev_b64 v[50:51], 2, v[50:51]
	s_delay_alu instid0(VALU_DEP_4) | instskip(NEXT) | instid1(VALU_DEP_4)
	v_max_f32_e32 v52, v56, v56
	v_add_co_u32 v48, vcc_lo, s1, v48
	v_add_co_ci_u32_e32 v49, vcc_lo, s6, v49, vcc_lo
	s_delay_alu instid0(VALU_DEP_4)
	v_add_co_u32 v50, vcc_lo, s4, v50
	v_add_co_ci_u32_e32 v51, vcc_lo, s5, v51, vcc_lo
	s_mov_b32 vcc_lo, s2
	global_store_b32 v[54:55], v57, off
	s_cbranch_vccz .LBB61_96
; %bb.94:
	v_add_co_u32 v53, vcc_lo, v48, v80
	v_min_f32_e32 v55, 0, v52
	v_add_co_ci_u32_e32 v54, vcc_lo, v49, v81, vcc_lo
	s_mov_b32 s7, 0
	global_store_b32 v[53:54], v55, off
	s_cbranch_execz .LBB61_97
; %bb.95:
	v_mov_b32_e32 v52, s7
	s_branch .LBB61_98
.LBB61_96:
	s_mov_b32 s7, -1
.LBB61_97:
	v_add_co_u32 v53, vcc_lo, v50, v80
	v_add_co_ci_u32_e32 v54, vcc_lo, v51, v81, vcc_lo
	flat_load_b32 v53, v[53:54]
	s_waitcnt vmcnt(0) lgkmcnt(0)
	v_mul_f32_e32 v55, s3, v53
	v_add_co_u32 v53, vcc_lo, v48, v80
	v_add_co_ci_u32_e32 v54, vcc_lo, v49, v81, vcc_lo
	s_delay_alu instid0(VALU_DEP_3)
	v_min_f32_e32 v52, v55, v52
	v_add_co_u32 v55, vcc_lo, v50, v82
	v_add_co_ci_u32_e32 v56, vcc_lo, v51, v83, vcc_lo
	global_store_b32 v[53:54], v52, off
	flat_load_b32 v52, v[55:56]
	s_waitcnt vmcnt(0) lgkmcnt(0)
	v_mul_f32_e32 v52, s3, v52
.LBB61_98:
	v_dual_add_f32 v53, v13, v45 :: v_dual_add_f32 v54, v12, v44
	v_dual_add_f32 v55, v9, v45 :: v_dual_add_f32 v56, v8, v44
	;; [unrolled: 1-line block ×3, first 2 shown]
	s_delay_alu instid0(VALU_DEP_3) | instskip(NEXT) | instid1(VALU_DEP_3)
	v_min3_f32 v53, v54, v53, v116
	v_min3_f32 v54, v56, v55, v121
	v_dual_add_f32 v55, v11, v47 :: v_dual_add_f32 v56, v10, v46
	s_delay_alu instid0(VALU_DEP_1) | instskip(SKIP_1) | instid1(VALU_DEP_1)
	v_min3_f32 v55, v56, v55, v54
	v_min_f32_e32 v57, v58, v57
	v_min3_f32 v56, v52, v57, v53
	s_delay_alu instid0(VALU_DEP_3)
	v_max_f32_e32 v52, v55, v55
	v_add_co_u32 v53, vcc_lo, v48, v82
	v_add_co_ci_u32_e32 v54, vcc_lo, v49, v83, vcc_lo
	s_mov_b32 vcc_lo, s2
	global_store_b32 v[53:54], v56, off
	s_cbranch_vccz .LBB61_101
; %bb.99:
	v_add_co_u32 v53, vcc_lo, v48, v86
	v_min_f32_e32 v55, 0, v52
	v_add_co_ci_u32_e32 v54, vcc_lo, v49, v87, vcc_lo
	s_mov_b32 s7, 0
	global_store_b32 v[53:54], v55, off
	s_cbranch_execz .LBB61_102
; %bb.100:
	v_mov_b32_e32 v50, s7
	s_branch .LBB61_103
.LBB61_101:
	s_mov_b32 s7, -1
.LBB61_102:
	v_add_co_u32 v53, vcc_lo, v50, v86
	v_add_co_ci_u32_e32 v54, vcc_lo, v51, v87, vcc_lo
	flat_load_b32 v53, v[53:54]
	s_waitcnt vmcnt(0) lgkmcnt(0)
	v_mul_f32_e32 v55, s3, v53
	v_add_co_u32 v53, vcc_lo, v48, v86
	v_add_co_ci_u32_e32 v54, vcc_lo, v49, v87, vcc_lo
	v_add_co_u32 v50, vcc_lo, v50, v84
	s_delay_alu instid0(VALU_DEP_4)
	v_min_f32_e32 v52, v55, v52
	v_add_co_ci_u32_e32 v51, vcc_lo, v51, v85, vcc_lo
	global_store_b32 v[53:54], v52, off
	flat_load_b32 v50, v[50:51]
	s_waitcnt vmcnt(0) lgkmcnt(0)
	v_mul_f32_e32 v50, s3, v50
.LBB61_103:
	s_waitcnt lgkmcnt(6)
	v_dual_add_f32 v51, v17, v41 :: v_dual_add_f32 v52, v16, v40
	v_dual_add_f32 v45, v1, v45 :: v_dual_add_f32 v44, v0, v44
	;; [unrolled: 1-line block ×3, first 2 shown]
	s_delay_alu instid0(VALU_DEP_3) | instskip(SKIP_1) | instid1(VALU_DEP_4)
	v_min3_f32 v51, v52, v51, v138
	v_add_nc_u32_e32 v52, 0x48, v88
	v_min3_f32 v53, v44, v45, v110
	v_dual_add_f32 v54, v19, v43 :: v_dual_add_f32 v55, v18, v42
	v_min_f32_e32 v56, v46, v47
	s_delay_alu instid0(VALU_DEP_4) | instskip(SKIP_1) | instid1(VALU_DEP_3)
	v_mad_i64_i32 v[44:45], null, v52, s8, 0
	v_mad_i64_i32 v[46:47], null, v52, s0, 0
	v_min3_f32 v53, v50, v56, v53
	v_add_co_u32 v50, vcc_lo, v48, v84
	v_min3_f32 v52, v55, v54, v51
	v_lshlrev_b64 v[44:45], 2, v[44:45]
	v_add_co_ci_u32_e32 v51, vcc_lo, v49, v85, vcc_lo
	v_lshlrev_b64 v[46:47], 2, v[46:47]
	s_delay_alu instid0(VALU_DEP_4) | instskip(NEXT) | instid1(VALU_DEP_4)
	v_max_f32_e32 v48, v52, v52
	v_add_co_u32 v44, vcc_lo, s1, v44
	v_add_co_ci_u32_e32 v45, vcc_lo, s6, v45, vcc_lo
	s_delay_alu instid0(VALU_DEP_4)
	v_add_co_u32 v46, vcc_lo, s4, v46
	v_add_co_ci_u32_e32 v47, vcc_lo, s5, v47, vcc_lo
	s_mov_b32 vcc_lo, s2
	global_store_b32 v[50:51], v53, off
	s_cbranch_vccz .LBB61_106
; %bb.104:
	v_add_co_u32 v49, vcc_lo, v44, v80
	v_min_f32_e32 v51, 0, v48
	v_add_co_ci_u32_e32 v50, vcc_lo, v45, v81, vcc_lo
	s_mov_b32 s7, 0
	global_store_b32 v[49:50], v51, off
	s_cbranch_execz .LBB61_107
; %bb.105:
	v_mov_b32_e32 v48, s7
	s_branch .LBB61_108
.LBB61_106:
	s_mov_b32 s7, -1
.LBB61_107:
	v_add_co_u32 v49, vcc_lo, v46, v80
	v_add_co_ci_u32_e32 v50, vcc_lo, v47, v81, vcc_lo
	flat_load_b32 v49, v[49:50]
	s_waitcnt vmcnt(0) lgkmcnt(0)
	v_mul_f32_e32 v51, s3, v49
	v_add_co_u32 v49, vcc_lo, v44, v80
	v_add_co_ci_u32_e32 v50, vcc_lo, v45, v81, vcc_lo
	s_delay_alu instid0(VALU_DEP_3)
	v_min_f32_e32 v48, v51, v48
	v_add_co_u32 v51, vcc_lo, v46, v82
	v_add_co_ci_u32_e32 v52, vcc_lo, v47, v83, vcc_lo
	global_store_b32 v[49:50], v48, off
	flat_load_b32 v48, v[51:52]
	s_waitcnt vmcnt(0) lgkmcnt(0)
	v_mul_f32_e32 v48, s3, v48
.LBB61_108:
	v_dual_add_f32 v49, v13, v41 :: v_dual_add_f32 v50, v12, v40
	v_dual_add_f32 v51, v9, v41 :: v_dual_add_f32 v52, v8, v40
	;; [unrolled: 1-line block ×3, first 2 shown]
	s_delay_alu instid0(VALU_DEP_3) | instskip(NEXT) | instid1(VALU_DEP_3)
	v_min3_f32 v49, v50, v49, v117
	v_min3_f32 v50, v52, v51, v123
	v_dual_add_f32 v51, v11, v43 :: v_dual_add_f32 v52, v10, v42
	s_delay_alu instid0(VALU_DEP_1) | instskip(SKIP_1) | instid1(VALU_DEP_1)
	v_min3_f32 v51, v52, v51, v50
	v_min_f32_e32 v53, v54, v53
	v_min3_f32 v52, v48, v53, v49
	s_delay_alu instid0(VALU_DEP_3)
	v_max_f32_e32 v48, v51, v51
	v_add_co_u32 v49, vcc_lo, v44, v82
	v_add_co_ci_u32_e32 v50, vcc_lo, v45, v83, vcc_lo
	s_mov_b32 vcc_lo, s2
	global_store_b32 v[49:50], v52, off
	s_cbranch_vccz .LBB61_111
; %bb.109:
	v_add_co_u32 v49, vcc_lo, v44, v86
	v_min_f32_e32 v51, 0, v48
	v_add_co_ci_u32_e32 v50, vcc_lo, v45, v87, vcc_lo
	s_mov_b32 s7, 0
	global_store_b32 v[49:50], v51, off
	s_cbranch_execz .LBB61_112
; %bb.110:
	v_mov_b32_e32 v46, s7
	s_branch .LBB61_113
.LBB61_111:
	s_mov_b32 s7, -1
.LBB61_112:
	v_add_co_u32 v49, vcc_lo, v46, v86
	v_add_co_ci_u32_e32 v50, vcc_lo, v47, v87, vcc_lo
	flat_load_b32 v49, v[49:50]
	s_waitcnt vmcnt(0) lgkmcnt(0)
	v_mul_f32_e32 v51, s3, v49
	v_add_co_u32 v49, vcc_lo, v44, v86
	v_add_co_ci_u32_e32 v50, vcc_lo, v45, v87, vcc_lo
	v_add_co_u32 v46, vcc_lo, v46, v84
	s_delay_alu instid0(VALU_DEP_4)
	v_min_f32_e32 v48, v51, v48
	v_add_co_ci_u32_e32 v47, vcc_lo, v47, v85, vcc_lo
	global_store_b32 v[49:50], v48, off
	flat_load_b32 v46, v[46:47]
	s_waitcnt vmcnt(0) lgkmcnt(0)
	v_mul_f32_e32 v46, s3, v46
.LBB61_113:
	s_waitcnt lgkmcnt(5)
	v_dual_add_f32 v47, v17, v37 :: v_dual_add_f32 v48, v16, v36
	v_dual_add_f32 v41, v1, v41 :: v_dual_add_f32 v40, v0, v40
	;; [unrolled: 1-line block ×3, first 2 shown]
	s_delay_alu instid0(VALU_DEP_3) | instskip(SKIP_1) | instid1(VALU_DEP_4)
	v_min3_f32 v47, v48, v47, v133
	v_add_nc_u32_e32 v48, 0x50, v88
	v_min3_f32 v49, v40, v41, v112
	v_dual_add_f32 v50, v19, v39 :: v_dual_add_f32 v51, v18, v38
	v_min_f32_e32 v52, v42, v43
	s_delay_alu instid0(VALU_DEP_4) | instskip(SKIP_1) | instid1(VALU_DEP_3)
	v_mad_i64_i32 v[40:41], null, v48, s8, 0
	v_mad_i64_i32 v[42:43], null, v48, s0, 0
	v_min3_f32 v49, v46, v52, v49
	v_add_co_u32 v46, vcc_lo, v44, v84
	v_min3_f32 v48, v51, v50, v47
	v_lshlrev_b64 v[40:41], 2, v[40:41]
	v_add_co_ci_u32_e32 v47, vcc_lo, v45, v85, vcc_lo
	v_lshlrev_b64 v[42:43], 2, v[42:43]
	s_delay_alu instid0(VALU_DEP_4) | instskip(NEXT) | instid1(VALU_DEP_4)
	v_max_f32_e32 v44, v48, v48
	v_add_co_u32 v40, vcc_lo, s1, v40
	v_add_co_ci_u32_e32 v41, vcc_lo, s6, v41, vcc_lo
	s_delay_alu instid0(VALU_DEP_4)
	v_add_co_u32 v42, vcc_lo, s4, v42
	v_add_co_ci_u32_e32 v43, vcc_lo, s5, v43, vcc_lo
	s_mov_b32 vcc_lo, s2
	global_store_b32 v[46:47], v49, off
	s_cbranch_vccz .LBB61_116
; %bb.114:
	v_add_co_u32 v45, vcc_lo, v40, v80
	v_min_f32_e32 v47, 0, v44
	v_add_co_ci_u32_e32 v46, vcc_lo, v41, v81, vcc_lo
	s_mov_b32 s7, 0
	global_store_b32 v[45:46], v47, off
	s_cbranch_execz .LBB61_117
; %bb.115:
	v_mov_b32_e32 v44, s7
	s_branch .LBB61_118
.LBB61_116:
	s_mov_b32 s7, -1
.LBB61_117:
	v_add_co_u32 v45, vcc_lo, v42, v80
	v_add_co_ci_u32_e32 v46, vcc_lo, v43, v81, vcc_lo
	flat_load_b32 v45, v[45:46]
	s_waitcnt vmcnt(0) lgkmcnt(0)
	v_mul_f32_e32 v47, s3, v45
	v_add_co_u32 v45, vcc_lo, v40, v80
	v_add_co_ci_u32_e32 v46, vcc_lo, v41, v81, vcc_lo
	s_delay_alu instid0(VALU_DEP_3)
	v_min_f32_e32 v44, v47, v44
	v_add_co_u32 v47, vcc_lo, v42, v82
	v_add_co_ci_u32_e32 v48, vcc_lo, v43, v83, vcc_lo
	global_store_b32 v[45:46], v44, off
	flat_load_b32 v44, v[47:48]
	s_waitcnt vmcnt(0) lgkmcnt(0)
	v_mul_f32_e32 v44, s3, v44
.LBB61_118:
	v_dual_add_f32 v45, v13, v37 :: v_dual_add_f32 v46, v12, v36
	v_dual_add_f32 v47, v9, v37 :: v_dual_add_f32 v48, v8, v36
	;; [unrolled: 1-line block ×3, first 2 shown]
	s_delay_alu instid0(VALU_DEP_3) | instskip(NEXT) | instid1(VALU_DEP_3)
	v_min3_f32 v45, v46, v45, v114
	v_min3_f32 v46, v48, v47, v118
	v_dual_add_f32 v47, v11, v39 :: v_dual_add_f32 v48, v10, v38
	s_delay_alu instid0(VALU_DEP_1) | instskip(SKIP_1) | instid1(VALU_DEP_1)
	v_min3_f32 v47, v48, v47, v46
	v_min_f32_e32 v49, v50, v49
	v_min3_f32 v48, v44, v49, v45
	s_delay_alu instid0(VALU_DEP_3)
	v_max_f32_e32 v44, v47, v47
	v_add_co_u32 v45, vcc_lo, v40, v82
	v_add_co_ci_u32_e32 v46, vcc_lo, v41, v83, vcc_lo
	s_mov_b32 vcc_lo, s2
	global_store_b32 v[45:46], v48, off
	s_cbranch_vccz .LBB61_121
; %bb.119:
	v_add_co_u32 v45, vcc_lo, v40, v86
	v_min_f32_e32 v47, 0, v44
	v_add_co_ci_u32_e32 v46, vcc_lo, v41, v87, vcc_lo
	s_mov_b32 s7, 0
	global_store_b32 v[45:46], v47, off
	s_cbranch_execz .LBB61_122
; %bb.120:
	v_mov_b32_e32 v42, s7
	s_branch .LBB61_123
.LBB61_121:
	s_mov_b32 s7, -1
.LBB61_122:
	v_add_co_u32 v45, vcc_lo, v42, v86
	v_add_co_ci_u32_e32 v46, vcc_lo, v43, v87, vcc_lo
	flat_load_b32 v45, v[45:46]
	s_waitcnt vmcnt(0) lgkmcnt(0)
	v_mul_f32_e32 v47, s3, v45
	v_add_co_u32 v45, vcc_lo, v40, v86
	v_add_co_ci_u32_e32 v46, vcc_lo, v41, v87, vcc_lo
	v_add_co_u32 v42, vcc_lo, v42, v84
	s_delay_alu instid0(VALU_DEP_4)
	v_min_f32_e32 v44, v47, v44
	v_add_co_ci_u32_e32 v43, vcc_lo, v43, v85, vcc_lo
	global_store_b32 v[45:46], v44, off
	flat_load_b32 v42, v[42:43]
	s_waitcnt vmcnt(0) lgkmcnt(0)
	v_mul_f32_e32 v42, s3, v42
.LBB61_123:
	s_waitcnt lgkmcnt(4)
	v_dual_add_f32 v43, v17, v33 :: v_dual_add_f32 v44, v16, v32
	v_dual_add_f32 v37, v1, v37 :: v_dual_add_f32 v36, v0, v36
	;; [unrolled: 1-line block ×3, first 2 shown]
	s_delay_alu instid0(VALU_DEP_3) | instskip(SKIP_1) | instid1(VALU_DEP_4)
	v_min3_f32 v43, v44, v43, v126
	v_add_nc_u32_e32 v44, 0x58, v88
	v_min3_f32 v45, v36, v37, v108
	v_dual_add_f32 v46, v19, v35 :: v_dual_add_f32 v47, v18, v34
	v_min_f32_e32 v48, v38, v39
	s_delay_alu instid0(VALU_DEP_4) | instskip(SKIP_1) | instid1(VALU_DEP_3)
	v_mad_i64_i32 v[36:37], null, v44, s8, 0
	v_mad_i64_i32 v[38:39], null, v44, s0, 0
	v_min3_f32 v45, v42, v48, v45
	v_add_co_u32 v42, vcc_lo, v40, v84
	v_min3_f32 v44, v47, v46, v43
	v_lshlrev_b64 v[36:37], 2, v[36:37]
	v_add_co_ci_u32_e32 v43, vcc_lo, v41, v85, vcc_lo
	v_lshlrev_b64 v[38:39], 2, v[38:39]
	s_delay_alu instid0(VALU_DEP_4) | instskip(NEXT) | instid1(VALU_DEP_4)
	v_max_f32_e32 v40, v44, v44
	v_add_co_u32 v36, vcc_lo, s1, v36
	v_add_co_ci_u32_e32 v37, vcc_lo, s6, v37, vcc_lo
	s_delay_alu instid0(VALU_DEP_4)
	v_add_co_u32 v38, vcc_lo, s4, v38
	v_add_co_ci_u32_e32 v39, vcc_lo, s5, v39, vcc_lo
	s_mov_b32 vcc_lo, s2
	global_store_b32 v[42:43], v45, off
	s_cbranch_vccz .LBB61_126
; %bb.124:
	v_add_co_u32 v41, vcc_lo, v36, v80
	v_min_f32_e32 v43, 0, v40
	v_add_co_ci_u32_e32 v42, vcc_lo, v37, v81, vcc_lo
	s_mov_b32 s7, 0
	global_store_b32 v[41:42], v43, off
	s_cbranch_execz .LBB61_127
; %bb.125:
	v_mov_b32_e32 v40, s7
	s_branch .LBB61_128
.LBB61_126:
	s_mov_b32 s7, -1
.LBB61_127:
	v_add_co_u32 v41, vcc_lo, v38, v80
	v_add_co_ci_u32_e32 v42, vcc_lo, v39, v81, vcc_lo
	flat_load_b32 v41, v[41:42]
	s_waitcnt vmcnt(0) lgkmcnt(0)
	v_mul_f32_e32 v43, s3, v41
	v_add_co_u32 v41, vcc_lo, v36, v80
	v_add_co_ci_u32_e32 v42, vcc_lo, v37, v81, vcc_lo
	s_delay_alu instid0(VALU_DEP_3)
	v_min_f32_e32 v40, v43, v40
	v_add_co_u32 v43, vcc_lo, v38, v82
	v_add_co_ci_u32_e32 v44, vcc_lo, v39, v83, vcc_lo
	global_store_b32 v[41:42], v40, off
	flat_load_b32 v40, v[43:44]
	s_waitcnt vmcnt(0) lgkmcnt(0)
	v_mul_f32_e32 v40, s3, v40
.LBB61_128:
	v_dual_add_f32 v41, v13, v33 :: v_dual_add_f32 v42, v12, v32
	v_dual_add_f32 v43, v9, v33 :: v_dual_add_f32 v44, v8, v32
	;; [unrolled: 1-line block ×3, first 2 shown]
	s_delay_alu instid0(VALU_DEP_3) | instskip(NEXT) | instid1(VALU_DEP_3)
	v_min3_f32 v41, v42, v41, v106
	v_min3_f32 v42, v44, v43, v111
	v_dual_add_f32 v43, v11, v35 :: v_dual_add_f32 v44, v10, v34
	s_delay_alu instid0(VALU_DEP_1) | instskip(SKIP_1) | instid1(VALU_DEP_1)
	v_min3_f32 v43, v44, v43, v42
	v_min_f32_e32 v45, v46, v45
	v_min3_f32 v44, v40, v45, v41
	s_delay_alu instid0(VALU_DEP_3)
	v_max_f32_e32 v40, v43, v43
	v_add_co_u32 v41, vcc_lo, v36, v82
	v_add_co_ci_u32_e32 v42, vcc_lo, v37, v83, vcc_lo
	s_mov_b32 vcc_lo, s2
	global_store_b32 v[41:42], v44, off
	s_cbranch_vccz .LBB61_131
; %bb.129:
	v_add_co_u32 v41, vcc_lo, v36, v86
	v_min_f32_e32 v43, 0, v40
	v_add_co_ci_u32_e32 v42, vcc_lo, v37, v87, vcc_lo
	s_mov_b32 s7, 0
	global_store_b32 v[41:42], v43, off
	s_cbranch_execz .LBB61_132
; %bb.130:
	v_mov_b32_e32 v38, s7
	s_branch .LBB61_133
.LBB61_131:
	s_mov_b32 s7, -1
.LBB61_132:
	v_add_co_u32 v41, vcc_lo, v38, v86
	v_add_co_ci_u32_e32 v42, vcc_lo, v39, v87, vcc_lo
	flat_load_b32 v41, v[41:42]
	s_waitcnt vmcnt(0) lgkmcnt(0)
	v_mul_f32_e32 v43, s3, v41
	v_add_co_u32 v41, vcc_lo, v36, v86
	v_add_co_ci_u32_e32 v42, vcc_lo, v37, v87, vcc_lo
	v_add_co_u32 v38, vcc_lo, v38, v84
	s_delay_alu instid0(VALU_DEP_4)
	v_min_f32_e32 v40, v43, v40
	v_add_co_ci_u32_e32 v39, vcc_lo, v39, v85, vcc_lo
	global_store_b32 v[41:42], v40, off
	flat_load_b32 v38, v[38:39]
	s_waitcnt vmcnt(0) lgkmcnt(0)
	v_mul_f32_e32 v38, s3, v38
.LBB61_133:
	s_waitcnt lgkmcnt(3)
	v_dual_add_f32 v39, v17, v29 :: v_dual_add_f32 v40, v16, v28
	v_dual_add_f32 v33, v1, v33 :: v_dual_add_f32 v32, v0, v32
	;; [unrolled: 1-line block ×3, first 2 shown]
	s_delay_alu instid0(VALU_DEP_3) | instskip(SKIP_1) | instid1(VALU_DEP_4)
	v_min3_f32 v39, v40, v39, v122
	v_add_nc_u32_e32 v40, 0x60, v88
	v_min3_f32 v41, v32, v33, v104
	v_dual_add_f32 v42, v19, v31 :: v_dual_add_f32 v43, v18, v30
	v_min_f32_e32 v44, v34, v35
	s_delay_alu instid0(VALU_DEP_4) | instskip(SKIP_1) | instid1(VALU_DEP_3)
	v_mad_i64_i32 v[32:33], null, v40, s8, 0
	v_mad_i64_i32 v[34:35], null, v40, s0, 0
	v_min3_f32 v41, v38, v44, v41
	v_add_co_u32 v38, vcc_lo, v36, v84
	v_min3_f32 v40, v43, v42, v39
	v_lshlrev_b64 v[32:33], 2, v[32:33]
	v_add_co_ci_u32_e32 v39, vcc_lo, v37, v85, vcc_lo
	v_lshlrev_b64 v[34:35], 2, v[34:35]
	s_delay_alu instid0(VALU_DEP_4) | instskip(NEXT) | instid1(VALU_DEP_4)
	v_max_f32_e32 v36, v40, v40
	v_add_co_u32 v32, vcc_lo, s1, v32
	v_add_co_ci_u32_e32 v33, vcc_lo, s6, v33, vcc_lo
	s_delay_alu instid0(VALU_DEP_4)
	v_add_co_u32 v34, vcc_lo, s4, v34
	v_add_co_ci_u32_e32 v35, vcc_lo, s5, v35, vcc_lo
	s_mov_b32 vcc_lo, s2
	global_store_b32 v[38:39], v41, off
	s_cbranch_vccz .LBB61_136
; %bb.134:
	v_add_co_u32 v37, vcc_lo, v32, v80
	v_min_f32_e32 v39, 0, v36
	v_add_co_ci_u32_e32 v38, vcc_lo, v33, v81, vcc_lo
	s_mov_b32 s7, 0
	global_store_b32 v[37:38], v39, off
	s_cbranch_execz .LBB61_137
; %bb.135:
	v_mov_b32_e32 v36, s7
	s_branch .LBB61_138
.LBB61_136:
	s_mov_b32 s7, -1
.LBB61_137:
	v_add_co_u32 v37, vcc_lo, v34, v80
	v_add_co_ci_u32_e32 v38, vcc_lo, v35, v81, vcc_lo
	flat_load_b32 v37, v[37:38]
	s_waitcnt vmcnt(0) lgkmcnt(0)
	v_mul_f32_e32 v39, s3, v37
	v_add_co_u32 v37, vcc_lo, v32, v80
	v_add_co_ci_u32_e32 v38, vcc_lo, v33, v81, vcc_lo
	s_delay_alu instid0(VALU_DEP_3)
	v_min_f32_e32 v36, v39, v36
	v_add_co_u32 v39, vcc_lo, v34, v82
	v_add_co_ci_u32_e32 v40, vcc_lo, v35, v83, vcc_lo
	global_store_b32 v[37:38], v36, off
	flat_load_b32 v36, v[39:40]
	s_waitcnt vmcnt(0) lgkmcnt(0)
	v_mul_f32_e32 v36, s3, v36
.LBB61_138:
	v_dual_add_f32 v37, v13, v29 :: v_dual_add_f32 v38, v12, v28
	v_dual_add_f32 v39, v9, v29 :: v_dual_add_f32 v40, v8, v28
	;; [unrolled: 1-line block ×3, first 2 shown]
	s_delay_alu instid0(VALU_DEP_3) | instskip(NEXT) | instid1(VALU_DEP_3)
	v_min3_f32 v37, v38, v37, v105
	v_min3_f32 v38, v40, v39, v107
	v_dual_add_f32 v39, v11, v31 :: v_dual_add_f32 v40, v10, v30
	s_delay_alu instid0(VALU_DEP_1) | instskip(SKIP_1) | instid1(VALU_DEP_1)
	v_min3_f32 v39, v40, v39, v38
	v_min_f32_e32 v41, v42, v41
	v_min3_f32 v40, v36, v41, v37
	s_delay_alu instid0(VALU_DEP_3)
	v_max_f32_e32 v36, v39, v39
	v_add_co_u32 v37, vcc_lo, v32, v82
	v_add_co_ci_u32_e32 v38, vcc_lo, v33, v83, vcc_lo
	s_mov_b32 vcc_lo, s2
	global_store_b32 v[37:38], v40, off
	s_cbranch_vccz .LBB61_141
; %bb.139:
	v_add_co_u32 v37, vcc_lo, v32, v86
	v_min_f32_e32 v39, 0, v36
	v_add_co_ci_u32_e32 v38, vcc_lo, v33, v87, vcc_lo
	s_mov_b32 s7, 0
	global_store_b32 v[37:38], v39, off
	s_cbranch_execz .LBB61_142
; %bb.140:
	v_mov_b32_e32 v34, s7
	s_branch .LBB61_143
.LBB61_141:
	s_mov_b32 s7, -1
.LBB61_142:
	v_add_co_u32 v37, vcc_lo, v34, v86
	v_add_co_ci_u32_e32 v38, vcc_lo, v35, v87, vcc_lo
	flat_load_b32 v37, v[37:38]
	s_waitcnt vmcnt(0) lgkmcnt(0)
	v_mul_f32_e32 v39, s3, v37
	v_add_co_u32 v37, vcc_lo, v32, v86
	v_add_co_ci_u32_e32 v38, vcc_lo, v33, v87, vcc_lo
	v_add_co_u32 v34, vcc_lo, v34, v84
	s_delay_alu instid0(VALU_DEP_4)
	v_min_f32_e32 v36, v39, v36
	v_add_co_ci_u32_e32 v35, vcc_lo, v35, v85, vcc_lo
	global_store_b32 v[37:38], v36, off
	flat_load_b32 v34, v[34:35]
	s_waitcnt vmcnt(0) lgkmcnt(0)
	v_mul_f32_e32 v34, s3, v34
.LBB61_143:
	s_waitcnt lgkmcnt(2)
	v_dual_add_f32 v35, v17, v25 :: v_dual_add_f32 v36, v16, v24
	v_dual_add_f32 v29, v1, v29 :: v_dual_add_f32 v28, v0, v28
	;; [unrolled: 1-line block ×3, first 2 shown]
	s_delay_alu instid0(VALU_DEP_3) | instskip(SKIP_1) | instid1(VALU_DEP_4)
	v_min3_f32 v35, v36, v35, v113
	v_add_nc_u32_e32 v36, 0x68, v88
	v_min3_f32 v37, v28, v29, v102
	v_dual_add_f32 v38, v19, v27 :: v_dual_add_f32 v39, v18, v26
	v_min_f32_e32 v40, v30, v31
	s_delay_alu instid0(VALU_DEP_4) | instskip(SKIP_1) | instid1(VALU_DEP_3)
	v_mad_i64_i32 v[28:29], null, v36, s8, 0
	v_mad_i64_i32 v[30:31], null, v36, s0, 0
	v_min3_f32 v37, v34, v40, v37
	v_add_co_u32 v34, vcc_lo, v32, v84
	v_min3_f32 v36, v39, v38, v35
	v_lshlrev_b64 v[28:29], 2, v[28:29]
	v_add_co_ci_u32_e32 v35, vcc_lo, v33, v85, vcc_lo
	v_lshlrev_b64 v[30:31], 2, v[30:31]
	s_delay_alu instid0(VALU_DEP_4) | instskip(NEXT) | instid1(VALU_DEP_4)
	v_max_f32_e32 v32, v36, v36
	v_add_co_u32 v28, vcc_lo, s1, v28
	v_add_co_ci_u32_e32 v29, vcc_lo, s6, v29, vcc_lo
	s_delay_alu instid0(VALU_DEP_4)
	v_add_co_u32 v30, vcc_lo, s4, v30
	v_add_co_ci_u32_e32 v31, vcc_lo, s5, v31, vcc_lo
	s_mov_b32 vcc_lo, s2
	global_store_b32 v[34:35], v37, off
	s_cbranch_vccz .LBB61_146
; %bb.144:
	v_add_co_u32 v33, vcc_lo, v28, v80
	v_min_f32_e32 v35, 0, v32
	v_add_co_ci_u32_e32 v34, vcc_lo, v29, v81, vcc_lo
	s_mov_b32 s7, 0
	global_store_b32 v[33:34], v35, off
	s_cbranch_execz .LBB61_147
; %bb.145:
	v_mov_b32_e32 v32, s7
	s_branch .LBB61_148
.LBB61_146:
	s_mov_b32 s7, -1
.LBB61_147:
	v_add_co_u32 v33, vcc_lo, v30, v80
	v_add_co_ci_u32_e32 v34, vcc_lo, v31, v81, vcc_lo
	flat_load_b32 v33, v[33:34]
	s_waitcnt vmcnt(0) lgkmcnt(0)
	v_mul_f32_e32 v35, s3, v33
	v_add_co_u32 v33, vcc_lo, v28, v80
	v_add_co_ci_u32_e32 v34, vcc_lo, v29, v81, vcc_lo
	s_delay_alu instid0(VALU_DEP_3)
	v_min_f32_e32 v32, v35, v32
	v_add_co_u32 v35, vcc_lo, v30, v82
	v_add_co_ci_u32_e32 v36, vcc_lo, v31, v83, vcc_lo
	global_store_b32 v[33:34], v32, off
	flat_load_b32 v32, v[35:36]
	s_waitcnt vmcnt(0) lgkmcnt(0)
	v_mul_f32_e32 v32, s3, v32
.LBB61_148:
	v_dual_add_f32 v33, v13, v25 :: v_dual_add_f32 v34, v12, v24
	v_dual_add_f32 v35, v9, v25 :: v_dual_add_f32 v36, v8, v24
	v_dual_add_f32 v37, v15, v27 :: v_dual_add_f32 v38, v14, v26
	s_delay_alu instid0(VALU_DEP_3) | instskip(NEXT) | instid1(VALU_DEP_3)
	v_min3_f32 v33, v34, v33, v100
	v_min3_f32 v34, v36, v35, v103
	v_dual_add_f32 v35, v11, v27 :: v_dual_add_f32 v36, v10, v26
	s_delay_alu instid0(VALU_DEP_1) | instskip(SKIP_1) | instid1(VALU_DEP_1)
	v_min3_f32 v35, v36, v35, v34
	v_min_f32_e32 v37, v38, v37
	v_min3_f32 v36, v32, v37, v33
	s_delay_alu instid0(VALU_DEP_3)
	v_max_f32_e32 v32, v35, v35
	v_add_co_u32 v33, vcc_lo, v28, v82
	v_add_co_ci_u32_e32 v34, vcc_lo, v29, v83, vcc_lo
	s_mov_b32 vcc_lo, s2
	global_store_b32 v[33:34], v36, off
	s_cbranch_vccz .LBB61_151
; %bb.149:
	v_add_co_u32 v33, vcc_lo, v28, v86
	v_min_f32_e32 v35, 0, v32
	v_add_co_ci_u32_e32 v34, vcc_lo, v29, v87, vcc_lo
	s_mov_b32 s7, 0
	global_store_b32 v[33:34], v35, off
	s_cbranch_execz .LBB61_152
; %bb.150:
	v_mov_b32_e32 v30, s7
	s_branch .LBB61_153
.LBB61_151:
	s_mov_b32 s7, -1
.LBB61_152:
	v_add_co_u32 v33, vcc_lo, v30, v86
	v_add_co_ci_u32_e32 v34, vcc_lo, v31, v87, vcc_lo
	flat_load_b32 v33, v[33:34]
	s_waitcnt vmcnt(0) lgkmcnt(0)
	v_mul_f32_e32 v35, s3, v33
	v_add_co_u32 v33, vcc_lo, v28, v86
	v_add_co_ci_u32_e32 v34, vcc_lo, v29, v87, vcc_lo
	v_add_co_u32 v30, vcc_lo, v30, v84
	s_delay_alu instid0(VALU_DEP_4)
	v_min_f32_e32 v32, v35, v32
	v_add_co_ci_u32_e32 v31, vcc_lo, v31, v85, vcc_lo
	global_store_b32 v[33:34], v32, off
	flat_load_b32 v30, v[30:31]
	s_waitcnt vmcnt(0) lgkmcnt(0)
	v_mul_f32_e32 v30, s3, v30
.LBB61_153:
	s_waitcnt lgkmcnt(1)
	v_dual_add_f32 v31, v17, v21 :: v_dual_add_f32 v32, v16, v20
	v_dual_add_f32 v25, v1, v25 :: v_dual_add_f32 v24, v0, v24
	;; [unrolled: 1-line block ×3, first 2 shown]
	s_delay_alu instid0(VALU_DEP_3) | instskip(SKIP_1) | instid1(VALU_DEP_4)
	v_min3_f32 v31, v32, v31, v109
	v_add_nc_u32_e32 v32, 0x70, v88
	v_min3_f32 v33, v24, v25, v97
	v_dual_add_f32 v34, v19, v23 :: v_dual_add_f32 v35, v18, v22
	v_min_f32_e32 v36, v26, v27
	s_delay_alu instid0(VALU_DEP_4) | instskip(SKIP_1) | instid1(VALU_DEP_3)
	v_mad_i64_i32 v[24:25], null, v32, s8, 0
	v_mad_i64_i32 v[26:27], null, v32, s0, 0
	v_min3_f32 v33, v30, v36, v33
	v_add_co_u32 v30, vcc_lo, v28, v84
	v_min3_f32 v32, v35, v34, v31
	v_lshlrev_b64 v[24:25], 2, v[24:25]
	v_add_co_ci_u32_e32 v31, vcc_lo, v29, v85, vcc_lo
	v_lshlrev_b64 v[26:27], 2, v[26:27]
	s_delay_alu instid0(VALU_DEP_4) | instskip(NEXT) | instid1(VALU_DEP_4)
	v_max_f32_e32 v28, v32, v32
	v_add_co_u32 v24, vcc_lo, s1, v24
	v_add_co_ci_u32_e32 v25, vcc_lo, s6, v25, vcc_lo
	s_delay_alu instid0(VALU_DEP_4)
	v_add_co_u32 v26, vcc_lo, s4, v26
	v_add_co_ci_u32_e32 v27, vcc_lo, s5, v27, vcc_lo
	s_mov_b32 vcc_lo, s2
	global_store_b32 v[30:31], v33, off
	s_cbranch_vccz .LBB61_156
; %bb.154:
	v_add_co_u32 v29, vcc_lo, v24, v80
	v_min_f32_e32 v31, 0, v28
	v_add_co_ci_u32_e32 v30, vcc_lo, v25, v81, vcc_lo
	s_mov_b32 s7, 0
	global_store_b32 v[29:30], v31, off
	s_cbranch_execz .LBB61_157
; %bb.155:
	v_mov_b32_e32 v28, s7
	s_branch .LBB61_158
.LBB61_156:
	s_mov_b32 s7, -1
.LBB61_157:
	v_add_co_u32 v29, vcc_lo, v26, v80
	v_add_co_ci_u32_e32 v30, vcc_lo, v27, v81, vcc_lo
	flat_load_b32 v29, v[29:30]
	s_waitcnt vmcnt(0) lgkmcnt(0)
	v_mul_f32_e32 v31, s3, v29
	v_add_co_u32 v29, vcc_lo, v24, v80
	v_add_co_ci_u32_e32 v30, vcc_lo, v25, v81, vcc_lo
	s_delay_alu instid0(VALU_DEP_3)
	v_min_f32_e32 v28, v31, v28
	v_add_co_u32 v31, vcc_lo, v26, v82
	v_add_co_ci_u32_e32 v32, vcc_lo, v27, v83, vcc_lo
	global_store_b32 v[29:30], v28, off
	flat_load_b32 v28, v[31:32]
	s_waitcnt vmcnt(0) lgkmcnt(0)
	v_mul_f32_e32 v28, s3, v28
.LBB61_158:
	v_dual_add_f32 v29, v13, v21 :: v_dual_add_f32 v30, v12, v20
	v_dual_add_f32 v31, v9, v21 :: v_dual_add_f32 v32, v8, v20
	;; [unrolled: 1-line block ×3, first 2 shown]
	s_delay_alu instid0(VALU_DEP_3) | instskip(NEXT) | instid1(VALU_DEP_3)
	v_min3_f32 v29, v30, v29, v98
	v_min3_f32 v30, v32, v31, v101
	v_dual_add_f32 v31, v11, v23 :: v_dual_add_f32 v32, v10, v22
	s_delay_alu instid0(VALU_DEP_1) | instskip(SKIP_1) | instid1(VALU_DEP_1)
	v_min3_f32 v31, v32, v31, v30
	v_min_f32_e32 v33, v34, v33
	v_min3_f32 v32, v28, v33, v29
	s_delay_alu instid0(VALU_DEP_3)
	v_max_f32_e32 v28, v31, v31
	v_add_co_u32 v29, vcc_lo, v24, v82
	v_add_co_ci_u32_e32 v30, vcc_lo, v25, v83, vcc_lo
	s_mov_b32 vcc_lo, s2
	global_store_b32 v[29:30], v32, off
	s_cbranch_vccz .LBB61_161
; %bb.159:
	v_add_co_u32 v29, vcc_lo, v24, v86
	v_min_f32_e32 v31, 0, v28
	v_add_co_ci_u32_e32 v30, vcc_lo, v25, v87, vcc_lo
	s_mov_b32 s7, 0
	global_store_b32 v[29:30], v31, off
	s_cbranch_execz .LBB61_162
; %bb.160:
	v_mov_b32_e32 v26, s7
	s_branch .LBB61_163
.LBB61_161:
	s_mov_b32 s7, -1
.LBB61_162:
	v_add_co_u32 v29, vcc_lo, v26, v86
	v_add_co_ci_u32_e32 v30, vcc_lo, v27, v87, vcc_lo
	flat_load_b32 v29, v[29:30]
	s_waitcnt vmcnt(0) lgkmcnt(0)
	v_mul_f32_e32 v31, s3, v29
	v_add_co_u32 v29, vcc_lo, v24, v86
	v_add_co_ci_u32_e32 v30, vcc_lo, v25, v87, vcc_lo
	v_add_co_u32 v26, vcc_lo, v26, v84
	s_delay_alu instid0(VALU_DEP_4)
	v_min_f32_e32 v28, v31, v28
	v_add_co_ci_u32_e32 v27, vcc_lo, v27, v85, vcc_lo
	global_store_b32 v[29:30], v28, off
	flat_load_b32 v26, v[26:27]
	s_waitcnt vmcnt(0) lgkmcnt(0)
	v_mul_f32_e32 v26, s3, v26
.LBB61_163:
	v_dual_add_f32 v21, v1, v21 :: v_dual_add_f32 v20, v0, v20
	s_waitcnt lgkmcnt(0)
	v_dual_add_f32 v17, v17, v5 :: v_dual_add_f32 v16, v16, v4
	v_dual_add_f32 v22, v2, v22 :: v_dual_add_nc_u32 v27, 0x78, v88
	s_delay_alu instid0(VALU_DEP_3) | instskip(SKIP_1) | instid1(VALU_DEP_4)
	v_min3_f32 v20, v20, v21, v95
	v_add_f32_e32 v23, v3, v23
	v_min3_f32 v21, v16, v17, v99
	s_delay_alu instid0(VALU_DEP_4) | instskip(SKIP_3) | instid1(VALU_DEP_4)
	v_mad_i64_i32 v[16:17], null, v27, s8, 0
	v_dual_add_f32 v28, v19, v7 :: v_dual_add_f32 v29, v18, v6
	v_mad_i64_i32 v[18:19], null, v27, s0, 0
	v_min_f32_e32 v22, v22, v23
	v_lshlrev_b64 v[16:17], 2, v[16:17]
	s_delay_alu instid0(VALU_DEP_4)
	v_min3_f32 v23, v29, v28, v21
	v_add_co_u32 v21, vcc_lo, v24, v84
	v_lshlrev_b64 v[18:19], 2, v[18:19]
	v_min3_f32 v26, v26, v22, v20
	v_add_co_ci_u32_e32 v22, vcc_lo, v25, v85, vcc_lo
	v_add_co_u32 v16, vcc_lo, s1, v16
	v_add_co_ci_u32_e32 v17, vcc_lo, s6, v17, vcc_lo
	v_add_co_u32 v18, vcc_lo, s4, v18
	v_add_co_ci_u32_e32 v19, vcc_lo, s5, v19, vcc_lo
	v_max_f32_e32 v20, v23, v23
	s_mov_b32 vcc_lo, s2
	global_store_b32 v[21:22], v26, off
	s_cbranch_vccz .LBB61_166
; %bb.164:
	v_add_co_u32 v21, vcc_lo, v16, v80
	v_min_f32_e32 v23, 0, v20
	v_add_co_ci_u32_e32 v22, vcc_lo, v17, v81, vcc_lo
	s_mov_b32 s0, 0
	global_store_b32 v[21:22], v23, off
	s_cbranch_execz .LBB61_167
; %bb.165:
	v_mov_b32_e32 v20, s0
	s_branch .LBB61_168
.LBB61_166:
	s_mov_b32 s0, -1
.LBB61_167:
	v_add_co_u32 v21, vcc_lo, v18, v80
	v_add_co_ci_u32_e32 v22, vcc_lo, v19, v81, vcc_lo
	flat_load_b32 v21, v[21:22]
	s_waitcnt vmcnt(0) lgkmcnt(0)
	v_mul_f32_e32 v23, s3, v21
	v_add_co_u32 v21, vcc_lo, v16, v80
	v_add_co_ci_u32_e32 v22, vcc_lo, v17, v81, vcc_lo
	s_delay_alu instid0(VALU_DEP_3)
	v_min_f32_e32 v20, v23, v20
	v_add_co_u32 v23, vcc_lo, v18, v82
	v_add_co_ci_u32_e32 v24, vcc_lo, v19, v83, vcc_lo
	global_store_b32 v[21:22], v20, off
	flat_load_b32 v20, v[23:24]
	s_waitcnt vmcnt(0) lgkmcnt(0)
	v_mul_f32_e32 v20, s3, v20
.LBB61_168:
	v_dual_add_f32 v9, v9, v5 :: v_dual_add_f32 v8, v8, v4
	v_dual_add_f32 v13, v13, v5 :: v_dual_add_f32 v12, v12, v4
	;; [unrolled: 1-line block ×3, first 2 shown]
	s_delay_alu instid0(VALU_DEP_3) | instskip(SKIP_1) | instid1(VALU_DEP_4)
	v_min3_f32 v8, v8, v9, v96
	v_dual_add_f32 v9, v11, v7 :: v_dual_add_f32 v10, v10, v6
	v_min3_f32 v12, v12, v13, v94
	s_delay_alu instid0(VALU_DEP_2) | instskip(SKIP_3) | instid1(VALU_DEP_4)
	v_min3_f32 v8, v10, v9, v8
	v_min_f32_e32 v11, v14, v15
	v_add_co_u32 v9, vcc_lo, v16, v82
	v_add_co_ci_u32_e32 v10, vcc_lo, v17, v83, vcc_lo
	v_max_f32_e32 v8, v8, v8
	s_delay_alu instid0(VALU_DEP_4)
	v_min3_f32 v11, v20, v11, v12
	s_mov_b32 vcc_lo, s2
	global_store_b32 v[9:10], v11, off
	s_cbranch_vccz .LBB61_171
; %bb.169:
	v_add_co_u32 v9, vcc_lo, v16, v86
	v_min_f32_e32 v11, 0, v8
	v_add_co_ci_u32_e32 v10, vcc_lo, v17, v87, vcc_lo
	s_mov_b32 s0, 0
	global_store_b32 v[9:10], v11, off
	s_cbranch_execz .LBB61_172
; %bb.170:
	v_mov_b32_e32 v8, s0
	s_branch .LBB61_173
.LBB61_171:
	s_mov_b32 s0, -1
.LBB61_172:
	v_add_co_u32 v9, vcc_lo, v18, v86
	v_add_co_ci_u32_e32 v10, vcc_lo, v19, v87, vcc_lo
	flat_load_b32 v9, v[9:10]
	s_waitcnt vmcnt(0) lgkmcnt(0)
	v_mul_f32_e32 v11, s3, v9
	v_add_co_u32 v9, vcc_lo, v16, v86
	v_add_co_ci_u32_e32 v10, vcc_lo, v17, v87, vcc_lo
	s_delay_alu instid0(VALU_DEP_3)
	v_min_f32_e32 v8, v11, v8
	v_add_co_u32 v11, vcc_lo, v18, v84
	v_add_co_ci_u32_e32 v12, vcc_lo, v19, v85, vcc_lo
	global_store_b32 v[9:10], v8, off
	flat_load_b32 v8, v[11:12]
	s_waitcnt vmcnt(0) lgkmcnt(0)
	v_mul_f32_e32 v8, s3, v8
.LBB61_173:
	v_dual_add_f32 v3, v3, v7 :: v_dual_add_f32 v2, v2, v6
	v_dual_add_f32 v1, v1, v5 :: v_dual_add_f32 v0, v0, v4
	s_delay_alu instid0(VALU_DEP_2) | instskip(NEXT) | instid1(VALU_DEP_2)
	v_min_f32_e32 v2, v2, v3
	v_min3_f32 v0, v0, v1, v156
	s_delay_alu instid0(VALU_DEP_1)
	v_min3_f32 v2, v8, v2, v0
	v_add_co_u32 v0, vcc_lo, v16, v84
	v_add_co_ci_u32_e32 v1, vcc_lo, v17, v85, vcc_lo
	global_store_b32 v[0:1], v2, off
	s_nop 0
	s_sendmsg sendmsg(MSG_DEALLOC_VGPRS)
	s_endpgm
	.section	.rodata,"a",@progbits
	.p2align	6, 0x0
	.amdhsa_kernel _ZN12_GLOBAL__N_120geam_min_plus_kernelIf15HIP_vector_typeIfLj2EEfLi32ELi8ELi128ELi128ELi4ELi4ELi64ELi4ELi64ELc84ELc78ELb1ELb0ELb1EfKffEEviiiT16_PT17_ilS6_ilS4_S6_ilPT18_ili26rocblas_geam_ex_operation_
		.amdhsa_group_segment_fixed_size 8192
		.amdhsa_private_segment_fixed_size 0
		.amdhsa_kernarg_size 128
		.amdhsa_user_sgpr_count 14
		.amdhsa_user_sgpr_dispatch_ptr 0
		.amdhsa_user_sgpr_queue_ptr 0
		.amdhsa_user_sgpr_kernarg_segment_ptr 1
		.amdhsa_user_sgpr_dispatch_id 0
		.amdhsa_user_sgpr_private_segment_size 0
		.amdhsa_wavefront_size32 1
		.amdhsa_uses_dynamic_stack 0
		.amdhsa_enable_private_segment 0
		.amdhsa_system_sgpr_workgroup_id_x 1
		.amdhsa_system_sgpr_workgroup_id_y 0
		.amdhsa_system_sgpr_workgroup_id_z 1
		.amdhsa_system_sgpr_workgroup_info 0
		.amdhsa_system_vgpr_workitem_id 1
		.amdhsa_next_free_vgpr 180
		.amdhsa_next_free_sgpr 23
		.amdhsa_reserve_vcc 1
		.amdhsa_float_round_mode_32 0
		.amdhsa_float_round_mode_16_64 0
		.amdhsa_float_denorm_mode_32 3
		.amdhsa_float_denorm_mode_16_64 3
		.amdhsa_dx10_clamp 1
		.amdhsa_ieee_mode 1
		.amdhsa_fp16_overflow 0
		.amdhsa_workgroup_processor_mode 1
		.amdhsa_memory_ordered 1
		.amdhsa_forward_progress 0
		.amdhsa_shared_vgpr_count 0
		.amdhsa_exception_fp_ieee_invalid_op 0
		.amdhsa_exception_fp_denorm_src 0
		.amdhsa_exception_fp_ieee_div_zero 0
		.amdhsa_exception_fp_ieee_overflow 0
		.amdhsa_exception_fp_ieee_underflow 0
		.amdhsa_exception_fp_ieee_inexact 0
		.amdhsa_exception_int_div_zero 0
	.end_amdhsa_kernel
	.section	.text._ZN12_GLOBAL__N_120geam_min_plus_kernelIf15HIP_vector_typeIfLj2EEfLi32ELi8ELi128ELi128ELi4ELi4ELi64ELi4ELi64ELc84ELc78ELb1ELb0ELb1EfKffEEviiiT16_PT17_ilS6_ilS4_S6_ilPT18_ili26rocblas_geam_ex_operation_,"axG",@progbits,_ZN12_GLOBAL__N_120geam_min_plus_kernelIf15HIP_vector_typeIfLj2EEfLi32ELi8ELi128ELi128ELi4ELi4ELi64ELi4ELi64ELc84ELc78ELb1ELb0ELb1EfKffEEviiiT16_PT17_ilS6_ilS4_S6_ilPT18_ili26rocblas_geam_ex_operation_,comdat
.Lfunc_end61:
	.size	_ZN12_GLOBAL__N_120geam_min_plus_kernelIf15HIP_vector_typeIfLj2EEfLi32ELi8ELi128ELi128ELi4ELi4ELi64ELi4ELi64ELc84ELc78ELb1ELb0ELb1EfKffEEviiiT16_PT17_ilS6_ilS4_S6_ilPT18_ili26rocblas_geam_ex_operation_, .Lfunc_end61-_ZN12_GLOBAL__N_120geam_min_plus_kernelIf15HIP_vector_typeIfLj2EEfLi32ELi8ELi128ELi128ELi4ELi4ELi64ELi4ELi64ELc84ELc78ELb1ELb0ELb1EfKffEEviiiT16_PT17_ilS6_ilS4_S6_ilPT18_ili26rocblas_geam_ex_operation_
                                        ; -- End function
	.section	.AMDGPU.csdata,"",@progbits
; Kernel info:
; codeLenInByte = 17888
; NumSgprs: 25
; NumVgprs: 180
; ScratchSize: 0
; MemoryBound: 0
; FloatMode: 240
; IeeeMode: 1
; LDSByteSize: 8192 bytes/workgroup (compile time only)
; SGPRBlocks: 3
; VGPRBlocks: 22
; NumSGPRsForWavesPerEU: 25
; NumVGPRsForWavesPerEU: 180
; Occupancy: 8
; WaveLimiterHint : 0
; COMPUTE_PGM_RSRC2:SCRATCH_EN: 0
; COMPUTE_PGM_RSRC2:USER_SGPR: 14
; COMPUTE_PGM_RSRC2:TRAP_HANDLER: 0
; COMPUTE_PGM_RSRC2:TGID_X_EN: 1
; COMPUTE_PGM_RSRC2:TGID_Y_EN: 0
; COMPUTE_PGM_RSRC2:TGID_Z_EN: 1
; COMPUTE_PGM_RSRC2:TIDIG_COMP_CNT: 1
	.section	.text._ZN12_GLOBAL__N_120geam_min_plus_kernelIf15HIP_vector_typeIfLj2EEfLi32ELi8ELi128ELi128ELi4ELi4ELi64ELi4ELi64ELc84ELc78ELb0ELb0ELb1EfKffEEviiiT16_PT17_ilS6_ilS4_S6_ilPT18_ili26rocblas_geam_ex_operation_,"axG",@progbits,_ZN12_GLOBAL__N_120geam_min_plus_kernelIf15HIP_vector_typeIfLj2EEfLi32ELi8ELi128ELi128ELi4ELi4ELi64ELi4ELi64ELc84ELc78ELb0ELb0ELb1EfKffEEviiiT16_PT17_ilS6_ilS4_S6_ilPT18_ili26rocblas_geam_ex_operation_,comdat
	.globl	_ZN12_GLOBAL__N_120geam_min_plus_kernelIf15HIP_vector_typeIfLj2EEfLi32ELi8ELi128ELi128ELi4ELi4ELi64ELi4ELi64ELc84ELc78ELb0ELb0ELb1EfKffEEviiiT16_PT17_ilS6_ilS4_S6_ilPT18_ili26rocblas_geam_ex_operation_ ; -- Begin function _ZN12_GLOBAL__N_120geam_min_plus_kernelIf15HIP_vector_typeIfLj2EEfLi32ELi8ELi128ELi128ELi4ELi4ELi64ELi4ELi64ELc84ELc78ELb0ELb0ELb1EfKffEEviiiT16_PT17_ilS6_ilS4_S6_ilPT18_ili26rocblas_geam_ex_operation_
	.p2align	8
	.type	_ZN12_GLOBAL__N_120geam_min_plus_kernelIf15HIP_vector_typeIfLj2EEfLi32ELi8ELi128ELi128ELi4ELi4ELi64ELi4ELi64ELc84ELc78ELb0ELb0ELb1EfKffEEviiiT16_PT17_ilS6_ilS4_S6_ilPT18_ili26rocblas_geam_ex_operation_,@function
_ZN12_GLOBAL__N_120geam_min_plus_kernelIf15HIP_vector_typeIfLj2EEfLi32ELi8ELi128ELi128ELi4ELi4ELi64ELi4ELi64ELc84ELc78ELb0ELb0ELb1EfKffEEviiiT16_PT17_ilS6_ilS4_S6_ilPT18_ili26rocblas_geam_ex_operation_: ; @_ZN12_GLOBAL__N_120geam_min_plus_kernelIf15HIP_vector_typeIfLj2EEfLi32ELi8ELi128ELi128ELi4ELi4ELi64ELi4ELi64ELc84ELc78ELb0ELb0ELb1EfKffEEviiiT16_PT17_ilS6_ilS4_S6_ilPT18_ili26rocblas_geam_ex_operation_
; %bb.0:
	s_clause 0x1
	s_load_b64 s[10:11], s[0:1], 0x8
	s_load_b128 s[4:7], s[0:1], 0x20
	s_waitcnt lgkmcnt(0)
	v_cmp_eq_f32_e64 s2, s11, 0
	s_delay_alu instid0(VALU_DEP_1)
	s_and_b32 vcc_lo, exec_lo, s2
	s_cbranch_vccnz .LBB62_3
; %bb.1:
	s_load_b64 s[8:9], s[0:1], 0x10
	s_mul_i32 s3, s15, s5
	s_mul_hi_u32 s5, s15, s4
	s_mul_i32 s4, s15, s4
	s_add_i32 s5, s5, s3
	s_delay_alu instid0(SALU_CYCLE_1)
	s_lshl_b64 s[4:5], s[4:5], 2
	s_waitcnt lgkmcnt(0)
	s_add_u32 s12, s8, s4
	s_addc_u32 s13, s9, s5
	s_and_not1_b32 vcc_lo, exec_lo, s2
	s_cbranch_vccnz .LBB62_4
.LBB62_2:
	s_mov_b32 s19, 0
	s_mov_b64 s[16:17], 0
	s_cbranch_execz .LBB62_5
	s_branch .LBB62_6
.LBB62_3:
	s_mov_b64 s[12:13], 0
	s_and_not1_b32 vcc_lo, exec_lo, s2
	s_cbranch_vccz .LBB62_2
.LBB62_4:
	s_mov_b32 s19, -1
                                        ; implicit-def: $sgpr16_sgpr17
.LBB62_5:
	s_load_b64 s[2:3], s[0:1], 0x38
	s_mov_b32 s19, 0
	s_waitcnt lgkmcnt(0)
	s_mul_i32 s3, s15, s3
	s_mul_hi_u32 s4, s15, s2
	s_mul_i32 s2, s15, s2
	s_add_i32 s3, s4, s3
	s_delay_alu instid0(SALU_CYCLE_1) | instskip(NEXT) | instid1(SALU_CYCLE_1)
	s_lshl_b64 s[2:3], s[2:3], 2
	s_add_u32 s16, s6, s2
	s_addc_u32 s17, s7, s3
.LBB62_6:
	s_clause 0x1
	s_load_b32 s18, s[0:1], 0x40
	s_load_b128 s[4:7], s[0:1], 0x58
	v_cmp_neq_f32_e64 s20, s11, 0
	s_waitcnt lgkmcnt(0)
	v_cmp_eq_f32_e64 s2, s18, 0
	s_delay_alu instid0(VALU_DEP_1) | instskip(NEXT) | instid1(SALU_CYCLE_1)
	s_and_b32 s2, exec_lo, s2
	s_mov_b32 vcc_lo, s2
	s_cbranch_vccnz .LBB62_8
; %bb.7:
	s_load_b64 s[8:9], s[0:1], 0x48
	s_mul_i32 s3, s15, s5
	s_mul_hi_u32 s5, s15, s4
	s_delay_alu instid0(SALU_CYCLE_1) | instskip(SKIP_3) | instid1(SALU_CYCLE_1)
	s_add_i32 s3, s5, s3
	s_mul_i32 s5, s19, s4
	s_mul_i32 s4, s15, s4
	s_add_i32 s5, s3, s5
	s_lshl_b64 s[4:5], s[4:5], 2
	s_waitcnt lgkmcnt(0)
	s_add_u32 s8, s8, s4
	s_addc_u32 s9, s9, s5
	s_branch .LBB62_9
.LBB62_8:
	s_mov_b64 s[8:9], 0
.LBB62_9:
	s_clause 0x1
	s_load_b32 s3, s[0:1], 0x0
	s_load_b32 s4, s[0:1], 0x18
	v_and_b32_e32 v81, 0x3ff, v0
	v_bfe_u32 v80, v0, 10, 10
	s_delay_alu instid0(VALU_DEP_2) | instskip(NEXT) | instid1(VALU_DEP_2)
	v_and_b32_e32 v2, 3, v81
	v_lshl_add_u32 v0, v80, 5, v81
	s_delay_alu instid0(VALU_DEP_2) | instskip(NEXT) | instid1(VALU_DEP_2)
	v_lshlrev_b32_e32 v82, 2, v2
	v_lshrrev_b32_e32 v0, 2, v0
	s_waitcnt lgkmcnt(0)
	s_add_i32 s3, s3, -1
	s_delay_alu instid0(SALU_CYCLE_1) | instskip(NEXT) | instid1(SALU_CYCLE_1)
	s_ashr_i32 s5, s3, 31
	s_lshr_b32 s5, s5, 25
	s_delay_alu instid0(SALU_CYCLE_1) | instskip(NEXT) | instid1(SALU_CYCLE_1)
	s_add_i32 s3, s3, s5
	s_ashr_i32 s3, s3, 7
	s_delay_alu instid0(SALU_CYCLE_1) | instskip(SKIP_2) | instid1(VALU_DEP_1)
	s_add_i32 s5, s3, 1
	s_not_b32 s3, s3
	v_cvt_f32_u32_e32 v1, s5
	v_rcp_iflag_f32_e32 v1, v1
	s_waitcnt_depctr 0xfff
	v_mul_f32_e32 v1, 0x4f7ffffe, v1
	s_delay_alu instid0(VALU_DEP_1) | instskip(NEXT) | instid1(VALU_DEP_1)
	v_cvt_u32_f32_e32 v1, v1
	v_readfirstlane_b32 s21, v1
	v_cndmask_b32_e64 v1, 0, 1, s20
	s_delay_alu instid0(VALU_DEP_2) | instskip(NEXT) | instid1(SALU_CYCLE_1)
	s_mul_i32 s3, s3, s21
	s_mul_hi_u32 s3, s21, s3
	s_delay_alu instid0(SALU_CYCLE_1) | instskip(NEXT) | instid1(SALU_CYCLE_1)
	s_add_i32 s21, s21, s3
	s_mul_hi_u32 s3, s14, s21
	s_delay_alu instid0(SALU_CYCLE_1) | instskip(SKIP_2) | instid1(SALU_CYCLE_1)
	s_mul_i32 s21, s3, s5
	s_add_i32 s22, s3, 1
	s_sub_i32 s21, s14, s21
	s_sub_i32 s23, s21, s5
	s_cmp_ge_u32 s21, s5
	s_cselect_b32 s3, s22, s3
	s_cselect_b32 s21, s23, s21
	s_add_i32 s22, s3, 1
	s_cmp_ge_u32 s21, s5
	s_cselect_b32 s22, s22, s3
	s_and_not1_b32 vcc_lo, exec_lo, s20
	s_mul_i32 s3, s22, s5
	s_delay_alu instid0(SALU_CYCLE_1) | instskip(NEXT) | instid1(SALU_CYCLE_1)
	s_sub_i32 s3, s14, s3
	s_lshl_b32 s5, s3, 7
	v_cmp_ne_u32_e64 s3, 1, v1
	v_add_nc_u32_e32 v84, s5, v0
	s_delay_alu instid0(VALU_DEP_1)
	v_add_nc_u32_e32 v85, 64, v84
	s_cbranch_vccnz .LBB62_11
; %bb.10:
	v_mad_i64_i32 v[1:2], null, v84, s4, 0
	s_delay_alu instid0(VALU_DEP_2) | instskip(SKIP_1) | instid1(VALU_DEP_1)
	v_mad_i64_i32 v[3:4], null, v85, s4, 0
	v_add_co_u32 v5, s14, s12, v82
	v_add_co_ci_u32_e64 v6, null, s13, 0, s14
	s_delay_alu instid0(VALU_DEP_4) | instskip(NEXT) | instid1(VALU_DEP_4)
	v_lshlrev_b64 v[1:2], 2, v[1:2]
	v_lshlrev_b64 v[3:4], 2, v[3:4]
	s_delay_alu instid0(VALU_DEP_2) | instskip(NEXT) | instid1(VALU_DEP_3)
	v_add_co_u32 v1, vcc_lo, v5, v1
	v_add_co_ci_u32_e32 v2, vcc_lo, v6, v2, vcc_lo
	s_delay_alu instid0(VALU_DEP_3) | instskip(NEXT) | instid1(VALU_DEP_4)
	v_add_co_u32 v3, vcc_lo, v5, v3
	v_add_co_ci_u32_e32 v4, vcc_lo, v6, v4, vcc_lo
	s_clause 0x1
	flat_load_b32 v1, v[1:2]
	flat_load_b32 v2, v[3:4]
	s_waitcnt vmcnt(0) lgkmcnt(0)
	v_dual_mul_f32 v1, s11, v1 :: v_dual_mul_f32 v2, s11, v2
	s_branch .LBB62_12
.LBB62_11:
	v_dual_mov_b32 v1, 0 :: v_dual_mov_b32 v2, 0
.LBB62_12:
	s_load_b32 s21, s[0:1], 0x30
	s_lshl_b32 s14, s22, 7
	s_and_b32 vcc_lo, exec_lo, s3
	v_add_nc_u32_e32 v133, s14, v0
	s_delay_alu instid0(VALU_DEP_1)
	v_add_nc_u32_e32 v152, 64, v133
	s_cbranch_vccnz .LBB62_16
; %bb.13:
	s_waitcnt lgkmcnt(0)
	v_mad_i64_i32 v[3:4], null, v133, s21, 0
	s_delay_alu instid0(VALU_DEP_2) | instskip(SKIP_1) | instid1(VALU_DEP_1)
	v_mad_i64_i32 v[5:6], null, v152, s21, 0
	v_add_co_u32 v7, s22, s16, v82
	v_add_co_ci_u32_e64 v8, null, s17, 0, s22
	s_delay_alu instid0(VALU_DEP_4) | instskip(NEXT) | instid1(VALU_DEP_4)
	v_lshlrev_b64 v[3:4], 2, v[3:4]
	v_lshlrev_b64 v[5:6], 2, v[5:6]
	s_delay_alu instid0(VALU_DEP_2) | instskip(NEXT) | instid1(VALU_DEP_3)
	v_add_co_u32 v3, vcc_lo, v7, v3
	v_add_co_ci_u32_e32 v4, vcc_lo, v8, v4, vcc_lo
	s_delay_alu instid0(VALU_DEP_3) | instskip(NEXT) | instid1(VALU_DEP_4)
	v_add_co_u32 v5, vcc_lo, v7, v5
	v_add_co_ci_u32_e32 v6, vcc_lo, v8, v6, vcc_lo
	s_clause 0x1
	flat_load_b32 v3, v[3:4]
	flat_load_b32 v4, v[5:6]
	s_waitcnt vmcnt(0) lgkmcnt(0)
	v_dual_mul_f32 v3, s11, v3 :: v_dual_mul_f32 v4, s11, v4
	s_and_b32 vcc_lo, exec_lo, s3
	s_cbranch_vccnz .LBB62_17
.LBB62_14:
	v_mad_i64_i32 v[5:6], null, v84, s4, 0
	v_mad_i64_i32 v[7:8], null, v85, s4, 0
	v_add_co_u32 v9, s22, s12, v82
	s_delay_alu instid0(VALU_DEP_1) | instskip(NEXT) | instid1(VALU_DEP_4)
	v_add_co_ci_u32_e64 v10, null, s13, 0, s22
	v_lshlrev_b64 v[5:6], 2, v[5:6]
	s_delay_alu instid0(VALU_DEP_4) | instskip(NEXT) | instid1(VALU_DEP_2)
	v_lshlrev_b64 v[7:8], 2, v[7:8]
	v_add_co_u32 v5, vcc_lo, v9, v5
	s_delay_alu instid0(VALU_DEP_3) | instskip(NEXT) | instid1(VALU_DEP_3)
	v_add_co_ci_u32_e32 v6, vcc_lo, v10, v6, vcc_lo
	v_add_co_u32 v7, vcc_lo, v9, v7
	s_delay_alu instid0(VALU_DEP_4)
	v_add_co_ci_u32_e32 v8, vcc_lo, v10, v8, vcc_lo
	s_clause 0x1
	flat_load_b32 v5, v[5:6] offset:16
	flat_load_b32 v6, v[7:8] offset:16
	s_waitcnt vmcnt(0) lgkmcnt(0)
	v_dual_mul_f32 v154, s11, v5 :: v_dual_mul_f32 v155, s11, v6
	s_and_b32 vcc_lo, exec_lo, s3
	s_cbranch_vccnz .LBB62_18
.LBB62_15:
	s_waitcnt lgkmcnt(0)
	v_mad_i64_i32 v[5:6], null, v133, s21, 0
	v_mad_i64_i32 v[7:8], null, v152, s21, 0
	v_add_co_u32 v9, s22, s16, v82
	s_delay_alu instid0(VALU_DEP_1) | instskip(NEXT) | instid1(VALU_DEP_4)
	v_add_co_ci_u32_e64 v10, null, s17, 0, s22
	v_lshlrev_b64 v[5:6], 2, v[5:6]
	s_delay_alu instid0(VALU_DEP_4) | instskip(NEXT) | instid1(VALU_DEP_2)
	v_lshlrev_b64 v[7:8], 2, v[7:8]
	v_add_co_u32 v5, vcc_lo, v9, v5
	s_delay_alu instid0(VALU_DEP_3) | instskip(NEXT) | instid1(VALU_DEP_3)
	v_add_co_ci_u32_e32 v6, vcc_lo, v10, v6, vcc_lo
	v_add_co_u32 v7, vcc_lo, v9, v7
	s_delay_alu instid0(VALU_DEP_4)
	v_add_co_ci_u32_e32 v8, vcc_lo, v10, v8, vcc_lo
	s_clause 0x1
	flat_load_b32 v5, v[5:6] offset:16
	flat_load_b32 v6, v[7:8] offset:16
	s_waitcnt vmcnt(0) lgkmcnt(0)
	v_dual_mul_f32 v156, s11, v5 :: v_dual_mul_f32 v157, s11, v6
	s_branch .LBB62_19
.LBB62_16:
	v_dual_mov_b32 v3, 0 :: v_dual_mov_b32 v4, 0
	s_and_b32 vcc_lo, exec_lo, s3
	s_cbranch_vccz .LBB62_14
.LBB62_17:
	v_dual_mov_b32 v154, 0 :: v_dual_mov_b32 v155, 0
	s_and_b32 vcc_lo, exec_lo, s3
	s_cbranch_vccz .LBB62_15
.LBB62_18:
	v_dual_mov_b32 v156, 0 :: v_dual_mov_b32 v157, 0
.LBB62_19:
	v_lshl_or_b32 v83, v0, 4, v82
	v_lshlrev_b32_e32 v86, 4, v81
	s_cmp_lt_i32 s10, 9
	ds_store_2addr_stride64_b32 v83, v1, v2 offset1:4
	ds_store_2addr_stride64_b32 v83, v3, v4 offset0:16 offset1:20
	s_waitcnt lgkmcnt(0)
	s_barrier
	buffer_gl0_inv
	ds_load_b128 v[16:19], v86
	ds_load_b128 v[12:15], v86 offset:512
	ds_load_b128 v[8:11], v86 offset:1024
	;; [unrolled: 1-line block ×3, first 2 shown]
	v_lshlrev_b32_e32 v87, 4, v80
	ds_load_b128 v[76:79], v87 offset:4096
	ds_load_b128 v[72:75], v87 offset:4224
	;; [unrolled: 1-line block ×16, first 2 shown]
	ds_store_2addr_stride64_b32 v83, v154, v155 offset0:8 offset1:12
	ds_store_2addr_stride64_b32 v83, v156, v157 offset0:24 offset1:28
	s_waitcnt lgkmcnt(0)
	s_barrier
	buffer_gl0_inv
	v_dual_add_f32 v88, v17, v77 :: v_dual_add_f32 v89, v16, v76
	s_delay_alu instid0(VALU_DEP_1) | instskip(SKIP_2) | instid1(VALU_DEP_2)
	v_min3_f32 v115, v89, v88, 0x7f7fffff
	v_dual_add_f32 v88, v13, v77 :: v_dual_add_f32 v89, v12, v76
	v_add_f32_e32 v119, v8, v20
	v_min3_f32 v116, v89, v88, 0x7f7fffff
	v_dual_add_f32 v88, v9, v77 :: v_dual_add_f32 v89, v8, v76
	v_dual_add_f32 v77, v1, v77 :: v_dual_add_f32 v76, v0, v76
	s_delay_alu instid0(VALU_DEP_2) | instskip(NEXT) | instid1(VALU_DEP_2)
	v_min3_f32 v117, v89, v88, 0x7f7fffff
	v_min3_f32 v118, v76, v77, 0x7f7fffff
	v_dual_add_f32 v76, v17, v73 :: v_dual_add_f32 v77, v16, v72
	s_delay_alu instid0(VALU_DEP_1) | instskip(SKIP_1) | instid1(VALU_DEP_1)
	v_min3_f32 v114, v77, v76, 0x7f7fffff
	v_dual_add_f32 v76, v13, v73 :: v_dual_add_f32 v77, v12, v72
	v_min3_f32 v113, v77, v76, 0x7f7fffff
	v_dual_add_f32 v76, v9, v73 :: v_dual_add_f32 v77, v8, v72
	v_dual_add_f32 v73, v1, v73 :: v_dual_add_f32 v72, v0, v72
	s_delay_alu instid0(VALU_DEP_2) | instskip(NEXT) | instid1(VALU_DEP_2)
	v_min3_f32 v112, v77, v76, 0x7f7fffff
	v_min3_f32 v111, v72, v73, 0x7f7fffff
	v_dual_add_f32 v72, v17, v69 :: v_dual_add_f32 v73, v16, v68
	s_delay_alu instid0(VALU_DEP_1) | instskip(SKIP_1) | instid1(VALU_DEP_1)
	v_min3_f32 v110, v73, v72, 0x7f7fffff
	v_dual_add_f32 v72, v13, v69 :: v_dual_add_f32 v73, v12, v68
	;; [unrolled: 10-line block ×13, first 2 shown]
	v_min3_f32 v33, v29, v28, 0x7f7fffff
	v_dual_add_f32 v28, v9, v25 :: v_dual_add_f32 v29, v8, v24
	v_dual_add_f32 v25, v1, v25 :: v_dual_add_f32 v24, v0, v24
	v_add_f32_e32 v8, v8, v4
	s_delay_alu instid0(VALU_DEP_3) | instskip(NEXT) | instid1(VALU_DEP_3)
	v_min3_f32 v32, v29, v28, 0x7f7fffff
	v_min3_f32 v29, v24, v25, 0x7f7fffff
	v_dual_add_f32 v24, v17, v21 :: v_dual_add_f32 v25, v16, v20
	v_dual_add_f32 v17, v17, v5 :: v_dual_add_f32 v16, v16, v4
	s_delay_alu instid0(VALU_DEP_2) | instskip(SKIP_4) | instid1(VALU_DEP_4)
	v_min3_f32 v28, v25, v24, 0x7f7fffff
	v_dual_add_f32 v24, v13, v21 :: v_dual_add_f32 v25, v12, v20
	v_add_f32_e32 v20, v0, v20
	v_dual_add_f32 v0, v0, v4 :: v_dual_add_f32 v13, v13, v5
	v_add_f32_e32 v12, v12, v4
	v_min3_f32 v25, v25, v24, 0x7f7fffff
	v_add_f32_e32 v24, v9, v21
	v_add_f32_e32 v21, v1, v21
	;; [unrolled: 1-line block ×3, first 2 shown]
	v_dual_add_f32 v9, v9, v5 :: v_dual_add_f32 v4, v18, v78
	s_delay_alu instid0(VALU_DEP_4) | instskip(NEXT) | instid1(VALU_DEP_4)
	v_min3_f32 v24, v119, v24, 0x7f7fffff
	v_min3_f32 v20, v20, v21, 0x7f7fffff
	s_delay_alu instid0(VALU_DEP_4) | instskip(SKIP_4) | instid1(VALU_DEP_4)
	v_min3_f32 v0, v0, v1, 0x7f7fffff
	v_add_f32_e32 v1, v19, v79
	v_min3_f32 v16, v16, v17, 0x7f7fffff
	v_min3_f32 v12, v12, v13, 0x7f7fffff
	;; [unrolled: 1-line block ×4, first 2 shown]
	v_dual_add_f32 v1, v15, v79 :: v_dual_add_f32 v4, v14, v78
	s_delay_alu instid0(VALU_DEP_1) | instskip(SKIP_1) | instid1(VALU_DEP_1)
	v_min3_f32 v150, v4, v1, v116
	v_dual_add_f32 v1, v11, v79 :: v_dual_add_f32 v4, v10, v78
	v_min3_f32 v151, v4, v1, v117
	v_dual_add_f32 v1, v3, v79 :: v_dual_add_f32 v4, v2, v78
	s_delay_alu instid0(VALU_DEP_1) | instskip(SKIP_1) | instid1(VALU_DEP_1)
	v_min3_f32 v148, v4, v1, v118
	v_dual_add_f32 v1, v19, v75 :: v_dual_add_f32 v4, v18, v74
	v_min3_f32 v149, v4, v1, v114
	v_dual_add_f32 v1, v15, v75 :: v_dual_add_f32 v4, v14, v74
	s_delay_alu instid0(VALU_DEP_1) | instskip(SKIP_1) | instid1(VALU_DEP_1)
	v_min3_f32 v146, v4, v1, v113
	v_dual_add_f32 v1, v11, v75 :: v_dual_add_f32 v4, v10, v74
	v_min3_f32 v147, v4, v1, v112
	v_dual_add_f32 v1, v3, v75 :: v_dual_add_f32 v4, v2, v74
	s_delay_alu instid0(VALU_DEP_1) | instskip(SKIP_1) | instid1(VALU_DEP_1)
	v_min3_f32 v144, v4, v1, v111
	v_dual_add_f32 v1, v19, v71 :: v_dual_add_f32 v4, v18, v70
	v_min3_f32 v145, v4, v1, v110
	v_dual_add_f32 v1, v15, v71 :: v_dual_add_f32 v4, v14, v70
	s_delay_alu instid0(VALU_DEP_1) | instskip(SKIP_1) | instid1(VALU_DEP_1)
	v_min3_f32 v142, v4, v1, v109
	v_dual_add_f32 v1, v11, v71 :: v_dual_add_f32 v4, v10, v70
	v_min3_f32 v143, v4, v1, v108
	v_dual_add_f32 v1, v3, v71 :: v_dual_add_f32 v4, v2, v70
	s_delay_alu instid0(VALU_DEP_1) | instskip(SKIP_1) | instid1(VALU_DEP_1)
	v_min3_f32 v140, v4, v1, v107
	v_dual_add_f32 v1, v19, v67 :: v_dual_add_f32 v4, v18, v66
	v_min3_f32 v141, v4, v1, v106
	v_dual_add_f32 v1, v15, v67 :: v_dual_add_f32 v4, v14, v66
	s_delay_alu instid0(VALU_DEP_1) | instskip(SKIP_1) | instid1(VALU_DEP_1)
	v_min3_f32 v138, v4, v1, v105
	v_dual_add_f32 v1, v11, v67 :: v_dual_add_f32 v4, v10, v66
	v_min3_f32 v139, v4, v1, v104
	v_dual_add_f32 v1, v3, v67 :: v_dual_add_f32 v4, v2, v66
	s_delay_alu instid0(VALU_DEP_1) | instskip(SKIP_1) | instid1(VALU_DEP_1)
	v_min3_f32 v136, v4, v1, v103
	v_dual_add_f32 v1, v19, v63 :: v_dual_add_f32 v4, v18, v62
	v_min3_f32 v137, v4, v1, v102
	v_dual_add_f32 v1, v15, v63 :: v_dual_add_f32 v4, v14, v62
	s_delay_alu instid0(VALU_DEP_1) | instskip(SKIP_1) | instid1(VALU_DEP_1)
	v_min3_f32 v135, v4, v1, v101
	v_dual_add_f32 v1, v11, v63 :: v_dual_add_f32 v4, v10, v62
	v_min3_f32 v134, v4, v1, v100
	v_dual_add_f32 v1, v3, v63 :: v_dual_add_f32 v4, v2, v62
	s_delay_alu instid0(VALU_DEP_1) | instskip(SKIP_1) | instid1(VALU_DEP_1)
	v_min3_f32 v131, v4, v1, v99
	v_dual_add_f32 v1, v19, v59 :: v_dual_add_f32 v4, v18, v58
	v_min3_f32 v132, v4, v1, v98
	v_dual_add_f32 v1, v15, v59 :: v_dual_add_f32 v4, v14, v58
	s_delay_alu instid0(VALU_DEP_1) | instskip(SKIP_1) | instid1(VALU_DEP_1)
	v_min3_f32 v129, v4, v1, v97
	v_dual_add_f32 v1, v11, v59 :: v_dual_add_f32 v4, v10, v58
	v_min3_f32 v130, v4, v1, v96
	v_dual_add_f32 v1, v3, v59 :: v_dual_add_f32 v4, v2, v58
	s_delay_alu instid0(VALU_DEP_1) | instskip(SKIP_1) | instid1(VALU_DEP_1)
	v_min3_f32 v127, v4, v1, v95
	v_dual_add_f32 v1, v19, v55 :: v_dual_add_f32 v4, v18, v54
	v_min3_f32 v128, v4, v1, v94
	v_dual_add_f32 v1, v15, v55 :: v_dual_add_f32 v4, v14, v54
	s_delay_alu instid0(VALU_DEP_1) | instskip(SKIP_1) | instid1(VALU_DEP_1)
	v_min3_f32 v125, v4, v1, v93
	v_dual_add_f32 v1, v11, v55 :: v_dual_add_f32 v4, v10, v54
	v_min3_f32 v126, v4, v1, v92
	v_dual_add_f32 v1, v3, v55 :: v_dual_add_f32 v4, v2, v54
	s_delay_alu instid0(VALU_DEP_1) | instskip(SKIP_1) | instid1(VALU_DEP_1)
	v_min3_f32 v123, v4, v1, v91
	v_dual_add_f32 v1, v19, v51 :: v_dual_add_f32 v4, v18, v50
	v_min3_f32 v124, v4, v1, v90
	v_dual_add_f32 v1, v15, v51 :: v_dual_add_f32 v4, v14, v50
	s_delay_alu instid0(VALU_DEP_1) | instskip(SKIP_1) | instid1(VALU_DEP_1)
	v_min3_f32 v121, v4, v1, v89
	v_dual_add_f32 v1, v11, v51 :: v_dual_add_f32 v4, v10, v50
	v_min3_f32 v122, v4, v1, v88
	v_dual_add_f32 v1, v3, v51 :: v_dual_add_f32 v4, v2, v50
	s_delay_alu instid0(VALU_DEP_1) | instskip(SKIP_1) | instid1(VALU_DEP_1)
	v_min3_f32 v119, v4, v1, v77
	v_dual_add_f32 v1, v19, v47 :: v_dual_add_f32 v4, v18, v46
	v_min3_f32 v120, v4, v1, v76
	v_dual_add_f32 v1, v15, v47 :: v_dual_add_f32 v4, v14, v46
	s_delay_alu instid0(VALU_DEP_1) | instskip(SKIP_1) | instid1(VALU_DEP_1)
	v_min3_f32 v117, v4, v1, v73
	v_dual_add_f32 v1, v11, v47 :: v_dual_add_f32 v4, v10, v46
	v_min3_f32 v118, v4, v1, v72
	v_dual_add_f32 v1, v3, v47 :: v_dual_add_f32 v4, v2, v46
	s_delay_alu instid0(VALU_DEP_1) | instskip(SKIP_1) | instid1(VALU_DEP_1)
	v_min3_f32 v115, v4, v1, v69
	v_dual_add_f32 v1, v19, v43 :: v_dual_add_f32 v4, v18, v42
	v_min3_f32 v116, v4, v1, v68
	v_dual_add_f32 v1, v15, v43 :: v_dual_add_f32 v4, v14, v42
	s_delay_alu instid0(VALU_DEP_1) | instskip(SKIP_1) | instid1(VALU_DEP_1)
	v_min3_f32 v114, v4, v1, v65
	v_dual_add_f32 v1, v11, v43 :: v_dual_add_f32 v4, v10, v42
	v_min3_f32 v113, v4, v1, v64
	v_dual_add_f32 v1, v3, v43 :: v_dual_add_f32 v4, v2, v42
	s_delay_alu instid0(VALU_DEP_1) | instskip(SKIP_1) | instid1(VALU_DEP_1)
	v_min3_f32 v111, v4, v1, v61
	v_dual_add_f32 v1, v19, v39 :: v_dual_add_f32 v4, v18, v38
	v_min3_f32 v112, v4, v1, v60
	v_dual_add_f32 v1, v15, v39 :: v_dual_add_f32 v4, v14, v38
	s_delay_alu instid0(VALU_DEP_1) | instskip(SKIP_1) | instid1(VALU_DEP_1)
	v_min3_f32 v109, v4, v1, v57
	v_dual_add_f32 v1, v11, v39 :: v_dual_add_f32 v4, v10, v38
	v_min3_f32 v110, v4, v1, v56
	v_dual_add_f32 v1, v3, v39 :: v_dual_add_f32 v4, v2, v38
	s_delay_alu instid0(VALU_DEP_1) | instskip(SKIP_1) | instid1(VALU_DEP_1)
	v_min3_f32 v107, v4, v1, v53
	v_dual_add_f32 v1, v19, v35 :: v_dual_add_f32 v4, v18, v34
	v_min3_f32 v108, v4, v1, v52
	v_dual_add_f32 v1, v15, v35 :: v_dual_add_f32 v4, v14, v34
	s_delay_alu instid0(VALU_DEP_1) | instskip(SKIP_1) | instid1(VALU_DEP_1)
	v_min3_f32 v105, v4, v1, v49
	v_dual_add_f32 v1, v11, v35 :: v_dual_add_f32 v4, v10, v34
	v_min3_f32 v106, v4, v1, v48
	v_dual_add_f32 v1, v3, v35 :: v_dual_add_f32 v4, v2, v34
	s_delay_alu instid0(VALU_DEP_1) | instskip(SKIP_1) | instid1(VALU_DEP_1)
	v_min3_f32 v103, v4, v1, v45
	v_dual_add_f32 v1, v19, v31 :: v_dual_add_f32 v4, v18, v30
	v_min3_f32 v104, v4, v1, v44
	v_dual_add_f32 v1, v15, v31 :: v_dual_add_f32 v4, v14, v30
	s_delay_alu instid0(VALU_DEP_1) | instskip(SKIP_1) | instid1(VALU_DEP_1)
	v_min3_f32 v101, v4, v1, v41
	v_dual_add_f32 v1, v11, v31 :: v_dual_add_f32 v4, v10, v30
	v_min3_f32 v102, v4, v1, v40
	v_dual_add_f32 v1, v3, v31 :: v_dual_add_f32 v4, v2, v30
	s_delay_alu instid0(VALU_DEP_1) | instskip(SKIP_1) | instid1(VALU_DEP_1)
	v_min3_f32 v99, v4, v1, v37
	v_dual_add_f32 v1, v19, v27 :: v_dual_add_f32 v4, v18, v26
	v_min3_f32 v100, v4, v1, v36
	v_dual_add_f32 v1, v15, v27 :: v_dual_add_f32 v4, v14, v26
	s_delay_alu instid0(VALU_DEP_1) | instskip(SKIP_1) | instid1(VALU_DEP_1)
	v_min3_f32 v96, v4, v1, v33
	v_dual_add_f32 v1, v11, v27 :: v_dual_add_f32 v4, v10, v26
	v_min3_f32 v97, v4, v1, v32
	v_dual_add_f32 v1, v3, v27 :: v_dual_add_f32 v4, v2, v26
	s_delay_alu instid0(VALU_DEP_1) | instskip(SKIP_1) | instid1(VALU_DEP_1)
	v_min3_f32 v94, v4, v1, v29
	v_dual_add_f32 v1, v19, v23 :: v_dual_add_f32 v4, v18, v22
	v_min3_f32 v95, v4, v1, v28
	v_dual_add_f32 v1, v15, v23 :: v_dual_add_f32 v4, v14, v22
	s_delay_alu instid0(VALU_DEP_1) | instskip(SKIP_1) | instid1(VALU_DEP_1)
	v_min3_f32 v93, v4, v1, v25
	v_dual_add_f32 v1, v11, v23 :: v_dual_add_f32 v4, v10, v22
	v_min3_f32 v92, v4, v1, v24
	v_dual_add_f32 v1, v3, v23 :: v_dual_add_f32 v4, v2, v22
	v_add_f32_e32 v2, v2, v6
	s_delay_alu instid0(VALU_DEP_2) | instskip(SKIP_1) | instid1(VALU_DEP_1)
	v_min3_f32 v90, v4, v1, v20
	v_dual_add_f32 v1, v19, v7 :: v_dual_add_f32 v4, v18, v6
	v_min3_f32 v91, v4, v1, v16
	v_dual_add_f32 v1, v15, v7 :: v_dual_add_f32 v4, v14, v6
	s_delay_alu instid0(VALU_DEP_1) | instskip(SKIP_1) | instid1(VALU_DEP_1)
	v_min3_f32 v88, v4, v1, v12
	v_dual_add_f32 v1, v11, v7 :: v_dual_add_f32 v4, v10, v6
	v_min3_f32 v89, v4, v1, v8
	v_add_f32_e32 v1, v3, v7
	s_delay_alu instid0(VALU_DEP_1)
	v_min3_f32 v98, v2, v1, v0
	s_cbranch_scc1 .LBB62_33
; %bb.20:
	v_mad_i64_i32 v[0:1], null, s21, v152, 0
	v_mad_i64_i32 v[2:3], null, s21, v133, 0
	;; [unrolled: 1-line block ×4, first 2 shown]
	s_delay_alu instid0(VALU_DEP_4)
	v_lshlrev_b64 v[0:1], 2, v[0:1]
	v_add_nc_u32_e32 v154, 0x1000, v83
	v_lshlrev_b64 v[2:3], 2, v[2:3]
	v_add_nc_u32_e32 v152, 0x1000, v87
	v_add_nc_u32_e32 v133, 0x800, v83
	;; [unrolled: 1-line block ×3, first 2 shown]
	v_add_co_u32 v84, vcc_lo, s16, v0
	v_add_co_ci_u32_e32 v85, vcc_lo, s17, v1, vcc_lo
	v_lshlrev_b64 v[0:1], 2, v[4:5]
	v_add_co_u32 v158, vcc_lo, s16, v2
	v_add_co_ci_u32_e32 v159, vcc_lo, s17, v3, vcc_lo
	v_lshlrev_b64 v[2:3], 2, v[6:7]
	s_delay_alu instid0(VALU_DEP_4) | instskip(SKIP_2) | instid1(VALU_DEP_4)
	v_add_co_u32 v160, vcc_lo, s12, v0
	v_add_co_ci_u32_e32 v161, vcc_lo, s13, v1, vcc_lo
	v_lshl_add_u32 v156, v81, 4, 0x800
	v_add_co_u32 v162, vcc_lo, s12, v2
	v_lshl_add_u32 v157, v80, 4, 0x1800
	v_add_co_ci_u32_e32 v163, vcc_lo, s13, v3, vcc_lo
	s_add_i32 s10, s10, -8
	s_mov_b32 s12, 0
	s_and_b32 s4, exec_lo, s20
	s_branch .LBB62_23
.LBB62_21:                              ;   in Loop: Header=BB62_23 Depth=1
	v_add_co_u32 v0, vcc_lo, v158, v82
	v_add_co_ci_u32_e32 v1, vcc_lo, 0, v159, vcc_lo
	v_add_co_u32 v14, vcc_lo, v84, v82
	v_add_co_ci_u32_e32 v15, vcc_lo, 0, v85, vcc_lo
	flat_load_b32 v0, v[0:1] offset:48
	flat_load_b32 v1, v[14:15] offset:48
	s_waitcnt vmcnt(0) lgkmcnt(0)
	v_dual_mul_f32 v0, s11, v0 :: v_dual_mul_f32 v1, s11, v1
.LBB62_22:                              ;   in Loop: Header=BB62_23 Depth=1
	ds_load_b128 v[73:76], v152
	ds_load_b128 v[88:91], v86
	ds_load_b128 v[166:169], v86 offset:512
	ds_load_b128 v[170:173], v86 offset:1024
	;; [unrolled: 1-line block ×18, first 2 shown]
	v_add_co_u32 v84, vcc_lo, v84, 32
	s_waitcnt lgkmcnt(18)
	v_dual_add_f32 v11, v89, v74 :: v_dual_add_f32 v14, v88, v73
	s_waitcnt lgkmcnt(17)
	v_dual_add_f32 v15, v167, v74 :: v_dual_add_f32 v18, v166, v73
	;; [unrolled: 2-line block ×3, first 2 shown]
	v_min3_f32 v11, v14, v11, v28
	s_waitcnt lgkmcnt(14)
	v_add_f32_e32 v23, v88, v92
	v_min3_f32 v14, v18, v15, v29
	v_add_f32_e32 v18, v175, v74
	v_min3_f32 v15, v22, v19, v32
	v_add_f32_e32 v19, v174, v73
	v_add_f32_e32 v22, v89, v93
	v_dual_add_f32 v28, v167, v93 :: v_dual_add_f32 v29, v166, v92
	v_dual_add_f32 v32, v171, v93 :: v_dual_add_f32 v73, v170, v92
	;; [unrolled: 1-line block ×3, first 2 shown]
	v_min3_f32 v4, v19, v18, v4
	v_min3_f32 v18, v23, v22, v33
	;; [unrolled: 1-line block ×5, first 2 shown]
	s_waitcnt lgkmcnt(13)
	v_dual_add_f32 v28, v89, v97 :: v_dual_add_f32 v29, v88, v96
	v_dual_add_f32 v32, v167, v97 :: v_dual_add_f32 v33, v166, v96
	;; [unrolled: 1-line block ×4, first 2 shown]
	s_waitcnt lgkmcnt(12)
	v_dual_add_f32 v74, v89, v101 :: v_dual_add_f32 v77, v88, v100
	v_min3_f32 v5, v29, v28, v5
	v_min3_f32 v28, v33, v32, v41
	;; [unrolled: 1-line block ×5, first 2 shown]
	v_dual_add_f32 v36, v167, v101 :: v_dual_add_f32 v37, v166, v100
	v_dual_add_f32 v40, v171, v101 :: v_dual_add_f32 v41, v170, v100
	;; [unrolled: 1-line block ×3, first 2 shown]
	s_waitcnt lgkmcnt(11)
	v_dual_add_f32 v48, v89, v105 :: v_dual_add_f32 v73, v88, v104
	v_dual_add_f32 v74, v167, v105 :: v_dual_add_f32 v77, v166, v104
	v_min3_f32 v8, v37, v36, v8
	v_min3_f32 v36, v41, v40, v49
	;; [unrolled: 1-line block ×5, first 2 shown]
	v_dual_add_f32 v44, v171, v105 :: v_dual_add_f32 v45, v170, v104
	v_dual_add_f32 v48, v175, v105 :: v_dual_add_f32 v49, v174, v104
	s_waitcnt lgkmcnt(10)
	v_dual_add_f32 v52, v89, v109 :: v_dual_add_f32 v53, v88, v108
	v_dual_add_f32 v56, v167, v109 :: v_dual_add_f32 v73, v166, v108
	;; [unrolled: 1-line block ×3, first 2 shown]
	v_min3_f32 v9, v45, v44, v9
	v_min3_f32 v44, v49, v48, v57
	;; [unrolled: 1-line block ×5, first 2 shown]
	v_dual_add_f32 v52, v175, v109 :: v_dual_add_f32 v53, v174, v108
	s_waitcnt lgkmcnt(9)
	v_dual_add_f32 v56, v89, v113 :: v_dual_add_f32 v57, v88, v112
	v_dual_add_f32 v58, v167, v113 :: v_dual_add_f32 v59, v166, v112
	;; [unrolled: 1-line block ×4, first 2 shown]
	v_min3_f32 v12, v53, v52, v12
	v_min3_f32 v52, v57, v56, v54
	;; [unrolled: 1-line block ×5, first 2 shown]
	s_waitcnt lgkmcnt(8)
	v_dual_add_f32 v56, v89, v117 :: v_dual_add_f32 v57, v88, v116
	v_dual_add_f32 v58, v167, v117 :: v_dual_add_f32 v59, v166, v116
	;; [unrolled: 1-line block ×4, first 2 shown]
	s_waitcnt lgkmcnt(7)
	v_dual_add_f32 v74, v89, v179 :: v_dual_add_f32 v77, v88, v178
	v_min3_f32 v13, v57, v56, v13
	v_min3_f32 v50, v59, v58, v50
	v_min3_f32 v51, v61, v60, v51
	v_min3_f32 v56, v73, v62, v63
	v_min3_f32 v57, v77, v74, v64
	v_dual_add_f32 v58, v167, v179 :: v_dual_add_f32 v59, v166, v178
	v_dual_add_f32 v60, v171, v179 :: v_dual_add_f32 v61, v170, v178
	;; [unrolled: 1-line block ×3, first 2 shown]
	s_waitcnt lgkmcnt(6)
	v_dual_add_f32 v64, v89, v183 :: v_dual_add_f32 v73, v88, v182
	v_dual_add_f32 v74, v167, v183 :: v_dual_add_f32 v77, v166, v182
	v_min3_f32 v16, v59, v58, v16
	v_min3_f32 v46, v61, v60, v46
	;; [unrolled: 1-line block ×5, first 2 shown]
	v_dual_add_f32 v60, v171, v183 :: v_dual_add_f32 v61, v170, v182
	v_dual_add_f32 v62, v175, v183 :: v_dual_add_f32 v63, v174, v182
	s_waitcnt lgkmcnt(5)
	v_dual_add_f32 v64, v89, v187 :: v_dual_add_f32 v65, v88, v186
	v_dual_add_f32 v66, v167, v187 :: v_dual_add_f32 v73, v166, v186
	;; [unrolled: 1-line block ×3, first 2 shown]
	v_min3_f32 v17, v61, v60, v17
	v_min3_f32 v38, v63, v62, v38
	;; [unrolled: 1-line block ×5, first 2 shown]
	v_dual_add_f32 v60, v175, v187 :: v_dual_add_f32 v61, v174, v186
	s_waitcnt lgkmcnt(4)
	v_dual_add_f32 v62, v89, v191 :: v_dual_add_f32 v63, v88, v190
	v_dual_add_f32 v64, v167, v191 :: v_dual_add_f32 v65, v166, v190
	v_dual_add_f32 v66, v171, v191 :: v_dual_add_f32 v73, v170, v190
	v_dual_add_f32 v74, v175, v191 :: v_dual_add_f32 v77, v174, v190
	v_min3_f32 v20, v61, v60, v20
	v_min3_f32 v34, v63, v62, v34
	;; [unrolled: 1-line block ×5, first 2 shown]
	s_waitcnt lgkmcnt(3)
	v_dual_add_f32 v62, v89, v195 :: v_dual_add_f32 v63, v88, v194
	v_dual_add_f32 v64, v167, v195 :: v_dual_add_f32 v65, v166, v194
	;; [unrolled: 1-line block ×4, first 2 shown]
	s_waitcnt lgkmcnt(2)
	v_dual_add_f32 v74, v89, v199 :: v_dual_add_f32 v77, v88, v198
	v_min3_f32 v21, v63, v62, v21
	v_min3_f32 v30, v65, v64, v30
	;; [unrolled: 1-line block ×5, first 2 shown]
	v_dual_add_f32 v64, v167, v199 :: v_dual_add_f32 v65, v166, v198
	v_dual_add_f32 v66, v171, v199 :: v_dual_add_f32 v67, v170, v198
	;; [unrolled: 1-line block ×3, first 2 shown]
	s_waitcnt lgkmcnt(1)
	v_dual_add_f32 v70, v89, v203 :: v_dual_add_f32 v73, v88, v202
	v_dual_add_f32 v74, v167, v203 :: v_dual_add_f32 v77, v166, v202
	v_min3_f32 v24, v65, v64, v24
	v_min3_f32 v26, v67, v66, v26
	;; [unrolled: 1-line block ×5, first 2 shown]
	v_dual_add_f32 v66, v171, v203 :: v_dual_add_f32 v67, v170, v202
	v_dual_add_f32 v68, v175, v203 :: v_dual_add_f32 v69, v174, v202
	s_waitcnt lgkmcnt(0)
	v_dual_add_f32 v70, v89, v207 :: v_dual_add_f32 v71, v88, v206
	v_dual_add_f32 v72, v167, v207 :: v_dual_add_f32 v73, v166, v206
	v_dual_add_f32 v74, v171, v207 :: v_dual_add_f32 v77, v170, v206
	v_min3_f32 v25, v67, v66, v25
	v_min3_f32 v3, v69, v68, v3
	v_min3_f32 v6, v71, v70, v6
	v_min3_f32 v7, v73, v72, v7
	v_min3_f32 v10, v77, v74, v10
	v_dual_add_f32 v66, v175, v207 :: v_dual_add_f32 v67, v174, v206
	v_dual_add_f32 v68, v91, v76 :: v_dual_add_f32 v69, v90, v75
	v_dual_add_f32 v70, v169, v76 :: v_dual_add_f32 v71, v168, v75
	v_dual_add_f32 v72, v173, v76 :: v_dual_add_f32 v73, v172, v75
	v_dual_add_f32 v74, v177, v76 :: v_dual_add_f32 v75, v176, v75
	v_min3_f32 v2, v67, v66, v2
	v_min3_f32 v153, v69, v68, v11
	v_min3_f32 v150, v71, v70, v14
	v_min3_f32 v151, v73, v72, v15
	v_min3_f32 v148, v75, v74, v4
	v_dual_add_f32 v4, v91, v95 :: v_dual_add_f32 v11, v90, v94
	v_dual_add_f32 v14, v169, v95 :: v_dual_add_f32 v15, v168, v94
	;; [unrolled: 10-line block ×12, first 2 shown]
	v_dual_add_f32 v11, v91, v205 :: v_dual_add_f32 v12, v90, v204
	v_dual_add_f32 v13, v169, v205 :: v_dual_add_f32 v14, v168, v204
	;; [unrolled: 1-line block ×3, first 2 shown]
	v_add_co_ci_u32_e32 v85, vcc_lo, 0, v85, vcc_lo
	v_add_co_u32 v158, vcc_lo, v158, 32
	v_add_co_ci_u32_e32 v159, vcc_lo, 0, v159, vcc_lo
	v_min3_f32 v97, v5, v4, v26
	v_min3_f32 v94, v9, v8, v27
	;; [unrolled: 1-line block ×5, first 2 shown]
	v_dual_add_f32 v4, v177, v205 :: v_dual_add_f32 v5, v176, v204
	v_dual_add_f32 v8, v91, v209 :: v_dual_add_f32 v9, v90, v208
	;; [unrolled: 1-line block ×5, first 2 shown]
	v_add_co_u32 v160, vcc_lo, v160, 32
	v_add_co_ci_u32_e32 v161, vcc_lo, 0, v161, vcc_lo
	v_add_co_u32 v162, vcc_lo, v162, 32
	v_min3_f32 v90, v5, v4, v3
	v_min3_f32 v91, v9, v8, v6
	;; [unrolled: 1-line block ×5, first 2 shown]
	v_add_co_ci_u32_e32 v163, vcc_lo, 0, v163, vcc_lo
	s_add_i32 s12, s12, 8
	ds_store_2addr_stride64_b32 v133, v164, v165 offset1:4
	ds_store_2addr_stride64_b32 v155, v0, v1 offset1:4
	s_cmp_ge_i32 s12, s10
	s_waitcnt lgkmcnt(0)
	s_barrier
	buffer_gl0_inv
	s_cbranch_scc1 .LBB62_33
.LBB62_23:                              ; =>This Inner Loop Header: Depth=1
	s_and_b32 vcc_lo, exec_lo, s3
	s_cbranch_vccnz .LBB62_26
; %bb.24:                               ;   in Loop: Header=BB62_23 Depth=1
	v_add_co_u32 v0, vcc_lo, v162, v82
	v_add_co_ci_u32_e32 v1, vcc_lo, 0, v163, vcc_lo
	v_add_co_u32 v2, vcc_lo, v160, v82
	v_add_co_ci_u32_e32 v3, vcc_lo, 0, v161, vcc_lo
	flat_load_b32 v0, v[0:1] offset:32
	flat_load_b32 v1, v[2:3] offset:32
	s_waitcnt vmcnt(0) lgkmcnt(0)
	v_dual_mul_f32 v164, s11, v0 :: v_dual_mul_f32 v165, s11, v1
	s_and_b32 vcc_lo, exec_lo, s3
	s_cbranch_vccnz .LBB62_27
.LBB62_25:                              ;   in Loop: Header=BB62_23 Depth=1
	v_add_co_u32 v0, vcc_lo, v158, v82
	v_add_co_ci_u32_e32 v1, vcc_lo, 0, v159, vcc_lo
	v_add_co_u32 v2, vcc_lo, v84, v82
	v_add_co_ci_u32_e32 v3, vcc_lo, 0, v85, vcc_lo
	flat_load_b32 v0, v[0:1] offset:32
	flat_load_b32 v1, v[2:3] offset:32
	s_waitcnt vmcnt(0) lgkmcnt(0)
	v_dual_mul_f32 v166, s11, v0 :: v_dual_mul_f32 v167, s11, v1
	s_branch .LBB62_28
.LBB62_26:                              ;   in Loop: Header=BB62_23 Depth=1
	v_dual_mov_b32 v164, 0 :: v_dual_mov_b32 v165, 0
	s_and_b32 vcc_lo, exec_lo, s3
	s_cbranch_vccz .LBB62_25
.LBB62_27:                              ;   in Loop: Header=BB62_23 Depth=1
	v_dual_mov_b32 v166, 0 :: v_dual_mov_b32 v167, 0
.LBB62_28:                              ;   in Loop: Header=BB62_23 Depth=1
	ds_load_b128 v[12:15], v156
	ds_load_b128 v[8:11], v156 offset:512
	ds_load_b128 v[4:7], v156 offset:1024
	;; [unrolled: 1-line block ×3, first 2 shown]
	ds_load_b128 v[76:79], v157
	ds_load_b128 v[72:75], v157 offset:128
	ds_load_b128 v[68:71], v157 offset:256
	;; [unrolled: 1-line block ×15, first 2 shown]
	s_mov_b32 vcc_lo, s4
	ds_store_2addr_stride64_b32 v83, v164, v165 offset1:4
	ds_store_2addr_stride64_b32 v154, v166, v167 offset1:4
	s_waitcnt lgkmcnt(0)
	s_barrier
	buffer_gl0_inv
	s_cbranch_vccz .LBB62_30
; %bb.29:                               ;   in Loop: Header=BB62_23 Depth=1
	v_add_co_u32 v164, vcc_lo, v162, v82
	v_add_co_ci_u32_e32 v165, vcc_lo, 0, v163, vcc_lo
	flat_load_b32 v164, v[164:165] offset:48
	v_add_co_u32 v165, vcc_lo, v160, v82
	v_add_co_ci_u32_e32 v166, vcc_lo, 0, v161, vcc_lo
	flat_load_b32 v165, v[165:166] offset:48
	s_waitcnt vmcnt(0) lgkmcnt(0)
	v_dual_mul_f32 v164, s11, v164 :: v_dual_mul_f32 v165, s11, v165
	s_branch .LBB62_31
.LBB62_30:                              ;   in Loop: Header=BB62_23 Depth=1
	v_dual_mov_b32 v164, 0 :: v_dual_mov_b32 v165, 0
.LBB62_31:                              ;   in Loop: Header=BB62_23 Depth=1
	v_dual_add_f32 v166, v13, v77 :: v_dual_add_f32 v167, v12, v76
	v_dual_add_f32 v168, v9, v77 :: v_dual_add_f32 v169, v8, v76
	;; [unrolled: 1-line block ×3, first 2 shown]
	s_delay_alu instid0(VALU_DEP_3) | instskip(SKIP_1) | instid1(VALU_DEP_4)
	v_min3_f32 v153, v167, v166, v153
	v_dual_add_f32 v77, v1, v77 :: v_dual_add_f32 v76, v0, v76
	v_min3_f32 v150, v169, v168, v150
	s_delay_alu instid0(VALU_DEP_4)
	v_min3_f32 v151, v171, v170, v151
	v_dual_add_f32 v166, v13, v73 :: v_dual_add_f32 v167, v12, v72
	v_dual_add_f32 v168, v9, v73 :: v_dual_add_f32 v169, v8, v72
	;; [unrolled: 1-line block ×4, first 2 shown]
	v_min3_f32 v76, v76, v77, v148
	v_min3_f32 v77, v167, v166, v149
	;; [unrolled: 1-line block ×3, first 2 shown]
	v_dual_add_f32 v148, v9, v69 :: v_dual_add_f32 v149, v8, v68
	v_min3_f32 v72, v72, v73, v144
	v_dual_add_f32 v73, v13, v69 :: v_dual_add_f32 v144, v12, v68
	v_dual_add_f32 v166, v5, v69 :: v_dual_add_f32 v167, v4, v68
	v_dual_add_f32 v69, v1, v69 :: v_dual_add_f32 v68, v0, v68
	v_dual_add_f32 v168, v13, v65 :: v_dual_add_f32 v169, v12, v64
	s_delay_alu instid0(VALU_DEP_4) | instskip(SKIP_1) | instid1(VALU_DEP_4)
	v_min3_f32 v73, v144, v73, v145
	v_min3_f32 v142, v149, v148, v142
	;; [unrolled: 1-line block ×3, first 2 shown]
	v_add_f32_e32 v140, v9, v65
	v_min3_f32 v69, v169, v168, v141
	v_dual_add_f32 v141, v8, v64 :: v_dual_add_f32 v144, v5, v65
	v_add_f32_e32 v145, v4, v64
	v_dual_add_f32 v65, v1, v65 :: v_dual_add_f32 v64, v0, v64
	v_dual_add_f32 v148, v13, v61 :: v_dual_add_f32 v149, v12, v60
	v_min3_f32 v143, v167, v166, v143
	v_dual_add_f32 v166, v9, v61 :: v_dual_add_f32 v167, v8, v60
	v_min3_f32 v138, v141, v140, v138
	v_min3_f32 v64, v64, v65, v136
	;; [unrolled: 1-line block ×3, first 2 shown]
	v_dual_add_f32 v136, v5, v61 :: v_dual_add_f32 v137, v4, v60
	v_dual_add_f32 v61, v1, v61 :: v_dual_add_f32 v60, v0, v60
	v_dual_add_f32 v140, v13, v57 :: v_dual_add_f32 v141, v12, v56
	v_min3_f32 v139, v145, v144, v139
	v_dual_add_f32 v144, v9, v57 :: v_dual_add_f32 v145, v8, v56
	v_dual_add_f32 v148, v5, v57 :: v_dual_add_f32 v149, v4, v56
	v_min3_f32 v134, v137, v136, v134
	v_min3_f32 v60, v60, v61, v131
	;; [unrolled: 1-line block ×3, first 2 shown]
	v_dual_add_f32 v57, v1, v57 :: v_dual_add_f32 v56, v0, v56
	v_dual_add_f32 v131, v13, v53 :: v_dual_add_f32 v132, v12, v52
	;; [unrolled: 1-line block ×5, first 2 shown]
	v_min3_f32 v127, v56, v57, v127
	v_min3_f32 v128, v132, v131, v128
	v_dual_add_f32 v56, v9, v49 :: v_dual_add_f32 v57, v8, v48
	s_delay_alu instid0(VALU_DEP_4)
	v_min3_f32 v123, v52, v53, v123
	v_dual_add_f32 v52, v13, v49 :: v_dual_add_f32 v53, v12, v48
	v_dual_add_f32 v131, v5, v49 :: v_dual_add_f32 v132, v4, v48
	;; [unrolled: 1-line block ×3, first 2 shown]
	v_min3_f32 v125, v137, v136, v125
	v_dual_add_f32 v136, v13, v45 :: v_dual_add_f32 v137, v12, v44
	v_min3_f32 v124, v53, v52, v124
	s_delay_alu instid0(VALU_DEP_4)
	v_min3_f32 v119, v48, v49, v119
	v_dual_add_f32 v48, v9, v45 :: v_dual_add_f32 v49, v8, v44
	v_dual_add_f32 v52, v5, v45 :: v_dual_add_f32 v53, v4, v44
	;; [unrolled: 1-line block ×3, first 2 shown]
	v_min3_f32 v121, v57, v56, v121
	v_min3_f32 v122, v132, v131, v122
	v_dual_add_f32 v56, v13, v41 :: v_dual_add_f32 v57, v12, v40
	v_dual_add_f32 v131, v9, v41 :: v_dual_add_f32 v132, v8, v40
	v_min3_f32 v117, v49, v48, v117
	v_min3_f32 v115, v44, v45, v115
	v_dual_add_f32 v44, v5, v41 :: v_dual_add_f32 v45, v4, v40
	v_dual_add_f32 v41, v1, v41 :: v_dual_add_f32 v40, v0, v40
	;; [unrolled: 1-line block ×3, first 2 shown]
	v_min3_f32 v118, v53, v52, v118
	v_min3_f32 v116, v57, v56, v116
	v_dual_add_f32 v52, v9, v37 :: v_dual_add_f32 v53, v8, v36
	v_dual_add_f32 v56, v5, v37 :: v_dual_add_f32 v57, v4, v36
	v_min3_f32 v113, v45, v44, v113
	v_min3_f32 v111, v40, v41, v111
	;; [unrolled: 1-line block ×3, first 2 shown]
	v_dual_add_f32 v37, v1, v37 :: v_dual_add_f32 v36, v0, v36
	v_dual_add_f32 v40, v13, v33 :: v_dual_add_f32 v41, v12, v32
	;; [unrolled: 1-line block ×5, first 2 shown]
	v_min3_f32 v107, v36, v37, v107
	v_min3_f32 v108, v41, v40, v108
	v_dual_add_f32 v36, v9, v29 :: v_dual_add_f32 v37, v8, v28
	s_delay_alu instid0(VALU_DEP_4)
	v_min3_f32 v103, v32, v33, v103
	v_dual_add_f32 v32, v13, v29 :: v_dual_add_f32 v33, v12, v28
	v_dual_add_f32 v40, v5, v29 :: v_dual_add_f32 v41, v4, v28
	;; [unrolled: 1-line block ×3, first 2 shown]
	v_min3_f32 v105, v45, v44, v105
	v_dual_add_f32 v44, v13, v25 :: v_dual_add_f32 v45, v12, v24
	v_min3_f32 v104, v33, v32, v104
	s_delay_alu instid0(VALU_DEP_4)
	v_min3_f32 v99, v28, v29, v99
	v_dual_add_f32 v28, v9, v25 :: v_dual_add_f32 v29, v8, v24
	v_dual_add_f32 v32, v5, v25 :: v_dual_add_f32 v33, v4, v24
	;; [unrolled: 1-line block ×3, first 2 shown]
	v_min3_f32 v101, v37, v36, v101
	v_min3_f32 v102, v41, v40, v102
	v_dual_add_f32 v36, v13, v21 :: v_dual_add_f32 v37, v12, v20
	v_dual_add_f32 v40, v9, v21 :: v_dual_add_f32 v41, v8, v20
	v_min3_f32 v96, v29, v28, v96
	v_min3_f32 v25, v24, v25, v94
	v_add_f32_e32 v24, v5, v21
	v_dual_add_f32 v28, v4, v20 :: v_dual_add_f32 v21, v1, v21
	v_dual_add_f32 v20, v0, v20 :: v_dual_add_f32 v13, v13, v17
	;; [unrolled: 1-line block ×5, first 2 shown]
	s_delay_alu instid0(VALU_DEP_3) | instskip(NEXT) | instid1(VALU_DEP_3)
	v_min3_f32 v91, v12, v13, v91
	v_min3_f32 v88, v8, v9, v88
	v_dual_add_f32 v0, v0, v16 :: v_dual_add_f32 v9, v10, v78
	s_delay_alu instid0(VALU_DEP_4)
	v_min3_f32 v89, v4, v5, v89
	v_dual_add_f32 v4, v15, v79 :: v_dual_add_f32 v13, v6, v78
	v_dual_add_f32 v5, v14, v78 :: v_dual_add_f32 v8, v11, v79
	;; [unrolled: 1-line block ×3, first 2 shown]
	v_add_f32_e32 v16, v3, v79
	v_min3_f32 v147, v171, v170, v147
	v_min3_f32 v97, v33, v32, v97
	;; [unrolled: 1-line block ×6, first 2 shown]
	v_add_f32_e32 v9, v10, v74
	v_min3_f32 v4, v17, v16, v76
	v_add_f32_e32 v1, v15, v75
	v_add_f32_e32 v5, v14, v74
	v_min3_f32 v32, v13, v12, v151
	v_dual_add_f32 v8, v11, v75 :: v_dual_add_f32 v13, v6, v74
	v_dual_add_f32 v12, v7, v75 :: v_dual_add_f32 v17, v2, v74
	v_add_f32_e32 v16, v3, v75
	v_min3_f32 v94, v37, v36, v95
	v_min3_f32 v93, v41, v40, v93
	;; [unrolled: 1-line block ×3, first 2 shown]
	v_dual_add_f32 v21, v14, v70 :: v_dual_add_f32 v20, v15, v71
	v_min3_f32 v36, v9, v8, v146
	v_min3_f32 v37, v13, v12, v147
	;; [unrolled: 1-line block ×3, first 2 shown]
	v_add_f32_e32 v8, v10, v70
	v_min3_f32 v33, v5, v1, v77
	v_dual_add_f32 v1, v11, v71 :: v_dual_add_f32 v12, v6, v70
	v_dual_add_f32 v9, v7, v71 :: v_dual_add_f32 v16, v2, v70
	v_add_f32_e32 v13, v3, v71
	v_min3_f32 v100, v45, v44, v100
	v_dual_add_f32 v17, v15, v67 :: v_dual_add_f32 v24, v10, v66
	s_delay_alu instid0(VALU_DEP_4)
	v_min3_f32 v44, v12, v9, v143
	v_add_f32_e32 v9, v6, v66
	v_min3_f32 v5, v21, v20, v73
	v_dual_add_f32 v20, v14, v66 :: v_dual_add_f32 v21, v11, v67
	v_min3_f32 v45, v16, v13, v68
	v_dual_add_f32 v12, v3, v67 :: v_dual_add_f32 v13, v2, v66
	v_min3_f32 v135, v167, v166, v135
	v_min3_f32 v109, v53, v52, v109
	;; [unrolled: 1-line block ×6, first 2 shown]
	v_add_f32_e32 v1, v7, v67
	v_dual_add_f32 v16, v15, v63 :: v_dual_add_f32 v17, v14, v62
	v_dual_add_f32 v20, v11, v63 :: v_dual_add_f32 v57, v6, v62
	v_min3_f32 v52, v13, v12, v64
	v_add_f32_e32 v12, v2, v62
	v_min3_f32 v8, v24, v21, v138
	v_dual_add_f32 v21, v10, v62 :: v_dual_add_f32 v24, v7, v63
	v_min3_f32 v129, v145, v144, v129
	v_min3_f32 v130, v149, v148, v130
	;; [unrolled: 1-line block ×3, first 2 shown]
	s_delay_alu instid0(VALU_DEP_4)
	v_min3_f32 v56, v21, v20, v135
	v_dual_add_f32 v13, v15, v59 :: v_dual_add_f32 v16, v14, v58
	v_min3_f32 v49, v9, v1, v139
	v_min3_f32 v9, v57, v24, v134
	v_dual_add_f32 v24, v6, v58 :: v_dual_add_f32 v1, v3, v63
	v_dual_add_f32 v20, v10, v58 :: v_dual_add_f32 v17, v11, v59
	;; [unrolled: 1-line block ×4, first 2 shown]
	v_min3_f32 v126, v141, v140, v126
	v_min3_f32 v57, v12, v1, v60
	;; [unrolled: 1-line block ×5, first 2 shown]
	v_add_f32_e32 v1, v15, v55
	v_dual_add_f32 v13, v14, v54 :: v_dual_add_f32 v16, v11, v55
	v_dual_add_f32 v21, v6, v54 :: v_dual_add_f32 v24, v3, v55
	v_add_f32_e32 v62, v2, v54
	v_min3_f32 v59, v20, v17, v129
	v_dual_add_f32 v17, v10, v54 :: v_dual_add_f32 v20, v7, v55
	v_add_f32_e32 v63, v15, v51
	v_min3_f32 v120, v137, v136, v120
	v_min3_f32 v62, v62, v24, v123
	s_delay_alu instid0(VALU_DEP_4)
	v_min3_f32 v55, v17, v16, v125
	v_min3_f32 v61, v21, v20, v126
	v_add_f32_e32 v20, v6, v50
	v_add_f32_e32 v16, v10, v50
	v_min3_f32 v54, v13, v1, v128
	v_min3_f32 v13, v64, v63, v124
	v_dual_add_f32 v1, v11, v51 :: v_dual_add_f32 v24, v2, v50
	v_add_f32_e32 v17, v7, v51
	v_add_f32_e32 v21, v3, v51
	v_dual_add_f32 v64, v15, v47 :: v_dual_add_f32 v65, v14, v46
	v_dual_add_f32 v66, v11, v47 :: v_dual_add_f32 v67, v10, v46
	v_min3_f32 v114, v132, v131, v114
	v_min3_f32 v50, v16, v1, v121
	;; [unrolled: 1-line block ×6, first 2 shown]
	v_add_f32_e32 v1, v7, v47
	v_dual_add_f32 v17, v6, v46 :: v_dual_add_f32 v20, v3, v47
	v_dual_add_f32 v21, v2, v46 :: v_dual_add_f32 v24, v15, v43
	;; [unrolled: 1-line block ×4, first 2 shown]
	v_add_f32_e32 v69, v6, v42
	v_min3_f32 v46, v17, v1, v118
	v_min3_f32 v47, v21, v20, v115
	;; [unrolled: 1-line block ×4, first 2 shown]
	v_dual_add_f32 v1, v3, v43 :: v_dual_add_f32 v70, v2, v38
	v_dual_add_f32 v20, v2, v42 :: v_dual_add_f32 v21, v15, v39
	v_add_f32_e32 v24, v14, v38
	v_add_f32_e32 v42, v11, v39
	v_min3_f32 v17, v69, v68, v113
	v_add_f32_e32 v43, v10, v38
	v_dual_add_f32 v67, v7, v39 :: v_dual_add_f32 v68, v6, v38
	v_add_f32_e32 v69, v3, v39
	v_min3_f32 v38, v20, v1, v111
	v_min3_f32 v39, v24, v21, v112
	v_dual_add_f32 v1, v15, v35 :: v_dual_add_f32 v74, v14, v26
	s_delay_alu instid0(VALU_DEP_4)
	v_min3_f32 v20, v70, v69, v107
	v_dual_add_f32 v21, v14, v34 :: v_dual_add_f32 v24, v11, v35
	v_min3_f32 v42, v43, v42, v109
	v_min3_f32 v43, v68, v67, v110
	v_dual_add_f32 v68, v7, v35 :: v_dual_add_f32 v67, v10, v34
	v_dual_add_f32 v70, v3, v35 :: v_dual_add_f32 v69, v6, v34
	;; [unrolled: 1-line block ×3, first 2 shown]
	v_add_f32_e32 v73, v14, v30
	v_min3_f32 v34, v21, v1, v108
	v_min3_f32 v35, v67, v24, v105
	;; [unrolled: 1-line block ×5, first 2 shown]
	v_dual_add_f32 v1, v11, v31 :: v_dual_add_f32 v76, v10, v26
	v_dual_add_f32 v24, v10, v30 :: v_dual_add_f32 v69, v7, v31
	;; [unrolled: 1-line block ×5, first 2 shown]
	s_delay_alu instid0(VALU_DEP_4) | instskip(NEXT) | instid1(VALU_DEP_4)
	v_min3_f32 v30, v24, v1, v101
	v_min3_f32 v31, v70, v69, v102
	v_add_f32_e32 v1, v7, v27
	s_delay_alu instid0(VALU_DEP_4)
	v_min3_f32 v24, v76, v75, v96
	v_add_f32_e32 v76, v10, v22
	v_min3_f32 v70, v74, v73, v100
	v_dual_add_f32 v73, v15, v23 :: v_dual_add_f32 v10, v10, v18
	v_add_f32_e32 v74, v14, v22
	v_min3_f32 v69, v72, v71, v99
	v_add_f32_e32 v71, v6, v26
	v_dual_add_f32 v27, v3, v27 :: v_dual_add_f32 v14, v14, v18
	v_dual_add_f32 v72, v2, v26 :: v_dual_add_f32 v75, v11, v23
	;; [unrolled: 1-line block ×3, first 2 shown]
	v_add_f32_e32 v2, v2, v18
	v_min3_f32 v26, v71, v1, v97
	v_min3_f32 v71, v74, v73, v94
	v_add_f32_e32 v1, v3, v23
	v_add_f32_e32 v15, v15, v19
	;; [unrolled: 1-line block ×6, first 2 shown]
	v_min3_f32 v27, v72, v27, v25
	v_min3_f32 v72, v76, v75, v93
	;; [unrolled: 1-line block ×8, first 2 shown]
	s_and_b32 vcc_lo, exec_lo, s3
	s_cbranch_vccz .LBB62_21
; %bb.32:                               ;   in Loop: Header=BB62_23 Depth=1
	v_dual_mov_b32 v0, 0 :: v_dual_mov_b32 v1, 0
	s_branch .LBB62_22
.LBB62_33:
	s_clause 0x1
	s_load_b64 s[10:11], s[0:1], 0x70
	s_load_b32 s3, s[0:1], 0x68
	ds_load_b128 v[16:19], v86 offset:2048
	ds_load_b128 v[76:79], v87 offset:6144
	s_load_b32 s0, s[0:1], 0x50
	v_add_nc_u32_e32 v133, s14, v80
	v_add_nc_u32_e32 v84, s5, v81
	s_waitcnt lgkmcnt(0)
	s_mul_i32 s1, s15, s11
	s_mul_hi_u32 s5, s15, s10
	v_dual_add_f32 v5, v16, v76 :: v_dual_add_f32 v4, v17, v77
	v_mad_i64_i32 v[0:1], null, v133, s3, 0
	v_mad_i64_i32 v[2:3], null, v133, s0, 0
	s_mul_i32 s11, s19, s10
	s_add_i32 s1, s5, s1
	s_mul_i32 s4, s15, s10
	s_add_i32 s5, s1, s11
	s_delay_alu instid0(VALU_DEP_2)
	v_lshlrev_b64 v[0:1], 2, v[0:1]
	v_dual_add_f32 v7, v18, v78 :: v_dual_add_nc_u32 v82, 32, v84
	v_add_f32_e32 v6, v19, v79
	v_min3_f32 v4, v5, v4, v153
	s_lshl_b64 s[4:5], s[4:5], 2
	v_lshlrev_b64 v[2:3], 2, v[2:3]
	s_add_u32 s1, s6, s4
	v_ashrrev_i32_e32 v85, 31, v84
	s_addc_u32 s4, s7, s5
	v_min3_f32 v4, v7, v6, v4
	v_add_co_u32 v152, vcc_lo, s1, v0
	v_add_co_ci_u32_e32 v153, vcc_lo, s4, v1, vcc_lo
	v_add_co_u32 v154, vcc_lo, s8, v2
	v_lshlrev_b64 v[80:81], 2, v[84:85]
	v_max_f32_e32 v85, v4, v4
	v_ashrrev_i32_e32 v83, 31, v82
	v_add_co_ci_u32_e32 v155, vcc_lo, s9, v3, vcc_lo
	s_mov_b32 vcc_lo, s2
	s_cbranch_vccz .LBB62_35
; %bb.34:
	v_add_co_u32 v0, vcc_lo, v152, v80
	v_min_f32_e32 v2, 0, v85
	v_add_co_ci_u32_e32 v1, vcc_lo, v153, v81, vcc_lo
	s_mov_b32 s5, 0
	global_store_b32 v[0:1], v2, off
	s_branch .LBB62_36
.LBB62_35:
	s_mov_b32 s5, -1
.LBB62_36:
	ds_load_b128 v[12:15], v86 offset:2560
	ds_load_b128 v[8:11], v86 offset:3072
	;; [unrolled: 1-line block ×18, first 2 shown]
	v_lshlrev_b64 v[82:83], 2, v[82:83]
	s_and_not1_b32 vcc_lo, exec_lo, s5
	s_cbranch_vccnz .LBB62_38
; %bb.37:
	v_add_co_u32 v86, vcc_lo, v154, v80
	v_add_co_ci_u32_e32 v87, vcc_lo, v155, v81, vcc_lo
	flat_load_b32 v86, v[86:87]
	s_waitcnt vmcnt(0) lgkmcnt(0)
	v_mul_f32_e32 v156, s18, v86
	v_add_co_u32 v86, vcc_lo, v152, v80
	v_add_co_ci_u32_e32 v87, vcc_lo, v153, v81, vcc_lo
	s_delay_alu instid0(VALU_DEP_3)
	v_min_f32_e32 v85, v156, v85
	v_add_co_u32 v156, vcc_lo, v154, v82
	v_add_co_ci_u32_e32 v157, vcc_lo, v155, v83, vcc_lo
	global_store_b32 v[86:87], v85, off
	flat_load_b32 v85, v[156:157]
	s_waitcnt vmcnt(0) lgkmcnt(0)
	v_mul_f32_e32 v85, s18, v85
	s_branch .LBB62_39
.LBB62_38:
	v_mov_b32_e32 v85, s5
.LBB62_39:
	s_waitcnt lgkmcnt(16)
	v_dual_add_f32 v86, v9, v77 :: v_dual_add_f32 v87, v8, v76
	v_add_f32_e32 v158, v15, v79
	v_dual_add_f32 v159, v11, v79 :: v_dual_add_f32 v160, v10, v78
	v_dual_add_f32 v156, v13, v77 :: v_dual_add_f32 v157, v12, v76
	s_delay_alu instid0(VALU_DEP_4) | instskip(SKIP_2) | instid1(VALU_DEP_4)
	v_min3_f32 v87, v87, v86, v151
	v_dual_add_f32 v151, v14, v78 :: v_dual_add_nc_u32 v86, 64, v84
	v_add_nc_u32_e32 v84, 0x60, v84
	v_min3_f32 v150, v157, v156, v150
	v_add_co_u32 v156, vcc_lo, v152, v82
	s_delay_alu instid0(VALU_DEP_4) | instskip(SKIP_3) | instid1(VALU_DEP_4)
	v_min_f32_e32 v151, v151, v158
	v_min3_f32 v158, v160, v159, v87
	v_ashrrev_i32_e32 v87, 31, v86
	v_add_co_ci_u32_e32 v157, vcc_lo, v153, v83, vcc_lo
	v_min3_f32 v151, v85, v151, v150
	v_ashrrev_i32_e32 v85, 31, v84
	s_delay_alu instid0(VALU_DEP_4)
	v_lshlrev_b64 v[86:87], 2, v[86:87]
	v_max_f32_e32 v150, v158, v158
	s_mov_b32 vcc_lo, s2
	global_store_b32 v[156:157], v151, off
	s_cbranch_vccz .LBB62_42
; %bb.40:
	v_add_co_u32 v156, vcc_lo, v152, v86
	v_min_f32_e32 v151, 0, v150
	v_add_co_ci_u32_e32 v157, vcc_lo, v153, v87, vcc_lo
	s_mov_b32 s5, 0
	global_store_b32 v[156:157], v151, off
	v_lshlrev_b64 v[84:85], 2, v[84:85]
	s_cbranch_execz .LBB62_43
; %bb.41:
	v_mov_b32_e32 v150, s5
	s_branch .LBB62_44
.LBB62_42:
	s_mov_b32 s5, -1
	v_lshlrev_b64 v[84:85], 2, v[84:85]
.LBB62_43:
	v_add_co_u32 v156, vcc_lo, v154, v86
	v_add_co_ci_u32_e32 v157, vcc_lo, v155, v87, vcc_lo
	flat_load_b32 v151, v[156:157]
	v_add_co_u32 v156, vcc_lo, v152, v86
	v_add_co_ci_u32_e32 v157, vcc_lo, v153, v87, vcc_lo
	s_waitcnt vmcnt(0) lgkmcnt(0)
	v_mul_f32_e32 v151, s18, v151
	s_delay_alu instid0(VALU_DEP_1)
	v_min_f32_e32 v158, v151, v150
	v_add_co_u32 v150, vcc_lo, v154, v84
	v_add_co_ci_u32_e32 v151, vcc_lo, v155, v85, vcc_lo
	global_store_b32 v[156:157], v158, off
	flat_load_b32 v150, v[150:151]
	s_waitcnt vmcnt(0) lgkmcnt(0)
	v_mul_f32_e32 v150, s18, v150
.LBB62_44:
	s_waitcnt lgkmcnt(14)
	v_dual_add_f32 v151, v17, v73 :: v_dual_add_f32 v154, v16, v72
	v_dual_add_f32 v77, v1, v77 :: v_dual_add_f32 v76, v0, v76
	;; [unrolled: 1-line block ×3, first 2 shown]
	s_delay_alu instid0(VALU_DEP_3) | instskip(SKIP_1) | instid1(VALU_DEP_4)
	v_min3_f32 v149, v154, v151, v149
	v_add_nc_u32_e32 v151, 8, v133
	v_min3_f32 v148, v76, v77, v148
	v_dual_add_f32 v154, v19, v75 :: v_dual_add_f32 v155, v18, v74
	v_min_f32_e32 v156, v78, v79
	s_delay_alu instid0(VALU_DEP_4) | instskip(SKIP_1) | instid1(VALU_DEP_4)
	v_mad_i64_i32 v[76:77], null, v151, s3, 0
	v_mad_i64_i32 v[78:79], null, v151, s0, 0
	v_min3_f32 v151, v155, v154, v149
	v_add_co_u32 v149, vcc_lo, v152, v84
	v_min3_f32 v154, v150, v156, v148
	v_lshlrev_b64 v[76:77], 2, v[76:77]
	v_add_co_ci_u32_e32 v150, vcc_lo, v153, v85, vcc_lo
	v_lshlrev_b64 v[78:79], 2, v[78:79]
	v_max_f32_e32 v148, v151, v151
	s_delay_alu instid0(VALU_DEP_4) | instskip(SKIP_1) | instid1(VALU_DEP_4)
	v_add_co_u32 v76, vcc_lo, s1, v76
	v_add_co_ci_u32_e32 v77, vcc_lo, s4, v77, vcc_lo
	v_add_co_u32 v78, vcc_lo, s8, v78
	v_add_co_ci_u32_e32 v79, vcc_lo, s9, v79, vcc_lo
	s_mov_b32 vcc_lo, s2
	global_store_b32 v[149:150], v154, off
	s_cbranch_vccz .LBB62_47
; %bb.45:
	v_add_co_u32 v149, vcc_lo, v76, v80
	v_min_f32_e32 v151, 0, v148
	v_add_co_ci_u32_e32 v150, vcc_lo, v77, v81, vcc_lo
	s_mov_b32 s5, 0
	global_store_b32 v[149:150], v151, off
	s_cbranch_execz .LBB62_48
; %bb.46:
	v_mov_b32_e32 v148, s5
	s_branch .LBB62_49
.LBB62_47:
	s_mov_b32 s5, -1
.LBB62_48:
	v_add_co_u32 v149, vcc_lo, v78, v80
	v_add_co_ci_u32_e32 v150, vcc_lo, v79, v81, vcc_lo
	flat_load_b32 v149, v[149:150]
	s_waitcnt vmcnt(0) lgkmcnt(0)
	v_mul_f32_e32 v151, s18, v149
	v_add_co_u32 v149, vcc_lo, v76, v80
	v_add_co_ci_u32_e32 v150, vcc_lo, v77, v81, vcc_lo
	s_delay_alu instid0(VALU_DEP_3)
	v_min_f32_e32 v148, v151, v148
	v_add_co_u32 v151, vcc_lo, v78, v82
	v_add_co_ci_u32_e32 v152, vcc_lo, v79, v83, vcc_lo
	global_store_b32 v[149:150], v148, off
	flat_load_b32 v148, v[151:152]
	s_waitcnt vmcnt(0) lgkmcnt(0)
	v_mul_f32_e32 v148, s18, v148
.LBB62_49:
	v_dual_add_f32 v149, v13, v73 :: v_dual_add_f32 v150, v12, v72
	v_dual_add_f32 v151, v9, v73 :: v_dual_add_f32 v152, v8, v72
	;; [unrolled: 1-line block ×3, first 2 shown]
	s_delay_alu instid0(VALU_DEP_3) | instskip(SKIP_1) | instid1(VALU_DEP_4)
	v_min3_f32 v146, v150, v149, v146
	v_dual_add_f32 v149, v11, v75 :: v_dual_add_f32 v150, v10, v74
	v_min3_f32 v147, v152, v151, v147
	s_delay_alu instid0(VALU_DEP_4) | instskip(NEXT) | instid1(VALU_DEP_2)
	v_min_f32_e32 v151, v154, v153
	v_min3_f32 v149, v150, v149, v147
	v_add_co_u32 v147, vcc_lo, v76, v82
	s_delay_alu instid0(VALU_DEP_3) | instskip(SKIP_1) | instid1(VALU_DEP_4)
	v_min3_f32 v150, v148, v151, v146
	v_add_co_ci_u32_e32 v148, vcc_lo, v77, v83, vcc_lo
	v_max_f32_e32 v146, v149, v149
	s_mov_b32 vcc_lo, s2
	global_store_b32 v[147:148], v150, off
	s_cbranch_vccz .LBB62_52
; %bb.50:
	v_add_co_u32 v147, vcc_lo, v76, v86
	v_min_f32_e32 v149, 0, v146
	v_add_co_ci_u32_e32 v148, vcc_lo, v77, v87, vcc_lo
	s_mov_b32 s5, 0
	global_store_b32 v[147:148], v149, off
	s_cbranch_execz .LBB62_53
; %bb.51:
	v_mov_b32_e32 v78, s5
	s_branch .LBB62_54
.LBB62_52:
	s_mov_b32 s5, -1
.LBB62_53:
	v_add_co_u32 v147, vcc_lo, v78, v86
	v_add_co_ci_u32_e32 v148, vcc_lo, v79, v87, vcc_lo
	flat_load_b32 v147, v[147:148]
	s_waitcnt vmcnt(0) lgkmcnt(0)
	v_mul_f32_e32 v149, s18, v147
	v_add_co_u32 v147, vcc_lo, v76, v86
	v_add_co_ci_u32_e32 v148, vcc_lo, v77, v87, vcc_lo
	v_add_co_u32 v78, vcc_lo, v78, v84
	s_delay_alu instid0(VALU_DEP_4)
	v_min_f32_e32 v146, v149, v146
	v_add_co_ci_u32_e32 v79, vcc_lo, v79, v85, vcc_lo
	global_store_b32 v[147:148], v146, off
	flat_load_b32 v78, v[78:79]
	s_waitcnt vmcnt(0) lgkmcnt(0)
	v_mul_f32_e32 v78, s18, v78
.LBB62_54:
	s_waitcnt lgkmcnt(13)
	v_dual_add_f32 v79, v17, v69 :: v_dual_add_f32 v146, v16, v68
	v_dual_add_f32 v73, v1, v73 :: v_dual_add_f32 v72, v0, v72
	v_dual_add_f32 v75, v3, v75 :: v_dual_add_f32 v74, v2, v74
	s_delay_alu instid0(VALU_DEP_3) | instskip(SKIP_1) | instid1(VALU_DEP_4)
	v_min3_f32 v79, v146, v79, v145
	v_add_nc_u32_e32 v145, 16, v133
	v_min3_f32 v144, v72, v73, v144
	v_dual_add_f32 v146, v19, v71 :: v_dual_add_f32 v147, v18, v70
	v_min_f32_e32 v148, v74, v75
	s_delay_alu instid0(VALU_DEP_4) | instskip(SKIP_1) | instid1(VALU_DEP_3)
	v_mad_i64_i32 v[72:73], null, v145, s3, 0
	v_mad_i64_i32 v[74:75], null, v145, s0, 0
	v_min3_f32 v144, v78, v148, v144
	v_add_co_u32 v78, vcc_lo, v76, v84
	v_min3_f32 v145, v147, v146, v79
	v_lshlrev_b64 v[72:73], 2, v[72:73]
	v_add_co_ci_u32_e32 v79, vcc_lo, v77, v85, vcc_lo
	v_lshlrev_b64 v[74:75], 2, v[74:75]
	s_delay_alu instid0(VALU_DEP_4) | instskip(NEXT) | instid1(VALU_DEP_4)
	v_max_f32_e32 v76, v145, v145
	v_add_co_u32 v72, vcc_lo, s1, v72
	v_add_co_ci_u32_e32 v73, vcc_lo, s4, v73, vcc_lo
	s_delay_alu instid0(VALU_DEP_4)
	v_add_co_u32 v74, vcc_lo, s8, v74
	v_add_co_ci_u32_e32 v75, vcc_lo, s9, v75, vcc_lo
	s_mov_b32 vcc_lo, s2
	global_store_b32 v[78:79], v144, off
	s_cbranch_vccz .LBB62_57
; %bb.55:
	v_add_co_u32 v77, vcc_lo, v72, v80
	v_min_f32_e32 v79, 0, v76
	v_add_co_ci_u32_e32 v78, vcc_lo, v73, v81, vcc_lo
	s_mov_b32 s5, 0
	global_store_b32 v[77:78], v79, off
	s_cbranch_execz .LBB62_58
; %bb.56:
	v_mov_b32_e32 v76, s5
	s_branch .LBB62_59
.LBB62_57:
	s_mov_b32 s5, -1
.LBB62_58:
	v_add_co_u32 v77, vcc_lo, v74, v80
	v_add_co_ci_u32_e32 v78, vcc_lo, v75, v81, vcc_lo
	flat_load_b32 v77, v[77:78]
	s_waitcnt vmcnt(0) lgkmcnt(0)
	v_mul_f32_e32 v79, s18, v77
	v_add_co_u32 v77, vcc_lo, v72, v80
	v_add_co_ci_u32_e32 v78, vcc_lo, v73, v81, vcc_lo
	v_add_co_u32 v144, vcc_lo, v74, v82
	s_delay_alu instid0(VALU_DEP_4)
	v_min_f32_e32 v76, v79, v76
	v_add_co_ci_u32_e32 v145, vcc_lo, v75, v83, vcc_lo
	global_store_b32 v[77:78], v76, off
	flat_load_b32 v76, v[144:145]
	s_waitcnt vmcnt(0) lgkmcnt(0)
	v_mul_f32_e32 v76, s18, v76
.LBB62_59:
	v_dual_add_f32 v77, v13, v69 :: v_dual_add_f32 v78, v12, v68
	v_dual_add_f32 v79, v9, v69 :: v_dual_add_f32 v144, v8, v68
	;; [unrolled: 1-line block ×3, first 2 shown]
	s_delay_alu instid0(VALU_DEP_3) | instskip(SKIP_1) | instid1(VALU_DEP_4)
	v_min3_f32 v77, v78, v77, v142
	v_add_f32_e32 v142, v10, v70
	v_min3_f32 v78, v144, v79, v143
	v_add_f32_e32 v79, v11, v71
	s_delay_alu instid0(VALU_DEP_1) | instskip(SKIP_1) | instid1(VALU_DEP_1)
	v_min3_f32 v79, v142, v79, v78
	v_min_f32_e32 v143, v146, v145
	v_min3_f32 v142, v76, v143, v77
	s_delay_alu instid0(VALU_DEP_3)
	v_max_f32_e32 v76, v79, v79
	v_add_co_u32 v77, vcc_lo, v72, v82
	v_add_co_ci_u32_e32 v78, vcc_lo, v73, v83, vcc_lo
	s_mov_b32 vcc_lo, s2
	global_store_b32 v[77:78], v142, off
	s_cbranch_vccz .LBB62_62
; %bb.60:
	v_add_co_u32 v77, vcc_lo, v72, v86
	v_min_f32_e32 v79, 0, v76
	v_add_co_ci_u32_e32 v78, vcc_lo, v73, v87, vcc_lo
	s_mov_b32 s5, 0
	global_store_b32 v[77:78], v79, off
	s_cbranch_execz .LBB62_63
; %bb.61:
	v_mov_b32_e32 v74, s5
	s_branch .LBB62_64
.LBB62_62:
	s_mov_b32 s5, -1
.LBB62_63:
	v_add_co_u32 v77, vcc_lo, v74, v86
	v_add_co_ci_u32_e32 v78, vcc_lo, v75, v87, vcc_lo
	flat_load_b32 v77, v[77:78]
	s_waitcnt vmcnt(0) lgkmcnt(0)
	v_mul_f32_e32 v79, s18, v77
	v_add_co_u32 v77, vcc_lo, v72, v86
	v_add_co_ci_u32_e32 v78, vcc_lo, v73, v87, vcc_lo
	v_add_co_u32 v74, vcc_lo, v74, v84
	s_delay_alu instid0(VALU_DEP_4)
	v_min_f32_e32 v76, v79, v76
	v_add_co_ci_u32_e32 v75, vcc_lo, v75, v85, vcc_lo
	global_store_b32 v[77:78], v76, off
	flat_load_b32 v74, v[74:75]
	s_waitcnt vmcnt(0) lgkmcnt(0)
	v_mul_f32_e32 v74, s18, v74
.LBB62_64:
	s_waitcnt lgkmcnt(12)
	v_dual_add_f32 v75, v17, v65 :: v_dual_add_f32 v76, v16, v64
	v_dual_add_f32 v69, v1, v69 :: v_dual_add_f32 v68, v0, v68
	;; [unrolled: 1-line block ×3, first 2 shown]
	s_delay_alu instid0(VALU_DEP_3) | instskip(SKIP_1) | instid1(VALU_DEP_4)
	v_min3_f32 v75, v76, v75, v141
	v_add_nc_u32_e32 v76, 24, v133
	v_min3_f32 v77, v68, v69, v140
	v_dual_add_f32 v78, v19, v67 :: v_dual_add_f32 v79, v18, v66
	v_min_f32_e32 v140, v70, v71
	s_delay_alu instid0(VALU_DEP_4) | instskip(SKIP_1) | instid1(VALU_DEP_3)
	v_mad_i64_i32 v[68:69], null, v76, s3, 0
	v_mad_i64_i32 v[70:71], null, v76, s0, 0
	v_min3_f32 v77, v74, v140, v77
	v_add_co_u32 v74, vcc_lo, v72, v84
	v_min3_f32 v76, v79, v78, v75
	v_lshlrev_b64 v[68:69], 2, v[68:69]
	v_add_co_ci_u32_e32 v75, vcc_lo, v73, v85, vcc_lo
	v_lshlrev_b64 v[70:71], 2, v[70:71]
	s_delay_alu instid0(VALU_DEP_4) | instskip(NEXT) | instid1(VALU_DEP_4)
	v_max_f32_e32 v72, v76, v76
	v_add_co_u32 v68, vcc_lo, s1, v68
	v_add_co_ci_u32_e32 v69, vcc_lo, s4, v69, vcc_lo
	s_delay_alu instid0(VALU_DEP_4)
	v_add_co_u32 v70, vcc_lo, s8, v70
	v_add_co_ci_u32_e32 v71, vcc_lo, s9, v71, vcc_lo
	s_mov_b32 vcc_lo, s2
	global_store_b32 v[74:75], v77, off
	s_cbranch_vccz .LBB62_67
; %bb.65:
	v_add_co_u32 v73, vcc_lo, v68, v80
	v_min_f32_e32 v75, 0, v72
	v_add_co_ci_u32_e32 v74, vcc_lo, v69, v81, vcc_lo
	s_mov_b32 s5, 0
	global_store_b32 v[73:74], v75, off
	s_cbranch_execz .LBB62_68
; %bb.66:
	v_mov_b32_e32 v72, s5
	s_branch .LBB62_69
.LBB62_67:
	s_mov_b32 s5, -1
.LBB62_68:
	v_add_co_u32 v73, vcc_lo, v70, v80
	v_add_co_ci_u32_e32 v74, vcc_lo, v71, v81, vcc_lo
	flat_load_b32 v73, v[73:74]
	s_waitcnt vmcnt(0) lgkmcnt(0)
	v_mul_f32_e32 v75, s18, v73
	v_add_co_u32 v73, vcc_lo, v68, v80
	v_add_co_ci_u32_e32 v74, vcc_lo, v69, v81, vcc_lo
	s_delay_alu instid0(VALU_DEP_3)
	v_min_f32_e32 v72, v75, v72
	v_add_co_u32 v75, vcc_lo, v70, v82
	v_add_co_ci_u32_e32 v76, vcc_lo, v71, v83, vcc_lo
	global_store_b32 v[73:74], v72, off
	flat_load_b32 v72, v[75:76]
	s_waitcnt vmcnt(0) lgkmcnt(0)
	v_mul_f32_e32 v72, s18, v72
.LBB62_69:
	v_dual_add_f32 v73, v13, v65 :: v_dual_add_f32 v74, v12, v64
	v_dual_add_f32 v75, v9, v65 :: v_dual_add_f32 v76, v8, v64
	;; [unrolled: 1-line block ×3, first 2 shown]
	s_delay_alu instid0(VALU_DEP_3) | instskip(NEXT) | instid1(VALU_DEP_3)
	v_min3_f32 v73, v74, v73, v138
	v_min3_f32 v74, v76, v75, v139
	v_dual_add_f32 v75, v11, v67 :: v_dual_add_f32 v76, v10, v66
	s_delay_alu instid0(VALU_DEP_1) | instskip(SKIP_1) | instid1(VALU_DEP_1)
	v_min3_f32 v75, v76, v75, v74
	v_min_f32_e32 v77, v78, v77
	v_min3_f32 v76, v72, v77, v73
	s_delay_alu instid0(VALU_DEP_3)
	v_max_f32_e32 v72, v75, v75
	v_add_co_u32 v73, vcc_lo, v68, v82
	v_add_co_ci_u32_e32 v74, vcc_lo, v69, v83, vcc_lo
	s_mov_b32 vcc_lo, s2
	global_store_b32 v[73:74], v76, off
	s_cbranch_vccz .LBB62_72
; %bb.70:
	v_add_co_u32 v73, vcc_lo, v68, v86
	v_min_f32_e32 v75, 0, v72
	v_add_co_ci_u32_e32 v74, vcc_lo, v69, v87, vcc_lo
	s_mov_b32 s5, 0
	global_store_b32 v[73:74], v75, off
	s_cbranch_execz .LBB62_73
; %bb.71:
	v_mov_b32_e32 v70, s5
	s_branch .LBB62_74
.LBB62_72:
	s_mov_b32 s5, -1
.LBB62_73:
	v_add_co_u32 v73, vcc_lo, v70, v86
	v_add_co_ci_u32_e32 v74, vcc_lo, v71, v87, vcc_lo
	flat_load_b32 v73, v[73:74]
	s_waitcnt vmcnt(0) lgkmcnt(0)
	v_mul_f32_e32 v75, s18, v73
	v_add_co_u32 v73, vcc_lo, v68, v86
	v_add_co_ci_u32_e32 v74, vcc_lo, v69, v87, vcc_lo
	v_add_co_u32 v70, vcc_lo, v70, v84
	s_delay_alu instid0(VALU_DEP_4)
	v_min_f32_e32 v72, v75, v72
	v_add_co_ci_u32_e32 v71, vcc_lo, v71, v85, vcc_lo
	global_store_b32 v[73:74], v72, off
	flat_load_b32 v70, v[70:71]
	s_waitcnt vmcnt(0) lgkmcnt(0)
	v_mul_f32_e32 v70, s18, v70
.LBB62_74:
	s_waitcnt lgkmcnt(11)
	v_dual_add_f32 v71, v17, v61 :: v_dual_add_f32 v72, v16, v60
	v_dual_add_f32 v65, v1, v65 :: v_dual_add_f32 v64, v0, v64
	;; [unrolled: 1-line block ×3, first 2 shown]
	s_delay_alu instid0(VALU_DEP_3) | instskip(SKIP_1) | instid1(VALU_DEP_4)
	v_min3_f32 v71, v72, v71, v137
	v_add_nc_u32_e32 v72, 32, v133
	v_min3_f32 v73, v64, v65, v136
	v_dual_add_f32 v74, v19, v63 :: v_dual_add_f32 v75, v18, v62
	v_min_f32_e32 v76, v66, v67
	s_delay_alu instid0(VALU_DEP_4) | instskip(SKIP_1) | instid1(VALU_DEP_3)
	v_mad_i64_i32 v[64:65], null, v72, s3, 0
	v_mad_i64_i32 v[66:67], null, v72, s0, 0
	v_min3_f32 v73, v70, v76, v73
	v_add_co_u32 v70, vcc_lo, v68, v84
	v_min3_f32 v72, v75, v74, v71
	v_lshlrev_b64 v[64:65], 2, v[64:65]
	v_add_co_ci_u32_e32 v71, vcc_lo, v69, v85, vcc_lo
	v_lshlrev_b64 v[66:67], 2, v[66:67]
	s_delay_alu instid0(VALU_DEP_4) | instskip(NEXT) | instid1(VALU_DEP_4)
	v_max_f32_e32 v68, v72, v72
	v_add_co_u32 v64, vcc_lo, s1, v64
	v_add_co_ci_u32_e32 v65, vcc_lo, s4, v65, vcc_lo
	s_delay_alu instid0(VALU_DEP_4)
	v_add_co_u32 v66, vcc_lo, s8, v66
	v_add_co_ci_u32_e32 v67, vcc_lo, s9, v67, vcc_lo
	s_mov_b32 vcc_lo, s2
	global_store_b32 v[70:71], v73, off
	s_cbranch_vccz .LBB62_77
; %bb.75:
	v_add_co_u32 v69, vcc_lo, v64, v80
	v_min_f32_e32 v71, 0, v68
	v_add_co_ci_u32_e32 v70, vcc_lo, v65, v81, vcc_lo
	s_mov_b32 s5, 0
	global_store_b32 v[69:70], v71, off
	s_cbranch_execz .LBB62_78
; %bb.76:
	v_mov_b32_e32 v68, s5
	s_branch .LBB62_79
.LBB62_77:
	s_mov_b32 s5, -1
.LBB62_78:
	v_add_co_u32 v69, vcc_lo, v66, v80
	v_add_co_ci_u32_e32 v70, vcc_lo, v67, v81, vcc_lo
	flat_load_b32 v69, v[69:70]
	s_waitcnt vmcnt(0) lgkmcnt(0)
	v_mul_f32_e32 v71, s18, v69
	v_add_co_u32 v69, vcc_lo, v64, v80
	v_add_co_ci_u32_e32 v70, vcc_lo, v65, v81, vcc_lo
	s_delay_alu instid0(VALU_DEP_3)
	v_min_f32_e32 v68, v71, v68
	v_add_co_u32 v71, vcc_lo, v66, v82
	v_add_co_ci_u32_e32 v72, vcc_lo, v67, v83, vcc_lo
	global_store_b32 v[69:70], v68, off
	flat_load_b32 v68, v[71:72]
	s_waitcnt vmcnt(0) lgkmcnt(0)
	v_mul_f32_e32 v68, s18, v68
.LBB62_79:
	v_dual_add_f32 v69, v13, v61 :: v_dual_add_f32 v70, v12, v60
	v_dual_add_f32 v71, v9, v61 :: v_dual_add_f32 v72, v8, v60
	;; [unrolled: 1-line block ×3, first 2 shown]
	s_delay_alu instid0(VALU_DEP_3) | instskip(NEXT) | instid1(VALU_DEP_3)
	v_min3_f32 v69, v70, v69, v135
	v_min3_f32 v70, v72, v71, v134
	v_dual_add_f32 v71, v11, v63 :: v_dual_add_f32 v72, v10, v62
	s_delay_alu instid0(VALU_DEP_1) | instskip(SKIP_1) | instid1(VALU_DEP_1)
	v_min3_f32 v71, v72, v71, v70
	v_min_f32_e32 v73, v74, v73
	v_min3_f32 v72, v68, v73, v69
	s_delay_alu instid0(VALU_DEP_3)
	v_max_f32_e32 v68, v71, v71
	v_add_co_u32 v69, vcc_lo, v64, v82
	v_add_co_ci_u32_e32 v70, vcc_lo, v65, v83, vcc_lo
	s_mov_b32 vcc_lo, s2
	global_store_b32 v[69:70], v72, off
	s_cbranch_vccz .LBB62_82
; %bb.80:
	v_add_co_u32 v69, vcc_lo, v64, v86
	v_min_f32_e32 v71, 0, v68
	v_add_co_ci_u32_e32 v70, vcc_lo, v65, v87, vcc_lo
	s_mov_b32 s5, 0
	global_store_b32 v[69:70], v71, off
	s_cbranch_execz .LBB62_83
; %bb.81:
	v_mov_b32_e32 v66, s5
	s_branch .LBB62_84
.LBB62_82:
	s_mov_b32 s5, -1
.LBB62_83:
	v_add_co_u32 v69, vcc_lo, v66, v86
	v_add_co_ci_u32_e32 v70, vcc_lo, v67, v87, vcc_lo
	flat_load_b32 v69, v[69:70]
	s_waitcnt vmcnt(0) lgkmcnt(0)
	v_mul_f32_e32 v71, s18, v69
	v_add_co_u32 v69, vcc_lo, v64, v86
	v_add_co_ci_u32_e32 v70, vcc_lo, v65, v87, vcc_lo
	v_add_co_u32 v66, vcc_lo, v66, v84
	s_delay_alu instid0(VALU_DEP_4)
	v_min_f32_e32 v68, v71, v68
	v_add_co_ci_u32_e32 v67, vcc_lo, v67, v85, vcc_lo
	global_store_b32 v[69:70], v68, off
	flat_load_b32 v66, v[66:67]
	s_waitcnt vmcnt(0) lgkmcnt(0)
	v_mul_f32_e32 v66, s18, v66
.LBB62_84:
	s_waitcnt lgkmcnt(10)
	v_dual_add_f32 v67, v17, v57 :: v_dual_add_f32 v68, v16, v56
	v_dual_add_f32 v61, v1, v61 :: v_dual_add_f32 v60, v0, v60
	;; [unrolled: 1-line block ×3, first 2 shown]
	s_delay_alu instid0(VALU_DEP_3) | instskip(SKIP_1) | instid1(VALU_DEP_4)
	v_min3_f32 v67, v68, v67, v132
	v_add_nc_u32_e32 v68, 40, v133
	v_min3_f32 v69, v60, v61, v131
	v_dual_add_f32 v70, v19, v59 :: v_dual_add_f32 v71, v18, v58
	v_min_f32_e32 v72, v62, v63
	s_delay_alu instid0(VALU_DEP_4) | instskip(SKIP_1) | instid1(VALU_DEP_3)
	v_mad_i64_i32 v[60:61], null, v68, s3, 0
	v_mad_i64_i32 v[62:63], null, v68, s0, 0
	v_min3_f32 v69, v66, v72, v69
	v_add_co_u32 v66, vcc_lo, v64, v84
	v_min3_f32 v68, v71, v70, v67
	v_lshlrev_b64 v[60:61], 2, v[60:61]
	v_add_co_ci_u32_e32 v67, vcc_lo, v65, v85, vcc_lo
	v_lshlrev_b64 v[62:63], 2, v[62:63]
	s_delay_alu instid0(VALU_DEP_4) | instskip(NEXT) | instid1(VALU_DEP_4)
	v_max_f32_e32 v64, v68, v68
	v_add_co_u32 v60, vcc_lo, s1, v60
	v_add_co_ci_u32_e32 v61, vcc_lo, s4, v61, vcc_lo
	s_delay_alu instid0(VALU_DEP_4)
	v_add_co_u32 v62, vcc_lo, s8, v62
	v_add_co_ci_u32_e32 v63, vcc_lo, s9, v63, vcc_lo
	s_mov_b32 vcc_lo, s2
	global_store_b32 v[66:67], v69, off
	s_cbranch_vccz .LBB62_87
; %bb.85:
	v_add_co_u32 v65, vcc_lo, v60, v80
	v_min_f32_e32 v67, 0, v64
	v_add_co_ci_u32_e32 v66, vcc_lo, v61, v81, vcc_lo
	s_mov_b32 s5, 0
	global_store_b32 v[65:66], v67, off
	s_cbranch_execz .LBB62_88
; %bb.86:
	v_mov_b32_e32 v64, s5
	s_branch .LBB62_89
.LBB62_87:
	s_mov_b32 s5, -1
.LBB62_88:
	v_add_co_u32 v65, vcc_lo, v62, v80
	v_add_co_ci_u32_e32 v66, vcc_lo, v63, v81, vcc_lo
	flat_load_b32 v65, v[65:66]
	s_waitcnt vmcnt(0) lgkmcnt(0)
	v_mul_f32_e32 v67, s18, v65
	v_add_co_u32 v65, vcc_lo, v60, v80
	v_add_co_ci_u32_e32 v66, vcc_lo, v61, v81, vcc_lo
	s_delay_alu instid0(VALU_DEP_3)
	v_min_f32_e32 v64, v67, v64
	v_add_co_u32 v67, vcc_lo, v62, v82
	v_add_co_ci_u32_e32 v68, vcc_lo, v63, v83, vcc_lo
	global_store_b32 v[65:66], v64, off
	flat_load_b32 v64, v[67:68]
	s_waitcnt vmcnt(0) lgkmcnt(0)
	v_mul_f32_e32 v64, s18, v64
.LBB62_89:
	v_dual_add_f32 v65, v13, v57 :: v_dual_add_f32 v66, v12, v56
	v_dual_add_f32 v67, v9, v57 :: v_dual_add_f32 v68, v8, v56
	;; [unrolled: 1-line block ×3, first 2 shown]
	s_delay_alu instid0(VALU_DEP_3) | instskip(NEXT) | instid1(VALU_DEP_3)
	v_min3_f32 v65, v66, v65, v129
	v_min3_f32 v66, v68, v67, v130
	v_dual_add_f32 v67, v11, v59 :: v_dual_add_f32 v68, v10, v58
	s_delay_alu instid0(VALU_DEP_1) | instskip(SKIP_1) | instid1(VALU_DEP_1)
	v_min3_f32 v67, v68, v67, v66
	v_min_f32_e32 v69, v70, v69
	v_min3_f32 v68, v64, v69, v65
	s_delay_alu instid0(VALU_DEP_3)
	v_max_f32_e32 v64, v67, v67
	v_add_co_u32 v65, vcc_lo, v60, v82
	v_add_co_ci_u32_e32 v66, vcc_lo, v61, v83, vcc_lo
	s_mov_b32 vcc_lo, s2
	global_store_b32 v[65:66], v68, off
	s_cbranch_vccz .LBB62_92
; %bb.90:
	v_add_co_u32 v65, vcc_lo, v60, v86
	v_min_f32_e32 v67, 0, v64
	v_add_co_ci_u32_e32 v66, vcc_lo, v61, v87, vcc_lo
	s_mov_b32 s5, 0
	global_store_b32 v[65:66], v67, off
	s_cbranch_execz .LBB62_93
; %bb.91:
	v_mov_b32_e32 v62, s5
	s_branch .LBB62_94
.LBB62_92:
	s_mov_b32 s5, -1
.LBB62_93:
	v_add_co_u32 v65, vcc_lo, v62, v86
	v_add_co_ci_u32_e32 v66, vcc_lo, v63, v87, vcc_lo
	flat_load_b32 v65, v[65:66]
	s_waitcnt vmcnt(0) lgkmcnt(0)
	v_mul_f32_e32 v67, s18, v65
	v_add_co_u32 v65, vcc_lo, v60, v86
	v_add_co_ci_u32_e32 v66, vcc_lo, v61, v87, vcc_lo
	v_add_co_u32 v62, vcc_lo, v62, v84
	s_delay_alu instid0(VALU_DEP_4)
	v_min_f32_e32 v64, v67, v64
	v_add_co_ci_u32_e32 v63, vcc_lo, v63, v85, vcc_lo
	global_store_b32 v[65:66], v64, off
	flat_load_b32 v62, v[62:63]
	s_waitcnt vmcnt(0) lgkmcnt(0)
	v_mul_f32_e32 v62, s18, v62
.LBB62_94:
	s_waitcnt lgkmcnt(9)
	v_dual_add_f32 v63, v17, v53 :: v_dual_add_f32 v64, v16, v52
	v_dual_add_f32 v57, v1, v57 :: v_dual_add_f32 v56, v0, v56
	;; [unrolled: 1-line block ×3, first 2 shown]
	s_delay_alu instid0(VALU_DEP_3) | instskip(SKIP_1) | instid1(VALU_DEP_4)
	v_min3_f32 v63, v64, v63, v128
	v_add_nc_u32_e32 v64, 48, v133
	v_min3_f32 v65, v56, v57, v127
	v_dual_add_f32 v66, v19, v55 :: v_dual_add_f32 v67, v18, v54
	v_min_f32_e32 v68, v58, v59
	s_delay_alu instid0(VALU_DEP_4) | instskip(SKIP_1) | instid1(VALU_DEP_3)
	v_mad_i64_i32 v[56:57], null, v64, s3, 0
	v_mad_i64_i32 v[58:59], null, v64, s0, 0
	v_min3_f32 v65, v62, v68, v65
	v_add_co_u32 v62, vcc_lo, v60, v84
	v_min3_f32 v64, v67, v66, v63
	v_lshlrev_b64 v[56:57], 2, v[56:57]
	v_add_co_ci_u32_e32 v63, vcc_lo, v61, v85, vcc_lo
	v_lshlrev_b64 v[58:59], 2, v[58:59]
	s_delay_alu instid0(VALU_DEP_4) | instskip(NEXT) | instid1(VALU_DEP_4)
	v_max_f32_e32 v60, v64, v64
	v_add_co_u32 v56, vcc_lo, s1, v56
	v_add_co_ci_u32_e32 v57, vcc_lo, s4, v57, vcc_lo
	s_delay_alu instid0(VALU_DEP_4)
	v_add_co_u32 v58, vcc_lo, s8, v58
	v_add_co_ci_u32_e32 v59, vcc_lo, s9, v59, vcc_lo
	s_mov_b32 vcc_lo, s2
	global_store_b32 v[62:63], v65, off
	s_cbranch_vccz .LBB62_97
; %bb.95:
	v_add_co_u32 v61, vcc_lo, v56, v80
	v_min_f32_e32 v63, 0, v60
	v_add_co_ci_u32_e32 v62, vcc_lo, v57, v81, vcc_lo
	s_mov_b32 s5, 0
	global_store_b32 v[61:62], v63, off
	s_cbranch_execz .LBB62_98
; %bb.96:
	v_mov_b32_e32 v60, s5
	s_branch .LBB62_99
.LBB62_97:
	s_mov_b32 s5, -1
.LBB62_98:
	v_add_co_u32 v61, vcc_lo, v58, v80
	v_add_co_ci_u32_e32 v62, vcc_lo, v59, v81, vcc_lo
	flat_load_b32 v61, v[61:62]
	s_waitcnt vmcnt(0) lgkmcnt(0)
	v_mul_f32_e32 v63, s18, v61
	v_add_co_u32 v61, vcc_lo, v56, v80
	v_add_co_ci_u32_e32 v62, vcc_lo, v57, v81, vcc_lo
	s_delay_alu instid0(VALU_DEP_3)
	v_min_f32_e32 v60, v63, v60
	v_add_co_u32 v63, vcc_lo, v58, v82
	v_add_co_ci_u32_e32 v64, vcc_lo, v59, v83, vcc_lo
	global_store_b32 v[61:62], v60, off
	flat_load_b32 v60, v[63:64]
	s_waitcnt vmcnt(0) lgkmcnt(0)
	v_mul_f32_e32 v60, s18, v60
.LBB62_99:
	v_dual_add_f32 v61, v13, v53 :: v_dual_add_f32 v62, v12, v52
	v_dual_add_f32 v63, v9, v53 :: v_dual_add_f32 v64, v8, v52
	;; [unrolled: 1-line block ×3, first 2 shown]
	s_delay_alu instid0(VALU_DEP_3) | instskip(NEXT) | instid1(VALU_DEP_3)
	v_min3_f32 v61, v62, v61, v125
	v_min3_f32 v62, v64, v63, v126
	v_dual_add_f32 v63, v11, v55 :: v_dual_add_f32 v64, v10, v54
	s_delay_alu instid0(VALU_DEP_1) | instskip(SKIP_1) | instid1(VALU_DEP_1)
	v_min3_f32 v63, v64, v63, v62
	v_min_f32_e32 v65, v66, v65
	v_min3_f32 v64, v60, v65, v61
	s_delay_alu instid0(VALU_DEP_3)
	v_max_f32_e32 v60, v63, v63
	v_add_co_u32 v61, vcc_lo, v56, v82
	v_add_co_ci_u32_e32 v62, vcc_lo, v57, v83, vcc_lo
	s_mov_b32 vcc_lo, s2
	global_store_b32 v[61:62], v64, off
	s_cbranch_vccz .LBB62_102
; %bb.100:
	v_add_co_u32 v61, vcc_lo, v56, v86
	v_min_f32_e32 v63, 0, v60
	v_add_co_ci_u32_e32 v62, vcc_lo, v57, v87, vcc_lo
	s_mov_b32 s5, 0
	global_store_b32 v[61:62], v63, off
	s_cbranch_execz .LBB62_103
; %bb.101:
	v_mov_b32_e32 v58, s5
	s_branch .LBB62_104
.LBB62_102:
	s_mov_b32 s5, -1
.LBB62_103:
	v_add_co_u32 v61, vcc_lo, v58, v86
	v_add_co_ci_u32_e32 v62, vcc_lo, v59, v87, vcc_lo
	flat_load_b32 v61, v[61:62]
	s_waitcnt vmcnt(0) lgkmcnt(0)
	v_mul_f32_e32 v63, s18, v61
	v_add_co_u32 v61, vcc_lo, v56, v86
	v_add_co_ci_u32_e32 v62, vcc_lo, v57, v87, vcc_lo
	v_add_co_u32 v58, vcc_lo, v58, v84
	s_delay_alu instid0(VALU_DEP_4)
	v_min_f32_e32 v60, v63, v60
	v_add_co_ci_u32_e32 v59, vcc_lo, v59, v85, vcc_lo
	global_store_b32 v[61:62], v60, off
	flat_load_b32 v58, v[58:59]
	s_waitcnt vmcnt(0) lgkmcnt(0)
	v_mul_f32_e32 v58, s18, v58
.LBB62_104:
	s_waitcnt lgkmcnt(8)
	v_dual_add_f32 v59, v17, v49 :: v_dual_add_f32 v60, v16, v48
	v_dual_add_f32 v53, v1, v53 :: v_dual_add_f32 v52, v0, v52
	;; [unrolled: 1-line block ×3, first 2 shown]
	s_delay_alu instid0(VALU_DEP_3) | instskip(SKIP_1) | instid1(VALU_DEP_4)
	v_min3_f32 v59, v60, v59, v124
	v_add_nc_u32_e32 v60, 56, v133
	v_min3_f32 v61, v52, v53, v123
	v_dual_add_f32 v62, v19, v51 :: v_dual_add_f32 v63, v18, v50
	v_min_f32_e32 v64, v54, v55
	s_delay_alu instid0(VALU_DEP_4) | instskip(SKIP_1) | instid1(VALU_DEP_3)
	v_mad_i64_i32 v[52:53], null, v60, s3, 0
	v_mad_i64_i32 v[54:55], null, v60, s0, 0
	v_min3_f32 v61, v58, v64, v61
	v_add_co_u32 v58, vcc_lo, v56, v84
	v_min3_f32 v60, v63, v62, v59
	v_lshlrev_b64 v[52:53], 2, v[52:53]
	v_add_co_ci_u32_e32 v59, vcc_lo, v57, v85, vcc_lo
	v_lshlrev_b64 v[54:55], 2, v[54:55]
	s_delay_alu instid0(VALU_DEP_4) | instskip(NEXT) | instid1(VALU_DEP_4)
	v_max_f32_e32 v56, v60, v60
	v_add_co_u32 v52, vcc_lo, s1, v52
	v_add_co_ci_u32_e32 v53, vcc_lo, s4, v53, vcc_lo
	s_delay_alu instid0(VALU_DEP_4)
	v_add_co_u32 v54, vcc_lo, s8, v54
	v_add_co_ci_u32_e32 v55, vcc_lo, s9, v55, vcc_lo
	s_mov_b32 vcc_lo, s2
	global_store_b32 v[58:59], v61, off
	s_cbranch_vccz .LBB62_107
; %bb.105:
	v_add_co_u32 v57, vcc_lo, v52, v80
	v_min_f32_e32 v59, 0, v56
	v_add_co_ci_u32_e32 v58, vcc_lo, v53, v81, vcc_lo
	s_mov_b32 s5, 0
	global_store_b32 v[57:58], v59, off
	s_cbranch_execz .LBB62_108
; %bb.106:
	v_mov_b32_e32 v56, s5
	s_branch .LBB62_109
.LBB62_107:
	s_mov_b32 s5, -1
.LBB62_108:
	v_add_co_u32 v57, vcc_lo, v54, v80
	v_add_co_ci_u32_e32 v58, vcc_lo, v55, v81, vcc_lo
	flat_load_b32 v57, v[57:58]
	s_waitcnt vmcnt(0) lgkmcnt(0)
	v_mul_f32_e32 v59, s18, v57
	v_add_co_u32 v57, vcc_lo, v52, v80
	v_add_co_ci_u32_e32 v58, vcc_lo, v53, v81, vcc_lo
	s_delay_alu instid0(VALU_DEP_3)
	v_min_f32_e32 v56, v59, v56
	v_add_co_u32 v59, vcc_lo, v54, v82
	v_add_co_ci_u32_e32 v60, vcc_lo, v55, v83, vcc_lo
	global_store_b32 v[57:58], v56, off
	flat_load_b32 v56, v[59:60]
	s_waitcnt vmcnt(0) lgkmcnt(0)
	v_mul_f32_e32 v56, s18, v56
.LBB62_109:
	v_dual_add_f32 v57, v13, v49 :: v_dual_add_f32 v58, v12, v48
	v_dual_add_f32 v59, v9, v49 :: v_dual_add_f32 v60, v8, v48
	;; [unrolled: 1-line block ×3, first 2 shown]
	s_delay_alu instid0(VALU_DEP_3) | instskip(NEXT) | instid1(VALU_DEP_3)
	v_min3_f32 v57, v58, v57, v121
	v_min3_f32 v58, v60, v59, v122
	v_dual_add_f32 v59, v11, v51 :: v_dual_add_f32 v60, v10, v50
	s_delay_alu instid0(VALU_DEP_1) | instskip(SKIP_1) | instid1(VALU_DEP_1)
	v_min3_f32 v59, v60, v59, v58
	v_min_f32_e32 v61, v62, v61
	v_min3_f32 v60, v56, v61, v57
	s_delay_alu instid0(VALU_DEP_3)
	v_max_f32_e32 v56, v59, v59
	v_add_co_u32 v57, vcc_lo, v52, v82
	v_add_co_ci_u32_e32 v58, vcc_lo, v53, v83, vcc_lo
	s_mov_b32 vcc_lo, s2
	global_store_b32 v[57:58], v60, off
	s_cbranch_vccz .LBB62_112
; %bb.110:
	v_add_co_u32 v57, vcc_lo, v52, v86
	v_min_f32_e32 v59, 0, v56
	v_add_co_ci_u32_e32 v58, vcc_lo, v53, v87, vcc_lo
	s_mov_b32 s5, 0
	global_store_b32 v[57:58], v59, off
	s_cbranch_execz .LBB62_113
; %bb.111:
	v_mov_b32_e32 v54, s5
	s_branch .LBB62_114
.LBB62_112:
	s_mov_b32 s5, -1
.LBB62_113:
	v_add_co_u32 v57, vcc_lo, v54, v86
	v_add_co_ci_u32_e32 v58, vcc_lo, v55, v87, vcc_lo
	flat_load_b32 v57, v[57:58]
	s_waitcnt vmcnt(0) lgkmcnt(0)
	v_mul_f32_e32 v59, s18, v57
	v_add_co_u32 v57, vcc_lo, v52, v86
	v_add_co_ci_u32_e32 v58, vcc_lo, v53, v87, vcc_lo
	v_add_co_u32 v54, vcc_lo, v54, v84
	s_delay_alu instid0(VALU_DEP_4)
	v_min_f32_e32 v56, v59, v56
	v_add_co_ci_u32_e32 v55, vcc_lo, v55, v85, vcc_lo
	global_store_b32 v[57:58], v56, off
	flat_load_b32 v54, v[54:55]
	s_waitcnt vmcnt(0) lgkmcnt(0)
	v_mul_f32_e32 v54, s18, v54
.LBB62_114:
	s_waitcnt lgkmcnt(7)
	v_dual_add_f32 v55, v17, v45 :: v_dual_add_f32 v56, v16, v44
	v_dual_add_f32 v49, v1, v49 :: v_dual_add_f32 v48, v0, v48
	;; [unrolled: 1-line block ×3, first 2 shown]
	s_delay_alu instid0(VALU_DEP_3) | instskip(SKIP_1) | instid1(VALU_DEP_4)
	v_min3_f32 v55, v56, v55, v120
	v_add_nc_u32_e32 v56, 64, v133
	v_min3_f32 v57, v48, v49, v119
	v_dual_add_f32 v58, v19, v47 :: v_dual_add_f32 v59, v18, v46
	v_min_f32_e32 v60, v50, v51
	s_delay_alu instid0(VALU_DEP_4) | instskip(SKIP_1) | instid1(VALU_DEP_3)
	v_mad_i64_i32 v[48:49], null, v56, s3, 0
	v_mad_i64_i32 v[50:51], null, v56, s0, 0
	v_min3_f32 v57, v54, v60, v57
	v_add_co_u32 v54, vcc_lo, v52, v84
	v_min3_f32 v56, v59, v58, v55
	v_lshlrev_b64 v[48:49], 2, v[48:49]
	v_add_co_ci_u32_e32 v55, vcc_lo, v53, v85, vcc_lo
	v_lshlrev_b64 v[50:51], 2, v[50:51]
	s_delay_alu instid0(VALU_DEP_4) | instskip(NEXT) | instid1(VALU_DEP_4)
	v_max_f32_e32 v52, v56, v56
	v_add_co_u32 v48, vcc_lo, s1, v48
	v_add_co_ci_u32_e32 v49, vcc_lo, s4, v49, vcc_lo
	s_delay_alu instid0(VALU_DEP_4)
	v_add_co_u32 v50, vcc_lo, s8, v50
	v_add_co_ci_u32_e32 v51, vcc_lo, s9, v51, vcc_lo
	s_mov_b32 vcc_lo, s2
	global_store_b32 v[54:55], v57, off
	s_cbranch_vccz .LBB62_117
; %bb.115:
	v_add_co_u32 v53, vcc_lo, v48, v80
	v_min_f32_e32 v55, 0, v52
	v_add_co_ci_u32_e32 v54, vcc_lo, v49, v81, vcc_lo
	s_mov_b32 s5, 0
	global_store_b32 v[53:54], v55, off
	s_cbranch_execz .LBB62_118
; %bb.116:
	v_mov_b32_e32 v52, s5
	s_branch .LBB62_119
.LBB62_117:
	s_mov_b32 s5, -1
.LBB62_118:
	v_add_co_u32 v53, vcc_lo, v50, v80
	v_add_co_ci_u32_e32 v54, vcc_lo, v51, v81, vcc_lo
	flat_load_b32 v53, v[53:54]
	s_waitcnt vmcnt(0) lgkmcnt(0)
	v_mul_f32_e32 v55, s18, v53
	v_add_co_u32 v53, vcc_lo, v48, v80
	v_add_co_ci_u32_e32 v54, vcc_lo, v49, v81, vcc_lo
	s_delay_alu instid0(VALU_DEP_3)
	v_min_f32_e32 v52, v55, v52
	v_add_co_u32 v55, vcc_lo, v50, v82
	v_add_co_ci_u32_e32 v56, vcc_lo, v51, v83, vcc_lo
	global_store_b32 v[53:54], v52, off
	flat_load_b32 v52, v[55:56]
	s_waitcnt vmcnt(0) lgkmcnt(0)
	v_mul_f32_e32 v52, s18, v52
.LBB62_119:
	v_dual_add_f32 v53, v13, v45 :: v_dual_add_f32 v54, v12, v44
	v_dual_add_f32 v55, v9, v45 :: v_dual_add_f32 v56, v8, v44
	;; [unrolled: 1-line block ×3, first 2 shown]
	s_delay_alu instid0(VALU_DEP_3) | instskip(NEXT) | instid1(VALU_DEP_3)
	v_min3_f32 v53, v54, v53, v117
	v_min3_f32 v54, v56, v55, v118
	v_dual_add_f32 v55, v11, v47 :: v_dual_add_f32 v56, v10, v46
	s_delay_alu instid0(VALU_DEP_1) | instskip(SKIP_1) | instid1(VALU_DEP_1)
	v_min3_f32 v55, v56, v55, v54
	v_min_f32_e32 v57, v58, v57
	v_min3_f32 v56, v52, v57, v53
	s_delay_alu instid0(VALU_DEP_3)
	v_max_f32_e32 v52, v55, v55
	v_add_co_u32 v53, vcc_lo, v48, v82
	v_add_co_ci_u32_e32 v54, vcc_lo, v49, v83, vcc_lo
	s_mov_b32 vcc_lo, s2
	global_store_b32 v[53:54], v56, off
	s_cbranch_vccz .LBB62_122
; %bb.120:
	v_add_co_u32 v53, vcc_lo, v48, v86
	v_min_f32_e32 v55, 0, v52
	v_add_co_ci_u32_e32 v54, vcc_lo, v49, v87, vcc_lo
	s_mov_b32 s5, 0
	global_store_b32 v[53:54], v55, off
	s_cbranch_execz .LBB62_123
; %bb.121:
	v_mov_b32_e32 v50, s5
	s_branch .LBB62_124
.LBB62_122:
	s_mov_b32 s5, -1
.LBB62_123:
	v_add_co_u32 v53, vcc_lo, v50, v86
	v_add_co_ci_u32_e32 v54, vcc_lo, v51, v87, vcc_lo
	flat_load_b32 v53, v[53:54]
	s_waitcnt vmcnt(0) lgkmcnt(0)
	v_mul_f32_e32 v55, s18, v53
	v_add_co_u32 v53, vcc_lo, v48, v86
	v_add_co_ci_u32_e32 v54, vcc_lo, v49, v87, vcc_lo
	v_add_co_u32 v50, vcc_lo, v50, v84
	s_delay_alu instid0(VALU_DEP_4)
	v_min_f32_e32 v52, v55, v52
	v_add_co_ci_u32_e32 v51, vcc_lo, v51, v85, vcc_lo
	global_store_b32 v[53:54], v52, off
	flat_load_b32 v50, v[50:51]
	s_waitcnt vmcnt(0) lgkmcnt(0)
	v_mul_f32_e32 v50, s18, v50
.LBB62_124:
	s_waitcnt lgkmcnt(6)
	v_dual_add_f32 v51, v17, v41 :: v_dual_add_f32 v52, v16, v40
	v_dual_add_f32 v45, v1, v45 :: v_dual_add_f32 v44, v0, v44
	;; [unrolled: 1-line block ×3, first 2 shown]
	s_delay_alu instid0(VALU_DEP_3) | instskip(SKIP_1) | instid1(VALU_DEP_4)
	v_min3_f32 v51, v52, v51, v116
	v_add_nc_u32_e32 v52, 0x48, v133
	v_min3_f32 v53, v44, v45, v115
	v_dual_add_f32 v54, v19, v43 :: v_dual_add_f32 v55, v18, v42
	v_min_f32_e32 v56, v46, v47
	s_delay_alu instid0(VALU_DEP_4) | instskip(SKIP_1) | instid1(VALU_DEP_3)
	v_mad_i64_i32 v[44:45], null, v52, s3, 0
	v_mad_i64_i32 v[46:47], null, v52, s0, 0
	v_min3_f32 v53, v50, v56, v53
	v_add_co_u32 v50, vcc_lo, v48, v84
	v_min3_f32 v52, v55, v54, v51
	v_lshlrev_b64 v[44:45], 2, v[44:45]
	v_add_co_ci_u32_e32 v51, vcc_lo, v49, v85, vcc_lo
	v_lshlrev_b64 v[46:47], 2, v[46:47]
	s_delay_alu instid0(VALU_DEP_4) | instskip(NEXT) | instid1(VALU_DEP_4)
	v_max_f32_e32 v48, v52, v52
	v_add_co_u32 v44, vcc_lo, s1, v44
	v_add_co_ci_u32_e32 v45, vcc_lo, s4, v45, vcc_lo
	s_delay_alu instid0(VALU_DEP_4)
	v_add_co_u32 v46, vcc_lo, s8, v46
	v_add_co_ci_u32_e32 v47, vcc_lo, s9, v47, vcc_lo
	s_mov_b32 vcc_lo, s2
	global_store_b32 v[50:51], v53, off
	s_cbranch_vccz .LBB62_127
; %bb.125:
	v_add_co_u32 v49, vcc_lo, v44, v80
	v_min_f32_e32 v51, 0, v48
	v_add_co_ci_u32_e32 v50, vcc_lo, v45, v81, vcc_lo
	s_mov_b32 s5, 0
	global_store_b32 v[49:50], v51, off
	s_cbranch_execz .LBB62_128
; %bb.126:
	v_mov_b32_e32 v48, s5
	s_branch .LBB62_129
.LBB62_127:
	s_mov_b32 s5, -1
.LBB62_128:
	v_add_co_u32 v49, vcc_lo, v46, v80
	v_add_co_ci_u32_e32 v50, vcc_lo, v47, v81, vcc_lo
	flat_load_b32 v49, v[49:50]
	s_waitcnt vmcnt(0) lgkmcnt(0)
	v_mul_f32_e32 v51, s18, v49
	v_add_co_u32 v49, vcc_lo, v44, v80
	v_add_co_ci_u32_e32 v50, vcc_lo, v45, v81, vcc_lo
	s_delay_alu instid0(VALU_DEP_3)
	v_min_f32_e32 v48, v51, v48
	v_add_co_u32 v51, vcc_lo, v46, v82
	v_add_co_ci_u32_e32 v52, vcc_lo, v47, v83, vcc_lo
	global_store_b32 v[49:50], v48, off
	flat_load_b32 v48, v[51:52]
	s_waitcnt vmcnt(0) lgkmcnt(0)
	v_mul_f32_e32 v48, s18, v48
.LBB62_129:
	v_dual_add_f32 v49, v13, v41 :: v_dual_add_f32 v50, v12, v40
	v_dual_add_f32 v51, v9, v41 :: v_dual_add_f32 v52, v8, v40
	;; [unrolled: 1-line block ×3, first 2 shown]
	s_delay_alu instid0(VALU_DEP_3) | instskip(NEXT) | instid1(VALU_DEP_3)
	v_min3_f32 v49, v50, v49, v114
	v_min3_f32 v50, v52, v51, v113
	v_dual_add_f32 v51, v11, v43 :: v_dual_add_f32 v52, v10, v42
	s_delay_alu instid0(VALU_DEP_1) | instskip(SKIP_1) | instid1(VALU_DEP_1)
	v_min3_f32 v51, v52, v51, v50
	v_min_f32_e32 v53, v54, v53
	v_min3_f32 v52, v48, v53, v49
	s_delay_alu instid0(VALU_DEP_3)
	v_max_f32_e32 v48, v51, v51
	v_add_co_u32 v49, vcc_lo, v44, v82
	v_add_co_ci_u32_e32 v50, vcc_lo, v45, v83, vcc_lo
	s_mov_b32 vcc_lo, s2
	global_store_b32 v[49:50], v52, off
	s_cbranch_vccz .LBB62_132
; %bb.130:
	v_add_co_u32 v49, vcc_lo, v44, v86
	v_min_f32_e32 v51, 0, v48
	v_add_co_ci_u32_e32 v50, vcc_lo, v45, v87, vcc_lo
	s_mov_b32 s5, 0
	global_store_b32 v[49:50], v51, off
	s_cbranch_execz .LBB62_133
; %bb.131:
	v_mov_b32_e32 v46, s5
	s_branch .LBB62_134
.LBB62_132:
	s_mov_b32 s5, -1
.LBB62_133:
	v_add_co_u32 v49, vcc_lo, v46, v86
	v_add_co_ci_u32_e32 v50, vcc_lo, v47, v87, vcc_lo
	flat_load_b32 v49, v[49:50]
	s_waitcnt vmcnt(0) lgkmcnt(0)
	v_mul_f32_e32 v51, s18, v49
	v_add_co_u32 v49, vcc_lo, v44, v86
	v_add_co_ci_u32_e32 v50, vcc_lo, v45, v87, vcc_lo
	v_add_co_u32 v46, vcc_lo, v46, v84
	s_delay_alu instid0(VALU_DEP_4)
	v_min_f32_e32 v48, v51, v48
	v_add_co_ci_u32_e32 v47, vcc_lo, v47, v85, vcc_lo
	global_store_b32 v[49:50], v48, off
	flat_load_b32 v46, v[46:47]
	s_waitcnt vmcnt(0) lgkmcnt(0)
	v_mul_f32_e32 v46, s18, v46
.LBB62_134:
	s_waitcnt lgkmcnt(5)
	v_dual_add_f32 v47, v17, v37 :: v_dual_add_f32 v48, v16, v36
	v_dual_add_f32 v41, v1, v41 :: v_dual_add_f32 v40, v0, v40
	;; [unrolled: 1-line block ×3, first 2 shown]
	s_delay_alu instid0(VALU_DEP_3) | instskip(SKIP_1) | instid1(VALU_DEP_4)
	v_min3_f32 v47, v48, v47, v112
	v_add_nc_u32_e32 v48, 0x50, v133
	v_min3_f32 v49, v40, v41, v111
	v_dual_add_f32 v50, v19, v39 :: v_dual_add_f32 v51, v18, v38
	v_min_f32_e32 v52, v42, v43
	s_delay_alu instid0(VALU_DEP_4) | instskip(SKIP_1) | instid1(VALU_DEP_3)
	v_mad_i64_i32 v[40:41], null, v48, s3, 0
	v_mad_i64_i32 v[42:43], null, v48, s0, 0
	v_min3_f32 v49, v46, v52, v49
	v_add_co_u32 v46, vcc_lo, v44, v84
	v_min3_f32 v48, v51, v50, v47
	v_lshlrev_b64 v[40:41], 2, v[40:41]
	v_add_co_ci_u32_e32 v47, vcc_lo, v45, v85, vcc_lo
	v_lshlrev_b64 v[42:43], 2, v[42:43]
	s_delay_alu instid0(VALU_DEP_4) | instskip(NEXT) | instid1(VALU_DEP_4)
	v_max_f32_e32 v44, v48, v48
	v_add_co_u32 v40, vcc_lo, s1, v40
	v_add_co_ci_u32_e32 v41, vcc_lo, s4, v41, vcc_lo
	s_delay_alu instid0(VALU_DEP_4)
	v_add_co_u32 v42, vcc_lo, s8, v42
	v_add_co_ci_u32_e32 v43, vcc_lo, s9, v43, vcc_lo
	s_mov_b32 vcc_lo, s2
	global_store_b32 v[46:47], v49, off
	s_cbranch_vccz .LBB62_137
; %bb.135:
	v_add_co_u32 v45, vcc_lo, v40, v80
	v_min_f32_e32 v47, 0, v44
	v_add_co_ci_u32_e32 v46, vcc_lo, v41, v81, vcc_lo
	s_mov_b32 s5, 0
	global_store_b32 v[45:46], v47, off
	s_cbranch_execz .LBB62_138
; %bb.136:
	v_mov_b32_e32 v44, s5
	s_branch .LBB62_139
.LBB62_137:
	s_mov_b32 s5, -1
.LBB62_138:
	v_add_co_u32 v45, vcc_lo, v42, v80
	v_add_co_ci_u32_e32 v46, vcc_lo, v43, v81, vcc_lo
	flat_load_b32 v45, v[45:46]
	s_waitcnt vmcnt(0) lgkmcnt(0)
	v_mul_f32_e32 v47, s18, v45
	v_add_co_u32 v45, vcc_lo, v40, v80
	v_add_co_ci_u32_e32 v46, vcc_lo, v41, v81, vcc_lo
	s_delay_alu instid0(VALU_DEP_3)
	v_min_f32_e32 v44, v47, v44
	v_add_co_u32 v47, vcc_lo, v42, v82
	v_add_co_ci_u32_e32 v48, vcc_lo, v43, v83, vcc_lo
	global_store_b32 v[45:46], v44, off
	flat_load_b32 v44, v[47:48]
	s_waitcnt vmcnt(0) lgkmcnt(0)
	v_mul_f32_e32 v44, s18, v44
.LBB62_139:
	v_dual_add_f32 v45, v13, v37 :: v_dual_add_f32 v46, v12, v36
	v_dual_add_f32 v47, v9, v37 :: v_dual_add_f32 v48, v8, v36
	;; [unrolled: 1-line block ×3, first 2 shown]
	s_delay_alu instid0(VALU_DEP_3) | instskip(NEXT) | instid1(VALU_DEP_3)
	v_min3_f32 v45, v46, v45, v109
	v_min3_f32 v46, v48, v47, v110
	v_dual_add_f32 v47, v11, v39 :: v_dual_add_f32 v48, v10, v38
	s_delay_alu instid0(VALU_DEP_1) | instskip(SKIP_1) | instid1(VALU_DEP_1)
	v_min3_f32 v47, v48, v47, v46
	v_min_f32_e32 v49, v50, v49
	v_min3_f32 v48, v44, v49, v45
	s_delay_alu instid0(VALU_DEP_3)
	v_max_f32_e32 v44, v47, v47
	v_add_co_u32 v45, vcc_lo, v40, v82
	v_add_co_ci_u32_e32 v46, vcc_lo, v41, v83, vcc_lo
	s_mov_b32 vcc_lo, s2
	global_store_b32 v[45:46], v48, off
	s_cbranch_vccz .LBB62_142
; %bb.140:
	v_add_co_u32 v45, vcc_lo, v40, v86
	v_min_f32_e32 v47, 0, v44
	v_add_co_ci_u32_e32 v46, vcc_lo, v41, v87, vcc_lo
	s_mov_b32 s5, 0
	global_store_b32 v[45:46], v47, off
	s_cbranch_execz .LBB62_143
; %bb.141:
	v_mov_b32_e32 v42, s5
	s_branch .LBB62_144
.LBB62_142:
	s_mov_b32 s5, -1
.LBB62_143:
	v_add_co_u32 v45, vcc_lo, v42, v86
	v_add_co_ci_u32_e32 v46, vcc_lo, v43, v87, vcc_lo
	flat_load_b32 v45, v[45:46]
	s_waitcnt vmcnt(0) lgkmcnt(0)
	v_mul_f32_e32 v47, s18, v45
	v_add_co_u32 v45, vcc_lo, v40, v86
	v_add_co_ci_u32_e32 v46, vcc_lo, v41, v87, vcc_lo
	v_add_co_u32 v42, vcc_lo, v42, v84
	s_delay_alu instid0(VALU_DEP_4)
	v_min_f32_e32 v44, v47, v44
	v_add_co_ci_u32_e32 v43, vcc_lo, v43, v85, vcc_lo
	global_store_b32 v[45:46], v44, off
	flat_load_b32 v42, v[42:43]
	s_waitcnt vmcnt(0) lgkmcnt(0)
	v_mul_f32_e32 v42, s18, v42
.LBB62_144:
	s_waitcnt lgkmcnt(4)
	v_dual_add_f32 v43, v17, v33 :: v_dual_add_f32 v44, v16, v32
	v_dual_add_f32 v37, v1, v37 :: v_dual_add_f32 v36, v0, v36
	;; [unrolled: 1-line block ×3, first 2 shown]
	s_delay_alu instid0(VALU_DEP_3) | instskip(SKIP_1) | instid1(VALU_DEP_4)
	v_min3_f32 v43, v44, v43, v108
	v_add_nc_u32_e32 v44, 0x58, v133
	v_min3_f32 v45, v36, v37, v107
	v_dual_add_f32 v46, v19, v35 :: v_dual_add_f32 v47, v18, v34
	v_min_f32_e32 v48, v38, v39
	s_delay_alu instid0(VALU_DEP_4) | instskip(SKIP_1) | instid1(VALU_DEP_3)
	v_mad_i64_i32 v[36:37], null, v44, s3, 0
	v_mad_i64_i32 v[38:39], null, v44, s0, 0
	v_min3_f32 v45, v42, v48, v45
	v_add_co_u32 v42, vcc_lo, v40, v84
	v_min3_f32 v44, v47, v46, v43
	v_lshlrev_b64 v[36:37], 2, v[36:37]
	v_add_co_ci_u32_e32 v43, vcc_lo, v41, v85, vcc_lo
	v_lshlrev_b64 v[38:39], 2, v[38:39]
	s_delay_alu instid0(VALU_DEP_4) | instskip(NEXT) | instid1(VALU_DEP_4)
	v_max_f32_e32 v40, v44, v44
	v_add_co_u32 v36, vcc_lo, s1, v36
	v_add_co_ci_u32_e32 v37, vcc_lo, s4, v37, vcc_lo
	s_delay_alu instid0(VALU_DEP_4)
	v_add_co_u32 v38, vcc_lo, s8, v38
	v_add_co_ci_u32_e32 v39, vcc_lo, s9, v39, vcc_lo
	s_mov_b32 vcc_lo, s2
	global_store_b32 v[42:43], v45, off
	s_cbranch_vccz .LBB62_147
; %bb.145:
	v_add_co_u32 v41, vcc_lo, v36, v80
	v_min_f32_e32 v43, 0, v40
	v_add_co_ci_u32_e32 v42, vcc_lo, v37, v81, vcc_lo
	s_mov_b32 s5, 0
	global_store_b32 v[41:42], v43, off
	s_cbranch_execz .LBB62_148
; %bb.146:
	v_mov_b32_e32 v40, s5
	s_branch .LBB62_149
.LBB62_147:
	s_mov_b32 s5, -1
.LBB62_148:
	v_add_co_u32 v41, vcc_lo, v38, v80
	v_add_co_ci_u32_e32 v42, vcc_lo, v39, v81, vcc_lo
	flat_load_b32 v41, v[41:42]
	s_waitcnt vmcnt(0) lgkmcnt(0)
	v_mul_f32_e32 v43, s18, v41
	v_add_co_u32 v41, vcc_lo, v36, v80
	v_add_co_ci_u32_e32 v42, vcc_lo, v37, v81, vcc_lo
	s_delay_alu instid0(VALU_DEP_3)
	v_min_f32_e32 v40, v43, v40
	v_add_co_u32 v43, vcc_lo, v38, v82
	v_add_co_ci_u32_e32 v44, vcc_lo, v39, v83, vcc_lo
	global_store_b32 v[41:42], v40, off
	flat_load_b32 v40, v[43:44]
	s_waitcnt vmcnt(0) lgkmcnt(0)
	v_mul_f32_e32 v40, s18, v40
.LBB62_149:
	v_dual_add_f32 v41, v13, v33 :: v_dual_add_f32 v42, v12, v32
	v_dual_add_f32 v43, v9, v33 :: v_dual_add_f32 v44, v8, v32
	;; [unrolled: 1-line block ×3, first 2 shown]
	s_delay_alu instid0(VALU_DEP_3) | instskip(NEXT) | instid1(VALU_DEP_3)
	v_min3_f32 v41, v42, v41, v105
	v_min3_f32 v42, v44, v43, v106
	v_dual_add_f32 v43, v11, v35 :: v_dual_add_f32 v44, v10, v34
	s_delay_alu instid0(VALU_DEP_1) | instskip(SKIP_1) | instid1(VALU_DEP_1)
	v_min3_f32 v43, v44, v43, v42
	v_min_f32_e32 v45, v46, v45
	v_min3_f32 v44, v40, v45, v41
	s_delay_alu instid0(VALU_DEP_3)
	v_max_f32_e32 v40, v43, v43
	v_add_co_u32 v41, vcc_lo, v36, v82
	v_add_co_ci_u32_e32 v42, vcc_lo, v37, v83, vcc_lo
	s_mov_b32 vcc_lo, s2
	global_store_b32 v[41:42], v44, off
	s_cbranch_vccz .LBB62_152
; %bb.150:
	v_add_co_u32 v41, vcc_lo, v36, v86
	v_min_f32_e32 v43, 0, v40
	v_add_co_ci_u32_e32 v42, vcc_lo, v37, v87, vcc_lo
	s_mov_b32 s5, 0
	global_store_b32 v[41:42], v43, off
	s_cbranch_execz .LBB62_153
; %bb.151:
	v_mov_b32_e32 v38, s5
	s_branch .LBB62_154
.LBB62_152:
	s_mov_b32 s5, -1
.LBB62_153:
	v_add_co_u32 v41, vcc_lo, v38, v86
	v_add_co_ci_u32_e32 v42, vcc_lo, v39, v87, vcc_lo
	flat_load_b32 v41, v[41:42]
	s_waitcnt vmcnt(0) lgkmcnt(0)
	v_mul_f32_e32 v43, s18, v41
	v_add_co_u32 v41, vcc_lo, v36, v86
	v_add_co_ci_u32_e32 v42, vcc_lo, v37, v87, vcc_lo
	v_add_co_u32 v38, vcc_lo, v38, v84
	s_delay_alu instid0(VALU_DEP_4)
	v_min_f32_e32 v40, v43, v40
	v_add_co_ci_u32_e32 v39, vcc_lo, v39, v85, vcc_lo
	global_store_b32 v[41:42], v40, off
	flat_load_b32 v38, v[38:39]
	s_waitcnt vmcnt(0) lgkmcnt(0)
	v_mul_f32_e32 v38, s18, v38
.LBB62_154:
	s_waitcnt lgkmcnt(3)
	v_dual_add_f32 v39, v17, v29 :: v_dual_add_f32 v40, v16, v28
	v_dual_add_f32 v33, v1, v33 :: v_dual_add_f32 v32, v0, v32
	;; [unrolled: 1-line block ×3, first 2 shown]
	s_delay_alu instid0(VALU_DEP_3) | instskip(SKIP_1) | instid1(VALU_DEP_4)
	v_min3_f32 v39, v40, v39, v104
	v_add_nc_u32_e32 v40, 0x60, v133
	v_min3_f32 v41, v32, v33, v103
	v_dual_add_f32 v42, v19, v31 :: v_dual_add_f32 v43, v18, v30
	v_min_f32_e32 v44, v34, v35
	s_delay_alu instid0(VALU_DEP_4) | instskip(SKIP_1) | instid1(VALU_DEP_3)
	v_mad_i64_i32 v[32:33], null, v40, s3, 0
	v_mad_i64_i32 v[34:35], null, v40, s0, 0
	v_min3_f32 v41, v38, v44, v41
	v_add_co_u32 v38, vcc_lo, v36, v84
	v_min3_f32 v40, v43, v42, v39
	v_lshlrev_b64 v[32:33], 2, v[32:33]
	v_add_co_ci_u32_e32 v39, vcc_lo, v37, v85, vcc_lo
	v_lshlrev_b64 v[34:35], 2, v[34:35]
	s_delay_alu instid0(VALU_DEP_4) | instskip(NEXT) | instid1(VALU_DEP_4)
	v_max_f32_e32 v36, v40, v40
	v_add_co_u32 v32, vcc_lo, s1, v32
	v_add_co_ci_u32_e32 v33, vcc_lo, s4, v33, vcc_lo
	s_delay_alu instid0(VALU_DEP_4)
	v_add_co_u32 v34, vcc_lo, s8, v34
	v_add_co_ci_u32_e32 v35, vcc_lo, s9, v35, vcc_lo
	s_mov_b32 vcc_lo, s2
	global_store_b32 v[38:39], v41, off
	s_cbranch_vccz .LBB62_157
; %bb.155:
	v_add_co_u32 v37, vcc_lo, v32, v80
	v_min_f32_e32 v39, 0, v36
	v_add_co_ci_u32_e32 v38, vcc_lo, v33, v81, vcc_lo
	s_mov_b32 s5, 0
	global_store_b32 v[37:38], v39, off
	s_cbranch_execz .LBB62_158
; %bb.156:
	v_mov_b32_e32 v36, s5
	s_branch .LBB62_159
.LBB62_157:
	s_mov_b32 s5, -1
.LBB62_158:
	v_add_co_u32 v37, vcc_lo, v34, v80
	v_add_co_ci_u32_e32 v38, vcc_lo, v35, v81, vcc_lo
	flat_load_b32 v37, v[37:38]
	s_waitcnt vmcnt(0) lgkmcnt(0)
	v_mul_f32_e32 v39, s18, v37
	v_add_co_u32 v37, vcc_lo, v32, v80
	v_add_co_ci_u32_e32 v38, vcc_lo, v33, v81, vcc_lo
	s_delay_alu instid0(VALU_DEP_3)
	v_min_f32_e32 v36, v39, v36
	v_add_co_u32 v39, vcc_lo, v34, v82
	v_add_co_ci_u32_e32 v40, vcc_lo, v35, v83, vcc_lo
	global_store_b32 v[37:38], v36, off
	flat_load_b32 v36, v[39:40]
	s_waitcnt vmcnt(0) lgkmcnt(0)
	v_mul_f32_e32 v36, s18, v36
.LBB62_159:
	v_dual_add_f32 v37, v13, v29 :: v_dual_add_f32 v38, v12, v28
	v_dual_add_f32 v39, v9, v29 :: v_dual_add_f32 v40, v8, v28
	;; [unrolled: 1-line block ×3, first 2 shown]
	s_delay_alu instid0(VALU_DEP_3) | instskip(NEXT) | instid1(VALU_DEP_3)
	v_min3_f32 v37, v38, v37, v101
	v_min3_f32 v38, v40, v39, v102
	v_dual_add_f32 v39, v11, v31 :: v_dual_add_f32 v40, v10, v30
	s_delay_alu instid0(VALU_DEP_1) | instskip(SKIP_1) | instid1(VALU_DEP_1)
	v_min3_f32 v39, v40, v39, v38
	v_min_f32_e32 v41, v42, v41
	v_min3_f32 v40, v36, v41, v37
	s_delay_alu instid0(VALU_DEP_3)
	v_max_f32_e32 v36, v39, v39
	v_add_co_u32 v37, vcc_lo, v32, v82
	v_add_co_ci_u32_e32 v38, vcc_lo, v33, v83, vcc_lo
	s_mov_b32 vcc_lo, s2
	global_store_b32 v[37:38], v40, off
	s_cbranch_vccz .LBB62_162
; %bb.160:
	v_add_co_u32 v37, vcc_lo, v32, v86
	v_min_f32_e32 v39, 0, v36
	v_add_co_ci_u32_e32 v38, vcc_lo, v33, v87, vcc_lo
	s_mov_b32 s5, 0
	global_store_b32 v[37:38], v39, off
	s_cbranch_execz .LBB62_163
; %bb.161:
	v_mov_b32_e32 v34, s5
	s_branch .LBB62_164
.LBB62_162:
	s_mov_b32 s5, -1
.LBB62_163:
	v_add_co_u32 v37, vcc_lo, v34, v86
	v_add_co_ci_u32_e32 v38, vcc_lo, v35, v87, vcc_lo
	flat_load_b32 v37, v[37:38]
	s_waitcnt vmcnt(0) lgkmcnt(0)
	v_mul_f32_e32 v39, s18, v37
	v_add_co_u32 v37, vcc_lo, v32, v86
	v_add_co_ci_u32_e32 v38, vcc_lo, v33, v87, vcc_lo
	v_add_co_u32 v34, vcc_lo, v34, v84
	s_delay_alu instid0(VALU_DEP_4)
	v_min_f32_e32 v36, v39, v36
	v_add_co_ci_u32_e32 v35, vcc_lo, v35, v85, vcc_lo
	global_store_b32 v[37:38], v36, off
	flat_load_b32 v34, v[34:35]
	s_waitcnt vmcnt(0) lgkmcnt(0)
	v_mul_f32_e32 v34, s18, v34
.LBB62_164:
	s_waitcnt lgkmcnt(2)
	v_dual_add_f32 v35, v17, v25 :: v_dual_add_f32 v36, v16, v24
	v_dual_add_f32 v29, v1, v29 :: v_dual_add_f32 v28, v0, v28
	;; [unrolled: 1-line block ×3, first 2 shown]
	s_delay_alu instid0(VALU_DEP_3) | instskip(SKIP_1) | instid1(VALU_DEP_4)
	v_min3_f32 v35, v36, v35, v100
	v_add_nc_u32_e32 v36, 0x68, v133
	v_min3_f32 v37, v28, v29, v99
	v_dual_add_f32 v38, v19, v27 :: v_dual_add_f32 v39, v18, v26
	v_min_f32_e32 v40, v30, v31
	s_delay_alu instid0(VALU_DEP_4) | instskip(SKIP_1) | instid1(VALU_DEP_3)
	v_mad_i64_i32 v[28:29], null, v36, s3, 0
	v_mad_i64_i32 v[30:31], null, v36, s0, 0
	v_min3_f32 v37, v34, v40, v37
	v_add_co_u32 v34, vcc_lo, v32, v84
	v_min3_f32 v36, v39, v38, v35
	v_lshlrev_b64 v[28:29], 2, v[28:29]
	v_add_co_ci_u32_e32 v35, vcc_lo, v33, v85, vcc_lo
	v_lshlrev_b64 v[30:31], 2, v[30:31]
	s_delay_alu instid0(VALU_DEP_4) | instskip(NEXT) | instid1(VALU_DEP_4)
	v_max_f32_e32 v32, v36, v36
	v_add_co_u32 v28, vcc_lo, s1, v28
	v_add_co_ci_u32_e32 v29, vcc_lo, s4, v29, vcc_lo
	s_delay_alu instid0(VALU_DEP_4)
	v_add_co_u32 v30, vcc_lo, s8, v30
	v_add_co_ci_u32_e32 v31, vcc_lo, s9, v31, vcc_lo
	s_mov_b32 vcc_lo, s2
	global_store_b32 v[34:35], v37, off
	s_cbranch_vccz .LBB62_167
; %bb.165:
	v_add_co_u32 v33, vcc_lo, v28, v80
	v_min_f32_e32 v35, 0, v32
	v_add_co_ci_u32_e32 v34, vcc_lo, v29, v81, vcc_lo
	s_mov_b32 s5, 0
	global_store_b32 v[33:34], v35, off
	s_cbranch_execz .LBB62_168
; %bb.166:
	v_mov_b32_e32 v32, s5
	s_branch .LBB62_169
.LBB62_167:
	s_mov_b32 s5, -1
.LBB62_168:
	v_add_co_u32 v33, vcc_lo, v30, v80
	v_add_co_ci_u32_e32 v34, vcc_lo, v31, v81, vcc_lo
	flat_load_b32 v33, v[33:34]
	s_waitcnt vmcnt(0) lgkmcnt(0)
	v_mul_f32_e32 v35, s18, v33
	v_add_co_u32 v33, vcc_lo, v28, v80
	v_add_co_ci_u32_e32 v34, vcc_lo, v29, v81, vcc_lo
	s_delay_alu instid0(VALU_DEP_3)
	v_min_f32_e32 v32, v35, v32
	v_add_co_u32 v35, vcc_lo, v30, v82
	v_add_co_ci_u32_e32 v36, vcc_lo, v31, v83, vcc_lo
	global_store_b32 v[33:34], v32, off
	flat_load_b32 v32, v[35:36]
	s_waitcnt vmcnt(0) lgkmcnt(0)
	v_mul_f32_e32 v32, s18, v32
.LBB62_169:
	v_dual_add_f32 v33, v13, v25 :: v_dual_add_f32 v34, v12, v24
	v_dual_add_f32 v35, v9, v25 :: v_dual_add_f32 v36, v8, v24
	;; [unrolled: 1-line block ×3, first 2 shown]
	s_delay_alu instid0(VALU_DEP_3) | instskip(NEXT) | instid1(VALU_DEP_3)
	v_min3_f32 v33, v34, v33, v96
	v_min3_f32 v34, v36, v35, v97
	v_dual_add_f32 v35, v11, v27 :: v_dual_add_f32 v36, v10, v26
	s_delay_alu instid0(VALU_DEP_1) | instskip(SKIP_1) | instid1(VALU_DEP_1)
	v_min3_f32 v35, v36, v35, v34
	v_min_f32_e32 v37, v38, v37
	v_min3_f32 v36, v32, v37, v33
	s_delay_alu instid0(VALU_DEP_3)
	v_max_f32_e32 v32, v35, v35
	v_add_co_u32 v33, vcc_lo, v28, v82
	v_add_co_ci_u32_e32 v34, vcc_lo, v29, v83, vcc_lo
	s_mov_b32 vcc_lo, s2
	global_store_b32 v[33:34], v36, off
	s_cbranch_vccz .LBB62_172
; %bb.170:
	v_add_co_u32 v33, vcc_lo, v28, v86
	v_min_f32_e32 v35, 0, v32
	v_add_co_ci_u32_e32 v34, vcc_lo, v29, v87, vcc_lo
	s_mov_b32 s5, 0
	global_store_b32 v[33:34], v35, off
	s_cbranch_execz .LBB62_173
; %bb.171:
	v_mov_b32_e32 v30, s5
	s_branch .LBB62_174
.LBB62_172:
	s_mov_b32 s5, -1
.LBB62_173:
	v_add_co_u32 v33, vcc_lo, v30, v86
	v_add_co_ci_u32_e32 v34, vcc_lo, v31, v87, vcc_lo
	flat_load_b32 v33, v[33:34]
	s_waitcnt vmcnt(0) lgkmcnt(0)
	v_mul_f32_e32 v35, s18, v33
	v_add_co_u32 v33, vcc_lo, v28, v86
	v_add_co_ci_u32_e32 v34, vcc_lo, v29, v87, vcc_lo
	v_add_co_u32 v30, vcc_lo, v30, v84
	s_delay_alu instid0(VALU_DEP_4)
	v_min_f32_e32 v32, v35, v32
	v_add_co_ci_u32_e32 v31, vcc_lo, v31, v85, vcc_lo
	global_store_b32 v[33:34], v32, off
	flat_load_b32 v30, v[30:31]
	s_waitcnt vmcnt(0) lgkmcnt(0)
	v_mul_f32_e32 v30, s18, v30
.LBB62_174:
	s_waitcnt lgkmcnt(1)
	v_dual_add_f32 v31, v17, v21 :: v_dual_add_f32 v32, v16, v20
	v_dual_add_f32 v25, v1, v25 :: v_dual_add_f32 v24, v0, v24
	;; [unrolled: 1-line block ×3, first 2 shown]
	s_delay_alu instid0(VALU_DEP_3) | instskip(SKIP_1) | instid1(VALU_DEP_4)
	v_min3_f32 v31, v32, v31, v95
	v_add_nc_u32_e32 v32, 0x70, v133
	v_min3_f32 v33, v24, v25, v94
	v_dual_add_f32 v34, v19, v23 :: v_dual_add_f32 v35, v18, v22
	v_min_f32_e32 v36, v26, v27
	s_delay_alu instid0(VALU_DEP_4) | instskip(SKIP_1) | instid1(VALU_DEP_3)
	v_mad_i64_i32 v[24:25], null, v32, s3, 0
	v_mad_i64_i32 v[26:27], null, v32, s0, 0
	v_min3_f32 v33, v30, v36, v33
	v_add_co_u32 v30, vcc_lo, v28, v84
	v_min3_f32 v32, v35, v34, v31
	v_lshlrev_b64 v[24:25], 2, v[24:25]
	v_add_co_ci_u32_e32 v31, vcc_lo, v29, v85, vcc_lo
	v_lshlrev_b64 v[26:27], 2, v[26:27]
	s_delay_alu instid0(VALU_DEP_4) | instskip(NEXT) | instid1(VALU_DEP_4)
	v_max_f32_e32 v28, v32, v32
	v_add_co_u32 v24, vcc_lo, s1, v24
	v_add_co_ci_u32_e32 v25, vcc_lo, s4, v25, vcc_lo
	s_delay_alu instid0(VALU_DEP_4)
	v_add_co_u32 v26, vcc_lo, s8, v26
	v_add_co_ci_u32_e32 v27, vcc_lo, s9, v27, vcc_lo
	s_mov_b32 vcc_lo, s2
	global_store_b32 v[30:31], v33, off
	s_cbranch_vccz .LBB62_177
; %bb.175:
	v_add_co_u32 v29, vcc_lo, v24, v80
	v_min_f32_e32 v31, 0, v28
	v_add_co_ci_u32_e32 v30, vcc_lo, v25, v81, vcc_lo
	s_mov_b32 s5, 0
	global_store_b32 v[29:30], v31, off
	s_cbranch_execz .LBB62_178
; %bb.176:
	v_mov_b32_e32 v28, s5
	s_branch .LBB62_179
.LBB62_177:
	s_mov_b32 s5, -1
.LBB62_178:
	v_add_co_u32 v29, vcc_lo, v26, v80
	v_add_co_ci_u32_e32 v30, vcc_lo, v27, v81, vcc_lo
	flat_load_b32 v29, v[29:30]
	s_waitcnt vmcnt(0) lgkmcnt(0)
	v_mul_f32_e32 v31, s18, v29
	v_add_co_u32 v29, vcc_lo, v24, v80
	v_add_co_ci_u32_e32 v30, vcc_lo, v25, v81, vcc_lo
	s_delay_alu instid0(VALU_DEP_3)
	v_min_f32_e32 v28, v31, v28
	v_add_co_u32 v31, vcc_lo, v26, v82
	v_add_co_ci_u32_e32 v32, vcc_lo, v27, v83, vcc_lo
	global_store_b32 v[29:30], v28, off
	flat_load_b32 v28, v[31:32]
	s_waitcnt vmcnt(0) lgkmcnt(0)
	v_mul_f32_e32 v28, s18, v28
.LBB62_179:
	v_dual_add_f32 v29, v13, v21 :: v_dual_add_f32 v30, v12, v20
	v_dual_add_f32 v31, v9, v21 :: v_dual_add_f32 v32, v8, v20
	;; [unrolled: 1-line block ×3, first 2 shown]
	s_delay_alu instid0(VALU_DEP_3) | instskip(NEXT) | instid1(VALU_DEP_3)
	v_min3_f32 v29, v30, v29, v93
	v_min3_f32 v30, v32, v31, v92
	v_dual_add_f32 v31, v11, v23 :: v_dual_add_f32 v32, v10, v22
	s_delay_alu instid0(VALU_DEP_1) | instskip(SKIP_1) | instid1(VALU_DEP_1)
	v_min3_f32 v31, v32, v31, v30
	v_min_f32_e32 v33, v34, v33
	v_min3_f32 v32, v28, v33, v29
	s_delay_alu instid0(VALU_DEP_3)
	v_max_f32_e32 v28, v31, v31
	v_add_co_u32 v29, vcc_lo, v24, v82
	v_add_co_ci_u32_e32 v30, vcc_lo, v25, v83, vcc_lo
	s_mov_b32 vcc_lo, s2
	global_store_b32 v[29:30], v32, off
	s_cbranch_vccz .LBB62_182
; %bb.180:
	v_add_co_u32 v29, vcc_lo, v24, v86
	v_min_f32_e32 v31, 0, v28
	v_add_co_ci_u32_e32 v30, vcc_lo, v25, v87, vcc_lo
	s_mov_b32 s5, 0
	global_store_b32 v[29:30], v31, off
	s_cbranch_execz .LBB62_183
; %bb.181:
	v_mov_b32_e32 v26, s5
	s_branch .LBB62_184
.LBB62_182:
	s_mov_b32 s5, -1
.LBB62_183:
	v_add_co_u32 v29, vcc_lo, v26, v86
	v_add_co_ci_u32_e32 v30, vcc_lo, v27, v87, vcc_lo
	flat_load_b32 v29, v[29:30]
	s_waitcnt vmcnt(0) lgkmcnt(0)
	v_mul_f32_e32 v31, s18, v29
	v_add_co_u32 v29, vcc_lo, v24, v86
	v_add_co_ci_u32_e32 v30, vcc_lo, v25, v87, vcc_lo
	v_add_co_u32 v26, vcc_lo, v26, v84
	s_delay_alu instid0(VALU_DEP_4)
	v_min_f32_e32 v28, v31, v28
	v_add_co_ci_u32_e32 v27, vcc_lo, v27, v85, vcc_lo
	global_store_b32 v[29:30], v28, off
	flat_load_b32 v26, v[26:27]
	s_waitcnt vmcnt(0) lgkmcnt(0)
	v_mul_f32_e32 v26, s18, v26
.LBB62_184:
	v_dual_add_f32 v21, v1, v21 :: v_dual_add_f32 v20, v0, v20
	s_waitcnt lgkmcnt(0)
	v_dual_add_f32 v17, v17, v5 :: v_dual_add_f32 v16, v16, v4
	v_dual_add_f32 v22, v2, v22 :: v_dual_add_nc_u32 v27, 0x78, v133
	s_delay_alu instid0(VALU_DEP_3) | instskip(SKIP_1) | instid1(VALU_DEP_4)
	v_min3_f32 v20, v20, v21, v90
	v_add_f32_e32 v23, v3, v23
	v_min3_f32 v21, v16, v17, v91
	s_delay_alu instid0(VALU_DEP_4) | instskip(SKIP_3) | instid1(VALU_DEP_4)
	v_mad_i64_i32 v[16:17], null, v27, s3, 0
	v_dual_add_f32 v28, v19, v7 :: v_dual_add_f32 v29, v18, v6
	v_mad_i64_i32 v[18:19], null, v27, s0, 0
	v_min_f32_e32 v22, v22, v23
	v_lshlrev_b64 v[16:17], 2, v[16:17]
	s_delay_alu instid0(VALU_DEP_4)
	v_min3_f32 v23, v29, v28, v21
	v_add_co_u32 v21, vcc_lo, v24, v84
	v_lshlrev_b64 v[18:19], 2, v[18:19]
	v_min3_f32 v26, v26, v22, v20
	v_add_co_ci_u32_e32 v22, vcc_lo, v25, v85, vcc_lo
	v_add_co_u32 v16, vcc_lo, s1, v16
	v_add_co_ci_u32_e32 v17, vcc_lo, s4, v17, vcc_lo
	v_add_co_u32 v18, vcc_lo, s8, v18
	v_add_co_ci_u32_e32 v19, vcc_lo, s9, v19, vcc_lo
	v_max_f32_e32 v20, v23, v23
	s_mov_b32 vcc_lo, s2
	global_store_b32 v[21:22], v26, off
	s_cbranch_vccz .LBB62_187
; %bb.185:
	v_add_co_u32 v21, vcc_lo, v16, v80
	v_min_f32_e32 v23, 0, v20
	v_add_co_ci_u32_e32 v22, vcc_lo, v17, v81, vcc_lo
	s_mov_b32 s0, 0
	global_store_b32 v[21:22], v23, off
	s_cbranch_execz .LBB62_188
; %bb.186:
	v_mov_b32_e32 v20, s0
	s_branch .LBB62_189
.LBB62_187:
	s_mov_b32 s0, -1
.LBB62_188:
	v_add_co_u32 v21, vcc_lo, v18, v80
	v_add_co_ci_u32_e32 v22, vcc_lo, v19, v81, vcc_lo
	flat_load_b32 v21, v[21:22]
	s_waitcnt vmcnt(0) lgkmcnt(0)
	v_mul_f32_e32 v23, s18, v21
	v_add_co_u32 v21, vcc_lo, v16, v80
	v_add_co_ci_u32_e32 v22, vcc_lo, v17, v81, vcc_lo
	s_delay_alu instid0(VALU_DEP_3)
	v_min_f32_e32 v20, v23, v20
	v_add_co_u32 v23, vcc_lo, v18, v82
	v_add_co_ci_u32_e32 v24, vcc_lo, v19, v83, vcc_lo
	global_store_b32 v[21:22], v20, off
	flat_load_b32 v20, v[23:24]
	s_waitcnt vmcnt(0) lgkmcnt(0)
	v_mul_f32_e32 v20, s18, v20
.LBB62_189:
	v_dual_add_f32 v9, v9, v5 :: v_dual_add_f32 v8, v8, v4
	v_dual_add_f32 v13, v13, v5 :: v_dual_add_f32 v12, v12, v4
	;; [unrolled: 1-line block ×3, first 2 shown]
	s_delay_alu instid0(VALU_DEP_3) | instskip(SKIP_1) | instid1(VALU_DEP_4)
	v_min3_f32 v8, v8, v9, v89
	v_dual_add_f32 v9, v11, v7 :: v_dual_add_f32 v10, v10, v6
	v_min3_f32 v12, v12, v13, v88
	s_delay_alu instid0(VALU_DEP_2) | instskip(SKIP_3) | instid1(VALU_DEP_4)
	v_min3_f32 v8, v10, v9, v8
	v_min_f32_e32 v11, v14, v15
	v_add_co_u32 v9, vcc_lo, v16, v82
	v_add_co_ci_u32_e32 v10, vcc_lo, v17, v83, vcc_lo
	v_max_f32_e32 v8, v8, v8
	s_delay_alu instid0(VALU_DEP_4)
	v_min3_f32 v11, v20, v11, v12
	s_mov_b32 vcc_lo, s2
	global_store_b32 v[9:10], v11, off
	s_cbranch_vccz .LBB62_192
; %bb.190:
	v_add_co_u32 v9, vcc_lo, v16, v86
	v_min_f32_e32 v11, 0, v8
	v_add_co_ci_u32_e32 v10, vcc_lo, v17, v87, vcc_lo
	s_mov_b32 s0, 0
	global_store_b32 v[9:10], v11, off
	s_cbranch_execz .LBB62_193
; %bb.191:
	v_mov_b32_e32 v8, s0
	s_branch .LBB62_194
.LBB62_192:
	s_mov_b32 s0, -1
.LBB62_193:
	v_add_co_u32 v9, vcc_lo, v18, v86
	v_add_co_ci_u32_e32 v10, vcc_lo, v19, v87, vcc_lo
	flat_load_b32 v9, v[9:10]
	s_waitcnt vmcnt(0) lgkmcnt(0)
	v_mul_f32_e32 v11, s18, v9
	v_add_co_u32 v9, vcc_lo, v16, v86
	v_add_co_ci_u32_e32 v10, vcc_lo, v17, v87, vcc_lo
	s_delay_alu instid0(VALU_DEP_3)
	v_min_f32_e32 v8, v11, v8
	v_add_co_u32 v11, vcc_lo, v18, v84
	v_add_co_ci_u32_e32 v12, vcc_lo, v19, v85, vcc_lo
	global_store_b32 v[9:10], v8, off
	flat_load_b32 v8, v[11:12]
	s_waitcnt vmcnt(0) lgkmcnt(0)
	v_mul_f32_e32 v8, s18, v8
.LBB62_194:
	v_dual_add_f32 v3, v3, v7 :: v_dual_add_f32 v2, v2, v6
	v_dual_add_f32 v1, v1, v5 :: v_dual_add_f32 v0, v0, v4
	s_delay_alu instid0(VALU_DEP_2) | instskip(NEXT) | instid1(VALU_DEP_2)
	v_min_f32_e32 v2, v2, v3
	v_min3_f32 v0, v0, v1, v98
	s_delay_alu instid0(VALU_DEP_1)
	v_min3_f32 v2, v8, v2, v0
	v_add_co_u32 v0, vcc_lo, v16, v84
	v_add_co_ci_u32_e32 v1, vcc_lo, v17, v85, vcc_lo
	global_store_b32 v[0:1], v2, off
	s_nop 0
	s_sendmsg sendmsg(MSG_DEALLOC_VGPRS)
	s_endpgm
	.section	.rodata,"a",@progbits
	.p2align	6, 0x0
	.amdhsa_kernel _ZN12_GLOBAL__N_120geam_min_plus_kernelIf15HIP_vector_typeIfLj2EEfLi32ELi8ELi128ELi128ELi4ELi4ELi64ELi4ELi64ELc84ELc78ELb0ELb0ELb1EfKffEEviiiT16_PT17_ilS6_ilS4_S6_ilPT18_ili26rocblas_geam_ex_operation_
		.amdhsa_group_segment_fixed_size 8192
		.amdhsa_private_segment_fixed_size 0
		.amdhsa_kernarg_size 128
		.amdhsa_user_sgpr_count 14
		.amdhsa_user_sgpr_dispatch_ptr 0
		.amdhsa_user_sgpr_queue_ptr 0
		.amdhsa_user_sgpr_kernarg_segment_ptr 1
		.amdhsa_user_sgpr_dispatch_id 0
		.amdhsa_user_sgpr_private_segment_size 0
		.amdhsa_wavefront_size32 1
		.amdhsa_uses_dynamic_stack 0
		.amdhsa_enable_private_segment 0
		.amdhsa_system_sgpr_workgroup_id_x 1
		.amdhsa_system_sgpr_workgroup_id_y 0
		.amdhsa_system_sgpr_workgroup_id_z 1
		.amdhsa_system_sgpr_workgroup_info 0
		.amdhsa_system_vgpr_workitem_id 1
		.amdhsa_next_free_vgpr 210
		.amdhsa_next_free_sgpr 24
		.amdhsa_reserve_vcc 1
		.amdhsa_float_round_mode_32 0
		.amdhsa_float_round_mode_16_64 0
		.amdhsa_float_denorm_mode_32 3
		.amdhsa_float_denorm_mode_16_64 3
		.amdhsa_dx10_clamp 1
		.amdhsa_ieee_mode 1
		.amdhsa_fp16_overflow 0
		.amdhsa_workgroup_processor_mode 1
		.amdhsa_memory_ordered 1
		.amdhsa_forward_progress 0
		.amdhsa_shared_vgpr_count 0
		.amdhsa_exception_fp_ieee_invalid_op 0
		.amdhsa_exception_fp_denorm_src 0
		.amdhsa_exception_fp_ieee_div_zero 0
		.amdhsa_exception_fp_ieee_overflow 0
		.amdhsa_exception_fp_ieee_underflow 0
		.amdhsa_exception_fp_ieee_inexact 0
		.amdhsa_exception_int_div_zero 0
	.end_amdhsa_kernel
	.section	.text._ZN12_GLOBAL__N_120geam_min_plus_kernelIf15HIP_vector_typeIfLj2EEfLi32ELi8ELi128ELi128ELi4ELi4ELi64ELi4ELi64ELc84ELc78ELb0ELb0ELb1EfKffEEviiiT16_PT17_ilS6_ilS4_S6_ilPT18_ili26rocblas_geam_ex_operation_,"axG",@progbits,_ZN12_GLOBAL__N_120geam_min_plus_kernelIf15HIP_vector_typeIfLj2EEfLi32ELi8ELi128ELi128ELi4ELi4ELi64ELi4ELi64ELc84ELc78ELb0ELb0ELb1EfKffEEviiiT16_PT17_ilS6_ilS4_S6_ilPT18_ili26rocblas_geam_ex_operation_,comdat
.Lfunc_end62:
	.size	_ZN12_GLOBAL__N_120geam_min_plus_kernelIf15HIP_vector_typeIfLj2EEfLi32ELi8ELi128ELi128ELi4ELi4ELi64ELi4ELi64ELc84ELc78ELb0ELb0ELb1EfKffEEviiiT16_PT17_ilS6_ilS4_S6_ilPT18_ili26rocblas_geam_ex_operation_, .Lfunc_end62-_ZN12_GLOBAL__N_120geam_min_plus_kernelIf15HIP_vector_typeIfLj2EEfLi32ELi8ELi128ELi128ELi4ELi4ELi64ELi4ELi64ELc84ELc78ELb0ELb0ELb1EfKffEEviiiT16_PT17_ilS6_ilS4_S6_ilPT18_ili26rocblas_geam_ex_operation_
                                        ; -- End function
	.section	.AMDGPU.csdata,"",@progbits
; Kernel info:
; codeLenInByte = 18212
; NumSgprs: 26
; NumVgprs: 210
; ScratchSize: 0
; MemoryBound: 0
; FloatMode: 240
; IeeeMode: 1
; LDSByteSize: 8192 bytes/workgroup (compile time only)
; SGPRBlocks: 3
; VGPRBlocks: 26
; NumSGPRsForWavesPerEU: 26
; NumVGPRsForWavesPerEU: 210
; Occupancy: 7
; WaveLimiterHint : 0
; COMPUTE_PGM_RSRC2:SCRATCH_EN: 0
; COMPUTE_PGM_RSRC2:USER_SGPR: 14
; COMPUTE_PGM_RSRC2:TRAP_HANDLER: 0
; COMPUTE_PGM_RSRC2:TGID_X_EN: 1
; COMPUTE_PGM_RSRC2:TGID_Y_EN: 0
; COMPUTE_PGM_RSRC2:TGID_Z_EN: 1
; COMPUTE_PGM_RSRC2:TIDIG_COMP_CNT: 1
	.section	.text._ZN12_GLOBAL__N_120geam_min_plus_kernelIf15HIP_vector_typeIfLj2EEfLi32ELi8ELi128ELi128ELi4ELi4ELi64ELi4ELi64ELc84ELc78ELb0ELb1ELb1EPKfS3_fEEviiiT16_PT17_ilS7_ilS5_S7_ilPT18_ili26rocblas_geam_ex_operation_,"axG",@progbits,_ZN12_GLOBAL__N_120geam_min_plus_kernelIf15HIP_vector_typeIfLj2EEfLi32ELi8ELi128ELi128ELi4ELi4ELi64ELi4ELi64ELc84ELc78ELb0ELb1ELb1EPKfS3_fEEviiiT16_PT17_ilS7_ilS5_S7_ilPT18_ili26rocblas_geam_ex_operation_,comdat
	.globl	_ZN12_GLOBAL__N_120geam_min_plus_kernelIf15HIP_vector_typeIfLj2EEfLi32ELi8ELi128ELi128ELi4ELi4ELi64ELi4ELi64ELc84ELc78ELb0ELb1ELb1EPKfS3_fEEviiiT16_PT17_ilS7_ilS5_S7_ilPT18_ili26rocblas_geam_ex_operation_ ; -- Begin function _ZN12_GLOBAL__N_120geam_min_plus_kernelIf15HIP_vector_typeIfLj2EEfLi32ELi8ELi128ELi128ELi4ELi4ELi64ELi4ELi64ELc84ELc78ELb0ELb1ELb1EPKfS3_fEEviiiT16_PT17_ilS7_ilS5_S7_ilPT18_ili26rocblas_geam_ex_operation_
	.p2align	8
	.type	_ZN12_GLOBAL__N_120geam_min_plus_kernelIf15HIP_vector_typeIfLj2EEfLi32ELi8ELi128ELi128ELi4ELi4ELi64ELi4ELi64ELc84ELc78ELb0ELb1ELb1EPKfS3_fEEviiiT16_PT17_ilS7_ilS5_S7_ilPT18_ili26rocblas_geam_ex_operation_,@function
_ZN12_GLOBAL__N_120geam_min_plus_kernelIf15HIP_vector_typeIfLj2EEfLi32ELi8ELi128ELi128ELi4ELi4ELi64ELi4ELi64ELc84ELc78ELb0ELb1ELb1EPKfS3_fEEviiiT16_PT17_ilS7_ilS5_S7_ilPT18_ili26rocblas_geam_ex_operation_: ; @_ZN12_GLOBAL__N_120geam_min_plus_kernelIf15HIP_vector_typeIfLj2EEfLi32ELi8ELi128ELi128ELi4ELi4ELi64ELi4ELi64ELc84ELc78ELb0ELb1ELb1EPKfS3_fEEviiiT16_PT17_ilS7_ilS5_S7_ilPT18_ili26rocblas_geam_ex_operation_
; %bb.0:
	s_clause 0x1
	s_load_b128 s[16:19], s[0:1], 0x10
	s_load_b128 s[4:7], s[0:1], 0x28
	s_mov_b32 s20, s15
	s_mov_b32 s21, 0
	s_mov_b64 s[22:23], 0
	s_lshl_b64 s[12:13], s[20:21], 2
	s_mov_b64 s[24:25], 0
	s_waitcnt lgkmcnt(0)
	s_add_u32 s2, s16, s12
	s_addc_u32 s3, s17, s13
	s_load_b32 s21, s[2:3], 0x0
	s_clause 0x1
	s_load_b128 s[8:11], s[0:1], 0x40
	s_load_b64 s[2:3], s[0:1], 0x50
	s_waitcnt lgkmcnt(0)
	v_cmp_eq_f32_e64 s15, s21, 0
	s_add_u32 s10, s10, s12
	v_cmp_neq_f32_e64 s12, s21, 0
	s_addc_u32 s11, s11, s13
	s_delay_alu instid0(VALU_DEP_2)
	s_and_b32 vcc_lo, exec_lo, s15
	s_cbranch_vccnz .LBB63_2
; %bb.1:
	s_mul_i32 s5, s20, s5
	s_mul_hi_u32 s13, s20, s4
	s_mul_i32 s4, s20, s4
	s_add_i32 s5, s13, s5
	s_delay_alu instid0(SALU_CYCLE_1) | instskip(NEXT) | instid1(SALU_CYCLE_1)
	s_lshl_b64 s[4:5], s[4:5], 2
	s_add_u32 s24, s18, s4
	s_addc_u32 s25, s19, s5
.LBB63_2:
	s_load_b32 s15, s[10:11], 0x0
	s_and_not1_b32 vcc_lo, exec_lo, s12
	s_cbranch_vccnz .LBB63_4
; %bb.3:
	s_mul_i32 s4, s20, s9
	s_mul_hi_u32 s5, s20, s8
	s_delay_alu instid0(SALU_CYCLE_1) | instskip(SKIP_1) | instid1(SALU_CYCLE_1)
	s_add_i32 s5, s5, s4
	s_mul_i32 s4, s20, s8
	s_lshl_b64 s[4:5], s[4:5], 2
	s_delay_alu instid0(SALU_CYCLE_1)
	s_add_u32 s22, s6, s4
	s_addc_u32 s23, s7, s5
.LBB63_4:
	s_load_b128 s[16:19], s[0:1], 0x60
	s_waitcnt lgkmcnt(0)
	v_cmp_eq_f32_e64 s4, s15, 0
	v_cmp_neq_f32_e64 s7, s15, 0
	s_delay_alu instid0(VALU_DEP_2)
	s_and_b32 vcc_lo, exec_lo, s4
	s_cbranch_vccnz .LBB63_6
; %bb.5:
	s_mul_i32 s4, s20, s17
	s_mul_hi_u32 s5, s20, s16
	s_delay_alu instid0(SALU_CYCLE_1) | instskip(SKIP_1) | instid1(SALU_CYCLE_1)
	s_add_i32 s5, s5, s4
	s_mul_i32 s4, s20, s16
	s_lshl_b64 s[4:5], s[4:5], 2
	s_delay_alu instid0(SALU_CYCLE_1)
	s_add_u32 s12, s2, s4
	s_addc_u32 s13, s3, s5
	s_branch .LBB63_7
.LBB63_6:
	s_mov_b64 s[12:13], 0
.LBB63_7:
	s_clause 0x1
	s_load_b128 s[8:11], s[0:1], 0x0
	s_load_b32 s26, s[0:1], 0x20
	v_and_b32_e32 v106, 0x3ff, v0
	v_bfe_u32 v107, v0, 10, 10
	v_cmp_eq_f32_e64 s17, s21, 0
	s_delay_alu instid0(VALU_DEP_3) | instskip(SKIP_2) | instid1(SALU_CYCLE_1)
	v_and_b32_e32 v114, 3, v106
	s_waitcnt lgkmcnt(0)
	s_add_i32 s2, s8, -1
	s_ashr_i32 s3, s2, 31
	s_delay_alu instid0(SALU_CYCLE_1) | instskip(NEXT) | instid1(SALU_CYCLE_1)
	s_lshr_b32 s3, s3, 25
	s_add_i32 s2, s2, s3
	s_delay_alu instid0(SALU_CYCLE_1) | instskip(NEXT) | instid1(SALU_CYCLE_1)
	s_ashr_i32 s2, s2, 7
	s_add_i32 s3, s2, 1
	s_not_b32 s2, s2
	v_cvt_f32_u32_e32 v1, s3
	s_delay_alu instid0(VALU_DEP_1) | instskip(SKIP_2) | instid1(VALU_DEP_1)
	v_rcp_iflag_f32_e32 v1, v1
	s_waitcnt_depctr 0xfff
	v_mul_f32_e32 v1, 0x4f7ffffe, v1
	v_cvt_u32_f32_e32 v1, v1
	s_delay_alu instid0(VALU_DEP_1) | instskip(SKIP_1) | instid1(VALU_DEP_2)
	v_readfirstlane_b32 s4, v1
	v_lshl_add_u32 v1, v107, 5, v106
	s_mul_i32 s2, s2, s4
	s_delay_alu instid0(VALU_DEP_1) | instskip(SKIP_1) | instid1(SALU_CYCLE_1)
	v_lshrrev_b32_e32 v2, 2, v1
	s_mul_hi_u32 s2, s4, s2
	s_add_i32 s4, s4, s2
	s_delay_alu instid0(SALU_CYCLE_1) | instskip(NEXT) | instid1(SALU_CYCLE_1)
	s_mul_hi_u32 s2, s14, s4
	s_mul_i32 s4, s2, s3
	s_add_i32 s5, s2, 1
	s_sub_i32 s4, s14, s4
	s_delay_alu instid0(SALU_CYCLE_1)
	s_sub_i32 s6, s4, s3
	s_cmp_ge_u32 s4, s3
	s_cselect_b32 s2, s5, s2
	s_cselect_b32 s4, s6, s4
	s_add_i32 s5, s2, 1
	s_cmp_ge_u32 s4, s3
	s_cselect_b32 s4, s5, s2
	s_add_i32 s16, s10, -1
	s_mul_i32 s2, s4, s3
	v_min_i32_e32 v0, s16, v114
	s_sub_i32 s2, s14, s2
	v_cmp_le_i32_e64 s5, s10, v114
	s_lshl_b32 s11, s2, 7
	s_delay_alu instid0(VALU_DEP_2) | instskip(SKIP_1) | instid1(VALU_DEP_2)
	v_ashrrev_i32_e32 v1, 31, v0
	v_add_nc_u32_e32 v80, s11, v2
	v_lshlrev_b64 v[0:1], 2, v[0:1]
	s_delay_alu instid0(VALU_DEP_2) | instskip(NEXT) | instid1(VALU_DEP_2)
	v_cmp_le_i32_e32 vcc_lo, s8, v80
	v_add_co_u32 v5, s2, s24, v0
	s_delay_alu instid0(VALU_DEP_1) | instskip(SKIP_1) | instid1(SALU_CYCLE_1)
	v_add_co_ci_u32_e64 v6, s2, s25, v1, s2
	s_or_b32 s2, s5, vcc_lo
	v_cndmask_b32_e64 v3, 0, 0x7f7fffff, s2
	s_or_b32 s2, s17, s2
	s_delay_alu instid0(SALU_CYCLE_1) | instskip(NEXT) | instid1(SALU_CYCLE_1)
	s_xor_b32 s2, s2, -1
	s_and_saveexec_b32 s3, s2
	s_cbranch_execz .LBB63_9
; %bb.8:
	v_mad_i64_i32 v[3:4], null, v80, s26, 0
	s_delay_alu instid0(VALU_DEP_1) | instskip(NEXT) | instid1(VALU_DEP_1)
	v_lshlrev_b64 v[3:4], 2, v[3:4]
	v_add_co_u32 v3, s2, v5, v3
	s_delay_alu instid0(VALU_DEP_1)
	v_add_co_ci_u32_e64 v4, s2, v6, v4, s2
	flat_load_b32 v3, v[3:4]
	s_waitcnt vmcnt(0) lgkmcnt(0)
	v_mul_f32_e32 v3, s21, v3
.LBB63_9:
	s_or_b32 exec_lo, exec_lo, s3
	v_add_nc_u32_e32 v81, 64, v80
	s_delay_alu instid0(VALU_DEP_1) | instskip(NEXT) | instid1(VALU_DEP_1)
	v_cmp_le_i32_e64 s2, s8, v81
	s_or_b32 s3, s5, s2
	s_delay_alu instid0(SALU_CYCLE_1) | instskip(SKIP_1) | instid1(SALU_CYCLE_1)
	v_cndmask_b32_e64 v4, 0, 0x7f7fffff, s3
	s_or_b32 s3, s17, s3
	s_xor_b32 s3, s3, -1
	s_delay_alu instid0(SALU_CYCLE_1)
	s_and_saveexec_b32 s6, s3
	s_cbranch_execz .LBB63_11
; %bb.10:
	v_mad_i64_i32 v[7:8], null, v81, s26, 0
	s_delay_alu instid0(VALU_DEP_1) | instskip(NEXT) | instid1(VALU_DEP_1)
	v_lshlrev_b64 v[7:8], 2, v[7:8]
	v_add_co_u32 v4, s3, v5, v7
	s_delay_alu instid0(VALU_DEP_1)
	v_add_co_ci_u32_e64 v5, s3, v6, v8, s3
	flat_load_b32 v4, v[4:5]
	s_waitcnt vmcnt(0) lgkmcnt(0)
	v_mul_f32_e32 v4, s21, v4
.LBB63_11:
	s_or_b32 exec_lo, exec_lo, s6
	s_load_b32 s27, s[0:1], 0x38
	s_lshl_b32 s14, s4, 7
	v_add_co_u32 v0, s4, s22, v0
	v_add_nc_u32_e32 v82, s14, v2
	v_add_co_ci_u32_e64 v1, s4, s23, v1, s4
	s_delay_alu instid0(VALU_DEP_2) | instskip(NEXT) | instid1(VALU_DEP_1)
	v_cmp_le_i32_e64 s3, s9, v82
	s_or_b32 s4, s5, s3
	s_delay_alu instid0(SALU_CYCLE_1) | instskip(SKIP_1) | instid1(SALU_CYCLE_1)
	v_cndmask_b32_e64 v5, 0, 0x7f7fffff, s4
	s_or_b32 s4, s17, s4
	s_xor_b32 s4, s4, -1
	s_delay_alu instid0(SALU_CYCLE_1)
	s_and_saveexec_b32 s6, s4
	s_cbranch_execz .LBB63_13
; %bb.12:
	s_waitcnt lgkmcnt(0)
	v_mad_i64_i32 v[5:6], null, v82, s27, 0
	s_delay_alu instid0(VALU_DEP_1) | instskip(NEXT) | instid1(VALU_DEP_1)
	v_lshlrev_b64 v[5:6], 2, v[5:6]
	v_add_co_u32 v5, s4, v0, v5
	s_delay_alu instid0(VALU_DEP_1)
	v_add_co_ci_u32_e64 v6, s4, v1, v6, s4
	flat_load_b32 v5, v[5:6]
	s_waitcnt vmcnt(0) lgkmcnt(0)
	v_mul_f32_e32 v5, s21, v5
.LBB63_13:
	s_or_b32 exec_lo, exec_lo, s6
	v_add_nc_u32_e32 v83, 64, v82
	s_delay_alu instid0(VALU_DEP_1) | instskip(NEXT) | instid1(VALU_DEP_1)
	v_cmp_le_i32_e64 s4, s9, v83
	s_or_b32 s5, s5, s4
	s_delay_alu instid0(SALU_CYCLE_1) | instskip(SKIP_1) | instid1(SALU_CYCLE_1)
	v_cndmask_b32_e64 v6, 0, 0x7f7fffff, s5
	s_or_b32 s5, s17, s5
	s_xor_b32 s5, s5, -1
	s_delay_alu instid0(SALU_CYCLE_1)
	s_and_saveexec_b32 s6, s5
	s_cbranch_execz .LBB63_15
; %bb.14:
	s_waitcnt lgkmcnt(0)
	v_mad_i64_i32 v[6:7], null, v83, s27, 0
	s_delay_alu instid0(VALU_DEP_1) | instskip(NEXT) | instid1(VALU_DEP_1)
	v_lshlrev_b64 v[6:7], 2, v[6:7]
	v_add_co_u32 v0, s5, v0, v6
	s_delay_alu instid0(VALU_DEP_1)
	v_add_co_ci_u32_e64 v1, s5, v1, v7, s5
	flat_load_b32 v0, v[0:1]
	s_waitcnt vmcnt(0) lgkmcnt(0)
	v_mul_f32_e32 v6, s21, v0
.LBB63_15:
	s_or_b32 exec_lo, exec_lo, s6
	v_or_b32_e32 v7, 4, v114
	s_delay_alu instid0(VALU_DEP_1) | instskip(SKIP_1) | instid1(VALU_DEP_2)
	v_min_i32_e32 v0, s16, v7
	v_cmp_le_i32_e64 s5, s10, v7
	v_ashrrev_i32_e32 v1, 31, v0
	s_delay_alu instid0(VALU_DEP_1) | instskip(NEXT) | instid1(VALU_DEP_1)
	v_lshlrev_b64 v[0:1], 2, v[0:1]
	v_add_co_u32 v7, s6, s24, v0
	s_delay_alu instid0(VALU_DEP_1) | instskip(SKIP_1) | instid1(SALU_CYCLE_1)
	v_add_co_ci_u32_e64 v8, s6, s25, v1, s6
	s_or_b32 s6, s5, vcc_lo
	v_cndmask_b32_e64 v84, 0, 0x7f7fffff, s6
	s_or_b32 s6, s17, s6
	s_delay_alu instid0(SALU_CYCLE_1) | instskip(NEXT) | instid1(SALU_CYCLE_1)
	s_xor_b32 s6, s6, -1
	s_and_saveexec_b32 s28, s6
	s_cbranch_execz .LBB63_17
; %bb.16:
	v_mad_i64_i32 v[9:10], null, v80, s26, 0
	s_delay_alu instid0(VALU_DEP_1) | instskip(NEXT) | instid1(VALU_DEP_1)
	v_lshlrev_b64 v[9:10], 2, v[9:10]
	v_add_co_u32 v9, s6, v7, v9
	s_delay_alu instid0(VALU_DEP_1)
	v_add_co_ci_u32_e64 v10, s6, v8, v10, s6
	flat_load_b32 v9, v[9:10]
	s_waitcnt vmcnt(0) lgkmcnt(0)
	v_mul_f32_e32 v84, s21, v9
.LBB63_17:
	s_or_b32 exec_lo, exec_lo, s28
	s_or_b32 s6, s5, s2
	s_delay_alu instid0(SALU_CYCLE_1) | instskip(SKIP_1) | instid1(SALU_CYCLE_1)
	v_cndmask_b32_e64 v85, 0, 0x7f7fffff, s6
	s_or_b32 s6, s17, s6
	s_xor_b32 s6, s6, -1
	s_delay_alu instid0(SALU_CYCLE_1)
	s_and_saveexec_b32 s28, s6
	s_cbranch_execz .LBB63_19
; %bb.18:
	v_mad_i64_i32 v[9:10], null, v81, s26, 0
	s_delay_alu instid0(VALU_DEP_1) | instskip(NEXT) | instid1(VALU_DEP_1)
	v_lshlrev_b64 v[9:10], 2, v[9:10]
	v_add_co_u32 v7, s6, v7, v9
	s_delay_alu instid0(VALU_DEP_1)
	v_add_co_ci_u32_e64 v8, s6, v8, v10, s6
	flat_load_b32 v7, v[7:8]
	s_waitcnt vmcnt(0) lgkmcnt(0)
	v_mul_f32_e32 v85, s21, v7
.LBB63_19:
	s_or_b32 exec_lo, exec_lo, s28
	v_add_co_u32 v0, s6, s22, v0
	s_delay_alu instid0(VALU_DEP_1) | instskip(SKIP_1) | instid1(SALU_CYCLE_1)
	v_add_co_ci_u32_e64 v1, s6, s23, v1, s6
	s_or_b32 s6, s5, s3
	v_cndmask_b32_e64 v86, 0, 0x7f7fffff, s6
	s_or_b32 s6, s17, s6
	s_delay_alu instid0(SALU_CYCLE_1) | instskip(NEXT) | instid1(SALU_CYCLE_1)
	s_xor_b32 s6, s6, -1
	s_and_saveexec_b32 s28, s6
	s_cbranch_execz .LBB63_21
; %bb.20:
	s_waitcnt lgkmcnt(0)
	v_mad_i64_i32 v[7:8], null, v82, s27, 0
	s_delay_alu instid0(VALU_DEP_1) | instskip(NEXT) | instid1(VALU_DEP_1)
	v_lshlrev_b64 v[7:8], 2, v[7:8]
	v_add_co_u32 v7, s6, v0, v7
	s_delay_alu instid0(VALU_DEP_1)
	v_add_co_ci_u32_e64 v8, s6, v1, v8, s6
	flat_load_b32 v7, v[7:8]
	s_waitcnt vmcnt(0) lgkmcnt(0)
	v_mul_f32_e32 v86, s21, v7
.LBB63_21:
	s_or_b32 exec_lo, exec_lo, s28
	s_or_b32 s5, s5, s4
	s_delay_alu instid0(SALU_CYCLE_1) | instskip(SKIP_1) | instid1(SALU_CYCLE_1)
	v_cndmask_b32_e64 v87, 0, 0x7f7fffff, s5
	s_or_b32 s5, s17, s5
	s_xor_b32 s5, s5, -1
	s_delay_alu instid0(SALU_CYCLE_1)
	s_and_saveexec_b32 s6, s5
	s_cbranch_execz .LBB63_23
; %bb.22:
	s_waitcnt lgkmcnt(0)
	v_mad_i64_i32 v[7:8], null, v83, s27, 0
	s_delay_alu instid0(VALU_DEP_1) | instskip(NEXT) | instid1(VALU_DEP_1)
	v_lshlrev_b64 v[7:8], 2, v[7:8]
	v_add_co_u32 v0, s5, v0, v7
	s_delay_alu instid0(VALU_DEP_1)
	v_add_co_ci_u32_e64 v1, s5, v1, v8, s5
	flat_load_b32 v0, v[0:1]
	s_waitcnt vmcnt(0) lgkmcnt(0)
	v_mul_f32_e32 v87, s21, v0
.LBB63_23:
	s_or_b32 exec_lo, exec_lo, s6
	v_lshlrev_b32_e32 v0, 2, v114
	v_lshlrev_b32_e32 v119, 4, v106
	s_cmp_lt_i32 s10, 9
	s_delay_alu instid0(VALU_DEP_2)
	v_lshl_or_b32 v125, v2, 4, v0
	ds_store_2addr_stride64_b32 v125, v3, v4 offset1:4
	ds_store_2addr_stride64_b32 v125, v5, v6 offset0:16 offset1:20
	s_waitcnt lgkmcnt(0)
	s_barrier
	buffer_gl0_inv
	ds_load_b128 v[16:19], v119
	ds_load_b128 v[12:15], v119 offset:512
	ds_load_b128 v[8:11], v119 offset:1024
	ds_load_b128 v[0:3], v119 offset:1536
	v_lshlrev_b32_e32 v117, 4, v107
	ds_load_b128 v[76:79], v117 offset:4096
	ds_load_b128 v[72:75], v117 offset:4224
	;; [unrolled: 1-line block ×16, first 2 shown]
	ds_store_2addr_stride64_b32 v125, v84, v85 offset0:8 offset1:12
	ds_store_2addr_stride64_b32 v125, v86, v87 offset0:24 offset1:28
	s_waitcnt lgkmcnt(0)
	s_barrier
	buffer_gl0_inv
	v_dual_add_f32 v88, v17, v77 :: v_dual_add_f32 v89, v16, v76
	s_delay_alu instid0(VALU_DEP_1) | instskip(SKIP_2) | instid1(VALU_DEP_2)
	v_min3_f32 v120, v89, v88, 0x7f7fffff
	v_dual_add_f32 v88, v13, v77 :: v_dual_add_f32 v89, v12, v76
	v_add_f32_e32 v124, v8, v20
	v_min3_f32 v121, v89, v88, 0x7f7fffff
	v_dual_add_f32 v88, v9, v77 :: v_dual_add_f32 v89, v8, v76
	v_dual_add_f32 v77, v1, v77 :: v_dual_add_f32 v76, v0, v76
	s_delay_alu instid0(VALU_DEP_1) | instskip(SKIP_1) | instid1(VALU_DEP_4)
	v_min3_f32 v123, v76, v77, 0x7f7fffff
	v_dual_add_f32 v76, v17, v73 :: v_dual_add_f32 v77, v16, v72
	v_min3_f32 v122, v89, v88, 0x7f7fffff
	s_delay_alu instid0(VALU_DEP_2) | instskip(SKIP_1) | instid1(VALU_DEP_1)
	v_min3_f32 v118, v77, v76, 0x7f7fffff
	v_dual_add_f32 v76, v13, v73 :: v_dual_add_f32 v77, v12, v72
	v_min3_f32 v116, v77, v76, 0x7f7fffff
	v_dual_add_f32 v76, v9, v73 :: v_dual_add_f32 v77, v8, v72
	v_dual_add_f32 v73, v1, v73 :: v_dual_add_f32 v72, v0, v72
	s_delay_alu instid0(VALU_DEP_1) | instskip(SKIP_1) | instid1(VALU_DEP_4)
	v_min3_f32 v113, v72, v73, 0x7f7fffff
	v_dual_add_f32 v72, v17, v69 :: v_dual_add_f32 v73, v16, v68
	v_min3_f32 v115, v77, v76, 0x7f7fffff
	s_delay_alu instid0(VALU_DEP_2) | instskip(SKIP_1) | instid1(VALU_DEP_1)
	v_min3_f32 v112, v73, v72, 0x7f7fffff
	v_dual_add_f32 v72, v13, v69 :: v_dual_add_f32 v73, v12, v68
	;; [unrolled: 10-line block ×13, first 2 shown]
	v_min3_f32 v33, v29, v28, 0x7f7fffff
	v_dual_add_f32 v28, v9, v25 :: v_dual_add_f32 v29, v8, v24
	v_dual_add_f32 v25, v1, v25 :: v_dual_add_f32 v24, v0, v24
	v_add_f32_e32 v8, v8, v4
	s_delay_alu instid0(VALU_DEP_3) | instskip(NEXT) | instid1(VALU_DEP_3)
	v_min3_f32 v32, v29, v28, 0x7f7fffff
	v_min3_f32 v29, v24, v25, 0x7f7fffff
	v_dual_add_f32 v24, v17, v21 :: v_dual_add_f32 v25, v16, v20
	v_dual_add_f32 v16, v16, v4 :: v_dual_add_f32 v17, v17, v5
	s_delay_alu instid0(VALU_DEP_2)
	v_min3_f32 v28, v25, v24, 0x7f7fffff
	v_add_f32_e32 v24, v13, v21
	v_add_f32_e32 v13, v13, v5
	;; [unrolled: 1-line block ×7, first 2 shown]
	v_min3_f32 v25, v25, v24, 0x7f7fffff
	v_add_f32_e32 v24, v9, v21
	v_add_f32_e32 v21, v1, v21
	;; [unrolled: 1-line block ×3, first 2 shown]
	v_min3_f32 v16, v16, v17, 0x7f7fffff
	v_add_f32_e32 v9, v9, v5
	v_min3_f32 v24, v124, v24, 0x7f7fffff
	v_min3_f32 v20, v20, v21, 0x7f7fffff
	;; [unrolled: 1-line block ×3, first 2 shown]
	v_add_f32_e32 v1, v19, v79
	v_min3_f32 v12, v12, v13, 0x7f7fffff
	v_min3_f32 v8, v8, v9, 0x7f7fffff
	s_delay_alu instid0(VALU_DEP_3) | instskip(SKIP_1) | instid1(VALU_DEP_1)
	v_min3_f32 v159, v4, v1, v120
	v_dual_add_f32 v1, v15, v79 :: v_dual_add_f32 v4, v14, v78
	v_min3_f32 v158, v4, v1, v121
	v_dual_add_f32 v1, v11, v79 :: v_dual_add_f32 v4, v10, v78
	s_delay_alu instid0(VALU_DEP_1) | instskip(SKIP_1) | instid1(VALU_DEP_1)
	v_min3_f32 v157, v4, v1, v122
	v_dual_add_f32 v1, v3, v79 :: v_dual_add_f32 v4, v2, v78
	v_min3_f32 v156, v4, v1, v123
	v_dual_add_f32 v1, v19, v75 :: v_dual_add_f32 v4, v18, v74
	s_delay_alu instid0(VALU_DEP_1) | instskip(SKIP_1) | instid1(VALU_DEP_1)
	;; [unrolled: 5-line block ×28, first 2 shown]
	v_min3_f32 v96, v4, v1, v28
	v_dual_add_f32 v1, v15, v23 :: v_dual_add_f32 v4, v14, v22
	v_min3_f32 v95, v4, v1, v25
	v_dual_add_f32 v1, v11, v23 :: v_dual_add_f32 v4, v10, v22
	s_delay_alu instid0(VALU_DEP_1) | instskip(SKIP_2) | instid1(VALU_DEP_2)
	v_min3_f32 v94, v4, v1, v24
	v_dual_add_f32 v1, v3, v23 :: v_dual_add_f32 v4, v2, v22
	v_add_f32_e32 v2, v2, v6
	v_min3_f32 v93, v4, v1, v20
	v_dual_add_f32 v1, v19, v7 :: v_dual_add_f32 v4, v18, v6
	s_delay_alu instid0(VALU_DEP_1) | instskip(SKIP_1) | instid1(VALU_DEP_1)
	v_min3_f32 v92, v4, v1, v16
	v_dual_add_f32 v1, v15, v7 :: v_dual_add_f32 v4, v14, v6
	v_min3_f32 v91, v4, v1, v12
	v_dual_add_f32 v1, v11, v7 :: v_dual_add_f32 v4, v10, v6
	s_delay_alu instid0(VALU_DEP_1) | instskip(SKIP_1) | instid1(VALU_DEP_1)
	v_min3_f32 v90, v4, v1, v8
	v_add_f32_e32 v1, v3, v7
	v_min3_f32 v100, v2, v1, v0
	s_cbranch_scc1 .LBB63_42
; %bb.24:
	v_mad_i64_i32 v[0:1], null, v80, s26, 0
	v_mad_i64_i32 v[2:3], null, v81, s26, 0
	v_mad_i64_i32 v[4:5], null, v82, s27, 0
	v_mad_i64_i32 v[6:7], null, v83, s27, 0
	s_delay_alu instid0(VALU_DEP_4)
	v_lshlrev_b64 v[80:81], 2, v[0:1]
	v_add_nc_u32_e32 v160, 0x1000, v125
	v_lshlrev_b64 v[82:83], 2, v[2:3]
	v_add_nc_u32_e32 v161, 0x1000, v117
	;; [unrolled: 2-line block ×4, first 2 shown]
	v_lshl_add_u32 v164, v106, 4, 0x800
	v_lshl_add_u32 v165, v107, 4, 0x1800
	s_add_i32 s26, s10, -8
	s_mov_b32 s27, 0
	s_branch .LBB63_26
.LBB63_25:                              ;   in Loop: Header=BB63_26 Depth=1
	s_or_b32 exec_lo, exec_lo, s6
	ds_load_b128 v[72:75], v161
	ds_load_b128 v[76:79], v119
	ds_load_b128 v[89:92], v119 offset:512
	ds_load_b128 v[168:171], v119 offset:1024
	ds_load_b128 v[172:175], v119 offset:1536
	ds_load_b128 v[93:96], v161 offset:128
	ds_load_b128 v[97:100], v161 offset:256
	ds_load_b128 v[101:104], v161 offset:384
	ds_load_b128 v[108:111], v161 offset:512
	ds_load_b128 v[120:123], v161 offset:640
	ds_load_b128 v[126:129], v161 offset:768
	ds_load_b128 v[176:179], v161 offset:896
	ds_load_b128 v[180:183], v161 offset:1024
	ds_load_b128 v[184:187], v161 offset:1152
	ds_load_b128 v[188:191], v161 offset:1280
	ds_load_b128 v[192:195], v161 offset:1408
	ds_load_b128 v[196:199], v161 offset:1536
	ds_load_b128 v[200:203], v161 offset:1664
	ds_load_b128 v[204:207], v161 offset:1792
	ds_load_b128 v[208:211], v161 offset:1920
	s_add_i32 s27, s27, 8
	ds_store_2addr_stride64_b32 v162, v166, v167 offset1:4
	ds_store_2addr_stride64_b32 v163, v88, v0 offset1:4
	s_waitcnt lgkmcnt(20)
	v_dual_add_f32 v11, v77, v73 :: v_dual_add_f32 v14, v76, v72
	s_waitcnt lgkmcnt(19)
	v_dual_add_f32 v15, v90, v73 :: v_dual_add_f32 v18, v89, v72
	;; [unrolled: 2-line block ×3, first 2 shown]
	v_min3_f32 v11, v14, v11, v25
	s_waitcnt lgkmcnt(16)
	v_add_f32_e32 v23, v76, v93
	v_min3_f32 v14, v18, v15, v28
	v_add_f32_e32 v18, v173, v73
	v_min3_f32 v15, v22, v19, v29
	v_dual_add_f32 v19, v172, v72 :: v_dual_add_f32 v22, v77, v94
	v_dual_add_f32 v25, v90, v94 :: v_dual_add_f32 v28, v89, v93
	;; [unrolled: 1-line block ×3, first 2 shown]
	v_add_f32_e32 v73, v173, v94
	v_add_f32_e32 v93, v172, v93
	v_min3_f32 v1, v19, v18, v1
	v_min3_f32 v18, v23, v22, v32
	;; [unrolled: 1-line block ×4, first 2 shown]
	s_waitcnt lgkmcnt(15)
	v_dual_add_f32 v25, v77, v98 :: v_dual_add_f32 v36, v168, v97
	v_add_f32_e32 v28, v76, v97
	v_min3_f32 v23, v93, v73, v37
	v_dual_add_f32 v29, v90, v98 :: v_dual_add_f32 v32, v89, v97
	v_dual_add_f32 v33, v169, v98 :: v_dual_add_f32 v72, v172, v97
	v_add_f32_e32 v37, v173, v98
	s_waitcnt lgkmcnt(14)
	v_add_f32_e32 v73, v77, v102
	v_add_f32_e32 v93, v76, v101
	v_min3_f32 v4, v28, v25, v4
	v_min3_f32 v25, v32, v29, v40
	;; [unrolled: 1-line block ×3, first 2 shown]
	v_dual_add_f32 v33, v90, v102 :: v_dual_add_f32 v36, v89, v101
	v_add_f32_e32 v40, v168, v101
	v_min3_f32 v29, v72, v37, v44
	s_waitcnt lgkmcnt(13)
	v_dual_add_f32 v37, v169, v102 :: v_dual_add_f32 v72, v76, v108
	v_dual_add_f32 v41, v173, v102 :: v_dual_add_f32 v44, v172, v101
	v_min3_f32 v32, v93, v73, v45
	v_add_f32_e32 v45, v77, v109
	v_add_f32_e32 v73, v90, v109
	;; [unrolled: 1-line block ×3, first 2 shown]
	v_min3_f32 v5, v36, v33, v5
	v_min3_f32 v33, v40, v37, v48
	;; [unrolled: 1-line block ×3, first 2 shown]
	v_dual_add_f32 v41, v169, v109 :: v_dual_add_f32 v44, v168, v108
	v_add_f32_e32 v48, v172, v108
	v_min3_f32 v37, v72, v45, v52
	v_add_f32_e32 v45, v173, v109
	s_waitcnt lgkmcnt(12)
	v_dual_add_f32 v49, v77, v121 :: v_dual_add_f32 v52, v76, v120
	v_add_f32_e32 v72, v89, v120
	v_min3_f32 v8, v44, v41, v8
	v_min3_f32 v41, v48, v45, v56
	s_waitcnt lgkmcnt(11)
	v_add_f32_e32 v56, v76, v126
	v_min3_f32 v40, v93, v73, v53
	v_add_f32_e32 v53, v90, v121
	v_add_f32_e32 v73, v169, v121
	;; [unrolled: 1-line block ×3, first 2 shown]
	v_min3_f32 v44, v52, v49, v57
	v_add_f32_e32 v49, v173, v121
	v_min3_f32 v45, v72, v53, v58
	v_add_f32_e32 v52, v172, v120
	;; [unrolled: 2-line block ×3, first 2 shown]
	v_dual_add_f32 v59, v169, v127 :: v_dual_add_f32 v72, v168, v126
	s_delay_alu instid0(VALU_DEP_4) | instskip(SKIP_1) | instid1(VALU_DEP_4)
	v_min3_f32 v9, v52, v49, v9
	v_add_f32_e32 v57, v90, v127
	v_min3_f32 v49, v56, v53, v54
	v_add_f32_e32 v58, v89, v126
	v_min3_f32 v53, v72, v59, v60
	s_waitcnt lgkmcnt(10)
	v_dual_add_f32 v59, v169, v177 :: v_dual_add_f32 v60, v168, v176
	v_add_f32_e32 v73, v173, v127
	v_add_f32_e32 v93, v172, v126
	v_min3_f32 v52, v58, v57, v55
	v_add_f32_e32 v55, v77, v177
	v_min3_f32 v51, v60, v59, v51
	s_waitcnt lgkmcnt(9)
	v_dual_add_f32 v59, v169, v181 :: v_dual_add_f32 v60, v168, v180
	v_min3_f32 v54, v93, v73, v61
	v_dual_add_f32 v56, v76, v176 :: v_dual_add_f32 v61, v173, v177
	v_add_f32_e32 v72, v172, v176
	s_delay_alu instid0(VALU_DEP_4)
	v_min3_f32 v46, v60, v59, v46
	s_waitcnt lgkmcnt(8)
	v_dual_add_f32 v59, v169, v185 :: v_dual_add_f32 v60, v168, v184
	v_min3_f32 v12, v56, v55, v12
	v_dual_add_f32 v57, v90, v177 :: v_dual_add_f32 v58, v89, v176
	v_add_f32_e32 v73, v77, v181
	s_delay_alu instid0(VALU_DEP_4)
	v_min3_f32 v16, v60, v59, v16
	s_waitcnt lgkmcnt(7)
	v_add_f32_e32 v60, v172, v188
	v_min3_f32 v55, v72, v61, v62
	v_dual_add_f32 v61, v173, v181 :: v_dual_add_f32 v62, v172, v180
	v_add_f32_e32 v93, v76, v180
	v_dual_add_f32 v72, v76, v184 :: v_dual_add_f32 v59, v173, v189
	s_cmp_ge_i32 s27, s26
	s_delay_alu instid0(VALU_DEP_3) | instskip(SKIP_4) | instid1(VALU_DEP_4)
	v_min3_f32 v47, v62, v61, v47
	v_dual_add_f32 v61, v173, v185 :: v_dual_add_f32 v62, v172, v184
	v_min3_f32 v50, v58, v57, v50
	v_dual_add_f32 v57, v90, v181 :: v_dual_add_f32 v58, v89, v180
	v_min3_f32 v17, v60, v59, v17
	v_min3_f32 v38, v62, v61, v38
	s_waitcnt lgkmcnt(6)
	v_add_f32_e32 v62, v76, v192
	v_min3_f32 v56, v93, v73, v63
	v_add_f32_e32 v63, v77, v185
	v_min3_f32 v13, v58, v57, v13
	v_add_f32_e32 v73, v90, v185
	v_add_f32_e32 v93, v89, v184
	;; [unrolled: 1-line block ×3, first 2 shown]
	v_min3_f32 v57, v72, v63, v64
	v_dual_add_f32 v63, v77, v189 :: v_dual_add_f32 v64, v76, v188
	v_add_f32_e32 v72, v89, v188
	s_delay_alu instid0(VALU_DEP_4)
	v_min3_f32 v34, v62, v61, v34
	s_waitcnt lgkmcnt(5)
	v_dual_add_f32 v61, v77, v197 :: v_dual_add_f32 v62, v76, v196
	v_min3_f32 v39, v64, v63, v39
	v_dual_add_f32 v63, v90, v193 :: v_dual_add_f32 v64, v89, v192
	s_waitcnt lgkmcnt(0)
	s_delay_alu instid0(VALU_DEP_3)
	v_min3_f32 v20, v62, v61, v20
	s_barrier
	buffer_gl0_inv
	v_min3_f32 v35, v64, v63, v35
	v_dual_add_f32 v63, v90, v197 :: v_dual_add_f32 v64, v89, v196
	v_min3_f32 v58, v93, v73, v65
	v_add_f32_e32 v65, v90, v189
	v_add_f32_e32 v73, v169, v189
	;; [unrolled: 1-line block ×3, first 2 shown]
	v_min3_f32 v30, v64, v63, v30
	v_add_f32_e32 v64, v89, v200
	v_min3_f32 v42, v72, v65, v42
	v_dual_add_f32 v65, v169, v193 :: v_dual_add_f32 v72, v168, v192
	v_min3_f32 v43, v93, v73, v43
	v_add_f32_e32 v73, v173, v193
	v_add_f32_e32 v93, v172, v192
	;; [unrolled: 1-line block ×3, first 2 shown]
	v_min3_f32 v59, v72, v65, v66
	v_dual_add_f32 v65, v169, v197 :: v_dual_add_f32 v66, v168, v196
	v_add_f32_e32 v72, v172, v196
	s_delay_alu instid0(VALU_DEP_4) | instskip(NEXT) | instid1(VALU_DEP_3)
	v_min3_f32 v21, v64, v63, v21
	v_min3_f32 v31, v66, v65, v31
	v_dual_add_f32 v65, v169, v201 :: v_dual_add_f32 v66, v168, v200
	s_delay_alu instid0(VALU_DEP_1) | instskip(SKIP_1) | instid1(VALU_DEP_1)
	v_min3_f32 v26, v66, v65, v26
	v_dual_add_f32 v65, v169, v205 :: v_dual_add_f32 v66, v168, v204
	v_min3_f32 v24, v66, v65, v24
	v_dual_add_f32 v65, v173, v209 :: v_dual_add_f32 v66, v172, v208
	s_delay_alu instid0(VALU_DEP_1)
	v_min3_f32 v2, v66, v65, v2
	v_add_f32_e32 v66, v170, v95
	v_min3_f32 v60, v93, v73, v67
	v_add_f32_e32 v67, v173, v197
	v_add_f32_e32 v73, v77, v201
	;; [unrolled: 1-line block ×4, first 2 shown]
	s_delay_alu instid0(VALU_DEP_4) | instskip(SKIP_1) | instid1(VALU_DEP_4)
	v_min3_f32 v61, v72, v67, v68
	v_add_f32_e32 v67, v173, v201
	v_min3_f32 v62, v93, v73, v69
	v_dual_add_f32 v68, v172, v200 :: v_dual_add_f32 v69, v77, v205
	v_dual_add_f32 v72, v76, v204 :: v_dual_add_f32 v73, v90, v205
	v_add_f32_e32 v93, v89, v204
	v_min3_f32 v153, v66, v65, v22
	v_add_f32_e32 v22, v78, v103
	v_min3_f32 v27, v68, v67, v27
	v_min3_f32 v63, v72, v69, v70
	v_min3_f32 v64, v93, v73, v71
	v_dual_add_f32 v67, v173, v205 :: v_dual_add_f32 v68, v172, v204
	v_dual_add_f32 v69, v77, v209 :: v_dual_add_f32 v70, v76, v208
	;; [unrolled: 1-line block ×4, first 2 shown]
	s_delay_alu instid0(VALU_DEP_4) | instskip(NEXT) | instid1(VALU_DEP_4)
	v_min3_f32 v3, v68, v67, v3
	v_min3_f32 v6, v70, v69, v6
	s_delay_alu instid0(VALU_DEP_4)
	v_min3_f32 v7, v72, v71, v7
	v_add_f32_e32 v67, v79, v75
	v_min3_f32 v10, v76, v73, v10
	v_dual_add_f32 v68, v78, v74 :: v_dual_add_f32 v69, v92, v75
	v_add_f32_e32 v70, v91, v74
	v_dual_add_f32 v71, v171, v75 :: v_dual_add_f32 v72, v170, v74
	v_dual_add_f32 v73, v175, v75 :: v_dual_add_f32 v74, v174, v74
	s_delay_alu instid0(VALU_DEP_4) | instskip(NEXT) | instid1(VALU_DEP_4)
	v_min3_f32 v159, v68, v67, v11
	v_min3_f32 v158, v70, v69, v14
	s_delay_alu instid0(VALU_DEP_4)
	v_min3_f32 v157, v72, v71, v15
	v_add_f32_e32 v11, v78, v95
	v_min3_f32 v156, v74, v73, v1
	v_add_f32_e32 v1, v79, v96
	v_dual_add_f32 v14, v92, v96 :: v_dual_add_f32 v15, v91, v95
	v_dual_add_f32 v69, v79, v100 :: v_dual_add_f32 v70, v78, v99
	s_delay_alu instid0(VALU_DEP_3) | instskip(SKIP_1) | instid1(VALU_DEP_4)
	v_min3_f32 v155, v11, v1, v18
	v_add_f32_e32 v11, v171, v100
	v_min3_f32 v154, v15, v14, v19
	v_dual_add_f32 v14, v170, v99 :: v_dual_add_f32 v15, v175, v100
	v_dual_add_f32 v18, v174, v99 :: v_dual_add_f32 v19, v79, v104
	v_min3_f32 v151, v70, v69, v4
	s_delay_alu instid0(VALU_DEP_3) | instskip(SKIP_1) | instid1(VALU_DEP_4)
	v_min3_f32 v149, v14, v11, v28
	v_add_f32_e32 v14, v79, v111
	v_min3_f32 v148, v18, v15, v29
	v_min3_f32 v147, v22, v19, v32
	v_dual_add_f32 v15, v78, v110 :: v_dual_add_f32 v18, v92, v111
	v_add_f32_e32 v19, v91, v110
	v_dual_add_f32 v1, v92, v100 :: v_dual_add_f32 v4, v91, v99
	s_delay_alu instid0(VALU_DEP_3) | instskip(SKIP_1) | instid1(VALU_DEP_4)
	v_min3_f32 v143, v15, v14, v37
	v_add_f32_e32 v15, v171, v123
	v_min3_f32 v142, v19, v18, v40
	v_dual_add_f32 v18, v170, v122 :: v_dual_add_f32 v67, v175, v96
	v_add_f32_e32 v68, v174, v95
	v_add_f32_e32 v65, v91, v103
	;; [unrolled: 1-line block ×3, first 2 shown]
	s_delay_alu instid0(VALU_DEP_4)
	v_min3_f32 v137, v18, v15, v48
	v_add_f32_e32 v18, v79, v179
	v_min3_f32 v150, v4, v1, v25
	v_dual_add_f32 v1, v171, v104 :: v_dual_add_f32 v4, v170, v103
	v_add_f32_e32 v19, v175, v123
	v_dual_add_f32 v11, v174, v103 :: v_dual_add_f32 v14, v91, v122
	v_add_f32_e32 v15, v174, v128
	s_delay_alu instid0(VALU_DEP_4) | instskip(SKIP_1) | instid1(VALU_DEP_1)
	v_min3_f32 v145, v4, v1, v33
	v_dual_add_f32 v1, v175, v111 :: v_dual_add_f32 v4, v174, v110
	v_min3_f32 v140, v4, v1, v41
	v_dual_add_f32 v1, v79, v129 :: v_dual_add_f32 v4, v78, v128
	s_delay_alu instid0(VALU_DEP_1) | instskip(SKIP_1) | instid1(VALU_DEP_1)
	v_min3_f32 v135, v4, v1, v49
	v_dual_add_f32 v1, v92, v179 :: v_dual_add_f32 v4, v91, v178
	v_min3_f32 v130, v4, v1, v50
	v_dual_add_f32 v1, v171, v183 :: v_dual_add_f32 v4, v170, v182
	s_delay_alu instid0(VALU_DEP_1) | instskip(SKIP_4) | instid1(VALU_DEP_2)
	v_min3_f32 v124, v4, v1, v46
	v_add_f32_e32 v4, v174, v186
	v_min3_f32 v152, v68, v67, v23
	v_add_f32_e32 v23, v92, v104
	v_add_f32_e32 v1, v175, v187
	v_min3_f32 v146, v65, v23, v5
	v_add_f32_e32 v23, v170, v110
	v_add_f32_e32 v5, v175, v104
	s_delay_alu instid0(VALU_DEP_4) | instskip(SKIP_1) | instid1(VALU_DEP_4)
	v_min3_f32 v118, v4, v1, v38
	v_dual_add_f32 v1, v79, v195 :: v_dual_add_f32 v4, v78, v194
	v_min3_f32 v141, v23, v22, v8
	v_add_f32_e32 v22, v174, v122
	v_add_f32_e32 v8, v78, v122
	s_delay_alu instid0(VALU_DEP_4) | instskip(SKIP_1) | instid1(VALU_DEP_4)
	v_min3_f32 v111, v4, v1, v34
	v_add_f32_e32 v1, v92, v199
	v_min3_f32 v136, v22, v19, v9
	v_add_f32_e32 v19, v78, v178
	v_add_f32_e32 v9, v171, v129
	v_add_f32_e32 v4, v91, v198
	s_delay_alu instid0(VALU_DEP_3)
	v_min3_f32 v131, v19, v18, v12
	v_add_f32_e32 v18, v91, v182
	v_min3_f32 v144, v11, v5, v36
	v_add_f32_e32 v11, v92, v123
	v_add_f32_e32 v12, v79, v183
	;; [unrolled: 1-line block ×3, first 2 shown]
	v_min3_f32 v104, v4, v1, v30
	v_add_f32_e32 v1, v171, v203
	v_min3_f32 v138, v14, v11, v45
	v_add_f32_e32 v14, v175, v129
	v_min3_f32 v139, v8, v5, v44
	v_dual_add_f32 v5, v92, v129 :: v_dual_add_f32 v8, v91, v128
	v_add_f32_e32 v11, v170, v128
	s_delay_alu instid0(VALU_DEP_4) | instskip(SKIP_2) | instid1(VALU_DEP_2)
	v_min3_f32 v132, v15, v14, v54
	v_dual_add_f32 v14, v78, v182 :: v_dual_add_f32 v15, v92, v183
	v_add_f32_e32 v4, v170, v202
	v_min3_f32 v127, v14, v12, v56
	s_delay_alu instid0(VALU_DEP_3) | instskip(SKIP_4) | instid1(VALU_DEP_4)
	v_min3_f32 v126, v18, v15, v13
	v_dual_add_f32 v12, v92, v187 :: v_dual_add_f32 v13, v91, v186
	v_dual_add_f32 v14, v171, v187 :: v_dual_add_f32 v15, v170, v186
	v_min3_f32 v98, v4, v1, v26
	v_add_f32_e32 v1, v175, v207
	v_min3_f32 v121, v13, v12, v58
	v_add_f32_e32 v12, v171, v191
	v_min3_f32 v120, v15, v14, v16
	v_dual_add_f32 v13, v170, v190 :: v_dual_add_f32 v14, v175, v191
	v_add_f32_e32 v15, v174, v190
	v_min3_f32 v134, v8, v5, v52
	v_add_f32_e32 v5, v171, v179
	s_delay_alu instid0(VALU_DEP_4)
	v_min3_f32 v113, v13, v12, v43
	v_add_f32_e32 v12, v175, v195
	v_min3_f32 v112, v15, v14, v17
	v_dual_add_f32 v13, v174, v194 :: v_dual_add_f32 v14, v79, v199
	v_add_f32_e32 v15, v78, v198
	v_min3_f32 v133, v11, v9, v53
	v_dual_add_f32 v8, v170, v178 :: v_dual_add_f32 v9, v175, v179
	v_add_f32_e32 v11, v174, v178
	v_min3_f32 v108, v13, v12, v60
	v_min3_f32 v105, v15, v14, v20
	v_dual_add_f32 v12, v79, v203 :: v_dual_add_f32 v13, v78, v202
	v_dual_add_f32 v14, v92, v203 :: v_dual_add_f32 v15, v91, v202
	v_min3_f32 v129, v8, v5, v51
	v_dual_add_f32 v5, v175, v183 :: v_dual_add_f32 v8, v174, v182
	s_delay_alu instid0(VALU_DEP_4) | instskip(NEXT) | instid1(VALU_DEP_4)
	v_min3_f32 v101, v13, v12, v62
	v_min3_f32 v99, v15, v14, v21
	v_add_f32_e32 v14, v171, v207
	v_min3_f32 v128, v11, v9, v55
	v_add_f32_e32 v9, v79, v187
	v_dual_add_f32 v11, v78, v186 :: v_dual_add_f32 v12, v92, v207
	v_add_f32_e32 v13, v91, v206
	v_min3_f32 v123, v8, v5, v47
	v_dual_add_f32 v5, v79, v191 :: v_dual_add_f32 v8, v78, v190
	v_add_f32_e32 v15, v170, v206
	s_delay_alu instid0(VALU_DEP_4)
	v_min3_f32 v95, v13, v12, v64
	v_add_f32_e32 v12, v171, v211
	v_min3_f32 v122, v11, v9, v57
	v_add_f32_e32 v9, v92, v191
	v_add_f32_e32 v11, v91, v190
	v_min3_f32 v116, v8, v5, v39
	v_dual_add_f32 v5, v92, v195 :: v_dual_add_f32 v8, v91, v194
	v_min3_f32 v94, v15, v14, v24
	s_delay_alu instid0(VALU_DEP_4)
	v_min3_f32 v115, v11, v9, v42
	v_add_f32_e32 v9, v171, v195
	v_add_f32_e32 v11, v170, v194
	v_min3_f32 v110, v8, v5, v35
	v_dual_add_f32 v5, v171, v199 :: v_dual_add_f32 v8, v170, v198
	v_add_f32_e32 v4, v174, v206
	s_delay_alu instid0(VALU_DEP_4)
	v_min3_f32 v109, v11, v9, v59
	v_add_f32_e32 v9, v175, v199
	v_add_f32_e32 v11, v174, v198
	v_min3_f32 v103, v8, v5, v31
	v_dual_add_f32 v5, v175, v203 :: v_dual_add_f32 v8, v174, v202
	v_add_f32_e32 v13, v170, v210
	;; [unrolled: 7-line block ×3, first 2 shown]
	s_delay_alu instid0(VALU_DEP_4)
	v_min3_f32 v96, v11, v9, v63
	v_add_f32_e32 v9, v92, v211
	v_add_f32_e32 v11, v91, v210
	v_add_f32_e32 v15, v174, v210
	v_min3_f32 v93, v4, v1, v3
	v_min3_f32 v92, v8, v5, v6
	v_min3_f32 v90, v13, v12, v10
	v_min3_f32 v91, v11, v9, v7
	v_min3_f32 v100, v15, v14, v2
	s_cbranch_scc1 .LBB63_42
.LBB63_26:                              ; =>This Inner Loop Header: Depth=1
	v_add_nc_u32_e32 v16, s27, v114
	s_delay_alu instid0(VALU_DEP_1) | instskip(NEXT) | instid1(VALU_DEP_1)
	v_add_nc_u32_e32 v2, 8, v16
	v_min_i32_e32 v0, s16, v2
	v_cmp_le_i32_e64 s5, s10, v2
	s_delay_alu instid0(VALU_DEP_2) | instskip(NEXT) | instid1(VALU_DEP_1)
	v_ashrrev_i32_e32 v1, 31, v0
	v_lshlrev_b64 v[0:1], 2, v[0:1]
	s_delay_alu instid0(VALU_DEP_1) | instskip(NEXT) | instid1(VALU_DEP_1)
	v_add_co_u32 v2, s6, s24, v0
	v_add_co_ci_u32_e64 v3, s6, s25, v1, s6
	s_or_b32 s6, vcc_lo, s5
	s_delay_alu instid0(SALU_CYCLE_1) | instskip(SKIP_1) | instid1(SALU_CYCLE_1)
	v_cndmask_b32_e64 v166, 0, 0x7f7fffff, s6
	s_or_b32 s6, s17, s6
	s_xor_b32 s6, s6, -1
	s_delay_alu instid0(SALU_CYCLE_1)
	s_and_saveexec_b32 s28, s6
	s_cbranch_execz .LBB63_28
; %bb.27:                               ;   in Loop: Header=BB63_26 Depth=1
	v_add_co_u32 v4, s6, v2, v80
	s_delay_alu instid0(VALU_DEP_1)
	v_add_co_ci_u32_e64 v5, s6, v3, v81, s6
	flat_load_b32 v4, v[4:5]
	s_waitcnt vmcnt(0) lgkmcnt(0)
	v_mul_f32_e32 v166, s21, v4
.LBB63_28:                              ;   in Loop: Header=BB63_26 Depth=1
	s_or_b32 exec_lo, exec_lo, s28
	s_or_b32 s6, s2, s5
	s_delay_alu instid0(SALU_CYCLE_1) | instskip(SKIP_1) | instid1(SALU_CYCLE_1)
	v_cndmask_b32_e64 v167, 0, 0x7f7fffff, s6
	s_or_b32 s6, s17, s6
	s_xor_b32 s6, s6, -1
	s_delay_alu instid0(SALU_CYCLE_1)
	s_and_saveexec_b32 s28, s6
	s_cbranch_execz .LBB63_30
; %bb.29:                               ;   in Loop: Header=BB63_26 Depth=1
	v_add_co_u32 v2, s6, v2, v82
	s_delay_alu instid0(VALU_DEP_1)
	v_add_co_ci_u32_e64 v3, s6, v3, v83, s6
	flat_load_b32 v2, v[2:3]
	s_waitcnt vmcnt(0) lgkmcnt(0)
	v_mul_f32_e32 v167, s21, v2
.LBB63_30:                              ;   in Loop: Header=BB63_26 Depth=1
	s_or_b32 exec_lo, exec_lo, s28
	v_add_co_u32 v0, s6, s22, v0
	s_delay_alu instid0(VALU_DEP_1) | instskip(SKIP_1) | instid1(SALU_CYCLE_1)
	v_add_co_ci_u32_e64 v1, s6, s23, v1, s6
	s_or_b32 s6, s3, s5
	v_cndmask_b32_e64 v168, 0, 0x7f7fffff, s6
	s_or_b32 s6, s17, s6
	s_delay_alu instid0(SALU_CYCLE_1) | instskip(NEXT) | instid1(SALU_CYCLE_1)
	s_xor_b32 s6, s6, -1
	s_and_saveexec_b32 s28, s6
	s_cbranch_execz .LBB63_32
; %bb.31:                               ;   in Loop: Header=BB63_26 Depth=1
	v_add_co_u32 v2, s6, v0, v84
	s_delay_alu instid0(VALU_DEP_1)
	v_add_co_ci_u32_e64 v3, s6, v1, v85, s6
	flat_load_b32 v2, v[2:3]
	s_waitcnt vmcnt(0) lgkmcnt(0)
	v_mul_f32_e32 v168, s21, v2
.LBB63_32:                              ;   in Loop: Header=BB63_26 Depth=1
	s_or_b32 exec_lo, exec_lo, s28
	s_or_b32 s5, s4, s5
	s_delay_alu instid0(SALU_CYCLE_1) | instskip(SKIP_1) | instid1(SALU_CYCLE_1)
	v_cndmask_b32_e64 v169, 0, 0x7f7fffff, s5
	s_or_b32 s5, s17, s5
	s_xor_b32 s5, s5, -1
	s_delay_alu instid0(SALU_CYCLE_1)
	s_and_saveexec_b32 s6, s5
	s_cbranch_execz .LBB63_34
; %bb.33:                               ;   in Loop: Header=BB63_26 Depth=1
	v_add_co_u32 v0, s5, v0, v86
	s_delay_alu instid0(VALU_DEP_1)
	v_add_co_ci_u32_e64 v1, s5, v1, v87, s5
	flat_load_b32 v0, v[0:1]
	s_waitcnt vmcnt(0) lgkmcnt(0)
	v_mul_f32_e32 v169, s21, v0
.LBB63_34:                              ;   in Loop: Header=BB63_26 Depth=1
	s_or_b32 exec_lo, exec_lo, s6
	v_add_nc_u32_e32 v170, 12, v16
	ds_load_b128 v[12:15], v164
	ds_load_b128 v[8:11], v164 offset:512
	ds_load_b128 v[4:7], v164 offset:1024
	;; [unrolled: 1-line block ×3, first 2 shown]
	ds_load_b128 v[76:79], v165
	ds_load_b128 v[72:75], v165 offset:128
	ds_load_b128 v[68:71], v165 offset:256
	;; [unrolled: 1-line block ×15, first 2 shown]
	ds_store_2addr_stride64_b32 v125, v166, v167 offset1:4
	ds_store_2addr_stride64_b32 v160, v168, v169 offset1:4
	v_min_i32_e32 v88, s16, v170
	v_cmp_le_i32_e64 s5, s10, v170
	s_waitcnt lgkmcnt(0)
	s_barrier
	buffer_gl0_inv
	v_ashrrev_i32_e32 v89, 31, v88
	s_delay_alu instid0(VALU_DEP_1) | instskip(NEXT) | instid1(VALU_DEP_1)
	v_lshlrev_b64 v[88:89], 2, v[88:89]
	v_add_co_u32 v168, s6, s24, v88
	s_delay_alu instid0(VALU_DEP_1) | instskip(SKIP_1) | instid1(SALU_CYCLE_1)
	v_add_co_ci_u32_e64 v169, s6, s25, v89, s6
	s_or_b32 s6, vcc_lo, s5
	v_cndmask_b32_e64 v166, 0, 0x7f7fffff, s6
	s_or_b32 s6, s17, s6
	s_delay_alu instid0(SALU_CYCLE_1) | instskip(NEXT) | instid1(SALU_CYCLE_1)
	s_xor_b32 s6, s6, -1
	s_and_saveexec_b32 s28, s6
	s_delay_alu instid0(SALU_CYCLE_1)
	s_xor_b32 s28, exec_lo, s28
	s_cbranch_execz .LBB63_36
; %bb.35:                               ;   in Loop: Header=BB63_26 Depth=1
	v_add_co_u32 v166, s6, v168, v80
	s_delay_alu instid0(VALU_DEP_1)
	v_add_co_ci_u32_e64 v167, s6, v169, v81, s6
	flat_load_b32 v166, v[166:167]
	s_waitcnt vmcnt(0) lgkmcnt(0)
	v_mul_f32_e32 v166, s21, v166
.LBB63_36:                              ;   in Loop: Header=BB63_26 Depth=1
	s_or_b32 exec_lo, exec_lo, s28
	s_or_b32 s6, s2, s5
	s_delay_alu instid0(SALU_CYCLE_1) | instskip(SKIP_1) | instid1(SALU_CYCLE_1)
	v_cndmask_b32_e64 v167, 0, 0x7f7fffff, s6
	s_or_b32 s6, s17, s6
	s_xor_b32 s6, s6, -1
	s_delay_alu instid0(SALU_CYCLE_1)
	s_and_saveexec_b32 s28, s6
	s_cbranch_execz .LBB63_38
; %bb.37:                               ;   in Loop: Header=BB63_26 Depth=1
	v_add_co_u32 v167, s6, v168, v82
	s_delay_alu instid0(VALU_DEP_1)
	v_add_co_ci_u32_e64 v168, s6, v169, v83, s6
	flat_load_b32 v167, v[167:168]
	s_waitcnt vmcnt(0) lgkmcnt(0)
	v_mul_f32_e32 v167, s21, v167
.LBB63_38:                              ;   in Loop: Header=BB63_26 Depth=1
	s_or_b32 exec_lo, exec_lo, s28
	v_add_co_u32 v168, s6, s22, v88
	s_delay_alu instid0(VALU_DEP_1) | instskip(SKIP_1) | instid1(SALU_CYCLE_1)
	v_add_co_ci_u32_e64 v89, s6, s23, v89, s6
	s_or_b32 s6, s3, s5
	v_cndmask_b32_e64 v88, 0, 0x7f7fffff, s6
	s_or_b32 s6, s17, s6
	s_delay_alu instid0(SALU_CYCLE_1) | instskip(NEXT) | instid1(SALU_CYCLE_1)
	s_xor_b32 s6, s6, -1
	s_and_saveexec_b32 s28, s6
	s_cbranch_execz .LBB63_40
; %bb.39:                               ;   in Loop: Header=BB63_26 Depth=1
	v_add_co_u32 v169, s6, v168, v84
	s_delay_alu instid0(VALU_DEP_1)
	v_add_co_ci_u32_e64 v170, s6, v89, v85, s6
	flat_load_b32 v88, v[169:170]
	s_waitcnt vmcnt(0) lgkmcnt(0)
	v_mul_f32_e32 v88, s21, v88
.LBB63_40:                              ;   in Loop: Header=BB63_26 Depth=1
	s_or_b32 exec_lo, exec_lo, s28
	v_dual_add_f32 v169, v13, v77 :: v_dual_add_f32 v170, v12, v76
	v_dual_add_f32 v171, v9, v77 :: v_dual_add_f32 v172, v8, v76
	;; [unrolled: 1-line block ×3, first 2 shown]
	s_delay_alu instid0(VALU_DEP_3) | instskip(SKIP_1) | instid1(VALU_DEP_4)
	v_min3_f32 v159, v170, v169, v159
	v_dual_add_f32 v77, v1, v77 :: v_dual_add_f32 v76, v0, v76
	v_min3_f32 v158, v172, v171, v158
	s_delay_alu instid0(VALU_DEP_4)
	v_min3_f32 v157, v174, v173, v157
	v_dual_add_f32 v169, v13, v73 :: v_dual_add_f32 v170, v12, v72
	v_dual_add_f32 v171, v9, v73 :: v_dual_add_f32 v172, v8, v72
	v_dual_add_f32 v173, v5, v73 :: v_dual_add_f32 v174, v4, v72
	v_dual_add_f32 v73, v1, v73 :: v_dual_add_f32 v72, v0, v72
	v_min3_f32 v76, v76, v77, v156
	v_min3_f32 v77, v170, v169, v155
	;; [unrolled: 1-line block ×3, first 2 shown]
	v_dual_add_f32 v155, v9, v69 :: v_dual_add_f32 v156, v8, v68
	v_min3_f32 v72, v72, v73, v152
	v_dual_add_f32 v73, v13, v69 :: v_dual_add_f32 v152, v12, v68
	v_dual_add_f32 v169, v5, v69 :: v_dual_add_f32 v170, v4, v68
	;; [unrolled: 1-line block ×4, first 2 shown]
	s_delay_alu instid0(VALU_DEP_4) | instskip(SKIP_1) | instid1(VALU_DEP_4)
	v_min3_f32 v73, v152, v73, v151
	v_min3_f32 v150, v156, v155, v150
	;; [unrolled: 1-line block ×3, first 2 shown]
	v_add_f32_e32 v148, v8, v64
	v_min3_f32 v69, v172, v171, v147
	v_add_f32_e32 v147, v9, v65
	v_dual_add_f32 v151, v5, v65 :: v_dual_add_f32 v152, v4, v64
	v_dual_add_f32 v65, v1, v65 :: v_dual_add_f32 v64, v0, v64
	;; [unrolled: 1-line block ×3, first 2 shown]
	v_min3_f32 v149, v170, v169, v149
	v_dual_add_f32 v169, v9, v61 :: v_dual_add_f32 v170, v8, v60
	v_min3_f32 v146, v148, v147, v146
	v_min3_f32 v64, v64, v65, v144
	;; [unrolled: 1-line block ×3, first 2 shown]
	v_dual_add_f32 v143, v5, v61 :: v_dual_add_f32 v144, v4, v60
	v_dual_add_f32 v61, v1, v61 :: v_dual_add_f32 v60, v0, v60
	v_dual_add_f32 v147, v13, v57 :: v_dual_add_f32 v148, v12, v56
	v_min3_f32 v145, v152, v151, v145
	v_dual_add_f32 v151, v9, v57 :: v_dual_add_f32 v152, v8, v56
	v_dual_add_f32 v155, v5, v57 :: v_dual_add_f32 v156, v4, v56
	v_min3_f32 v141, v144, v143, v141
	v_min3_f32 v60, v60, v61, v140
	;; [unrolled: 1-line block ×3, first 2 shown]
	v_dual_add_f32 v57, v1, v57 :: v_dual_add_f32 v56, v0, v56
	v_dual_add_f32 v139, v13, v53 :: v_dual_add_f32 v140, v12, v52
	;; [unrolled: 1-line block ×5, first 2 shown]
	v_min3_f32 v136, v56, v57, v136
	v_min3_f32 v135, v140, v139, v135
	v_dual_add_f32 v56, v9, v49 :: v_dual_add_f32 v57, v8, v48
	s_delay_alu instid0(VALU_DEP_4)
	v_min3_f32 v132, v52, v53, v132
	v_dual_add_f32 v52, v13, v49 :: v_dual_add_f32 v53, v12, v48
	v_dual_add_f32 v139, v5, v49 :: v_dual_add_f32 v140, v4, v48
	;; [unrolled: 1-line block ×3, first 2 shown]
	v_min3_f32 v134, v144, v143, v134
	v_dual_add_f32 v143, v13, v45 :: v_dual_add_f32 v144, v12, v44
	v_min3_f32 v131, v53, v52, v131
	s_delay_alu instid0(VALU_DEP_4)
	v_min3_f32 v128, v48, v49, v128
	v_dual_add_f32 v48, v9, v45 :: v_dual_add_f32 v49, v8, v44
	v_dual_add_f32 v52, v5, v45 :: v_dual_add_f32 v53, v4, v44
	;; [unrolled: 1-line block ×3, first 2 shown]
	v_min3_f32 v130, v57, v56, v130
	v_min3_f32 v129, v140, v139, v129
	v_dual_add_f32 v56, v13, v41 :: v_dual_add_f32 v57, v12, v40
	v_dual_add_f32 v139, v9, v41 :: v_dual_add_f32 v140, v8, v40
	v_min3_f32 v126, v49, v48, v126
	v_min3_f32 v123, v44, v45, v123
	v_dual_add_f32 v44, v5, v41 :: v_dual_add_f32 v45, v4, v40
	v_dual_add_f32 v41, v1, v41 :: v_dual_add_f32 v40, v0, v40
	;; [unrolled: 1-line block ×3, first 2 shown]
	v_min3_f32 v124, v53, v52, v124
	v_min3_f32 v122, v57, v56, v122
	v_dual_add_f32 v52, v9, v37 :: v_dual_add_f32 v53, v8, v36
	v_dual_add_f32 v56, v5, v37 :: v_dual_add_f32 v57, v4, v36
	v_min3_f32 v120, v45, v44, v120
	v_min3_f32 v118, v40, v41, v118
	;; [unrolled: 1-line block ×3, first 2 shown]
	v_dual_add_f32 v37, v1, v37 :: v_dual_add_f32 v36, v0, v36
	v_dual_add_f32 v40, v13, v33 :: v_dual_add_f32 v41, v12, v32
	;; [unrolled: 1-line block ×5, first 2 shown]
	v_min3_f32 v112, v36, v37, v112
	v_min3_f32 v111, v41, v40, v111
	v_dual_add_f32 v36, v9, v29 :: v_dual_add_f32 v37, v8, v28
	s_delay_alu instid0(VALU_DEP_4)
	v_min3_f32 v108, v32, v33, v108
	v_dual_add_f32 v32, v13, v29 :: v_dual_add_f32 v33, v12, v28
	v_dual_add_f32 v40, v5, v29 :: v_dual_add_f32 v41, v4, v28
	;; [unrolled: 1-line block ×3, first 2 shown]
	v_min3_f32 v110, v45, v44, v110
	v_dual_add_f32 v44, v13, v25 :: v_dual_add_f32 v45, v12, v24
	v_min3_f32 v105, v33, v32, v105
	s_delay_alu instid0(VALU_DEP_4)
	v_min3_f32 v102, v28, v29, v102
	v_dual_add_f32 v28, v9, v25 :: v_dual_add_f32 v29, v8, v24
	v_dual_add_f32 v32, v5, v25 :: v_dual_add_f32 v33, v4, v24
	;; [unrolled: 1-line block ×3, first 2 shown]
	v_min3_f32 v104, v37, v36, v104
	v_min3_f32 v103, v41, v40, v103
	v_dual_add_f32 v36, v13, v21 :: v_dual_add_f32 v37, v12, v20
	v_dual_add_f32 v40, v9, v21 :: v_dual_add_f32 v41, v8, v20
	v_min3_f32 v99, v29, v28, v99
	v_min3_f32 v24, v24, v25, v97
	v_dual_add_f32 v25, v5, v21 :: v_dual_add_f32 v28, v4, v20
	v_dual_add_f32 v13, v13, v17 :: v_dual_add_f32 v12, v12, v16
	;; [unrolled: 1-line block ×5, first 2 shown]
	s_delay_alu instid0(VALU_DEP_4) | instskip(NEXT) | instid1(VALU_DEP_4)
	v_min3_f32 v92, v12, v13, v92
	v_min3_f32 v91, v8, v9, v91
	s_delay_alu instid0(VALU_DEP_4)
	v_min3_f32 v90, v4, v5, v90
	v_dual_add_f32 v1, v1, v17 :: v_dual_add_f32 v0, v0, v16
	v_dual_add_f32 v4, v15, v79 :: v_dual_add_f32 v5, v14, v78
	v_dual_add_f32 v8, v11, v79 :: v_dual_add_f32 v9, v10, v78
	v_dual_add_f32 v12, v7, v79 :: v_dual_add_f32 v13, v6, v78
	v_dual_add_f32 v16, v3, v79 :: v_dual_add_f32 v17, v2, v78
	v_min3_f32 v153, v174, v173, v153
	v_min3_f32 v94, v28, v25, v94
	v_min3_f32 v93, v20, v21, v93
	v_min3_f32 v0, v0, v1, v100
	v_min3_f32 v25, v5, v4, v159
	v_min3_f32 v28, v9, v8, v158
	v_min3_f32 v29, v13, v12, v157
	v_min3_f32 v1, v17, v16, v76
	v_dual_add_f32 v4, v15, v75 :: v_dual_add_f32 v5, v14, v74
	v_dual_add_f32 v8, v11, v75 :: v_dual_add_f32 v9, v10, v74
	v_dual_add_f32 v12, v7, v75 :: v_dual_add_f32 v13, v6, v74
	v_dual_add_f32 v16, v3, v75 :: v_dual_add_f32 v17, v2, v74
	v_dual_add_f32 v20, v15, v71 :: v_dual_add_f32 v21, v14, v70
	v_min3_f32 v109, v49, v48, v109
	v_min3_f32 v98, v33, v32, v98
	v_min3_f32 v96, v37, v36, v96
	v_min3_f32 v32, v5, v4, v77
	v_min3_f32 v33, v9, v8, v154
	v_min3_f32 v36, v13, v12, v153
	v_min3_f32 v37, v17, v16, v72
	;; [unrolled: 13-line block ×3, first 2 shown]
	v_min3_f32 v5, v48, v21, v146
	v_dual_add_f32 v8, v7, v67 :: v_dual_add_f32 v9, v6, v66
	v_dual_add_f32 v12, v3, v67 :: v_dual_add_f32 v13, v2, v66
	;; [unrolled: 1-line block ×4, first 2 shown]
	v_min3_f32 v138, v152, v151, v138
	v_min3_f32 v137, v156, v155, v137
	;; [unrolled: 1-line block ×4, first 2 shown]
	v_dual_add_f32 v56, v7, v63 :: v_dual_add_f32 v57, v6, v62
	v_min3_f32 v48, v9, v8, v145
	v_min3_f32 v49, v13, v12, v64
	;; [unrolled: 1-line block ×4, first 2 shown]
	v_dual_add_f32 v9, v3, v63 :: v_dual_add_f32 v12, v2, v62
	v_dual_add_f32 v13, v15, v59 :: v_dual_add_f32 v16, v14, v58
	v_dual_add_f32 v17, v11, v59 :: v_dual_add_f32 v20, v10, v58
	v_dual_add_f32 v21, v7, v59 :: v_dual_add_f32 v62, v6, v58
	v_dual_add_f32 v63, v3, v59 :: v_dual_add_f32 v64, v2, v58
	v_min3_f32 v133, v148, v147, v133
	v_min3_f32 v8, v57, v56, v141
	;; [unrolled: 1-line block ×7, first 2 shown]
	v_dual_add_f32 v12, v15, v55 :: v_dual_add_f32 v13, v14, v54
	v_dual_add_f32 v16, v11, v55 :: v_dual_add_f32 v17, v10, v54
	;; [unrolled: 1-line block ×5, first 2 shown]
	v_min3_f32 v127, v144, v143, v127
	v_min3_f32 v54, v13, v12, v135
	;; [unrolled: 1-line block ×6, first 2 shown]
	v_dual_add_f32 v13, v11, v51 :: v_dual_add_f32 v16, v10, v50
	v_dual_add_f32 v17, v7, v51 :: v_dual_add_f32 v20, v6, v50
	;; [unrolled: 1-line block ×5, first 2 shown]
	v_min3_f32 v121, v140, v139, v121
	v_min3_f32 v50, v16, v13, v130
	;; [unrolled: 1-line block ×6, first 2 shown]
	v_dual_add_f32 v16, v7, v47 :: v_dual_add_f32 v17, v6, v46
	v_dual_add_f32 v20, v3, v47 :: v_dual_add_f32 v21, v2, v46
	v_dual_add_f32 v64, v15, v43 :: v_dual_add_f32 v65, v14, v42
	v_dual_add_f32 v66, v11, v43 :: v_dual_add_f32 v67, v10, v42
	v_dual_add_f32 v68, v7, v43 :: v_dual_add_f32 v69, v6, v42
	v_min3_f32 v46, v17, v16, v124
	v_min3_f32 v47, v21, v20, v123
	v_min3_f32 v64, v65, v64, v122
	v_min3_f32 v65, v67, v66, v121
	v_min3_f32 v16, v69, v68, v120
	v_dual_add_f32 v17, v3, v43 :: v_dual_add_f32 v20, v2, v42
	v_dual_add_f32 v21, v15, v39 :: v_dual_add_f32 v42, v14, v38
	v_dual_add_f32 v43, v11, v39 :: v_dual_add_f32 v66, v10, v38
	v_dual_add_f32 v67, v7, v39 :: v_dual_add_f32 v68, v6, v38
	v_dual_add_f32 v69, v3, v39 :: v_dual_add_f32 v70, v2, v38
	v_min3_f32 v38, v20, v17, v118
	v_min3_f32 v39, v42, v21, v116
	v_min3_f32 v42, v66, v43, v115
	v_min3_f32 v43, v68, v67, v113
	v_min3_f32 v17, v70, v69, v112
	;; [unrolled: 10-line block ×3, first 2 shown]
	v_dual_add_f32 v21, v11, v31 :: v_dual_add_f32 v68, v10, v30
	v_dual_add_f32 v69, v7, v31 :: v_dual_add_f32 v70, v6, v30
	;; [unrolled: 1-line block ×5, first 2 shown]
	v_min3_f32 v30, v68, v21, v104
	v_min3_f32 v31, v70, v69, v103
	v_min3_f32 v68, v72, v71, v102
	v_min3_f32 v69, v74, v73, v101
	v_dual_add_f32 v70, v7, v27 :: v_dual_add_f32 v71, v6, v26
	v_dual_add_f32 v27, v3, v27 :: v_dual_add_f32 v72, v2, v26
	;; [unrolled: 1-line block ×3, first 2 shown]
	v_min3_f32 v21, v76, v75, v99
	v_dual_add_f32 v75, v11, v23 :: v_dual_add_f32 v76, v10, v22
	v_dual_add_f32 v77, v7, v23 :: v_dual_add_f32 v78, v6, v22
	v_min3_f32 v26, v71, v70, v98
	v_min3_f32 v27, v72, v27, v24
	;; [unrolled: 1-line block ×3, first 2 shown]
	v_dual_add_f32 v23, v3, v23 :: v_dual_add_f32 v22, v2, v22
	v_dual_add_f32 v15, v15, v19 :: v_dual_add_f32 v14, v14, v18
	;; [unrolled: 1-line block ×5, first 2 shown]
	s_or_b32 s5, s4, s5
	v_min3_f32 v71, v76, v75, v95
	v_min3_f32 v24, v78, v77, v94
	;; [unrolled: 1-line block ×7, first 2 shown]
	v_cndmask_b32_e64 v0, 0, 0x7f7fffff, s5
	s_or_b32 s5, s17, s5
	s_delay_alu instid0(SALU_CYCLE_1) | instskip(NEXT) | instid1(SALU_CYCLE_1)
	s_xor_b32 s5, s5, -1
	s_and_saveexec_b32 s6, s5
	s_cbranch_execz .LBB63_25
; %bb.41:                               ;   in Loop: Header=BB63_26 Depth=1
	v_add_co_u32 v14, s5, v168, v86
	s_delay_alu instid0(VALU_DEP_1)
	v_add_co_ci_u32_e64 v15, s5, v89, v87, s5
	flat_load_b32 v0, v[14:15]
	s_waitcnt vmcnt(0) lgkmcnt(0)
	v_mul_f32_e32 v0, s21, v0
	s_branch .LBB63_25
.LBB63_42:
	s_clause 0x2
	s_load_b64 s[2:3], s[0:1], 0x78
	s_load_b32 s6, s[0:1], 0x58
	s_load_b32 s5, s[0:1], 0x70
	ds_load_b128 v[16:19], v119 offset:2048
	ds_load_b128 v[12:15], v119 offset:2560
	;; [unrolled: 1-line block ×14, first 2 shown]
	v_add_nc_u32_e32 v89, s14, v107
	ds_load_b128 v[36:39], v117 offset:7424
	ds_load_b128 v[32:35], v117 offset:7552
	;; [unrolled: 1-line block ×6, first 2 shown]
	v_add_nc_u32_e32 v80, s11, v106
	v_cmp_gt_i32_e64 s4, s9, v89
	v_cndmask_b32_e64 v88, 0, 1, s7
	s_waitcnt lgkmcnt(0)
	s_mul_i32 s1, s20, s3
	v_mad_i64_i32 v[81:82], null, v89, s6, 0
	v_mad_i64_i32 v[83:84], null, v89, s5, 0
	s_mul_hi_u32 s3, s20, s2
	s_mul_i32 s0, s20, s2
	s_add_i32 s1, s3, s1
	s_delay_alu instid0(SALU_CYCLE_1) | instskip(NEXT) | instid1(VALU_DEP_2)
	s_lshl_b64 s[0:1], s[0:1], 2
	v_lshlrev_b64 v[85:86], 2, v[81:82]
	s_delay_alu instid0(VALU_DEP_2)
	v_lshlrev_b64 v[82:83], 2, v[83:84]
	s_add_u32 s10, s18, s0
	s_addc_u32 s11, s19, s1
	v_cmp_gt_i32_e64 s0, s8, v80
	v_ashrrev_i32_e32 v81, 31, v80
	v_add_co_u32 v114, vcc_lo, s12, v85
	v_add_co_ci_u32_e32 v117, vcc_lo, s13, v86, vcc_lo
	v_add_co_u32 v106, vcc_lo, s10, v82
	v_add_co_ci_u32_e32 v107, vcc_lo, s11, v83, vcc_lo
	s_and_b32 s1, s0, s4
	s_delay_alu instid0(SALU_CYCLE_1) | instskip(NEXT) | instid1(SALU_CYCLE_1)
	s_and_saveexec_b32 s2, s1
	s_xor_b32 s1, exec_lo, s2
	s_cbranch_execz .LBB63_47
; %bb.43:
	s_and_not1_b32 vcc_lo, exec_lo, s7
	s_cbranch_vccnz .LBB63_45
; %bb.44:
	v_lshlrev_b64 v[82:83], 2, v[80:81]
	s_delay_alu instid0(VALU_DEP_1) | instskip(NEXT) | instid1(VALU_DEP_2)
	v_add_co_u32 v82, vcc_lo, v114, v82
	v_add_co_ci_u32_e32 v83, vcc_lo, v117, v83, vcc_lo
	flat_load_b32 v82, v[82:83]
	s_waitcnt vmcnt(0) lgkmcnt(0)
	v_mul_f32_e32 v82, s15, v82
	s_branch .LBB63_46
.LBB63_45:
	v_mov_b32_e32 v82, 0
.LBB63_46:
	v_dual_add_f32 v83, v17, v77 :: v_dual_add_f32 v84, v16, v76
	v_dual_add_f32 v85, v19, v79 :: v_dual_add_f32 v86, v18, v78
	s_delay_alu instid0(VALU_DEP_2) | instskip(SKIP_1) | instid1(VALU_DEP_3)
	v_min3_f32 v87, v84, v83, v159
	v_lshlrev_b64 v[83:84], 2, v[80:81]
	v_min_f32_e32 v85, v86, v85
	s_delay_alu instid0(VALU_DEP_1) | instskip(NEXT) | instid1(VALU_DEP_3)
	v_min3_f32 v85, v82, v85, v87
	v_add_co_u32 v82, vcc_lo, v106, v83
	s_delay_alu instid0(VALU_DEP_4)
	v_add_co_ci_u32_e32 v83, vcc_lo, v107, v84, vcc_lo
	global_store_b32 v[82:83], v85, off
.LBB63_47:
	s_or_b32 exec_lo, exec_lo, s1
	v_add_nc_u32_e32 v82, 32, v80
	s_delay_alu instid0(VALU_DEP_1) | instskip(SKIP_1) | instid1(VALU_DEP_2)
	v_cmp_gt_i32_e64 s1, s8, v82
	v_ashrrev_i32_e32 v83, 31, v82
	s_and_b32 s3, s1, s4
	s_delay_alu instid0(SALU_CYCLE_1)
	s_and_saveexec_b32 s2, s3
	s_cbranch_execz .LBB63_52
; %bb.48:
	v_cmp_ne_u32_e32 vcc_lo, 1, v88
	s_cbranch_vccnz .LBB63_50
; %bb.49:
	v_lshlrev_b64 v[84:85], 2, v[82:83]
	s_delay_alu instid0(VALU_DEP_1) | instskip(NEXT) | instid1(VALU_DEP_2)
	v_add_co_u32 v84, vcc_lo, v114, v84
	v_add_co_ci_u32_e32 v85, vcc_lo, v117, v85, vcc_lo
	flat_load_b32 v84, v[84:85]
	s_waitcnt vmcnt(0) lgkmcnt(0)
	v_mul_f32_e32 v84, s15, v84
	s_branch .LBB63_51
.LBB63_50:
	v_mov_b32_e32 v84, 0
.LBB63_51:
	v_dual_add_f32 v85, v13, v77 :: v_dual_add_f32 v86, v12, v76
	v_add_f32_e32 v87, v15, v79
	v_add_f32_e32 v119, v14, v78
	s_delay_alu instid0(VALU_DEP_3) | instskip(SKIP_1) | instid1(VALU_DEP_3)
	v_min3_f32 v125, v86, v85, v158
	v_lshlrev_b64 v[85:86], 2, v[82:83]
	v_min_f32_e32 v87, v119, v87
	s_delay_alu instid0(VALU_DEP_1) | instskip(NEXT) | instid1(VALU_DEP_3)
	v_min3_f32 v87, v84, v87, v125
	v_add_co_u32 v84, vcc_lo, v106, v85
	s_delay_alu instid0(VALU_DEP_4)
	v_add_co_ci_u32_e32 v85, vcc_lo, v107, v86, vcc_lo
	global_store_b32 v[84:85], v87, off
.LBB63_52:
	s_or_b32 exec_lo, exec_lo, s2
	v_add_nc_u32_e32 v84, 64, v80
	s_delay_alu instid0(VALU_DEP_1) | instskip(SKIP_1) | instid1(VALU_DEP_2)
	v_cmp_gt_i32_e64 s2, s8, v84
	v_ashrrev_i32_e32 v85, 31, v84
	s_and_b32 s7, s2, s4
	s_delay_alu instid0(SALU_CYCLE_1)
	s_and_saveexec_b32 s3, s7
	s_cbranch_execz .LBB63_57
; %bb.53:
	v_cmp_ne_u32_e32 vcc_lo, 1, v88
	s_cbranch_vccnz .LBB63_55
; %bb.54:
	v_lshlrev_b64 v[86:87], 2, v[84:85]
	s_delay_alu instid0(VALU_DEP_1) | instskip(NEXT) | instid1(VALU_DEP_2)
	v_add_co_u32 v86, vcc_lo, v114, v86
	v_add_co_ci_u32_e32 v87, vcc_lo, v117, v87, vcc_lo
	flat_load_b32 v86, v[86:87]
	s_waitcnt vmcnt(0) lgkmcnt(0)
	v_mul_f32_e32 v86, s15, v86
	s_branch .LBB63_56
.LBB63_55:
	v_mov_b32_e32 v86, 0
.LBB63_56:
	v_dual_add_f32 v87, v9, v77 :: v_dual_add_f32 v158, v10, v78
	v_add_f32_e32 v119, v8, v76
	v_add_f32_e32 v125, v11, v79
	s_delay_alu instid0(VALU_DEP_2) | instskip(NEXT) | instid1(VALU_DEP_2)
	v_min3_f32 v87, v119, v87, v157
	v_min_f32_e32 v119, v158, v125
	v_lshlrev_b64 v[157:158], 2, v[84:85]
	s_delay_alu instid0(VALU_DEP_2) | instskip(NEXT) | instid1(VALU_DEP_2)
	v_min3_f32 v119, v86, v119, v87
	v_add_co_u32 v86, vcc_lo, v106, v157
	s_delay_alu instid0(VALU_DEP_3)
	v_add_co_ci_u32_e32 v87, vcc_lo, v107, v158, vcc_lo
	global_store_b32 v[86:87], v119, off
.LBB63_57:
	s_or_b32 exec_lo, exec_lo, s3
	v_add_nc_u32_e32 v86, 0x60, v80
	s_delay_alu instid0(VALU_DEP_1) | instskip(SKIP_1) | instid1(VALU_DEP_2)
	v_cmp_gt_i32_e64 s3, s8, v86
	v_ashrrev_i32_e32 v87, 31, v86
	s_and_b32 s7, s3, s4
	s_delay_alu instid0(SALU_CYCLE_1)
	s_and_saveexec_b32 s4, s7
	s_cbranch_execz .LBB63_62
; %bb.58:
	v_cmp_ne_u32_e32 vcc_lo, 1, v88
	s_cbranch_vccnz .LBB63_60
; %bb.59:
	v_lshlrev_b64 v[157:158], 2, v[86:87]
	s_delay_alu instid0(VALU_DEP_1) | instskip(NEXT) | instid1(VALU_DEP_2)
	v_add_co_u32 v157, vcc_lo, v114, v157
	v_add_co_ci_u32_e32 v158, vcc_lo, v117, v158, vcc_lo
	flat_load_b32 v114, v[157:158]
	s_waitcnt vmcnt(0) lgkmcnt(0)
	v_mul_f32_e32 v114, s15, v114
	s_branch .LBB63_61
.LBB63_60:
	v_mov_b32_e32 v114, 0
.LBB63_61:
	v_dual_add_f32 v77, v1, v77 :: v_dual_add_f32 v76, v0, v76
	v_dual_add_f32 v79, v3, v79 :: v_dual_add_f32 v78, v2, v78
	s_delay_alu instid0(VALU_DEP_2) | instskip(SKIP_1) | instid1(VALU_DEP_3)
	v_min3_f32 v117, v76, v77, v156
	v_lshlrev_b64 v[76:77], 2, v[86:87]
	v_min_f32_e32 v78, v78, v79
	s_delay_alu instid0(VALU_DEP_1) | instskip(NEXT) | instid1(VALU_DEP_3)
	v_min3_f32 v78, v114, v78, v117
	v_add_co_u32 v76, vcc_lo, v106, v76
	s_delay_alu instid0(VALU_DEP_4)
	v_add_co_ci_u32_e32 v77, vcc_lo, v107, v77, vcc_lo
	global_store_b32 v[76:77], v78, off
.LBB63_62:
	s_or_b32 exec_lo, exec_lo, s4
	v_add_nc_u32_e32 v106, 8, v89
	s_delay_alu instid0(VALU_DEP_1) | instskip(SKIP_2) | instid1(VALU_DEP_3)
	v_mad_i64_i32 v[76:77], null, v106, s6, 0
	v_mad_i64_i32 v[78:79], null, v106, s5, 0
	v_cmp_gt_i32_e64 s4, s9, v106
	v_lshlrev_b64 v[76:77], 2, v[76:77]
	s_delay_alu instid0(VALU_DEP_2) | instskip(NEXT) | instid1(VALU_DEP_3)
	s_and_b32 s8, s0, s4
	v_lshlrev_b64 v[106:107], 2, v[78:79]
	s_delay_alu instid0(VALU_DEP_2) | instskip(NEXT) | instid1(VALU_DEP_3)
	v_add_co_u32 v78, vcc_lo, s12, v76
	v_add_co_ci_u32_e32 v79, vcc_lo, s13, v77, vcc_lo
	s_delay_alu instid0(VALU_DEP_3) | instskip(NEXT) | instid1(VALU_DEP_4)
	v_add_co_u32 v76, vcc_lo, s10, v106
	v_add_co_ci_u32_e32 v77, vcc_lo, s11, v107, vcc_lo
	s_and_saveexec_b32 s7, s8
	s_cbranch_execnz .LBB63_66
; %bb.63:
	s_or_b32 exec_lo, exec_lo, s7
	s_and_b32 s8, s1, s4
	s_delay_alu instid0(SALU_CYCLE_1)
	s_and_saveexec_b32 s7, s8
	s_cbranch_execnz .LBB63_70
.LBB63_64:
	s_or_b32 exec_lo, exec_lo, s7
	s_and_b32 s8, s2, s4
	s_delay_alu instid0(SALU_CYCLE_1)
	s_and_saveexec_b32 s7, s8
	s_cbranch_execnz .LBB63_74
.LBB63_65:
	s_or_b32 exec_lo, exec_lo, s7
	s_and_b32 s7, s3, s4
	s_delay_alu instid0(SALU_CYCLE_1)
	s_and_saveexec_b32 s4, s7
	s_cbranch_execnz .LBB63_78
	s_branch .LBB63_82
.LBB63_66:
	v_cmp_ne_u32_e32 vcc_lo, 1, v88
	s_cbranch_vccnz .LBB63_68
; %bb.67:
	v_lshlrev_b64 v[106:107], 2, v[80:81]
	s_delay_alu instid0(VALU_DEP_1) | instskip(NEXT) | instid1(VALU_DEP_2)
	v_add_co_u32 v106, vcc_lo, v78, v106
	v_add_co_ci_u32_e32 v107, vcc_lo, v79, v107, vcc_lo
	flat_load_b32 v106, v[106:107]
	s_waitcnt vmcnt(0) lgkmcnt(0)
	v_mul_f32_e32 v106, s15, v106
	s_branch .LBB63_69
.LBB63_68:
	v_mov_b32_e32 v106, 0
.LBB63_69:
	v_dual_add_f32 v107, v17, v73 :: v_dual_add_f32 v114, v16, v72
	v_add_f32_e32 v117, v19, v75
	v_add_f32_e32 v119, v18, v74
	s_delay_alu instid0(VALU_DEP_3) | instskip(SKIP_1) | instid1(VALU_DEP_3)
	v_min3_f32 v107, v114, v107, v155
	v_lshlrev_b64 v[155:156], 2, v[80:81]
	v_min_f32_e32 v114, v119, v117
	s_delay_alu instid0(VALU_DEP_1) | instskip(NEXT) | instid1(VALU_DEP_3)
	v_min3_f32 v114, v106, v114, v107
	v_add_co_u32 v106, vcc_lo, v76, v155
	s_delay_alu instid0(VALU_DEP_4) | instskip(SKIP_3) | instid1(SALU_CYCLE_1)
	v_add_co_ci_u32_e32 v107, vcc_lo, v77, v156, vcc_lo
	global_store_b32 v[106:107], v114, off
	s_or_b32 exec_lo, exec_lo, s7
	s_and_b32 s8, s1, s4
	s_and_saveexec_b32 s7, s8
	s_cbranch_execz .LBB63_64
.LBB63_70:
	v_cmp_ne_u32_e32 vcc_lo, 1, v88
	s_cbranch_vccnz .LBB63_72
; %bb.71:
	v_lshlrev_b64 v[106:107], 2, v[82:83]
	s_delay_alu instid0(VALU_DEP_1) | instskip(NEXT) | instid1(VALU_DEP_2)
	v_add_co_u32 v106, vcc_lo, v78, v106
	v_add_co_ci_u32_e32 v107, vcc_lo, v79, v107, vcc_lo
	flat_load_b32 v106, v[106:107]
	s_waitcnt vmcnt(0) lgkmcnt(0)
	v_mul_f32_e32 v106, s15, v106
	s_branch .LBB63_73
.LBB63_72:
	v_mov_b32_e32 v106, 0
.LBB63_73:
	v_dual_add_f32 v107, v13, v73 :: v_dual_add_f32 v114, v12, v72
	v_add_f32_e32 v117, v15, v75
	v_add_f32_e32 v119, v14, v74
	s_delay_alu instid0(VALU_DEP_3) | instskip(SKIP_1) | instid1(VALU_DEP_3)
	v_min3_f32 v107, v114, v107, v154
	v_lshlrev_b64 v[154:155], 2, v[82:83]
	v_min_f32_e32 v114, v119, v117
	s_delay_alu instid0(VALU_DEP_1) | instskip(NEXT) | instid1(VALU_DEP_3)
	v_min3_f32 v114, v106, v114, v107
	v_add_co_u32 v106, vcc_lo, v76, v154
	s_delay_alu instid0(VALU_DEP_4) | instskip(SKIP_3) | instid1(SALU_CYCLE_1)
	v_add_co_ci_u32_e32 v107, vcc_lo, v77, v155, vcc_lo
	global_store_b32 v[106:107], v114, off
	s_or_b32 exec_lo, exec_lo, s7
	s_and_b32 s8, s2, s4
	s_and_saveexec_b32 s7, s8
	s_cbranch_execz .LBB63_65
.LBB63_74:
	v_cmp_ne_u32_e32 vcc_lo, 1, v88
	s_cbranch_vccnz .LBB63_76
; %bb.75:
	v_lshlrev_b64 v[106:107], 2, v[84:85]
	s_delay_alu instid0(VALU_DEP_1) | instskip(NEXT) | instid1(VALU_DEP_2)
	v_add_co_u32 v106, vcc_lo, v78, v106
	v_add_co_ci_u32_e32 v107, vcc_lo, v79, v107, vcc_lo
	flat_load_b32 v106, v[106:107]
	s_waitcnt vmcnt(0) lgkmcnt(0)
	v_mul_f32_e32 v106, s15, v106
	s_branch .LBB63_77
.LBB63_76:
	v_mov_b32_e32 v106, 0
.LBB63_77:
	v_dual_add_f32 v107, v9, v73 :: v_dual_add_f32 v114, v8, v72
	v_add_f32_e32 v117, v11, v75
	v_add_f32_e32 v119, v10, v74
	s_delay_alu instid0(VALU_DEP_3) | instskip(SKIP_1) | instid1(VALU_DEP_3)
	v_min3_f32 v107, v114, v107, v153
	v_lshlrev_b64 v[153:154], 2, v[84:85]
	v_min_f32_e32 v114, v119, v117
	s_delay_alu instid0(VALU_DEP_1) | instskip(NEXT) | instid1(VALU_DEP_3)
	v_min3_f32 v114, v106, v114, v107
	v_add_co_u32 v106, vcc_lo, v76, v153
	s_delay_alu instid0(VALU_DEP_4) | instskip(SKIP_3) | instid1(SALU_CYCLE_1)
	v_add_co_ci_u32_e32 v107, vcc_lo, v77, v154, vcc_lo
	global_store_b32 v[106:107], v114, off
	s_or_b32 exec_lo, exec_lo, s7
	s_and_b32 s7, s3, s4
	s_and_saveexec_b32 s4, s7
	s_cbranch_execz .LBB63_82
.LBB63_78:
	v_cmp_ne_u32_e32 vcc_lo, 1, v88
	s_cbranch_vccnz .LBB63_80
; %bb.79:
	v_lshlrev_b64 v[106:107], 2, v[86:87]
	s_delay_alu instid0(VALU_DEP_1) | instskip(NEXT) | instid1(VALU_DEP_2)
	v_add_co_u32 v78, vcc_lo, v78, v106
	v_add_co_ci_u32_e32 v79, vcc_lo, v79, v107, vcc_lo
	flat_load_b32 v78, v[78:79]
	s_waitcnt vmcnt(0) lgkmcnt(0)
	v_mul_f32_e32 v78, s15, v78
	s_branch .LBB63_81
.LBB63_80:
	v_mov_b32_e32 v78, 0
.LBB63_81:
	v_dual_add_f32 v73, v1, v73 :: v_dual_add_f32 v72, v0, v72
	v_dual_add_f32 v75, v3, v75 :: v_dual_add_f32 v74, v2, v74
	s_delay_alu instid0(VALU_DEP_2) | instskip(SKIP_1) | instid1(VALU_DEP_3)
	v_min3_f32 v79, v72, v73, v152
	v_lshlrev_b64 v[72:73], 2, v[86:87]
	v_min_f32_e32 v74, v74, v75
	s_delay_alu instid0(VALU_DEP_1) | instskip(NEXT) | instid1(VALU_DEP_3)
	v_min3_f32 v74, v78, v74, v79
	v_add_co_u32 v72, vcc_lo, v76, v72
	s_delay_alu instid0(VALU_DEP_4)
	v_add_co_ci_u32_e32 v73, vcc_lo, v77, v73, vcc_lo
	global_store_b32 v[72:73], v74, off
.LBB63_82:
	s_or_b32 exec_lo, exec_lo, s4
	v_add_nc_u32_e32 v76, 16, v89
	s_delay_alu instid0(VALU_DEP_1) | instskip(SKIP_2) | instid1(VALU_DEP_3)
	v_mad_i64_i32 v[72:73], null, v76, s6, 0
	v_mad_i64_i32 v[74:75], null, v76, s5, 0
	v_cmp_gt_i32_e64 s4, s9, v76
	v_lshlrev_b64 v[72:73], 2, v[72:73]
	s_delay_alu instid0(VALU_DEP_2) | instskip(NEXT) | instid1(VALU_DEP_3)
	s_and_b32 s8, s0, s4
	v_lshlrev_b64 v[76:77], 2, v[74:75]
	s_delay_alu instid0(VALU_DEP_2) | instskip(NEXT) | instid1(VALU_DEP_3)
	v_add_co_u32 v74, vcc_lo, s12, v72
	v_add_co_ci_u32_e32 v75, vcc_lo, s13, v73, vcc_lo
	s_delay_alu instid0(VALU_DEP_3) | instskip(NEXT) | instid1(VALU_DEP_4)
	v_add_co_u32 v72, vcc_lo, s10, v76
	v_add_co_ci_u32_e32 v73, vcc_lo, s11, v77, vcc_lo
	s_and_saveexec_b32 s7, s8
	s_cbranch_execnz .LBB63_86
; %bb.83:
	s_or_b32 exec_lo, exec_lo, s7
	s_and_b32 s8, s1, s4
	s_delay_alu instid0(SALU_CYCLE_1)
	s_and_saveexec_b32 s7, s8
	s_cbranch_execnz .LBB63_90
.LBB63_84:
	s_or_b32 exec_lo, exec_lo, s7
	s_and_b32 s8, s2, s4
	s_delay_alu instid0(SALU_CYCLE_1)
	s_and_saveexec_b32 s7, s8
	s_cbranch_execnz .LBB63_94
.LBB63_85:
	s_or_b32 exec_lo, exec_lo, s7
	s_and_b32 s7, s3, s4
	s_delay_alu instid0(SALU_CYCLE_1)
	s_and_saveexec_b32 s4, s7
	s_cbranch_execnz .LBB63_98
	s_branch .LBB63_102
.LBB63_86:
	v_cmp_ne_u32_e32 vcc_lo, 1, v88
	s_cbranch_vccnz .LBB63_88
; %bb.87:
	v_lshlrev_b64 v[76:77], 2, v[80:81]
	s_delay_alu instid0(VALU_DEP_1) | instskip(NEXT) | instid1(VALU_DEP_2)
	v_add_co_u32 v76, vcc_lo, v74, v76
	v_add_co_ci_u32_e32 v77, vcc_lo, v75, v77, vcc_lo
	flat_load_b32 v76, v[76:77]
	s_waitcnt vmcnt(0) lgkmcnt(0)
	v_mul_f32_e32 v76, s15, v76
	s_branch .LBB63_89
.LBB63_88:
	v_mov_b32_e32 v76, 0
.LBB63_89:
	v_dual_add_f32 v77, v17, v69 :: v_dual_add_f32 v78, v16, v68
	v_dual_add_f32 v79, v19, v71 :: v_dual_add_f32 v106, v18, v70
	s_delay_alu instid0(VALU_DEP_2) | instskip(SKIP_1) | instid1(VALU_DEP_3)
	v_min3_f32 v107, v78, v77, v151
	v_lshlrev_b64 v[77:78], 2, v[80:81]
	v_min_f32_e32 v79, v106, v79
	s_delay_alu instid0(VALU_DEP_1) | instskip(NEXT) | instid1(VALU_DEP_3)
	v_min3_f32 v79, v76, v79, v107
	v_add_co_u32 v76, vcc_lo, v72, v77
	s_delay_alu instid0(VALU_DEP_4) | instskip(SKIP_3) | instid1(SALU_CYCLE_1)
	v_add_co_ci_u32_e32 v77, vcc_lo, v73, v78, vcc_lo
	global_store_b32 v[76:77], v79, off
	s_or_b32 exec_lo, exec_lo, s7
	s_and_b32 s8, s1, s4
	s_and_saveexec_b32 s7, s8
	s_cbranch_execz .LBB63_84
.LBB63_90:
	v_cmp_ne_u32_e32 vcc_lo, 1, v88
	s_cbranch_vccnz .LBB63_92
; %bb.91:
	v_lshlrev_b64 v[76:77], 2, v[82:83]
	s_delay_alu instid0(VALU_DEP_1) | instskip(NEXT) | instid1(VALU_DEP_2)
	v_add_co_u32 v76, vcc_lo, v74, v76
	v_add_co_ci_u32_e32 v77, vcc_lo, v75, v77, vcc_lo
	flat_load_b32 v76, v[76:77]
	s_waitcnt vmcnt(0) lgkmcnt(0)
	v_mul_f32_e32 v76, s15, v76
	s_branch .LBB63_93
.LBB63_92:
	v_mov_b32_e32 v76, 0
.LBB63_93:
	v_dual_add_f32 v77, v13, v69 :: v_dual_add_f32 v78, v12, v68
	v_dual_add_f32 v79, v15, v71 :: v_dual_add_f32 v106, v14, v70
	s_delay_alu instid0(VALU_DEP_2) | instskip(SKIP_1) | instid1(VALU_DEP_3)
	v_min3_f32 v107, v78, v77, v150
	v_lshlrev_b64 v[77:78], 2, v[82:83]
	v_min_f32_e32 v79, v106, v79
	s_delay_alu instid0(VALU_DEP_1) | instskip(NEXT) | instid1(VALU_DEP_3)
	v_min3_f32 v79, v76, v79, v107
	v_add_co_u32 v76, vcc_lo, v72, v77
	s_delay_alu instid0(VALU_DEP_4) | instskip(SKIP_3) | instid1(SALU_CYCLE_1)
	v_add_co_ci_u32_e32 v77, vcc_lo, v73, v78, vcc_lo
	global_store_b32 v[76:77], v79, off
	s_or_b32 exec_lo, exec_lo, s7
	s_and_b32 s8, s2, s4
	s_and_saveexec_b32 s7, s8
	s_cbranch_execz .LBB63_85
.LBB63_94:
	v_cmp_ne_u32_e32 vcc_lo, 1, v88
	s_cbranch_vccnz .LBB63_96
; %bb.95:
	v_lshlrev_b64 v[76:77], 2, v[84:85]
	s_delay_alu instid0(VALU_DEP_1) | instskip(NEXT) | instid1(VALU_DEP_2)
	v_add_co_u32 v76, vcc_lo, v74, v76
	v_add_co_ci_u32_e32 v77, vcc_lo, v75, v77, vcc_lo
	flat_load_b32 v76, v[76:77]
	s_waitcnt vmcnt(0) lgkmcnt(0)
	v_mul_f32_e32 v76, s15, v76
	s_branch .LBB63_97
.LBB63_96:
	v_mov_b32_e32 v76, 0
.LBB63_97:
	v_dual_add_f32 v77, v9, v69 :: v_dual_add_f32 v78, v8, v68
	v_dual_add_f32 v79, v11, v71 :: v_dual_add_f32 v106, v10, v70
	s_delay_alu instid0(VALU_DEP_2) | instskip(SKIP_1) | instid1(VALU_DEP_3)
	v_min3_f32 v107, v78, v77, v149
	v_lshlrev_b64 v[77:78], 2, v[84:85]
	v_min_f32_e32 v79, v106, v79
	s_delay_alu instid0(VALU_DEP_1) | instskip(NEXT) | instid1(VALU_DEP_3)
	v_min3_f32 v79, v76, v79, v107
	v_add_co_u32 v76, vcc_lo, v72, v77
	s_delay_alu instid0(VALU_DEP_4) | instskip(SKIP_3) | instid1(SALU_CYCLE_1)
	v_add_co_ci_u32_e32 v77, vcc_lo, v73, v78, vcc_lo
	global_store_b32 v[76:77], v79, off
	s_or_b32 exec_lo, exec_lo, s7
	s_and_b32 s7, s3, s4
	s_and_saveexec_b32 s4, s7
	s_cbranch_execz .LBB63_102
.LBB63_98:
	v_cmp_ne_u32_e32 vcc_lo, 1, v88
	s_cbranch_vccnz .LBB63_100
; %bb.99:
	v_lshlrev_b64 v[76:77], 2, v[86:87]
	s_delay_alu instid0(VALU_DEP_1) | instskip(NEXT) | instid1(VALU_DEP_2)
	v_add_co_u32 v74, vcc_lo, v74, v76
	v_add_co_ci_u32_e32 v75, vcc_lo, v75, v77, vcc_lo
	flat_load_b32 v74, v[74:75]
	s_waitcnt vmcnt(0) lgkmcnt(0)
	v_mul_f32_e32 v74, s15, v74
	s_branch .LBB63_101
.LBB63_100:
	v_mov_b32_e32 v74, 0
.LBB63_101:
	v_dual_add_f32 v69, v1, v69 :: v_dual_add_f32 v68, v0, v68
	v_dual_add_f32 v71, v3, v71 :: v_dual_add_f32 v70, v2, v70
	s_delay_alu instid0(VALU_DEP_2) | instskip(SKIP_1) | instid1(VALU_DEP_3)
	v_min3_f32 v75, v68, v69, v148
	v_lshlrev_b64 v[68:69], 2, v[86:87]
	v_min_f32_e32 v70, v70, v71
	s_delay_alu instid0(VALU_DEP_1) | instskip(NEXT) | instid1(VALU_DEP_3)
	v_min3_f32 v70, v74, v70, v75
	v_add_co_u32 v68, vcc_lo, v72, v68
	s_delay_alu instid0(VALU_DEP_4)
	v_add_co_ci_u32_e32 v69, vcc_lo, v73, v69, vcc_lo
	global_store_b32 v[68:69], v70, off
.LBB63_102:
	s_or_b32 exec_lo, exec_lo, s4
	v_add_nc_u32_e32 v72, 24, v89
	s_delay_alu instid0(VALU_DEP_1) | instskip(SKIP_2) | instid1(VALU_DEP_3)
	v_mad_i64_i32 v[68:69], null, v72, s6, 0
	v_mad_i64_i32 v[70:71], null, v72, s5, 0
	v_cmp_gt_i32_e64 s4, s9, v72
	v_lshlrev_b64 v[68:69], 2, v[68:69]
	s_delay_alu instid0(VALU_DEP_2) | instskip(NEXT) | instid1(VALU_DEP_3)
	s_and_b32 s8, s0, s4
	v_lshlrev_b64 v[72:73], 2, v[70:71]
	s_delay_alu instid0(VALU_DEP_2) | instskip(NEXT) | instid1(VALU_DEP_3)
	v_add_co_u32 v70, vcc_lo, s12, v68
	v_add_co_ci_u32_e32 v71, vcc_lo, s13, v69, vcc_lo
	s_delay_alu instid0(VALU_DEP_3) | instskip(NEXT) | instid1(VALU_DEP_4)
	v_add_co_u32 v68, vcc_lo, s10, v72
	v_add_co_ci_u32_e32 v69, vcc_lo, s11, v73, vcc_lo
	s_and_saveexec_b32 s7, s8
	s_cbranch_execnz .LBB63_106
; %bb.103:
	s_or_b32 exec_lo, exec_lo, s7
	s_and_b32 s8, s1, s4
	s_delay_alu instid0(SALU_CYCLE_1)
	s_and_saveexec_b32 s7, s8
	s_cbranch_execnz .LBB63_110
.LBB63_104:
	s_or_b32 exec_lo, exec_lo, s7
	s_and_b32 s8, s2, s4
	s_delay_alu instid0(SALU_CYCLE_1)
	s_and_saveexec_b32 s7, s8
	s_cbranch_execnz .LBB63_114
.LBB63_105:
	s_or_b32 exec_lo, exec_lo, s7
	s_and_b32 s7, s3, s4
	s_delay_alu instid0(SALU_CYCLE_1)
	s_and_saveexec_b32 s4, s7
	s_cbranch_execnz .LBB63_118
	s_branch .LBB63_122
.LBB63_106:
	v_cmp_ne_u32_e32 vcc_lo, 1, v88
	s_cbranch_vccnz .LBB63_108
; %bb.107:
	v_lshlrev_b64 v[72:73], 2, v[80:81]
	s_delay_alu instid0(VALU_DEP_1) | instskip(NEXT) | instid1(VALU_DEP_2)
	v_add_co_u32 v72, vcc_lo, v70, v72
	v_add_co_ci_u32_e32 v73, vcc_lo, v71, v73, vcc_lo
	flat_load_b32 v72, v[72:73]
	s_waitcnt vmcnt(0) lgkmcnt(0)
	v_mul_f32_e32 v72, s15, v72
	s_branch .LBB63_109
.LBB63_108:
	v_mov_b32_e32 v72, 0
.LBB63_109:
	v_dual_add_f32 v73, v17, v65 :: v_dual_add_f32 v74, v16, v64
	v_dual_add_f32 v75, v19, v67 :: v_dual_add_f32 v76, v18, v66
	s_delay_alu instid0(VALU_DEP_2) | instskip(SKIP_1) | instid1(VALU_DEP_3)
	v_min3_f32 v77, v74, v73, v147
	v_lshlrev_b64 v[73:74], 2, v[80:81]
	v_min_f32_e32 v75, v76, v75
	s_delay_alu instid0(VALU_DEP_1) | instskip(NEXT) | instid1(VALU_DEP_3)
	v_min3_f32 v75, v72, v75, v77
	v_add_co_u32 v72, vcc_lo, v68, v73
	s_delay_alu instid0(VALU_DEP_4) | instskip(SKIP_3) | instid1(SALU_CYCLE_1)
	v_add_co_ci_u32_e32 v73, vcc_lo, v69, v74, vcc_lo
	global_store_b32 v[72:73], v75, off
	s_or_b32 exec_lo, exec_lo, s7
	s_and_b32 s8, s1, s4
	s_and_saveexec_b32 s7, s8
	s_cbranch_execz .LBB63_104
.LBB63_110:
	v_cmp_ne_u32_e32 vcc_lo, 1, v88
	s_cbranch_vccnz .LBB63_112
; %bb.111:
	v_lshlrev_b64 v[72:73], 2, v[82:83]
	s_delay_alu instid0(VALU_DEP_1) | instskip(NEXT) | instid1(VALU_DEP_2)
	v_add_co_u32 v72, vcc_lo, v70, v72
	v_add_co_ci_u32_e32 v73, vcc_lo, v71, v73, vcc_lo
	flat_load_b32 v72, v[72:73]
	s_waitcnt vmcnt(0) lgkmcnt(0)
	v_mul_f32_e32 v72, s15, v72
	s_branch .LBB63_113
.LBB63_112:
	v_mov_b32_e32 v72, 0
.LBB63_113:
	v_dual_add_f32 v73, v13, v65 :: v_dual_add_f32 v74, v12, v64
	v_dual_add_f32 v75, v15, v67 :: v_dual_add_f32 v76, v14, v66
	s_delay_alu instid0(VALU_DEP_2) | instskip(SKIP_1) | instid1(VALU_DEP_3)
	v_min3_f32 v77, v74, v73, v146
	v_lshlrev_b64 v[73:74], 2, v[82:83]
	v_min_f32_e32 v75, v76, v75
	s_delay_alu instid0(VALU_DEP_1) | instskip(NEXT) | instid1(VALU_DEP_3)
	v_min3_f32 v75, v72, v75, v77
	v_add_co_u32 v72, vcc_lo, v68, v73
	s_delay_alu instid0(VALU_DEP_4) | instskip(SKIP_3) | instid1(SALU_CYCLE_1)
	v_add_co_ci_u32_e32 v73, vcc_lo, v69, v74, vcc_lo
	global_store_b32 v[72:73], v75, off
	s_or_b32 exec_lo, exec_lo, s7
	s_and_b32 s8, s2, s4
	s_and_saveexec_b32 s7, s8
	s_cbranch_execz .LBB63_105
.LBB63_114:
	v_cmp_ne_u32_e32 vcc_lo, 1, v88
	s_cbranch_vccnz .LBB63_116
; %bb.115:
	v_lshlrev_b64 v[72:73], 2, v[84:85]
	s_delay_alu instid0(VALU_DEP_1) | instskip(NEXT) | instid1(VALU_DEP_2)
	v_add_co_u32 v72, vcc_lo, v70, v72
	v_add_co_ci_u32_e32 v73, vcc_lo, v71, v73, vcc_lo
	flat_load_b32 v72, v[72:73]
	s_waitcnt vmcnt(0) lgkmcnt(0)
	v_mul_f32_e32 v72, s15, v72
	s_branch .LBB63_117
.LBB63_116:
	v_mov_b32_e32 v72, 0
.LBB63_117:
	v_dual_add_f32 v73, v9, v65 :: v_dual_add_f32 v74, v8, v64
	v_dual_add_f32 v75, v11, v67 :: v_dual_add_f32 v76, v10, v66
	s_delay_alu instid0(VALU_DEP_2) | instskip(SKIP_1) | instid1(VALU_DEP_3)
	v_min3_f32 v77, v74, v73, v145
	v_lshlrev_b64 v[73:74], 2, v[84:85]
	v_min_f32_e32 v75, v76, v75
	s_delay_alu instid0(VALU_DEP_1) | instskip(NEXT) | instid1(VALU_DEP_3)
	v_min3_f32 v75, v72, v75, v77
	v_add_co_u32 v72, vcc_lo, v68, v73
	s_delay_alu instid0(VALU_DEP_4) | instskip(SKIP_3) | instid1(SALU_CYCLE_1)
	v_add_co_ci_u32_e32 v73, vcc_lo, v69, v74, vcc_lo
	global_store_b32 v[72:73], v75, off
	s_or_b32 exec_lo, exec_lo, s7
	s_and_b32 s7, s3, s4
	s_and_saveexec_b32 s4, s7
	s_cbranch_execz .LBB63_122
.LBB63_118:
	v_cmp_ne_u32_e32 vcc_lo, 1, v88
	s_cbranch_vccnz .LBB63_120
; %bb.119:
	v_lshlrev_b64 v[72:73], 2, v[86:87]
	s_delay_alu instid0(VALU_DEP_1) | instskip(NEXT) | instid1(VALU_DEP_2)
	v_add_co_u32 v70, vcc_lo, v70, v72
	v_add_co_ci_u32_e32 v71, vcc_lo, v71, v73, vcc_lo
	flat_load_b32 v70, v[70:71]
	s_waitcnt vmcnt(0) lgkmcnt(0)
	v_mul_f32_e32 v70, s15, v70
	s_branch .LBB63_121
.LBB63_120:
	v_mov_b32_e32 v70, 0
.LBB63_121:
	v_dual_add_f32 v65, v1, v65 :: v_dual_add_f32 v64, v0, v64
	v_dual_add_f32 v67, v3, v67 :: v_dual_add_f32 v66, v2, v66
	s_delay_alu instid0(VALU_DEP_2) | instskip(SKIP_1) | instid1(VALU_DEP_3)
	v_min3_f32 v71, v64, v65, v144
	v_lshlrev_b64 v[64:65], 2, v[86:87]
	v_min_f32_e32 v66, v66, v67
	s_delay_alu instid0(VALU_DEP_1) | instskip(NEXT) | instid1(VALU_DEP_3)
	v_min3_f32 v66, v70, v66, v71
	v_add_co_u32 v64, vcc_lo, v68, v64
	s_delay_alu instid0(VALU_DEP_4)
	v_add_co_ci_u32_e32 v65, vcc_lo, v69, v65, vcc_lo
	global_store_b32 v[64:65], v66, off
.LBB63_122:
	s_or_b32 exec_lo, exec_lo, s4
	v_add_nc_u32_e32 v68, 32, v89
	s_delay_alu instid0(VALU_DEP_1) | instskip(SKIP_2) | instid1(VALU_DEP_3)
	v_mad_i64_i32 v[64:65], null, v68, s6, 0
	v_mad_i64_i32 v[66:67], null, v68, s5, 0
	v_cmp_gt_i32_e64 s4, s9, v68
	v_lshlrev_b64 v[64:65], 2, v[64:65]
	s_delay_alu instid0(VALU_DEP_2) | instskip(NEXT) | instid1(VALU_DEP_3)
	s_and_b32 s8, s0, s4
	v_lshlrev_b64 v[68:69], 2, v[66:67]
	s_delay_alu instid0(VALU_DEP_2) | instskip(NEXT) | instid1(VALU_DEP_3)
	v_add_co_u32 v66, vcc_lo, s12, v64
	v_add_co_ci_u32_e32 v67, vcc_lo, s13, v65, vcc_lo
	s_delay_alu instid0(VALU_DEP_3) | instskip(NEXT) | instid1(VALU_DEP_4)
	v_add_co_u32 v64, vcc_lo, s10, v68
	v_add_co_ci_u32_e32 v65, vcc_lo, s11, v69, vcc_lo
	s_and_saveexec_b32 s7, s8
	s_cbranch_execnz .LBB63_126
; %bb.123:
	s_or_b32 exec_lo, exec_lo, s7
	s_and_b32 s8, s1, s4
	s_delay_alu instid0(SALU_CYCLE_1)
	s_and_saveexec_b32 s7, s8
	s_cbranch_execnz .LBB63_130
.LBB63_124:
	s_or_b32 exec_lo, exec_lo, s7
	s_and_b32 s8, s2, s4
	s_delay_alu instid0(SALU_CYCLE_1)
	s_and_saveexec_b32 s7, s8
	s_cbranch_execnz .LBB63_134
.LBB63_125:
	s_or_b32 exec_lo, exec_lo, s7
	s_and_b32 s7, s3, s4
	s_delay_alu instid0(SALU_CYCLE_1)
	s_and_saveexec_b32 s4, s7
	s_cbranch_execnz .LBB63_138
	s_branch .LBB63_142
.LBB63_126:
	v_cmp_ne_u32_e32 vcc_lo, 1, v88
	s_cbranch_vccnz .LBB63_128
; %bb.127:
	v_lshlrev_b64 v[68:69], 2, v[80:81]
	s_delay_alu instid0(VALU_DEP_1) | instskip(NEXT) | instid1(VALU_DEP_2)
	v_add_co_u32 v68, vcc_lo, v66, v68
	v_add_co_ci_u32_e32 v69, vcc_lo, v67, v69, vcc_lo
	flat_load_b32 v68, v[68:69]
	s_waitcnt vmcnt(0) lgkmcnt(0)
	v_mul_f32_e32 v68, s15, v68
	s_branch .LBB63_129
.LBB63_128:
	v_mov_b32_e32 v68, 0
.LBB63_129:
	v_dual_add_f32 v69, v17, v61 :: v_dual_add_f32 v70, v16, v60
	v_dual_add_f32 v71, v19, v63 :: v_dual_add_f32 v72, v18, v62
	s_delay_alu instid0(VALU_DEP_2) | instskip(SKIP_1) | instid1(VALU_DEP_3)
	v_min3_f32 v73, v70, v69, v143
	v_lshlrev_b64 v[69:70], 2, v[80:81]
	v_min_f32_e32 v71, v72, v71
	s_delay_alu instid0(VALU_DEP_1) | instskip(NEXT) | instid1(VALU_DEP_3)
	v_min3_f32 v71, v68, v71, v73
	v_add_co_u32 v68, vcc_lo, v64, v69
	s_delay_alu instid0(VALU_DEP_4) | instskip(SKIP_3) | instid1(SALU_CYCLE_1)
	v_add_co_ci_u32_e32 v69, vcc_lo, v65, v70, vcc_lo
	global_store_b32 v[68:69], v71, off
	s_or_b32 exec_lo, exec_lo, s7
	s_and_b32 s8, s1, s4
	s_and_saveexec_b32 s7, s8
	s_cbranch_execz .LBB63_124
.LBB63_130:
	v_cmp_ne_u32_e32 vcc_lo, 1, v88
	s_cbranch_vccnz .LBB63_132
; %bb.131:
	v_lshlrev_b64 v[68:69], 2, v[82:83]
	s_delay_alu instid0(VALU_DEP_1) | instskip(NEXT) | instid1(VALU_DEP_2)
	v_add_co_u32 v68, vcc_lo, v66, v68
	v_add_co_ci_u32_e32 v69, vcc_lo, v67, v69, vcc_lo
	flat_load_b32 v68, v[68:69]
	s_waitcnt vmcnt(0) lgkmcnt(0)
	v_mul_f32_e32 v68, s15, v68
	s_branch .LBB63_133
.LBB63_132:
	v_mov_b32_e32 v68, 0
.LBB63_133:
	v_dual_add_f32 v69, v13, v61 :: v_dual_add_f32 v70, v12, v60
	v_dual_add_f32 v71, v15, v63 :: v_dual_add_f32 v72, v14, v62
	s_delay_alu instid0(VALU_DEP_2) | instskip(SKIP_1) | instid1(VALU_DEP_3)
	v_min3_f32 v73, v70, v69, v142
	v_lshlrev_b64 v[69:70], 2, v[82:83]
	v_min_f32_e32 v71, v72, v71
	s_delay_alu instid0(VALU_DEP_1) | instskip(NEXT) | instid1(VALU_DEP_3)
	v_min3_f32 v71, v68, v71, v73
	v_add_co_u32 v68, vcc_lo, v64, v69
	s_delay_alu instid0(VALU_DEP_4) | instskip(SKIP_3) | instid1(SALU_CYCLE_1)
	v_add_co_ci_u32_e32 v69, vcc_lo, v65, v70, vcc_lo
	global_store_b32 v[68:69], v71, off
	s_or_b32 exec_lo, exec_lo, s7
	s_and_b32 s8, s2, s4
	s_and_saveexec_b32 s7, s8
	s_cbranch_execz .LBB63_125
.LBB63_134:
	v_cmp_ne_u32_e32 vcc_lo, 1, v88
	s_cbranch_vccnz .LBB63_136
; %bb.135:
	v_lshlrev_b64 v[68:69], 2, v[84:85]
	s_delay_alu instid0(VALU_DEP_1) | instskip(NEXT) | instid1(VALU_DEP_2)
	v_add_co_u32 v68, vcc_lo, v66, v68
	v_add_co_ci_u32_e32 v69, vcc_lo, v67, v69, vcc_lo
	flat_load_b32 v68, v[68:69]
	s_waitcnt vmcnt(0) lgkmcnt(0)
	v_mul_f32_e32 v68, s15, v68
	s_branch .LBB63_137
.LBB63_136:
	v_mov_b32_e32 v68, 0
.LBB63_137:
	v_dual_add_f32 v69, v9, v61 :: v_dual_add_f32 v70, v8, v60
	v_dual_add_f32 v71, v11, v63 :: v_dual_add_f32 v72, v10, v62
	s_delay_alu instid0(VALU_DEP_2) | instskip(SKIP_1) | instid1(VALU_DEP_3)
	v_min3_f32 v73, v70, v69, v141
	v_lshlrev_b64 v[69:70], 2, v[84:85]
	v_min_f32_e32 v71, v72, v71
	s_delay_alu instid0(VALU_DEP_1) | instskip(NEXT) | instid1(VALU_DEP_3)
	v_min3_f32 v71, v68, v71, v73
	v_add_co_u32 v68, vcc_lo, v64, v69
	s_delay_alu instid0(VALU_DEP_4) | instskip(SKIP_3) | instid1(SALU_CYCLE_1)
	v_add_co_ci_u32_e32 v69, vcc_lo, v65, v70, vcc_lo
	global_store_b32 v[68:69], v71, off
	s_or_b32 exec_lo, exec_lo, s7
	s_and_b32 s7, s3, s4
	s_and_saveexec_b32 s4, s7
	s_cbranch_execz .LBB63_142
.LBB63_138:
	v_cmp_ne_u32_e32 vcc_lo, 1, v88
	s_cbranch_vccnz .LBB63_140
; %bb.139:
	v_lshlrev_b64 v[68:69], 2, v[86:87]
	s_delay_alu instid0(VALU_DEP_1) | instskip(NEXT) | instid1(VALU_DEP_2)
	v_add_co_u32 v66, vcc_lo, v66, v68
	v_add_co_ci_u32_e32 v67, vcc_lo, v67, v69, vcc_lo
	flat_load_b32 v66, v[66:67]
	s_waitcnt vmcnt(0) lgkmcnt(0)
	v_mul_f32_e32 v66, s15, v66
	s_branch .LBB63_141
.LBB63_140:
	v_mov_b32_e32 v66, 0
.LBB63_141:
	v_dual_add_f32 v61, v1, v61 :: v_dual_add_f32 v60, v0, v60
	v_dual_add_f32 v63, v3, v63 :: v_dual_add_f32 v62, v2, v62
	s_delay_alu instid0(VALU_DEP_2) | instskip(SKIP_1) | instid1(VALU_DEP_3)
	v_min3_f32 v67, v60, v61, v140
	v_lshlrev_b64 v[60:61], 2, v[86:87]
	v_min_f32_e32 v62, v62, v63
	s_delay_alu instid0(VALU_DEP_1) | instskip(NEXT) | instid1(VALU_DEP_3)
	v_min3_f32 v62, v66, v62, v67
	v_add_co_u32 v60, vcc_lo, v64, v60
	s_delay_alu instid0(VALU_DEP_4)
	v_add_co_ci_u32_e32 v61, vcc_lo, v65, v61, vcc_lo
	global_store_b32 v[60:61], v62, off
.LBB63_142:
	s_or_b32 exec_lo, exec_lo, s4
	v_add_nc_u32_e32 v64, 40, v89
	s_delay_alu instid0(VALU_DEP_1) | instskip(SKIP_2) | instid1(VALU_DEP_3)
	v_mad_i64_i32 v[60:61], null, v64, s6, 0
	v_mad_i64_i32 v[62:63], null, v64, s5, 0
	v_cmp_gt_i32_e64 s4, s9, v64
	v_lshlrev_b64 v[60:61], 2, v[60:61]
	s_delay_alu instid0(VALU_DEP_2) | instskip(NEXT) | instid1(VALU_DEP_3)
	s_and_b32 s8, s0, s4
	v_lshlrev_b64 v[64:65], 2, v[62:63]
	s_delay_alu instid0(VALU_DEP_2) | instskip(NEXT) | instid1(VALU_DEP_3)
	v_add_co_u32 v62, vcc_lo, s12, v60
	v_add_co_ci_u32_e32 v63, vcc_lo, s13, v61, vcc_lo
	s_delay_alu instid0(VALU_DEP_3) | instskip(NEXT) | instid1(VALU_DEP_4)
	v_add_co_u32 v60, vcc_lo, s10, v64
	v_add_co_ci_u32_e32 v61, vcc_lo, s11, v65, vcc_lo
	s_and_saveexec_b32 s7, s8
	s_cbranch_execnz .LBB63_146
; %bb.143:
	s_or_b32 exec_lo, exec_lo, s7
	s_and_b32 s8, s1, s4
	s_delay_alu instid0(SALU_CYCLE_1)
	s_and_saveexec_b32 s7, s8
	s_cbranch_execnz .LBB63_150
.LBB63_144:
	s_or_b32 exec_lo, exec_lo, s7
	s_and_b32 s8, s2, s4
	s_delay_alu instid0(SALU_CYCLE_1)
	s_and_saveexec_b32 s7, s8
	s_cbranch_execnz .LBB63_154
.LBB63_145:
	s_or_b32 exec_lo, exec_lo, s7
	s_and_b32 s7, s3, s4
	s_delay_alu instid0(SALU_CYCLE_1)
	s_and_saveexec_b32 s4, s7
	s_cbranch_execnz .LBB63_158
	s_branch .LBB63_162
.LBB63_146:
	v_cmp_ne_u32_e32 vcc_lo, 1, v88
	s_cbranch_vccnz .LBB63_148
; %bb.147:
	v_lshlrev_b64 v[64:65], 2, v[80:81]
	s_delay_alu instid0(VALU_DEP_1) | instskip(NEXT) | instid1(VALU_DEP_2)
	v_add_co_u32 v64, vcc_lo, v62, v64
	v_add_co_ci_u32_e32 v65, vcc_lo, v63, v65, vcc_lo
	flat_load_b32 v64, v[64:65]
	s_waitcnt vmcnt(0) lgkmcnt(0)
	v_mul_f32_e32 v64, s15, v64
	s_branch .LBB63_149
.LBB63_148:
	v_mov_b32_e32 v64, 0
.LBB63_149:
	v_dual_add_f32 v65, v17, v57 :: v_dual_add_f32 v66, v16, v56
	v_dual_add_f32 v67, v19, v59 :: v_dual_add_f32 v68, v18, v58
	s_delay_alu instid0(VALU_DEP_2) | instskip(SKIP_1) | instid1(VALU_DEP_3)
	v_min3_f32 v69, v66, v65, v139
	v_lshlrev_b64 v[65:66], 2, v[80:81]
	v_min_f32_e32 v67, v68, v67
	s_delay_alu instid0(VALU_DEP_1) | instskip(NEXT) | instid1(VALU_DEP_3)
	v_min3_f32 v67, v64, v67, v69
	v_add_co_u32 v64, vcc_lo, v60, v65
	s_delay_alu instid0(VALU_DEP_4) | instskip(SKIP_3) | instid1(SALU_CYCLE_1)
	v_add_co_ci_u32_e32 v65, vcc_lo, v61, v66, vcc_lo
	global_store_b32 v[64:65], v67, off
	s_or_b32 exec_lo, exec_lo, s7
	s_and_b32 s8, s1, s4
	s_and_saveexec_b32 s7, s8
	s_cbranch_execz .LBB63_144
.LBB63_150:
	v_cmp_ne_u32_e32 vcc_lo, 1, v88
	s_cbranch_vccnz .LBB63_152
; %bb.151:
	v_lshlrev_b64 v[64:65], 2, v[82:83]
	s_delay_alu instid0(VALU_DEP_1) | instskip(NEXT) | instid1(VALU_DEP_2)
	v_add_co_u32 v64, vcc_lo, v62, v64
	v_add_co_ci_u32_e32 v65, vcc_lo, v63, v65, vcc_lo
	flat_load_b32 v64, v[64:65]
	s_waitcnt vmcnt(0) lgkmcnt(0)
	v_mul_f32_e32 v64, s15, v64
	s_branch .LBB63_153
.LBB63_152:
	v_mov_b32_e32 v64, 0
.LBB63_153:
	v_dual_add_f32 v65, v13, v57 :: v_dual_add_f32 v66, v12, v56
	v_dual_add_f32 v67, v15, v59 :: v_dual_add_f32 v68, v14, v58
	s_delay_alu instid0(VALU_DEP_2) | instskip(SKIP_1) | instid1(VALU_DEP_3)
	v_min3_f32 v69, v66, v65, v138
	v_lshlrev_b64 v[65:66], 2, v[82:83]
	v_min_f32_e32 v67, v68, v67
	s_delay_alu instid0(VALU_DEP_1) | instskip(NEXT) | instid1(VALU_DEP_3)
	v_min3_f32 v67, v64, v67, v69
	v_add_co_u32 v64, vcc_lo, v60, v65
	s_delay_alu instid0(VALU_DEP_4) | instskip(SKIP_3) | instid1(SALU_CYCLE_1)
	v_add_co_ci_u32_e32 v65, vcc_lo, v61, v66, vcc_lo
	global_store_b32 v[64:65], v67, off
	s_or_b32 exec_lo, exec_lo, s7
	s_and_b32 s8, s2, s4
	s_and_saveexec_b32 s7, s8
	s_cbranch_execz .LBB63_145
.LBB63_154:
	v_cmp_ne_u32_e32 vcc_lo, 1, v88
	s_cbranch_vccnz .LBB63_156
; %bb.155:
	v_lshlrev_b64 v[64:65], 2, v[84:85]
	s_delay_alu instid0(VALU_DEP_1) | instskip(NEXT) | instid1(VALU_DEP_2)
	v_add_co_u32 v64, vcc_lo, v62, v64
	v_add_co_ci_u32_e32 v65, vcc_lo, v63, v65, vcc_lo
	flat_load_b32 v64, v[64:65]
	s_waitcnt vmcnt(0) lgkmcnt(0)
	v_mul_f32_e32 v64, s15, v64
	s_branch .LBB63_157
.LBB63_156:
	v_mov_b32_e32 v64, 0
.LBB63_157:
	v_dual_add_f32 v65, v9, v57 :: v_dual_add_f32 v66, v8, v56
	v_dual_add_f32 v67, v11, v59 :: v_dual_add_f32 v68, v10, v58
	s_delay_alu instid0(VALU_DEP_2) | instskip(SKIP_1) | instid1(VALU_DEP_3)
	v_min3_f32 v69, v66, v65, v137
	v_lshlrev_b64 v[65:66], 2, v[84:85]
	v_min_f32_e32 v67, v68, v67
	s_delay_alu instid0(VALU_DEP_1) | instskip(NEXT) | instid1(VALU_DEP_3)
	v_min3_f32 v67, v64, v67, v69
	v_add_co_u32 v64, vcc_lo, v60, v65
	s_delay_alu instid0(VALU_DEP_4) | instskip(SKIP_3) | instid1(SALU_CYCLE_1)
	v_add_co_ci_u32_e32 v65, vcc_lo, v61, v66, vcc_lo
	global_store_b32 v[64:65], v67, off
	s_or_b32 exec_lo, exec_lo, s7
	s_and_b32 s7, s3, s4
	s_and_saveexec_b32 s4, s7
	s_cbranch_execz .LBB63_162
.LBB63_158:
	v_cmp_ne_u32_e32 vcc_lo, 1, v88
	s_cbranch_vccnz .LBB63_160
; %bb.159:
	v_lshlrev_b64 v[64:65], 2, v[86:87]
	s_delay_alu instid0(VALU_DEP_1) | instskip(NEXT) | instid1(VALU_DEP_2)
	v_add_co_u32 v62, vcc_lo, v62, v64
	v_add_co_ci_u32_e32 v63, vcc_lo, v63, v65, vcc_lo
	flat_load_b32 v62, v[62:63]
	s_waitcnt vmcnt(0) lgkmcnt(0)
	v_mul_f32_e32 v62, s15, v62
	s_branch .LBB63_161
.LBB63_160:
	v_mov_b32_e32 v62, 0
.LBB63_161:
	v_dual_add_f32 v57, v1, v57 :: v_dual_add_f32 v56, v0, v56
	v_dual_add_f32 v59, v3, v59 :: v_dual_add_f32 v58, v2, v58
	s_delay_alu instid0(VALU_DEP_2) | instskip(SKIP_1) | instid1(VALU_DEP_3)
	v_min3_f32 v63, v56, v57, v136
	v_lshlrev_b64 v[56:57], 2, v[86:87]
	v_min_f32_e32 v58, v58, v59
	s_delay_alu instid0(VALU_DEP_1) | instskip(NEXT) | instid1(VALU_DEP_3)
	v_min3_f32 v58, v62, v58, v63
	v_add_co_u32 v56, vcc_lo, v60, v56
	s_delay_alu instid0(VALU_DEP_4)
	v_add_co_ci_u32_e32 v57, vcc_lo, v61, v57, vcc_lo
	global_store_b32 v[56:57], v58, off
.LBB63_162:
	s_or_b32 exec_lo, exec_lo, s4
	v_add_nc_u32_e32 v60, 48, v89
	s_delay_alu instid0(VALU_DEP_1) | instskip(SKIP_2) | instid1(VALU_DEP_3)
	v_mad_i64_i32 v[56:57], null, v60, s6, 0
	v_mad_i64_i32 v[58:59], null, v60, s5, 0
	v_cmp_gt_i32_e64 s4, s9, v60
	v_lshlrev_b64 v[56:57], 2, v[56:57]
	s_delay_alu instid0(VALU_DEP_2) | instskip(NEXT) | instid1(VALU_DEP_3)
	s_and_b32 s8, s0, s4
	v_lshlrev_b64 v[60:61], 2, v[58:59]
	s_delay_alu instid0(VALU_DEP_2) | instskip(NEXT) | instid1(VALU_DEP_3)
	v_add_co_u32 v58, vcc_lo, s12, v56
	v_add_co_ci_u32_e32 v59, vcc_lo, s13, v57, vcc_lo
	s_delay_alu instid0(VALU_DEP_3) | instskip(NEXT) | instid1(VALU_DEP_4)
	v_add_co_u32 v56, vcc_lo, s10, v60
	v_add_co_ci_u32_e32 v57, vcc_lo, s11, v61, vcc_lo
	s_and_saveexec_b32 s7, s8
	s_cbranch_execnz .LBB63_166
; %bb.163:
	s_or_b32 exec_lo, exec_lo, s7
	s_and_b32 s8, s1, s4
	s_delay_alu instid0(SALU_CYCLE_1)
	s_and_saveexec_b32 s7, s8
	s_cbranch_execnz .LBB63_170
.LBB63_164:
	s_or_b32 exec_lo, exec_lo, s7
	s_and_b32 s8, s2, s4
	s_delay_alu instid0(SALU_CYCLE_1)
	s_and_saveexec_b32 s7, s8
	s_cbranch_execnz .LBB63_174
.LBB63_165:
	s_or_b32 exec_lo, exec_lo, s7
	s_and_b32 s7, s3, s4
	s_delay_alu instid0(SALU_CYCLE_1)
	s_and_saveexec_b32 s4, s7
	s_cbranch_execnz .LBB63_178
	s_branch .LBB63_182
.LBB63_166:
	v_cmp_ne_u32_e32 vcc_lo, 1, v88
	s_cbranch_vccnz .LBB63_168
; %bb.167:
	v_lshlrev_b64 v[60:61], 2, v[80:81]
	s_delay_alu instid0(VALU_DEP_1) | instskip(NEXT) | instid1(VALU_DEP_2)
	v_add_co_u32 v60, vcc_lo, v58, v60
	v_add_co_ci_u32_e32 v61, vcc_lo, v59, v61, vcc_lo
	flat_load_b32 v60, v[60:61]
	s_waitcnt vmcnt(0) lgkmcnt(0)
	v_mul_f32_e32 v60, s15, v60
	s_branch .LBB63_169
.LBB63_168:
	v_mov_b32_e32 v60, 0
.LBB63_169:
	v_dual_add_f32 v61, v17, v53 :: v_dual_add_f32 v62, v16, v52
	v_dual_add_f32 v63, v19, v55 :: v_dual_add_f32 v64, v18, v54
	s_delay_alu instid0(VALU_DEP_2) | instskip(SKIP_1) | instid1(VALU_DEP_3)
	v_min3_f32 v65, v62, v61, v135
	v_lshlrev_b64 v[61:62], 2, v[80:81]
	v_min_f32_e32 v63, v64, v63
	s_delay_alu instid0(VALU_DEP_1) | instskip(NEXT) | instid1(VALU_DEP_3)
	v_min3_f32 v63, v60, v63, v65
	v_add_co_u32 v60, vcc_lo, v56, v61
	s_delay_alu instid0(VALU_DEP_4) | instskip(SKIP_3) | instid1(SALU_CYCLE_1)
	v_add_co_ci_u32_e32 v61, vcc_lo, v57, v62, vcc_lo
	global_store_b32 v[60:61], v63, off
	s_or_b32 exec_lo, exec_lo, s7
	s_and_b32 s8, s1, s4
	s_and_saveexec_b32 s7, s8
	s_cbranch_execz .LBB63_164
.LBB63_170:
	v_cmp_ne_u32_e32 vcc_lo, 1, v88
	s_cbranch_vccnz .LBB63_172
; %bb.171:
	v_lshlrev_b64 v[60:61], 2, v[82:83]
	s_delay_alu instid0(VALU_DEP_1) | instskip(NEXT) | instid1(VALU_DEP_2)
	v_add_co_u32 v60, vcc_lo, v58, v60
	v_add_co_ci_u32_e32 v61, vcc_lo, v59, v61, vcc_lo
	flat_load_b32 v60, v[60:61]
	s_waitcnt vmcnt(0) lgkmcnt(0)
	v_mul_f32_e32 v60, s15, v60
	s_branch .LBB63_173
.LBB63_172:
	v_mov_b32_e32 v60, 0
.LBB63_173:
	v_dual_add_f32 v61, v13, v53 :: v_dual_add_f32 v62, v12, v52
	v_dual_add_f32 v63, v15, v55 :: v_dual_add_f32 v64, v14, v54
	s_delay_alu instid0(VALU_DEP_2) | instskip(SKIP_1) | instid1(VALU_DEP_3)
	v_min3_f32 v65, v62, v61, v134
	v_lshlrev_b64 v[61:62], 2, v[82:83]
	v_min_f32_e32 v63, v64, v63
	s_delay_alu instid0(VALU_DEP_1) | instskip(NEXT) | instid1(VALU_DEP_3)
	v_min3_f32 v63, v60, v63, v65
	v_add_co_u32 v60, vcc_lo, v56, v61
	s_delay_alu instid0(VALU_DEP_4) | instskip(SKIP_3) | instid1(SALU_CYCLE_1)
	v_add_co_ci_u32_e32 v61, vcc_lo, v57, v62, vcc_lo
	global_store_b32 v[60:61], v63, off
	s_or_b32 exec_lo, exec_lo, s7
	s_and_b32 s8, s2, s4
	s_and_saveexec_b32 s7, s8
	s_cbranch_execz .LBB63_165
.LBB63_174:
	v_cmp_ne_u32_e32 vcc_lo, 1, v88
	s_cbranch_vccnz .LBB63_176
; %bb.175:
	v_lshlrev_b64 v[60:61], 2, v[84:85]
	s_delay_alu instid0(VALU_DEP_1) | instskip(NEXT) | instid1(VALU_DEP_2)
	v_add_co_u32 v60, vcc_lo, v58, v60
	v_add_co_ci_u32_e32 v61, vcc_lo, v59, v61, vcc_lo
	flat_load_b32 v60, v[60:61]
	s_waitcnt vmcnt(0) lgkmcnt(0)
	v_mul_f32_e32 v60, s15, v60
	s_branch .LBB63_177
.LBB63_176:
	v_mov_b32_e32 v60, 0
.LBB63_177:
	v_dual_add_f32 v61, v9, v53 :: v_dual_add_f32 v62, v8, v52
	v_dual_add_f32 v63, v11, v55 :: v_dual_add_f32 v64, v10, v54
	s_delay_alu instid0(VALU_DEP_2) | instskip(SKIP_1) | instid1(VALU_DEP_3)
	v_min3_f32 v65, v62, v61, v133
	v_lshlrev_b64 v[61:62], 2, v[84:85]
	v_min_f32_e32 v63, v64, v63
	s_delay_alu instid0(VALU_DEP_1) | instskip(NEXT) | instid1(VALU_DEP_3)
	v_min3_f32 v63, v60, v63, v65
	v_add_co_u32 v60, vcc_lo, v56, v61
	s_delay_alu instid0(VALU_DEP_4) | instskip(SKIP_3) | instid1(SALU_CYCLE_1)
	v_add_co_ci_u32_e32 v61, vcc_lo, v57, v62, vcc_lo
	global_store_b32 v[60:61], v63, off
	s_or_b32 exec_lo, exec_lo, s7
	s_and_b32 s7, s3, s4
	s_and_saveexec_b32 s4, s7
	s_cbranch_execz .LBB63_182
.LBB63_178:
	v_cmp_ne_u32_e32 vcc_lo, 1, v88
	s_cbranch_vccnz .LBB63_180
; %bb.179:
	v_lshlrev_b64 v[60:61], 2, v[86:87]
	s_delay_alu instid0(VALU_DEP_1) | instskip(NEXT) | instid1(VALU_DEP_2)
	v_add_co_u32 v58, vcc_lo, v58, v60
	v_add_co_ci_u32_e32 v59, vcc_lo, v59, v61, vcc_lo
	flat_load_b32 v58, v[58:59]
	s_waitcnt vmcnt(0) lgkmcnt(0)
	v_mul_f32_e32 v58, s15, v58
	s_branch .LBB63_181
.LBB63_180:
	v_mov_b32_e32 v58, 0
.LBB63_181:
	v_dual_add_f32 v53, v1, v53 :: v_dual_add_f32 v52, v0, v52
	v_dual_add_f32 v55, v3, v55 :: v_dual_add_f32 v54, v2, v54
	s_delay_alu instid0(VALU_DEP_2) | instskip(SKIP_1) | instid1(VALU_DEP_3)
	v_min3_f32 v59, v52, v53, v132
	v_lshlrev_b64 v[52:53], 2, v[86:87]
	v_min_f32_e32 v54, v54, v55
	s_delay_alu instid0(VALU_DEP_1) | instskip(NEXT) | instid1(VALU_DEP_3)
	v_min3_f32 v54, v58, v54, v59
	v_add_co_u32 v52, vcc_lo, v56, v52
	s_delay_alu instid0(VALU_DEP_4)
	v_add_co_ci_u32_e32 v53, vcc_lo, v57, v53, vcc_lo
	global_store_b32 v[52:53], v54, off
.LBB63_182:
	s_or_b32 exec_lo, exec_lo, s4
	v_add_nc_u32_e32 v56, 56, v89
	s_delay_alu instid0(VALU_DEP_1) | instskip(SKIP_2) | instid1(VALU_DEP_3)
	v_mad_i64_i32 v[52:53], null, v56, s6, 0
	v_mad_i64_i32 v[54:55], null, v56, s5, 0
	v_cmp_gt_i32_e64 s4, s9, v56
	v_lshlrev_b64 v[52:53], 2, v[52:53]
	s_delay_alu instid0(VALU_DEP_2) | instskip(NEXT) | instid1(VALU_DEP_3)
	s_and_b32 s8, s0, s4
	v_lshlrev_b64 v[56:57], 2, v[54:55]
	s_delay_alu instid0(VALU_DEP_2) | instskip(NEXT) | instid1(VALU_DEP_3)
	v_add_co_u32 v54, vcc_lo, s12, v52
	v_add_co_ci_u32_e32 v55, vcc_lo, s13, v53, vcc_lo
	s_delay_alu instid0(VALU_DEP_3) | instskip(NEXT) | instid1(VALU_DEP_4)
	v_add_co_u32 v52, vcc_lo, s10, v56
	v_add_co_ci_u32_e32 v53, vcc_lo, s11, v57, vcc_lo
	s_and_saveexec_b32 s7, s8
	s_cbranch_execnz .LBB63_186
; %bb.183:
	s_or_b32 exec_lo, exec_lo, s7
	s_and_b32 s8, s1, s4
	s_delay_alu instid0(SALU_CYCLE_1)
	s_and_saveexec_b32 s7, s8
	s_cbranch_execnz .LBB63_190
.LBB63_184:
	s_or_b32 exec_lo, exec_lo, s7
	s_and_b32 s8, s2, s4
	s_delay_alu instid0(SALU_CYCLE_1)
	s_and_saveexec_b32 s7, s8
	s_cbranch_execnz .LBB63_194
.LBB63_185:
	s_or_b32 exec_lo, exec_lo, s7
	s_and_b32 s7, s3, s4
	s_delay_alu instid0(SALU_CYCLE_1)
	s_and_saveexec_b32 s4, s7
	s_cbranch_execnz .LBB63_198
	s_branch .LBB63_202
.LBB63_186:
	v_cmp_ne_u32_e32 vcc_lo, 1, v88
	s_cbranch_vccnz .LBB63_188
; %bb.187:
	v_lshlrev_b64 v[56:57], 2, v[80:81]
	s_delay_alu instid0(VALU_DEP_1) | instskip(NEXT) | instid1(VALU_DEP_2)
	v_add_co_u32 v56, vcc_lo, v54, v56
	v_add_co_ci_u32_e32 v57, vcc_lo, v55, v57, vcc_lo
	flat_load_b32 v56, v[56:57]
	s_waitcnt vmcnt(0) lgkmcnt(0)
	v_mul_f32_e32 v56, s15, v56
	s_branch .LBB63_189
.LBB63_188:
	v_mov_b32_e32 v56, 0
.LBB63_189:
	v_dual_add_f32 v57, v17, v49 :: v_dual_add_f32 v58, v16, v48
	v_dual_add_f32 v59, v19, v51 :: v_dual_add_f32 v60, v18, v50
	s_delay_alu instid0(VALU_DEP_2) | instskip(SKIP_1) | instid1(VALU_DEP_3)
	v_min3_f32 v61, v58, v57, v131
	v_lshlrev_b64 v[57:58], 2, v[80:81]
	v_min_f32_e32 v59, v60, v59
	s_delay_alu instid0(VALU_DEP_1) | instskip(NEXT) | instid1(VALU_DEP_3)
	v_min3_f32 v59, v56, v59, v61
	v_add_co_u32 v56, vcc_lo, v52, v57
	s_delay_alu instid0(VALU_DEP_4) | instskip(SKIP_3) | instid1(SALU_CYCLE_1)
	v_add_co_ci_u32_e32 v57, vcc_lo, v53, v58, vcc_lo
	global_store_b32 v[56:57], v59, off
	s_or_b32 exec_lo, exec_lo, s7
	s_and_b32 s8, s1, s4
	s_and_saveexec_b32 s7, s8
	s_cbranch_execz .LBB63_184
.LBB63_190:
	v_cmp_ne_u32_e32 vcc_lo, 1, v88
	s_cbranch_vccnz .LBB63_192
; %bb.191:
	v_lshlrev_b64 v[56:57], 2, v[82:83]
	s_delay_alu instid0(VALU_DEP_1) | instskip(NEXT) | instid1(VALU_DEP_2)
	v_add_co_u32 v56, vcc_lo, v54, v56
	v_add_co_ci_u32_e32 v57, vcc_lo, v55, v57, vcc_lo
	flat_load_b32 v56, v[56:57]
	s_waitcnt vmcnt(0) lgkmcnt(0)
	v_mul_f32_e32 v56, s15, v56
	s_branch .LBB63_193
.LBB63_192:
	v_mov_b32_e32 v56, 0
.LBB63_193:
	v_dual_add_f32 v57, v13, v49 :: v_dual_add_f32 v58, v12, v48
	v_dual_add_f32 v59, v15, v51 :: v_dual_add_f32 v60, v14, v50
	s_delay_alu instid0(VALU_DEP_2) | instskip(SKIP_1) | instid1(VALU_DEP_3)
	v_min3_f32 v61, v58, v57, v130
	v_lshlrev_b64 v[57:58], 2, v[82:83]
	v_min_f32_e32 v59, v60, v59
	s_delay_alu instid0(VALU_DEP_1) | instskip(NEXT) | instid1(VALU_DEP_3)
	v_min3_f32 v59, v56, v59, v61
	v_add_co_u32 v56, vcc_lo, v52, v57
	s_delay_alu instid0(VALU_DEP_4) | instskip(SKIP_3) | instid1(SALU_CYCLE_1)
	v_add_co_ci_u32_e32 v57, vcc_lo, v53, v58, vcc_lo
	global_store_b32 v[56:57], v59, off
	s_or_b32 exec_lo, exec_lo, s7
	s_and_b32 s8, s2, s4
	s_and_saveexec_b32 s7, s8
	s_cbranch_execz .LBB63_185
.LBB63_194:
	v_cmp_ne_u32_e32 vcc_lo, 1, v88
	s_cbranch_vccnz .LBB63_196
; %bb.195:
	v_lshlrev_b64 v[56:57], 2, v[84:85]
	s_delay_alu instid0(VALU_DEP_1) | instskip(NEXT) | instid1(VALU_DEP_2)
	v_add_co_u32 v56, vcc_lo, v54, v56
	v_add_co_ci_u32_e32 v57, vcc_lo, v55, v57, vcc_lo
	flat_load_b32 v56, v[56:57]
	s_waitcnt vmcnt(0) lgkmcnt(0)
	v_mul_f32_e32 v56, s15, v56
	s_branch .LBB63_197
.LBB63_196:
	v_mov_b32_e32 v56, 0
.LBB63_197:
	v_dual_add_f32 v57, v9, v49 :: v_dual_add_f32 v58, v8, v48
	v_dual_add_f32 v59, v11, v51 :: v_dual_add_f32 v60, v10, v50
	s_delay_alu instid0(VALU_DEP_2) | instskip(SKIP_1) | instid1(VALU_DEP_3)
	v_min3_f32 v61, v58, v57, v129
	v_lshlrev_b64 v[57:58], 2, v[84:85]
	v_min_f32_e32 v59, v60, v59
	s_delay_alu instid0(VALU_DEP_1) | instskip(NEXT) | instid1(VALU_DEP_3)
	v_min3_f32 v59, v56, v59, v61
	v_add_co_u32 v56, vcc_lo, v52, v57
	s_delay_alu instid0(VALU_DEP_4) | instskip(SKIP_3) | instid1(SALU_CYCLE_1)
	v_add_co_ci_u32_e32 v57, vcc_lo, v53, v58, vcc_lo
	global_store_b32 v[56:57], v59, off
	s_or_b32 exec_lo, exec_lo, s7
	s_and_b32 s7, s3, s4
	s_and_saveexec_b32 s4, s7
	s_cbranch_execz .LBB63_202
.LBB63_198:
	v_cmp_ne_u32_e32 vcc_lo, 1, v88
	s_cbranch_vccnz .LBB63_200
; %bb.199:
	v_lshlrev_b64 v[56:57], 2, v[86:87]
	s_delay_alu instid0(VALU_DEP_1) | instskip(NEXT) | instid1(VALU_DEP_2)
	v_add_co_u32 v54, vcc_lo, v54, v56
	v_add_co_ci_u32_e32 v55, vcc_lo, v55, v57, vcc_lo
	flat_load_b32 v54, v[54:55]
	s_waitcnt vmcnt(0) lgkmcnt(0)
	v_mul_f32_e32 v54, s15, v54
	s_branch .LBB63_201
.LBB63_200:
	v_mov_b32_e32 v54, 0
.LBB63_201:
	v_dual_add_f32 v49, v1, v49 :: v_dual_add_f32 v48, v0, v48
	v_dual_add_f32 v51, v3, v51 :: v_dual_add_f32 v50, v2, v50
	s_delay_alu instid0(VALU_DEP_2) | instskip(SKIP_1) | instid1(VALU_DEP_3)
	v_min3_f32 v55, v48, v49, v128
	v_lshlrev_b64 v[48:49], 2, v[86:87]
	v_min_f32_e32 v50, v50, v51
	s_delay_alu instid0(VALU_DEP_1) | instskip(NEXT) | instid1(VALU_DEP_3)
	v_min3_f32 v50, v54, v50, v55
	v_add_co_u32 v48, vcc_lo, v52, v48
	s_delay_alu instid0(VALU_DEP_4)
	v_add_co_ci_u32_e32 v49, vcc_lo, v53, v49, vcc_lo
	global_store_b32 v[48:49], v50, off
.LBB63_202:
	s_or_b32 exec_lo, exec_lo, s4
	v_add_nc_u32_e32 v52, 64, v89
	s_delay_alu instid0(VALU_DEP_1) | instskip(SKIP_2) | instid1(VALU_DEP_3)
	v_mad_i64_i32 v[48:49], null, v52, s6, 0
	v_mad_i64_i32 v[50:51], null, v52, s5, 0
	v_cmp_gt_i32_e64 s4, s9, v52
	v_lshlrev_b64 v[48:49], 2, v[48:49]
	s_delay_alu instid0(VALU_DEP_2) | instskip(NEXT) | instid1(VALU_DEP_3)
	s_and_b32 s8, s0, s4
	v_lshlrev_b64 v[52:53], 2, v[50:51]
	s_delay_alu instid0(VALU_DEP_2) | instskip(NEXT) | instid1(VALU_DEP_3)
	v_add_co_u32 v50, vcc_lo, s12, v48
	v_add_co_ci_u32_e32 v51, vcc_lo, s13, v49, vcc_lo
	s_delay_alu instid0(VALU_DEP_3) | instskip(NEXT) | instid1(VALU_DEP_4)
	v_add_co_u32 v48, vcc_lo, s10, v52
	v_add_co_ci_u32_e32 v49, vcc_lo, s11, v53, vcc_lo
	s_and_saveexec_b32 s7, s8
	s_cbranch_execnz .LBB63_206
; %bb.203:
	s_or_b32 exec_lo, exec_lo, s7
	s_and_b32 s8, s1, s4
	s_delay_alu instid0(SALU_CYCLE_1)
	s_and_saveexec_b32 s7, s8
	s_cbranch_execnz .LBB63_210
.LBB63_204:
	s_or_b32 exec_lo, exec_lo, s7
	s_and_b32 s8, s2, s4
	s_delay_alu instid0(SALU_CYCLE_1)
	s_and_saveexec_b32 s7, s8
	s_cbranch_execnz .LBB63_214
.LBB63_205:
	s_or_b32 exec_lo, exec_lo, s7
	s_and_b32 s7, s3, s4
	s_delay_alu instid0(SALU_CYCLE_1)
	s_and_saveexec_b32 s4, s7
	s_cbranch_execnz .LBB63_218
	s_branch .LBB63_222
.LBB63_206:
	v_cmp_ne_u32_e32 vcc_lo, 1, v88
	s_cbranch_vccnz .LBB63_208
; %bb.207:
	v_lshlrev_b64 v[52:53], 2, v[80:81]
	s_delay_alu instid0(VALU_DEP_1) | instskip(NEXT) | instid1(VALU_DEP_2)
	v_add_co_u32 v52, vcc_lo, v50, v52
	v_add_co_ci_u32_e32 v53, vcc_lo, v51, v53, vcc_lo
	flat_load_b32 v52, v[52:53]
	s_waitcnt vmcnt(0) lgkmcnt(0)
	v_mul_f32_e32 v52, s15, v52
	s_branch .LBB63_209
.LBB63_208:
	v_mov_b32_e32 v52, 0
.LBB63_209:
	v_dual_add_f32 v53, v17, v45 :: v_dual_add_f32 v54, v16, v44
	v_dual_add_f32 v55, v19, v47 :: v_dual_add_f32 v56, v18, v46
	s_delay_alu instid0(VALU_DEP_2) | instskip(SKIP_1) | instid1(VALU_DEP_3)
	v_min3_f32 v57, v54, v53, v127
	v_lshlrev_b64 v[53:54], 2, v[80:81]
	v_min_f32_e32 v55, v56, v55
	s_delay_alu instid0(VALU_DEP_1) | instskip(NEXT) | instid1(VALU_DEP_3)
	v_min3_f32 v55, v52, v55, v57
	v_add_co_u32 v52, vcc_lo, v48, v53
	s_delay_alu instid0(VALU_DEP_4) | instskip(SKIP_3) | instid1(SALU_CYCLE_1)
	v_add_co_ci_u32_e32 v53, vcc_lo, v49, v54, vcc_lo
	global_store_b32 v[52:53], v55, off
	s_or_b32 exec_lo, exec_lo, s7
	s_and_b32 s8, s1, s4
	s_and_saveexec_b32 s7, s8
	s_cbranch_execz .LBB63_204
.LBB63_210:
	v_cmp_ne_u32_e32 vcc_lo, 1, v88
	s_cbranch_vccnz .LBB63_212
; %bb.211:
	v_lshlrev_b64 v[52:53], 2, v[82:83]
	s_delay_alu instid0(VALU_DEP_1) | instskip(NEXT) | instid1(VALU_DEP_2)
	v_add_co_u32 v52, vcc_lo, v50, v52
	v_add_co_ci_u32_e32 v53, vcc_lo, v51, v53, vcc_lo
	flat_load_b32 v52, v[52:53]
	s_waitcnt vmcnt(0) lgkmcnt(0)
	v_mul_f32_e32 v52, s15, v52
	s_branch .LBB63_213
.LBB63_212:
	v_mov_b32_e32 v52, 0
.LBB63_213:
	v_dual_add_f32 v53, v13, v45 :: v_dual_add_f32 v54, v12, v44
	v_dual_add_f32 v55, v15, v47 :: v_dual_add_f32 v56, v14, v46
	s_delay_alu instid0(VALU_DEP_2) | instskip(SKIP_1) | instid1(VALU_DEP_3)
	v_min3_f32 v57, v54, v53, v126
	v_lshlrev_b64 v[53:54], 2, v[82:83]
	v_min_f32_e32 v55, v56, v55
	s_delay_alu instid0(VALU_DEP_1) | instskip(NEXT) | instid1(VALU_DEP_3)
	v_min3_f32 v55, v52, v55, v57
	v_add_co_u32 v52, vcc_lo, v48, v53
	s_delay_alu instid0(VALU_DEP_4) | instskip(SKIP_3) | instid1(SALU_CYCLE_1)
	v_add_co_ci_u32_e32 v53, vcc_lo, v49, v54, vcc_lo
	global_store_b32 v[52:53], v55, off
	s_or_b32 exec_lo, exec_lo, s7
	s_and_b32 s8, s2, s4
	s_and_saveexec_b32 s7, s8
	s_cbranch_execz .LBB63_205
.LBB63_214:
	v_cmp_ne_u32_e32 vcc_lo, 1, v88
	s_cbranch_vccnz .LBB63_216
; %bb.215:
	v_lshlrev_b64 v[52:53], 2, v[84:85]
	s_delay_alu instid0(VALU_DEP_1) | instskip(NEXT) | instid1(VALU_DEP_2)
	v_add_co_u32 v52, vcc_lo, v50, v52
	v_add_co_ci_u32_e32 v53, vcc_lo, v51, v53, vcc_lo
	flat_load_b32 v52, v[52:53]
	s_waitcnt vmcnt(0) lgkmcnt(0)
	v_mul_f32_e32 v52, s15, v52
	s_branch .LBB63_217
.LBB63_216:
	v_mov_b32_e32 v52, 0
.LBB63_217:
	v_dual_add_f32 v53, v9, v45 :: v_dual_add_f32 v54, v8, v44
	v_dual_add_f32 v55, v11, v47 :: v_dual_add_f32 v56, v10, v46
	s_delay_alu instid0(VALU_DEP_2) | instskip(SKIP_1) | instid1(VALU_DEP_3)
	v_min3_f32 v57, v54, v53, v124
	v_lshlrev_b64 v[53:54], 2, v[84:85]
	v_min_f32_e32 v55, v56, v55
	s_delay_alu instid0(VALU_DEP_1) | instskip(NEXT) | instid1(VALU_DEP_3)
	v_min3_f32 v55, v52, v55, v57
	v_add_co_u32 v52, vcc_lo, v48, v53
	s_delay_alu instid0(VALU_DEP_4) | instskip(SKIP_3) | instid1(SALU_CYCLE_1)
	v_add_co_ci_u32_e32 v53, vcc_lo, v49, v54, vcc_lo
	global_store_b32 v[52:53], v55, off
	s_or_b32 exec_lo, exec_lo, s7
	s_and_b32 s7, s3, s4
	s_and_saveexec_b32 s4, s7
	s_cbranch_execz .LBB63_222
.LBB63_218:
	v_cmp_ne_u32_e32 vcc_lo, 1, v88
	s_cbranch_vccnz .LBB63_220
; %bb.219:
	v_lshlrev_b64 v[52:53], 2, v[86:87]
	s_delay_alu instid0(VALU_DEP_1) | instskip(NEXT) | instid1(VALU_DEP_2)
	v_add_co_u32 v50, vcc_lo, v50, v52
	v_add_co_ci_u32_e32 v51, vcc_lo, v51, v53, vcc_lo
	flat_load_b32 v50, v[50:51]
	s_waitcnt vmcnt(0) lgkmcnt(0)
	v_mul_f32_e32 v50, s15, v50
	s_branch .LBB63_221
.LBB63_220:
	v_mov_b32_e32 v50, 0
.LBB63_221:
	v_dual_add_f32 v45, v1, v45 :: v_dual_add_f32 v44, v0, v44
	v_dual_add_f32 v47, v3, v47 :: v_dual_add_f32 v46, v2, v46
	s_delay_alu instid0(VALU_DEP_2) | instskip(SKIP_1) | instid1(VALU_DEP_3)
	v_min3_f32 v51, v44, v45, v123
	v_lshlrev_b64 v[44:45], 2, v[86:87]
	v_min_f32_e32 v46, v46, v47
	s_delay_alu instid0(VALU_DEP_1) | instskip(NEXT) | instid1(VALU_DEP_3)
	v_min3_f32 v46, v50, v46, v51
	v_add_co_u32 v44, vcc_lo, v48, v44
	s_delay_alu instid0(VALU_DEP_4)
	v_add_co_ci_u32_e32 v45, vcc_lo, v49, v45, vcc_lo
	global_store_b32 v[44:45], v46, off
.LBB63_222:
	s_or_b32 exec_lo, exec_lo, s4
	v_add_nc_u32_e32 v48, 0x48, v89
	s_delay_alu instid0(VALU_DEP_1) | instskip(SKIP_2) | instid1(VALU_DEP_3)
	v_mad_i64_i32 v[44:45], null, v48, s6, 0
	v_mad_i64_i32 v[46:47], null, v48, s5, 0
	v_cmp_gt_i32_e64 s4, s9, v48
	v_lshlrev_b64 v[44:45], 2, v[44:45]
	s_delay_alu instid0(VALU_DEP_2) | instskip(NEXT) | instid1(VALU_DEP_3)
	s_and_b32 s8, s0, s4
	v_lshlrev_b64 v[48:49], 2, v[46:47]
	s_delay_alu instid0(VALU_DEP_2) | instskip(NEXT) | instid1(VALU_DEP_3)
	v_add_co_u32 v46, vcc_lo, s12, v44
	v_add_co_ci_u32_e32 v47, vcc_lo, s13, v45, vcc_lo
	s_delay_alu instid0(VALU_DEP_3) | instskip(NEXT) | instid1(VALU_DEP_4)
	v_add_co_u32 v44, vcc_lo, s10, v48
	v_add_co_ci_u32_e32 v45, vcc_lo, s11, v49, vcc_lo
	s_and_saveexec_b32 s7, s8
	s_cbranch_execnz .LBB63_226
; %bb.223:
	s_or_b32 exec_lo, exec_lo, s7
	s_and_b32 s8, s1, s4
	s_delay_alu instid0(SALU_CYCLE_1)
	s_and_saveexec_b32 s7, s8
	s_cbranch_execnz .LBB63_230
.LBB63_224:
	s_or_b32 exec_lo, exec_lo, s7
	s_and_b32 s8, s2, s4
	s_delay_alu instid0(SALU_CYCLE_1)
	s_and_saveexec_b32 s7, s8
	s_cbranch_execnz .LBB63_234
.LBB63_225:
	s_or_b32 exec_lo, exec_lo, s7
	s_and_b32 s7, s3, s4
	s_delay_alu instid0(SALU_CYCLE_1)
	s_and_saveexec_b32 s4, s7
	s_cbranch_execnz .LBB63_238
	s_branch .LBB63_242
.LBB63_226:
	v_cmp_ne_u32_e32 vcc_lo, 1, v88
	s_cbranch_vccnz .LBB63_228
; %bb.227:
	v_lshlrev_b64 v[48:49], 2, v[80:81]
	s_delay_alu instid0(VALU_DEP_1) | instskip(NEXT) | instid1(VALU_DEP_2)
	v_add_co_u32 v48, vcc_lo, v46, v48
	v_add_co_ci_u32_e32 v49, vcc_lo, v47, v49, vcc_lo
	flat_load_b32 v48, v[48:49]
	s_waitcnt vmcnt(0) lgkmcnt(0)
	v_mul_f32_e32 v48, s15, v48
	s_branch .LBB63_229
.LBB63_228:
	v_mov_b32_e32 v48, 0
.LBB63_229:
	v_dual_add_f32 v49, v17, v41 :: v_dual_add_f32 v50, v16, v40
	v_dual_add_f32 v51, v19, v43 :: v_dual_add_f32 v52, v18, v42
	s_delay_alu instid0(VALU_DEP_2) | instskip(SKIP_1) | instid1(VALU_DEP_3)
	v_min3_f32 v53, v50, v49, v122
	v_lshlrev_b64 v[49:50], 2, v[80:81]
	v_min_f32_e32 v51, v52, v51
	s_delay_alu instid0(VALU_DEP_1) | instskip(NEXT) | instid1(VALU_DEP_3)
	v_min3_f32 v51, v48, v51, v53
	v_add_co_u32 v48, vcc_lo, v44, v49
	s_delay_alu instid0(VALU_DEP_4) | instskip(SKIP_3) | instid1(SALU_CYCLE_1)
	v_add_co_ci_u32_e32 v49, vcc_lo, v45, v50, vcc_lo
	global_store_b32 v[48:49], v51, off
	s_or_b32 exec_lo, exec_lo, s7
	s_and_b32 s8, s1, s4
	s_and_saveexec_b32 s7, s8
	s_cbranch_execz .LBB63_224
.LBB63_230:
	v_cmp_ne_u32_e32 vcc_lo, 1, v88
	s_cbranch_vccnz .LBB63_232
; %bb.231:
	v_lshlrev_b64 v[48:49], 2, v[82:83]
	s_delay_alu instid0(VALU_DEP_1) | instskip(NEXT) | instid1(VALU_DEP_2)
	v_add_co_u32 v48, vcc_lo, v46, v48
	v_add_co_ci_u32_e32 v49, vcc_lo, v47, v49, vcc_lo
	flat_load_b32 v48, v[48:49]
	s_waitcnt vmcnt(0) lgkmcnt(0)
	v_mul_f32_e32 v48, s15, v48
	s_branch .LBB63_233
.LBB63_232:
	v_mov_b32_e32 v48, 0
.LBB63_233:
	v_dual_add_f32 v49, v13, v41 :: v_dual_add_f32 v50, v12, v40
	v_dual_add_f32 v51, v15, v43 :: v_dual_add_f32 v52, v14, v42
	s_delay_alu instid0(VALU_DEP_2) | instskip(SKIP_1) | instid1(VALU_DEP_3)
	v_min3_f32 v53, v50, v49, v121
	v_lshlrev_b64 v[49:50], 2, v[82:83]
	v_min_f32_e32 v51, v52, v51
	s_delay_alu instid0(VALU_DEP_1) | instskip(NEXT) | instid1(VALU_DEP_3)
	v_min3_f32 v51, v48, v51, v53
	v_add_co_u32 v48, vcc_lo, v44, v49
	s_delay_alu instid0(VALU_DEP_4) | instskip(SKIP_3) | instid1(SALU_CYCLE_1)
	v_add_co_ci_u32_e32 v49, vcc_lo, v45, v50, vcc_lo
	global_store_b32 v[48:49], v51, off
	s_or_b32 exec_lo, exec_lo, s7
	s_and_b32 s8, s2, s4
	s_and_saveexec_b32 s7, s8
	s_cbranch_execz .LBB63_225
.LBB63_234:
	v_cmp_ne_u32_e32 vcc_lo, 1, v88
	s_cbranch_vccnz .LBB63_236
; %bb.235:
	v_lshlrev_b64 v[48:49], 2, v[84:85]
	s_delay_alu instid0(VALU_DEP_1) | instskip(NEXT) | instid1(VALU_DEP_2)
	v_add_co_u32 v48, vcc_lo, v46, v48
	v_add_co_ci_u32_e32 v49, vcc_lo, v47, v49, vcc_lo
	flat_load_b32 v48, v[48:49]
	s_waitcnt vmcnt(0) lgkmcnt(0)
	v_mul_f32_e32 v48, s15, v48
	s_branch .LBB63_237
.LBB63_236:
	v_mov_b32_e32 v48, 0
.LBB63_237:
	v_dual_add_f32 v49, v9, v41 :: v_dual_add_f32 v50, v8, v40
	v_dual_add_f32 v51, v11, v43 :: v_dual_add_f32 v52, v10, v42
	s_delay_alu instid0(VALU_DEP_2) | instskip(SKIP_1) | instid1(VALU_DEP_3)
	v_min3_f32 v53, v50, v49, v120
	v_lshlrev_b64 v[49:50], 2, v[84:85]
	v_min_f32_e32 v51, v52, v51
	s_delay_alu instid0(VALU_DEP_1) | instskip(NEXT) | instid1(VALU_DEP_3)
	v_min3_f32 v51, v48, v51, v53
	v_add_co_u32 v48, vcc_lo, v44, v49
	s_delay_alu instid0(VALU_DEP_4) | instskip(SKIP_3) | instid1(SALU_CYCLE_1)
	v_add_co_ci_u32_e32 v49, vcc_lo, v45, v50, vcc_lo
	global_store_b32 v[48:49], v51, off
	s_or_b32 exec_lo, exec_lo, s7
	s_and_b32 s7, s3, s4
	s_and_saveexec_b32 s4, s7
	s_cbranch_execz .LBB63_242
.LBB63_238:
	v_cmp_ne_u32_e32 vcc_lo, 1, v88
	s_cbranch_vccnz .LBB63_240
; %bb.239:
	v_lshlrev_b64 v[48:49], 2, v[86:87]
	s_delay_alu instid0(VALU_DEP_1) | instskip(NEXT) | instid1(VALU_DEP_2)
	v_add_co_u32 v46, vcc_lo, v46, v48
	v_add_co_ci_u32_e32 v47, vcc_lo, v47, v49, vcc_lo
	flat_load_b32 v46, v[46:47]
	s_waitcnt vmcnt(0) lgkmcnt(0)
	v_mul_f32_e32 v46, s15, v46
	s_branch .LBB63_241
.LBB63_240:
	v_mov_b32_e32 v46, 0
.LBB63_241:
	v_dual_add_f32 v41, v1, v41 :: v_dual_add_f32 v40, v0, v40
	v_dual_add_f32 v43, v3, v43 :: v_dual_add_f32 v42, v2, v42
	s_delay_alu instid0(VALU_DEP_2) | instskip(SKIP_1) | instid1(VALU_DEP_3)
	v_min3_f32 v47, v40, v41, v118
	v_lshlrev_b64 v[40:41], 2, v[86:87]
	v_min_f32_e32 v42, v42, v43
	s_delay_alu instid0(VALU_DEP_1) | instskip(NEXT) | instid1(VALU_DEP_3)
	v_min3_f32 v42, v46, v42, v47
	v_add_co_u32 v40, vcc_lo, v44, v40
	s_delay_alu instid0(VALU_DEP_4)
	v_add_co_ci_u32_e32 v41, vcc_lo, v45, v41, vcc_lo
	global_store_b32 v[40:41], v42, off
.LBB63_242:
	s_or_b32 exec_lo, exec_lo, s4
	v_add_nc_u32_e32 v44, 0x50, v89
	s_delay_alu instid0(VALU_DEP_1) | instskip(SKIP_2) | instid1(VALU_DEP_3)
	v_mad_i64_i32 v[40:41], null, v44, s6, 0
	v_mad_i64_i32 v[42:43], null, v44, s5, 0
	v_cmp_gt_i32_e64 s4, s9, v44
	v_lshlrev_b64 v[40:41], 2, v[40:41]
	s_delay_alu instid0(VALU_DEP_2) | instskip(NEXT) | instid1(VALU_DEP_3)
	s_and_b32 s8, s0, s4
	v_lshlrev_b64 v[44:45], 2, v[42:43]
	s_delay_alu instid0(VALU_DEP_2) | instskip(NEXT) | instid1(VALU_DEP_3)
	v_add_co_u32 v42, vcc_lo, s12, v40
	v_add_co_ci_u32_e32 v43, vcc_lo, s13, v41, vcc_lo
	s_delay_alu instid0(VALU_DEP_3) | instskip(NEXT) | instid1(VALU_DEP_4)
	v_add_co_u32 v40, vcc_lo, s10, v44
	v_add_co_ci_u32_e32 v41, vcc_lo, s11, v45, vcc_lo
	s_and_saveexec_b32 s7, s8
	s_cbranch_execnz .LBB63_246
; %bb.243:
	s_or_b32 exec_lo, exec_lo, s7
	s_and_b32 s8, s1, s4
	s_delay_alu instid0(SALU_CYCLE_1)
	s_and_saveexec_b32 s7, s8
	s_cbranch_execnz .LBB63_250
.LBB63_244:
	s_or_b32 exec_lo, exec_lo, s7
	s_and_b32 s8, s2, s4
	s_delay_alu instid0(SALU_CYCLE_1)
	s_and_saveexec_b32 s7, s8
	s_cbranch_execnz .LBB63_254
.LBB63_245:
	s_or_b32 exec_lo, exec_lo, s7
	s_and_b32 s7, s3, s4
	s_delay_alu instid0(SALU_CYCLE_1)
	s_and_saveexec_b32 s4, s7
	s_cbranch_execnz .LBB63_258
	s_branch .LBB63_262
.LBB63_246:
	v_cmp_ne_u32_e32 vcc_lo, 1, v88
	s_cbranch_vccnz .LBB63_248
; %bb.247:
	v_lshlrev_b64 v[44:45], 2, v[80:81]
	s_delay_alu instid0(VALU_DEP_1) | instskip(NEXT) | instid1(VALU_DEP_2)
	v_add_co_u32 v44, vcc_lo, v42, v44
	v_add_co_ci_u32_e32 v45, vcc_lo, v43, v45, vcc_lo
	flat_load_b32 v44, v[44:45]
	s_waitcnt vmcnt(0) lgkmcnt(0)
	v_mul_f32_e32 v44, s15, v44
	s_branch .LBB63_249
.LBB63_248:
	v_mov_b32_e32 v44, 0
.LBB63_249:
	v_dual_add_f32 v45, v17, v37 :: v_dual_add_f32 v46, v16, v36
	v_dual_add_f32 v47, v19, v39 :: v_dual_add_f32 v48, v18, v38
	s_delay_alu instid0(VALU_DEP_2) | instskip(SKIP_1) | instid1(VALU_DEP_3)
	v_min3_f32 v49, v46, v45, v116
	v_lshlrev_b64 v[45:46], 2, v[80:81]
	v_min_f32_e32 v47, v48, v47
	s_delay_alu instid0(VALU_DEP_1) | instskip(NEXT) | instid1(VALU_DEP_3)
	v_min3_f32 v47, v44, v47, v49
	v_add_co_u32 v44, vcc_lo, v40, v45
	s_delay_alu instid0(VALU_DEP_4) | instskip(SKIP_3) | instid1(SALU_CYCLE_1)
	v_add_co_ci_u32_e32 v45, vcc_lo, v41, v46, vcc_lo
	global_store_b32 v[44:45], v47, off
	s_or_b32 exec_lo, exec_lo, s7
	s_and_b32 s8, s1, s4
	s_and_saveexec_b32 s7, s8
	s_cbranch_execz .LBB63_244
.LBB63_250:
	v_cmp_ne_u32_e32 vcc_lo, 1, v88
	s_cbranch_vccnz .LBB63_252
; %bb.251:
	v_lshlrev_b64 v[44:45], 2, v[82:83]
	s_delay_alu instid0(VALU_DEP_1) | instskip(NEXT) | instid1(VALU_DEP_2)
	v_add_co_u32 v44, vcc_lo, v42, v44
	v_add_co_ci_u32_e32 v45, vcc_lo, v43, v45, vcc_lo
	flat_load_b32 v44, v[44:45]
	s_waitcnt vmcnt(0) lgkmcnt(0)
	v_mul_f32_e32 v44, s15, v44
	s_branch .LBB63_253
.LBB63_252:
	v_mov_b32_e32 v44, 0
.LBB63_253:
	v_dual_add_f32 v45, v13, v37 :: v_dual_add_f32 v46, v12, v36
	v_dual_add_f32 v47, v15, v39 :: v_dual_add_f32 v48, v14, v38
	s_delay_alu instid0(VALU_DEP_2) | instskip(SKIP_1) | instid1(VALU_DEP_3)
	v_min3_f32 v49, v46, v45, v115
	v_lshlrev_b64 v[45:46], 2, v[82:83]
	v_min_f32_e32 v47, v48, v47
	s_delay_alu instid0(VALU_DEP_1) | instskip(NEXT) | instid1(VALU_DEP_3)
	v_min3_f32 v47, v44, v47, v49
	v_add_co_u32 v44, vcc_lo, v40, v45
	s_delay_alu instid0(VALU_DEP_4) | instskip(SKIP_3) | instid1(SALU_CYCLE_1)
	v_add_co_ci_u32_e32 v45, vcc_lo, v41, v46, vcc_lo
	global_store_b32 v[44:45], v47, off
	s_or_b32 exec_lo, exec_lo, s7
	s_and_b32 s8, s2, s4
	s_and_saveexec_b32 s7, s8
	s_cbranch_execz .LBB63_245
.LBB63_254:
	v_cmp_ne_u32_e32 vcc_lo, 1, v88
	s_cbranch_vccnz .LBB63_256
; %bb.255:
	v_lshlrev_b64 v[44:45], 2, v[84:85]
	s_delay_alu instid0(VALU_DEP_1) | instskip(NEXT) | instid1(VALU_DEP_2)
	v_add_co_u32 v44, vcc_lo, v42, v44
	v_add_co_ci_u32_e32 v45, vcc_lo, v43, v45, vcc_lo
	flat_load_b32 v44, v[44:45]
	s_waitcnt vmcnt(0) lgkmcnt(0)
	v_mul_f32_e32 v44, s15, v44
	s_branch .LBB63_257
.LBB63_256:
	v_mov_b32_e32 v44, 0
.LBB63_257:
	v_dual_add_f32 v45, v9, v37 :: v_dual_add_f32 v46, v8, v36
	v_dual_add_f32 v47, v11, v39 :: v_dual_add_f32 v48, v10, v38
	s_delay_alu instid0(VALU_DEP_2) | instskip(SKIP_1) | instid1(VALU_DEP_3)
	v_min3_f32 v49, v46, v45, v113
	v_lshlrev_b64 v[45:46], 2, v[84:85]
	v_min_f32_e32 v47, v48, v47
	s_delay_alu instid0(VALU_DEP_1) | instskip(NEXT) | instid1(VALU_DEP_3)
	v_min3_f32 v47, v44, v47, v49
	v_add_co_u32 v44, vcc_lo, v40, v45
	s_delay_alu instid0(VALU_DEP_4) | instskip(SKIP_3) | instid1(SALU_CYCLE_1)
	v_add_co_ci_u32_e32 v45, vcc_lo, v41, v46, vcc_lo
	global_store_b32 v[44:45], v47, off
	s_or_b32 exec_lo, exec_lo, s7
	s_and_b32 s7, s3, s4
	s_and_saveexec_b32 s4, s7
	s_cbranch_execz .LBB63_262
.LBB63_258:
	v_cmp_ne_u32_e32 vcc_lo, 1, v88
	s_cbranch_vccnz .LBB63_260
; %bb.259:
	v_lshlrev_b64 v[44:45], 2, v[86:87]
	s_delay_alu instid0(VALU_DEP_1) | instskip(NEXT) | instid1(VALU_DEP_2)
	v_add_co_u32 v42, vcc_lo, v42, v44
	v_add_co_ci_u32_e32 v43, vcc_lo, v43, v45, vcc_lo
	flat_load_b32 v42, v[42:43]
	s_waitcnt vmcnt(0) lgkmcnt(0)
	v_mul_f32_e32 v42, s15, v42
	s_branch .LBB63_261
.LBB63_260:
	v_mov_b32_e32 v42, 0
.LBB63_261:
	v_dual_add_f32 v37, v1, v37 :: v_dual_add_f32 v36, v0, v36
	v_dual_add_f32 v39, v3, v39 :: v_dual_add_f32 v38, v2, v38
	s_delay_alu instid0(VALU_DEP_2) | instskip(SKIP_1) | instid1(VALU_DEP_3)
	v_min3_f32 v43, v36, v37, v112
	v_lshlrev_b64 v[36:37], 2, v[86:87]
	v_min_f32_e32 v38, v38, v39
	s_delay_alu instid0(VALU_DEP_1) | instskip(NEXT) | instid1(VALU_DEP_3)
	v_min3_f32 v38, v42, v38, v43
	v_add_co_u32 v36, vcc_lo, v40, v36
	s_delay_alu instid0(VALU_DEP_4)
	v_add_co_ci_u32_e32 v37, vcc_lo, v41, v37, vcc_lo
	global_store_b32 v[36:37], v38, off
.LBB63_262:
	s_or_b32 exec_lo, exec_lo, s4
	v_add_nc_u32_e32 v40, 0x58, v89
	s_delay_alu instid0(VALU_DEP_1) | instskip(SKIP_2) | instid1(VALU_DEP_3)
	v_mad_i64_i32 v[36:37], null, v40, s6, 0
	v_mad_i64_i32 v[38:39], null, v40, s5, 0
	v_cmp_gt_i32_e64 s4, s9, v40
	v_lshlrev_b64 v[36:37], 2, v[36:37]
	s_delay_alu instid0(VALU_DEP_2) | instskip(NEXT) | instid1(VALU_DEP_3)
	s_and_b32 s8, s0, s4
	v_lshlrev_b64 v[40:41], 2, v[38:39]
	s_delay_alu instid0(VALU_DEP_2) | instskip(NEXT) | instid1(VALU_DEP_3)
	v_add_co_u32 v38, vcc_lo, s12, v36
	v_add_co_ci_u32_e32 v39, vcc_lo, s13, v37, vcc_lo
	s_delay_alu instid0(VALU_DEP_3) | instskip(NEXT) | instid1(VALU_DEP_4)
	v_add_co_u32 v36, vcc_lo, s10, v40
	v_add_co_ci_u32_e32 v37, vcc_lo, s11, v41, vcc_lo
	s_and_saveexec_b32 s7, s8
	s_cbranch_execnz .LBB63_266
; %bb.263:
	s_or_b32 exec_lo, exec_lo, s7
	s_and_b32 s8, s1, s4
	s_delay_alu instid0(SALU_CYCLE_1)
	s_and_saveexec_b32 s7, s8
	s_cbranch_execnz .LBB63_270
.LBB63_264:
	s_or_b32 exec_lo, exec_lo, s7
	s_and_b32 s8, s2, s4
	s_delay_alu instid0(SALU_CYCLE_1)
	s_and_saveexec_b32 s7, s8
	s_cbranch_execnz .LBB63_274
.LBB63_265:
	s_or_b32 exec_lo, exec_lo, s7
	s_and_b32 s7, s3, s4
	s_delay_alu instid0(SALU_CYCLE_1)
	s_and_saveexec_b32 s4, s7
	s_cbranch_execnz .LBB63_278
	s_branch .LBB63_282
.LBB63_266:
	v_cmp_ne_u32_e32 vcc_lo, 1, v88
	s_cbranch_vccnz .LBB63_268
; %bb.267:
	v_lshlrev_b64 v[40:41], 2, v[80:81]
	s_delay_alu instid0(VALU_DEP_1) | instskip(NEXT) | instid1(VALU_DEP_2)
	v_add_co_u32 v40, vcc_lo, v38, v40
	v_add_co_ci_u32_e32 v41, vcc_lo, v39, v41, vcc_lo
	flat_load_b32 v40, v[40:41]
	s_waitcnt vmcnt(0) lgkmcnt(0)
	v_mul_f32_e32 v40, s15, v40
	s_branch .LBB63_269
.LBB63_268:
	v_mov_b32_e32 v40, 0
.LBB63_269:
	v_dual_add_f32 v41, v17, v33 :: v_dual_add_f32 v42, v16, v32
	v_dual_add_f32 v43, v19, v35 :: v_dual_add_f32 v44, v18, v34
	s_delay_alu instid0(VALU_DEP_2) | instskip(SKIP_1) | instid1(VALU_DEP_3)
	v_min3_f32 v45, v42, v41, v111
	v_lshlrev_b64 v[41:42], 2, v[80:81]
	v_min_f32_e32 v43, v44, v43
	s_delay_alu instid0(VALU_DEP_1) | instskip(NEXT) | instid1(VALU_DEP_3)
	v_min3_f32 v43, v40, v43, v45
	v_add_co_u32 v40, vcc_lo, v36, v41
	s_delay_alu instid0(VALU_DEP_4) | instskip(SKIP_3) | instid1(SALU_CYCLE_1)
	v_add_co_ci_u32_e32 v41, vcc_lo, v37, v42, vcc_lo
	global_store_b32 v[40:41], v43, off
	s_or_b32 exec_lo, exec_lo, s7
	s_and_b32 s8, s1, s4
	s_and_saveexec_b32 s7, s8
	s_cbranch_execz .LBB63_264
.LBB63_270:
	v_cmp_ne_u32_e32 vcc_lo, 1, v88
	s_cbranch_vccnz .LBB63_272
; %bb.271:
	v_lshlrev_b64 v[40:41], 2, v[82:83]
	s_delay_alu instid0(VALU_DEP_1) | instskip(NEXT) | instid1(VALU_DEP_2)
	v_add_co_u32 v40, vcc_lo, v38, v40
	v_add_co_ci_u32_e32 v41, vcc_lo, v39, v41, vcc_lo
	flat_load_b32 v40, v[40:41]
	s_waitcnt vmcnt(0) lgkmcnt(0)
	v_mul_f32_e32 v40, s15, v40
	s_branch .LBB63_273
.LBB63_272:
	v_mov_b32_e32 v40, 0
.LBB63_273:
	v_dual_add_f32 v41, v13, v33 :: v_dual_add_f32 v42, v12, v32
	v_dual_add_f32 v43, v15, v35 :: v_dual_add_f32 v44, v14, v34
	s_delay_alu instid0(VALU_DEP_2) | instskip(SKIP_1) | instid1(VALU_DEP_3)
	v_min3_f32 v45, v42, v41, v110
	v_lshlrev_b64 v[41:42], 2, v[82:83]
	v_min_f32_e32 v43, v44, v43
	s_delay_alu instid0(VALU_DEP_1) | instskip(NEXT) | instid1(VALU_DEP_3)
	v_min3_f32 v43, v40, v43, v45
	v_add_co_u32 v40, vcc_lo, v36, v41
	s_delay_alu instid0(VALU_DEP_4) | instskip(SKIP_3) | instid1(SALU_CYCLE_1)
	v_add_co_ci_u32_e32 v41, vcc_lo, v37, v42, vcc_lo
	global_store_b32 v[40:41], v43, off
	s_or_b32 exec_lo, exec_lo, s7
	s_and_b32 s8, s2, s4
	s_and_saveexec_b32 s7, s8
	s_cbranch_execz .LBB63_265
.LBB63_274:
	v_cmp_ne_u32_e32 vcc_lo, 1, v88
	s_cbranch_vccnz .LBB63_276
; %bb.275:
	v_lshlrev_b64 v[40:41], 2, v[84:85]
	s_delay_alu instid0(VALU_DEP_1) | instskip(NEXT) | instid1(VALU_DEP_2)
	v_add_co_u32 v40, vcc_lo, v38, v40
	v_add_co_ci_u32_e32 v41, vcc_lo, v39, v41, vcc_lo
	flat_load_b32 v40, v[40:41]
	s_waitcnt vmcnt(0) lgkmcnt(0)
	v_mul_f32_e32 v40, s15, v40
	s_branch .LBB63_277
.LBB63_276:
	v_mov_b32_e32 v40, 0
.LBB63_277:
	v_dual_add_f32 v41, v9, v33 :: v_dual_add_f32 v42, v8, v32
	v_dual_add_f32 v43, v11, v35 :: v_dual_add_f32 v44, v10, v34
	s_delay_alu instid0(VALU_DEP_2) | instskip(SKIP_1) | instid1(VALU_DEP_3)
	v_min3_f32 v45, v42, v41, v109
	v_lshlrev_b64 v[41:42], 2, v[84:85]
	v_min_f32_e32 v43, v44, v43
	s_delay_alu instid0(VALU_DEP_1) | instskip(NEXT) | instid1(VALU_DEP_3)
	v_min3_f32 v43, v40, v43, v45
	v_add_co_u32 v40, vcc_lo, v36, v41
	s_delay_alu instid0(VALU_DEP_4) | instskip(SKIP_3) | instid1(SALU_CYCLE_1)
	v_add_co_ci_u32_e32 v41, vcc_lo, v37, v42, vcc_lo
	global_store_b32 v[40:41], v43, off
	s_or_b32 exec_lo, exec_lo, s7
	s_and_b32 s7, s3, s4
	s_and_saveexec_b32 s4, s7
	s_cbranch_execz .LBB63_282
.LBB63_278:
	v_cmp_ne_u32_e32 vcc_lo, 1, v88
	s_cbranch_vccnz .LBB63_280
; %bb.279:
	v_lshlrev_b64 v[40:41], 2, v[86:87]
	s_delay_alu instid0(VALU_DEP_1) | instskip(NEXT) | instid1(VALU_DEP_2)
	v_add_co_u32 v38, vcc_lo, v38, v40
	v_add_co_ci_u32_e32 v39, vcc_lo, v39, v41, vcc_lo
	flat_load_b32 v38, v[38:39]
	s_waitcnt vmcnt(0) lgkmcnt(0)
	v_mul_f32_e32 v38, s15, v38
	s_branch .LBB63_281
.LBB63_280:
	v_mov_b32_e32 v38, 0
.LBB63_281:
	v_dual_add_f32 v33, v1, v33 :: v_dual_add_f32 v32, v0, v32
	v_dual_add_f32 v35, v3, v35 :: v_dual_add_f32 v34, v2, v34
	s_delay_alu instid0(VALU_DEP_2) | instskip(SKIP_1) | instid1(VALU_DEP_3)
	v_min3_f32 v39, v32, v33, v108
	v_lshlrev_b64 v[32:33], 2, v[86:87]
	v_min_f32_e32 v34, v34, v35
	s_delay_alu instid0(VALU_DEP_1) | instskip(NEXT) | instid1(VALU_DEP_3)
	v_min3_f32 v34, v38, v34, v39
	v_add_co_u32 v32, vcc_lo, v36, v32
	s_delay_alu instid0(VALU_DEP_4)
	v_add_co_ci_u32_e32 v33, vcc_lo, v37, v33, vcc_lo
	global_store_b32 v[32:33], v34, off
.LBB63_282:
	s_or_b32 exec_lo, exec_lo, s4
	v_add_nc_u32_e32 v36, 0x60, v89
	s_delay_alu instid0(VALU_DEP_1) | instskip(SKIP_2) | instid1(VALU_DEP_3)
	v_mad_i64_i32 v[32:33], null, v36, s6, 0
	v_mad_i64_i32 v[34:35], null, v36, s5, 0
	v_cmp_gt_i32_e64 s4, s9, v36
	v_lshlrev_b64 v[32:33], 2, v[32:33]
	s_delay_alu instid0(VALU_DEP_2) | instskip(NEXT) | instid1(VALU_DEP_3)
	s_and_b32 s8, s0, s4
	v_lshlrev_b64 v[36:37], 2, v[34:35]
	s_delay_alu instid0(VALU_DEP_2) | instskip(NEXT) | instid1(VALU_DEP_3)
	v_add_co_u32 v34, vcc_lo, s12, v32
	v_add_co_ci_u32_e32 v35, vcc_lo, s13, v33, vcc_lo
	s_delay_alu instid0(VALU_DEP_3) | instskip(NEXT) | instid1(VALU_DEP_4)
	v_add_co_u32 v32, vcc_lo, s10, v36
	v_add_co_ci_u32_e32 v33, vcc_lo, s11, v37, vcc_lo
	s_and_saveexec_b32 s7, s8
	s_cbranch_execnz .LBB63_286
; %bb.283:
	s_or_b32 exec_lo, exec_lo, s7
	s_and_b32 s8, s1, s4
	s_delay_alu instid0(SALU_CYCLE_1)
	s_and_saveexec_b32 s7, s8
	s_cbranch_execnz .LBB63_290
.LBB63_284:
	s_or_b32 exec_lo, exec_lo, s7
	s_and_b32 s8, s2, s4
	s_delay_alu instid0(SALU_CYCLE_1)
	s_and_saveexec_b32 s7, s8
	s_cbranch_execnz .LBB63_294
.LBB63_285:
	s_or_b32 exec_lo, exec_lo, s7
	s_and_b32 s7, s3, s4
	s_delay_alu instid0(SALU_CYCLE_1)
	s_and_saveexec_b32 s4, s7
	s_cbranch_execnz .LBB63_298
	s_branch .LBB63_302
.LBB63_286:
	v_cmp_ne_u32_e32 vcc_lo, 1, v88
	s_cbranch_vccnz .LBB63_288
; %bb.287:
	v_lshlrev_b64 v[36:37], 2, v[80:81]
	s_delay_alu instid0(VALU_DEP_1) | instskip(NEXT) | instid1(VALU_DEP_2)
	v_add_co_u32 v36, vcc_lo, v34, v36
	v_add_co_ci_u32_e32 v37, vcc_lo, v35, v37, vcc_lo
	flat_load_b32 v36, v[36:37]
	s_waitcnt vmcnt(0) lgkmcnt(0)
	v_mul_f32_e32 v36, s15, v36
	s_branch .LBB63_289
.LBB63_288:
	v_mov_b32_e32 v36, 0
.LBB63_289:
	v_dual_add_f32 v37, v17, v29 :: v_dual_add_f32 v38, v16, v28
	v_dual_add_f32 v39, v19, v31 :: v_dual_add_f32 v40, v18, v30
	s_delay_alu instid0(VALU_DEP_2) | instskip(SKIP_1) | instid1(VALU_DEP_3)
	v_min3_f32 v41, v38, v37, v105
	v_lshlrev_b64 v[37:38], 2, v[80:81]
	v_min_f32_e32 v39, v40, v39
	s_delay_alu instid0(VALU_DEP_1) | instskip(NEXT) | instid1(VALU_DEP_3)
	v_min3_f32 v39, v36, v39, v41
	v_add_co_u32 v36, vcc_lo, v32, v37
	s_delay_alu instid0(VALU_DEP_4) | instskip(SKIP_3) | instid1(SALU_CYCLE_1)
	v_add_co_ci_u32_e32 v37, vcc_lo, v33, v38, vcc_lo
	global_store_b32 v[36:37], v39, off
	s_or_b32 exec_lo, exec_lo, s7
	s_and_b32 s8, s1, s4
	s_and_saveexec_b32 s7, s8
	s_cbranch_execz .LBB63_284
.LBB63_290:
	v_cmp_ne_u32_e32 vcc_lo, 1, v88
	s_cbranch_vccnz .LBB63_292
; %bb.291:
	v_lshlrev_b64 v[36:37], 2, v[82:83]
	s_delay_alu instid0(VALU_DEP_1) | instskip(NEXT) | instid1(VALU_DEP_2)
	v_add_co_u32 v36, vcc_lo, v34, v36
	v_add_co_ci_u32_e32 v37, vcc_lo, v35, v37, vcc_lo
	flat_load_b32 v36, v[36:37]
	s_waitcnt vmcnt(0) lgkmcnt(0)
	v_mul_f32_e32 v36, s15, v36
	s_branch .LBB63_293
.LBB63_292:
	v_mov_b32_e32 v36, 0
.LBB63_293:
	v_dual_add_f32 v37, v13, v29 :: v_dual_add_f32 v38, v12, v28
	v_dual_add_f32 v39, v15, v31 :: v_dual_add_f32 v40, v14, v30
	s_delay_alu instid0(VALU_DEP_2) | instskip(SKIP_1) | instid1(VALU_DEP_3)
	v_min3_f32 v41, v38, v37, v104
	v_lshlrev_b64 v[37:38], 2, v[82:83]
	v_min_f32_e32 v39, v40, v39
	s_delay_alu instid0(VALU_DEP_1) | instskip(NEXT) | instid1(VALU_DEP_3)
	v_min3_f32 v39, v36, v39, v41
	v_add_co_u32 v36, vcc_lo, v32, v37
	s_delay_alu instid0(VALU_DEP_4) | instskip(SKIP_3) | instid1(SALU_CYCLE_1)
	v_add_co_ci_u32_e32 v37, vcc_lo, v33, v38, vcc_lo
	global_store_b32 v[36:37], v39, off
	s_or_b32 exec_lo, exec_lo, s7
	s_and_b32 s8, s2, s4
	s_and_saveexec_b32 s7, s8
	s_cbranch_execz .LBB63_285
.LBB63_294:
	v_cmp_ne_u32_e32 vcc_lo, 1, v88
	s_cbranch_vccnz .LBB63_296
; %bb.295:
	v_lshlrev_b64 v[36:37], 2, v[84:85]
	s_delay_alu instid0(VALU_DEP_1) | instskip(NEXT) | instid1(VALU_DEP_2)
	v_add_co_u32 v36, vcc_lo, v34, v36
	v_add_co_ci_u32_e32 v37, vcc_lo, v35, v37, vcc_lo
	flat_load_b32 v36, v[36:37]
	s_waitcnt vmcnt(0) lgkmcnt(0)
	v_mul_f32_e32 v36, s15, v36
	s_branch .LBB63_297
.LBB63_296:
	v_mov_b32_e32 v36, 0
.LBB63_297:
	v_dual_add_f32 v37, v9, v29 :: v_dual_add_f32 v38, v8, v28
	v_dual_add_f32 v39, v11, v31 :: v_dual_add_f32 v40, v10, v30
	s_delay_alu instid0(VALU_DEP_2) | instskip(SKIP_1) | instid1(VALU_DEP_3)
	v_min3_f32 v41, v38, v37, v103
	v_lshlrev_b64 v[37:38], 2, v[84:85]
	v_min_f32_e32 v39, v40, v39
	s_delay_alu instid0(VALU_DEP_1) | instskip(NEXT) | instid1(VALU_DEP_3)
	v_min3_f32 v39, v36, v39, v41
	v_add_co_u32 v36, vcc_lo, v32, v37
	s_delay_alu instid0(VALU_DEP_4) | instskip(SKIP_3) | instid1(SALU_CYCLE_1)
	v_add_co_ci_u32_e32 v37, vcc_lo, v33, v38, vcc_lo
	global_store_b32 v[36:37], v39, off
	s_or_b32 exec_lo, exec_lo, s7
	s_and_b32 s7, s3, s4
	s_and_saveexec_b32 s4, s7
	s_cbranch_execz .LBB63_302
.LBB63_298:
	v_cmp_ne_u32_e32 vcc_lo, 1, v88
	s_cbranch_vccnz .LBB63_300
; %bb.299:
	v_lshlrev_b64 v[36:37], 2, v[86:87]
	s_delay_alu instid0(VALU_DEP_1) | instskip(NEXT) | instid1(VALU_DEP_2)
	v_add_co_u32 v34, vcc_lo, v34, v36
	v_add_co_ci_u32_e32 v35, vcc_lo, v35, v37, vcc_lo
	flat_load_b32 v34, v[34:35]
	s_waitcnt vmcnt(0) lgkmcnt(0)
	v_mul_f32_e32 v34, s15, v34
	s_branch .LBB63_301
.LBB63_300:
	v_mov_b32_e32 v34, 0
.LBB63_301:
	v_dual_add_f32 v29, v1, v29 :: v_dual_add_f32 v28, v0, v28
	v_dual_add_f32 v31, v3, v31 :: v_dual_add_f32 v30, v2, v30
	s_delay_alu instid0(VALU_DEP_2) | instskip(SKIP_1) | instid1(VALU_DEP_3)
	v_min3_f32 v35, v28, v29, v102
	v_lshlrev_b64 v[28:29], 2, v[86:87]
	v_min_f32_e32 v30, v30, v31
	s_delay_alu instid0(VALU_DEP_1) | instskip(NEXT) | instid1(VALU_DEP_3)
	v_min3_f32 v30, v34, v30, v35
	v_add_co_u32 v28, vcc_lo, v32, v28
	s_delay_alu instid0(VALU_DEP_4)
	v_add_co_ci_u32_e32 v29, vcc_lo, v33, v29, vcc_lo
	global_store_b32 v[28:29], v30, off
.LBB63_302:
	s_or_b32 exec_lo, exec_lo, s4
	v_add_nc_u32_e32 v32, 0x68, v89
	s_delay_alu instid0(VALU_DEP_1) | instskip(SKIP_2) | instid1(VALU_DEP_3)
	v_mad_i64_i32 v[28:29], null, v32, s6, 0
	v_mad_i64_i32 v[30:31], null, v32, s5, 0
	v_cmp_gt_i32_e64 s4, s9, v32
	v_lshlrev_b64 v[28:29], 2, v[28:29]
	s_delay_alu instid0(VALU_DEP_2) | instskip(NEXT) | instid1(VALU_DEP_3)
	s_and_b32 s8, s0, s4
	v_lshlrev_b64 v[32:33], 2, v[30:31]
	s_delay_alu instid0(VALU_DEP_2) | instskip(NEXT) | instid1(VALU_DEP_3)
	v_add_co_u32 v30, vcc_lo, s12, v28
	v_add_co_ci_u32_e32 v31, vcc_lo, s13, v29, vcc_lo
	s_delay_alu instid0(VALU_DEP_3) | instskip(NEXT) | instid1(VALU_DEP_4)
	v_add_co_u32 v28, vcc_lo, s10, v32
	v_add_co_ci_u32_e32 v29, vcc_lo, s11, v33, vcc_lo
	s_and_saveexec_b32 s7, s8
	s_cbranch_execnz .LBB63_306
; %bb.303:
	s_or_b32 exec_lo, exec_lo, s7
	s_and_b32 s8, s1, s4
	s_delay_alu instid0(SALU_CYCLE_1)
	s_and_saveexec_b32 s7, s8
	s_cbranch_execnz .LBB63_310
.LBB63_304:
	s_or_b32 exec_lo, exec_lo, s7
	s_and_b32 s8, s2, s4
	s_delay_alu instid0(SALU_CYCLE_1)
	s_and_saveexec_b32 s7, s8
	s_cbranch_execnz .LBB63_314
.LBB63_305:
	s_or_b32 exec_lo, exec_lo, s7
	s_and_b32 s7, s3, s4
	s_delay_alu instid0(SALU_CYCLE_1)
	s_and_saveexec_b32 s4, s7
	s_cbranch_execnz .LBB63_318
	s_branch .LBB63_322
.LBB63_306:
	v_cmp_ne_u32_e32 vcc_lo, 1, v88
	s_cbranch_vccnz .LBB63_308
; %bb.307:
	v_lshlrev_b64 v[32:33], 2, v[80:81]
	s_delay_alu instid0(VALU_DEP_1) | instskip(NEXT) | instid1(VALU_DEP_2)
	v_add_co_u32 v32, vcc_lo, v30, v32
	v_add_co_ci_u32_e32 v33, vcc_lo, v31, v33, vcc_lo
	flat_load_b32 v32, v[32:33]
	s_waitcnt vmcnt(0) lgkmcnt(0)
	v_mul_f32_e32 v32, s15, v32
	s_branch .LBB63_309
.LBB63_308:
	v_mov_b32_e32 v32, 0
.LBB63_309:
	v_dual_add_f32 v33, v17, v25 :: v_dual_add_f32 v34, v16, v24
	v_dual_add_f32 v35, v19, v27 :: v_dual_add_f32 v36, v18, v26
	s_delay_alu instid0(VALU_DEP_2) | instskip(SKIP_1) | instid1(VALU_DEP_3)
	v_min3_f32 v37, v34, v33, v101
	v_lshlrev_b64 v[33:34], 2, v[80:81]
	v_min_f32_e32 v35, v36, v35
	s_delay_alu instid0(VALU_DEP_1) | instskip(NEXT) | instid1(VALU_DEP_3)
	v_min3_f32 v35, v32, v35, v37
	v_add_co_u32 v32, vcc_lo, v28, v33
	s_delay_alu instid0(VALU_DEP_4) | instskip(SKIP_3) | instid1(SALU_CYCLE_1)
	v_add_co_ci_u32_e32 v33, vcc_lo, v29, v34, vcc_lo
	global_store_b32 v[32:33], v35, off
	s_or_b32 exec_lo, exec_lo, s7
	s_and_b32 s8, s1, s4
	s_and_saveexec_b32 s7, s8
	s_cbranch_execz .LBB63_304
.LBB63_310:
	v_cmp_ne_u32_e32 vcc_lo, 1, v88
	s_cbranch_vccnz .LBB63_312
; %bb.311:
	v_lshlrev_b64 v[32:33], 2, v[82:83]
	s_delay_alu instid0(VALU_DEP_1) | instskip(NEXT) | instid1(VALU_DEP_2)
	v_add_co_u32 v32, vcc_lo, v30, v32
	v_add_co_ci_u32_e32 v33, vcc_lo, v31, v33, vcc_lo
	flat_load_b32 v32, v[32:33]
	s_waitcnt vmcnt(0) lgkmcnt(0)
	v_mul_f32_e32 v32, s15, v32
	s_branch .LBB63_313
.LBB63_312:
	v_mov_b32_e32 v32, 0
.LBB63_313:
	v_dual_add_f32 v33, v13, v25 :: v_dual_add_f32 v34, v12, v24
	v_dual_add_f32 v35, v15, v27 :: v_dual_add_f32 v36, v14, v26
	s_delay_alu instid0(VALU_DEP_2) | instskip(SKIP_1) | instid1(VALU_DEP_3)
	v_min3_f32 v37, v34, v33, v99
	v_lshlrev_b64 v[33:34], 2, v[82:83]
	v_min_f32_e32 v35, v36, v35
	s_delay_alu instid0(VALU_DEP_1) | instskip(NEXT) | instid1(VALU_DEP_3)
	v_min3_f32 v35, v32, v35, v37
	v_add_co_u32 v32, vcc_lo, v28, v33
	s_delay_alu instid0(VALU_DEP_4) | instskip(SKIP_3) | instid1(SALU_CYCLE_1)
	v_add_co_ci_u32_e32 v33, vcc_lo, v29, v34, vcc_lo
	global_store_b32 v[32:33], v35, off
	s_or_b32 exec_lo, exec_lo, s7
	s_and_b32 s8, s2, s4
	s_and_saveexec_b32 s7, s8
	s_cbranch_execz .LBB63_305
.LBB63_314:
	v_cmp_ne_u32_e32 vcc_lo, 1, v88
	s_cbranch_vccnz .LBB63_316
; %bb.315:
	v_lshlrev_b64 v[32:33], 2, v[84:85]
	s_delay_alu instid0(VALU_DEP_1) | instskip(NEXT) | instid1(VALU_DEP_2)
	v_add_co_u32 v32, vcc_lo, v30, v32
	v_add_co_ci_u32_e32 v33, vcc_lo, v31, v33, vcc_lo
	flat_load_b32 v32, v[32:33]
	s_waitcnt vmcnt(0) lgkmcnt(0)
	v_mul_f32_e32 v32, s15, v32
	s_branch .LBB63_317
.LBB63_316:
	v_mov_b32_e32 v32, 0
.LBB63_317:
	v_dual_add_f32 v33, v9, v25 :: v_dual_add_f32 v34, v8, v24
	v_dual_add_f32 v35, v11, v27 :: v_dual_add_f32 v36, v10, v26
	s_delay_alu instid0(VALU_DEP_2) | instskip(SKIP_1) | instid1(VALU_DEP_3)
	v_min3_f32 v37, v34, v33, v98
	v_lshlrev_b64 v[33:34], 2, v[84:85]
	v_min_f32_e32 v35, v36, v35
	s_delay_alu instid0(VALU_DEP_1) | instskip(NEXT) | instid1(VALU_DEP_3)
	v_min3_f32 v35, v32, v35, v37
	v_add_co_u32 v32, vcc_lo, v28, v33
	s_delay_alu instid0(VALU_DEP_4) | instskip(SKIP_3) | instid1(SALU_CYCLE_1)
	v_add_co_ci_u32_e32 v33, vcc_lo, v29, v34, vcc_lo
	global_store_b32 v[32:33], v35, off
	s_or_b32 exec_lo, exec_lo, s7
	s_and_b32 s7, s3, s4
	s_and_saveexec_b32 s4, s7
	s_cbranch_execz .LBB63_322
.LBB63_318:
	v_cmp_ne_u32_e32 vcc_lo, 1, v88
	s_cbranch_vccnz .LBB63_320
; %bb.319:
	v_lshlrev_b64 v[32:33], 2, v[86:87]
	s_delay_alu instid0(VALU_DEP_1) | instskip(NEXT) | instid1(VALU_DEP_2)
	v_add_co_u32 v30, vcc_lo, v30, v32
	v_add_co_ci_u32_e32 v31, vcc_lo, v31, v33, vcc_lo
	flat_load_b32 v30, v[30:31]
	s_waitcnt vmcnt(0) lgkmcnt(0)
	v_mul_f32_e32 v30, s15, v30
	s_branch .LBB63_321
.LBB63_320:
	v_mov_b32_e32 v30, 0
.LBB63_321:
	v_dual_add_f32 v25, v1, v25 :: v_dual_add_f32 v24, v0, v24
	v_dual_add_f32 v27, v3, v27 :: v_dual_add_f32 v26, v2, v26
	s_delay_alu instid0(VALU_DEP_2) | instskip(SKIP_1) | instid1(VALU_DEP_3)
	v_min3_f32 v31, v24, v25, v97
	v_lshlrev_b64 v[24:25], 2, v[86:87]
	v_min_f32_e32 v26, v26, v27
	s_delay_alu instid0(VALU_DEP_1) | instskip(NEXT) | instid1(VALU_DEP_3)
	v_min3_f32 v26, v30, v26, v31
	v_add_co_u32 v24, vcc_lo, v28, v24
	s_delay_alu instid0(VALU_DEP_4)
	v_add_co_ci_u32_e32 v25, vcc_lo, v29, v25, vcc_lo
	global_store_b32 v[24:25], v26, off
.LBB63_322:
	s_or_b32 exec_lo, exec_lo, s4
	v_add_nc_u32_e32 v28, 0x70, v89
	s_delay_alu instid0(VALU_DEP_1) | instskip(SKIP_2) | instid1(VALU_DEP_3)
	v_mad_i64_i32 v[24:25], null, v28, s6, 0
	v_mad_i64_i32 v[26:27], null, v28, s5, 0
	v_cmp_gt_i32_e64 s4, s9, v28
	v_lshlrev_b64 v[24:25], 2, v[24:25]
	s_delay_alu instid0(VALU_DEP_2) | instskip(NEXT) | instid1(VALU_DEP_3)
	s_and_b32 s8, s0, s4
	v_lshlrev_b64 v[28:29], 2, v[26:27]
	s_delay_alu instid0(VALU_DEP_2) | instskip(NEXT) | instid1(VALU_DEP_3)
	v_add_co_u32 v26, vcc_lo, s12, v24
	v_add_co_ci_u32_e32 v27, vcc_lo, s13, v25, vcc_lo
	s_delay_alu instid0(VALU_DEP_3) | instskip(NEXT) | instid1(VALU_DEP_4)
	v_add_co_u32 v24, vcc_lo, s10, v28
	v_add_co_ci_u32_e32 v25, vcc_lo, s11, v29, vcc_lo
	s_and_saveexec_b32 s7, s8
	s_cbranch_execnz .LBB63_326
; %bb.323:
	s_or_b32 exec_lo, exec_lo, s7
	s_and_b32 s8, s1, s4
	s_delay_alu instid0(SALU_CYCLE_1)
	s_and_saveexec_b32 s7, s8
	s_cbranch_execnz .LBB63_330
.LBB63_324:
	s_or_b32 exec_lo, exec_lo, s7
	s_and_b32 s8, s2, s4
	s_delay_alu instid0(SALU_CYCLE_1)
	s_and_saveexec_b32 s7, s8
	s_cbranch_execnz .LBB63_334
.LBB63_325:
	s_or_b32 exec_lo, exec_lo, s7
	s_and_b32 s7, s3, s4
	s_delay_alu instid0(SALU_CYCLE_1)
	s_and_saveexec_b32 s4, s7
	s_cbranch_execnz .LBB63_338
	s_branch .LBB63_342
.LBB63_326:
	v_cmp_ne_u32_e32 vcc_lo, 1, v88
	s_cbranch_vccnz .LBB63_328
; %bb.327:
	v_lshlrev_b64 v[28:29], 2, v[80:81]
	s_delay_alu instid0(VALU_DEP_1) | instskip(NEXT) | instid1(VALU_DEP_2)
	v_add_co_u32 v28, vcc_lo, v26, v28
	v_add_co_ci_u32_e32 v29, vcc_lo, v27, v29, vcc_lo
	flat_load_b32 v28, v[28:29]
	s_waitcnt vmcnt(0) lgkmcnt(0)
	v_mul_f32_e32 v28, s15, v28
	s_branch .LBB63_329
.LBB63_328:
	v_mov_b32_e32 v28, 0
.LBB63_329:
	v_dual_add_f32 v29, v17, v21 :: v_dual_add_f32 v30, v16, v20
	v_dual_add_f32 v31, v19, v23 :: v_dual_add_f32 v32, v18, v22
	s_delay_alu instid0(VALU_DEP_2) | instskip(SKIP_1) | instid1(VALU_DEP_3)
	v_min3_f32 v33, v30, v29, v96
	v_lshlrev_b64 v[29:30], 2, v[80:81]
	v_min_f32_e32 v31, v32, v31
	s_delay_alu instid0(VALU_DEP_1) | instskip(NEXT) | instid1(VALU_DEP_3)
	v_min3_f32 v31, v28, v31, v33
	v_add_co_u32 v28, vcc_lo, v24, v29
	s_delay_alu instid0(VALU_DEP_4) | instskip(SKIP_3) | instid1(SALU_CYCLE_1)
	v_add_co_ci_u32_e32 v29, vcc_lo, v25, v30, vcc_lo
	global_store_b32 v[28:29], v31, off
	s_or_b32 exec_lo, exec_lo, s7
	s_and_b32 s8, s1, s4
	s_and_saveexec_b32 s7, s8
	s_cbranch_execz .LBB63_324
.LBB63_330:
	v_cmp_ne_u32_e32 vcc_lo, 1, v88
	s_cbranch_vccnz .LBB63_332
; %bb.331:
	v_lshlrev_b64 v[28:29], 2, v[82:83]
	s_delay_alu instid0(VALU_DEP_1) | instskip(NEXT) | instid1(VALU_DEP_2)
	v_add_co_u32 v28, vcc_lo, v26, v28
	v_add_co_ci_u32_e32 v29, vcc_lo, v27, v29, vcc_lo
	flat_load_b32 v28, v[28:29]
	s_waitcnt vmcnt(0) lgkmcnt(0)
	v_mul_f32_e32 v28, s15, v28
	s_branch .LBB63_333
.LBB63_332:
	v_mov_b32_e32 v28, 0
.LBB63_333:
	v_dual_add_f32 v29, v13, v21 :: v_dual_add_f32 v30, v12, v20
	v_dual_add_f32 v31, v15, v23 :: v_dual_add_f32 v32, v14, v22
	s_delay_alu instid0(VALU_DEP_2) | instskip(SKIP_1) | instid1(VALU_DEP_3)
	v_min3_f32 v33, v30, v29, v95
	v_lshlrev_b64 v[29:30], 2, v[82:83]
	v_min_f32_e32 v31, v32, v31
	s_delay_alu instid0(VALU_DEP_1) | instskip(NEXT) | instid1(VALU_DEP_3)
	v_min3_f32 v31, v28, v31, v33
	v_add_co_u32 v28, vcc_lo, v24, v29
	s_delay_alu instid0(VALU_DEP_4) | instskip(SKIP_3) | instid1(SALU_CYCLE_1)
	v_add_co_ci_u32_e32 v29, vcc_lo, v25, v30, vcc_lo
	global_store_b32 v[28:29], v31, off
	s_or_b32 exec_lo, exec_lo, s7
	s_and_b32 s8, s2, s4
	s_and_saveexec_b32 s7, s8
	s_cbranch_execz .LBB63_325
.LBB63_334:
	v_cmp_ne_u32_e32 vcc_lo, 1, v88
	s_cbranch_vccnz .LBB63_336
; %bb.335:
	v_lshlrev_b64 v[28:29], 2, v[84:85]
	s_delay_alu instid0(VALU_DEP_1) | instskip(NEXT) | instid1(VALU_DEP_2)
	v_add_co_u32 v28, vcc_lo, v26, v28
	v_add_co_ci_u32_e32 v29, vcc_lo, v27, v29, vcc_lo
	flat_load_b32 v28, v[28:29]
	s_waitcnt vmcnt(0) lgkmcnt(0)
	v_mul_f32_e32 v28, s15, v28
	s_branch .LBB63_337
.LBB63_336:
	v_mov_b32_e32 v28, 0
.LBB63_337:
	v_dual_add_f32 v29, v9, v21 :: v_dual_add_f32 v30, v8, v20
	v_dual_add_f32 v31, v11, v23 :: v_dual_add_f32 v32, v10, v22
	s_delay_alu instid0(VALU_DEP_2) | instskip(SKIP_1) | instid1(VALU_DEP_3)
	v_min3_f32 v33, v30, v29, v94
	v_lshlrev_b64 v[29:30], 2, v[84:85]
	v_min_f32_e32 v31, v32, v31
	s_delay_alu instid0(VALU_DEP_1) | instskip(NEXT) | instid1(VALU_DEP_3)
	v_min3_f32 v31, v28, v31, v33
	v_add_co_u32 v28, vcc_lo, v24, v29
	s_delay_alu instid0(VALU_DEP_4) | instskip(SKIP_3) | instid1(SALU_CYCLE_1)
	v_add_co_ci_u32_e32 v29, vcc_lo, v25, v30, vcc_lo
	global_store_b32 v[28:29], v31, off
	s_or_b32 exec_lo, exec_lo, s7
	s_and_b32 s7, s3, s4
	s_and_saveexec_b32 s4, s7
	s_cbranch_execz .LBB63_342
.LBB63_338:
	v_cmp_ne_u32_e32 vcc_lo, 1, v88
	s_cbranch_vccnz .LBB63_340
; %bb.339:
	v_lshlrev_b64 v[28:29], 2, v[86:87]
	s_delay_alu instid0(VALU_DEP_1) | instskip(NEXT) | instid1(VALU_DEP_2)
	v_add_co_u32 v26, vcc_lo, v26, v28
	v_add_co_ci_u32_e32 v27, vcc_lo, v27, v29, vcc_lo
	flat_load_b32 v26, v[26:27]
	s_waitcnt vmcnt(0) lgkmcnt(0)
	v_mul_f32_e32 v26, s15, v26
	s_branch .LBB63_341
.LBB63_340:
	v_mov_b32_e32 v26, 0
.LBB63_341:
	v_dual_add_f32 v21, v1, v21 :: v_dual_add_f32 v20, v0, v20
	v_dual_add_f32 v23, v3, v23 :: v_dual_add_f32 v22, v2, v22
	s_delay_alu instid0(VALU_DEP_2) | instskip(SKIP_1) | instid1(VALU_DEP_3)
	v_min3_f32 v27, v20, v21, v93
	v_lshlrev_b64 v[20:21], 2, v[86:87]
	v_min_f32_e32 v22, v22, v23
	s_delay_alu instid0(VALU_DEP_1) | instskip(NEXT) | instid1(VALU_DEP_3)
	v_min3_f32 v22, v26, v22, v27
	v_add_co_u32 v20, vcc_lo, v24, v20
	s_delay_alu instid0(VALU_DEP_4)
	v_add_co_ci_u32_e32 v21, vcc_lo, v25, v21, vcc_lo
	global_store_b32 v[20:21], v22, off
.LBB63_342:
	s_or_b32 exec_lo, exec_lo, s4
	v_add_nc_u32_e32 v24, 0x78, v89
	s_delay_alu instid0(VALU_DEP_1) | instskip(SKIP_2) | instid1(VALU_DEP_3)
	v_mad_i64_i32 v[20:21], null, v24, s6, 0
	v_mad_i64_i32 v[22:23], null, v24, s5, 0
	v_cmp_gt_i32_e64 s4, s9, v24
	v_lshlrev_b64 v[20:21], 2, v[20:21]
	s_delay_alu instid0(VALU_DEP_2) | instskip(NEXT) | instid1(VALU_DEP_3)
	s_and_b32 s5, s0, s4
	v_lshlrev_b64 v[22:23], 2, v[22:23]
	s_delay_alu instid0(VALU_DEP_2) | instskip(NEXT) | instid1(VALU_DEP_3)
	v_add_co_u32 v24, vcc_lo, s12, v20
	v_add_co_ci_u32_e32 v25, vcc_lo, s13, v21, vcc_lo
	s_delay_alu instid0(VALU_DEP_3) | instskip(NEXT) | instid1(VALU_DEP_4)
	v_add_co_u32 v22, vcc_lo, s10, v22
	v_add_co_ci_u32_e32 v23, vcc_lo, s11, v23, vcc_lo
	s_and_saveexec_b32 s0, s5
	s_cbranch_execnz .LBB63_347
; %bb.343:
	s_or_b32 exec_lo, exec_lo, s0
	s_and_b32 s1, s1, s4
	s_delay_alu instid0(SALU_CYCLE_1)
	s_and_saveexec_b32 s0, s1
	s_cbranch_execnz .LBB63_351
.LBB63_344:
	s_or_b32 exec_lo, exec_lo, s0
	s_and_b32 s1, s2, s4
	s_delay_alu instid0(SALU_CYCLE_1)
	s_and_saveexec_b32 s0, s1
	s_cbranch_execnz .LBB63_355
.LBB63_345:
	s_or_b32 exec_lo, exec_lo, s0
	s_and_b32 s0, s3, s4
	s_delay_alu instid0(SALU_CYCLE_1)
	s_and_saveexec_b32 s1, s0
	s_cbranch_execnz .LBB63_359
.LBB63_346:
	s_nop 0
	s_sendmsg sendmsg(MSG_DEALLOC_VGPRS)
	s_endpgm
.LBB63_347:
	v_cmp_ne_u32_e32 vcc_lo, 1, v88
	v_lshlrev_b64 v[20:21], 2, v[80:81]
	s_cbranch_vccnz .LBB63_349
; %bb.348:
	s_delay_alu instid0(VALU_DEP_1) | instskip(NEXT) | instid1(VALU_DEP_2)
	v_add_co_u32 v26, vcc_lo, v24, v20
	v_add_co_ci_u32_e32 v27, vcc_lo, v25, v21, vcc_lo
	flat_load_b32 v26, v[26:27]
	s_waitcnt vmcnt(0) lgkmcnt(0)
	v_mul_f32_e32 v26, s15, v26
	s_branch .LBB63_350
.LBB63_349:
	v_mov_b32_e32 v26, 0
.LBB63_350:
	v_dual_add_f32 v17, v17, v5 :: v_dual_add_f32 v16, v16, v4
	v_dual_add_f32 v19, v19, v7 :: v_dual_add_f32 v18, v18, v6
	s_delay_alu instid0(VALU_DEP_2) | instskip(NEXT) | instid1(VALU_DEP_2)
	v_min3_f32 v16, v16, v17, v92
	v_min_f32_e32 v17, v18, v19
	s_delay_alu instid0(VALU_DEP_1)
	v_min3_f32 v18, v26, v17, v16
	v_add_co_u32 v16, vcc_lo, v22, v20
	v_add_co_ci_u32_e32 v17, vcc_lo, v23, v21, vcc_lo
	global_store_b32 v[16:17], v18, off
	s_or_b32 exec_lo, exec_lo, s0
	s_and_b32 s1, s1, s4
	s_delay_alu instid0(SALU_CYCLE_1)
	s_and_saveexec_b32 s0, s1
	s_cbranch_execz .LBB63_344
.LBB63_351:
	v_cmp_ne_u32_e32 vcc_lo, 1, v88
	v_lshlrev_b64 v[16:17], 2, v[82:83]
	s_cbranch_vccnz .LBB63_353
; %bb.352:
	s_delay_alu instid0(VALU_DEP_1) | instskip(NEXT) | instid1(VALU_DEP_2)
	v_add_co_u32 v18, vcc_lo, v24, v16
	v_add_co_ci_u32_e32 v19, vcc_lo, v25, v17, vcc_lo
	flat_load_b32 v18, v[18:19]
	s_waitcnt vmcnt(0) lgkmcnt(0)
	v_mul_f32_e32 v18, s15, v18
	s_branch .LBB63_354
.LBB63_353:
	v_mov_b32_e32 v18, 0
.LBB63_354:
	v_dual_add_f32 v13, v13, v5 :: v_dual_add_f32 v12, v12, v4
	v_dual_add_f32 v15, v15, v7 :: v_dual_add_f32 v14, v14, v6
	s_delay_alu instid0(VALU_DEP_2) | instskip(NEXT) | instid1(VALU_DEP_2)
	v_min3_f32 v12, v12, v13, v91
	v_min_f32_e32 v13, v14, v15
	s_delay_alu instid0(VALU_DEP_1)
	v_min3_f32 v14, v18, v13, v12
	v_add_co_u32 v12, vcc_lo, v22, v16
	v_add_co_ci_u32_e32 v13, vcc_lo, v23, v17, vcc_lo
	global_store_b32 v[12:13], v14, off
	s_or_b32 exec_lo, exec_lo, s0
	s_and_b32 s1, s2, s4
	s_delay_alu instid0(SALU_CYCLE_1)
	s_and_saveexec_b32 s0, s1
	s_cbranch_execz .LBB63_345
.LBB63_355:
	v_cmp_ne_u32_e32 vcc_lo, 1, v88
	v_lshlrev_b64 v[12:13], 2, v[84:85]
	s_cbranch_vccnz .LBB63_357
; %bb.356:
	s_delay_alu instid0(VALU_DEP_1) | instskip(NEXT) | instid1(VALU_DEP_2)
	v_add_co_u32 v14, vcc_lo, v24, v12
	v_add_co_ci_u32_e32 v15, vcc_lo, v25, v13, vcc_lo
	flat_load_b32 v14, v[14:15]
	s_waitcnt vmcnt(0) lgkmcnt(0)
	v_mul_f32_e32 v14, s15, v14
	s_branch .LBB63_358
.LBB63_357:
	v_mov_b32_e32 v14, 0
.LBB63_358:
	v_dual_add_f32 v9, v9, v5 :: v_dual_add_f32 v8, v8, v4
	v_dual_add_f32 v11, v11, v7 :: v_dual_add_f32 v10, v10, v6
	s_delay_alu instid0(VALU_DEP_2) | instskip(NEXT) | instid1(VALU_DEP_2)
	v_min3_f32 v8, v8, v9, v90
	v_min_f32_e32 v9, v10, v11
	s_delay_alu instid0(VALU_DEP_1)
	v_min3_f32 v10, v14, v9, v8
	v_add_co_u32 v8, vcc_lo, v22, v12
	v_add_co_ci_u32_e32 v9, vcc_lo, v23, v13, vcc_lo
	global_store_b32 v[8:9], v10, off
	s_or_b32 exec_lo, exec_lo, s0
	s_and_b32 s0, s3, s4
	s_delay_alu instid0(SALU_CYCLE_1)
	s_and_saveexec_b32 s1, s0
	s_cbranch_execz .LBB63_346
.LBB63_359:
	v_cmp_ne_u32_e32 vcc_lo, 1, v88
	v_lshlrev_b64 v[8:9], 2, v[86:87]
	s_cbranch_vccnz .LBB63_361
; %bb.360:
	s_delay_alu instid0(VALU_DEP_1) | instskip(NEXT) | instid1(VALU_DEP_2)
	v_add_co_u32 v10, vcc_lo, v24, v8
	v_add_co_ci_u32_e32 v11, vcc_lo, v25, v9, vcc_lo
	flat_load_b32 v10, v[10:11]
	s_waitcnt vmcnt(0) lgkmcnt(0)
	v_mul_f32_e32 v10, s15, v10
	s_branch .LBB63_362
.LBB63_361:
	v_mov_b32_e32 v10, 0
.LBB63_362:
	v_dual_add_f32 v1, v1, v5 :: v_dual_add_f32 v0, v0, v4
	v_dual_add_f32 v3, v3, v7 :: v_dual_add_f32 v2, v2, v6
	s_delay_alu instid0(VALU_DEP_2) | instskip(NEXT) | instid1(VALU_DEP_2)
	v_min3_f32 v0, v0, v1, v100
	v_min_f32_e32 v1, v2, v3
	s_delay_alu instid0(VALU_DEP_1)
	v_min3_f32 v2, v10, v1, v0
	v_add_co_u32 v0, vcc_lo, v22, v8
	v_add_co_ci_u32_e32 v1, vcc_lo, v23, v9, vcc_lo
	global_store_b32 v[0:1], v2, off
	s_nop 0
	s_sendmsg sendmsg(MSG_DEALLOC_VGPRS)
	s_endpgm
	.section	.rodata,"a",@progbits
	.p2align	6, 0x0
	.amdhsa_kernel _ZN12_GLOBAL__N_120geam_min_plus_kernelIf15HIP_vector_typeIfLj2EEfLi32ELi8ELi128ELi128ELi4ELi4ELi64ELi4ELi64ELc84ELc78ELb0ELb1ELb1EPKfS3_fEEviiiT16_PT17_ilS7_ilS5_S7_ilPT18_ili26rocblas_geam_ex_operation_
		.amdhsa_group_segment_fixed_size 8192
		.amdhsa_private_segment_fixed_size 0
		.amdhsa_kernarg_size 136
		.amdhsa_user_sgpr_count 14
		.amdhsa_user_sgpr_dispatch_ptr 0
		.amdhsa_user_sgpr_queue_ptr 0
		.amdhsa_user_sgpr_kernarg_segment_ptr 1
		.amdhsa_user_sgpr_dispatch_id 0
		.amdhsa_user_sgpr_private_segment_size 0
		.amdhsa_wavefront_size32 1
		.amdhsa_uses_dynamic_stack 0
		.amdhsa_enable_private_segment 0
		.amdhsa_system_sgpr_workgroup_id_x 1
		.amdhsa_system_sgpr_workgroup_id_y 0
		.amdhsa_system_sgpr_workgroup_id_z 1
		.amdhsa_system_sgpr_workgroup_info 0
		.amdhsa_system_vgpr_workitem_id 1
		.amdhsa_next_free_vgpr 212
		.amdhsa_next_free_sgpr 29
		.amdhsa_reserve_vcc 1
		.amdhsa_float_round_mode_32 0
		.amdhsa_float_round_mode_16_64 0
		.amdhsa_float_denorm_mode_32 3
		.amdhsa_float_denorm_mode_16_64 3
		.amdhsa_dx10_clamp 1
		.amdhsa_ieee_mode 1
		.amdhsa_fp16_overflow 0
		.amdhsa_workgroup_processor_mode 1
		.amdhsa_memory_ordered 1
		.amdhsa_forward_progress 0
		.amdhsa_shared_vgpr_count 0
		.amdhsa_exception_fp_ieee_invalid_op 0
		.amdhsa_exception_fp_denorm_src 0
		.amdhsa_exception_fp_ieee_div_zero 0
		.amdhsa_exception_fp_ieee_overflow 0
		.amdhsa_exception_fp_ieee_underflow 0
		.amdhsa_exception_fp_ieee_inexact 0
		.amdhsa_exception_int_div_zero 0
	.end_amdhsa_kernel
	.section	.text._ZN12_GLOBAL__N_120geam_min_plus_kernelIf15HIP_vector_typeIfLj2EEfLi32ELi8ELi128ELi128ELi4ELi4ELi64ELi4ELi64ELc84ELc78ELb0ELb1ELb1EPKfS3_fEEviiiT16_PT17_ilS7_ilS5_S7_ilPT18_ili26rocblas_geam_ex_operation_,"axG",@progbits,_ZN12_GLOBAL__N_120geam_min_plus_kernelIf15HIP_vector_typeIfLj2EEfLi32ELi8ELi128ELi128ELi4ELi4ELi64ELi4ELi64ELc84ELc78ELb0ELb1ELb1EPKfS3_fEEviiiT16_PT17_ilS7_ilS5_S7_ilPT18_ili26rocblas_geam_ex_operation_,comdat
.Lfunc_end63:
	.size	_ZN12_GLOBAL__N_120geam_min_plus_kernelIf15HIP_vector_typeIfLj2EEfLi32ELi8ELi128ELi128ELi4ELi4ELi64ELi4ELi64ELc84ELc78ELb0ELb1ELb1EPKfS3_fEEviiiT16_PT17_ilS7_ilS5_S7_ilPT18_ili26rocblas_geam_ex_operation_, .Lfunc_end63-_ZN12_GLOBAL__N_120geam_min_plus_kernelIf15HIP_vector_typeIfLj2EEfLi32ELi8ELi128ELi128ELi4ELi4ELi64ELi4ELi64ELc84ELc78ELb0ELb1ELb1EPKfS3_fEEviiiT16_PT17_ilS7_ilS5_S7_ilPT18_ili26rocblas_geam_ex_operation_
                                        ; -- End function
	.section	.AMDGPU.csdata,"",@progbits
; Kernel info:
; codeLenInByte = 22080
; NumSgprs: 31
; NumVgprs: 212
; ScratchSize: 0
; MemoryBound: 0
; FloatMode: 240
; IeeeMode: 1
; LDSByteSize: 8192 bytes/workgroup (compile time only)
; SGPRBlocks: 3
; VGPRBlocks: 26
; NumSGPRsForWavesPerEU: 31
; NumVGPRsForWavesPerEU: 212
; Occupancy: 7
; WaveLimiterHint : 0
; COMPUTE_PGM_RSRC2:SCRATCH_EN: 0
; COMPUTE_PGM_RSRC2:USER_SGPR: 14
; COMPUTE_PGM_RSRC2:TRAP_HANDLER: 0
; COMPUTE_PGM_RSRC2:TGID_X_EN: 1
; COMPUTE_PGM_RSRC2:TGID_Y_EN: 0
; COMPUTE_PGM_RSRC2:TGID_Z_EN: 1
; COMPUTE_PGM_RSRC2:TIDIG_COMP_CNT: 1
	.section	.text._ZN12_GLOBAL__N_120geam_min_plus_kernelIf15HIP_vector_typeIfLj2EEfLi32ELi8ELi128ELi128ELi4ELi4ELi64ELi4ELi64ELc84ELc78ELb1ELb1ELb1EfKffEEviiiT16_PT17_ilS6_ilS4_S6_ilPT18_ili26rocblas_geam_ex_operation_,"axG",@progbits,_ZN12_GLOBAL__N_120geam_min_plus_kernelIf15HIP_vector_typeIfLj2EEfLi32ELi8ELi128ELi128ELi4ELi4ELi64ELi4ELi64ELc84ELc78ELb1ELb1ELb1EfKffEEviiiT16_PT17_ilS6_ilS4_S6_ilPT18_ili26rocblas_geam_ex_operation_,comdat
	.globl	_ZN12_GLOBAL__N_120geam_min_plus_kernelIf15HIP_vector_typeIfLj2EEfLi32ELi8ELi128ELi128ELi4ELi4ELi64ELi4ELi64ELc84ELc78ELb1ELb1ELb1EfKffEEviiiT16_PT17_ilS6_ilS4_S6_ilPT18_ili26rocblas_geam_ex_operation_ ; -- Begin function _ZN12_GLOBAL__N_120geam_min_plus_kernelIf15HIP_vector_typeIfLj2EEfLi32ELi8ELi128ELi128ELi4ELi4ELi64ELi4ELi64ELc84ELc78ELb1ELb1ELb1EfKffEEviiiT16_PT17_ilS6_ilS4_S6_ilPT18_ili26rocblas_geam_ex_operation_
	.p2align	8
	.type	_ZN12_GLOBAL__N_120geam_min_plus_kernelIf15HIP_vector_typeIfLj2EEfLi32ELi8ELi128ELi128ELi4ELi4ELi64ELi4ELi64ELc84ELc78ELb1ELb1ELb1EfKffEEviiiT16_PT17_ilS6_ilS4_S6_ilPT18_ili26rocblas_geam_ex_operation_,@function
_ZN12_GLOBAL__N_120geam_min_plus_kernelIf15HIP_vector_typeIfLj2EEfLi32ELi8ELi128ELi128ELi4ELi4ELi64ELi4ELi64ELc84ELc78ELb1ELb1ELb1EfKffEEviiiT16_PT17_ilS6_ilS4_S6_ilPT18_ili26rocblas_geam_ex_operation_: ; @_ZN12_GLOBAL__N_120geam_min_plus_kernelIf15HIP_vector_typeIfLj2EEfLi32ELi8ELi128ELi128ELi4ELi4ELi64ELi4ELi64ELc84ELc78ELb1ELb1ELb1EfKffEEviiiT16_PT17_ilS6_ilS4_S6_ilPT18_ili26rocblas_geam_ex_operation_
; %bb.0:
	s_clause 0x1
	s_load_b128 s[8:11], s[0:1], 0x0
	s_load_b128 s[4:7], s[0:1], 0x20
	s_waitcnt lgkmcnt(0)
	v_cmp_eq_f32_e64 s2, s11, 0
	s_delay_alu instid0(VALU_DEP_1)
	s_and_b32 vcc_lo, exec_lo, s2
	s_cbranch_vccnz .LBB64_3
; %bb.1:
	s_load_b64 s[12:13], s[0:1], 0x10
	s_mul_i32 s3, s15, s5
	s_mul_hi_u32 s5, s15, s4
	s_mul_i32 s4, s15, s4
	s_add_i32 s5, s5, s3
	s_delay_alu instid0(SALU_CYCLE_1)
	s_lshl_b64 s[4:5], s[4:5], 2
	s_waitcnt lgkmcnt(0)
	s_add_u32 s20, s12, s4
	s_addc_u32 s21, s13, s5
	s_and_not1_b32 vcc_lo, exec_lo, s2
	s_cbranch_vccnz .LBB64_4
.LBB64_2:
	s_mov_b32 s24, 0
	s_mov_b64 s[22:23], 0
	s_cbranch_execz .LBB64_5
	s_branch .LBB64_6
.LBB64_3:
	s_mov_b64 s[20:21], 0
	s_and_not1_b32 vcc_lo, exec_lo, s2
	s_cbranch_vccz .LBB64_2
.LBB64_4:
	s_mov_b32 s24, -1
                                        ; implicit-def: $sgpr22_sgpr23
.LBB64_5:
	s_load_b64 s[2:3], s[0:1], 0x38
	s_mov_b32 s24, 0
	s_waitcnt lgkmcnt(0)
	s_mul_i32 s3, s15, s3
	s_mul_hi_u32 s4, s15, s2
	s_mul_i32 s2, s15, s2
	s_add_i32 s3, s4, s3
	s_delay_alu instid0(SALU_CYCLE_1) | instskip(NEXT) | instid1(SALU_CYCLE_1)
	s_lshl_b64 s[2:3], s[2:3], 2
	s_add_u32 s22, s6, s2
	s_addc_u32 s23, s7, s3
.LBB64_6:
	s_clause 0x1
	s_load_b32 s7, s[0:1], 0x40
	s_load_b128 s[16:19], s[0:1], 0x58
	s_waitcnt lgkmcnt(0)
	v_cmp_eq_f32_e64 s2, s7, 0
	v_cmp_neq_f32_e64 s11, s7, 0
	s_delay_alu instid0(VALU_DEP_2)
	s_and_b32 vcc_lo, exec_lo, s2
	s_cbranch_vccnz .LBB64_8
; %bb.7:
	s_load_b64 s[2:3], s[0:1], 0x48
	s_mul_i32 s4, s15, s17
	s_mul_hi_u32 s5, s15, s16
	s_delay_alu instid0(SALU_CYCLE_1) | instskip(SKIP_1) | instid1(SALU_CYCLE_1)
	s_add_i32 s4, s5, s4
	s_mul_i32 s5, s24, s16
	s_add_i32 s5, s4, s5
	s_mul_i32 s4, s15, s16
	s_delay_alu instid0(SALU_CYCLE_1)
	s_lshl_b64 s[4:5], s[4:5], 2
	s_waitcnt lgkmcnt(0)
	s_add_u32 s12, s2, s4
	s_addc_u32 s13, s3, s5
	s_branch .LBB64_9
.LBB64_8:
	s_mov_b64 s[12:13], 0
.LBB64_9:
	s_add_i32 s2, s8, -1
	v_and_b32_e32 v80, 0x3ff, v0
	s_ashr_i32 s3, s2, 31
	v_bfe_u32 v81, v0, 10, 10
	s_lshr_b32 s3, s3, 25
	s_load_b32 s17, s[0:1], 0x18
	s_add_i32 s2, s2, s3
	v_dual_mov_b32 v2, 0x7f7fffff :: v_dual_and_b32 v83, 3, v80
	s_ashr_i32 s2, s2, 7
	v_lshl_add_u32 v0, v81, 5, v80
	s_add_i32 s3, s2, 1
	s_not_b32 s2, s2
	v_cvt_f32_u32_e32 v1, s3
	v_lshlrev_b32_e32 v84, 2, v83
	v_lshrrev_b32_e32 v0, 2, v0
	s_delay_alu instid0(VALU_DEP_3) | instskip(SKIP_2) | instid1(VALU_DEP_1)
	v_rcp_iflag_f32_e32 v1, v1
	s_waitcnt_depctr 0xfff
	v_mul_f32_e32 v1, 0x4f7ffffe, v1
	v_cvt_u32_f32_e32 v1, v1
	s_delay_alu instid0(VALU_DEP_1) | instskip(SKIP_1) | instid1(VALU_DEP_2)
	v_readfirstlane_b32 s4, v1
	v_mov_b32_e32 v1, 0x7f7fffff
	s_mul_i32 s2, s2, s4
	s_delay_alu instid0(SALU_CYCLE_1) | instskip(NEXT) | instid1(SALU_CYCLE_1)
	s_mul_hi_u32 s2, s4, s2
	s_add_i32 s4, s4, s2
	s_delay_alu instid0(SALU_CYCLE_1) | instskip(NEXT) | instid1(SALU_CYCLE_1)
	s_mul_hi_u32 s2, s14, s4
	s_mul_i32 s4, s2, s3
	s_add_i32 s5, s2, 1
	s_sub_i32 s4, s14, s4
	s_delay_alu instid0(SALU_CYCLE_1)
	s_sub_i32 s6, s4, s3
	s_cmp_ge_u32 s4, s3
	s_cselect_b32 s2, s5, s2
	s_cselect_b32 s4, s6, s4
	s_add_i32 s5, s2, 1
	s_cmp_ge_u32 s4, s3
	s_cselect_b32 s4, s5, s2
	v_cmp_le_i32_e64 s5, s10, v83
	s_mul_i32 s2, s4, s3
	s_delay_alu instid0(SALU_CYCLE_1) | instskip(NEXT) | instid1(SALU_CYCLE_1)
	s_sub_i32 s2, s14, s2
	s_lshl_b32 s14, s2, 7
	v_add_co_u32 v3, s2, s20, v84
	v_add_nc_u32_e32 v126, s14, v0
	v_add_co_ci_u32_e64 v4, null, s21, 0, s2
	s_delay_alu instid0(VALU_DEP_2) | instskip(SKIP_1) | instid1(SALU_CYCLE_1)
	v_cmp_le_i32_e32 vcc_lo, s8, v126
	s_or_b32 s2, s5, vcc_lo
	s_xor_b32 s2, s2, -1
	s_delay_alu instid0(SALU_CYCLE_1)
	s_and_saveexec_b32 s3, s2
	s_cbranch_execz .LBB64_11
; %bb.10:
	s_waitcnt lgkmcnt(0)
	v_mad_i64_i32 v[5:6], null, v126, s17, 0
	s_delay_alu instid0(VALU_DEP_1) | instskip(NEXT) | instid1(VALU_DEP_1)
	v_lshlrev_b64 v[5:6], 2, v[5:6]
	v_add_co_u32 v5, s2, v3, v5
	s_delay_alu instid0(VALU_DEP_1)
	v_add_co_ci_u32_e64 v6, s2, v4, v6, s2
	flat_load_b32 v2, v[5:6]
.LBB64_11:
	s_or_b32 exec_lo, exec_lo, s3
	v_add_nc_u32_e32 v130, 64, v126
	s_delay_alu instid0(VALU_DEP_1) | instskip(NEXT) | instid1(VALU_DEP_1)
	v_cmp_le_i32_e64 s2, s8, v130
	s_or_b32 s3, s5, s2
	s_delay_alu instid0(SALU_CYCLE_1) | instskip(NEXT) | instid1(SALU_CYCLE_1)
	s_xor_b32 s3, s3, -1
	s_and_saveexec_b32 s6, s3
	s_cbranch_execz .LBB64_13
; %bb.12:
	s_waitcnt lgkmcnt(0)
	v_mad_i64_i32 v[5:6], null, v130, s17, 0
	s_delay_alu instid0(VALU_DEP_1) | instskip(NEXT) | instid1(VALU_DEP_1)
	v_lshlrev_b64 v[5:6], 2, v[5:6]
	v_add_co_u32 v5, s3, v3, v5
	s_delay_alu instid0(VALU_DEP_1)
	v_add_co_ci_u32_e64 v6, s3, v4, v6, s3
	flat_load_b32 v1, v[5:6]
.LBB64_13:
	s_or_b32 exec_lo, exec_lo, s6
	s_load_b32 s25, s[0:1], 0x30
	s_lshl_b32 s16, s4, 7
	s_delay_alu instid0(SALU_CYCLE_1) | instskip(SKIP_1) | instid1(VALU_DEP_1)
	v_dual_mov_b32 v7, 0x7f7fffff :: v_dual_add_nc_u32 v152, s16, v0
	v_add_co_u32 v5, s4, s22, v84
	v_add_co_ci_u32_e64 v6, null, s23, 0, s4
	s_delay_alu instid0(VALU_DEP_3) | instskip(SKIP_1) | instid1(VALU_DEP_2)
	v_cmp_le_i32_e64 s3, s9, v152
	v_mov_b32_e32 v8, 0x7f7fffff
	s_or_b32 s4, s5, s3
	s_delay_alu instid0(SALU_CYCLE_1) | instskip(NEXT) | instid1(SALU_CYCLE_1)
	s_xor_b32 s4, s4, -1
	s_and_saveexec_b32 s6, s4
	s_cbranch_execz .LBB64_15
; %bb.14:
	s_waitcnt lgkmcnt(0)
	v_mad_i64_i32 v[8:9], null, v152, s25, 0
	s_delay_alu instid0(VALU_DEP_1) | instskip(NEXT) | instid1(VALU_DEP_1)
	v_lshlrev_b64 v[8:9], 2, v[8:9]
	v_add_co_u32 v8, s4, v5, v8
	s_delay_alu instid0(VALU_DEP_1)
	v_add_co_ci_u32_e64 v9, s4, v6, v9, s4
	flat_load_b32 v8, v[8:9]
.LBB64_15:
	s_or_b32 exec_lo, exec_lo, s6
	v_add_nc_u32_e32 v154, 64, v152
	s_delay_alu instid0(VALU_DEP_1) | instskip(NEXT) | instid1(VALU_DEP_1)
	v_cmp_le_i32_e64 s4, s9, v154
	s_or_b32 s5, s5, s4
	s_delay_alu instid0(SALU_CYCLE_1) | instskip(NEXT) | instid1(SALU_CYCLE_1)
	s_xor_b32 s5, s5, -1
	s_and_saveexec_b32 s6, s5
	s_cbranch_execz .LBB64_17
; %bb.16:
	s_waitcnt lgkmcnt(0)
	v_mad_i64_i32 v[9:10], null, v154, s25, 0
	s_delay_alu instid0(VALU_DEP_1) | instskip(NEXT) | instid1(VALU_DEP_1)
	v_lshlrev_b64 v[9:10], 2, v[9:10]
	v_add_co_u32 v9, s5, v5, v9
	s_delay_alu instid0(VALU_DEP_1)
	v_add_co_ci_u32_e64 v10, s5, v6, v10, s5
	flat_load_b32 v7, v[9:10]
.LBB64_17:
	s_or_b32 exec_lo, exec_lo, s6
	v_or_b32_e32 v9, 4, v83
	v_dual_mov_b32 v155, 0x7f7fffff :: v_dual_mov_b32 v156, 0x7f7fffff
	s_delay_alu instid0(VALU_DEP_2) | instskip(NEXT) | instid1(VALU_DEP_1)
	v_cmp_le_i32_e64 s5, s10, v9
	s_or_b32 s6, s5, vcc_lo
	s_delay_alu instid0(SALU_CYCLE_1) | instskip(NEXT) | instid1(SALU_CYCLE_1)
	s_xor_b32 s6, s6, -1
	s_and_saveexec_b32 s26, s6
	s_cbranch_execz .LBB64_19
; %bb.18:
	s_waitcnt lgkmcnt(0)
	v_mad_i64_i32 v[9:10], null, v126, s17, 0
	s_delay_alu instid0(VALU_DEP_1) | instskip(NEXT) | instid1(VALU_DEP_1)
	v_lshlrev_b64 v[9:10], 2, v[9:10]
	v_add_co_u32 v9, s6, v3, v9
	s_delay_alu instid0(VALU_DEP_1)
	v_add_co_ci_u32_e64 v10, s6, v4, v10, s6
	flat_load_b32 v156, v[9:10] offset:16
.LBB64_19:
	s_or_b32 exec_lo, exec_lo, s26
	s_or_b32 s6, s5, s2
	s_delay_alu instid0(SALU_CYCLE_1) | instskip(NEXT) | instid1(SALU_CYCLE_1)
	s_xor_b32 s6, s6, -1
	s_and_saveexec_b32 s26, s6
	s_cbranch_execz .LBB64_21
; %bb.20:
	s_waitcnt lgkmcnt(0)
	v_mad_i64_i32 v[9:10], null, v130, s17, 0
	s_delay_alu instid0(VALU_DEP_1) | instskip(NEXT) | instid1(VALU_DEP_1)
	v_lshlrev_b64 v[9:10], 2, v[9:10]
	v_add_co_u32 v3, s6, v3, v9
	s_delay_alu instid0(VALU_DEP_1)
	v_add_co_ci_u32_e64 v4, s6, v4, v10, s6
	flat_load_b32 v155, v[3:4] offset:16
.LBB64_21:
	s_or_b32 exec_lo, exec_lo, s26
	v_dual_mov_b32 v157, 0x7f7fffff :: v_dual_mov_b32 v158, 0x7f7fffff
	s_or_b32 s6, s5, s3
	s_delay_alu instid0(SALU_CYCLE_1) | instskip(NEXT) | instid1(SALU_CYCLE_1)
	s_xor_b32 s6, s6, -1
	s_and_saveexec_b32 s26, s6
	s_cbranch_execz .LBB64_23
; %bb.22:
	s_waitcnt lgkmcnt(0)
	v_mad_i64_i32 v[3:4], null, v152, s25, 0
	s_delay_alu instid0(VALU_DEP_1) | instskip(NEXT) | instid1(VALU_DEP_1)
	v_lshlrev_b64 v[3:4], 2, v[3:4]
	v_add_co_u32 v3, s6, v5, v3
	s_delay_alu instid0(VALU_DEP_1)
	v_add_co_ci_u32_e64 v4, s6, v6, v4, s6
	flat_load_b32 v158, v[3:4] offset:16
.LBB64_23:
	s_or_b32 exec_lo, exec_lo, s26
	s_or_b32 s5, s5, s4
	s_delay_alu instid0(SALU_CYCLE_1) | instskip(NEXT) | instid1(SALU_CYCLE_1)
	s_xor_b32 s5, s5, -1
	s_and_saveexec_b32 s6, s5
	s_cbranch_execz .LBB64_25
; %bb.24:
	s_waitcnt lgkmcnt(0)
	v_mad_i64_i32 v[3:4], null, v154, s25, 0
	s_delay_alu instid0(VALU_DEP_1) | instskip(NEXT) | instid1(VALU_DEP_1)
	v_lshlrev_b64 v[3:4], 2, v[3:4]
	v_add_co_u32 v3, s5, v5, v3
	s_delay_alu instid0(VALU_DEP_1)
	v_add_co_ci_u32_e64 v4, s5, v6, v4, s5
	flat_load_b32 v157, v[3:4] offset:16
.LBB64_25:
	s_or_b32 exec_lo, exec_lo, s6
	v_lshl_or_b32 v86, v0, 4, v84
	v_lshlrev_b32_e32 v85, 4, v80
	s_cmp_lt_i32 s10, 9
	s_waitcnt vmcnt(0) lgkmcnt(0)
	ds_store_2addr_stride64_b32 v86, v2, v1 offset1:4
	ds_store_2addr_stride64_b32 v86, v8, v7 offset0:16 offset1:20
	s_waitcnt lgkmcnt(0)
	s_barrier
	buffer_gl0_inv
	ds_load_b128 v[16:19], v85
	ds_load_b128 v[12:15], v85 offset:512
	ds_load_b128 v[8:11], v85 offset:1024
	;; [unrolled: 1-line block ×3, first 2 shown]
	v_lshlrev_b32_e32 v82, 4, v81
	ds_load_b128 v[76:79], v82 offset:4096
	ds_load_b128 v[72:75], v82 offset:4224
	;; [unrolled: 1-line block ×16, first 2 shown]
	ds_store_2addr_stride64_b32 v86, v156, v155 offset0:8 offset1:12
	ds_store_2addr_stride64_b32 v86, v158, v157 offset0:24 offset1:28
	s_waitcnt lgkmcnt(0)
	s_barrier
	buffer_gl0_inv
	v_dual_add_f32 v87, v17, v77 :: v_dual_add_f32 v88, v16, v76
	v_add_f32_e32 v89, v12, v76
	s_delay_alu instid0(VALU_DEP_2) | instskip(SKIP_2) | instid1(VALU_DEP_2)
	v_min3_f32 v87, v88, v87, 0x7f7fffff
	v_add_f32_e32 v88, v13, v77
	v_add_f32_e32 v118, v8, v20
	v_min3_f32 v115, v89, v88, 0x7f7fffff
	v_dual_add_f32 v88, v9, v77 :: v_dual_add_f32 v89, v8, v76
	v_dual_add_f32 v77, v1, v77 :: v_dual_add_f32 v76, v0, v76
	s_delay_alu instid0(VALU_DEP_2) | instskip(NEXT) | instid1(VALU_DEP_2)
	v_min3_f32 v116, v89, v88, 0x7f7fffff
	v_min3_f32 v117, v76, v77, 0x7f7fffff
	v_dual_add_f32 v76, v17, v73 :: v_dual_add_f32 v77, v16, v72
	s_delay_alu instid0(VALU_DEP_1) | instskip(SKIP_1) | instid1(VALU_DEP_1)
	v_min3_f32 v114, v77, v76, 0x7f7fffff
	v_dual_add_f32 v76, v13, v73 :: v_dual_add_f32 v77, v12, v72
	v_min3_f32 v113, v77, v76, 0x7f7fffff
	v_dual_add_f32 v76, v9, v73 :: v_dual_add_f32 v77, v8, v72
	v_dual_add_f32 v73, v1, v73 :: v_dual_add_f32 v72, v0, v72
	s_delay_alu instid0(VALU_DEP_2) | instskip(NEXT) | instid1(VALU_DEP_2)
	v_min3_f32 v112, v77, v76, 0x7f7fffff
	v_min3_f32 v111, v72, v73, 0x7f7fffff
	v_dual_add_f32 v72, v17, v69 :: v_dual_add_f32 v73, v16, v68
	s_delay_alu instid0(VALU_DEP_1) | instskip(SKIP_1) | instid1(VALU_DEP_1)
	v_min3_f32 v110, v73, v72, 0x7f7fffff
	v_dual_add_f32 v72, v13, v69 :: v_dual_add_f32 v73, v12, v68
	;; [unrolled: 10-line block ×13, first 2 shown]
	v_min3_f32 v33, v29, v28, 0x7f7fffff
	v_dual_add_f32 v28, v9, v25 :: v_dual_add_f32 v29, v8, v24
	v_dual_add_f32 v25, v1, v25 :: v_dual_add_f32 v24, v0, v24
	v_add_f32_e32 v8, v8, v4
	s_delay_alu instid0(VALU_DEP_3) | instskip(NEXT) | instid1(VALU_DEP_3)
	v_min3_f32 v32, v29, v28, 0x7f7fffff
	v_min3_f32 v29, v24, v25, 0x7f7fffff
	v_dual_add_f32 v24, v17, v21 :: v_dual_add_f32 v25, v16, v20
	v_dual_add_f32 v16, v16, v4 :: v_dual_add_f32 v17, v17, v5
	s_delay_alu instid0(VALU_DEP_2)
	v_min3_f32 v28, v25, v24, 0x7f7fffff
	v_dual_add_f32 v24, v13, v21 :: v_dual_add_f32 v25, v12, v20
	v_add_f32_e32 v20, v0, v20
	v_add_f32_e32 v0, v0, v4
	;; [unrolled: 1-line block ×4, first 2 shown]
	v_min3_f32 v25, v25, v24, 0x7f7fffff
	v_add_f32_e32 v24, v9, v21
	v_add_f32_e32 v21, v1, v21
	;; [unrolled: 1-line block ×4, first 2 shown]
	v_min3_f32 v16, v16, v17, 0x7f7fffff
	v_add_f32_e32 v9, v9, v5
	v_min3_f32 v20, v20, v21, 0x7f7fffff
	v_min3_f32 v0, v0, v1, 0x7f7fffff
	v_add_f32_e32 v1, v19, v79
	v_min3_f32 v24, v118, v24, 0x7f7fffff
	v_min3_f32 v12, v12, v13, 0x7f7fffff
	;; [unrolled: 1-line block ×3, first 2 shown]
	s_delay_alu instid0(VALU_DEP_4) | instskip(SKIP_1) | instid1(VALU_DEP_1)
	v_min3_f32 v153, v4, v1, v87
	v_dual_add_f32 v1, v15, v79 :: v_dual_add_f32 v4, v14, v78
	v_min3_f32 v151, v4, v1, v115
	v_dual_add_f32 v1, v11, v79 :: v_dual_add_f32 v4, v10, v78
	s_delay_alu instid0(VALU_DEP_1) | instskip(SKIP_1) | instid1(VALU_DEP_1)
	v_min3_f32 v87, v4, v1, v116
	v_dual_add_f32 v1, v3, v79 :: v_dual_add_f32 v4, v2, v78
	v_min3_f32 v150, v4, v1, v117
	v_dual_add_f32 v1, v19, v75 :: v_dual_add_f32 v4, v18, v74
	s_delay_alu instid0(VALU_DEP_1) | instskip(SKIP_1) | instid1(VALU_DEP_1)
	;; [unrolled: 5-line block ×28, first 2 shown]
	v_min3_f32 v94, v4, v1, v28
	v_dual_add_f32 v1, v15, v23 :: v_dual_add_f32 v4, v14, v22
	v_min3_f32 v93, v4, v1, v25
	v_dual_add_f32 v1, v11, v23 :: v_dual_add_f32 v4, v10, v22
	s_delay_alu instid0(VALU_DEP_1) | instskip(SKIP_2) | instid1(VALU_DEP_2)
	v_min3_f32 v92, v4, v1, v24
	v_dual_add_f32 v1, v3, v23 :: v_dual_add_f32 v4, v2, v22
	v_add_f32_e32 v2, v2, v6
	v_min3_f32 v91, v4, v1, v20
	v_dual_add_f32 v1, v19, v7 :: v_dual_add_f32 v4, v18, v6
	s_delay_alu instid0(VALU_DEP_1) | instskip(SKIP_1) | instid1(VALU_DEP_1)
	v_min3_f32 v90, v4, v1, v16
	v_dual_add_f32 v1, v15, v7 :: v_dual_add_f32 v4, v14, v6
	v_min3_f32 v89, v4, v1, v12
	v_dual_add_f32 v1, v11, v7 :: v_dual_add_f32 v4, v10, v6
	s_delay_alu instid0(VALU_DEP_1) | instskip(SKIP_1) | instid1(VALU_DEP_1)
	v_min3_f32 v88, v4, v1, v8
	v_add_f32_e32 v1, v3, v7
	v_min3_f32 v98, v2, v1, v0
	s_cbranch_scc1 .LBB64_44
; %bb.26:
	v_mad_i64_i32 v[0:1], null, v126, s17, 0
	v_mad_i64_i32 v[2:3], null, v130, s17, 0
	;; [unrolled: 1-line block ×4, first 2 shown]
	s_delay_alu instid0(VALU_DEP_4)
	v_lshlrev_b64 v[0:1], 2, v[0:1]
	v_add_nc_u32_e32 v155, 0x1000, v86
	v_lshlrev_b64 v[2:3], 2, v[2:3]
	v_add_nc_u32_e32 v126, 0x1000, v82
	v_add_nc_u32_e32 v130, 0x800, v86
	;; [unrolled: 1-line block ×3, first 2 shown]
	v_add_co_u32 v152, s5, s20, v0
	s_delay_alu instid0(VALU_DEP_1) | instskip(SKIP_2) | instid1(VALU_DEP_1)
	v_add_co_ci_u32_e64 v154, s5, s21, v1, s5
	v_lshlrev_b64 v[0:1], 2, v[4:5]
	v_add_co_u32 v159, s5, s20, v2
	v_add_co_ci_u32_e64 v160, s5, s21, v3, s5
	v_lshlrev_b64 v[2:3], 2, v[6:7]
	s_delay_alu instid0(VALU_DEP_4) | instskip(NEXT) | instid1(VALU_DEP_1)
	v_add_co_u32 v161, s5, s22, v0
	v_add_co_ci_u32_e64 v162, s5, s23, v1, s5
	v_lshl_add_u32 v157, v80, 4, 0x800
	s_delay_alu instid0(VALU_DEP_4)
	v_add_co_u32 v163, s5, s22, v2
	v_lshl_add_u32 v158, v81, 4, 0x1800
	v_add_co_ci_u32_e64 v164, s5, s23, v3, s5
	s_add_i32 s17, s10, -8
	s_mov_b32 s20, 0
	s_branch .LBB64_28
.LBB64_27:                              ;   in Loop: Header=BB64_28 Depth=1
	s_or_b32 exec_lo, exec_lo, s6
	ds_load_b128 v[71:74], v126
	ds_load_b128 v[75:78], v85
	ds_load_b128 v[87:90], v85 offset:512
	ds_load_b128 v[169:172], v85 offset:1024
	;; [unrolled: 1-line block ×18, first 2 shown]
	v_add_co_u32 v159, s5, v159, 32
	s_waitcnt lgkmcnt(18)
	v_dual_add_f32 v11, v76, v72 :: v_dual_add_f32 v14, v75, v71
	s_waitcnt lgkmcnt(17)
	v_dual_add_f32 v15, v88, v72 :: v_dual_add_f32 v18, v87, v71
	;; [unrolled: 2-line block ×3, first 2 shown]
	v_min3_f32 v11, v14, v11, v24
	s_waitcnt lgkmcnt(14)
	v_add_f32_e32 v23, v75, v91
	v_min3_f32 v14, v18, v15, v25
	v_add_f32_e32 v18, v174, v72
	v_min3_f32 v15, v22, v19, v28
	v_dual_add_f32 v19, v173, v71 :: v_dual_add_f32 v22, v76, v92
	v_dual_add_f32 v24, v88, v92 :: v_dual_add_f32 v25, v87, v91
	;; [unrolled: 1-line block ×4, first 2 shown]
	s_delay_alu instid0(VALU_DEP_4)
	v_min3_f32 v0, v19, v18, v0
	v_min3_f32 v18, v23, v22, v29
	v_min3_f32 v19, v25, v24, v32
	v_min3_f32 v22, v71, v28, v33
	v_min3_f32 v23, v79, v72, v36
	s_waitcnt lgkmcnt(13)
	v_dual_add_f32 v24, v76, v96 :: v_dual_add_f32 v25, v75, v95
	v_dual_add_f32 v28, v88, v96 :: v_dual_add_f32 v29, v87, v95
	v_dual_add_f32 v32, v170, v96 :: v_dual_add_f32 v33, v169, v95
	v_dual_add_f32 v36, v174, v96 :: v_dual_add_f32 v71, v173, v95
	s_waitcnt lgkmcnt(12)
	v_dual_add_f32 v72, v76, v100 :: v_dual_add_f32 v79, v75, v99
	v_min3_f32 v1, v25, v24, v1
	v_min3_f32 v24, v29, v28, v37
	;; [unrolled: 1-line block ×5, first 2 shown]
	v_dual_add_f32 v32, v88, v100 :: v_dual_add_f32 v33, v87, v99
	v_dual_add_f32 v36, v170, v100 :: v_dual_add_f32 v37, v169, v99
	;; [unrolled: 1-line block ×3, first 2 shown]
	s_waitcnt lgkmcnt(11)
	v_dual_add_f32 v44, v76, v104 :: v_dual_add_f32 v71, v75, v103
	v_dual_add_f32 v72, v88, v104 :: v_dual_add_f32 v79, v87, v103
	v_min3_f32 v4, v33, v32, v4
	v_min3_f32 v32, v37, v36, v45
	;; [unrolled: 1-line block ×5, first 2 shown]
	v_dual_add_f32 v40, v170, v104 :: v_dual_add_f32 v41, v169, v103
	v_dual_add_f32 v44, v174, v104 :: v_dual_add_f32 v45, v173, v103
	s_waitcnt lgkmcnt(10)
	v_dual_add_f32 v48, v76, v108 :: v_dual_add_f32 v49, v75, v107
	v_dual_add_f32 v52, v88, v108 :: v_dual_add_f32 v71, v87, v107
	;; [unrolled: 1-line block ×3, first 2 shown]
	v_min3_f32 v5, v41, v40, v5
	v_min3_f32 v40, v45, v44, v53
	;; [unrolled: 1-line block ×5, first 2 shown]
	v_dual_add_f32 v48, v174, v108 :: v_dual_add_f32 v49, v173, v107
	s_waitcnt lgkmcnt(9)
	v_dual_add_f32 v52, v76, v112 :: v_dual_add_f32 v53, v75, v111
	v_dual_add_f32 v56, v88, v112 :: v_dual_add_f32 v57, v87, v111
	;; [unrolled: 1-line block ×4, first 2 shown]
	v_min3_f32 v8, v49, v48, v8
	v_min3_f32 v48, v53, v52, v54
	;; [unrolled: 1-line block ×5, first 2 shown]
	s_waitcnt lgkmcnt(8)
	v_dual_add_f32 v54, v76, v116 :: v_dual_add_f32 v55, v75, v115
	v_dual_add_f32 v56, v88, v116 :: v_dual_add_f32 v57, v87, v115
	;; [unrolled: 1-line block ×4, first 2 shown]
	s_waitcnt lgkmcnt(7)
	v_dual_add_f32 v72, v76, v178 :: v_dual_add_f32 v79, v75, v177
	v_min3_f32 v9, v55, v54, v9
	v_min3_f32 v50, v57, v56, v50
	;; [unrolled: 1-line block ×5, first 2 shown]
	v_dual_add_f32 v56, v88, v178 :: v_dual_add_f32 v57, v87, v177
	v_dual_add_f32 v58, v170, v178 :: v_dual_add_f32 v59, v169, v177
	;; [unrolled: 1-line block ×3, first 2 shown]
	s_waitcnt lgkmcnt(6)
	v_dual_add_f32 v62, v76, v182 :: v_dual_add_f32 v71, v75, v181
	v_dual_add_f32 v72, v88, v182 :: v_dual_add_f32 v79, v87, v181
	v_min3_f32 v12, v57, v56, v12
	v_min3_f32 v46, v59, v58, v46
	;; [unrolled: 1-line block ×5, first 2 shown]
	v_dual_add_f32 v58, v170, v182 :: v_dual_add_f32 v59, v169, v181
	v_dual_add_f32 v60, v174, v182 :: v_dual_add_f32 v61, v173, v181
	s_waitcnt lgkmcnt(5)
	v_dual_add_f32 v62, v76, v186 :: v_dual_add_f32 v63, v75, v185
	v_dual_add_f32 v64, v88, v186 :: v_dual_add_f32 v71, v87, v185
	;; [unrolled: 1-line block ×3, first 2 shown]
	v_min3_f32 v13, v59, v58, v13
	v_min3_f32 v38, v61, v60, v38
	;; [unrolled: 1-line block ×5, first 2 shown]
	v_dual_add_f32 v58, v174, v186 :: v_dual_add_f32 v59, v173, v185
	s_waitcnt lgkmcnt(4)
	v_dual_add_f32 v60, v76, v190 :: v_dual_add_f32 v61, v75, v189
	v_dual_add_f32 v62, v88, v190 :: v_dual_add_f32 v63, v87, v189
	;; [unrolled: 1-line block ×4, first 2 shown]
	v_min3_f32 v16, v59, v58, v16
	v_min3_f32 v34, v61, v60, v34
	;; [unrolled: 1-line block ×5, first 2 shown]
	s_waitcnt lgkmcnt(3)
	v_dual_add_f32 v60, v76, v194 :: v_dual_add_f32 v61, v75, v193
	v_dual_add_f32 v62, v88, v194 :: v_dual_add_f32 v63, v87, v193
	;; [unrolled: 1-line block ×4, first 2 shown]
	s_waitcnt lgkmcnt(2)
	v_dual_add_f32 v72, v76, v198 :: v_dual_add_f32 v79, v75, v197
	v_min3_f32 v17, v61, v60, v17
	v_min3_f32 v30, v63, v62, v30
	;; [unrolled: 1-line block ×5, first 2 shown]
	v_dual_add_f32 v62, v88, v198 :: v_dual_add_f32 v63, v87, v197
	v_dual_add_f32 v64, v170, v198 :: v_dual_add_f32 v65, v169, v197
	;; [unrolled: 1-line block ×3, first 2 shown]
	s_waitcnt lgkmcnt(1)
	v_dual_add_f32 v68, v76, v202 :: v_dual_add_f32 v71, v75, v201
	v_dual_add_f32 v72, v88, v202 :: v_dual_add_f32 v79, v87, v201
	v_min3_f32 v20, v63, v62, v20
	v_min3_f32 v26, v65, v64, v26
	;; [unrolled: 1-line block ×5, first 2 shown]
	v_dual_add_f32 v64, v170, v202 :: v_dual_add_f32 v65, v169, v201
	v_dual_add_f32 v66, v174, v202 :: v_dual_add_f32 v67, v173, v201
	s_waitcnt lgkmcnt(0)
	v_dual_add_f32 v68, v76, v206 :: v_dual_add_f32 v69, v75, v205
	v_dual_add_f32 v70, v88, v206 :: v_dual_add_f32 v71, v87, v205
	v_dual_add_f32 v72, v170, v206 :: v_dual_add_f32 v75, v169, v205
	v_min3_f32 v21, v65, v64, v21
	v_min3_f32 v3, v67, v66, v3
	v_min3_f32 v6, v69, v68, v6
	v_min3_f32 v7, v71, v70, v7
	v_min3_f32 v10, v75, v72, v10
	v_dual_add_f32 v64, v174, v206 :: v_dual_add_f32 v65, v173, v205
	v_dual_add_f32 v66, v78, v74 :: v_dual_add_f32 v67, v77, v73
	v_dual_add_f32 v68, v90, v74 :: v_dual_add_f32 v69, v89, v73
	v_dual_add_f32 v70, v172, v74 :: v_dual_add_f32 v71, v171, v73
	v_dual_add_f32 v72, v176, v74 :: v_dual_add_f32 v73, v175, v73
	v_min3_f32 v2, v65, v64, v2
	v_min3_f32 v153, v67, v66, v11
	v_min3_f32 v151, v69, v68, v14
	v_min3_f32 v87, v71, v70, v15
	v_min3_f32 v150, v73, v72, v0
	v_dual_add_f32 v0, v78, v94 :: v_dual_add_f32 v11, v77, v93
	v_dual_add_f32 v14, v90, v94 :: v_dual_add_f32 v15, v89, v93
	;; [unrolled: 10-line block ×12, first 2 shown]
	v_dual_add_f32 v8, v78, v204 :: v_dual_add_f32 v9, v77, v203
	v_dual_add_f32 v11, v90, v204 :: v_dual_add_f32 v12, v89, v203
	;; [unrolled: 1-line block ×3, first 2 shown]
	v_add_co_ci_u32_e64 v160, s5, 0, v160, s5
	v_add_co_u32 v152, s5, v152, 32
	s_delay_alu instid0(VALU_DEP_1)
	v_add_co_ci_u32_e64 v154, s5, 0, v154, s5
	v_min3_f32 v96, v1, v0, v26
	v_min3_f32 v95, v5, v4, v27
	v_min3_f32 v94, v9, v8, v62
	v_min3_f32 v93, v12, v11, v63
	v_min3_f32 v92, v14, v13, v21
	v_dual_add_f32 v0, v176, v204 :: v_dual_add_f32 v1, v175, v203
	v_dual_add_f32 v4, v78, v208 :: v_dual_add_f32 v5, v77, v207
	;; [unrolled: 1-line block ×5, first 2 shown]
	v_add_co_u32 v161, s5, v161, 32
	s_delay_alu instid0(VALU_DEP_1)
	v_add_co_ci_u32_e64 v162, s5, 0, v162, s5
	v_add_co_u32 v163, s5, v163, 32
	v_min3_f32 v91, v1, v0, v3
	v_min3_f32 v90, v5, v4, v6
	;; [unrolled: 1-line block ×5, first 2 shown]
	v_add_co_ci_u32_e64 v164, s5, 0, v164, s5
	s_add_i32 s20, s20, 8
	s_waitcnt vmcnt(0)
	ds_store_2addr_stride64_b32 v130, v166, v165 offset1:4
	ds_store_2addr_stride64_b32 v156, v168, v167 offset1:4
	s_cmp_ge_i32 s20, s17
	s_waitcnt lgkmcnt(0)
	s_barrier
	buffer_gl0_inv
	s_cbranch_scc1 .LBB64_44
.LBB64_28:                              ; =>This Inner Loop Header: Depth=1
	v_dual_mov_b32 v166, 0x7f7fffff :: v_dual_add_nc_u32 v165, s20, v83
	s_delay_alu instid0(VALU_DEP_1) | instskip(NEXT) | instid1(VALU_DEP_1)
	v_dual_mov_b32 v167, 0x7f7fffff :: v_dual_add_nc_u32 v0, 8, v165
	v_cmp_le_i32_e64 s5, s10, v0
	s_delay_alu instid0(VALU_DEP_1) | instskip(NEXT) | instid1(SALU_CYCLE_1)
	s_or_b32 s6, vcc_lo, s5
	s_xor_b32 s6, s6, -1
	s_delay_alu instid0(SALU_CYCLE_1)
	s_and_saveexec_b32 s21, s6
	s_cbranch_execz .LBB64_30
; %bb.29:                               ;   in Loop: Header=BB64_28 Depth=1
	v_add_co_u32 v0, s6, v152, v84
	s_delay_alu instid0(VALU_DEP_1)
	v_add_co_ci_u32_e64 v1, s6, 0, v154, s6
	flat_load_b32 v167, v[0:1] offset:32
.LBB64_30:                              ;   in Loop: Header=BB64_28 Depth=1
	s_or_b32 exec_lo, exec_lo, s21
	s_or_b32 s6, s2, s5
	s_delay_alu instid0(SALU_CYCLE_1) | instskip(NEXT) | instid1(SALU_CYCLE_1)
	s_xor_b32 s6, s6, -1
	s_and_saveexec_b32 s21, s6
	s_cbranch_execz .LBB64_32
; %bb.31:                               ;   in Loop: Header=BB64_28 Depth=1
	v_add_co_u32 v0, s6, v159, v84
	s_delay_alu instid0(VALU_DEP_1)
	v_add_co_ci_u32_e64 v1, s6, 0, v160, s6
	flat_load_b32 v166, v[0:1] offset:32
.LBB64_32:                              ;   in Loop: Header=BB64_28 Depth=1
	s_or_b32 exec_lo, exec_lo, s21
	v_dual_mov_b32 v168, 0x7f7fffff :: v_dual_mov_b32 v169, 0x7f7fffff
	s_or_b32 s6, s3, s5
	s_delay_alu instid0(SALU_CYCLE_1) | instskip(NEXT) | instid1(SALU_CYCLE_1)
	s_xor_b32 s6, s6, -1
	s_and_saveexec_b32 s21, s6
	s_cbranch_execz .LBB64_34
; %bb.33:                               ;   in Loop: Header=BB64_28 Depth=1
	v_add_co_u32 v0, s6, v161, v84
	s_delay_alu instid0(VALU_DEP_1)
	v_add_co_ci_u32_e64 v1, s6, 0, v162, s6
	flat_load_b32 v169, v[0:1] offset:32
.LBB64_34:                              ;   in Loop: Header=BB64_28 Depth=1
	s_or_b32 exec_lo, exec_lo, s21
	s_or_b32 s5, s4, s5
	s_delay_alu instid0(SALU_CYCLE_1) | instskip(NEXT) | instid1(SALU_CYCLE_1)
	s_xor_b32 s5, s5, -1
	s_and_saveexec_b32 s6, s5
	s_cbranch_execz .LBB64_36
; %bb.35:                               ;   in Loop: Header=BB64_28 Depth=1
	v_add_co_u32 v0, s5, v163, v84
	s_delay_alu instid0(VALU_DEP_1)
	v_add_co_ci_u32_e64 v1, s5, 0, v164, s5
	flat_load_b32 v168, v[0:1] offset:32
.LBB64_36:                              ;   in Loop: Header=BB64_28 Depth=1
	s_or_b32 exec_lo, exec_lo, s6
	ds_load_b128 v[12:15], v157
	ds_load_b128 v[8:11], v157 offset:512
	ds_load_b128 v[4:7], v157 offset:1024
	;; [unrolled: 1-line block ×3, first 2 shown]
	ds_load_b128 v[76:79], v158
	ds_load_b128 v[72:75], v158 offset:128
	ds_load_b128 v[68:71], v158 offset:256
	;; [unrolled: 1-line block ×15, first 2 shown]
	v_add_nc_u32_e32 v165, 12, v165
	s_waitcnt vmcnt(0) lgkmcnt(20)
	ds_store_2addr_stride64_b32 v86, v167, v166 offset1:4
	v_mov_b32_e32 v166, 0x7f7fffff
	ds_store_2addr_stride64_b32 v155, v169, v168 offset1:4
	s_waitcnt lgkmcnt(0)
	v_cmp_le_i32_e64 s5, s10, v165
	v_mov_b32_e32 v165, 0x7f7fffff
	s_barrier
	buffer_gl0_inv
	s_or_b32 s6, vcc_lo, s5
	s_delay_alu instid0(SALU_CYCLE_1) | instskip(NEXT) | instid1(SALU_CYCLE_1)
	s_xor_b32 s6, s6, -1
	s_and_saveexec_b32 s21, s6
	s_delay_alu instid0(SALU_CYCLE_1)
	s_xor_b32 s21, exec_lo, s21
	s_cbranch_execz .LBB64_38
; %bb.37:                               ;   in Loop: Header=BB64_28 Depth=1
	v_add_co_u32 v166, s6, v152, v84
	s_delay_alu instid0(VALU_DEP_1)
	v_add_co_ci_u32_e64 v167, s6, 0, v154, s6
	flat_load_b32 v166, v[166:167] offset:48
.LBB64_38:                              ;   in Loop: Header=BB64_28 Depth=1
	s_or_b32 exec_lo, exec_lo, s21
	s_or_b32 s6, s2, s5
	s_delay_alu instid0(SALU_CYCLE_1) | instskip(NEXT) | instid1(SALU_CYCLE_1)
	s_xor_b32 s6, s6, -1
	s_and_saveexec_b32 s21, s6
	s_cbranch_execz .LBB64_40
; %bb.39:                               ;   in Loop: Header=BB64_28 Depth=1
	v_add_co_u32 v167, s6, v159, v84
	s_delay_alu instid0(VALU_DEP_1)
	v_add_co_ci_u32_e64 v168, s6, 0, v160, s6
	flat_load_b32 v165, v[167:168] offset:48
.LBB64_40:                              ;   in Loop: Header=BB64_28 Depth=1
	s_or_b32 exec_lo, exec_lo, s21
	v_dual_mov_b32 v167, 0x7f7fffff :: v_dual_mov_b32 v168, 0x7f7fffff
	s_or_b32 s6, s3, s5
	s_delay_alu instid0(SALU_CYCLE_1) | instskip(NEXT) | instid1(SALU_CYCLE_1)
	s_xor_b32 s6, s6, -1
	s_and_saveexec_b32 s21, s6
	s_cbranch_execz .LBB64_42
; %bb.41:                               ;   in Loop: Header=BB64_28 Depth=1
	v_add_co_u32 v168, s6, v161, v84
	s_delay_alu instid0(VALU_DEP_1)
	v_add_co_ci_u32_e64 v169, s6, 0, v162, s6
	flat_load_b32 v168, v[168:169] offset:48
.LBB64_42:                              ;   in Loop: Header=BB64_28 Depth=1
	s_or_b32 exec_lo, exec_lo, s21
	v_dual_add_f32 v169, v13, v77 :: v_dual_add_f32 v170, v12, v76
	v_dual_add_f32 v171, v9, v77 :: v_dual_add_f32 v172, v8, v76
	;; [unrolled: 1-line block ×3, first 2 shown]
	s_delay_alu instid0(VALU_DEP_3) | instskip(SKIP_1) | instid1(VALU_DEP_4)
	v_min3_f32 v153, v170, v169, v153
	v_dual_add_f32 v77, v1, v77 :: v_dual_add_f32 v76, v0, v76
	v_min3_f32 v151, v172, v171, v151
	s_delay_alu instid0(VALU_DEP_4)
	v_min3_f32 v87, v174, v173, v87
	v_dual_add_f32 v169, v13, v73 :: v_dual_add_f32 v170, v12, v72
	v_dual_add_f32 v171, v9, v73 :: v_dual_add_f32 v172, v8, v72
	;; [unrolled: 1-line block ×4, first 2 shown]
	v_min3_f32 v76, v76, v77, v150
	v_min3_f32 v77, v170, v169, v149
	;; [unrolled: 1-line block ×3, first 2 shown]
	v_dual_add_f32 v149, v9, v69 :: v_dual_add_f32 v150, v8, v68
	v_min3_f32 v72, v72, v73, v146
	v_dual_add_f32 v73, v13, v69 :: v_dual_add_f32 v146, v12, v68
	v_dual_add_f32 v169, v5, v69 :: v_dual_add_f32 v170, v4, v68
	;; [unrolled: 1-line block ×4, first 2 shown]
	s_delay_alu instid0(VALU_DEP_4) | instskip(SKIP_1) | instid1(VALU_DEP_4)
	v_min3_f32 v73, v146, v73, v145
	v_min3_f32 v144, v150, v149, v144
	;; [unrolled: 1-line block ×3, first 2 shown]
	v_add_f32_e32 v142, v8, v64
	v_min3_f32 v69, v172, v171, v141
	v_add_f32_e32 v141, v9, v65
	v_dual_add_f32 v145, v5, v65 :: v_dual_add_f32 v146, v4, v64
	v_dual_add_f32 v65, v1, v65 :: v_dual_add_f32 v64, v0, v64
	v_dual_add_f32 v149, v13, v61 :: v_dual_add_f32 v150, v12, v60
	v_min3_f32 v143, v170, v169, v143
	v_dual_add_f32 v169, v9, v61 :: v_dual_add_f32 v170, v8, v60
	v_min3_f32 v140, v142, v141, v140
	v_min3_f32 v64, v64, v65, v138
	;; [unrolled: 1-line block ×3, first 2 shown]
	v_dual_add_f32 v137, v5, v61 :: v_dual_add_f32 v138, v4, v60
	v_dual_add_f32 v61, v1, v61 :: v_dual_add_f32 v60, v0, v60
	;; [unrolled: 1-line block ×3, first 2 shown]
	v_min3_f32 v139, v146, v145, v139
	v_dual_add_f32 v145, v9, v57 :: v_dual_add_f32 v146, v8, v56
	v_dual_add_f32 v149, v5, v57 :: v_dual_add_f32 v150, v4, v56
	v_min3_f32 v135, v138, v137, v135
	v_min3_f32 v60, v60, v61, v134
	;; [unrolled: 1-line block ×3, first 2 shown]
	v_dual_add_f32 v57, v1, v57 :: v_dual_add_f32 v56, v0, v56
	v_dual_add_f32 v133, v13, v53 :: v_dual_add_f32 v134, v12, v52
	v_dual_add_f32 v137, v9, v53 :: v_dual_add_f32 v138, v8, v52
	v_dual_add_f32 v141, v5, v53 :: v_dual_add_f32 v142, v4, v52
	v_dual_add_f32 v53, v1, v53 :: v_dual_add_f32 v52, v0, v52
	v_min3_f32 v129, v56, v57, v129
	v_min3_f32 v128, v134, v133, v128
	v_dual_add_f32 v56, v9, v49 :: v_dual_add_f32 v57, v8, v48
	s_delay_alu instid0(VALU_DEP_4)
	v_min3_f32 v124, v52, v53, v124
	v_dual_add_f32 v52, v13, v49 :: v_dual_add_f32 v53, v12, v48
	v_dual_add_f32 v133, v5, v49 :: v_dual_add_f32 v134, v4, v48
	;; [unrolled: 1-line block ×3, first 2 shown]
	v_min3_f32 v127, v138, v137, v127
	v_dual_add_f32 v137, v13, v45 :: v_dual_add_f32 v138, v12, v44
	v_min3_f32 v123, v53, v52, v123
	s_delay_alu instid0(VALU_DEP_4)
	v_min3_f32 v120, v48, v49, v120
	v_dual_add_f32 v48, v9, v45 :: v_dual_add_f32 v49, v8, v44
	v_dual_add_f32 v52, v5, v45 :: v_dual_add_f32 v53, v4, v44
	v_dual_add_f32 v45, v1, v45 :: v_dual_add_f32 v44, v0, v44
	v_min3_f32 v122, v57, v56, v122
	v_min3_f32 v121, v134, v133, v121
	v_dual_add_f32 v56, v13, v41 :: v_dual_add_f32 v57, v12, v40
	v_dual_add_f32 v133, v9, v41 :: v_dual_add_f32 v134, v8, v40
	v_min3_f32 v118, v49, v48, v118
	v_min3_f32 v116, v44, v45, v116
	v_dual_add_f32 v44, v5, v41 :: v_dual_add_f32 v45, v4, v40
	v_dual_add_f32 v41, v1, v41 :: v_dual_add_f32 v40, v0, v40
	;; [unrolled: 1-line block ×3, first 2 shown]
	v_min3_f32 v117, v53, v52, v117
	v_min3_f32 v115, v57, v56, v115
	v_dual_add_f32 v52, v9, v37 :: v_dual_add_f32 v53, v8, v36
	v_dual_add_f32 v56, v5, v37 :: v_dual_add_f32 v57, v4, v36
	v_min3_f32 v113, v45, v44, v113
	v_min3_f32 v112, v40, v41, v112
	;; [unrolled: 1-line block ×3, first 2 shown]
	v_dual_add_f32 v37, v1, v37 :: v_dual_add_f32 v36, v0, v36
	v_dual_add_f32 v40, v13, v33 :: v_dual_add_f32 v41, v12, v32
	;; [unrolled: 1-line block ×5, first 2 shown]
	v_min3_f32 v108, v36, v37, v108
	v_min3_f32 v107, v41, v40, v107
	v_dual_add_f32 v36, v9, v29 :: v_dual_add_f32 v37, v8, v28
	s_delay_alu instid0(VALU_DEP_4)
	v_min3_f32 v104, v32, v33, v104
	v_dual_add_f32 v32, v13, v29 :: v_dual_add_f32 v33, v12, v28
	v_dual_add_f32 v40, v5, v29 :: v_dual_add_f32 v41, v4, v28
	;; [unrolled: 1-line block ×3, first 2 shown]
	v_min3_f32 v106, v45, v44, v106
	v_dual_add_f32 v44, v13, v25 :: v_dual_add_f32 v45, v12, v24
	v_min3_f32 v103, v33, v32, v103
	s_delay_alu instid0(VALU_DEP_4)
	v_min3_f32 v100, v28, v29, v100
	v_dual_add_f32 v28, v9, v25 :: v_dual_add_f32 v29, v8, v24
	v_dual_add_f32 v32, v5, v25 :: v_dual_add_f32 v33, v4, v24
	;; [unrolled: 1-line block ×3, first 2 shown]
	v_min3_f32 v102, v37, v36, v102
	v_min3_f32 v101, v41, v40, v101
	v_dual_add_f32 v36, v13, v21 :: v_dual_add_f32 v37, v12, v20
	v_dual_add_f32 v40, v9, v21 :: v_dual_add_f32 v41, v8, v20
	v_min3_f32 v95, v24, v25, v95
	v_dual_add_f32 v24, v5, v21 :: v_dual_add_f32 v25, v4, v20
	v_dual_add_f32 v13, v13, v17 :: v_dual_add_f32 v12, v12, v16
	;; [unrolled: 1-line block ×5, first 2 shown]
	s_delay_alu instid0(VALU_DEP_4) | instskip(NEXT) | instid1(VALU_DEP_4)
	v_min3_f32 v90, v12, v13, v90
	v_min3_f32 v89, v8, v9, v89
	s_delay_alu instid0(VALU_DEP_4)
	v_min3_f32 v88, v4, v5, v88
	v_dual_add_f32 v1, v1, v17 :: v_dual_add_f32 v0, v0, v16
	v_dual_add_f32 v4, v15, v79 :: v_dual_add_f32 v5, v14, v78
	;; [unrolled: 1-line block ×5, first 2 shown]
	v_min3_f32 v147, v174, v173, v147
	v_min3_f32 v97, v29, v28, v97
	;; [unrolled: 1-line block ×9, first 2 shown]
	v_dual_add_f32 v1, v15, v75 :: v_dual_add_f32 v4, v14, v74
	v_dual_add_f32 v5, v11, v75 :: v_dual_add_f32 v8, v10, v74
	;; [unrolled: 1-line block ×5, first 2 shown]
	v_min3_f32 v96, v33, v32, v96
	v_min3_f32 v94, v37, v36, v94
	;; [unrolled: 1-line block ×7, first 2 shown]
	v_dual_add_f32 v4, v11, v71 :: v_dual_add_f32 v5, v10, v70
	v_dual_add_f32 v8, v7, v71 :: v_dual_add_f32 v9, v6, v70
	;; [unrolled: 1-line block ×5, first 2 shown]
	v_min3_f32 v136, v170, v169, v136
	v_min3_f32 v110, v53, v52, v110
	;; [unrolled: 1-line block ×9, first 2 shown]
	v_dual_add_f32 v5, v7, v67 :: v_dual_add_f32 v8, v6, v66
	v_dual_add_f32 v9, v3, v67 :: v_dual_add_f32 v12, v2, v66
	v_dual_add_f32 v13, v15, v63 :: v_dual_add_f32 v16, v14, v62
	v_dual_add_f32 v17, v11, v63 :: v_dual_add_f32 v20, v10, v62
	v_add_f32_e32 v21, v7, v63
	v_add_f32_e32 v53, v6, v62
	v_min3_f32 v132, v146, v145, v132
	v_min3_f32 v131, v150, v149, v131
	;; [unrolled: 1-line block ×4, first 2 shown]
	v_add_f32_e32 v8, v3, v63
	v_min3_f32 v48, v12, v9, v64
	v_min3_f32 v49, v16, v13, v65
	;; [unrolled: 1-line block ×3, first 2 shown]
	v_dual_add_f32 v9, v2, v62 :: v_dual_add_f32 v12, v15, v59
	v_dual_add_f32 v13, v14, v58 :: v_dual_add_f32 v16, v11, v59
	;; [unrolled: 1-line block ×3, first 2 shown]
	v_add_f32_e32 v62, v2, v58
	v_min3_f32 v5, v53, v21, v135
	v_add_f32_e32 v21, v6, v58
	v_min3_f32 v125, v142, v141, v125
	v_min3_f32 v109, v57, v56, v109
	v_add_f32_e32 v59, v3, v59
	v_min3_f32 v53, v9, v8, v60
	;; [unrolled: 3-line block ×3, first 2 shown]
	v_min3_f32 v58, v21, v20, v131
	v_dual_add_f32 v9, v15, v55 :: v_dual_add_f32 v16, v10, v54
	v_dual_add_f32 v13, v11, v55 :: v_dual_add_f32 v20, v6, v54
	;; [unrolled: 1-line block ×3, first 2 shown]
	v_min3_f32 v8, v62, v59, v129
	v_dual_add_f32 v21, v3, v55 :: v_dual_add_f32 v62, v14, v50
	v_add_f32_e32 v61, v15, v51
	v_min3_f32 v55, v16, v13, v127
	v_min3_f32 v59, v20, v17, v125
	v_dual_add_f32 v13, v10, v50 :: v_dual_add_f32 v16, v7, v51
	v_dual_add_f32 v17, v6, v50 :: v_dual_add_f32 v20, v3, v51
	v_min3_f32 v119, v138, v137, v119
	v_min3_f32 v54, v12, v9, v128
	;; [unrolled: 1-line block ×3, first 2 shown]
	v_dual_add_f32 v12, v11, v51 :: v_dual_add_f32 v21, v2, v50
	v_dual_add_f32 v63, v14, v46 :: v_dual_add_f32 v64, v11, v47
	v_add_f32_e32 v65, v10, v46
	v_min3_f32 v51, v17, v16, v121
	v_add_f32_e32 v16, v6, v46
	v_min3_f32 v9, v62, v61, v123
	;; [unrolled: 2-line block ×3, first 2 shown]
	v_min3_f32 v50, v13, v12, v122
	v_min3_f32 v61, v21, v20, v120
	;; [unrolled: 1-line block ×3, first 2 shown]
	v_add_f32_e32 v64, v11, v43
	v_min3_f32 v62, v63, v62, v119
	v_dual_add_f32 v13, v7, v47 :: v_dual_add_f32 v20, v2, v46
	v_add_f32_e32 v17, v3, v47
	v_dual_add_f32 v21, v15, v43 :: v_dual_add_f32 v68, v2, v38
	v_dual_add_f32 v63, v14, v42 :: v_dual_add_f32 v66, v7, v43
	v_add_f32_e32 v65, v10, v42
	v_add_f32_e32 v67, v6, v42
	v_min3_f32 v46, v16, v13, v117
	s_delay_alu instid0(VALU_DEP_4)
	v_min3_f32 v63, v63, v21, v115
	v_add_f32_e32 v16, v3, v43
	v_min3_f32 v64, v65, v64, v114
	v_min3_f32 v13, v67, v66, v113
	v_add_f32_e32 v21, v14, v38
	v_add_f32_e32 v43, v10, v38
	v_dual_add_f32 v65, v7, v39 :: v_dual_add_f32 v66, v6, v38
	v_min3_f32 v47, v20, v17, v116
	v_dual_add_f32 v17, v2, v42 :: v_dual_add_f32 v42, v11, v39
	v_add_f32_e32 v20, v15, v39
	v_add_f32_e32 v67, v3, v39
	v_add_f32_e32 v69, v2, v34
	s_delay_alu instid0(VALU_DEP_4)
	v_min3_f32 v38, v17, v16, v112
	v_add_f32_e32 v17, v15, v35
	v_add_f32_e32 v70, v15, v31
	v_min3_f32 v16, v68, v67, v108
	v_dual_add_f32 v67, v6, v34 :: v_dual_add_f32 v68, v3, v35
	v_min3_f32 v42, v43, v42, v110
	v_min3_f32 v43, v66, v65, v109
	v_dual_add_f32 v65, v10, v34 :: v_dual_add_f32 v66, v7, v35
	v_min3_f32 v39, v21, v20, v111
	v_dual_add_f32 v20, v14, v34 :: v_dual_add_f32 v21, v11, v35
	v_add_f32_e32 v72, v14, v26
	v_add_f32_e32 v71, v14, v30
	;; [unrolled: 1-line block ×3, first 2 shown]
	s_delay_alu instid0(VALU_DEP_4)
	v_min3_f32 v34, v20, v17, v107
	v_min3_f32 v35, v65, v21, v106
	v_add_f32_e32 v20, v11, v31
	v_min3_f32 v65, v67, v66, v105
	v_min3_f32 v66, v69, v68, v104
	;; [unrolled: 1-line block ×3, first 2 shown]
	v_add_f32_e32 v21, v10, v30
	v_dual_add_f32 v67, v7, v31 :: v_dual_add_f32 v74, v10, v26
	v_dual_add_f32 v68, v6, v30 :: v_dual_add_f32 v69, v3, v31
	v_dual_add_f32 v70, v2, v30 :: v_dual_add_f32 v71, v15, v27
	s_delay_alu instid0(VALU_DEP_4) | instskip(NEXT) | instid1(VALU_DEP_3)
	v_min3_f32 v30, v21, v20, v102
	v_min3_f32 v31, v68, v67, v101
	v_dual_add_f32 v21, v7, v27 :: v_dual_add_f32 v76, v6, v22
	s_delay_alu instid0(VALU_DEP_4)
	v_min3_f32 v67, v70, v69, v100
	v_min3_f32 v68, v72, v71, v99
	v_add_f32_e32 v69, v6, v26
	v_dual_add_f32 v71, v15, v23 :: v_dual_add_f32 v72, v14, v22
	v_add_f32_e32 v14, v14, v18
	v_min3_f32 v20, v74, v73, v97
	v_dual_add_f32 v27, v3, v27 :: v_dual_add_f32 v70, v2, v26
	v_dual_add_f32 v73, v11, v23 :: v_dual_add_f32 v74, v10, v22
	;; [unrolled: 1-line block ×3, first 2 shown]
	v_min3_f32 v26, v69, v21, v96
	v_min3_f32 v69, v72, v71, v94
	v_dual_add_f32 v72, v6, v18 :: v_dual_add_f32 v23, v3, v23
	v_add_f32_e32 v22, v2, v22
	v_dual_add_f32 v2, v2, v18 :: v_dual_add_f32 v15, v15, v19
	v_add_f32_e32 v11, v11, v19
	v_add_f32_e32 v71, v7, v19
	;; [unrolled: 1-line block ×3, first 2 shown]
	v_min3_f32 v27, v70, v27, v95
	v_min3_f32 v70, v74, v73, v93
	;; [unrolled: 1-line block ×8, first 2 shown]
	s_or_b32 s5, s4, s5
	s_delay_alu instid0(SALU_CYCLE_1) | instskip(NEXT) | instid1(SALU_CYCLE_1)
	s_xor_b32 s5, s5, -1
	s_and_saveexec_b32 s6, s5
	s_cbranch_execz .LBB64_27
; %bb.43:                               ;   in Loop: Header=BB64_28 Depth=1
	v_add_co_u32 v14, s5, v163, v84
	s_delay_alu instid0(VALU_DEP_1)
	v_add_co_ci_u32_e64 v15, s5, 0, v164, s5
	flat_load_b32 v167, v[14:15] offset:48
	s_branch .LBB64_27
.LBB64_44:
	s_clause 0x2
	s_load_b64 s[2:3], s[0:1], 0x70
	s_load_b32 s6, s[0:1], 0x50
	s_load_b32 s5, s[0:1], 0x68
	ds_load_b128 v[16:19], v85 offset:2048
	ds_load_b128 v[12:15], v85 offset:2560
	;; [unrolled: 1-line block ×14, first 2 shown]
	v_add_nc_u32_e32 v130, s16, v81
	ds_load_b128 v[36:39], v82 offset:7424
	ds_load_b128 v[32:35], v82 offset:7552
	;; [unrolled: 1-line block ×6, first 2 shown]
	v_add_nc_u32_e32 v80, s14, v80
	v_cmp_gt_i32_e64 s4, s9, v130
	v_cndmask_b32_e64 v126, 0, 1, s11
	s_delay_alu instid0(VALU_DEP_3)
	v_ashrrev_i32_e32 v81, 31, v80
	s_waitcnt lgkmcnt(0)
	s_mul_i32 s0, s15, s3
	v_mad_i64_i32 v[83:84], null, v130, s6, 0
	v_mad_i64_i32 v[85:86], null, v130, s5, 0
	s_mul_hi_u32 s1, s15, s2
	s_mul_i32 s3, s24, s2
	s_add_i32 s1, s1, s0
	s_mul_i32 s0, s15, s2
	s_delay_alu instid0(VALU_DEP_2) | instskip(SKIP_1) | instid1(VALU_DEP_2)
	v_lshlrev_b64 v[82:83], 2, v[83:84]
	s_add_i32 s1, s1, s3
	v_lshlrev_b64 v[84:85], 2, v[85:86]
	s_lshl_b64 s[0:1], s[0:1], 2
	s_delay_alu instid0(SALU_CYCLE_1) | instskip(NEXT) | instid1(VALU_DEP_2)
	s_add_u32 s10, s18, s0
	v_add_co_u32 v155, vcc_lo, s12, v82
	v_add_co_ci_u32_e32 v156, vcc_lo, s13, v83, vcc_lo
	s_addc_u32 s14, s19, s1
	v_cmp_gt_i32_e64 s0, s8, v80
	v_add_co_u32 v152, vcc_lo, s10, v84
	v_add_co_ci_u32_e32 v154, vcc_lo, s14, v85, vcc_lo
	s_delay_alu instid0(VALU_DEP_3) | instskip(NEXT) | instid1(SALU_CYCLE_1)
	s_and_b32 s1, s0, s4
	s_and_saveexec_b32 s2, s1
	s_delay_alu instid0(SALU_CYCLE_1)
	s_xor_b32 s1, exec_lo, s2
	s_cbranch_execz .LBB64_49
; %bb.45:
	s_and_not1_b32 vcc_lo, exec_lo, s11
	s_cbranch_vccnz .LBB64_47
; %bb.46:
	v_lshlrev_b64 v[82:83], 2, v[80:81]
	s_delay_alu instid0(VALU_DEP_1) | instskip(NEXT) | instid1(VALU_DEP_2)
	v_add_co_u32 v82, vcc_lo, v155, v82
	v_add_co_ci_u32_e32 v83, vcc_lo, v156, v83, vcc_lo
	flat_load_b32 v82, v[82:83]
	s_waitcnt vmcnt(0) lgkmcnt(0)
	v_mul_f32_e32 v82, s7, v82
	s_branch .LBB64_48
.LBB64_47:
	v_mov_b32_e32 v82, 0
.LBB64_48:
	v_dual_add_f32 v83, v17, v77 :: v_dual_add_f32 v84, v16, v76
	v_dual_add_f32 v85, v19, v79 :: v_dual_add_f32 v86, v18, v78
	s_delay_alu instid0(VALU_DEP_2) | instskip(SKIP_1) | instid1(VALU_DEP_3)
	v_min3_f32 v153, v84, v83, v153
	v_lshlrev_b64 v[83:84], 2, v[80:81]
	v_min_f32_e32 v85, v86, v85
	s_delay_alu instid0(VALU_DEP_1) | instskip(NEXT) | instid1(VALU_DEP_3)
	v_min3_f32 v85, v82, v85, v153
	v_add_co_u32 v82, vcc_lo, v152, v83
	s_delay_alu instid0(VALU_DEP_4)
	v_add_co_ci_u32_e32 v83, vcc_lo, v154, v84, vcc_lo
	global_store_b32 v[82:83], v85, off
.LBB64_49:
	s_or_b32 exec_lo, exec_lo, s1
	v_add_nc_u32_e32 v82, 32, v80
	s_delay_alu instid0(VALU_DEP_1) | instskip(SKIP_1) | instid1(VALU_DEP_2)
	v_cmp_gt_i32_e64 s1, s8, v82
	v_ashrrev_i32_e32 v83, 31, v82
	s_and_b32 s3, s1, s4
	s_delay_alu instid0(SALU_CYCLE_1)
	s_and_saveexec_b32 s2, s3
	s_cbranch_execz .LBB64_54
; %bb.50:
	v_cmp_ne_u32_e32 vcc_lo, 1, v126
	s_cbranch_vccnz .LBB64_52
; %bb.51:
	v_lshlrev_b64 v[84:85], 2, v[82:83]
	s_delay_alu instid0(VALU_DEP_1) | instskip(NEXT) | instid1(VALU_DEP_2)
	v_add_co_u32 v84, vcc_lo, v155, v84
	v_add_co_ci_u32_e32 v85, vcc_lo, v156, v85, vcc_lo
	flat_load_b32 v84, v[84:85]
	s_waitcnt vmcnt(0) lgkmcnt(0)
	v_mul_f32_e32 v84, s7, v84
	s_branch .LBB64_53
.LBB64_52:
	v_mov_b32_e32 v84, 0
.LBB64_53:
	v_dual_add_f32 v85, v13, v77 :: v_dual_add_f32 v86, v12, v76
	v_add_f32_e32 v153, v15, v79
	v_add_f32_e32 v157, v14, v78
	s_delay_alu instid0(VALU_DEP_3) | instskip(SKIP_1) | instid1(VALU_DEP_3)
	v_min3_f32 v151, v86, v85, v151
	v_lshlrev_b64 v[85:86], 2, v[82:83]
	v_min_f32_e32 v153, v157, v153
	s_delay_alu instid0(VALU_DEP_1) | instskip(NEXT) | instid1(VALU_DEP_3)
	v_min3_f32 v151, v84, v153, v151
	v_add_co_u32 v84, vcc_lo, v152, v85
	s_delay_alu instid0(VALU_DEP_4)
	v_add_co_ci_u32_e32 v85, vcc_lo, v154, v86, vcc_lo
	global_store_b32 v[84:85], v151, off
.LBB64_54:
	s_or_b32 exec_lo, exec_lo, s2
	v_add_nc_u32_e32 v84, 64, v80
	s_delay_alu instid0(VALU_DEP_1) | instskip(SKIP_1) | instid1(VALU_DEP_2)
	v_cmp_gt_i32_e64 s2, s8, v84
	v_ashrrev_i32_e32 v85, 31, v84
	s_and_b32 s11, s2, s4
	s_delay_alu instid0(SALU_CYCLE_1)
	s_and_saveexec_b32 s3, s11
	s_cbranch_execz .LBB64_59
; %bb.55:
	v_cmp_ne_u32_e32 vcc_lo, 1, v126
	s_cbranch_vccnz .LBB64_57
; %bb.56:
	v_lshlrev_b64 v[157:158], 2, v[84:85]
	s_delay_alu instid0(VALU_DEP_1) | instskip(NEXT) | instid1(VALU_DEP_2)
	v_add_co_u32 v157, vcc_lo, v155, v157
	v_add_co_ci_u32_e32 v158, vcc_lo, v156, v158, vcc_lo
	flat_load_b32 v86, v[157:158]
	s_waitcnt vmcnt(0) lgkmcnt(0)
	v_mul_f32_e32 v86, s7, v86
	s_branch .LBB64_58
.LBB64_57:
	v_mov_b32_e32 v86, 0
.LBB64_58:
	v_dual_add_f32 v151, v5, v77 :: v_dual_add_f32 v158, v6, v78
	v_add_f32_e32 v153, v4, v76
	v_add_f32_e32 v157, v7, v79
	s_delay_alu instid0(VALU_DEP_2) | instskip(NEXT) | instid1(VALU_DEP_2)
	v_min3_f32 v87, v153, v151, v87
	v_min_f32_e32 v151, v158, v157
	v_lshlrev_b64 v[157:158], 2, v[84:85]
	s_delay_alu instid0(VALU_DEP_2) | instskip(NEXT) | instid1(VALU_DEP_2)
	v_min3_f32 v151, v86, v151, v87
	v_add_co_u32 v86, vcc_lo, v152, v157
	s_delay_alu instid0(VALU_DEP_3)
	v_add_co_ci_u32_e32 v87, vcc_lo, v154, v158, vcc_lo
	global_store_b32 v[86:87], v151, off
.LBB64_59:
	s_or_b32 exec_lo, exec_lo, s3
	v_add_nc_u32_e32 v86, 0x60, v80
	s_delay_alu instid0(VALU_DEP_1) | instskip(SKIP_1) | instid1(VALU_DEP_2)
	v_cmp_gt_i32_e64 s3, s8, v86
	v_ashrrev_i32_e32 v87, 31, v86
	s_and_b32 s8, s3, s4
	s_delay_alu instid0(SALU_CYCLE_1)
	s_and_saveexec_b32 s4, s8
	s_cbranch_execz .LBB64_64
; %bb.60:
	v_cmp_ne_u32_e32 vcc_lo, 1, v126
	s_cbranch_vccnz .LBB64_62
; %bb.61:
	v_lshlrev_b64 v[157:158], 2, v[86:87]
	s_delay_alu instid0(VALU_DEP_1) | instskip(NEXT) | instid1(VALU_DEP_2)
	v_add_co_u32 v155, vcc_lo, v155, v157
	v_add_co_ci_u32_e32 v156, vcc_lo, v156, v158, vcc_lo
	flat_load_b32 v151, v[155:156]
	s_waitcnt vmcnt(0) lgkmcnt(0)
	v_mul_f32_e32 v151, s7, v151
	s_branch .LBB64_63
.LBB64_62:
	v_mov_b32_e32 v151, 0
.LBB64_63:
	v_dual_add_f32 v77, v1, v77 :: v_dual_add_f32 v76, v0, v76
	v_dual_add_f32 v79, v3, v79 :: v_dual_add_f32 v78, v2, v78
	s_delay_alu instid0(VALU_DEP_2) | instskip(SKIP_1) | instid1(VALU_DEP_3)
	v_min3_f32 v150, v76, v77, v150
	v_lshlrev_b64 v[76:77], 2, v[86:87]
	v_min_f32_e32 v78, v78, v79
	s_delay_alu instid0(VALU_DEP_1) | instskip(NEXT) | instid1(VALU_DEP_3)
	v_min3_f32 v78, v151, v78, v150
	v_add_co_u32 v76, vcc_lo, v152, v76
	s_delay_alu instid0(VALU_DEP_4)
	v_add_co_ci_u32_e32 v77, vcc_lo, v154, v77, vcc_lo
	global_store_b32 v[76:77], v78, off
.LBB64_64:
	s_or_b32 exec_lo, exec_lo, s4
	v_add_nc_u32_e32 v150, 8, v130
	s_delay_alu instid0(VALU_DEP_1) | instskip(SKIP_2) | instid1(VALU_DEP_3)
	v_mad_i64_i32 v[76:77], null, v150, s6, 0
	v_mad_i64_i32 v[78:79], null, v150, s5, 0
	v_cmp_gt_i32_e64 s4, s9, v150
	v_lshlrev_b64 v[76:77], 2, v[76:77]
	s_delay_alu instid0(VALU_DEP_2) | instskip(NEXT) | instid1(VALU_DEP_3)
	s_and_b32 s11, s0, s4
	v_lshlrev_b64 v[150:151], 2, v[78:79]
	s_delay_alu instid0(VALU_DEP_2) | instskip(NEXT) | instid1(VALU_DEP_3)
	v_add_co_u32 v78, vcc_lo, s12, v76
	v_add_co_ci_u32_e32 v79, vcc_lo, s13, v77, vcc_lo
	s_delay_alu instid0(VALU_DEP_3) | instskip(NEXT) | instid1(VALU_DEP_4)
	v_add_co_u32 v76, vcc_lo, s10, v150
	v_add_co_ci_u32_e32 v77, vcc_lo, s14, v151, vcc_lo
	s_and_saveexec_b32 s8, s11
	s_cbranch_execnz .LBB64_68
; %bb.65:
	s_or_b32 exec_lo, exec_lo, s8
	s_and_b32 s11, s1, s4
	s_delay_alu instid0(SALU_CYCLE_1)
	s_and_saveexec_b32 s8, s11
	s_cbranch_execnz .LBB64_72
.LBB64_66:
	s_or_b32 exec_lo, exec_lo, s8
	s_and_b32 s11, s2, s4
	s_delay_alu instid0(SALU_CYCLE_1)
	s_and_saveexec_b32 s8, s11
	s_cbranch_execnz .LBB64_76
.LBB64_67:
	s_or_b32 exec_lo, exec_lo, s8
	s_and_b32 s8, s3, s4
	s_delay_alu instid0(SALU_CYCLE_1)
	s_and_saveexec_b32 s4, s8
	s_cbranch_execnz .LBB64_80
	s_branch .LBB64_84
.LBB64_68:
	v_cmp_ne_u32_e32 vcc_lo, 1, v126
	s_cbranch_vccnz .LBB64_70
; %bb.69:
	v_lshlrev_b64 v[150:151], 2, v[80:81]
	s_delay_alu instid0(VALU_DEP_1) | instskip(NEXT) | instid1(VALU_DEP_2)
	v_add_co_u32 v150, vcc_lo, v78, v150
	v_add_co_ci_u32_e32 v151, vcc_lo, v79, v151, vcc_lo
	flat_load_b32 v150, v[150:151]
	s_waitcnt vmcnt(0) lgkmcnt(0)
	v_mul_f32_e32 v150, s7, v150
	s_branch .LBB64_71
.LBB64_70:
	v_mov_b32_e32 v150, 0
.LBB64_71:
	v_dual_add_f32 v151, v17, v73 :: v_dual_add_f32 v152, v16, v72
	v_dual_add_f32 v153, v19, v75 :: v_dual_add_f32 v154, v18, v74
	s_delay_alu instid0(VALU_DEP_2) | instskip(SKIP_1) | instid1(VALU_DEP_3)
	v_min3_f32 v149, v152, v151, v149
	v_lshlrev_b64 v[151:152], 2, v[80:81]
	v_min_f32_e32 v153, v154, v153
	s_delay_alu instid0(VALU_DEP_1) | instskip(NEXT) | instid1(VALU_DEP_3)
	v_min3_f32 v153, v150, v153, v149
	v_add_co_u32 v149, vcc_lo, v76, v151
	s_delay_alu instid0(VALU_DEP_4) | instskip(SKIP_3) | instid1(SALU_CYCLE_1)
	v_add_co_ci_u32_e32 v150, vcc_lo, v77, v152, vcc_lo
	global_store_b32 v[149:150], v153, off
	s_or_b32 exec_lo, exec_lo, s8
	s_and_b32 s11, s1, s4
	s_and_saveexec_b32 s8, s11
	s_cbranch_execz .LBB64_66
.LBB64_72:
	v_cmp_ne_u32_e32 vcc_lo, 1, v126
	s_cbranch_vccnz .LBB64_74
; %bb.73:
	v_lshlrev_b64 v[149:150], 2, v[82:83]
	s_delay_alu instid0(VALU_DEP_1) | instskip(NEXT) | instid1(VALU_DEP_2)
	v_add_co_u32 v149, vcc_lo, v78, v149
	v_add_co_ci_u32_e32 v150, vcc_lo, v79, v150, vcc_lo
	flat_load_b32 v149, v[149:150]
	s_waitcnt vmcnt(0) lgkmcnt(0)
	v_mul_f32_e32 v149, s7, v149
	s_branch .LBB64_75
.LBB64_74:
	v_mov_b32_e32 v149, 0
.LBB64_75:
	v_dual_add_f32 v150, v13, v73 :: v_dual_add_f32 v151, v12, v72
	v_dual_add_f32 v152, v15, v75 :: v_dual_add_f32 v153, v14, v74
	s_delay_alu instid0(VALU_DEP_2) | instskip(SKIP_1) | instid1(VALU_DEP_3)
	v_min3_f32 v148, v151, v150, v148
	v_lshlrev_b64 v[150:151], 2, v[82:83]
	v_min_f32_e32 v152, v153, v152
	s_delay_alu instid0(VALU_DEP_1) | instskip(NEXT) | instid1(VALU_DEP_3)
	v_min3_f32 v152, v149, v152, v148
	v_add_co_u32 v148, vcc_lo, v76, v150
	s_delay_alu instid0(VALU_DEP_4) | instskip(SKIP_3) | instid1(SALU_CYCLE_1)
	v_add_co_ci_u32_e32 v149, vcc_lo, v77, v151, vcc_lo
	global_store_b32 v[148:149], v152, off
	s_or_b32 exec_lo, exec_lo, s8
	s_and_b32 s11, s2, s4
	s_and_saveexec_b32 s8, s11
	s_cbranch_execz .LBB64_67
.LBB64_76:
	v_cmp_ne_u32_e32 vcc_lo, 1, v126
	s_cbranch_vccnz .LBB64_78
; %bb.77:
	v_lshlrev_b64 v[148:149], 2, v[84:85]
	s_delay_alu instid0(VALU_DEP_1) | instskip(NEXT) | instid1(VALU_DEP_2)
	v_add_co_u32 v148, vcc_lo, v78, v148
	v_add_co_ci_u32_e32 v149, vcc_lo, v79, v149, vcc_lo
	flat_load_b32 v148, v[148:149]
	s_waitcnt vmcnt(0) lgkmcnt(0)
	v_mul_f32_e32 v148, s7, v148
	s_branch .LBB64_79
.LBB64_78:
	v_mov_b32_e32 v148, 0
.LBB64_79:
	v_dual_add_f32 v149, v5, v73 :: v_dual_add_f32 v150, v4, v72
	v_dual_add_f32 v151, v7, v75 :: v_dual_add_f32 v152, v6, v74
	s_delay_alu instid0(VALU_DEP_2) | instskip(SKIP_1) | instid1(VALU_DEP_3)
	v_min3_f32 v147, v150, v149, v147
	v_lshlrev_b64 v[149:150], 2, v[84:85]
	v_min_f32_e32 v151, v152, v151
	s_delay_alu instid0(VALU_DEP_1) | instskip(NEXT) | instid1(VALU_DEP_3)
	v_min3_f32 v151, v148, v151, v147
	v_add_co_u32 v147, vcc_lo, v76, v149
	s_delay_alu instid0(VALU_DEP_4) | instskip(SKIP_3) | instid1(SALU_CYCLE_1)
	v_add_co_ci_u32_e32 v148, vcc_lo, v77, v150, vcc_lo
	global_store_b32 v[147:148], v151, off
	s_or_b32 exec_lo, exec_lo, s8
	s_and_b32 s8, s3, s4
	s_and_saveexec_b32 s4, s8
	s_cbranch_execz .LBB64_84
.LBB64_80:
	v_cmp_ne_u32_e32 vcc_lo, 1, v126
	s_cbranch_vccnz .LBB64_82
; %bb.81:
	v_lshlrev_b64 v[147:148], 2, v[86:87]
	s_delay_alu instid0(VALU_DEP_1) | instskip(NEXT) | instid1(VALU_DEP_2)
	v_add_co_u32 v78, vcc_lo, v78, v147
	v_add_co_ci_u32_e32 v79, vcc_lo, v79, v148, vcc_lo
	flat_load_b32 v78, v[78:79]
	s_waitcnt vmcnt(0) lgkmcnt(0)
	v_mul_f32_e32 v78, s7, v78
	s_branch .LBB64_83
.LBB64_82:
	v_mov_b32_e32 v78, 0
.LBB64_83:
	v_dual_add_f32 v73, v1, v73 :: v_dual_add_f32 v72, v0, v72
	v_dual_add_f32 v75, v3, v75 :: v_dual_add_f32 v74, v2, v74
	s_delay_alu instid0(VALU_DEP_2) | instskip(SKIP_1) | instid1(VALU_DEP_3)
	v_min3_f32 v79, v72, v73, v146
	v_lshlrev_b64 v[72:73], 2, v[86:87]
	v_min_f32_e32 v74, v74, v75
	s_delay_alu instid0(VALU_DEP_1) | instskip(NEXT) | instid1(VALU_DEP_3)
	v_min3_f32 v74, v78, v74, v79
	v_add_co_u32 v72, vcc_lo, v76, v72
	s_delay_alu instid0(VALU_DEP_4)
	v_add_co_ci_u32_e32 v73, vcc_lo, v77, v73, vcc_lo
	global_store_b32 v[72:73], v74, off
.LBB64_84:
	s_or_b32 exec_lo, exec_lo, s4
	v_add_nc_u32_e32 v76, 16, v130
	s_delay_alu instid0(VALU_DEP_1) | instskip(SKIP_2) | instid1(VALU_DEP_3)
	v_mad_i64_i32 v[72:73], null, v76, s6, 0
	v_mad_i64_i32 v[74:75], null, v76, s5, 0
	v_cmp_gt_i32_e64 s4, s9, v76
	v_lshlrev_b64 v[72:73], 2, v[72:73]
	s_delay_alu instid0(VALU_DEP_2) | instskip(NEXT) | instid1(VALU_DEP_3)
	s_and_b32 s11, s0, s4
	v_lshlrev_b64 v[76:77], 2, v[74:75]
	s_delay_alu instid0(VALU_DEP_2) | instskip(NEXT) | instid1(VALU_DEP_3)
	v_add_co_u32 v74, vcc_lo, s12, v72
	v_add_co_ci_u32_e32 v75, vcc_lo, s13, v73, vcc_lo
	s_delay_alu instid0(VALU_DEP_3) | instskip(NEXT) | instid1(VALU_DEP_4)
	v_add_co_u32 v72, vcc_lo, s10, v76
	v_add_co_ci_u32_e32 v73, vcc_lo, s14, v77, vcc_lo
	s_and_saveexec_b32 s8, s11
	s_cbranch_execnz .LBB64_88
; %bb.85:
	s_or_b32 exec_lo, exec_lo, s8
	s_and_b32 s11, s1, s4
	s_delay_alu instid0(SALU_CYCLE_1)
	s_and_saveexec_b32 s8, s11
	s_cbranch_execnz .LBB64_92
.LBB64_86:
	s_or_b32 exec_lo, exec_lo, s8
	s_and_b32 s11, s2, s4
	s_delay_alu instid0(SALU_CYCLE_1)
	s_and_saveexec_b32 s8, s11
	s_cbranch_execnz .LBB64_96
.LBB64_87:
	s_or_b32 exec_lo, exec_lo, s8
	s_and_b32 s8, s3, s4
	s_delay_alu instid0(SALU_CYCLE_1)
	s_and_saveexec_b32 s4, s8
	s_cbranch_execnz .LBB64_100
	s_branch .LBB64_104
.LBB64_88:
	v_cmp_ne_u32_e32 vcc_lo, 1, v126
	s_cbranch_vccnz .LBB64_90
; %bb.89:
	v_lshlrev_b64 v[76:77], 2, v[80:81]
	s_delay_alu instid0(VALU_DEP_1) | instskip(NEXT) | instid1(VALU_DEP_2)
	v_add_co_u32 v76, vcc_lo, v74, v76
	v_add_co_ci_u32_e32 v77, vcc_lo, v75, v77, vcc_lo
	flat_load_b32 v76, v[76:77]
	s_waitcnt vmcnt(0) lgkmcnt(0)
	v_mul_f32_e32 v76, s7, v76
	s_branch .LBB64_91
.LBB64_90:
	v_mov_b32_e32 v76, 0
.LBB64_91:
	v_dual_add_f32 v77, v17, v69 :: v_dual_add_f32 v78, v16, v68
	v_dual_add_f32 v79, v19, v71 :: v_dual_add_f32 v146, v18, v70
	s_delay_alu instid0(VALU_DEP_2) | instskip(SKIP_1) | instid1(VALU_DEP_3)
	v_min3_f32 v145, v78, v77, v145
	v_lshlrev_b64 v[77:78], 2, v[80:81]
	v_min_f32_e32 v79, v146, v79
	s_delay_alu instid0(VALU_DEP_1) | instskip(NEXT) | instid1(VALU_DEP_3)
	v_min3_f32 v79, v76, v79, v145
	v_add_co_u32 v76, vcc_lo, v72, v77
	s_delay_alu instid0(VALU_DEP_4) | instskip(SKIP_3) | instid1(SALU_CYCLE_1)
	v_add_co_ci_u32_e32 v77, vcc_lo, v73, v78, vcc_lo
	global_store_b32 v[76:77], v79, off
	s_or_b32 exec_lo, exec_lo, s8
	s_and_b32 s11, s1, s4
	s_and_saveexec_b32 s8, s11
	s_cbranch_execz .LBB64_86
.LBB64_92:
	v_cmp_ne_u32_e32 vcc_lo, 1, v126
	s_cbranch_vccnz .LBB64_94
; %bb.93:
	v_lshlrev_b64 v[76:77], 2, v[82:83]
	s_delay_alu instid0(VALU_DEP_1) | instskip(NEXT) | instid1(VALU_DEP_2)
	v_add_co_u32 v76, vcc_lo, v74, v76
	v_add_co_ci_u32_e32 v77, vcc_lo, v75, v77, vcc_lo
	flat_load_b32 v76, v[76:77]
	s_waitcnt vmcnt(0) lgkmcnt(0)
	v_mul_f32_e32 v76, s7, v76
	s_branch .LBB64_95
.LBB64_94:
	v_mov_b32_e32 v76, 0
.LBB64_95:
	v_dual_add_f32 v77, v13, v69 :: v_dual_add_f32 v78, v12, v68
	v_add_f32_e32 v79, v15, v71
	v_add_f32_e32 v145, v14, v70
	s_delay_alu instid0(VALU_DEP_3) | instskip(SKIP_1) | instid1(VALU_DEP_3)
	v_min3_f32 v144, v78, v77, v144
	v_lshlrev_b64 v[77:78], 2, v[82:83]
	v_min_f32_e32 v79, v145, v79
	s_delay_alu instid0(VALU_DEP_1) | instskip(NEXT) | instid1(VALU_DEP_3)
	v_min3_f32 v79, v76, v79, v144
	v_add_co_u32 v76, vcc_lo, v72, v77
	s_delay_alu instid0(VALU_DEP_4) | instskip(SKIP_3) | instid1(SALU_CYCLE_1)
	v_add_co_ci_u32_e32 v77, vcc_lo, v73, v78, vcc_lo
	global_store_b32 v[76:77], v79, off
	s_or_b32 exec_lo, exec_lo, s8
	s_and_b32 s11, s2, s4
	s_and_saveexec_b32 s8, s11
	s_cbranch_execz .LBB64_87
.LBB64_96:
	v_cmp_ne_u32_e32 vcc_lo, 1, v126
	s_cbranch_vccnz .LBB64_98
; %bb.97:
	v_lshlrev_b64 v[76:77], 2, v[84:85]
	s_delay_alu instid0(VALU_DEP_1) | instskip(NEXT) | instid1(VALU_DEP_2)
	v_add_co_u32 v76, vcc_lo, v74, v76
	v_add_co_ci_u32_e32 v77, vcc_lo, v75, v77, vcc_lo
	flat_load_b32 v76, v[76:77]
	s_waitcnt vmcnt(0) lgkmcnt(0)
	v_mul_f32_e32 v76, s7, v76
	s_branch .LBB64_99
.LBB64_98:
	v_mov_b32_e32 v76, 0
.LBB64_99:
	v_dual_add_f32 v77, v5, v69 :: v_dual_add_f32 v78, v4, v68
	v_dual_add_f32 v79, v7, v71 :: v_dual_add_f32 v144, v6, v70
	s_delay_alu instid0(VALU_DEP_2) | instskip(SKIP_1) | instid1(VALU_DEP_3)
	v_min3_f32 v143, v78, v77, v143
	v_lshlrev_b64 v[77:78], 2, v[84:85]
	v_min_f32_e32 v79, v144, v79
	s_delay_alu instid0(VALU_DEP_1) | instskip(NEXT) | instid1(VALU_DEP_3)
	v_min3_f32 v79, v76, v79, v143
	v_add_co_u32 v76, vcc_lo, v72, v77
	s_delay_alu instid0(VALU_DEP_4) | instskip(SKIP_3) | instid1(SALU_CYCLE_1)
	v_add_co_ci_u32_e32 v77, vcc_lo, v73, v78, vcc_lo
	global_store_b32 v[76:77], v79, off
	s_or_b32 exec_lo, exec_lo, s8
	s_and_b32 s8, s3, s4
	s_and_saveexec_b32 s4, s8
	s_cbranch_execz .LBB64_104
.LBB64_100:
	v_cmp_ne_u32_e32 vcc_lo, 1, v126
	s_cbranch_vccnz .LBB64_102
; %bb.101:
	v_lshlrev_b64 v[76:77], 2, v[86:87]
	s_delay_alu instid0(VALU_DEP_1) | instskip(NEXT) | instid1(VALU_DEP_2)
	v_add_co_u32 v74, vcc_lo, v74, v76
	v_add_co_ci_u32_e32 v75, vcc_lo, v75, v77, vcc_lo
	flat_load_b32 v74, v[74:75]
	s_waitcnt vmcnt(0) lgkmcnt(0)
	v_mul_f32_e32 v74, s7, v74
	s_branch .LBB64_103
.LBB64_102:
	v_mov_b32_e32 v74, 0
.LBB64_103:
	v_dual_add_f32 v69, v1, v69 :: v_dual_add_f32 v68, v0, v68
	v_dual_add_f32 v71, v3, v71 :: v_dual_add_f32 v70, v2, v70
	s_delay_alu instid0(VALU_DEP_2) | instskip(SKIP_1) | instid1(VALU_DEP_3)
	v_min3_f32 v75, v68, v69, v142
	v_lshlrev_b64 v[68:69], 2, v[86:87]
	v_min_f32_e32 v70, v70, v71
	s_delay_alu instid0(VALU_DEP_1) | instskip(NEXT) | instid1(VALU_DEP_3)
	v_min3_f32 v70, v74, v70, v75
	v_add_co_u32 v68, vcc_lo, v72, v68
	s_delay_alu instid0(VALU_DEP_4)
	v_add_co_ci_u32_e32 v69, vcc_lo, v73, v69, vcc_lo
	global_store_b32 v[68:69], v70, off
.LBB64_104:
	s_or_b32 exec_lo, exec_lo, s4
	v_add_nc_u32_e32 v72, 24, v130
	s_delay_alu instid0(VALU_DEP_1) | instskip(SKIP_2) | instid1(VALU_DEP_3)
	v_mad_i64_i32 v[68:69], null, v72, s6, 0
	v_mad_i64_i32 v[70:71], null, v72, s5, 0
	v_cmp_gt_i32_e64 s4, s9, v72
	v_lshlrev_b64 v[68:69], 2, v[68:69]
	s_delay_alu instid0(VALU_DEP_2) | instskip(NEXT) | instid1(VALU_DEP_3)
	s_and_b32 s11, s0, s4
	v_lshlrev_b64 v[72:73], 2, v[70:71]
	s_delay_alu instid0(VALU_DEP_2) | instskip(NEXT) | instid1(VALU_DEP_3)
	v_add_co_u32 v70, vcc_lo, s12, v68
	v_add_co_ci_u32_e32 v71, vcc_lo, s13, v69, vcc_lo
	s_delay_alu instid0(VALU_DEP_3) | instskip(NEXT) | instid1(VALU_DEP_4)
	v_add_co_u32 v68, vcc_lo, s10, v72
	v_add_co_ci_u32_e32 v69, vcc_lo, s14, v73, vcc_lo
	s_and_saveexec_b32 s8, s11
	s_cbranch_execnz .LBB64_108
; %bb.105:
	s_or_b32 exec_lo, exec_lo, s8
	s_and_b32 s11, s1, s4
	s_delay_alu instid0(SALU_CYCLE_1)
	s_and_saveexec_b32 s8, s11
	s_cbranch_execnz .LBB64_112
.LBB64_106:
	s_or_b32 exec_lo, exec_lo, s8
	s_and_b32 s11, s2, s4
	s_delay_alu instid0(SALU_CYCLE_1)
	s_and_saveexec_b32 s8, s11
	s_cbranch_execnz .LBB64_116
.LBB64_107:
	s_or_b32 exec_lo, exec_lo, s8
	s_and_b32 s8, s3, s4
	s_delay_alu instid0(SALU_CYCLE_1)
	s_and_saveexec_b32 s4, s8
	s_cbranch_execnz .LBB64_120
	s_branch .LBB64_124
.LBB64_108:
	v_cmp_ne_u32_e32 vcc_lo, 1, v126
	s_cbranch_vccnz .LBB64_110
; %bb.109:
	v_lshlrev_b64 v[72:73], 2, v[80:81]
	s_delay_alu instid0(VALU_DEP_1) | instskip(NEXT) | instid1(VALU_DEP_2)
	v_add_co_u32 v72, vcc_lo, v70, v72
	v_add_co_ci_u32_e32 v73, vcc_lo, v71, v73, vcc_lo
	flat_load_b32 v72, v[72:73]
	s_waitcnt vmcnt(0) lgkmcnt(0)
	v_mul_f32_e32 v72, s7, v72
	s_branch .LBB64_111
.LBB64_110:
	v_mov_b32_e32 v72, 0
.LBB64_111:
	v_dual_add_f32 v73, v17, v65 :: v_dual_add_f32 v74, v16, v64
	v_dual_add_f32 v75, v19, v67 :: v_dual_add_f32 v76, v18, v66
	s_delay_alu instid0(VALU_DEP_2) | instskip(SKIP_1) | instid1(VALU_DEP_3)
	v_min3_f32 v77, v74, v73, v141
	v_lshlrev_b64 v[73:74], 2, v[80:81]
	v_min_f32_e32 v75, v76, v75
	s_delay_alu instid0(VALU_DEP_1) | instskip(NEXT) | instid1(VALU_DEP_3)
	v_min3_f32 v75, v72, v75, v77
	v_add_co_u32 v72, vcc_lo, v68, v73
	s_delay_alu instid0(VALU_DEP_4) | instskip(SKIP_3) | instid1(SALU_CYCLE_1)
	v_add_co_ci_u32_e32 v73, vcc_lo, v69, v74, vcc_lo
	global_store_b32 v[72:73], v75, off
	s_or_b32 exec_lo, exec_lo, s8
	s_and_b32 s11, s1, s4
	s_and_saveexec_b32 s8, s11
	s_cbranch_execz .LBB64_106
.LBB64_112:
	v_cmp_ne_u32_e32 vcc_lo, 1, v126
	s_cbranch_vccnz .LBB64_114
; %bb.113:
	v_lshlrev_b64 v[72:73], 2, v[82:83]
	s_delay_alu instid0(VALU_DEP_1) | instskip(NEXT) | instid1(VALU_DEP_2)
	v_add_co_u32 v72, vcc_lo, v70, v72
	v_add_co_ci_u32_e32 v73, vcc_lo, v71, v73, vcc_lo
	flat_load_b32 v72, v[72:73]
	s_waitcnt vmcnt(0) lgkmcnt(0)
	v_mul_f32_e32 v72, s7, v72
	s_branch .LBB64_115
.LBB64_114:
	v_mov_b32_e32 v72, 0
.LBB64_115:
	v_dual_add_f32 v73, v13, v65 :: v_dual_add_f32 v74, v12, v64
	v_dual_add_f32 v75, v15, v67 :: v_dual_add_f32 v76, v14, v66
	s_delay_alu instid0(VALU_DEP_2) | instskip(SKIP_1) | instid1(VALU_DEP_3)
	v_min3_f32 v77, v74, v73, v140
	v_lshlrev_b64 v[73:74], 2, v[82:83]
	v_min_f32_e32 v75, v76, v75
	s_delay_alu instid0(VALU_DEP_1) | instskip(NEXT) | instid1(VALU_DEP_3)
	v_min3_f32 v75, v72, v75, v77
	v_add_co_u32 v72, vcc_lo, v68, v73
	s_delay_alu instid0(VALU_DEP_4) | instskip(SKIP_3) | instid1(SALU_CYCLE_1)
	v_add_co_ci_u32_e32 v73, vcc_lo, v69, v74, vcc_lo
	global_store_b32 v[72:73], v75, off
	s_or_b32 exec_lo, exec_lo, s8
	s_and_b32 s11, s2, s4
	s_and_saveexec_b32 s8, s11
	s_cbranch_execz .LBB64_107
.LBB64_116:
	v_cmp_ne_u32_e32 vcc_lo, 1, v126
	s_cbranch_vccnz .LBB64_118
; %bb.117:
	v_lshlrev_b64 v[72:73], 2, v[84:85]
	s_delay_alu instid0(VALU_DEP_1) | instskip(NEXT) | instid1(VALU_DEP_2)
	v_add_co_u32 v72, vcc_lo, v70, v72
	v_add_co_ci_u32_e32 v73, vcc_lo, v71, v73, vcc_lo
	flat_load_b32 v72, v[72:73]
	s_waitcnt vmcnt(0) lgkmcnt(0)
	v_mul_f32_e32 v72, s7, v72
	s_branch .LBB64_119
.LBB64_118:
	v_mov_b32_e32 v72, 0
.LBB64_119:
	v_dual_add_f32 v73, v5, v65 :: v_dual_add_f32 v74, v4, v64
	v_dual_add_f32 v75, v7, v67 :: v_dual_add_f32 v76, v6, v66
	s_delay_alu instid0(VALU_DEP_2) | instskip(SKIP_1) | instid1(VALU_DEP_3)
	v_min3_f32 v77, v74, v73, v139
	v_lshlrev_b64 v[73:74], 2, v[84:85]
	v_min_f32_e32 v75, v76, v75
	s_delay_alu instid0(VALU_DEP_1) | instskip(NEXT) | instid1(VALU_DEP_3)
	v_min3_f32 v75, v72, v75, v77
	v_add_co_u32 v72, vcc_lo, v68, v73
	s_delay_alu instid0(VALU_DEP_4) | instskip(SKIP_3) | instid1(SALU_CYCLE_1)
	v_add_co_ci_u32_e32 v73, vcc_lo, v69, v74, vcc_lo
	global_store_b32 v[72:73], v75, off
	s_or_b32 exec_lo, exec_lo, s8
	s_and_b32 s8, s3, s4
	s_and_saveexec_b32 s4, s8
	s_cbranch_execz .LBB64_124
.LBB64_120:
	v_cmp_ne_u32_e32 vcc_lo, 1, v126
	s_cbranch_vccnz .LBB64_122
; %bb.121:
	v_lshlrev_b64 v[72:73], 2, v[86:87]
	s_delay_alu instid0(VALU_DEP_1) | instskip(NEXT) | instid1(VALU_DEP_2)
	v_add_co_u32 v70, vcc_lo, v70, v72
	v_add_co_ci_u32_e32 v71, vcc_lo, v71, v73, vcc_lo
	flat_load_b32 v70, v[70:71]
	s_waitcnt vmcnt(0) lgkmcnt(0)
	v_mul_f32_e32 v70, s7, v70
	s_branch .LBB64_123
.LBB64_122:
	v_mov_b32_e32 v70, 0
.LBB64_123:
	v_dual_add_f32 v65, v1, v65 :: v_dual_add_f32 v64, v0, v64
	v_dual_add_f32 v67, v3, v67 :: v_dual_add_f32 v66, v2, v66
	s_delay_alu instid0(VALU_DEP_2) | instskip(SKIP_1) | instid1(VALU_DEP_3)
	v_min3_f32 v71, v64, v65, v138
	v_lshlrev_b64 v[64:65], 2, v[86:87]
	v_min_f32_e32 v66, v66, v67
	s_delay_alu instid0(VALU_DEP_1) | instskip(NEXT) | instid1(VALU_DEP_3)
	v_min3_f32 v66, v70, v66, v71
	v_add_co_u32 v64, vcc_lo, v68, v64
	s_delay_alu instid0(VALU_DEP_4)
	v_add_co_ci_u32_e32 v65, vcc_lo, v69, v65, vcc_lo
	global_store_b32 v[64:65], v66, off
.LBB64_124:
	s_or_b32 exec_lo, exec_lo, s4
	v_add_nc_u32_e32 v68, 32, v130
	s_delay_alu instid0(VALU_DEP_1) | instskip(SKIP_2) | instid1(VALU_DEP_3)
	v_mad_i64_i32 v[64:65], null, v68, s6, 0
	v_mad_i64_i32 v[66:67], null, v68, s5, 0
	v_cmp_gt_i32_e64 s4, s9, v68
	v_lshlrev_b64 v[64:65], 2, v[64:65]
	s_delay_alu instid0(VALU_DEP_2) | instskip(NEXT) | instid1(VALU_DEP_3)
	s_and_b32 s11, s0, s4
	v_lshlrev_b64 v[68:69], 2, v[66:67]
	s_delay_alu instid0(VALU_DEP_2) | instskip(NEXT) | instid1(VALU_DEP_3)
	v_add_co_u32 v66, vcc_lo, s12, v64
	v_add_co_ci_u32_e32 v67, vcc_lo, s13, v65, vcc_lo
	s_delay_alu instid0(VALU_DEP_3) | instskip(NEXT) | instid1(VALU_DEP_4)
	v_add_co_u32 v64, vcc_lo, s10, v68
	v_add_co_ci_u32_e32 v65, vcc_lo, s14, v69, vcc_lo
	s_and_saveexec_b32 s8, s11
	s_cbranch_execnz .LBB64_128
; %bb.125:
	s_or_b32 exec_lo, exec_lo, s8
	s_and_b32 s11, s1, s4
	s_delay_alu instid0(SALU_CYCLE_1)
	s_and_saveexec_b32 s8, s11
	s_cbranch_execnz .LBB64_132
.LBB64_126:
	s_or_b32 exec_lo, exec_lo, s8
	s_and_b32 s11, s2, s4
	s_delay_alu instid0(SALU_CYCLE_1)
	s_and_saveexec_b32 s8, s11
	s_cbranch_execnz .LBB64_136
.LBB64_127:
	s_or_b32 exec_lo, exec_lo, s8
	s_and_b32 s8, s3, s4
	s_delay_alu instid0(SALU_CYCLE_1)
	s_and_saveexec_b32 s4, s8
	s_cbranch_execnz .LBB64_140
	s_branch .LBB64_144
.LBB64_128:
	v_cmp_ne_u32_e32 vcc_lo, 1, v126
	s_cbranch_vccnz .LBB64_130
; %bb.129:
	v_lshlrev_b64 v[68:69], 2, v[80:81]
	s_delay_alu instid0(VALU_DEP_1) | instskip(NEXT) | instid1(VALU_DEP_2)
	v_add_co_u32 v68, vcc_lo, v66, v68
	v_add_co_ci_u32_e32 v69, vcc_lo, v67, v69, vcc_lo
	flat_load_b32 v68, v[68:69]
	s_waitcnt vmcnt(0) lgkmcnt(0)
	v_mul_f32_e32 v68, s7, v68
	s_branch .LBB64_131
.LBB64_130:
	v_mov_b32_e32 v68, 0
.LBB64_131:
	v_dual_add_f32 v69, v17, v61 :: v_dual_add_f32 v70, v16, v60
	v_dual_add_f32 v71, v19, v63 :: v_dual_add_f32 v72, v18, v62
	s_delay_alu instid0(VALU_DEP_2) | instskip(SKIP_1) | instid1(VALU_DEP_3)
	v_min3_f32 v73, v70, v69, v137
	v_lshlrev_b64 v[69:70], 2, v[80:81]
	v_min_f32_e32 v71, v72, v71
	s_delay_alu instid0(VALU_DEP_1) | instskip(NEXT) | instid1(VALU_DEP_3)
	v_min3_f32 v71, v68, v71, v73
	v_add_co_u32 v68, vcc_lo, v64, v69
	s_delay_alu instid0(VALU_DEP_4) | instskip(SKIP_3) | instid1(SALU_CYCLE_1)
	v_add_co_ci_u32_e32 v69, vcc_lo, v65, v70, vcc_lo
	global_store_b32 v[68:69], v71, off
	s_or_b32 exec_lo, exec_lo, s8
	s_and_b32 s11, s1, s4
	s_and_saveexec_b32 s8, s11
	s_cbranch_execz .LBB64_126
.LBB64_132:
	v_cmp_ne_u32_e32 vcc_lo, 1, v126
	s_cbranch_vccnz .LBB64_134
; %bb.133:
	v_lshlrev_b64 v[68:69], 2, v[82:83]
	s_delay_alu instid0(VALU_DEP_1) | instskip(NEXT) | instid1(VALU_DEP_2)
	v_add_co_u32 v68, vcc_lo, v66, v68
	v_add_co_ci_u32_e32 v69, vcc_lo, v67, v69, vcc_lo
	flat_load_b32 v68, v[68:69]
	s_waitcnt vmcnt(0) lgkmcnt(0)
	v_mul_f32_e32 v68, s7, v68
	s_branch .LBB64_135
.LBB64_134:
	v_mov_b32_e32 v68, 0
.LBB64_135:
	v_dual_add_f32 v69, v13, v61 :: v_dual_add_f32 v70, v12, v60
	v_dual_add_f32 v71, v15, v63 :: v_dual_add_f32 v72, v14, v62
	s_delay_alu instid0(VALU_DEP_2) | instskip(SKIP_1) | instid1(VALU_DEP_3)
	v_min3_f32 v73, v70, v69, v136
	v_lshlrev_b64 v[69:70], 2, v[82:83]
	v_min_f32_e32 v71, v72, v71
	s_delay_alu instid0(VALU_DEP_1) | instskip(NEXT) | instid1(VALU_DEP_3)
	v_min3_f32 v71, v68, v71, v73
	v_add_co_u32 v68, vcc_lo, v64, v69
	s_delay_alu instid0(VALU_DEP_4) | instskip(SKIP_3) | instid1(SALU_CYCLE_1)
	v_add_co_ci_u32_e32 v69, vcc_lo, v65, v70, vcc_lo
	global_store_b32 v[68:69], v71, off
	s_or_b32 exec_lo, exec_lo, s8
	s_and_b32 s11, s2, s4
	s_and_saveexec_b32 s8, s11
	s_cbranch_execz .LBB64_127
.LBB64_136:
	v_cmp_ne_u32_e32 vcc_lo, 1, v126
	s_cbranch_vccnz .LBB64_138
; %bb.137:
	v_lshlrev_b64 v[68:69], 2, v[84:85]
	s_delay_alu instid0(VALU_DEP_1) | instskip(NEXT) | instid1(VALU_DEP_2)
	v_add_co_u32 v68, vcc_lo, v66, v68
	v_add_co_ci_u32_e32 v69, vcc_lo, v67, v69, vcc_lo
	flat_load_b32 v68, v[68:69]
	s_waitcnt vmcnt(0) lgkmcnt(0)
	v_mul_f32_e32 v68, s7, v68
	s_branch .LBB64_139
.LBB64_138:
	v_mov_b32_e32 v68, 0
.LBB64_139:
	v_dual_add_f32 v69, v5, v61 :: v_dual_add_f32 v70, v4, v60
	v_dual_add_f32 v71, v7, v63 :: v_dual_add_f32 v72, v6, v62
	s_delay_alu instid0(VALU_DEP_2) | instskip(SKIP_1) | instid1(VALU_DEP_3)
	v_min3_f32 v73, v70, v69, v135
	v_lshlrev_b64 v[69:70], 2, v[84:85]
	v_min_f32_e32 v71, v72, v71
	s_delay_alu instid0(VALU_DEP_1) | instskip(NEXT) | instid1(VALU_DEP_3)
	v_min3_f32 v71, v68, v71, v73
	v_add_co_u32 v68, vcc_lo, v64, v69
	s_delay_alu instid0(VALU_DEP_4) | instskip(SKIP_3) | instid1(SALU_CYCLE_1)
	v_add_co_ci_u32_e32 v69, vcc_lo, v65, v70, vcc_lo
	global_store_b32 v[68:69], v71, off
	s_or_b32 exec_lo, exec_lo, s8
	s_and_b32 s8, s3, s4
	s_and_saveexec_b32 s4, s8
	s_cbranch_execz .LBB64_144
.LBB64_140:
	v_cmp_ne_u32_e32 vcc_lo, 1, v126
	s_cbranch_vccnz .LBB64_142
; %bb.141:
	v_lshlrev_b64 v[68:69], 2, v[86:87]
	s_delay_alu instid0(VALU_DEP_1) | instskip(NEXT) | instid1(VALU_DEP_2)
	v_add_co_u32 v66, vcc_lo, v66, v68
	v_add_co_ci_u32_e32 v67, vcc_lo, v67, v69, vcc_lo
	flat_load_b32 v66, v[66:67]
	s_waitcnt vmcnt(0) lgkmcnt(0)
	v_mul_f32_e32 v66, s7, v66
	s_branch .LBB64_143
.LBB64_142:
	v_mov_b32_e32 v66, 0
.LBB64_143:
	v_dual_add_f32 v61, v1, v61 :: v_dual_add_f32 v60, v0, v60
	v_dual_add_f32 v63, v3, v63 :: v_dual_add_f32 v62, v2, v62
	s_delay_alu instid0(VALU_DEP_2) | instskip(SKIP_1) | instid1(VALU_DEP_3)
	v_min3_f32 v67, v60, v61, v134
	v_lshlrev_b64 v[60:61], 2, v[86:87]
	v_min_f32_e32 v62, v62, v63
	s_delay_alu instid0(VALU_DEP_1) | instskip(NEXT) | instid1(VALU_DEP_3)
	v_min3_f32 v62, v66, v62, v67
	v_add_co_u32 v60, vcc_lo, v64, v60
	s_delay_alu instid0(VALU_DEP_4)
	v_add_co_ci_u32_e32 v61, vcc_lo, v65, v61, vcc_lo
	global_store_b32 v[60:61], v62, off
.LBB64_144:
	s_or_b32 exec_lo, exec_lo, s4
	v_add_nc_u32_e32 v64, 40, v130
	s_delay_alu instid0(VALU_DEP_1) | instskip(SKIP_2) | instid1(VALU_DEP_3)
	v_mad_i64_i32 v[60:61], null, v64, s6, 0
	v_mad_i64_i32 v[62:63], null, v64, s5, 0
	v_cmp_gt_i32_e64 s4, s9, v64
	v_lshlrev_b64 v[60:61], 2, v[60:61]
	s_delay_alu instid0(VALU_DEP_2) | instskip(NEXT) | instid1(VALU_DEP_3)
	s_and_b32 s11, s0, s4
	v_lshlrev_b64 v[64:65], 2, v[62:63]
	s_delay_alu instid0(VALU_DEP_2) | instskip(NEXT) | instid1(VALU_DEP_3)
	v_add_co_u32 v62, vcc_lo, s12, v60
	v_add_co_ci_u32_e32 v63, vcc_lo, s13, v61, vcc_lo
	s_delay_alu instid0(VALU_DEP_3) | instskip(NEXT) | instid1(VALU_DEP_4)
	v_add_co_u32 v60, vcc_lo, s10, v64
	v_add_co_ci_u32_e32 v61, vcc_lo, s14, v65, vcc_lo
	s_and_saveexec_b32 s8, s11
	s_cbranch_execnz .LBB64_148
; %bb.145:
	s_or_b32 exec_lo, exec_lo, s8
	s_and_b32 s11, s1, s4
	s_delay_alu instid0(SALU_CYCLE_1)
	s_and_saveexec_b32 s8, s11
	s_cbranch_execnz .LBB64_152
.LBB64_146:
	s_or_b32 exec_lo, exec_lo, s8
	s_and_b32 s11, s2, s4
	s_delay_alu instid0(SALU_CYCLE_1)
	s_and_saveexec_b32 s8, s11
	s_cbranch_execnz .LBB64_156
.LBB64_147:
	s_or_b32 exec_lo, exec_lo, s8
	s_and_b32 s8, s3, s4
	s_delay_alu instid0(SALU_CYCLE_1)
	s_and_saveexec_b32 s4, s8
	s_cbranch_execnz .LBB64_160
	s_branch .LBB64_164
.LBB64_148:
	v_cmp_ne_u32_e32 vcc_lo, 1, v126
	s_cbranch_vccnz .LBB64_150
; %bb.149:
	v_lshlrev_b64 v[64:65], 2, v[80:81]
	s_delay_alu instid0(VALU_DEP_1) | instskip(NEXT) | instid1(VALU_DEP_2)
	v_add_co_u32 v64, vcc_lo, v62, v64
	v_add_co_ci_u32_e32 v65, vcc_lo, v63, v65, vcc_lo
	flat_load_b32 v64, v[64:65]
	s_waitcnt vmcnt(0) lgkmcnt(0)
	v_mul_f32_e32 v64, s7, v64
	s_branch .LBB64_151
.LBB64_150:
	v_mov_b32_e32 v64, 0
.LBB64_151:
	v_dual_add_f32 v65, v17, v57 :: v_dual_add_f32 v66, v16, v56
	v_dual_add_f32 v67, v19, v59 :: v_dual_add_f32 v68, v18, v58
	s_delay_alu instid0(VALU_DEP_2) | instskip(SKIP_1) | instid1(VALU_DEP_3)
	v_min3_f32 v69, v66, v65, v133
	v_lshlrev_b64 v[65:66], 2, v[80:81]
	v_min_f32_e32 v67, v68, v67
	s_delay_alu instid0(VALU_DEP_1) | instskip(NEXT) | instid1(VALU_DEP_3)
	v_min3_f32 v67, v64, v67, v69
	v_add_co_u32 v64, vcc_lo, v60, v65
	s_delay_alu instid0(VALU_DEP_4) | instskip(SKIP_3) | instid1(SALU_CYCLE_1)
	v_add_co_ci_u32_e32 v65, vcc_lo, v61, v66, vcc_lo
	global_store_b32 v[64:65], v67, off
	s_or_b32 exec_lo, exec_lo, s8
	s_and_b32 s11, s1, s4
	s_and_saveexec_b32 s8, s11
	s_cbranch_execz .LBB64_146
.LBB64_152:
	v_cmp_ne_u32_e32 vcc_lo, 1, v126
	s_cbranch_vccnz .LBB64_154
; %bb.153:
	v_lshlrev_b64 v[64:65], 2, v[82:83]
	s_delay_alu instid0(VALU_DEP_1) | instskip(NEXT) | instid1(VALU_DEP_2)
	v_add_co_u32 v64, vcc_lo, v62, v64
	v_add_co_ci_u32_e32 v65, vcc_lo, v63, v65, vcc_lo
	flat_load_b32 v64, v[64:65]
	s_waitcnt vmcnt(0) lgkmcnt(0)
	v_mul_f32_e32 v64, s7, v64
	s_branch .LBB64_155
.LBB64_154:
	v_mov_b32_e32 v64, 0
.LBB64_155:
	v_dual_add_f32 v65, v13, v57 :: v_dual_add_f32 v66, v12, v56
	v_dual_add_f32 v67, v15, v59 :: v_dual_add_f32 v68, v14, v58
	s_delay_alu instid0(VALU_DEP_2) | instskip(SKIP_1) | instid1(VALU_DEP_3)
	v_min3_f32 v69, v66, v65, v132
	v_lshlrev_b64 v[65:66], 2, v[82:83]
	v_min_f32_e32 v67, v68, v67
	s_delay_alu instid0(VALU_DEP_1) | instskip(NEXT) | instid1(VALU_DEP_3)
	v_min3_f32 v67, v64, v67, v69
	v_add_co_u32 v64, vcc_lo, v60, v65
	s_delay_alu instid0(VALU_DEP_4) | instskip(SKIP_3) | instid1(SALU_CYCLE_1)
	v_add_co_ci_u32_e32 v65, vcc_lo, v61, v66, vcc_lo
	global_store_b32 v[64:65], v67, off
	s_or_b32 exec_lo, exec_lo, s8
	s_and_b32 s11, s2, s4
	s_and_saveexec_b32 s8, s11
	s_cbranch_execz .LBB64_147
.LBB64_156:
	v_cmp_ne_u32_e32 vcc_lo, 1, v126
	s_cbranch_vccnz .LBB64_158
; %bb.157:
	v_lshlrev_b64 v[64:65], 2, v[84:85]
	s_delay_alu instid0(VALU_DEP_1) | instskip(NEXT) | instid1(VALU_DEP_2)
	v_add_co_u32 v64, vcc_lo, v62, v64
	v_add_co_ci_u32_e32 v65, vcc_lo, v63, v65, vcc_lo
	flat_load_b32 v64, v[64:65]
	s_waitcnt vmcnt(0) lgkmcnt(0)
	v_mul_f32_e32 v64, s7, v64
	s_branch .LBB64_159
.LBB64_158:
	v_mov_b32_e32 v64, 0
.LBB64_159:
	v_dual_add_f32 v65, v5, v57 :: v_dual_add_f32 v66, v4, v56
	v_dual_add_f32 v67, v7, v59 :: v_dual_add_f32 v68, v6, v58
	s_delay_alu instid0(VALU_DEP_2) | instskip(SKIP_1) | instid1(VALU_DEP_3)
	v_min3_f32 v69, v66, v65, v131
	v_lshlrev_b64 v[65:66], 2, v[84:85]
	v_min_f32_e32 v67, v68, v67
	s_delay_alu instid0(VALU_DEP_1) | instskip(NEXT) | instid1(VALU_DEP_3)
	v_min3_f32 v67, v64, v67, v69
	v_add_co_u32 v64, vcc_lo, v60, v65
	s_delay_alu instid0(VALU_DEP_4) | instskip(SKIP_3) | instid1(SALU_CYCLE_1)
	v_add_co_ci_u32_e32 v65, vcc_lo, v61, v66, vcc_lo
	global_store_b32 v[64:65], v67, off
	s_or_b32 exec_lo, exec_lo, s8
	s_and_b32 s8, s3, s4
	s_and_saveexec_b32 s4, s8
	s_cbranch_execz .LBB64_164
.LBB64_160:
	v_cmp_ne_u32_e32 vcc_lo, 1, v126
	s_cbranch_vccnz .LBB64_162
; %bb.161:
	v_lshlrev_b64 v[64:65], 2, v[86:87]
	s_delay_alu instid0(VALU_DEP_1) | instskip(NEXT) | instid1(VALU_DEP_2)
	v_add_co_u32 v62, vcc_lo, v62, v64
	v_add_co_ci_u32_e32 v63, vcc_lo, v63, v65, vcc_lo
	flat_load_b32 v62, v[62:63]
	s_waitcnt vmcnt(0) lgkmcnt(0)
	v_mul_f32_e32 v62, s7, v62
	s_branch .LBB64_163
.LBB64_162:
	v_mov_b32_e32 v62, 0
.LBB64_163:
	v_dual_add_f32 v57, v1, v57 :: v_dual_add_f32 v56, v0, v56
	v_dual_add_f32 v59, v3, v59 :: v_dual_add_f32 v58, v2, v58
	s_delay_alu instid0(VALU_DEP_2) | instskip(SKIP_1) | instid1(VALU_DEP_3)
	v_min3_f32 v63, v56, v57, v129
	v_lshlrev_b64 v[56:57], 2, v[86:87]
	v_min_f32_e32 v58, v58, v59
	s_delay_alu instid0(VALU_DEP_1) | instskip(NEXT) | instid1(VALU_DEP_3)
	v_min3_f32 v58, v62, v58, v63
	v_add_co_u32 v56, vcc_lo, v60, v56
	s_delay_alu instid0(VALU_DEP_4)
	v_add_co_ci_u32_e32 v57, vcc_lo, v61, v57, vcc_lo
	global_store_b32 v[56:57], v58, off
.LBB64_164:
	s_or_b32 exec_lo, exec_lo, s4
	v_add_nc_u32_e32 v60, 48, v130
	s_delay_alu instid0(VALU_DEP_1) | instskip(SKIP_2) | instid1(VALU_DEP_3)
	v_mad_i64_i32 v[56:57], null, v60, s6, 0
	v_mad_i64_i32 v[58:59], null, v60, s5, 0
	v_cmp_gt_i32_e64 s4, s9, v60
	v_lshlrev_b64 v[56:57], 2, v[56:57]
	s_delay_alu instid0(VALU_DEP_2) | instskip(NEXT) | instid1(VALU_DEP_3)
	s_and_b32 s11, s0, s4
	v_lshlrev_b64 v[60:61], 2, v[58:59]
	s_delay_alu instid0(VALU_DEP_2) | instskip(NEXT) | instid1(VALU_DEP_3)
	v_add_co_u32 v58, vcc_lo, s12, v56
	v_add_co_ci_u32_e32 v59, vcc_lo, s13, v57, vcc_lo
	s_delay_alu instid0(VALU_DEP_3) | instskip(NEXT) | instid1(VALU_DEP_4)
	v_add_co_u32 v56, vcc_lo, s10, v60
	v_add_co_ci_u32_e32 v57, vcc_lo, s14, v61, vcc_lo
	s_and_saveexec_b32 s8, s11
	s_cbranch_execnz .LBB64_168
; %bb.165:
	s_or_b32 exec_lo, exec_lo, s8
	s_and_b32 s11, s1, s4
	s_delay_alu instid0(SALU_CYCLE_1)
	s_and_saveexec_b32 s8, s11
	s_cbranch_execnz .LBB64_172
.LBB64_166:
	s_or_b32 exec_lo, exec_lo, s8
	s_and_b32 s11, s2, s4
	s_delay_alu instid0(SALU_CYCLE_1)
	s_and_saveexec_b32 s8, s11
	s_cbranch_execnz .LBB64_176
.LBB64_167:
	s_or_b32 exec_lo, exec_lo, s8
	s_and_b32 s8, s3, s4
	s_delay_alu instid0(SALU_CYCLE_1)
	s_and_saveexec_b32 s4, s8
	s_cbranch_execnz .LBB64_180
	s_branch .LBB64_184
.LBB64_168:
	v_cmp_ne_u32_e32 vcc_lo, 1, v126
	s_cbranch_vccnz .LBB64_170
; %bb.169:
	v_lshlrev_b64 v[60:61], 2, v[80:81]
	s_delay_alu instid0(VALU_DEP_1) | instskip(NEXT) | instid1(VALU_DEP_2)
	v_add_co_u32 v60, vcc_lo, v58, v60
	v_add_co_ci_u32_e32 v61, vcc_lo, v59, v61, vcc_lo
	flat_load_b32 v60, v[60:61]
	s_waitcnt vmcnt(0) lgkmcnt(0)
	v_mul_f32_e32 v60, s7, v60
	s_branch .LBB64_171
.LBB64_170:
	v_mov_b32_e32 v60, 0
.LBB64_171:
	v_dual_add_f32 v61, v17, v53 :: v_dual_add_f32 v62, v16, v52
	v_dual_add_f32 v63, v19, v55 :: v_dual_add_f32 v64, v18, v54
	s_delay_alu instid0(VALU_DEP_2) | instskip(SKIP_1) | instid1(VALU_DEP_3)
	v_min3_f32 v65, v62, v61, v128
	v_lshlrev_b64 v[61:62], 2, v[80:81]
	v_min_f32_e32 v63, v64, v63
	s_delay_alu instid0(VALU_DEP_1) | instskip(NEXT) | instid1(VALU_DEP_3)
	v_min3_f32 v63, v60, v63, v65
	v_add_co_u32 v60, vcc_lo, v56, v61
	s_delay_alu instid0(VALU_DEP_4) | instskip(SKIP_3) | instid1(SALU_CYCLE_1)
	v_add_co_ci_u32_e32 v61, vcc_lo, v57, v62, vcc_lo
	global_store_b32 v[60:61], v63, off
	s_or_b32 exec_lo, exec_lo, s8
	s_and_b32 s11, s1, s4
	s_and_saveexec_b32 s8, s11
	s_cbranch_execz .LBB64_166
.LBB64_172:
	v_cmp_ne_u32_e32 vcc_lo, 1, v126
	s_cbranch_vccnz .LBB64_174
; %bb.173:
	v_lshlrev_b64 v[60:61], 2, v[82:83]
	s_delay_alu instid0(VALU_DEP_1) | instskip(NEXT) | instid1(VALU_DEP_2)
	v_add_co_u32 v60, vcc_lo, v58, v60
	v_add_co_ci_u32_e32 v61, vcc_lo, v59, v61, vcc_lo
	flat_load_b32 v60, v[60:61]
	s_waitcnt vmcnt(0) lgkmcnt(0)
	v_mul_f32_e32 v60, s7, v60
	s_branch .LBB64_175
.LBB64_174:
	v_mov_b32_e32 v60, 0
.LBB64_175:
	v_dual_add_f32 v61, v13, v53 :: v_dual_add_f32 v62, v12, v52
	v_dual_add_f32 v63, v15, v55 :: v_dual_add_f32 v64, v14, v54
	s_delay_alu instid0(VALU_DEP_2) | instskip(SKIP_1) | instid1(VALU_DEP_3)
	v_min3_f32 v65, v62, v61, v127
	v_lshlrev_b64 v[61:62], 2, v[82:83]
	v_min_f32_e32 v63, v64, v63
	s_delay_alu instid0(VALU_DEP_1) | instskip(NEXT) | instid1(VALU_DEP_3)
	v_min3_f32 v63, v60, v63, v65
	v_add_co_u32 v60, vcc_lo, v56, v61
	s_delay_alu instid0(VALU_DEP_4) | instskip(SKIP_3) | instid1(SALU_CYCLE_1)
	v_add_co_ci_u32_e32 v61, vcc_lo, v57, v62, vcc_lo
	global_store_b32 v[60:61], v63, off
	s_or_b32 exec_lo, exec_lo, s8
	s_and_b32 s11, s2, s4
	s_and_saveexec_b32 s8, s11
	s_cbranch_execz .LBB64_167
.LBB64_176:
	v_cmp_ne_u32_e32 vcc_lo, 1, v126
	s_cbranch_vccnz .LBB64_178
; %bb.177:
	v_lshlrev_b64 v[60:61], 2, v[84:85]
	s_delay_alu instid0(VALU_DEP_1) | instskip(NEXT) | instid1(VALU_DEP_2)
	v_add_co_u32 v60, vcc_lo, v58, v60
	v_add_co_ci_u32_e32 v61, vcc_lo, v59, v61, vcc_lo
	flat_load_b32 v60, v[60:61]
	s_waitcnt vmcnt(0) lgkmcnt(0)
	v_mul_f32_e32 v60, s7, v60
	s_branch .LBB64_179
.LBB64_178:
	v_mov_b32_e32 v60, 0
.LBB64_179:
	v_dual_add_f32 v61, v5, v53 :: v_dual_add_f32 v62, v4, v52
	v_dual_add_f32 v63, v7, v55 :: v_dual_add_f32 v64, v6, v54
	s_delay_alu instid0(VALU_DEP_2) | instskip(SKIP_1) | instid1(VALU_DEP_3)
	v_min3_f32 v65, v62, v61, v125
	v_lshlrev_b64 v[61:62], 2, v[84:85]
	v_min_f32_e32 v63, v64, v63
	s_delay_alu instid0(VALU_DEP_1) | instskip(NEXT) | instid1(VALU_DEP_3)
	v_min3_f32 v63, v60, v63, v65
	v_add_co_u32 v60, vcc_lo, v56, v61
	s_delay_alu instid0(VALU_DEP_4) | instskip(SKIP_3) | instid1(SALU_CYCLE_1)
	v_add_co_ci_u32_e32 v61, vcc_lo, v57, v62, vcc_lo
	global_store_b32 v[60:61], v63, off
	s_or_b32 exec_lo, exec_lo, s8
	s_and_b32 s8, s3, s4
	s_and_saveexec_b32 s4, s8
	s_cbranch_execz .LBB64_184
.LBB64_180:
	v_cmp_ne_u32_e32 vcc_lo, 1, v126
	s_cbranch_vccnz .LBB64_182
; %bb.181:
	v_lshlrev_b64 v[60:61], 2, v[86:87]
	s_delay_alu instid0(VALU_DEP_1) | instskip(NEXT) | instid1(VALU_DEP_2)
	v_add_co_u32 v58, vcc_lo, v58, v60
	v_add_co_ci_u32_e32 v59, vcc_lo, v59, v61, vcc_lo
	flat_load_b32 v58, v[58:59]
	s_waitcnt vmcnt(0) lgkmcnt(0)
	v_mul_f32_e32 v58, s7, v58
	s_branch .LBB64_183
.LBB64_182:
	v_mov_b32_e32 v58, 0
.LBB64_183:
	v_dual_add_f32 v53, v1, v53 :: v_dual_add_f32 v52, v0, v52
	v_dual_add_f32 v55, v3, v55 :: v_dual_add_f32 v54, v2, v54
	s_delay_alu instid0(VALU_DEP_2) | instskip(SKIP_1) | instid1(VALU_DEP_3)
	v_min3_f32 v59, v52, v53, v124
	v_lshlrev_b64 v[52:53], 2, v[86:87]
	v_min_f32_e32 v54, v54, v55
	s_delay_alu instid0(VALU_DEP_1) | instskip(NEXT) | instid1(VALU_DEP_3)
	v_min3_f32 v54, v58, v54, v59
	v_add_co_u32 v52, vcc_lo, v56, v52
	s_delay_alu instid0(VALU_DEP_4)
	v_add_co_ci_u32_e32 v53, vcc_lo, v57, v53, vcc_lo
	global_store_b32 v[52:53], v54, off
.LBB64_184:
	s_or_b32 exec_lo, exec_lo, s4
	v_add_nc_u32_e32 v56, 56, v130
	s_delay_alu instid0(VALU_DEP_1) | instskip(SKIP_2) | instid1(VALU_DEP_3)
	v_mad_i64_i32 v[52:53], null, v56, s6, 0
	v_mad_i64_i32 v[54:55], null, v56, s5, 0
	v_cmp_gt_i32_e64 s4, s9, v56
	v_lshlrev_b64 v[52:53], 2, v[52:53]
	s_delay_alu instid0(VALU_DEP_2) | instskip(NEXT) | instid1(VALU_DEP_3)
	s_and_b32 s11, s0, s4
	v_lshlrev_b64 v[56:57], 2, v[54:55]
	s_delay_alu instid0(VALU_DEP_2) | instskip(NEXT) | instid1(VALU_DEP_3)
	v_add_co_u32 v54, vcc_lo, s12, v52
	v_add_co_ci_u32_e32 v55, vcc_lo, s13, v53, vcc_lo
	s_delay_alu instid0(VALU_DEP_3) | instskip(NEXT) | instid1(VALU_DEP_4)
	v_add_co_u32 v52, vcc_lo, s10, v56
	v_add_co_ci_u32_e32 v53, vcc_lo, s14, v57, vcc_lo
	s_and_saveexec_b32 s8, s11
	s_cbranch_execnz .LBB64_188
; %bb.185:
	s_or_b32 exec_lo, exec_lo, s8
	s_and_b32 s11, s1, s4
	s_delay_alu instid0(SALU_CYCLE_1)
	s_and_saveexec_b32 s8, s11
	s_cbranch_execnz .LBB64_192
.LBB64_186:
	s_or_b32 exec_lo, exec_lo, s8
	s_and_b32 s11, s2, s4
	s_delay_alu instid0(SALU_CYCLE_1)
	s_and_saveexec_b32 s8, s11
	s_cbranch_execnz .LBB64_196
.LBB64_187:
	s_or_b32 exec_lo, exec_lo, s8
	s_and_b32 s8, s3, s4
	s_delay_alu instid0(SALU_CYCLE_1)
	s_and_saveexec_b32 s4, s8
	s_cbranch_execnz .LBB64_200
	s_branch .LBB64_204
.LBB64_188:
	v_cmp_ne_u32_e32 vcc_lo, 1, v126
	s_cbranch_vccnz .LBB64_190
; %bb.189:
	v_lshlrev_b64 v[56:57], 2, v[80:81]
	s_delay_alu instid0(VALU_DEP_1) | instskip(NEXT) | instid1(VALU_DEP_2)
	v_add_co_u32 v56, vcc_lo, v54, v56
	v_add_co_ci_u32_e32 v57, vcc_lo, v55, v57, vcc_lo
	flat_load_b32 v56, v[56:57]
	s_waitcnt vmcnt(0) lgkmcnt(0)
	v_mul_f32_e32 v56, s7, v56
	s_branch .LBB64_191
.LBB64_190:
	v_mov_b32_e32 v56, 0
.LBB64_191:
	v_dual_add_f32 v57, v17, v49 :: v_dual_add_f32 v58, v16, v48
	v_dual_add_f32 v59, v19, v51 :: v_dual_add_f32 v60, v18, v50
	s_delay_alu instid0(VALU_DEP_2) | instskip(SKIP_1) | instid1(VALU_DEP_3)
	v_min3_f32 v61, v58, v57, v123
	v_lshlrev_b64 v[57:58], 2, v[80:81]
	v_min_f32_e32 v59, v60, v59
	s_delay_alu instid0(VALU_DEP_1) | instskip(NEXT) | instid1(VALU_DEP_3)
	v_min3_f32 v59, v56, v59, v61
	v_add_co_u32 v56, vcc_lo, v52, v57
	s_delay_alu instid0(VALU_DEP_4) | instskip(SKIP_3) | instid1(SALU_CYCLE_1)
	v_add_co_ci_u32_e32 v57, vcc_lo, v53, v58, vcc_lo
	global_store_b32 v[56:57], v59, off
	s_or_b32 exec_lo, exec_lo, s8
	s_and_b32 s11, s1, s4
	s_and_saveexec_b32 s8, s11
	s_cbranch_execz .LBB64_186
.LBB64_192:
	v_cmp_ne_u32_e32 vcc_lo, 1, v126
	s_cbranch_vccnz .LBB64_194
; %bb.193:
	v_lshlrev_b64 v[56:57], 2, v[82:83]
	s_delay_alu instid0(VALU_DEP_1) | instskip(NEXT) | instid1(VALU_DEP_2)
	v_add_co_u32 v56, vcc_lo, v54, v56
	v_add_co_ci_u32_e32 v57, vcc_lo, v55, v57, vcc_lo
	flat_load_b32 v56, v[56:57]
	s_waitcnt vmcnt(0) lgkmcnt(0)
	v_mul_f32_e32 v56, s7, v56
	s_branch .LBB64_195
.LBB64_194:
	v_mov_b32_e32 v56, 0
.LBB64_195:
	v_dual_add_f32 v57, v13, v49 :: v_dual_add_f32 v58, v12, v48
	v_dual_add_f32 v59, v15, v51 :: v_dual_add_f32 v60, v14, v50
	s_delay_alu instid0(VALU_DEP_2) | instskip(SKIP_1) | instid1(VALU_DEP_3)
	v_min3_f32 v61, v58, v57, v122
	v_lshlrev_b64 v[57:58], 2, v[82:83]
	v_min_f32_e32 v59, v60, v59
	s_delay_alu instid0(VALU_DEP_1) | instskip(NEXT) | instid1(VALU_DEP_3)
	v_min3_f32 v59, v56, v59, v61
	v_add_co_u32 v56, vcc_lo, v52, v57
	s_delay_alu instid0(VALU_DEP_4) | instskip(SKIP_3) | instid1(SALU_CYCLE_1)
	v_add_co_ci_u32_e32 v57, vcc_lo, v53, v58, vcc_lo
	global_store_b32 v[56:57], v59, off
	s_or_b32 exec_lo, exec_lo, s8
	s_and_b32 s11, s2, s4
	s_and_saveexec_b32 s8, s11
	s_cbranch_execz .LBB64_187
.LBB64_196:
	v_cmp_ne_u32_e32 vcc_lo, 1, v126
	s_cbranch_vccnz .LBB64_198
; %bb.197:
	v_lshlrev_b64 v[56:57], 2, v[84:85]
	s_delay_alu instid0(VALU_DEP_1) | instskip(NEXT) | instid1(VALU_DEP_2)
	v_add_co_u32 v56, vcc_lo, v54, v56
	v_add_co_ci_u32_e32 v57, vcc_lo, v55, v57, vcc_lo
	flat_load_b32 v56, v[56:57]
	s_waitcnt vmcnt(0) lgkmcnt(0)
	v_mul_f32_e32 v56, s7, v56
	s_branch .LBB64_199
.LBB64_198:
	v_mov_b32_e32 v56, 0
.LBB64_199:
	v_dual_add_f32 v57, v5, v49 :: v_dual_add_f32 v58, v4, v48
	v_dual_add_f32 v59, v7, v51 :: v_dual_add_f32 v60, v6, v50
	s_delay_alu instid0(VALU_DEP_2) | instskip(SKIP_1) | instid1(VALU_DEP_3)
	v_min3_f32 v61, v58, v57, v121
	v_lshlrev_b64 v[57:58], 2, v[84:85]
	v_min_f32_e32 v59, v60, v59
	s_delay_alu instid0(VALU_DEP_1) | instskip(NEXT) | instid1(VALU_DEP_3)
	v_min3_f32 v59, v56, v59, v61
	v_add_co_u32 v56, vcc_lo, v52, v57
	s_delay_alu instid0(VALU_DEP_4) | instskip(SKIP_3) | instid1(SALU_CYCLE_1)
	v_add_co_ci_u32_e32 v57, vcc_lo, v53, v58, vcc_lo
	global_store_b32 v[56:57], v59, off
	s_or_b32 exec_lo, exec_lo, s8
	s_and_b32 s8, s3, s4
	s_and_saveexec_b32 s4, s8
	s_cbranch_execz .LBB64_204
.LBB64_200:
	v_cmp_ne_u32_e32 vcc_lo, 1, v126
	s_cbranch_vccnz .LBB64_202
; %bb.201:
	v_lshlrev_b64 v[56:57], 2, v[86:87]
	s_delay_alu instid0(VALU_DEP_1) | instskip(NEXT) | instid1(VALU_DEP_2)
	v_add_co_u32 v54, vcc_lo, v54, v56
	v_add_co_ci_u32_e32 v55, vcc_lo, v55, v57, vcc_lo
	flat_load_b32 v54, v[54:55]
	s_waitcnt vmcnt(0) lgkmcnt(0)
	v_mul_f32_e32 v54, s7, v54
	s_branch .LBB64_203
.LBB64_202:
	v_mov_b32_e32 v54, 0
.LBB64_203:
	v_dual_add_f32 v49, v1, v49 :: v_dual_add_f32 v48, v0, v48
	v_dual_add_f32 v51, v3, v51 :: v_dual_add_f32 v50, v2, v50
	s_delay_alu instid0(VALU_DEP_2) | instskip(SKIP_1) | instid1(VALU_DEP_3)
	v_min3_f32 v55, v48, v49, v120
	v_lshlrev_b64 v[48:49], 2, v[86:87]
	v_min_f32_e32 v50, v50, v51
	s_delay_alu instid0(VALU_DEP_1) | instskip(NEXT) | instid1(VALU_DEP_3)
	v_min3_f32 v50, v54, v50, v55
	v_add_co_u32 v48, vcc_lo, v52, v48
	s_delay_alu instid0(VALU_DEP_4)
	v_add_co_ci_u32_e32 v49, vcc_lo, v53, v49, vcc_lo
	global_store_b32 v[48:49], v50, off
.LBB64_204:
	s_or_b32 exec_lo, exec_lo, s4
	v_add_nc_u32_e32 v52, 64, v130
	s_delay_alu instid0(VALU_DEP_1) | instskip(SKIP_2) | instid1(VALU_DEP_3)
	v_mad_i64_i32 v[48:49], null, v52, s6, 0
	v_mad_i64_i32 v[50:51], null, v52, s5, 0
	v_cmp_gt_i32_e64 s4, s9, v52
	v_lshlrev_b64 v[48:49], 2, v[48:49]
	s_delay_alu instid0(VALU_DEP_2) | instskip(NEXT) | instid1(VALU_DEP_3)
	s_and_b32 s11, s0, s4
	v_lshlrev_b64 v[52:53], 2, v[50:51]
	s_delay_alu instid0(VALU_DEP_2) | instskip(NEXT) | instid1(VALU_DEP_3)
	v_add_co_u32 v50, vcc_lo, s12, v48
	v_add_co_ci_u32_e32 v51, vcc_lo, s13, v49, vcc_lo
	s_delay_alu instid0(VALU_DEP_3) | instskip(NEXT) | instid1(VALU_DEP_4)
	v_add_co_u32 v48, vcc_lo, s10, v52
	v_add_co_ci_u32_e32 v49, vcc_lo, s14, v53, vcc_lo
	s_and_saveexec_b32 s8, s11
	s_cbranch_execnz .LBB64_208
; %bb.205:
	s_or_b32 exec_lo, exec_lo, s8
	s_and_b32 s11, s1, s4
	s_delay_alu instid0(SALU_CYCLE_1)
	s_and_saveexec_b32 s8, s11
	s_cbranch_execnz .LBB64_212
.LBB64_206:
	s_or_b32 exec_lo, exec_lo, s8
	s_and_b32 s11, s2, s4
	s_delay_alu instid0(SALU_CYCLE_1)
	s_and_saveexec_b32 s8, s11
	s_cbranch_execnz .LBB64_216
.LBB64_207:
	s_or_b32 exec_lo, exec_lo, s8
	s_and_b32 s8, s3, s4
	s_delay_alu instid0(SALU_CYCLE_1)
	s_and_saveexec_b32 s4, s8
	s_cbranch_execnz .LBB64_220
	s_branch .LBB64_224
.LBB64_208:
	v_cmp_ne_u32_e32 vcc_lo, 1, v126
	s_cbranch_vccnz .LBB64_210
; %bb.209:
	v_lshlrev_b64 v[52:53], 2, v[80:81]
	s_delay_alu instid0(VALU_DEP_1) | instskip(NEXT) | instid1(VALU_DEP_2)
	v_add_co_u32 v52, vcc_lo, v50, v52
	v_add_co_ci_u32_e32 v53, vcc_lo, v51, v53, vcc_lo
	flat_load_b32 v52, v[52:53]
	s_waitcnt vmcnt(0) lgkmcnt(0)
	v_mul_f32_e32 v52, s7, v52
	s_branch .LBB64_211
.LBB64_210:
	v_mov_b32_e32 v52, 0
.LBB64_211:
	v_dual_add_f32 v53, v17, v45 :: v_dual_add_f32 v54, v16, v44
	v_dual_add_f32 v55, v19, v47 :: v_dual_add_f32 v56, v18, v46
	s_delay_alu instid0(VALU_DEP_2) | instskip(SKIP_1) | instid1(VALU_DEP_3)
	v_min3_f32 v57, v54, v53, v119
	v_lshlrev_b64 v[53:54], 2, v[80:81]
	v_min_f32_e32 v55, v56, v55
	s_delay_alu instid0(VALU_DEP_1) | instskip(NEXT) | instid1(VALU_DEP_3)
	v_min3_f32 v55, v52, v55, v57
	v_add_co_u32 v52, vcc_lo, v48, v53
	s_delay_alu instid0(VALU_DEP_4) | instskip(SKIP_3) | instid1(SALU_CYCLE_1)
	v_add_co_ci_u32_e32 v53, vcc_lo, v49, v54, vcc_lo
	global_store_b32 v[52:53], v55, off
	s_or_b32 exec_lo, exec_lo, s8
	s_and_b32 s11, s1, s4
	s_and_saveexec_b32 s8, s11
	s_cbranch_execz .LBB64_206
.LBB64_212:
	v_cmp_ne_u32_e32 vcc_lo, 1, v126
	s_cbranch_vccnz .LBB64_214
; %bb.213:
	v_lshlrev_b64 v[52:53], 2, v[82:83]
	s_delay_alu instid0(VALU_DEP_1) | instskip(NEXT) | instid1(VALU_DEP_2)
	v_add_co_u32 v52, vcc_lo, v50, v52
	v_add_co_ci_u32_e32 v53, vcc_lo, v51, v53, vcc_lo
	flat_load_b32 v52, v[52:53]
	s_waitcnt vmcnt(0) lgkmcnt(0)
	v_mul_f32_e32 v52, s7, v52
	s_branch .LBB64_215
.LBB64_214:
	v_mov_b32_e32 v52, 0
.LBB64_215:
	v_dual_add_f32 v53, v13, v45 :: v_dual_add_f32 v54, v12, v44
	v_dual_add_f32 v55, v15, v47 :: v_dual_add_f32 v56, v14, v46
	s_delay_alu instid0(VALU_DEP_2) | instskip(SKIP_1) | instid1(VALU_DEP_3)
	v_min3_f32 v57, v54, v53, v118
	v_lshlrev_b64 v[53:54], 2, v[82:83]
	v_min_f32_e32 v55, v56, v55
	s_delay_alu instid0(VALU_DEP_1) | instskip(NEXT) | instid1(VALU_DEP_3)
	v_min3_f32 v55, v52, v55, v57
	v_add_co_u32 v52, vcc_lo, v48, v53
	s_delay_alu instid0(VALU_DEP_4) | instskip(SKIP_3) | instid1(SALU_CYCLE_1)
	v_add_co_ci_u32_e32 v53, vcc_lo, v49, v54, vcc_lo
	global_store_b32 v[52:53], v55, off
	s_or_b32 exec_lo, exec_lo, s8
	s_and_b32 s11, s2, s4
	s_and_saveexec_b32 s8, s11
	s_cbranch_execz .LBB64_207
.LBB64_216:
	v_cmp_ne_u32_e32 vcc_lo, 1, v126
	s_cbranch_vccnz .LBB64_218
; %bb.217:
	v_lshlrev_b64 v[52:53], 2, v[84:85]
	s_delay_alu instid0(VALU_DEP_1) | instskip(NEXT) | instid1(VALU_DEP_2)
	v_add_co_u32 v52, vcc_lo, v50, v52
	v_add_co_ci_u32_e32 v53, vcc_lo, v51, v53, vcc_lo
	flat_load_b32 v52, v[52:53]
	s_waitcnt vmcnt(0) lgkmcnt(0)
	v_mul_f32_e32 v52, s7, v52
	s_branch .LBB64_219
.LBB64_218:
	v_mov_b32_e32 v52, 0
.LBB64_219:
	v_dual_add_f32 v53, v5, v45 :: v_dual_add_f32 v54, v4, v44
	v_dual_add_f32 v55, v7, v47 :: v_dual_add_f32 v56, v6, v46
	s_delay_alu instid0(VALU_DEP_2) | instskip(SKIP_1) | instid1(VALU_DEP_3)
	v_min3_f32 v57, v54, v53, v117
	v_lshlrev_b64 v[53:54], 2, v[84:85]
	v_min_f32_e32 v55, v56, v55
	s_delay_alu instid0(VALU_DEP_1) | instskip(NEXT) | instid1(VALU_DEP_3)
	v_min3_f32 v55, v52, v55, v57
	v_add_co_u32 v52, vcc_lo, v48, v53
	s_delay_alu instid0(VALU_DEP_4) | instskip(SKIP_3) | instid1(SALU_CYCLE_1)
	v_add_co_ci_u32_e32 v53, vcc_lo, v49, v54, vcc_lo
	global_store_b32 v[52:53], v55, off
	s_or_b32 exec_lo, exec_lo, s8
	s_and_b32 s8, s3, s4
	s_and_saveexec_b32 s4, s8
	s_cbranch_execz .LBB64_224
.LBB64_220:
	v_cmp_ne_u32_e32 vcc_lo, 1, v126
	s_cbranch_vccnz .LBB64_222
; %bb.221:
	v_lshlrev_b64 v[52:53], 2, v[86:87]
	s_delay_alu instid0(VALU_DEP_1) | instskip(NEXT) | instid1(VALU_DEP_2)
	v_add_co_u32 v50, vcc_lo, v50, v52
	v_add_co_ci_u32_e32 v51, vcc_lo, v51, v53, vcc_lo
	flat_load_b32 v50, v[50:51]
	s_waitcnt vmcnt(0) lgkmcnt(0)
	v_mul_f32_e32 v50, s7, v50
	s_branch .LBB64_223
.LBB64_222:
	v_mov_b32_e32 v50, 0
.LBB64_223:
	v_dual_add_f32 v45, v1, v45 :: v_dual_add_f32 v44, v0, v44
	v_dual_add_f32 v47, v3, v47 :: v_dual_add_f32 v46, v2, v46
	s_delay_alu instid0(VALU_DEP_2) | instskip(SKIP_1) | instid1(VALU_DEP_3)
	v_min3_f32 v51, v44, v45, v116
	v_lshlrev_b64 v[44:45], 2, v[86:87]
	v_min_f32_e32 v46, v46, v47
	s_delay_alu instid0(VALU_DEP_1) | instskip(NEXT) | instid1(VALU_DEP_3)
	v_min3_f32 v46, v50, v46, v51
	v_add_co_u32 v44, vcc_lo, v48, v44
	s_delay_alu instid0(VALU_DEP_4)
	v_add_co_ci_u32_e32 v45, vcc_lo, v49, v45, vcc_lo
	global_store_b32 v[44:45], v46, off
.LBB64_224:
	s_or_b32 exec_lo, exec_lo, s4
	v_add_nc_u32_e32 v48, 0x48, v130
	s_delay_alu instid0(VALU_DEP_1) | instskip(SKIP_2) | instid1(VALU_DEP_3)
	v_mad_i64_i32 v[44:45], null, v48, s6, 0
	v_mad_i64_i32 v[46:47], null, v48, s5, 0
	v_cmp_gt_i32_e64 s4, s9, v48
	v_lshlrev_b64 v[44:45], 2, v[44:45]
	s_delay_alu instid0(VALU_DEP_2) | instskip(NEXT) | instid1(VALU_DEP_3)
	s_and_b32 s11, s0, s4
	v_lshlrev_b64 v[48:49], 2, v[46:47]
	s_delay_alu instid0(VALU_DEP_2) | instskip(NEXT) | instid1(VALU_DEP_3)
	v_add_co_u32 v46, vcc_lo, s12, v44
	v_add_co_ci_u32_e32 v47, vcc_lo, s13, v45, vcc_lo
	s_delay_alu instid0(VALU_DEP_3) | instskip(NEXT) | instid1(VALU_DEP_4)
	v_add_co_u32 v44, vcc_lo, s10, v48
	v_add_co_ci_u32_e32 v45, vcc_lo, s14, v49, vcc_lo
	s_and_saveexec_b32 s8, s11
	s_cbranch_execnz .LBB64_228
; %bb.225:
	s_or_b32 exec_lo, exec_lo, s8
	s_and_b32 s11, s1, s4
	s_delay_alu instid0(SALU_CYCLE_1)
	s_and_saveexec_b32 s8, s11
	s_cbranch_execnz .LBB64_232
.LBB64_226:
	s_or_b32 exec_lo, exec_lo, s8
	s_and_b32 s11, s2, s4
	s_delay_alu instid0(SALU_CYCLE_1)
	s_and_saveexec_b32 s8, s11
	s_cbranch_execnz .LBB64_236
.LBB64_227:
	s_or_b32 exec_lo, exec_lo, s8
	s_and_b32 s8, s3, s4
	s_delay_alu instid0(SALU_CYCLE_1)
	s_and_saveexec_b32 s4, s8
	s_cbranch_execnz .LBB64_240
	s_branch .LBB64_244
.LBB64_228:
	v_cmp_ne_u32_e32 vcc_lo, 1, v126
	s_cbranch_vccnz .LBB64_230
; %bb.229:
	v_lshlrev_b64 v[48:49], 2, v[80:81]
	s_delay_alu instid0(VALU_DEP_1) | instskip(NEXT) | instid1(VALU_DEP_2)
	v_add_co_u32 v48, vcc_lo, v46, v48
	v_add_co_ci_u32_e32 v49, vcc_lo, v47, v49, vcc_lo
	flat_load_b32 v48, v[48:49]
	s_waitcnt vmcnt(0) lgkmcnt(0)
	v_mul_f32_e32 v48, s7, v48
	s_branch .LBB64_231
.LBB64_230:
	v_mov_b32_e32 v48, 0
.LBB64_231:
	v_dual_add_f32 v49, v17, v41 :: v_dual_add_f32 v50, v16, v40
	v_dual_add_f32 v51, v19, v43 :: v_dual_add_f32 v52, v18, v42
	s_delay_alu instid0(VALU_DEP_2) | instskip(SKIP_1) | instid1(VALU_DEP_3)
	v_min3_f32 v53, v50, v49, v115
	v_lshlrev_b64 v[49:50], 2, v[80:81]
	v_min_f32_e32 v51, v52, v51
	s_delay_alu instid0(VALU_DEP_1) | instskip(NEXT) | instid1(VALU_DEP_3)
	v_min3_f32 v51, v48, v51, v53
	v_add_co_u32 v48, vcc_lo, v44, v49
	s_delay_alu instid0(VALU_DEP_4) | instskip(SKIP_3) | instid1(SALU_CYCLE_1)
	v_add_co_ci_u32_e32 v49, vcc_lo, v45, v50, vcc_lo
	global_store_b32 v[48:49], v51, off
	s_or_b32 exec_lo, exec_lo, s8
	s_and_b32 s11, s1, s4
	s_and_saveexec_b32 s8, s11
	s_cbranch_execz .LBB64_226
.LBB64_232:
	v_cmp_ne_u32_e32 vcc_lo, 1, v126
	s_cbranch_vccnz .LBB64_234
; %bb.233:
	v_lshlrev_b64 v[48:49], 2, v[82:83]
	s_delay_alu instid0(VALU_DEP_1) | instskip(NEXT) | instid1(VALU_DEP_2)
	v_add_co_u32 v48, vcc_lo, v46, v48
	v_add_co_ci_u32_e32 v49, vcc_lo, v47, v49, vcc_lo
	flat_load_b32 v48, v[48:49]
	s_waitcnt vmcnt(0) lgkmcnt(0)
	v_mul_f32_e32 v48, s7, v48
	s_branch .LBB64_235
.LBB64_234:
	v_mov_b32_e32 v48, 0
.LBB64_235:
	v_dual_add_f32 v49, v13, v41 :: v_dual_add_f32 v50, v12, v40
	v_dual_add_f32 v51, v15, v43 :: v_dual_add_f32 v52, v14, v42
	s_delay_alu instid0(VALU_DEP_2) | instskip(SKIP_1) | instid1(VALU_DEP_3)
	v_min3_f32 v53, v50, v49, v114
	v_lshlrev_b64 v[49:50], 2, v[82:83]
	v_min_f32_e32 v51, v52, v51
	s_delay_alu instid0(VALU_DEP_1) | instskip(NEXT) | instid1(VALU_DEP_3)
	v_min3_f32 v51, v48, v51, v53
	v_add_co_u32 v48, vcc_lo, v44, v49
	s_delay_alu instid0(VALU_DEP_4) | instskip(SKIP_3) | instid1(SALU_CYCLE_1)
	v_add_co_ci_u32_e32 v49, vcc_lo, v45, v50, vcc_lo
	global_store_b32 v[48:49], v51, off
	s_or_b32 exec_lo, exec_lo, s8
	s_and_b32 s11, s2, s4
	s_and_saveexec_b32 s8, s11
	s_cbranch_execz .LBB64_227
.LBB64_236:
	v_cmp_ne_u32_e32 vcc_lo, 1, v126
	s_cbranch_vccnz .LBB64_238
; %bb.237:
	v_lshlrev_b64 v[48:49], 2, v[84:85]
	s_delay_alu instid0(VALU_DEP_1) | instskip(NEXT) | instid1(VALU_DEP_2)
	v_add_co_u32 v48, vcc_lo, v46, v48
	v_add_co_ci_u32_e32 v49, vcc_lo, v47, v49, vcc_lo
	flat_load_b32 v48, v[48:49]
	s_waitcnt vmcnt(0) lgkmcnt(0)
	v_mul_f32_e32 v48, s7, v48
	s_branch .LBB64_239
.LBB64_238:
	v_mov_b32_e32 v48, 0
.LBB64_239:
	v_dual_add_f32 v49, v5, v41 :: v_dual_add_f32 v50, v4, v40
	v_dual_add_f32 v51, v7, v43 :: v_dual_add_f32 v52, v6, v42
	s_delay_alu instid0(VALU_DEP_2) | instskip(SKIP_1) | instid1(VALU_DEP_3)
	v_min3_f32 v53, v50, v49, v113
	v_lshlrev_b64 v[49:50], 2, v[84:85]
	v_min_f32_e32 v51, v52, v51
	s_delay_alu instid0(VALU_DEP_1) | instskip(NEXT) | instid1(VALU_DEP_3)
	v_min3_f32 v51, v48, v51, v53
	v_add_co_u32 v48, vcc_lo, v44, v49
	s_delay_alu instid0(VALU_DEP_4) | instskip(SKIP_3) | instid1(SALU_CYCLE_1)
	v_add_co_ci_u32_e32 v49, vcc_lo, v45, v50, vcc_lo
	global_store_b32 v[48:49], v51, off
	s_or_b32 exec_lo, exec_lo, s8
	s_and_b32 s8, s3, s4
	s_and_saveexec_b32 s4, s8
	s_cbranch_execz .LBB64_244
.LBB64_240:
	v_cmp_ne_u32_e32 vcc_lo, 1, v126
	s_cbranch_vccnz .LBB64_242
; %bb.241:
	v_lshlrev_b64 v[48:49], 2, v[86:87]
	s_delay_alu instid0(VALU_DEP_1) | instskip(NEXT) | instid1(VALU_DEP_2)
	v_add_co_u32 v46, vcc_lo, v46, v48
	v_add_co_ci_u32_e32 v47, vcc_lo, v47, v49, vcc_lo
	flat_load_b32 v46, v[46:47]
	s_waitcnt vmcnt(0) lgkmcnt(0)
	v_mul_f32_e32 v46, s7, v46
	s_branch .LBB64_243
.LBB64_242:
	v_mov_b32_e32 v46, 0
.LBB64_243:
	v_dual_add_f32 v41, v1, v41 :: v_dual_add_f32 v40, v0, v40
	v_dual_add_f32 v43, v3, v43 :: v_dual_add_f32 v42, v2, v42
	s_delay_alu instid0(VALU_DEP_2) | instskip(SKIP_1) | instid1(VALU_DEP_3)
	v_min3_f32 v47, v40, v41, v112
	v_lshlrev_b64 v[40:41], 2, v[86:87]
	v_min_f32_e32 v42, v42, v43
	s_delay_alu instid0(VALU_DEP_1) | instskip(NEXT) | instid1(VALU_DEP_3)
	v_min3_f32 v42, v46, v42, v47
	v_add_co_u32 v40, vcc_lo, v44, v40
	s_delay_alu instid0(VALU_DEP_4)
	v_add_co_ci_u32_e32 v41, vcc_lo, v45, v41, vcc_lo
	global_store_b32 v[40:41], v42, off
.LBB64_244:
	s_or_b32 exec_lo, exec_lo, s4
	v_add_nc_u32_e32 v44, 0x50, v130
	s_delay_alu instid0(VALU_DEP_1) | instskip(SKIP_2) | instid1(VALU_DEP_3)
	v_mad_i64_i32 v[40:41], null, v44, s6, 0
	v_mad_i64_i32 v[42:43], null, v44, s5, 0
	v_cmp_gt_i32_e64 s4, s9, v44
	v_lshlrev_b64 v[40:41], 2, v[40:41]
	s_delay_alu instid0(VALU_DEP_2) | instskip(NEXT) | instid1(VALU_DEP_3)
	s_and_b32 s11, s0, s4
	v_lshlrev_b64 v[44:45], 2, v[42:43]
	s_delay_alu instid0(VALU_DEP_2) | instskip(NEXT) | instid1(VALU_DEP_3)
	v_add_co_u32 v42, vcc_lo, s12, v40
	v_add_co_ci_u32_e32 v43, vcc_lo, s13, v41, vcc_lo
	s_delay_alu instid0(VALU_DEP_3) | instskip(NEXT) | instid1(VALU_DEP_4)
	v_add_co_u32 v40, vcc_lo, s10, v44
	v_add_co_ci_u32_e32 v41, vcc_lo, s14, v45, vcc_lo
	s_and_saveexec_b32 s8, s11
	s_cbranch_execnz .LBB64_248
; %bb.245:
	s_or_b32 exec_lo, exec_lo, s8
	s_and_b32 s11, s1, s4
	s_delay_alu instid0(SALU_CYCLE_1)
	s_and_saveexec_b32 s8, s11
	s_cbranch_execnz .LBB64_252
.LBB64_246:
	s_or_b32 exec_lo, exec_lo, s8
	s_and_b32 s11, s2, s4
	s_delay_alu instid0(SALU_CYCLE_1)
	s_and_saveexec_b32 s8, s11
	s_cbranch_execnz .LBB64_256
.LBB64_247:
	s_or_b32 exec_lo, exec_lo, s8
	s_and_b32 s8, s3, s4
	s_delay_alu instid0(SALU_CYCLE_1)
	s_and_saveexec_b32 s4, s8
	s_cbranch_execnz .LBB64_260
	s_branch .LBB64_264
.LBB64_248:
	v_cmp_ne_u32_e32 vcc_lo, 1, v126
	s_cbranch_vccnz .LBB64_250
; %bb.249:
	v_lshlrev_b64 v[44:45], 2, v[80:81]
	s_delay_alu instid0(VALU_DEP_1) | instskip(NEXT) | instid1(VALU_DEP_2)
	v_add_co_u32 v44, vcc_lo, v42, v44
	v_add_co_ci_u32_e32 v45, vcc_lo, v43, v45, vcc_lo
	flat_load_b32 v44, v[44:45]
	s_waitcnt vmcnt(0) lgkmcnt(0)
	v_mul_f32_e32 v44, s7, v44
	s_branch .LBB64_251
.LBB64_250:
	v_mov_b32_e32 v44, 0
.LBB64_251:
	v_dual_add_f32 v45, v17, v37 :: v_dual_add_f32 v46, v16, v36
	v_dual_add_f32 v47, v19, v39 :: v_dual_add_f32 v48, v18, v38
	s_delay_alu instid0(VALU_DEP_2) | instskip(SKIP_1) | instid1(VALU_DEP_3)
	v_min3_f32 v49, v46, v45, v111
	v_lshlrev_b64 v[45:46], 2, v[80:81]
	v_min_f32_e32 v47, v48, v47
	s_delay_alu instid0(VALU_DEP_1) | instskip(NEXT) | instid1(VALU_DEP_3)
	v_min3_f32 v47, v44, v47, v49
	v_add_co_u32 v44, vcc_lo, v40, v45
	s_delay_alu instid0(VALU_DEP_4) | instskip(SKIP_3) | instid1(SALU_CYCLE_1)
	v_add_co_ci_u32_e32 v45, vcc_lo, v41, v46, vcc_lo
	global_store_b32 v[44:45], v47, off
	s_or_b32 exec_lo, exec_lo, s8
	s_and_b32 s11, s1, s4
	s_and_saveexec_b32 s8, s11
	s_cbranch_execz .LBB64_246
.LBB64_252:
	v_cmp_ne_u32_e32 vcc_lo, 1, v126
	s_cbranch_vccnz .LBB64_254
; %bb.253:
	v_lshlrev_b64 v[44:45], 2, v[82:83]
	s_delay_alu instid0(VALU_DEP_1) | instskip(NEXT) | instid1(VALU_DEP_2)
	v_add_co_u32 v44, vcc_lo, v42, v44
	v_add_co_ci_u32_e32 v45, vcc_lo, v43, v45, vcc_lo
	flat_load_b32 v44, v[44:45]
	s_waitcnt vmcnt(0) lgkmcnt(0)
	v_mul_f32_e32 v44, s7, v44
	s_branch .LBB64_255
.LBB64_254:
	v_mov_b32_e32 v44, 0
.LBB64_255:
	v_dual_add_f32 v45, v13, v37 :: v_dual_add_f32 v46, v12, v36
	v_dual_add_f32 v47, v15, v39 :: v_dual_add_f32 v48, v14, v38
	s_delay_alu instid0(VALU_DEP_2) | instskip(SKIP_1) | instid1(VALU_DEP_3)
	v_min3_f32 v49, v46, v45, v110
	v_lshlrev_b64 v[45:46], 2, v[82:83]
	v_min_f32_e32 v47, v48, v47
	s_delay_alu instid0(VALU_DEP_1) | instskip(NEXT) | instid1(VALU_DEP_3)
	v_min3_f32 v47, v44, v47, v49
	v_add_co_u32 v44, vcc_lo, v40, v45
	s_delay_alu instid0(VALU_DEP_4) | instskip(SKIP_3) | instid1(SALU_CYCLE_1)
	v_add_co_ci_u32_e32 v45, vcc_lo, v41, v46, vcc_lo
	global_store_b32 v[44:45], v47, off
	s_or_b32 exec_lo, exec_lo, s8
	s_and_b32 s11, s2, s4
	s_and_saveexec_b32 s8, s11
	s_cbranch_execz .LBB64_247
.LBB64_256:
	v_cmp_ne_u32_e32 vcc_lo, 1, v126
	s_cbranch_vccnz .LBB64_258
; %bb.257:
	v_lshlrev_b64 v[44:45], 2, v[84:85]
	s_delay_alu instid0(VALU_DEP_1) | instskip(NEXT) | instid1(VALU_DEP_2)
	v_add_co_u32 v44, vcc_lo, v42, v44
	v_add_co_ci_u32_e32 v45, vcc_lo, v43, v45, vcc_lo
	flat_load_b32 v44, v[44:45]
	s_waitcnt vmcnt(0) lgkmcnt(0)
	v_mul_f32_e32 v44, s7, v44
	s_branch .LBB64_259
.LBB64_258:
	v_mov_b32_e32 v44, 0
.LBB64_259:
	v_dual_add_f32 v45, v5, v37 :: v_dual_add_f32 v46, v4, v36
	v_dual_add_f32 v47, v7, v39 :: v_dual_add_f32 v48, v6, v38
	s_delay_alu instid0(VALU_DEP_2) | instskip(SKIP_1) | instid1(VALU_DEP_3)
	v_min3_f32 v49, v46, v45, v109
	v_lshlrev_b64 v[45:46], 2, v[84:85]
	v_min_f32_e32 v47, v48, v47
	s_delay_alu instid0(VALU_DEP_1) | instskip(NEXT) | instid1(VALU_DEP_3)
	v_min3_f32 v47, v44, v47, v49
	v_add_co_u32 v44, vcc_lo, v40, v45
	s_delay_alu instid0(VALU_DEP_4) | instskip(SKIP_3) | instid1(SALU_CYCLE_1)
	v_add_co_ci_u32_e32 v45, vcc_lo, v41, v46, vcc_lo
	global_store_b32 v[44:45], v47, off
	s_or_b32 exec_lo, exec_lo, s8
	s_and_b32 s8, s3, s4
	s_and_saveexec_b32 s4, s8
	s_cbranch_execz .LBB64_264
.LBB64_260:
	v_cmp_ne_u32_e32 vcc_lo, 1, v126
	s_cbranch_vccnz .LBB64_262
; %bb.261:
	v_lshlrev_b64 v[44:45], 2, v[86:87]
	s_delay_alu instid0(VALU_DEP_1) | instskip(NEXT) | instid1(VALU_DEP_2)
	v_add_co_u32 v42, vcc_lo, v42, v44
	v_add_co_ci_u32_e32 v43, vcc_lo, v43, v45, vcc_lo
	flat_load_b32 v42, v[42:43]
	s_waitcnt vmcnt(0) lgkmcnt(0)
	v_mul_f32_e32 v42, s7, v42
	s_branch .LBB64_263
.LBB64_262:
	v_mov_b32_e32 v42, 0
.LBB64_263:
	v_dual_add_f32 v37, v1, v37 :: v_dual_add_f32 v36, v0, v36
	v_dual_add_f32 v39, v3, v39 :: v_dual_add_f32 v38, v2, v38
	s_delay_alu instid0(VALU_DEP_2) | instskip(SKIP_1) | instid1(VALU_DEP_3)
	v_min3_f32 v43, v36, v37, v108
	v_lshlrev_b64 v[36:37], 2, v[86:87]
	v_min_f32_e32 v38, v38, v39
	s_delay_alu instid0(VALU_DEP_1) | instskip(NEXT) | instid1(VALU_DEP_3)
	v_min3_f32 v38, v42, v38, v43
	v_add_co_u32 v36, vcc_lo, v40, v36
	s_delay_alu instid0(VALU_DEP_4)
	v_add_co_ci_u32_e32 v37, vcc_lo, v41, v37, vcc_lo
	global_store_b32 v[36:37], v38, off
.LBB64_264:
	s_or_b32 exec_lo, exec_lo, s4
	v_add_nc_u32_e32 v40, 0x58, v130
	s_delay_alu instid0(VALU_DEP_1) | instskip(SKIP_2) | instid1(VALU_DEP_3)
	v_mad_i64_i32 v[36:37], null, v40, s6, 0
	v_mad_i64_i32 v[38:39], null, v40, s5, 0
	v_cmp_gt_i32_e64 s4, s9, v40
	v_lshlrev_b64 v[36:37], 2, v[36:37]
	s_delay_alu instid0(VALU_DEP_2) | instskip(NEXT) | instid1(VALU_DEP_3)
	s_and_b32 s11, s0, s4
	v_lshlrev_b64 v[40:41], 2, v[38:39]
	s_delay_alu instid0(VALU_DEP_2) | instskip(NEXT) | instid1(VALU_DEP_3)
	v_add_co_u32 v38, vcc_lo, s12, v36
	v_add_co_ci_u32_e32 v39, vcc_lo, s13, v37, vcc_lo
	s_delay_alu instid0(VALU_DEP_3) | instskip(NEXT) | instid1(VALU_DEP_4)
	v_add_co_u32 v36, vcc_lo, s10, v40
	v_add_co_ci_u32_e32 v37, vcc_lo, s14, v41, vcc_lo
	s_and_saveexec_b32 s8, s11
	s_cbranch_execnz .LBB64_268
; %bb.265:
	s_or_b32 exec_lo, exec_lo, s8
	s_and_b32 s11, s1, s4
	s_delay_alu instid0(SALU_CYCLE_1)
	s_and_saveexec_b32 s8, s11
	s_cbranch_execnz .LBB64_272
.LBB64_266:
	s_or_b32 exec_lo, exec_lo, s8
	s_and_b32 s11, s2, s4
	s_delay_alu instid0(SALU_CYCLE_1)
	s_and_saveexec_b32 s8, s11
	s_cbranch_execnz .LBB64_276
.LBB64_267:
	s_or_b32 exec_lo, exec_lo, s8
	s_and_b32 s8, s3, s4
	s_delay_alu instid0(SALU_CYCLE_1)
	s_and_saveexec_b32 s4, s8
	s_cbranch_execnz .LBB64_280
	s_branch .LBB64_284
.LBB64_268:
	v_cmp_ne_u32_e32 vcc_lo, 1, v126
	s_cbranch_vccnz .LBB64_270
; %bb.269:
	v_lshlrev_b64 v[40:41], 2, v[80:81]
	s_delay_alu instid0(VALU_DEP_1) | instskip(NEXT) | instid1(VALU_DEP_2)
	v_add_co_u32 v40, vcc_lo, v38, v40
	v_add_co_ci_u32_e32 v41, vcc_lo, v39, v41, vcc_lo
	flat_load_b32 v40, v[40:41]
	s_waitcnt vmcnt(0) lgkmcnt(0)
	v_mul_f32_e32 v40, s7, v40
	s_branch .LBB64_271
.LBB64_270:
	v_mov_b32_e32 v40, 0
.LBB64_271:
	v_dual_add_f32 v41, v17, v33 :: v_dual_add_f32 v42, v16, v32
	v_dual_add_f32 v43, v19, v35 :: v_dual_add_f32 v44, v18, v34
	s_delay_alu instid0(VALU_DEP_2) | instskip(SKIP_1) | instid1(VALU_DEP_3)
	v_min3_f32 v45, v42, v41, v107
	v_lshlrev_b64 v[41:42], 2, v[80:81]
	v_min_f32_e32 v43, v44, v43
	s_delay_alu instid0(VALU_DEP_1) | instskip(NEXT) | instid1(VALU_DEP_3)
	v_min3_f32 v43, v40, v43, v45
	v_add_co_u32 v40, vcc_lo, v36, v41
	s_delay_alu instid0(VALU_DEP_4) | instskip(SKIP_3) | instid1(SALU_CYCLE_1)
	v_add_co_ci_u32_e32 v41, vcc_lo, v37, v42, vcc_lo
	global_store_b32 v[40:41], v43, off
	s_or_b32 exec_lo, exec_lo, s8
	s_and_b32 s11, s1, s4
	s_and_saveexec_b32 s8, s11
	s_cbranch_execz .LBB64_266
.LBB64_272:
	v_cmp_ne_u32_e32 vcc_lo, 1, v126
	s_cbranch_vccnz .LBB64_274
; %bb.273:
	v_lshlrev_b64 v[40:41], 2, v[82:83]
	s_delay_alu instid0(VALU_DEP_1) | instskip(NEXT) | instid1(VALU_DEP_2)
	v_add_co_u32 v40, vcc_lo, v38, v40
	v_add_co_ci_u32_e32 v41, vcc_lo, v39, v41, vcc_lo
	flat_load_b32 v40, v[40:41]
	s_waitcnt vmcnt(0) lgkmcnt(0)
	v_mul_f32_e32 v40, s7, v40
	s_branch .LBB64_275
.LBB64_274:
	v_mov_b32_e32 v40, 0
.LBB64_275:
	v_dual_add_f32 v41, v13, v33 :: v_dual_add_f32 v42, v12, v32
	v_dual_add_f32 v43, v15, v35 :: v_dual_add_f32 v44, v14, v34
	s_delay_alu instid0(VALU_DEP_2) | instskip(SKIP_1) | instid1(VALU_DEP_3)
	v_min3_f32 v45, v42, v41, v106
	v_lshlrev_b64 v[41:42], 2, v[82:83]
	v_min_f32_e32 v43, v44, v43
	s_delay_alu instid0(VALU_DEP_1) | instskip(NEXT) | instid1(VALU_DEP_3)
	v_min3_f32 v43, v40, v43, v45
	v_add_co_u32 v40, vcc_lo, v36, v41
	s_delay_alu instid0(VALU_DEP_4) | instskip(SKIP_3) | instid1(SALU_CYCLE_1)
	v_add_co_ci_u32_e32 v41, vcc_lo, v37, v42, vcc_lo
	global_store_b32 v[40:41], v43, off
	s_or_b32 exec_lo, exec_lo, s8
	s_and_b32 s11, s2, s4
	s_and_saveexec_b32 s8, s11
	s_cbranch_execz .LBB64_267
.LBB64_276:
	v_cmp_ne_u32_e32 vcc_lo, 1, v126
	s_cbranch_vccnz .LBB64_278
; %bb.277:
	v_lshlrev_b64 v[40:41], 2, v[84:85]
	s_delay_alu instid0(VALU_DEP_1) | instskip(NEXT) | instid1(VALU_DEP_2)
	v_add_co_u32 v40, vcc_lo, v38, v40
	v_add_co_ci_u32_e32 v41, vcc_lo, v39, v41, vcc_lo
	flat_load_b32 v40, v[40:41]
	s_waitcnt vmcnt(0) lgkmcnt(0)
	v_mul_f32_e32 v40, s7, v40
	s_branch .LBB64_279
.LBB64_278:
	v_mov_b32_e32 v40, 0
.LBB64_279:
	v_dual_add_f32 v41, v5, v33 :: v_dual_add_f32 v42, v4, v32
	v_dual_add_f32 v43, v7, v35 :: v_dual_add_f32 v44, v6, v34
	s_delay_alu instid0(VALU_DEP_2) | instskip(SKIP_1) | instid1(VALU_DEP_3)
	v_min3_f32 v45, v42, v41, v105
	v_lshlrev_b64 v[41:42], 2, v[84:85]
	v_min_f32_e32 v43, v44, v43
	s_delay_alu instid0(VALU_DEP_1) | instskip(NEXT) | instid1(VALU_DEP_3)
	v_min3_f32 v43, v40, v43, v45
	v_add_co_u32 v40, vcc_lo, v36, v41
	s_delay_alu instid0(VALU_DEP_4) | instskip(SKIP_3) | instid1(SALU_CYCLE_1)
	v_add_co_ci_u32_e32 v41, vcc_lo, v37, v42, vcc_lo
	global_store_b32 v[40:41], v43, off
	s_or_b32 exec_lo, exec_lo, s8
	s_and_b32 s8, s3, s4
	s_and_saveexec_b32 s4, s8
	s_cbranch_execz .LBB64_284
.LBB64_280:
	v_cmp_ne_u32_e32 vcc_lo, 1, v126
	s_cbranch_vccnz .LBB64_282
; %bb.281:
	v_lshlrev_b64 v[40:41], 2, v[86:87]
	s_delay_alu instid0(VALU_DEP_1) | instskip(NEXT) | instid1(VALU_DEP_2)
	v_add_co_u32 v38, vcc_lo, v38, v40
	v_add_co_ci_u32_e32 v39, vcc_lo, v39, v41, vcc_lo
	flat_load_b32 v38, v[38:39]
	s_waitcnt vmcnt(0) lgkmcnt(0)
	v_mul_f32_e32 v38, s7, v38
	s_branch .LBB64_283
.LBB64_282:
	v_mov_b32_e32 v38, 0
.LBB64_283:
	v_dual_add_f32 v33, v1, v33 :: v_dual_add_f32 v32, v0, v32
	v_dual_add_f32 v35, v3, v35 :: v_dual_add_f32 v34, v2, v34
	s_delay_alu instid0(VALU_DEP_2) | instskip(SKIP_1) | instid1(VALU_DEP_3)
	v_min3_f32 v39, v32, v33, v104
	v_lshlrev_b64 v[32:33], 2, v[86:87]
	v_min_f32_e32 v34, v34, v35
	s_delay_alu instid0(VALU_DEP_1) | instskip(NEXT) | instid1(VALU_DEP_3)
	v_min3_f32 v34, v38, v34, v39
	v_add_co_u32 v32, vcc_lo, v36, v32
	s_delay_alu instid0(VALU_DEP_4)
	v_add_co_ci_u32_e32 v33, vcc_lo, v37, v33, vcc_lo
	global_store_b32 v[32:33], v34, off
.LBB64_284:
	s_or_b32 exec_lo, exec_lo, s4
	v_add_nc_u32_e32 v36, 0x60, v130
	s_delay_alu instid0(VALU_DEP_1) | instskip(SKIP_2) | instid1(VALU_DEP_3)
	v_mad_i64_i32 v[32:33], null, v36, s6, 0
	v_mad_i64_i32 v[34:35], null, v36, s5, 0
	v_cmp_gt_i32_e64 s4, s9, v36
	v_lshlrev_b64 v[32:33], 2, v[32:33]
	s_delay_alu instid0(VALU_DEP_2) | instskip(NEXT) | instid1(VALU_DEP_3)
	s_and_b32 s11, s0, s4
	v_lshlrev_b64 v[36:37], 2, v[34:35]
	s_delay_alu instid0(VALU_DEP_2) | instskip(NEXT) | instid1(VALU_DEP_3)
	v_add_co_u32 v34, vcc_lo, s12, v32
	v_add_co_ci_u32_e32 v35, vcc_lo, s13, v33, vcc_lo
	s_delay_alu instid0(VALU_DEP_3) | instskip(NEXT) | instid1(VALU_DEP_4)
	v_add_co_u32 v32, vcc_lo, s10, v36
	v_add_co_ci_u32_e32 v33, vcc_lo, s14, v37, vcc_lo
	s_and_saveexec_b32 s8, s11
	s_cbranch_execnz .LBB64_288
; %bb.285:
	s_or_b32 exec_lo, exec_lo, s8
	s_and_b32 s11, s1, s4
	s_delay_alu instid0(SALU_CYCLE_1)
	s_and_saveexec_b32 s8, s11
	s_cbranch_execnz .LBB64_292
.LBB64_286:
	s_or_b32 exec_lo, exec_lo, s8
	s_and_b32 s11, s2, s4
	s_delay_alu instid0(SALU_CYCLE_1)
	s_and_saveexec_b32 s8, s11
	s_cbranch_execnz .LBB64_296
.LBB64_287:
	s_or_b32 exec_lo, exec_lo, s8
	s_and_b32 s8, s3, s4
	s_delay_alu instid0(SALU_CYCLE_1)
	s_and_saveexec_b32 s4, s8
	s_cbranch_execnz .LBB64_300
	s_branch .LBB64_304
.LBB64_288:
	v_cmp_ne_u32_e32 vcc_lo, 1, v126
	s_cbranch_vccnz .LBB64_290
; %bb.289:
	v_lshlrev_b64 v[36:37], 2, v[80:81]
	s_delay_alu instid0(VALU_DEP_1) | instskip(NEXT) | instid1(VALU_DEP_2)
	v_add_co_u32 v36, vcc_lo, v34, v36
	v_add_co_ci_u32_e32 v37, vcc_lo, v35, v37, vcc_lo
	flat_load_b32 v36, v[36:37]
	s_waitcnt vmcnt(0) lgkmcnt(0)
	v_mul_f32_e32 v36, s7, v36
	s_branch .LBB64_291
.LBB64_290:
	v_mov_b32_e32 v36, 0
.LBB64_291:
	v_dual_add_f32 v37, v17, v29 :: v_dual_add_f32 v38, v16, v28
	v_dual_add_f32 v39, v19, v31 :: v_dual_add_f32 v40, v18, v30
	s_delay_alu instid0(VALU_DEP_2) | instskip(SKIP_1) | instid1(VALU_DEP_3)
	v_min3_f32 v41, v38, v37, v103
	v_lshlrev_b64 v[37:38], 2, v[80:81]
	v_min_f32_e32 v39, v40, v39
	s_delay_alu instid0(VALU_DEP_1) | instskip(NEXT) | instid1(VALU_DEP_3)
	v_min3_f32 v39, v36, v39, v41
	v_add_co_u32 v36, vcc_lo, v32, v37
	s_delay_alu instid0(VALU_DEP_4) | instskip(SKIP_3) | instid1(SALU_CYCLE_1)
	v_add_co_ci_u32_e32 v37, vcc_lo, v33, v38, vcc_lo
	global_store_b32 v[36:37], v39, off
	s_or_b32 exec_lo, exec_lo, s8
	s_and_b32 s11, s1, s4
	s_and_saveexec_b32 s8, s11
	s_cbranch_execz .LBB64_286
.LBB64_292:
	v_cmp_ne_u32_e32 vcc_lo, 1, v126
	s_cbranch_vccnz .LBB64_294
; %bb.293:
	v_lshlrev_b64 v[36:37], 2, v[82:83]
	s_delay_alu instid0(VALU_DEP_1) | instskip(NEXT) | instid1(VALU_DEP_2)
	v_add_co_u32 v36, vcc_lo, v34, v36
	v_add_co_ci_u32_e32 v37, vcc_lo, v35, v37, vcc_lo
	flat_load_b32 v36, v[36:37]
	s_waitcnt vmcnt(0) lgkmcnt(0)
	v_mul_f32_e32 v36, s7, v36
	s_branch .LBB64_295
.LBB64_294:
	v_mov_b32_e32 v36, 0
.LBB64_295:
	v_dual_add_f32 v37, v13, v29 :: v_dual_add_f32 v38, v12, v28
	v_dual_add_f32 v39, v15, v31 :: v_dual_add_f32 v40, v14, v30
	s_delay_alu instid0(VALU_DEP_2) | instskip(SKIP_1) | instid1(VALU_DEP_3)
	v_min3_f32 v41, v38, v37, v102
	v_lshlrev_b64 v[37:38], 2, v[82:83]
	v_min_f32_e32 v39, v40, v39
	s_delay_alu instid0(VALU_DEP_1) | instskip(NEXT) | instid1(VALU_DEP_3)
	v_min3_f32 v39, v36, v39, v41
	v_add_co_u32 v36, vcc_lo, v32, v37
	s_delay_alu instid0(VALU_DEP_4) | instskip(SKIP_3) | instid1(SALU_CYCLE_1)
	v_add_co_ci_u32_e32 v37, vcc_lo, v33, v38, vcc_lo
	global_store_b32 v[36:37], v39, off
	s_or_b32 exec_lo, exec_lo, s8
	s_and_b32 s11, s2, s4
	s_and_saveexec_b32 s8, s11
	s_cbranch_execz .LBB64_287
.LBB64_296:
	v_cmp_ne_u32_e32 vcc_lo, 1, v126
	s_cbranch_vccnz .LBB64_298
; %bb.297:
	v_lshlrev_b64 v[36:37], 2, v[84:85]
	s_delay_alu instid0(VALU_DEP_1) | instskip(NEXT) | instid1(VALU_DEP_2)
	v_add_co_u32 v36, vcc_lo, v34, v36
	v_add_co_ci_u32_e32 v37, vcc_lo, v35, v37, vcc_lo
	flat_load_b32 v36, v[36:37]
	s_waitcnt vmcnt(0) lgkmcnt(0)
	v_mul_f32_e32 v36, s7, v36
	s_branch .LBB64_299
.LBB64_298:
	v_mov_b32_e32 v36, 0
.LBB64_299:
	v_dual_add_f32 v37, v5, v29 :: v_dual_add_f32 v38, v4, v28
	v_dual_add_f32 v39, v7, v31 :: v_dual_add_f32 v40, v6, v30
	s_delay_alu instid0(VALU_DEP_2) | instskip(SKIP_1) | instid1(VALU_DEP_3)
	v_min3_f32 v41, v38, v37, v101
	v_lshlrev_b64 v[37:38], 2, v[84:85]
	v_min_f32_e32 v39, v40, v39
	s_delay_alu instid0(VALU_DEP_1) | instskip(NEXT) | instid1(VALU_DEP_3)
	v_min3_f32 v39, v36, v39, v41
	v_add_co_u32 v36, vcc_lo, v32, v37
	s_delay_alu instid0(VALU_DEP_4) | instskip(SKIP_3) | instid1(SALU_CYCLE_1)
	v_add_co_ci_u32_e32 v37, vcc_lo, v33, v38, vcc_lo
	global_store_b32 v[36:37], v39, off
	s_or_b32 exec_lo, exec_lo, s8
	s_and_b32 s8, s3, s4
	s_and_saveexec_b32 s4, s8
	s_cbranch_execz .LBB64_304
.LBB64_300:
	v_cmp_ne_u32_e32 vcc_lo, 1, v126
	s_cbranch_vccnz .LBB64_302
; %bb.301:
	v_lshlrev_b64 v[36:37], 2, v[86:87]
	s_delay_alu instid0(VALU_DEP_1) | instskip(NEXT) | instid1(VALU_DEP_2)
	v_add_co_u32 v34, vcc_lo, v34, v36
	v_add_co_ci_u32_e32 v35, vcc_lo, v35, v37, vcc_lo
	flat_load_b32 v34, v[34:35]
	s_waitcnt vmcnt(0) lgkmcnt(0)
	v_mul_f32_e32 v34, s7, v34
	s_branch .LBB64_303
.LBB64_302:
	v_mov_b32_e32 v34, 0
.LBB64_303:
	v_dual_add_f32 v29, v1, v29 :: v_dual_add_f32 v28, v0, v28
	v_dual_add_f32 v31, v3, v31 :: v_dual_add_f32 v30, v2, v30
	s_delay_alu instid0(VALU_DEP_2) | instskip(SKIP_1) | instid1(VALU_DEP_3)
	v_min3_f32 v35, v28, v29, v100
	v_lshlrev_b64 v[28:29], 2, v[86:87]
	v_min_f32_e32 v30, v30, v31
	s_delay_alu instid0(VALU_DEP_1) | instskip(NEXT) | instid1(VALU_DEP_3)
	v_min3_f32 v30, v34, v30, v35
	v_add_co_u32 v28, vcc_lo, v32, v28
	s_delay_alu instid0(VALU_DEP_4)
	v_add_co_ci_u32_e32 v29, vcc_lo, v33, v29, vcc_lo
	global_store_b32 v[28:29], v30, off
.LBB64_304:
	s_or_b32 exec_lo, exec_lo, s4
	v_add_nc_u32_e32 v32, 0x68, v130
	s_delay_alu instid0(VALU_DEP_1) | instskip(SKIP_2) | instid1(VALU_DEP_3)
	v_mad_i64_i32 v[28:29], null, v32, s6, 0
	v_mad_i64_i32 v[30:31], null, v32, s5, 0
	v_cmp_gt_i32_e64 s4, s9, v32
	v_lshlrev_b64 v[28:29], 2, v[28:29]
	s_delay_alu instid0(VALU_DEP_2) | instskip(NEXT) | instid1(VALU_DEP_3)
	s_and_b32 s11, s0, s4
	v_lshlrev_b64 v[32:33], 2, v[30:31]
	s_delay_alu instid0(VALU_DEP_2) | instskip(NEXT) | instid1(VALU_DEP_3)
	v_add_co_u32 v30, vcc_lo, s12, v28
	v_add_co_ci_u32_e32 v31, vcc_lo, s13, v29, vcc_lo
	s_delay_alu instid0(VALU_DEP_3) | instskip(NEXT) | instid1(VALU_DEP_4)
	v_add_co_u32 v28, vcc_lo, s10, v32
	v_add_co_ci_u32_e32 v29, vcc_lo, s14, v33, vcc_lo
	s_and_saveexec_b32 s8, s11
	s_cbranch_execnz .LBB64_308
; %bb.305:
	s_or_b32 exec_lo, exec_lo, s8
	s_and_b32 s11, s1, s4
	s_delay_alu instid0(SALU_CYCLE_1)
	s_and_saveexec_b32 s8, s11
	s_cbranch_execnz .LBB64_312
.LBB64_306:
	s_or_b32 exec_lo, exec_lo, s8
	s_and_b32 s11, s2, s4
	s_delay_alu instid0(SALU_CYCLE_1)
	s_and_saveexec_b32 s8, s11
	s_cbranch_execnz .LBB64_316
.LBB64_307:
	s_or_b32 exec_lo, exec_lo, s8
	s_and_b32 s8, s3, s4
	s_delay_alu instid0(SALU_CYCLE_1)
	s_and_saveexec_b32 s4, s8
	s_cbranch_execnz .LBB64_320
	s_branch .LBB64_324
.LBB64_308:
	v_cmp_ne_u32_e32 vcc_lo, 1, v126
	s_cbranch_vccnz .LBB64_310
; %bb.309:
	v_lshlrev_b64 v[32:33], 2, v[80:81]
	s_delay_alu instid0(VALU_DEP_1) | instskip(NEXT) | instid1(VALU_DEP_2)
	v_add_co_u32 v32, vcc_lo, v30, v32
	v_add_co_ci_u32_e32 v33, vcc_lo, v31, v33, vcc_lo
	flat_load_b32 v32, v[32:33]
	s_waitcnt vmcnt(0) lgkmcnt(0)
	v_mul_f32_e32 v32, s7, v32
	s_branch .LBB64_311
.LBB64_310:
	v_mov_b32_e32 v32, 0
.LBB64_311:
	v_dual_add_f32 v33, v17, v25 :: v_dual_add_f32 v34, v16, v24
	v_dual_add_f32 v35, v19, v27 :: v_dual_add_f32 v36, v18, v26
	s_delay_alu instid0(VALU_DEP_2) | instskip(SKIP_1) | instid1(VALU_DEP_3)
	v_min3_f32 v37, v34, v33, v99
	v_lshlrev_b64 v[33:34], 2, v[80:81]
	v_min_f32_e32 v35, v36, v35
	s_delay_alu instid0(VALU_DEP_1) | instskip(NEXT) | instid1(VALU_DEP_3)
	v_min3_f32 v35, v32, v35, v37
	v_add_co_u32 v32, vcc_lo, v28, v33
	s_delay_alu instid0(VALU_DEP_4) | instskip(SKIP_3) | instid1(SALU_CYCLE_1)
	v_add_co_ci_u32_e32 v33, vcc_lo, v29, v34, vcc_lo
	global_store_b32 v[32:33], v35, off
	s_or_b32 exec_lo, exec_lo, s8
	s_and_b32 s11, s1, s4
	s_and_saveexec_b32 s8, s11
	s_cbranch_execz .LBB64_306
.LBB64_312:
	v_cmp_ne_u32_e32 vcc_lo, 1, v126
	s_cbranch_vccnz .LBB64_314
; %bb.313:
	v_lshlrev_b64 v[32:33], 2, v[82:83]
	s_delay_alu instid0(VALU_DEP_1) | instskip(NEXT) | instid1(VALU_DEP_2)
	v_add_co_u32 v32, vcc_lo, v30, v32
	v_add_co_ci_u32_e32 v33, vcc_lo, v31, v33, vcc_lo
	flat_load_b32 v32, v[32:33]
	s_waitcnt vmcnt(0) lgkmcnt(0)
	v_mul_f32_e32 v32, s7, v32
	s_branch .LBB64_315
.LBB64_314:
	v_mov_b32_e32 v32, 0
.LBB64_315:
	v_dual_add_f32 v33, v13, v25 :: v_dual_add_f32 v34, v12, v24
	v_dual_add_f32 v35, v15, v27 :: v_dual_add_f32 v36, v14, v26
	s_delay_alu instid0(VALU_DEP_2) | instskip(SKIP_1) | instid1(VALU_DEP_3)
	v_min3_f32 v37, v34, v33, v97
	v_lshlrev_b64 v[33:34], 2, v[82:83]
	v_min_f32_e32 v35, v36, v35
	s_delay_alu instid0(VALU_DEP_1) | instskip(NEXT) | instid1(VALU_DEP_3)
	v_min3_f32 v35, v32, v35, v37
	v_add_co_u32 v32, vcc_lo, v28, v33
	s_delay_alu instid0(VALU_DEP_4) | instskip(SKIP_3) | instid1(SALU_CYCLE_1)
	v_add_co_ci_u32_e32 v33, vcc_lo, v29, v34, vcc_lo
	global_store_b32 v[32:33], v35, off
	s_or_b32 exec_lo, exec_lo, s8
	s_and_b32 s11, s2, s4
	s_and_saveexec_b32 s8, s11
	s_cbranch_execz .LBB64_307
.LBB64_316:
	v_cmp_ne_u32_e32 vcc_lo, 1, v126
	s_cbranch_vccnz .LBB64_318
; %bb.317:
	v_lshlrev_b64 v[32:33], 2, v[84:85]
	s_delay_alu instid0(VALU_DEP_1) | instskip(NEXT) | instid1(VALU_DEP_2)
	v_add_co_u32 v32, vcc_lo, v30, v32
	v_add_co_ci_u32_e32 v33, vcc_lo, v31, v33, vcc_lo
	flat_load_b32 v32, v[32:33]
	s_waitcnt vmcnt(0) lgkmcnt(0)
	v_mul_f32_e32 v32, s7, v32
	s_branch .LBB64_319
.LBB64_318:
	v_mov_b32_e32 v32, 0
.LBB64_319:
	v_dual_add_f32 v33, v5, v25 :: v_dual_add_f32 v34, v4, v24
	v_dual_add_f32 v35, v7, v27 :: v_dual_add_f32 v36, v6, v26
	s_delay_alu instid0(VALU_DEP_2) | instskip(SKIP_1) | instid1(VALU_DEP_3)
	v_min3_f32 v37, v34, v33, v96
	v_lshlrev_b64 v[33:34], 2, v[84:85]
	v_min_f32_e32 v35, v36, v35
	s_delay_alu instid0(VALU_DEP_1) | instskip(NEXT) | instid1(VALU_DEP_3)
	v_min3_f32 v35, v32, v35, v37
	v_add_co_u32 v32, vcc_lo, v28, v33
	s_delay_alu instid0(VALU_DEP_4) | instskip(SKIP_3) | instid1(SALU_CYCLE_1)
	v_add_co_ci_u32_e32 v33, vcc_lo, v29, v34, vcc_lo
	global_store_b32 v[32:33], v35, off
	s_or_b32 exec_lo, exec_lo, s8
	s_and_b32 s8, s3, s4
	s_and_saveexec_b32 s4, s8
	s_cbranch_execz .LBB64_324
.LBB64_320:
	v_cmp_ne_u32_e32 vcc_lo, 1, v126
	s_cbranch_vccnz .LBB64_322
; %bb.321:
	v_lshlrev_b64 v[32:33], 2, v[86:87]
	s_delay_alu instid0(VALU_DEP_1) | instskip(NEXT) | instid1(VALU_DEP_2)
	v_add_co_u32 v30, vcc_lo, v30, v32
	v_add_co_ci_u32_e32 v31, vcc_lo, v31, v33, vcc_lo
	flat_load_b32 v30, v[30:31]
	s_waitcnt vmcnt(0) lgkmcnt(0)
	v_mul_f32_e32 v30, s7, v30
	s_branch .LBB64_323
.LBB64_322:
	v_mov_b32_e32 v30, 0
.LBB64_323:
	v_dual_add_f32 v25, v1, v25 :: v_dual_add_f32 v24, v0, v24
	v_dual_add_f32 v27, v3, v27 :: v_dual_add_f32 v26, v2, v26
	s_delay_alu instid0(VALU_DEP_2) | instskip(SKIP_1) | instid1(VALU_DEP_3)
	v_min3_f32 v31, v24, v25, v95
	v_lshlrev_b64 v[24:25], 2, v[86:87]
	v_min_f32_e32 v26, v26, v27
	s_delay_alu instid0(VALU_DEP_1) | instskip(NEXT) | instid1(VALU_DEP_3)
	v_min3_f32 v26, v30, v26, v31
	v_add_co_u32 v24, vcc_lo, v28, v24
	s_delay_alu instid0(VALU_DEP_4)
	v_add_co_ci_u32_e32 v25, vcc_lo, v29, v25, vcc_lo
	global_store_b32 v[24:25], v26, off
.LBB64_324:
	s_or_b32 exec_lo, exec_lo, s4
	v_add_nc_u32_e32 v28, 0x70, v130
	s_delay_alu instid0(VALU_DEP_1) | instskip(SKIP_2) | instid1(VALU_DEP_3)
	v_mad_i64_i32 v[24:25], null, v28, s6, 0
	v_mad_i64_i32 v[26:27], null, v28, s5, 0
	v_cmp_gt_i32_e64 s4, s9, v28
	v_lshlrev_b64 v[24:25], 2, v[24:25]
	s_delay_alu instid0(VALU_DEP_2) | instskip(NEXT) | instid1(VALU_DEP_3)
	s_and_b32 s11, s0, s4
	v_lshlrev_b64 v[28:29], 2, v[26:27]
	s_delay_alu instid0(VALU_DEP_2) | instskip(NEXT) | instid1(VALU_DEP_3)
	v_add_co_u32 v26, vcc_lo, s12, v24
	v_add_co_ci_u32_e32 v27, vcc_lo, s13, v25, vcc_lo
	s_delay_alu instid0(VALU_DEP_3) | instskip(NEXT) | instid1(VALU_DEP_4)
	v_add_co_u32 v24, vcc_lo, s10, v28
	v_add_co_ci_u32_e32 v25, vcc_lo, s14, v29, vcc_lo
	s_and_saveexec_b32 s8, s11
	s_cbranch_execnz .LBB64_328
; %bb.325:
	s_or_b32 exec_lo, exec_lo, s8
	s_and_b32 s11, s1, s4
	s_delay_alu instid0(SALU_CYCLE_1)
	s_and_saveexec_b32 s8, s11
	s_cbranch_execnz .LBB64_332
.LBB64_326:
	s_or_b32 exec_lo, exec_lo, s8
	s_and_b32 s11, s2, s4
	s_delay_alu instid0(SALU_CYCLE_1)
	s_and_saveexec_b32 s8, s11
	s_cbranch_execnz .LBB64_336
.LBB64_327:
	s_or_b32 exec_lo, exec_lo, s8
	s_and_b32 s8, s3, s4
	s_delay_alu instid0(SALU_CYCLE_1)
	s_and_saveexec_b32 s4, s8
	s_cbranch_execnz .LBB64_340
	s_branch .LBB64_344
.LBB64_328:
	v_cmp_ne_u32_e32 vcc_lo, 1, v126
	s_cbranch_vccnz .LBB64_330
; %bb.329:
	v_lshlrev_b64 v[28:29], 2, v[80:81]
	s_delay_alu instid0(VALU_DEP_1) | instskip(NEXT) | instid1(VALU_DEP_2)
	v_add_co_u32 v28, vcc_lo, v26, v28
	v_add_co_ci_u32_e32 v29, vcc_lo, v27, v29, vcc_lo
	flat_load_b32 v28, v[28:29]
	s_waitcnt vmcnt(0) lgkmcnt(0)
	v_mul_f32_e32 v28, s7, v28
	s_branch .LBB64_331
.LBB64_330:
	v_mov_b32_e32 v28, 0
.LBB64_331:
	v_dual_add_f32 v29, v17, v21 :: v_dual_add_f32 v30, v16, v20
	v_dual_add_f32 v31, v19, v23 :: v_dual_add_f32 v32, v18, v22
	s_delay_alu instid0(VALU_DEP_2) | instskip(SKIP_1) | instid1(VALU_DEP_3)
	v_min3_f32 v33, v30, v29, v94
	v_lshlrev_b64 v[29:30], 2, v[80:81]
	v_min_f32_e32 v31, v32, v31
	s_delay_alu instid0(VALU_DEP_1) | instskip(NEXT) | instid1(VALU_DEP_3)
	v_min3_f32 v31, v28, v31, v33
	v_add_co_u32 v28, vcc_lo, v24, v29
	s_delay_alu instid0(VALU_DEP_4) | instskip(SKIP_3) | instid1(SALU_CYCLE_1)
	v_add_co_ci_u32_e32 v29, vcc_lo, v25, v30, vcc_lo
	global_store_b32 v[28:29], v31, off
	s_or_b32 exec_lo, exec_lo, s8
	s_and_b32 s11, s1, s4
	s_and_saveexec_b32 s8, s11
	s_cbranch_execz .LBB64_326
.LBB64_332:
	v_cmp_ne_u32_e32 vcc_lo, 1, v126
	s_cbranch_vccnz .LBB64_334
; %bb.333:
	v_lshlrev_b64 v[28:29], 2, v[82:83]
	s_delay_alu instid0(VALU_DEP_1) | instskip(NEXT) | instid1(VALU_DEP_2)
	v_add_co_u32 v28, vcc_lo, v26, v28
	v_add_co_ci_u32_e32 v29, vcc_lo, v27, v29, vcc_lo
	flat_load_b32 v28, v[28:29]
	s_waitcnt vmcnt(0) lgkmcnt(0)
	v_mul_f32_e32 v28, s7, v28
	s_branch .LBB64_335
.LBB64_334:
	v_mov_b32_e32 v28, 0
.LBB64_335:
	v_dual_add_f32 v29, v13, v21 :: v_dual_add_f32 v30, v12, v20
	v_dual_add_f32 v31, v15, v23 :: v_dual_add_f32 v32, v14, v22
	s_delay_alu instid0(VALU_DEP_2) | instskip(SKIP_1) | instid1(VALU_DEP_3)
	v_min3_f32 v33, v30, v29, v93
	v_lshlrev_b64 v[29:30], 2, v[82:83]
	v_min_f32_e32 v31, v32, v31
	s_delay_alu instid0(VALU_DEP_1) | instskip(NEXT) | instid1(VALU_DEP_3)
	v_min3_f32 v31, v28, v31, v33
	v_add_co_u32 v28, vcc_lo, v24, v29
	s_delay_alu instid0(VALU_DEP_4) | instskip(SKIP_3) | instid1(SALU_CYCLE_1)
	v_add_co_ci_u32_e32 v29, vcc_lo, v25, v30, vcc_lo
	global_store_b32 v[28:29], v31, off
	s_or_b32 exec_lo, exec_lo, s8
	s_and_b32 s11, s2, s4
	s_and_saveexec_b32 s8, s11
	s_cbranch_execz .LBB64_327
.LBB64_336:
	v_cmp_ne_u32_e32 vcc_lo, 1, v126
	s_cbranch_vccnz .LBB64_338
; %bb.337:
	v_lshlrev_b64 v[28:29], 2, v[84:85]
	s_delay_alu instid0(VALU_DEP_1) | instskip(NEXT) | instid1(VALU_DEP_2)
	v_add_co_u32 v28, vcc_lo, v26, v28
	v_add_co_ci_u32_e32 v29, vcc_lo, v27, v29, vcc_lo
	flat_load_b32 v28, v[28:29]
	s_waitcnt vmcnt(0) lgkmcnt(0)
	v_mul_f32_e32 v28, s7, v28
	s_branch .LBB64_339
.LBB64_338:
	v_mov_b32_e32 v28, 0
.LBB64_339:
	v_dual_add_f32 v29, v5, v21 :: v_dual_add_f32 v30, v4, v20
	v_dual_add_f32 v31, v7, v23 :: v_dual_add_f32 v32, v6, v22
	s_delay_alu instid0(VALU_DEP_2) | instskip(SKIP_1) | instid1(VALU_DEP_3)
	v_min3_f32 v33, v30, v29, v92
	v_lshlrev_b64 v[29:30], 2, v[84:85]
	v_min_f32_e32 v31, v32, v31
	s_delay_alu instid0(VALU_DEP_1) | instskip(NEXT) | instid1(VALU_DEP_3)
	v_min3_f32 v31, v28, v31, v33
	v_add_co_u32 v28, vcc_lo, v24, v29
	s_delay_alu instid0(VALU_DEP_4) | instskip(SKIP_3) | instid1(SALU_CYCLE_1)
	v_add_co_ci_u32_e32 v29, vcc_lo, v25, v30, vcc_lo
	global_store_b32 v[28:29], v31, off
	s_or_b32 exec_lo, exec_lo, s8
	s_and_b32 s8, s3, s4
	s_and_saveexec_b32 s4, s8
	s_cbranch_execz .LBB64_344
.LBB64_340:
	v_cmp_ne_u32_e32 vcc_lo, 1, v126
	s_cbranch_vccnz .LBB64_342
; %bb.341:
	v_lshlrev_b64 v[28:29], 2, v[86:87]
	s_delay_alu instid0(VALU_DEP_1) | instskip(NEXT) | instid1(VALU_DEP_2)
	v_add_co_u32 v26, vcc_lo, v26, v28
	v_add_co_ci_u32_e32 v27, vcc_lo, v27, v29, vcc_lo
	flat_load_b32 v26, v[26:27]
	s_waitcnt vmcnt(0) lgkmcnt(0)
	v_mul_f32_e32 v26, s7, v26
	s_branch .LBB64_343
.LBB64_342:
	v_mov_b32_e32 v26, 0
.LBB64_343:
	v_dual_add_f32 v21, v1, v21 :: v_dual_add_f32 v20, v0, v20
	v_dual_add_f32 v23, v3, v23 :: v_dual_add_f32 v22, v2, v22
	s_delay_alu instid0(VALU_DEP_2) | instskip(SKIP_1) | instid1(VALU_DEP_3)
	v_min3_f32 v27, v20, v21, v91
	v_lshlrev_b64 v[20:21], 2, v[86:87]
	v_min_f32_e32 v22, v22, v23
	s_delay_alu instid0(VALU_DEP_1) | instskip(NEXT) | instid1(VALU_DEP_3)
	v_min3_f32 v22, v26, v22, v27
	v_add_co_u32 v20, vcc_lo, v24, v20
	s_delay_alu instid0(VALU_DEP_4)
	v_add_co_ci_u32_e32 v21, vcc_lo, v25, v21, vcc_lo
	global_store_b32 v[20:21], v22, off
.LBB64_344:
	s_or_b32 exec_lo, exec_lo, s4
	v_add_nc_u32_e32 v24, 0x78, v130
	s_delay_alu instid0(VALU_DEP_1) | instskip(SKIP_2) | instid1(VALU_DEP_3)
	v_mad_i64_i32 v[20:21], null, v24, s6, 0
	v_mad_i64_i32 v[22:23], null, v24, s5, 0
	v_cmp_gt_i32_e64 s4, s9, v24
	v_lshlrev_b64 v[20:21], 2, v[20:21]
	s_delay_alu instid0(VALU_DEP_2) | instskip(NEXT) | instid1(VALU_DEP_3)
	s_and_b32 s5, s0, s4
	v_lshlrev_b64 v[22:23], 2, v[22:23]
	s_delay_alu instid0(VALU_DEP_2) | instskip(NEXT) | instid1(VALU_DEP_3)
	v_add_co_u32 v24, vcc_lo, s12, v20
	v_add_co_ci_u32_e32 v25, vcc_lo, s13, v21, vcc_lo
	s_delay_alu instid0(VALU_DEP_3) | instskip(NEXT) | instid1(VALU_DEP_4)
	v_add_co_u32 v22, vcc_lo, s10, v22
	v_add_co_ci_u32_e32 v23, vcc_lo, s14, v23, vcc_lo
	s_and_saveexec_b32 s0, s5
	s_cbranch_execnz .LBB64_349
; %bb.345:
	s_or_b32 exec_lo, exec_lo, s0
	s_and_b32 s1, s1, s4
	s_delay_alu instid0(SALU_CYCLE_1)
	s_and_saveexec_b32 s0, s1
	s_cbranch_execnz .LBB64_353
.LBB64_346:
	s_or_b32 exec_lo, exec_lo, s0
	s_and_b32 s1, s2, s4
	s_delay_alu instid0(SALU_CYCLE_1)
	s_and_saveexec_b32 s0, s1
	s_cbranch_execnz .LBB64_357
.LBB64_347:
	s_or_b32 exec_lo, exec_lo, s0
	s_and_b32 s0, s3, s4
	s_delay_alu instid0(SALU_CYCLE_1)
	s_and_saveexec_b32 s1, s0
	s_cbranch_execnz .LBB64_361
.LBB64_348:
	s_nop 0
	s_sendmsg sendmsg(MSG_DEALLOC_VGPRS)
	s_endpgm
.LBB64_349:
	v_cmp_ne_u32_e32 vcc_lo, 1, v126
	v_lshlrev_b64 v[20:21], 2, v[80:81]
	s_cbranch_vccnz .LBB64_351
; %bb.350:
	s_delay_alu instid0(VALU_DEP_1) | instskip(NEXT) | instid1(VALU_DEP_2)
	v_add_co_u32 v26, vcc_lo, v24, v20
	v_add_co_ci_u32_e32 v27, vcc_lo, v25, v21, vcc_lo
	flat_load_b32 v26, v[26:27]
	s_waitcnt vmcnt(0) lgkmcnt(0)
	v_mul_f32_e32 v26, s7, v26
	s_branch .LBB64_352
.LBB64_351:
	v_mov_b32_e32 v26, 0
.LBB64_352:
	v_dual_add_f32 v17, v17, v9 :: v_dual_add_f32 v16, v16, v8
	v_dual_add_f32 v19, v19, v11 :: v_dual_add_f32 v18, v18, v10
	s_delay_alu instid0(VALU_DEP_2) | instskip(NEXT) | instid1(VALU_DEP_2)
	v_min3_f32 v16, v16, v17, v90
	v_min_f32_e32 v17, v18, v19
	s_delay_alu instid0(VALU_DEP_1)
	v_min3_f32 v18, v26, v17, v16
	v_add_co_u32 v16, vcc_lo, v22, v20
	v_add_co_ci_u32_e32 v17, vcc_lo, v23, v21, vcc_lo
	global_store_b32 v[16:17], v18, off
	s_or_b32 exec_lo, exec_lo, s0
	s_and_b32 s1, s1, s4
	s_delay_alu instid0(SALU_CYCLE_1)
	s_and_saveexec_b32 s0, s1
	s_cbranch_execz .LBB64_346
.LBB64_353:
	v_cmp_ne_u32_e32 vcc_lo, 1, v126
	v_lshlrev_b64 v[16:17], 2, v[82:83]
	s_cbranch_vccnz .LBB64_355
; %bb.354:
	s_delay_alu instid0(VALU_DEP_1) | instskip(NEXT) | instid1(VALU_DEP_2)
	v_add_co_u32 v18, vcc_lo, v24, v16
	v_add_co_ci_u32_e32 v19, vcc_lo, v25, v17, vcc_lo
	flat_load_b32 v18, v[18:19]
	s_waitcnt vmcnt(0) lgkmcnt(0)
	v_mul_f32_e32 v18, s7, v18
	s_branch .LBB64_356
.LBB64_355:
	v_mov_b32_e32 v18, 0
.LBB64_356:
	v_dual_add_f32 v13, v13, v9 :: v_dual_add_f32 v12, v12, v8
	v_dual_add_f32 v15, v15, v11 :: v_dual_add_f32 v14, v14, v10
	s_delay_alu instid0(VALU_DEP_2) | instskip(NEXT) | instid1(VALU_DEP_2)
	v_min3_f32 v12, v12, v13, v89
	v_min_f32_e32 v13, v14, v15
	s_delay_alu instid0(VALU_DEP_1)
	v_min3_f32 v14, v18, v13, v12
	v_add_co_u32 v12, vcc_lo, v22, v16
	v_add_co_ci_u32_e32 v13, vcc_lo, v23, v17, vcc_lo
	global_store_b32 v[12:13], v14, off
	s_or_b32 exec_lo, exec_lo, s0
	s_and_b32 s1, s2, s4
	s_delay_alu instid0(SALU_CYCLE_1)
	s_and_saveexec_b32 s0, s1
	s_cbranch_execz .LBB64_347
.LBB64_357:
	v_cmp_ne_u32_e32 vcc_lo, 1, v126
	v_lshlrev_b64 v[12:13], 2, v[84:85]
	s_cbranch_vccnz .LBB64_359
; %bb.358:
	s_delay_alu instid0(VALU_DEP_1) | instskip(NEXT) | instid1(VALU_DEP_2)
	v_add_co_u32 v14, vcc_lo, v24, v12
	v_add_co_ci_u32_e32 v15, vcc_lo, v25, v13, vcc_lo
	flat_load_b32 v14, v[14:15]
	s_waitcnt vmcnt(0) lgkmcnt(0)
	v_mul_f32_e32 v14, s7, v14
	s_branch .LBB64_360
.LBB64_359:
	v_mov_b32_e32 v14, 0
.LBB64_360:
	v_dual_add_f32 v5, v5, v9 :: v_dual_add_f32 v4, v4, v8
	v_dual_add_f32 v7, v7, v11 :: v_dual_add_f32 v6, v6, v10
	s_delay_alu instid0(VALU_DEP_2) | instskip(NEXT) | instid1(VALU_DEP_2)
	v_min3_f32 v4, v4, v5, v88
	v_min_f32_e32 v5, v6, v7
	s_delay_alu instid0(VALU_DEP_1)
	v_min3_f32 v6, v14, v5, v4
	v_add_co_u32 v4, vcc_lo, v22, v12
	v_add_co_ci_u32_e32 v5, vcc_lo, v23, v13, vcc_lo
	global_store_b32 v[4:5], v6, off
	s_or_b32 exec_lo, exec_lo, s0
	s_and_b32 s0, s3, s4
	s_delay_alu instid0(SALU_CYCLE_1)
	s_and_saveexec_b32 s1, s0
	s_cbranch_execz .LBB64_348
.LBB64_361:
	v_cmp_ne_u32_e32 vcc_lo, 1, v126
	v_lshlrev_b64 v[4:5], 2, v[86:87]
	s_cbranch_vccnz .LBB64_363
; %bb.362:
	s_delay_alu instid0(VALU_DEP_1) | instskip(NEXT) | instid1(VALU_DEP_2)
	v_add_co_u32 v6, vcc_lo, v24, v4
	v_add_co_ci_u32_e32 v7, vcc_lo, v25, v5, vcc_lo
	flat_load_b32 v6, v[6:7]
	s_waitcnt vmcnt(0) lgkmcnt(0)
	v_mul_f32_e32 v6, s7, v6
	s_branch .LBB64_364
.LBB64_363:
	v_mov_b32_e32 v6, 0
.LBB64_364:
	v_dual_add_f32 v1, v1, v9 :: v_dual_add_f32 v0, v0, v8
	v_dual_add_f32 v3, v3, v11 :: v_dual_add_f32 v2, v2, v10
	s_delay_alu instid0(VALU_DEP_2) | instskip(NEXT) | instid1(VALU_DEP_2)
	v_min3_f32 v0, v0, v1, v98
	v_min_f32_e32 v1, v2, v3
	s_delay_alu instid0(VALU_DEP_1)
	v_min3_f32 v2, v6, v1, v0
	v_add_co_u32 v0, vcc_lo, v22, v4
	v_add_co_ci_u32_e32 v1, vcc_lo, v23, v5, vcc_lo
	global_store_b32 v[0:1], v2, off
	s_nop 0
	s_sendmsg sendmsg(MSG_DEALLOC_VGPRS)
	s_endpgm
	.section	.rodata,"a",@progbits
	.p2align	6, 0x0
	.amdhsa_kernel _ZN12_GLOBAL__N_120geam_min_plus_kernelIf15HIP_vector_typeIfLj2EEfLi32ELi8ELi128ELi128ELi4ELi4ELi64ELi4ELi64ELc84ELc78ELb1ELb1ELb1EfKffEEviiiT16_PT17_ilS6_ilS4_S6_ilPT18_ili26rocblas_geam_ex_operation_
		.amdhsa_group_segment_fixed_size 8192
		.amdhsa_private_segment_fixed_size 0
		.amdhsa_kernarg_size 128
		.amdhsa_user_sgpr_count 14
		.amdhsa_user_sgpr_dispatch_ptr 0
		.amdhsa_user_sgpr_queue_ptr 0
		.amdhsa_user_sgpr_kernarg_segment_ptr 1
		.amdhsa_user_sgpr_dispatch_id 0
		.amdhsa_user_sgpr_private_segment_size 0
		.amdhsa_wavefront_size32 1
		.amdhsa_uses_dynamic_stack 0
		.amdhsa_enable_private_segment 0
		.amdhsa_system_sgpr_workgroup_id_x 1
		.amdhsa_system_sgpr_workgroup_id_y 0
		.amdhsa_system_sgpr_workgroup_id_z 1
		.amdhsa_system_sgpr_workgroup_info 0
		.amdhsa_system_vgpr_workitem_id 1
		.amdhsa_next_free_vgpr 209
		.amdhsa_next_free_sgpr 27
		.amdhsa_reserve_vcc 1
		.amdhsa_float_round_mode_32 0
		.amdhsa_float_round_mode_16_64 0
		.amdhsa_float_denorm_mode_32 3
		.amdhsa_float_denorm_mode_16_64 3
		.amdhsa_dx10_clamp 1
		.amdhsa_ieee_mode 1
		.amdhsa_fp16_overflow 0
		.amdhsa_workgroup_processor_mode 1
		.amdhsa_memory_ordered 1
		.amdhsa_forward_progress 0
		.amdhsa_shared_vgpr_count 0
		.amdhsa_exception_fp_ieee_invalid_op 0
		.amdhsa_exception_fp_denorm_src 0
		.amdhsa_exception_fp_ieee_div_zero 0
		.amdhsa_exception_fp_ieee_overflow 0
		.amdhsa_exception_fp_ieee_underflow 0
		.amdhsa_exception_fp_ieee_inexact 0
		.amdhsa_exception_int_div_zero 0
	.end_amdhsa_kernel
	.section	.text._ZN12_GLOBAL__N_120geam_min_plus_kernelIf15HIP_vector_typeIfLj2EEfLi32ELi8ELi128ELi128ELi4ELi4ELi64ELi4ELi64ELc84ELc78ELb1ELb1ELb1EfKffEEviiiT16_PT17_ilS6_ilS4_S6_ilPT18_ili26rocblas_geam_ex_operation_,"axG",@progbits,_ZN12_GLOBAL__N_120geam_min_plus_kernelIf15HIP_vector_typeIfLj2EEfLi32ELi8ELi128ELi128ELi4ELi4ELi64ELi4ELi64ELc84ELc78ELb1ELb1ELb1EfKffEEviiiT16_PT17_ilS6_ilS4_S6_ilPT18_ili26rocblas_geam_ex_operation_,comdat
.Lfunc_end64:
	.size	_ZN12_GLOBAL__N_120geam_min_plus_kernelIf15HIP_vector_typeIfLj2EEfLi32ELi8ELi128ELi128ELi4ELi4ELi64ELi4ELi64ELc84ELc78ELb1ELb1ELb1EfKffEEviiiT16_PT17_ilS6_ilS4_S6_ilPT18_ili26rocblas_geam_ex_operation_, .Lfunc_end64-_ZN12_GLOBAL__N_120geam_min_plus_kernelIf15HIP_vector_typeIfLj2EEfLi32ELi8ELi128ELi128ELi4ELi4ELi64ELi4ELi64ELc84ELc78ELb1ELb1ELb1EfKffEEviiiT16_PT17_ilS6_ilS4_S6_ilPT18_ili26rocblas_geam_ex_operation_
                                        ; -- End function
	.section	.AMDGPU.csdata,"",@progbits
; Kernel info:
; codeLenInByte = 21636
; NumSgprs: 29
; NumVgprs: 209
; ScratchSize: 0
; MemoryBound: 0
; FloatMode: 240
; IeeeMode: 1
; LDSByteSize: 8192 bytes/workgroup (compile time only)
; SGPRBlocks: 3
; VGPRBlocks: 26
; NumSGPRsForWavesPerEU: 29
; NumVGPRsForWavesPerEU: 209
; Occupancy: 7
; WaveLimiterHint : 0
; COMPUTE_PGM_RSRC2:SCRATCH_EN: 0
; COMPUTE_PGM_RSRC2:USER_SGPR: 14
; COMPUTE_PGM_RSRC2:TRAP_HANDLER: 0
; COMPUTE_PGM_RSRC2:TGID_X_EN: 1
; COMPUTE_PGM_RSRC2:TGID_Y_EN: 0
; COMPUTE_PGM_RSRC2:TGID_Z_EN: 1
; COMPUTE_PGM_RSRC2:TIDIG_COMP_CNT: 1
	.section	.text._ZN12_GLOBAL__N_120geam_min_plus_kernelIf15HIP_vector_typeIfLj2EEfLi32ELi8ELi128ELi128ELi4ELi4ELi64ELi4ELi64ELc84ELc78ELb0ELb1ELb1EfKffEEviiiT16_PT17_ilS6_ilS4_S6_ilPT18_ili26rocblas_geam_ex_operation_,"axG",@progbits,_ZN12_GLOBAL__N_120geam_min_plus_kernelIf15HIP_vector_typeIfLj2EEfLi32ELi8ELi128ELi128ELi4ELi4ELi64ELi4ELi64ELc84ELc78ELb0ELb1ELb1EfKffEEviiiT16_PT17_ilS6_ilS4_S6_ilPT18_ili26rocblas_geam_ex_operation_,comdat
	.globl	_ZN12_GLOBAL__N_120geam_min_plus_kernelIf15HIP_vector_typeIfLj2EEfLi32ELi8ELi128ELi128ELi4ELi4ELi64ELi4ELi64ELc84ELc78ELb0ELb1ELb1EfKffEEviiiT16_PT17_ilS6_ilS4_S6_ilPT18_ili26rocblas_geam_ex_operation_ ; -- Begin function _ZN12_GLOBAL__N_120geam_min_plus_kernelIf15HIP_vector_typeIfLj2EEfLi32ELi8ELi128ELi128ELi4ELi4ELi64ELi4ELi64ELc84ELc78ELb0ELb1ELb1EfKffEEviiiT16_PT17_ilS6_ilS4_S6_ilPT18_ili26rocblas_geam_ex_operation_
	.p2align	8
	.type	_ZN12_GLOBAL__N_120geam_min_plus_kernelIf15HIP_vector_typeIfLj2EEfLi32ELi8ELi128ELi128ELi4ELi4ELi64ELi4ELi64ELc84ELc78ELb0ELb1ELb1EfKffEEviiiT16_PT17_ilS6_ilS4_S6_ilPT18_ili26rocblas_geam_ex_operation_,@function
_ZN12_GLOBAL__N_120geam_min_plus_kernelIf15HIP_vector_typeIfLj2EEfLi32ELi8ELi128ELi128ELi4ELi4ELi64ELi4ELi64ELc84ELc78ELb0ELb1ELb1EfKffEEviiiT16_PT17_ilS6_ilS4_S6_ilPT18_ili26rocblas_geam_ex_operation_: ; @_ZN12_GLOBAL__N_120geam_min_plus_kernelIf15HIP_vector_typeIfLj2EEfLi32ELi8ELi128ELi128ELi4ELi4ELi64ELi4ELi64ELc84ELc78ELb0ELb1ELb1EfKffEEviiiT16_PT17_ilS6_ilS4_S6_ilPT18_ili26rocblas_geam_ex_operation_
; %bb.0:
	s_clause 0x1
	s_load_b128 s[8:11], s[0:1], 0x0
	s_load_b128 s[4:7], s[0:1], 0x20
	s_waitcnt lgkmcnt(0)
	v_cmp_eq_f32_e64 s2, s11, 0
	s_delay_alu instid0(VALU_DEP_1)
	s_and_b32 vcc_lo, exec_lo, s2
	s_cbranch_vccnz .LBB65_3
; %bb.1:
	s_load_b64 s[12:13], s[0:1], 0x10
	s_mul_i32 s3, s15, s5
	s_mul_hi_u32 s5, s15, s4
	s_mul_i32 s4, s15, s4
	s_add_i32 s5, s5, s3
	s_delay_alu instid0(SALU_CYCLE_1)
	s_lshl_b64 s[4:5], s[4:5], 2
	s_waitcnt lgkmcnt(0)
	s_add_u32 s20, s12, s4
	s_addc_u32 s21, s13, s5
	s_and_not1_b32 vcc_lo, exec_lo, s2
	s_cbranch_vccnz .LBB65_4
.LBB65_2:
	s_mov_b32 s25, 0
	s_mov_b64 s[22:23], 0
	s_cbranch_execz .LBB65_5
	s_branch .LBB65_6
.LBB65_3:
	s_mov_b64 s[20:21], 0
	s_and_not1_b32 vcc_lo, exec_lo, s2
	s_cbranch_vccz .LBB65_2
.LBB65_4:
	s_mov_b32 s25, -1
                                        ; implicit-def: $sgpr22_sgpr23
.LBB65_5:
	s_load_b64 s[2:3], s[0:1], 0x38
	s_mov_b32 s25, 0
	s_waitcnt lgkmcnt(0)
	s_mul_i32 s3, s15, s3
	s_mul_hi_u32 s4, s15, s2
	s_mul_i32 s2, s15, s2
	s_add_i32 s3, s4, s3
	s_delay_alu instid0(SALU_CYCLE_1) | instskip(NEXT) | instid1(SALU_CYCLE_1)
	s_lshl_b64 s[2:3], s[2:3], 2
	s_add_u32 s22, s6, s2
	s_addc_u32 s23, s7, s3
.LBB65_6:
	s_clause 0x1
	s_load_b32 s7, s[0:1], 0x40
	s_load_b128 s[16:19], s[0:1], 0x58
	s_waitcnt lgkmcnt(0)
	v_cmp_eq_f32_e64 s2, s7, 0
	v_cmp_neq_f32_e64 s24, s7, 0
	s_delay_alu instid0(VALU_DEP_2)
	s_and_b32 vcc_lo, exec_lo, s2
	s_cbranch_vccnz .LBB65_8
; %bb.7:
	s_load_b64 s[2:3], s[0:1], 0x48
	s_mul_i32 s4, s15, s17
	s_mul_hi_u32 s5, s15, s16
	s_delay_alu instid0(SALU_CYCLE_1) | instskip(SKIP_1) | instid1(SALU_CYCLE_1)
	s_add_i32 s4, s5, s4
	s_mul_i32 s5, s25, s16
	s_add_i32 s5, s4, s5
	s_mul_i32 s4, s15, s16
	s_delay_alu instid0(SALU_CYCLE_1)
	s_lshl_b64 s[4:5], s[4:5], 2
	s_waitcnt lgkmcnt(0)
	s_add_u32 s12, s2, s4
	s_addc_u32 s13, s3, s5
	s_branch .LBB65_9
.LBB65_8:
	s_mov_b64 s[12:13], 0
.LBB65_9:
	s_add_i32 s2, s8, -1
	v_and_b32_e32 v106, 0x3ff, v0
	s_ashr_i32 s3, s2, 31
	v_bfe_u32 v107, v0, 10, 10
	s_lshr_b32 s3, s3, 25
	s_load_b32 s27, s[0:1], 0x18
	s_add_i32 s2, s2, s3
	v_and_b32_e32 v115, 3, v106
	s_ashr_i32 s2, s2, 7
	v_cmp_eq_f32_e64 s26, s11, 0
	s_add_i32 s3, s2, 1
	s_not_b32 s2, s2
	v_cvt_f32_u32_e32 v1, s3
	s_delay_alu instid0(VALU_DEP_1) | instskip(SKIP_2) | instid1(VALU_DEP_1)
	v_rcp_iflag_f32_e32 v1, v1
	s_waitcnt_depctr 0xfff
	v_mul_f32_e32 v1, 0x4f7ffffe, v1
	v_cvt_u32_f32_e32 v1, v1
	s_delay_alu instid0(VALU_DEP_1) | instskip(SKIP_1) | instid1(VALU_DEP_2)
	v_readfirstlane_b32 s4, v1
	v_lshl_add_u32 v1, v107, 5, v106
	s_mul_i32 s2, s2, s4
	s_delay_alu instid0(VALU_DEP_1) | instskip(SKIP_1) | instid1(SALU_CYCLE_1)
	v_lshrrev_b32_e32 v2, 2, v1
	s_mul_hi_u32 s2, s4, s2
	s_add_i32 s4, s4, s2
	s_delay_alu instid0(SALU_CYCLE_1) | instskip(NEXT) | instid1(SALU_CYCLE_1)
	s_mul_hi_u32 s2, s14, s4
	s_mul_i32 s4, s2, s3
	s_add_i32 s5, s2, 1
	s_sub_i32 s4, s14, s4
	s_delay_alu instid0(SALU_CYCLE_1)
	s_sub_i32 s6, s4, s3
	s_cmp_ge_u32 s4, s3
	s_cselect_b32 s2, s5, s2
	s_cselect_b32 s4, s6, s4
	s_add_i32 s5, s2, 1
	s_cmp_ge_u32 s4, s3
	s_cselect_b32 s4, s5, s2
	s_add_i32 s17, s10, -1
	s_mul_i32 s2, s4, s3
	v_min_i32_e32 v0, s17, v115
	s_sub_i32 s2, s14, s2
	v_cmp_le_i32_e64 s5, s10, v115
	s_lshl_b32 s14, s2, 7
	s_delay_alu instid0(SALU_CYCLE_1) | instskip(SKIP_1) | instid1(VALU_DEP_2)
	v_add_nc_u32_e32 v80, s14, v2
	v_ashrrev_i32_e32 v1, 31, v0
	v_cmp_le_i32_e32 vcc_lo, s8, v80
	s_delay_alu instid0(VALU_DEP_2) | instskip(NEXT) | instid1(VALU_DEP_1)
	v_lshlrev_b64 v[0:1], 2, v[0:1]
	v_add_co_u32 v5, s2, s20, v0
	s_delay_alu instid0(VALU_DEP_1) | instskip(SKIP_1) | instid1(SALU_CYCLE_1)
	v_add_co_ci_u32_e64 v6, s2, s21, v1, s2
	s_or_b32 s2, s5, vcc_lo
	v_cndmask_b32_e64 v3, 0, 0x7f7fffff, s2
	s_or_b32 s2, s26, s2
	s_delay_alu instid0(SALU_CYCLE_1) | instskip(NEXT) | instid1(SALU_CYCLE_1)
	s_xor_b32 s2, s2, -1
	s_and_saveexec_b32 s3, s2
	s_cbranch_execz .LBB65_11
; %bb.10:
	s_waitcnt lgkmcnt(0)
	v_mad_i64_i32 v[3:4], null, v80, s27, 0
	s_delay_alu instid0(VALU_DEP_1) | instskip(NEXT) | instid1(VALU_DEP_1)
	v_lshlrev_b64 v[3:4], 2, v[3:4]
	v_add_co_u32 v3, s2, v5, v3
	s_delay_alu instid0(VALU_DEP_1)
	v_add_co_ci_u32_e64 v4, s2, v6, v4, s2
	flat_load_b32 v3, v[3:4]
	s_waitcnt vmcnt(0) lgkmcnt(0)
	v_mul_f32_e32 v3, s11, v3
.LBB65_11:
	s_or_b32 exec_lo, exec_lo, s3
	v_add_nc_u32_e32 v81, 64, v80
	s_delay_alu instid0(VALU_DEP_1) | instskip(NEXT) | instid1(VALU_DEP_1)
	v_cmp_le_i32_e64 s2, s8, v81
	s_or_b32 s3, s5, s2
	s_delay_alu instid0(SALU_CYCLE_1) | instskip(SKIP_1) | instid1(SALU_CYCLE_1)
	v_cndmask_b32_e64 v4, 0, 0x7f7fffff, s3
	s_or_b32 s3, s26, s3
	s_xor_b32 s3, s3, -1
	s_delay_alu instid0(SALU_CYCLE_1)
	s_and_saveexec_b32 s6, s3
	s_cbranch_execz .LBB65_13
; %bb.12:
	s_waitcnt lgkmcnt(0)
	v_mad_i64_i32 v[7:8], null, v81, s27, 0
	s_delay_alu instid0(VALU_DEP_1) | instskip(NEXT) | instid1(VALU_DEP_1)
	v_lshlrev_b64 v[7:8], 2, v[7:8]
	v_add_co_u32 v4, s3, v5, v7
	s_delay_alu instid0(VALU_DEP_1)
	v_add_co_ci_u32_e64 v5, s3, v6, v8, s3
	flat_load_b32 v4, v[4:5]
	s_waitcnt vmcnt(0) lgkmcnt(0)
	v_mul_f32_e32 v4, s11, v4
.LBB65_13:
	s_or_b32 exec_lo, exec_lo, s6
	s_load_b32 s28, s[0:1], 0x30
	s_lshl_b32 s16, s4, 7
	v_add_co_u32 v0, s4, s22, v0
	v_add_nc_u32_e32 v82, s16, v2
	v_add_co_ci_u32_e64 v1, s4, s23, v1, s4
	s_delay_alu instid0(VALU_DEP_2) | instskip(NEXT) | instid1(VALU_DEP_1)
	v_cmp_le_i32_e64 s3, s9, v82
	s_or_b32 s4, s5, s3
	s_delay_alu instid0(SALU_CYCLE_1) | instskip(SKIP_1) | instid1(SALU_CYCLE_1)
	v_cndmask_b32_e64 v5, 0, 0x7f7fffff, s4
	s_or_b32 s4, s26, s4
	s_xor_b32 s4, s4, -1
	s_delay_alu instid0(SALU_CYCLE_1)
	s_and_saveexec_b32 s6, s4
	s_cbranch_execz .LBB65_15
; %bb.14:
	s_waitcnt lgkmcnt(0)
	v_mad_i64_i32 v[5:6], null, v82, s28, 0
	s_delay_alu instid0(VALU_DEP_1) | instskip(NEXT) | instid1(VALU_DEP_1)
	v_lshlrev_b64 v[5:6], 2, v[5:6]
	v_add_co_u32 v5, s4, v0, v5
	s_delay_alu instid0(VALU_DEP_1)
	v_add_co_ci_u32_e64 v6, s4, v1, v6, s4
	flat_load_b32 v5, v[5:6]
	s_waitcnt vmcnt(0) lgkmcnt(0)
	v_mul_f32_e32 v5, s11, v5
.LBB65_15:
	s_or_b32 exec_lo, exec_lo, s6
	v_add_nc_u32_e32 v83, 64, v82
	s_delay_alu instid0(VALU_DEP_1) | instskip(NEXT) | instid1(VALU_DEP_1)
	v_cmp_le_i32_e64 s4, s9, v83
	s_or_b32 s5, s5, s4
	s_delay_alu instid0(SALU_CYCLE_1) | instskip(SKIP_1) | instid1(SALU_CYCLE_1)
	v_cndmask_b32_e64 v6, 0, 0x7f7fffff, s5
	s_or_b32 s5, s26, s5
	s_xor_b32 s5, s5, -1
	s_delay_alu instid0(SALU_CYCLE_1)
	s_and_saveexec_b32 s6, s5
	s_cbranch_execz .LBB65_17
; %bb.16:
	s_waitcnt lgkmcnt(0)
	v_mad_i64_i32 v[6:7], null, v83, s28, 0
	s_delay_alu instid0(VALU_DEP_1) | instskip(NEXT) | instid1(VALU_DEP_1)
	v_lshlrev_b64 v[6:7], 2, v[6:7]
	v_add_co_u32 v0, s5, v0, v6
	s_delay_alu instid0(VALU_DEP_1)
	v_add_co_ci_u32_e64 v1, s5, v1, v7, s5
	flat_load_b32 v0, v[0:1]
	s_waitcnt vmcnt(0) lgkmcnt(0)
	v_mul_f32_e32 v6, s11, v0
.LBB65_17:
	s_or_b32 exec_lo, exec_lo, s6
	v_or_b32_e32 v7, 4, v115
	s_delay_alu instid0(VALU_DEP_1) | instskip(SKIP_1) | instid1(VALU_DEP_2)
	v_min_i32_e32 v0, s17, v7
	v_cmp_le_i32_e64 s5, s10, v7
	v_ashrrev_i32_e32 v1, 31, v0
	s_delay_alu instid0(VALU_DEP_1) | instskip(NEXT) | instid1(VALU_DEP_1)
	v_lshlrev_b64 v[0:1], 2, v[0:1]
	v_add_co_u32 v7, s6, s20, v0
	s_delay_alu instid0(VALU_DEP_1) | instskip(SKIP_1) | instid1(SALU_CYCLE_1)
	v_add_co_ci_u32_e64 v8, s6, s21, v1, s6
	s_or_b32 s6, s5, vcc_lo
	v_cndmask_b32_e64 v84, 0, 0x7f7fffff, s6
	s_or_b32 s6, s26, s6
	s_delay_alu instid0(SALU_CYCLE_1) | instskip(NEXT) | instid1(SALU_CYCLE_1)
	s_xor_b32 s6, s6, -1
	s_and_saveexec_b32 s29, s6
	s_cbranch_execz .LBB65_19
; %bb.18:
	s_waitcnt lgkmcnt(0)
	v_mad_i64_i32 v[9:10], null, v80, s27, 0
	s_delay_alu instid0(VALU_DEP_1) | instskip(NEXT) | instid1(VALU_DEP_1)
	v_lshlrev_b64 v[9:10], 2, v[9:10]
	v_add_co_u32 v9, s6, v7, v9
	s_delay_alu instid0(VALU_DEP_1)
	v_add_co_ci_u32_e64 v10, s6, v8, v10, s6
	flat_load_b32 v9, v[9:10]
	s_waitcnt vmcnt(0) lgkmcnt(0)
	v_mul_f32_e32 v84, s11, v9
.LBB65_19:
	s_or_b32 exec_lo, exec_lo, s29
	s_or_b32 s6, s5, s2
	s_delay_alu instid0(SALU_CYCLE_1) | instskip(SKIP_1) | instid1(SALU_CYCLE_1)
	v_cndmask_b32_e64 v85, 0, 0x7f7fffff, s6
	s_or_b32 s6, s26, s6
	s_xor_b32 s6, s6, -1
	s_delay_alu instid0(SALU_CYCLE_1)
	s_and_saveexec_b32 s29, s6
	s_cbranch_execz .LBB65_21
; %bb.20:
	s_waitcnt lgkmcnt(0)
	v_mad_i64_i32 v[9:10], null, v81, s27, 0
	s_delay_alu instid0(VALU_DEP_1) | instskip(NEXT) | instid1(VALU_DEP_1)
	v_lshlrev_b64 v[9:10], 2, v[9:10]
	v_add_co_u32 v7, s6, v7, v9
	s_delay_alu instid0(VALU_DEP_1)
	v_add_co_ci_u32_e64 v8, s6, v8, v10, s6
	flat_load_b32 v7, v[7:8]
	s_waitcnt vmcnt(0) lgkmcnt(0)
	v_mul_f32_e32 v85, s11, v7
.LBB65_21:
	s_or_b32 exec_lo, exec_lo, s29
	v_add_co_u32 v0, s6, s22, v0
	s_delay_alu instid0(VALU_DEP_1) | instskip(SKIP_1) | instid1(SALU_CYCLE_1)
	v_add_co_ci_u32_e64 v1, s6, s23, v1, s6
	s_or_b32 s6, s5, s3
	v_cndmask_b32_e64 v86, 0, 0x7f7fffff, s6
	s_or_b32 s6, s26, s6
	s_delay_alu instid0(SALU_CYCLE_1) | instskip(NEXT) | instid1(SALU_CYCLE_1)
	s_xor_b32 s6, s6, -1
	s_and_saveexec_b32 s29, s6
	s_cbranch_execz .LBB65_23
; %bb.22:
	s_waitcnt lgkmcnt(0)
	v_mad_i64_i32 v[7:8], null, v82, s28, 0
	s_delay_alu instid0(VALU_DEP_1) | instskip(NEXT) | instid1(VALU_DEP_1)
	v_lshlrev_b64 v[7:8], 2, v[7:8]
	v_add_co_u32 v7, s6, v0, v7
	s_delay_alu instid0(VALU_DEP_1)
	v_add_co_ci_u32_e64 v8, s6, v1, v8, s6
	flat_load_b32 v7, v[7:8]
	s_waitcnt vmcnt(0) lgkmcnt(0)
	v_mul_f32_e32 v86, s11, v7
.LBB65_23:
	s_or_b32 exec_lo, exec_lo, s29
	s_or_b32 s5, s5, s4
	s_delay_alu instid0(SALU_CYCLE_1) | instskip(SKIP_1) | instid1(SALU_CYCLE_1)
	v_cndmask_b32_e64 v87, 0, 0x7f7fffff, s5
	s_or_b32 s5, s26, s5
	s_xor_b32 s5, s5, -1
	s_delay_alu instid0(SALU_CYCLE_1)
	s_and_saveexec_b32 s6, s5
	s_cbranch_execz .LBB65_25
; %bb.24:
	s_waitcnt lgkmcnt(0)
	v_mad_i64_i32 v[7:8], null, v83, s28, 0
	s_delay_alu instid0(VALU_DEP_1) | instskip(NEXT) | instid1(VALU_DEP_1)
	v_lshlrev_b64 v[7:8], 2, v[7:8]
	v_add_co_u32 v0, s5, v0, v7
	s_delay_alu instid0(VALU_DEP_1)
	v_add_co_ci_u32_e64 v1, s5, v1, v8, s5
	flat_load_b32 v0, v[0:1]
	s_waitcnt vmcnt(0) lgkmcnt(0)
	v_mul_f32_e32 v87, s11, v0
.LBB65_25:
	s_or_b32 exec_lo, exec_lo, s6
	v_lshlrev_b32_e32 v0, 2, v115
	v_lshlrev_b32_e32 v119, 4, v106
	s_cmp_lt_i32 s10, 9
	s_delay_alu instid0(VALU_DEP_2)
	v_lshl_or_b32 v125, v2, 4, v0
	ds_store_2addr_stride64_b32 v125, v3, v4 offset1:4
	ds_store_2addr_stride64_b32 v125, v5, v6 offset0:16 offset1:20
	s_waitcnt lgkmcnt(0)
	s_barrier
	buffer_gl0_inv
	ds_load_b128 v[16:19], v119
	ds_load_b128 v[12:15], v119 offset:512
	ds_load_b128 v[8:11], v119 offset:1024
	;; [unrolled: 1-line block ×3, first 2 shown]
	v_lshlrev_b32_e32 v117, 4, v107
	ds_load_b128 v[76:79], v117 offset:4096
	ds_load_b128 v[72:75], v117 offset:4224
	;; [unrolled: 1-line block ×16, first 2 shown]
	ds_store_2addr_stride64_b32 v125, v84, v85 offset0:8 offset1:12
	ds_store_2addr_stride64_b32 v125, v86, v87 offset0:24 offset1:28
	s_waitcnt lgkmcnt(0)
	s_barrier
	buffer_gl0_inv
	v_dual_add_f32 v88, v17, v77 :: v_dual_add_f32 v89, v16, v76
	s_delay_alu instid0(VALU_DEP_1) | instskip(SKIP_2) | instid1(VALU_DEP_2)
	v_min3_f32 v120, v89, v88, 0x7f7fffff
	v_dual_add_f32 v88, v13, v77 :: v_dual_add_f32 v89, v12, v76
	v_add_f32_e32 v124, v8, v20
	v_min3_f32 v121, v89, v88, 0x7f7fffff
	v_dual_add_f32 v88, v9, v77 :: v_dual_add_f32 v89, v8, v76
	v_dual_add_f32 v77, v1, v77 :: v_dual_add_f32 v76, v0, v76
	s_delay_alu instid0(VALU_DEP_1) | instskip(SKIP_1) | instid1(VALU_DEP_4)
	v_min3_f32 v123, v76, v77, 0x7f7fffff
	v_dual_add_f32 v76, v17, v73 :: v_dual_add_f32 v77, v16, v72
	v_min3_f32 v122, v89, v88, 0x7f7fffff
	s_delay_alu instid0(VALU_DEP_2) | instskip(SKIP_1) | instid1(VALU_DEP_1)
	v_min3_f32 v118, v77, v76, 0x7f7fffff
	v_dual_add_f32 v76, v13, v73 :: v_dual_add_f32 v77, v12, v72
	v_min3_f32 v116, v77, v76, 0x7f7fffff
	v_dual_add_f32 v76, v9, v73 :: v_dual_add_f32 v77, v8, v72
	v_dual_add_f32 v73, v1, v73 :: v_dual_add_f32 v72, v0, v72
	s_delay_alu instid0(VALU_DEP_1) | instskip(SKIP_1) | instid1(VALU_DEP_4)
	v_min3_f32 v113, v72, v73, 0x7f7fffff
	v_dual_add_f32 v72, v17, v69 :: v_dual_add_f32 v73, v16, v68
	v_min3_f32 v114, v77, v76, 0x7f7fffff
	s_delay_alu instid0(VALU_DEP_2) | instskip(SKIP_1) | instid1(VALU_DEP_1)
	v_min3_f32 v112, v73, v72, 0x7f7fffff
	v_dual_add_f32 v72, v13, v69 :: v_dual_add_f32 v73, v12, v68
	;; [unrolled: 10-line block ×13, first 2 shown]
	v_min3_f32 v33, v29, v28, 0x7f7fffff
	v_dual_add_f32 v28, v9, v25 :: v_dual_add_f32 v29, v8, v24
	v_dual_add_f32 v25, v1, v25 :: v_dual_add_f32 v24, v0, v24
	v_add_f32_e32 v8, v8, v4
	s_delay_alu instid0(VALU_DEP_3) | instskip(NEXT) | instid1(VALU_DEP_3)
	v_min3_f32 v32, v29, v28, 0x7f7fffff
	v_min3_f32 v29, v24, v25, 0x7f7fffff
	v_dual_add_f32 v24, v17, v21 :: v_dual_add_f32 v25, v16, v20
	v_dual_add_f32 v16, v16, v4 :: v_dual_add_f32 v17, v17, v5
	s_delay_alu instid0(VALU_DEP_2)
	v_min3_f32 v28, v25, v24, 0x7f7fffff
	v_add_f32_e32 v24, v13, v21
	v_add_f32_e32 v13, v13, v5
	;; [unrolled: 1-line block ×7, first 2 shown]
	v_min3_f32 v25, v25, v24, 0x7f7fffff
	v_add_f32_e32 v24, v9, v21
	v_add_f32_e32 v21, v1, v21
	;; [unrolled: 1-line block ×3, first 2 shown]
	v_min3_f32 v16, v16, v17, 0x7f7fffff
	v_add_f32_e32 v9, v9, v5
	v_min3_f32 v24, v124, v24, 0x7f7fffff
	v_min3_f32 v20, v20, v21, 0x7f7fffff
	;; [unrolled: 1-line block ×3, first 2 shown]
	v_add_f32_e32 v1, v19, v79
	v_min3_f32 v12, v12, v13, 0x7f7fffff
	v_min3_f32 v8, v8, v9, 0x7f7fffff
	s_delay_alu instid0(VALU_DEP_3) | instskip(SKIP_1) | instid1(VALU_DEP_1)
	v_min3_f32 v159, v4, v1, v120
	v_dual_add_f32 v1, v15, v79 :: v_dual_add_f32 v4, v14, v78
	v_min3_f32 v158, v4, v1, v121
	v_dual_add_f32 v1, v11, v79 :: v_dual_add_f32 v4, v10, v78
	s_delay_alu instid0(VALU_DEP_1) | instskip(SKIP_1) | instid1(VALU_DEP_1)
	v_min3_f32 v157, v4, v1, v122
	v_dual_add_f32 v1, v3, v79 :: v_dual_add_f32 v4, v2, v78
	v_min3_f32 v156, v4, v1, v123
	v_dual_add_f32 v1, v19, v75 :: v_dual_add_f32 v4, v18, v74
	s_delay_alu instid0(VALU_DEP_1) | instskip(SKIP_1) | instid1(VALU_DEP_1)
	;; [unrolled: 5-line block ×28, first 2 shown]
	v_min3_f32 v96, v4, v1, v28
	v_dual_add_f32 v1, v15, v23 :: v_dual_add_f32 v4, v14, v22
	v_min3_f32 v95, v4, v1, v25
	v_dual_add_f32 v1, v11, v23 :: v_dual_add_f32 v4, v10, v22
	s_delay_alu instid0(VALU_DEP_1) | instskip(SKIP_2) | instid1(VALU_DEP_2)
	v_min3_f32 v94, v4, v1, v24
	v_dual_add_f32 v1, v3, v23 :: v_dual_add_f32 v4, v2, v22
	v_add_f32_e32 v2, v2, v6
	v_min3_f32 v93, v4, v1, v20
	v_dual_add_f32 v1, v19, v7 :: v_dual_add_f32 v4, v18, v6
	s_delay_alu instid0(VALU_DEP_1) | instskip(SKIP_1) | instid1(VALU_DEP_1)
	v_min3_f32 v92, v4, v1, v16
	v_dual_add_f32 v1, v15, v7 :: v_dual_add_f32 v4, v14, v6
	v_min3_f32 v91, v4, v1, v12
	v_dual_add_f32 v1, v11, v7 :: v_dual_add_f32 v4, v10, v6
	s_delay_alu instid0(VALU_DEP_1) | instskip(SKIP_1) | instid1(VALU_DEP_1)
	v_min3_f32 v90, v4, v1, v8
	v_add_f32_e32 v1, v3, v7
	v_min3_f32 v100, v2, v1, v0
	s_cbranch_scc1 .LBB65_44
; %bb.26:
	v_mad_i64_i32 v[0:1], null, v80, s27, 0
	v_mad_i64_i32 v[2:3], null, v81, s27, 0
	;; [unrolled: 1-line block ×4, first 2 shown]
	s_delay_alu instid0(VALU_DEP_4)
	v_lshlrev_b64 v[80:81], 2, v[0:1]
	v_add_nc_u32_e32 v160, 0x1000, v125
	v_lshlrev_b64 v[82:83], 2, v[2:3]
	v_add_nc_u32_e32 v161, 0x1000, v117
	;; [unrolled: 2-line block ×4, first 2 shown]
	v_lshl_add_u32 v164, v106, 4, 0x800
	v_lshl_add_u32 v165, v107, 4, 0x1800
	s_add_i32 s27, s10, -8
	s_mov_b32 s28, 0
	s_branch .LBB65_28
.LBB65_27:                              ;   in Loop: Header=BB65_28 Depth=1
	s_or_b32 exec_lo, exec_lo, s6
	ds_load_b128 v[72:75], v161
	ds_load_b128 v[76:79], v119
	ds_load_b128 v[89:92], v119 offset:512
	ds_load_b128 v[168:171], v119 offset:1024
	;; [unrolled: 1-line block ×18, first 2 shown]
	s_add_i32 s28, s28, 8
	ds_store_2addr_stride64_b32 v162, v166, v167 offset1:4
	ds_store_2addr_stride64_b32 v163, v88, v0 offset1:4
	s_waitcnt lgkmcnt(20)
	v_dual_add_f32 v11, v77, v73 :: v_dual_add_f32 v14, v76, v72
	s_waitcnt lgkmcnt(19)
	v_dual_add_f32 v15, v90, v73 :: v_dual_add_f32 v18, v89, v72
	;; [unrolled: 2-line block ×3, first 2 shown]
	v_min3_f32 v11, v14, v11, v25
	s_waitcnt lgkmcnt(16)
	v_add_f32_e32 v23, v76, v93
	v_min3_f32 v14, v18, v15, v28
	v_add_f32_e32 v18, v173, v73
	v_min3_f32 v15, v22, v19, v29
	v_dual_add_f32 v19, v172, v72 :: v_dual_add_f32 v22, v77, v94
	v_dual_add_f32 v25, v90, v94 :: v_dual_add_f32 v28, v89, v93
	;; [unrolled: 1-line block ×3, first 2 shown]
	v_add_f32_e32 v73, v173, v94
	v_add_f32_e32 v93, v172, v93
	v_min3_f32 v1, v19, v18, v1
	v_min3_f32 v18, v23, v22, v32
	;; [unrolled: 1-line block ×4, first 2 shown]
	s_waitcnt lgkmcnt(15)
	v_dual_add_f32 v25, v77, v98 :: v_dual_add_f32 v36, v168, v97
	v_add_f32_e32 v28, v76, v97
	v_min3_f32 v23, v93, v73, v37
	v_dual_add_f32 v29, v90, v98 :: v_dual_add_f32 v32, v89, v97
	v_dual_add_f32 v33, v169, v98 :: v_dual_add_f32 v72, v172, v97
	v_add_f32_e32 v37, v173, v98
	s_waitcnt lgkmcnt(14)
	v_add_f32_e32 v73, v77, v102
	v_add_f32_e32 v93, v76, v101
	v_min3_f32 v4, v28, v25, v4
	v_min3_f32 v25, v32, v29, v40
	;; [unrolled: 1-line block ×3, first 2 shown]
	v_dual_add_f32 v33, v90, v102 :: v_dual_add_f32 v36, v89, v101
	v_add_f32_e32 v40, v168, v101
	v_min3_f32 v29, v72, v37, v44
	s_waitcnt lgkmcnt(13)
	v_dual_add_f32 v37, v169, v102 :: v_dual_add_f32 v72, v76, v108
	v_dual_add_f32 v41, v173, v102 :: v_dual_add_f32 v44, v172, v101
	v_min3_f32 v32, v93, v73, v45
	v_add_f32_e32 v45, v77, v109
	v_add_f32_e32 v73, v90, v109
	;; [unrolled: 1-line block ×3, first 2 shown]
	v_min3_f32 v5, v36, v33, v5
	v_min3_f32 v33, v40, v37, v48
	v_min3_f32 v36, v44, v41, v49
	v_dual_add_f32 v41, v169, v109 :: v_dual_add_f32 v44, v168, v108
	v_add_f32_e32 v48, v172, v108
	v_min3_f32 v37, v72, v45, v52
	v_add_f32_e32 v45, v173, v109
	s_waitcnt lgkmcnt(12)
	v_dual_add_f32 v49, v77, v121 :: v_dual_add_f32 v52, v76, v120
	v_add_f32_e32 v72, v89, v120
	v_min3_f32 v8, v44, v41, v8
	v_min3_f32 v41, v48, v45, v56
	s_waitcnt lgkmcnt(11)
	v_add_f32_e32 v56, v76, v126
	v_min3_f32 v40, v93, v73, v53
	v_add_f32_e32 v53, v90, v121
	v_add_f32_e32 v73, v169, v121
	;; [unrolled: 1-line block ×3, first 2 shown]
	v_min3_f32 v44, v52, v49, v57
	v_add_f32_e32 v49, v173, v121
	v_min3_f32 v45, v72, v53, v58
	v_add_f32_e32 v52, v172, v120
	;; [unrolled: 2-line block ×3, first 2 shown]
	v_dual_add_f32 v59, v169, v127 :: v_dual_add_f32 v72, v168, v126
	s_delay_alu instid0(VALU_DEP_4) | instskip(SKIP_1) | instid1(VALU_DEP_4)
	v_min3_f32 v9, v52, v49, v9
	v_add_f32_e32 v57, v90, v127
	v_min3_f32 v49, v56, v53, v54
	v_add_f32_e32 v58, v89, v126
	v_min3_f32 v53, v72, v59, v60
	s_waitcnt lgkmcnt(10)
	v_dual_add_f32 v59, v169, v177 :: v_dual_add_f32 v60, v168, v176
	v_add_f32_e32 v73, v173, v127
	v_add_f32_e32 v93, v172, v126
	v_min3_f32 v52, v58, v57, v55
	v_add_f32_e32 v55, v77, v177
	v_min3_f32 v51, v60, v59, v51
	s_waitcnt lgkmcnt(9)
	v_dual_add_f32 v59, v169, v181 :: v_dual_add_f32 v60, v168, v180
	v_min3_f32 v54, v93, v73, v61
	v_dual_add_f32 v56, v76, v176 :: v_dual_add_f32 v61, v173, v177
	v_add_f32_e32 v72, v172, v176
	s_delay_alu instid0(VALU_DEP_4)
	v_min3_f32 v46, v60, v59, v46
	s_waitcnt lgkmcnt(8)
	v_dual_add_f32 v59, v169, v185 :: v_dual_add_f32 v60, v168, v184
	v_min3_f32 v12, v56, v55, v12
	v_dual_add_f32 v57, v90, v177 :: v_dual_add_f32 v58, v89, v176
	v_add_f32_e32 v73, v77, v181
	s_delay_alu instid0(VALU_DEP_4)
	v_min3_f32 v16, v60, v59, v16
	s_waitcnt lgkmcnt(7)
	v_add_f32_e32 v60, v172, v188
	v_min3_f32 v55, v72, v61, v62
	v_dual_add_f32 v61, v173, v181 :: v_dual_add_f32 v62, v172, v180
	v_add_f32_e32 v93, v76, v180
	v_dual_add_f32 v72, v76, v184 :: v_dual_add_f32 v59, v173, v189
	s_cmp_ge_i32 s28, s27
	s_delay_alu instid0(VALU_DEP_3) | instskip(SKIP_4) | instid1(VALU_DEP_4)
	v_min3_f32 v47, v62, v61, v47
	v_dual_add_f32 v61, v173, v185 :: v_dual_add_f32 v62, v172, v184
	v_min3_f32 v50, v58, v57, v50
	v_dual_add_f32 v57, v90, v181 :: v_dual_add_f32 v58, v89, v180
	v_min3_f32 v17, v60, v59, v17
	v_min3_f32 v38, v62, v61, v38
	s_waitcnt lgkmcnt(6)
	v_add_f32_e32 v62, v76, v192
	v_min3_f32 v56, v93, v73, v63
	v_add_f32_e32 v63, v77, v185
	v_min3_f32 v13, v58, v57, v13
	v_add_f32_e32 v73, v90, v185
	v_add_f32_e32 v93, v89, v184
	;; [unrolled: 1-line block ×3, first 2 shown]
	v_min3_f32 v57, v72, v63, v64
	v_dual_add_f32 v63, v77, v189 :: v_dual_add_f32 v64, v76, v188
	v_add_f32_e32 v72, v89, v188
	s_delay_alu instid0(VALU_DEP_4)
	v_min3_f32 v34, v62, v61, v34
	s_waitcnt lgkmcnt(5)
	v_dual_add_f32 v61, v77, v197 :: v_dual_add_f32 v62, v76, v196
	v_min3_f32 v39, v64, v63, v39
	v_dual_add_f32 v63, v90, v193 :: v_dual_add_f32 v64, v89, v192
	s_waitcnt lgkmcnt(0)
	s_delay_alu instid0(VALU_DEP_3)
	v_min3_f32 v20, v62, v61, v20
	s_barrier
	buffer_gl0_inv
	v_min3_f32 v35, v64, v63, v35
	v_dual_add_f32 v63, v90, v197 :: v_dual_add_f32 v64, v89, v196
	v_min3_f32 v58, v93, v73, v65
	v_add_f32_e32 v65, v90, v189
	v_add_f32_e32 v73, v169, v189
	;; [unrolled: 1-line block ×3, first 2 shown]
	v_min3_f32 v30, v64, v63, v30
	v_add_f32_e32 v64, v89, v200
	v_min3_f32 v42, v72, v65, v42
	v_dual_add_f32 v65, v169, v193 :: v_dual_add_f32 v72, v168, v192
	v_min3_f32 v43, v93, v73, v43
	v_add_f32_e32 v73, v173, v193
	v_add_f32_e32 v93, v172, v192
	;; [unrolled: 1-line block ×3, first 2 shown]
	v_min3_f32 v59, v72, v65, v66
	v_dual_add_f32 v65, v169, v197 :: v_dual_add_f32 v66, v168, v196
	v_add_f32_e32 v72, v172, v196
	s_delay_alu instid0(VALU_DEP_4) | instskip(NEXT) | instid1(VALU_DEP_3)
	v_min3_f32 v21, v64, v63, v21
	v_min3_f32 v31, v66, v65, v31
	v_dual_add_f32 v65, v169, v201 :: v_dual_add_f32 v66, v168, v200
	s_delay_alu instid0(VALU_DEP_1) | instskip(SKIP_1) | instid1(VALU_DEP_1)
	v_min3_f32 v26, v66, v65, v26
	v_dual_add_f32 v65, v169, v205 :: v_dual_add_f32 v66, v168, v204
	v_min3_f32 v24, v66, v65, v24
	v_dual_add_f32 v65, v173, v209 :: v_dual_add_f32 v66, v172, v208
	s_delay_alu instid0(VALU_DEP_1)
	v_min3_f32 v2, v66, v65, v2
	v_add_f32_e32 v66, v170, v95
	v_min3_f32 v60, v93, v73, v67
	v_add_f32_e32 v67, v173, v197
	v_add_f32_e32 v73, v77, v201
	;; [unrolled: 1-line block ×4, first 2 shown]
	s_delay_alu instid0(VALU_DEP_4) | instskip(SKIP_1) | instid1(VALU_DEP_4)
	v_min3_f32 v61, v72, v67, v68
	v_add_f32_e32 v67, v173, v201
	v_min3_f32 v62, v93, v73, v69
	v_dual_add_f32 v68, v172, v200 :: v_dual_add_f32 v69, v77, v205
	v_dual_add_f32 v72, v76, v204 :: v_dual_add_f32 v73, v90, v205
	v_add_f32_e32 v93, v89, v204
	v_min3_f32 v153, v66, v65, v22
	v_add_f32_e32 v22, v78, v103
	v_min3_f32 v27, v68, v67, v27
	v_min3_f32 v63, v72, v69, v70
	;; [unrolled: 1-line block ×3, first 2 shown]
	v_dual_add_f32 v67, v173, v205 :: v_dual_add_f32 v68, v172, v204
	v_dual_add_f32 v69, v77, v209 :: v_dual_add_f32 v70, v76, v208
	;; [unrolled: 1-line block ×4, first 2 shown]
	s_delay_alu instid0(VALU_DEP_4) | instskip(NEXT) | instid1(VALU_DEP_4)
	v_min3_f32 v3, v68, v67, v3
	v_min3_f32 v6, v70, v69, v6
	s_delay_alu instid0(VALU_DEP_4)
	v_min3_f32 v7, v72, v71, v7
	v_add_f32_e32 v67, v79, v75
	v_min3_f32 v10, v76, v73, v10
	v_dual_add_f32 v68, v78, v74 :: v_dual_add_f32 v69, v92, v75
	v_add_f32_e32 v70, v91, v74
	v_dual_add_f32 v71, v171, v75 :: v_dual_add_f32 v72, v170, v74
	v_dual_add_f32 v73, v175, v75 :: v_dual_add_f32 v74, v174, v74
	s_delay_alu instid0(VALU_DEP_4) | instskip(NEXT) | instid1(VALU_DEP_4)
	v_min3_f32 v159, v68, v67, v11
	v_min3_f32 v158, v70, v69, v14
	s_delay_alu instid0(VALU_DEP_4)
	v_min3_f32 v157, v72, v71, v15
	v_add_f32_e32 v11, v78, v95
	v_min3_f32 v156, v74, v73, v1
	v_add_f32_e32 v1, v79, v96
	v_dual_add_f32 v14, v92, v96 :: v_dual_add_f32 v15, v91, v95
	v_dual_add_f32 v69, v79, v100 :: v_dual_add_f32 v70, v78, v99
	s_delay_alu instid0(VALU_DEP_3) | instskip(SKIP_1) | instid1(VALU_DEP_4)
	v_min3_f32 v155, v11, v1, v18
	v_add_f32_e32 v11, v171, v100
	v_min3_f32 v154, v15, v14, v19
	v_dual_add_f32 v14, v170, v99 :: v_dual_add_f32 v15, v175, v100
	v_dual_add_f32 v18, v174, v99 :: v_dual_add_f32 v19, v79, v104
	v_min3_f32 v151, v70, v69, v4
	s_delay_alu instid0(VALU_DEP_3) | instskip(SKIP_1) | instid1(VALU_DEP_4)
	v_min3_f32 v149, v14, v11, v28
	v_add_f32_e32 v14, v79, v111
	v_min3_f32 v148, v18, v15, v29
	v_min3_f32 v147, v22, v19, v32
	v_dual_add_f32 v15, v78, v110 :: v_dual_add_f32 v18, v92, v111
	v_add_f32_e32 v19, v91, v110
	v_dual_add_f32 v1, v92, v100 :: v_dual_add_f32 v4, v91, v99
	s_delay_alu instid0(VALU_DEP_3) | instskip(SKIP_1) | instid1(VALU_DEP_4)
	v_min3_f32 v143, v15, v14, v37
	v_add_f32_e32 v15, v171, v123
	v_min3_f32 v142, v19, v18, v40
	v_dual_add_f32 v18, v170, v122 :: v_dual_add_f32 v67, v175, v96
	v_add_f32_e32 v68, v174, v95
	v_add_f32_e32 v65, v91, v103
	;; [unrolled: 1-line block ×3, first 2 shown]
	s_delay_alu instid0(VALU_DEP_4)
	v_min3_f32 v137, v18, v15, v48
	v_add_f32_e32 v18, v79, v179
	v_min3_f32 v150, v4, v1, v25
	v_dual_add_f32 v1, v171, v104 :: v_dual_add_f32 v4, v170, v103
	v_add_f32_e32 v19, v175, v123
	v_dual_add_f32 v11, v174, v103 :: v_dual_add_f32 v14, v91, v122
	v_add_f32_e32 v15, v174, v128
	s_delay_alu instid0(VALU_DEP_4) | instskip(SKIP_1) | instid1(VALU_DEP_1)
	v_min3_f32 v145, v4, v1, v33
	v_dual_add_f32 v1, v175, v111 :: v_dual_add_f32 v4, v174, v110
	v_min3_f32 v140, v4, v1, v41
	v_dual_add_f32 v1, v79, v129 :: v_dual_add_f32 v4, v78, v128
	s_delay_alu instid0(VALU_DEP_1) | instskip(SKIP_1) | instid1(VALU_DEP_1)
	v_min3_f32 v135, v4, v1, v49
	v_dual_add_f32 v1, v92, v179 :: v_dual_add_f32 v4, v91, v178
	v_min3_f32 v130, v4, v1, v50
	v_dual_add_f32 v1, v171, v183 :: v_dual_add_f32 v4, v170, v182
	s_delay_alu instid0(VALU_DEP_1) | instskip(SKIP_4) | instid1(VALU_DEP_2)
	v_min3_f32 v124, v4, v1, v46
	v_add_f32_e32 v4, v174, v186
	v_min3_f32 v152, v68, v67, v23
	v_add_f32_e32 v23, v92, v104
	v_add_f32_e32 v1, v175, v187
	v_min3_f32 v146, v65, v23, v5
	v_add_f32_e32 v23, v170, v110
	v_add_f32_e32 v5, v175, v104
	s_delay_alu instid0(VALU_DEP_4) | instskip(SKIP_1) | instid1(VALU_DEP_4)
	v_min3_f32 v118, v4, v1, v38
	v_dual_add_f32 v1, v79, v195 :: v_dual_add_f32 v4, v78, v194
	v_min3_f32 v141, v23, v22, v8
	v_add_f32_e32 v22, v174, v122
	v_add_f32_e32 v8, v78, v122
	s_delay_alu instid0(VALU_DEP_4) | instskip(SKIP_1) | instid1(VALU_DEP_4)
	v_min3_f32 v111, v4, v1, v34
	v_add_f32_e32 v1, v92, v199
	v_min3_f32 v136, v22, v19, v9
	v_add_f32_e32 v19, v78, v178
	v_add_f32_e32 v9, v171, v129
	v_add_f32_e32 v4, v91, v198
	s_delay_alu instid0(VALU_DEP_3)
	v_min3_f32 v131, v19, v18, v12
	v_add_f32_e32 v18, v91, v182
	v_min3_f32 v144, v11, v5, v36
	v_add_f32_e32 v11, v92, v123
	v_add_f32_e32 v12, v79, v183
	;; [unrolled: 1-line block ×3, first 2 shown]
	v_min3_f32 v104, v4, v1, v30
	v_add_f32_e32 v1, v171, v203
	v_min3_f32 v138, v14, v11, v45
	v_add_f32_e32 v14, v175, v129
	v_min3_f32 v139, v8, v5, v44
	v_dual_add_f32 v5, v92, v129 :: v_dual_add_f32 v8, v91, v128
	v_add_f32_e32 v11, v170, v128
	s_delay_alu instid0(VALU_DEP_4) | instskip(SKIP_2) | instid1(VALU_DEP_2)
	v_min3_f32 v132, v15, v14, v54
	v_dual_add_f32 v14, v78, v182 :: v_dual_add_f32 v15, v92, v183
	v_add_f32_e32 v4, v170, v202
	v_min3_f32 v127, v14, v12, v56
	s_delay_alu instid0(VALU_DEP_3) | instskip(SKIP_4) | instid1(VALU_DEP_4)
	v_min3_f32 v126, v18, v15, v13
	v_dual_add_f32 v12, v92, v187 :: v_dual_add_f32 v13, v91, v186
	v_dual_add_f32 v14, v171, v187 :: v_dual_add_f32 v15, v170, v186
	v_min3_f32 v98, v4, v1, v26
	v_add_f32_e32 v1, v175, v207
	v_min3_f32 v121, v13, v12, v58
	v_add_f32_e32 v12, v171, v191
	v_min3_f32 v120, v15, v14, v16
	v_dual_add_f32 v13, v170, v190 :: v_dual_add_f32 v14, v175, v191
	v_add_f32_e32 v15, v174, v190
	v_min3_f32 v134, v8, v5, v52
	v_add_f32_e32 v5, v171, v179
	s_delay_alu instid0(VALU_DEP_4)
	v_min3_f32 v113, v13, v12, v43
	v_add_f32_e32 v12, v175, v195
	v_min3_f32 v112, v15, v14, v17
	v_dual_add_f32 v13, v174, v194 :: v_dual_add_f32 v14, v79, v199
	v_add_f32_e32 v15, v78, v198
	v_min3_f32 v133, v11, v9, v53
	v_dual_add_f32 v8, v170, v178 :: v_dual_add_f32 v9, v175, v179
	v_add_f32_e32 v11, v174, v178
	v_min3_f32 v108, v13, v12, v60
	v_min3_f32 v105, v15, v14, v20
	v_dual_add_f32 v12, v79, v203 :: v_dual_add_f32 v13, v78, v202
	v_dual_add_f32 v14, v92, v203 :: v_dual_add_f32 v15, v91, v202
	v_min3_f32 v129, v8, v5, v51
	v_dual_add_f32 v5, v175, v183 :: v_dual_add_f32 v8, v174, v182
	s_delay_alu instid0(VALU_DEP_4) | instskip(NEXT) | instid1(VALU_DEP_4)
	v_min3_f32 v101, v13, v12, v62
	v_min3_f32 v99, v15, v14, v21
	v_add_f32_e32 v14, v171, v207
	v_min3_f32 v128, v11, v9, v55
	v_add_f32_e32 v9, v79, v187
	v_dual_add_f32 v11, v78, v186 :: v_dual_add_f32 v12, v92, v207
	v_add_f32_e32 v13, v91, v206
	v_min3_f32 v123, v8, v5, v47
	v_dual_add_f32 v5, v79, v191 :: v_dual_add_f32 v8, v78, v190
	v_add_f32_e32 v15, v170, v206
	s_delay_alu instid0(VALU_DEP_4)
	v_min3_f32 v95, v13, v12, v64
	v_add_f32_e32 v12, v171, v211
	v_min3_f32 v122, v11, v9, v57
	v_add_f32_e32 v9, v92, v191
	v_add_f32_e32 v11, v91, v190
	v_min3_f32 v116, v8, v5, v39
	v_dual_add_f32 v5, v92, v195 :: v_dual_add_f32 v8, v91, v194
	v_min3_f32 v94, v15, v14, v24
	s_delay_alu instid0(VALU_DEP_4)
	v_min3_f32 v114, v11, v9, v42
	v_add_f32_e32 v9, v171, v195
	v_add_f32_e32 v11, v170, v194
	v_min3_f32 v110, v8, v5, v35
	v_dual_add_f32 v5, v171, v199 :: v_dual_add_f32 v8, v170, v198
	v_add_f32_e32 v4, v174, v206
	s_delay_alu instid0(VALU_DEP_4)
	v_min3_f32 v109, v11, v9, v59
	v_add_f32_e32 v9, v175, v199
	v_add_f32_e32 v11, v174, v198
	v_min3_f32 v103, v8, v5, v31
	v_dual_add_f32 v5, v175, v203 :: v_dual_add_f32 v8, v174, v202
	v_add_f32_e32 v13, v170, v210
	s_delay_alu instid0(VALU_DEP_4)
	v_min3_f32 v102, v11, v9, v61
	v_add_f32_e32 v9, v79, v207
	v_add_f32_e32 v11, v78, v206
	v_min3_f32 v97, v8, v5, v27
	v_dual_add_f32 v5, v79, v211 :: v_dual_add_f32 v8, v78, v210
	v_add_f32_e32 v14, v175, v211
	s_delay_alu instid0(VALU_DEP_4)
	v_min3_f32 v96, v11, v9, v63
	v_add_f32_e32 v9, v92, v211
	v_add_f32_e32 v11, v91, v210
	;; [unrolled: 1-line block ×3, first 2 shown]
	v_min3_f32 v93, v4, v1, v3
	v_min3_f32 v92, v8, v5, v6
	v_min3_f32 v90, v13, v12, v10
	v_min3_f32 v91, v11, v9, v7
	v_min3_f32 v100, v15, v14, v2
	s_cbranch_scc1 .LBB65_44
.LBB65_28:                              ; =>This Inner Loop Header: Depth=1
	v_add_nc_u32_e32 v16, s28, v115
	s_delay_alu instid0(VALU_DEP_1) | instskip(NEXT) | instid1(VALU_DEP_1)
	v_add_nc_u32_e32 v2, 8, v16
	v_min_i32_e32 v0, s17, v2
	v_cmp_le_i32_e64 s5, s10, v2
	s_delay_alu instid0(VALU_DEP_2) | instskip(NEXT) | instid1(VALU_DEP_1)
	v_ashrrev_i32_e32 v1, 31, v0
	v_lshlrev_b64 v[0:1], 2, v[0:1]
	s_delay_alu instid0(VALU_DEP_1) | instskip(NEXT) | instid1(VALU_DEP_1)
	v_add_co_u32 v2, s6, s20, v0
	v_add_co_ci_u32_e64 v3, s6, s21, v1, s6
	s_or_b32 s6, vcc_lo, s5
	s_delay_alu instid0(SALU_CYCLE_1) | instskip(SKIP_1) | instid1(SALU_CYCLE_1)
	v_cndmask_b32_e64 v166, 0, 0x7f7fffff, s6
	s_or_b32 s6, s26, s6
	s_xor_b32 s6, s6, -1
	s_delay_alu instid0(SALU_CYCLE_1)
	s_and_saveexec_b32 s29, s6
	s_cbranch_execz .LBB65_30
; %bb.29:                               ;   in Loop: Header=BB65_28 Depth=1
	v_add_co_u32 v4, s6, v2, v80
	s_delay_alu instid0(VALU_DEP_1)
	v_add_co_ci_u32_e64 v5, s6, v3, v81, s6
	flat_load_b32 v4, v[4:5]
	s_waitcnt vmcnt(0) lgkmcnt(0)
	v_mul_f32_e32 v166, s11, v4
.LBB65_30:                              ;   in Loop: Header=BB65_28 Depth=1
	s_or_b32 exec_lo, exec_lo, s29
	s_or_b32 s6, s2, s5
	s_delay_alu instid0(SALU_CYCLE_1) | instskip(SKIP_1) | instid1(SALU_CYCLE_1)
	v_cndmask_b32_e64 v167, 0, 0x7f7fffff, s6
	s_or_b32 s6, s26, s6
	s_xor_b32 s6, s6, -1
	s_delay_alu instid0(SALU_CYCLE_1)
	s_and_saveexec_b32 s29, s6
	s_cbranch_execz .LBB65_32
; %bb.31:                               ;   in Loop: Header=BB65_28 Depth=1
	v_add_co_u32 v2, s6, v2, v82
	s_delay_alu instid0(VALU_DEP_1)
	v_add_co_ci_u32_e64 v3, s6, v3, v83, s6
	flat_load_b32 v2, v[2:3]
	s_waitcnt vmcnt(0) lgkmcnt(0)
	v_mul_f32_e32 v167, s11, v2
.LBB65_32:                              ;   in Loop: Header=BB65_28 Depth=1
	s_or_b32 exec_lo, exec_lo, s29
	v_add_co_u32 v0, s6, s22, v0
	s_delay_alu instid0(VALU_DEP_1) | instskip(SKIP_1) | instid1(SALU_CYCLE_1)
	v_add_co_ci_u32_e64 v1, s6, s23, v1, s6
	s_or_b32 s6, s3, s5
	v_cndmask_b32_e64 v168, 0, 0x7f7fffff, s6
	s_or_b32 s6, s26, s6
	s_delay_alu instid0(SALU_CYCLE_1) | instskip(NEXT) | instid1(SALU_CYCLE_1)
	s_xor_b32 s6, s6, -1
	s_and_saveexec_b32 s29, s6
	s_cbranch_execz .LBB65_34
; %bb.33:                               ;   in Loop: Header=BB65_28 Depth=1
	v_add_co_u32 v2, s6, v0, v84
	s_delay_alu instid0(VALU_DEP_1)
	v_add_co_ci_u32_e64 v3, s6, v1, v85, s6
	flat_load_b32 v2, v[2:3]
	s_waitcnt vmcnt(0) lgkmcnt(0)
	v_mul_f32_e32 v168, s11, v2
.LBB65_34:                              ;   in Loop: Header=BB65_28 Depth=1
	s_or_b32 exec_lo, exec_lo, s29
	s_or_b32 s5, s4, s5
	s_delay_alu instid0(SALU_CYCLE_1) | instskip(SKIP_1) | instid1(SALU_CYCLE_1)
	v_cndmask_b32_e64 v169, 0, 0x7f7fffff, s5
	s_or_b32 s5, s26, s5
	s_xor_b32 s5, s5, -1
	s_delay_alu instid0(SALU_CYCLE_1)
	s_and_saveexec_b32 s6, s5
	s_cbranch_execz .LBB65_36
; %bb.35:                               ;   in Loop: Header=BB65_28 Depth=1
	v_add_co_u32 v0, s5, v0, v86
	s_delay_alu instid0(VALU_DEP_1)
	v_add_co_ci_u32_e64 v1, s5, v1, v87, s5
	flat_load_b32 v0, v[0:1]
	s_waitcnt vmcnt(0) lgkmcnt(0)
	v_mul_f32_e32 v169, s11, v0
.LBB65_36:                              ;   in Loop: Header=BB65_28 Depth=1
	s_or_b32 exec_lo, exec_lo, s6
	v_add_nc_u32_e32 v170, 12, v16
	ds_load_b128 v[12:15], v164
	ds_load_b128 v[8:11], v164 offset:512
	ds_load_b128 v[4:7], v164 offset:1024
	;; [unrolled: 1-line block ×3, first 2 shown]
	ds_load_b128 v[76:79], v165
	ds_load_b128 v[72:75], v165 offset:128
	ds_load_b128 v[68:71], v165 offset:256
	;; [unrolled: 1-line block ×15, first 2 shown]
	ds_store_2addr_stride64_b32 v125, v166, v167 offset1:4
	ds_store_2addr_stride64_b32 v160, v168, v169 offset1:4
	v_min_i32_e32 v88, s17, v170
	v_cmp_le_i32_e64 s5, s10, v170
	s_waitcnt lgkmcnt(0)
	s_barrier
	buffer_gl0_inv
	v_ashrrev_i32_e32 v89, 31, v88
	s_delay_alu instid0(VALU_DEP_1) | instskip(NEXT) | instid1(VALU_DEP_1)
	v_lshlrev_b64 v[88:89], 2, v[88:89]
	v_add_co_u32 v168, s6, s20, v88
	s_delay_alu instid0(VALU_DEP_1) | instskip(SKIP_1) | instid1(SALU_CYCLE_1)
	v_add_co_ci_u32_e64 v169, s6, s21, v89, s6
	s_or_b32 s6, vcc_lo, s5
	v_cndmask_b32_e64 v166, 0, 0x7f7fffff, s6
	s_or_b32 s6, s26, s6
	s_delay_alu instid0(SALU_CYCLE_1) | instskip(NEXT) | instid1(SALU_CYCLE_1)
	s_xor_b32 s6, s6, -1
	s_and_saveexec_b32 s29, s6
	s_delay_alu instid0(SALU_CYCLE_1)
	s_xor_b32 s29, exec_lo, s29
	s_cbranch_execz .LBB65_38
; %bb.37:                               ;   in Loop: Header=BB65_28 Depth=1
	v_add_co_u32 v166, s6, v168, v80
	s_delay_alu instid0(VALU_DEP_1)
	v_add_co_ci_u32_e64 v167, s6, v169, v81, s6
	flat_load_b32 v166, v[166:167]
	s_waitcnt vmcnt(0) lgkmcnt(0)
	v_mul_f32_e32 v166, s11, v166
.LBB65_38:                              ;   in Loop: Header=BB65_28 Depth=1
	s_or_b32 exec_lo, exec_lo, s29
	s_or_b32 s6, s2, s5
	s_delay_alu instid0(SALU_CYCLE_1) | instskip(SKIP_1) | instid1(SALU_CYCLE_1)
	v_cndmask_b32_e64 v167, 0, 0x7f7fffff, s6
	s_or_b32 s6, s26, s6
	s_xor_b32 s6, s6, -1
	s_delay_alu instid0(SALU_CYCLE_1)
	s_and_saveexec_b32 s29, s6
	s_cbranch_execz .LBB65_40
; %bb.39:                               ;   in Loop: Header=BB65_28 Depth=1
	v_add_co_u32 v167, s6, v168, v82
	s_delay_alu instid0(VALU_DEP_1)
	v_add_co_ci_u32_e64 v168, s6, v169, v83, s6
	flat_load_b32 v167, v[167:168]
	s_waitcnt vmcnt(0) lgkmcnt(0)
	v_mul_f32_e32 v167, s11, v167
.LBB65_40:                              ;   in Loop: Header=BB65_28 Depth=1
	s_or_b32 exec_lo, exec_lo, s29
	v_add_co_u32 v168, s6, s22, v88
	s_delay_alu instid0(VALU_DEP_1) | instskip(SKIP_1) | instid1(SALU_CYCLE_1)
	v_add_co_ci_u32_e64 v89, s6, s23, v89, s6
	s_or_b32 s6, s3, s5
	v_cndmask_b32_e64 v88, 0, 0x7f7fffff, s6
	s_or_b32 s6, s26, s6
	s_delay_alu instid0(SALU_CYCLE_1) | instskip(NEXT) | instid1(SALU_CYCLE_1)
	s_xor_b32 s6, s6, -1
	s_and_saveexec_b32 s29, s6
	s_cbranch_execz .LBB65_42
; %bb.41:                               ;   in Loop: Header=BB65_28 Depth=1
	v_add_co_u32 v169, s6, v168, v84
	s_delay_alu instid0(VALU_DEP_1)
	v_add_co_ci_u32_e64 v170, s6, v89, v85, s6
	flat_load_b32 v88, v[169:170]
	s_waitcnt vmcnt(0) lgkmcnt(0)
	v_mul_f32_e32 v88, s11, v88
.LBB65_42:                              ;   in Loop: Header=BB65_28 Depth=1
	s_or_b32 exec_lo, exec_lo, s29
	v_dual_add_f32 v169, v13, v77 :: v_dual_add_f32 v170, v12, v76
	v_dual_add_f32 v171, v9, v77 :: v_dual_add_f32 v172, v8, v76
	;; [unrolled: 1-line block ×3, first 2 shown]
	s_delay_alu instid0(VALU_DEP_3) | instskip(SKIP_1) | instid1(VALU_DEP_4)
	v_min3_f32 v159, v170, v169, v159
	v_dual_add_f32 v77, v1, v77 :: v_dual_add_f32 v76, v0, v76
	v_min3_f32 v158, v172, v171, v158
	s_delay_alu instid0(VALU_DEP_4)
	v_min3_f32 v157, v174, v173, v157
	v_dual_add_f32 v169, v13, v73 :: v_dual_add_f32 v170, v12, v72
	v_dual_add_f32 v171, v9, v73 :: v_dual_add_f32 v172, v8, v72
	;; [unrolled: 1-line block ×4, first 2 shown]
	v_min3_f32 v76, v76, v77, v156
	v_min3_f32 v77, v170, v169, v155
	;; [unrolled: 1-line block ×3, first 2 shown]
	v_dual_add_f32 v155, v9, v69 :: v_dual_add_f32 v156, v8, v68
	v_min3_f32 v72, v72, v73, v152
	v_dual_add_f32 v73, v13, v69 :: v_dual_add_f32 v152, v12, v68
	v_dual_add_f32 v169, v5, v69 :: v_dual_add_f32 v170, v4, v68
	;; [unrolled: 1-line block ×4, first 2 shown]
	s_delay_alu instid0(VALU_DEP_4) | instskip(SKIP_1) | instid1(VALU_DEP_4)
	v_min3_f32 v73, v152, v73, v151
	v_min3_f32 v150, v156, v155, v150
	;; [unrolled: 1-line block ×3, first 2 shown]
	v_add_f32_e32 v148, v8, v64
	v_min3_f32 v69, v172, v171, v147
	v_add_f32_e32 v147, v9, v65
	v_dual_add_f32 v151, v5, v65 :: v_dual_add_f32 v152, v4, v64
	v_dual_add_f32 v65, v1, v65 :: v_dual_add_f32 v64, v0, v64
	;; [unrolled: 1-line block ×3, first 2 shown]
	v_min3_f32 v149, v170, v169, v149
	v_dual_add_f32 v169, v9, v61 :: v_dual_add_f32 v170, v8, v60
	v_min3_f32 v146, v148, v147, v146
	v_min3_f32 v64, v64, v65, v144
	;; [unrolled: 1-line block ×3, first 2 shown]
	v_dual_add_f32 v143, v5, v61 :: v_dual_add_f32 v144, v4, v60
	v_dual_add_f32 v61, v1, v61 :: v_dual_add_f32 v60, v0, v60
	;; [unrolled: 1-line block ×3, first 2 shown]
	v_min3_f32 v145, v152, v151, v145
	v_dual_add_f32 v151, v9, v57 :: v_dual_add_f32 v152, v8, v56
	v_dual_add_f32 v155, v5, v57 :: v_dual_add_f32 v156, v4, v56
	v_min3_f32 v141, v144, v143, v141
	v_min3_f32 v60, v60, v61, v140
	;; [unrolled: 1-line block ×3, first 2 shown]
	v_dual_add_f32 v57, v1, v57 :: v_dual_add_f32 v56, v0, v56
	v_dual_add_f32 v139, v13, v53 :: v_dual_add_f32 v140, v12, v52
	;; [unrolled: 1-line block ×5, first 2 shown]
	v_min3_f32 v136, v56, v57, v136
	v_min3_f32 v135, v140, v139, v135
	v_dual_add_f32 v56, v9, v49 :: v_dual_add_f32 v57, v8, v48
	s_delay_alu instid0(VALU_DEP_4)
	v_min3_f32 v132, v52, v53, v132
	v_dual_add_f32 v52, v13, v49 :: v_dual_add_f32 v53, v12, v48
	v_dual_add_f32 v139, v5, v49 :: v_dual_add_f32 v140, v4, v48
	;; [unrolled: 1-line block ×3, first 2 shown]
	v_min3_f32 v134, v144, v143, v134
	v_dual_add_f32 v143, v13, v45 :: v_dual_add_f32 v144, v12, v44
	v_min3_f32 v131, v53, v52, v131
	s_delay_alu instid0(VALU_DEP_4)
	v_min3_f32 v128, v48, v49, v128
	v_dual_add_f32 v48, v9, v45 :: v_dual_add_f32 v49, v8, v44
	v_dual_add_f32 v52, v5, v45 :: v_dual_add_f32 v53, v4, v44
	;; [unrolled: 1-line block ×3, first 2 shown]
	v_min3_f32 v130, v57, v56, v130
	v_min3_f32 v129, v140, v139, v129
	v_dual_add_f32 v56, v13, v41 :: v_dual_add_f32 v57, v12, v40
	v_dual_add_f32 v139, v9, v41 :: v_dual_add_f32 v140, v8, v40
	v_min3_f32 v126, v49, v48, v126
	v_min3_f32 v123, v44, v45, v123
	v_dual_add_f32 v44, v5, v41 :: v_dual_add_f32 v45, v4, v40
	v_dual_add_f32 v41, v1, v41 :: v_dual_add_f32 v40, v0, v40
	;; [unrolled: 1-line block ×3, first 2 shown]
	v_min3_f32 v124, v53, v52, v124
	v_min3_f32 v122, v57, v56, v122
	v_dual_add_f32 v52, v9, v37 :: v_dual_add_f32 v53, v8, v36
	v_dual_add_f32 v56, v5, v37 :: v_dual_add_f32 v57, v4, v36
	v_min3_f32 v120, v45, v44, v120
	v_min3_f32 v118, v40, v41, v118
	;; [unrolled: 1-line block ×3, first 2 shown]
	v_dual_add_f32 v37, v1, v37 :: v_dual_add_f32 v36, v0, v36
	v_dual_add_f32 v40, v13, v33 :: v_dual_add_f32 v41, v12, v32
	;; [unrolled: 1-line block ×5, first 2 shown]
	v_min3_f32 v112, v36, v37, v112
	v_min3_f32 v111, v41, v40, v111
	v_dual_add_f32 v36, v9, v29 :: v_dual_add_f32 v37, v8, v28
	s_delay_alu instid0(VALU_DEP_4)
	v_min3_f32 v108, v32, v33, v108
	v_dual_add_f32 v32, v13, v29 :: v_dual_add_f32 v33, v12, v28
	v_dual_add_f32 v40, v5, v29 :: v_dual_add_f32 v41, v4, v28
	;; [unrolled: 1-line block ×3, first 2 shown]
	v_min3_f32 v110, v45, v44, v110
	v_dual_add_f32 v44, v13, v25 :: v_dual_add_f32 v45, v12, v24
	v_min3_f32 v105, v33, v32, v105
	s_delay_alu instid0(VALU_DEP_4)
	v_min3_f32 v102, v28, v29, v102
	v_dual_add_f32 v28, v9, v25 :: v_dual_add_f32 v29, v8, v24
	v_dual_add_f32 v32, v5, v25 :: v_dual_add_f32 v33, v4, v24
	;; [unrolled: 1-line block ×3, first 2 shown]
	v_min3_f32 v104, v37, v36, v104
	v_min3_f32 v103, v41, v40, v103
	v_dual_add_f32 v36, v13, v21 :: v_dual_add_f32 v37, v12, v20
	v_dual_add_f32 v40, v9, v21 :: v_dual_add_f32 v41, v8, v20
	v_min3_f32 v99, v29, v28, v99
	v_min3_f32 v24, v24, v25, v97
	v_dual_add_f32 v25, v5, v21 :: v_dual_add_f32 v28, v4, v20
	v_dual_add_f32 v13, v13, v17 :: v_dual_add_f32 v12, v12, v16
	;; [unrolled: 1-line block ×5, first 2 shown]
	s_delay_alu instid0(VALU_DEP_4) | instskip(NEXT) | instid1(VALU_DEP_4)
	v_min3_f32 v92, v12, v13, v92
	v_min3_f32 v91, v8, v9, v91
	s_delay_alu instid0(VALU_DEP_4)
	v_min3_f32 v90, v4, v5, v90
	v_dual_add_f32 v1, v1, v17 :: v_dual_add_f32 v0, v0, v16
	v_dual_add_f32 v4, v15, v79 :: v_dual_add_f32 v5, v14, v78
	v_dual_add_f32 v8, v11, v79 :: v_dual_add_f32 v9, v10, v78
	v_dual_add_f32 v12, v7, v79 :: v_dual_add_f32 v13, v6, v78
	v_dual_add_f32 v16, v3, v79 :: v_dual_add_f32 v17, v2, v78
	v_min3_f32 v153, v174, v173, v153
	v_min3_f32 v94, v28, v25, v94
	v_min3_f32 v93, v20, v21, v93
	v_min3_f32 v0, v0, v1, v100
	v_min3_f32 v25, v5, v4, v159
	v_min3_f32 v28, v9, v8, v158
	v_min3_f32 v29, v13, v12, v157
	v_min3_f32 v1, v17, v16, v76
	v_dual_add_f32 v4, v15, v75 :: v_dual_add_f32 v5, v14, v74
	v_dual_add_f32 v8, v11, v75 :: v_dual_add_f32 v9, v10, v74
	v_dual_add_f32 v12, v7, v75 :: v_dual_add_f32 v13, v6, v74
	v_dual_add_f32 v16, v3, v75 :: v_dual_add_f32 v17, v2, v74
	v_dual_add_f32 v20, v15, v71 :: v_dual_add_f32 v21, v14, v70
	v_min3_f32 v109, v49, v48, v109
	v_min3_f32 v98, v33, v32, v98
	v_min3_f32 v96, v37, v36, v96
	v_min3_f32 v32, v5, v4, v77
	v_min3_f32 v33, v9, v8, v154
	v_min3_f32 v36, v13, v12, v153
	v_min3_f32 v37, v17, v16, v72
	;; [unrolled: 13-line block ×3, first 2 shown]
	v_min3_f32 v5, v48, v21, v146
	v_dual_add_f32 v8, v7, v67 :: v_dual_add_f32 v9, v6, v66
	v_dual_add_f32 v12, v3, v67 :: v_dual_add_f32 v13, v2, v66
	;; [unrolled: 1-line block ×4, first 2 shown]
	v_min3_f32 v138, v152, v151, v138
	v_min3_f32 v137, v156, v155, v137
	;; [unrolled: 1-line block ×4, first 2 shown]
	v_dual_add_f32 v56, v7, v63 :: v_dual_add_f32 v57, v6, v62
	v_min3_f32 v48, v9, v8, v145
	v_min3_f32 v49, v13, v12, v64
	;; [unrolled: 1-line block ×4, first 2 shown]
	v_dual_add_f32 v9, v3, v63 :: v_dual_add_f32 v12, v2, v62
	v_dual_add_f32 v13, v15, v59 :: v_dual_add_f32 v16, v14, v58
	;; [unrolled: 1-line block ×5, first 2 shown]
	v_min3_f32 v133, v148, v147, v133
	v_min3_f32 v8, v57, v56, v141
	;; [unrolled: 1-line block ×7, first 2 shown]
	v_dual_add_f32 v12, v15, v55 :: v_dual_add_f32 v13, v14, v54
	v_dual_add_f32 v16, v11, v55 :: v_dual_add_f32 v17, v10, v54
	;; [unrolled: 1-line block ×5, first 2 shown]
	v_min3_f32 v127, v144, v143, v127
	v_min3_f32 v54, v13, v12, v135
	;; [unrolled: 1-line block ×6, first 2 shown]
	v_dual_add_f32 v13, v11, v51 :: v_dual_add_f32 v16, v10, v50
	v_dual_add_f32 v17, v7, v51 :: v_dual_add_f32 v20, v6, v50
	;; [unrolled: 1-line block ×5, first 2 shown]
	v_min3_f32 v121, v140, v139, v121
	v_min3_f32 v50, v16, v13, v130
	;; [unrolled: 1-line block ×6, first 2 shown]
	v_dual_add_f32 v16, v7, v47 :: v_dual_add_f32 v17, v6, v46
	v_dual_add_f32 v20, v3, v47 :: v_dual_add_f32 v21, v2, v46
	v_dual_add_f32 v64, v15, v43 :: v_dual_add_f32 v65, v14, v42
	v_dual_add_f32 v66, v11, v43 :: v_dual_add_f32 v67, v10, v42
	v_dual_add_f32 v68, v7, v43 :: v_dual_add_f32 v69, v6, v42
	v_min3_f32 v46, v17, v16, v124
	v_min3_f32 v47, v21, v20, v123
	v_min3_f32 v64, v65, v64, v122
	v_min3_f32 v65, v67, v66, v121
	v_min3_f32 v16, v69, v68, v120
	v_dual_add_f32 v17, v3, v43 :: v_dual_add_f32 v20, v2, v42
	v_dual_add_f32 v21, v15, v39 :: v_dual_add_f32 v42, v14, v38
	v_dual_add_f32 v43, v11, v39 :: v_dual_add_f32 v66, v10, v38
	v_dual_add_f32 v67, v7, v39 :: v_dual_add_f32 v68, v6, v38
	v_dual_add_f32 v69, v3, v39 :: v_dual_add_f32 v70, v2, v38
	v_min3_f32 v38, v20, v17, v118
	v_min3_f32 v39, v42, v21, v116
	v_min3_f32 v42, v66, v43, v114
	v_min3_f32 v43, v68, v67, v113
	v_min3_f32 v17, v70, v69, v112
	;; [unrolled: 10-line block ×3, first 2 shown]
	v_dual_add_f32 v21, v11, v31 :: v_dual_add_f32 v68, v10, v30
	v_dual_add_f32 v69, v7, v31 :: v_dual_add_f32 v70, v6, v30
	;; [unrolled: 1-line block ×5, first 2 shown]
	v_min3_f32 v30, v68, v21, v104
	v_min3_f32 v31, v70, v69, v103
	;; [unrolled: 1-line block ×4, first 2 shown]
	v_dual_add_f32 v70, v7, v27 :: v_dual_add_f32 v71, v6, v26
	v_dual_add_f32 v27, v3, v27 :: v_dual_add_f32 v72, v2, v26
	;; [unrolled: 1-line block ×3, first 2 shown]
	v_min3_f32 v21, v76, v75, v99
	v_dual_add_f32 v75, v11, v23 :: v_dual_add_f32 v76, v10, v22
	v_dual_add_f32 v77, v7, v23 :: v_dual_add_f32 v78, v6, v22
	v_min3_f32 v26, v71, v70, v98
	v_min3_f32 v27, v72, v27, v24
	;; [unrolled: 1-line block ×3, first 2 shown]
	v_dual_add_f32 v23, v3, v23 :: v_dual_add_f32 v22, v2, v22
	v_dual_add_f32 v15, v15, v19 :: v_dual_add_f32 v14, v14, v18
	;; [unrolled: 1-line block ×5, first 2 shown]
	s_or_b32 s5, s4, s5
	v_min3_f32 v71, v76, v75, v95
	v_min3_f32 v24, v78, v77, v94
	;; [unrolled: 1-line block ×7, first 2 shown]
	v_cndmask_b32_e64 v0, 0, 0x7f7fffff, s5
	s_or_b32 s5, s26, s5
	s_delay_alu instid0(SALU_CYCLE_1) | instskip(NEXT) | instid1(SALU_CYCLE_1)
	s_xor_b32 s5, s5, -1
	s_and_saveexec_b32 s6, s5
	s_cbranch_execz .LBB65_27
; %bb.43:                               ;   in Loop: Header=BB65_28 Depth=1
	v_add_co_u32 v14, s5, v168, v86
	s_delay_alu instid0(VALU_DEP_1)
	v_add_co_ci_u32_e64 v15, s5, v89, v87, s5
	flat_load_b32 v0, v[14:15]
	s_waitcnt vmcnt(0) lgkmcnt(0)
	v_mul_f32_e32 v0, s11, v0
	s_branch .LBB65_27
.LBB65_44:
	s_clause 0x2
	s_load_b64 s[2:3], s[0:1], 0x70
	s_load_b32 s6, s[0:1], 0x50
	s_load_b32 s5, s[0:1], 0x68
	ds_load_b128 v[16:19], v119 offset:2048
	ds_load_b128 v[12:15], v119 offset:2560
	;; [unrolled: 1-line block ×14, first 2 shown]
	v_add_nc_u32_e32 v89, s16, v107
	ds_load_b128 v[36:39], v117 offset:7424
	ds_load_b128 v[32:35], v117 offset:7552
	;; [unrolled: 1-line block ×6, first 2 shown]
	v_add_nc_u32_e32 v80, s14, v106
	v_cmp_gt_i32_e64 s4, s9, v89
	v_cndmask_b32_e64 v88, 0, 1, s24
	s_waitcnt lgkmcnt(0)
	s_mul_i32 s0, s15, s3
	v_mad_i64_i32 v[81:82], null, v89, s6, 0
	v_mad_i64_i32 v[83:84], null, v89, s5, 0
	s_mul_hi_u32 s1, s15, s2
	s_mul_i32 s3, s25, s2
	s_add_i32 s1, s1, s0
	s_mul_i32 s0, s15, s2
	s_delay_alu instid0(VALU_DEP_2) | instskip(SKIP_1) | instid1(VALU_DEP_2)
	v_lshlrev_b64 v[85:86], 2, v[81:82]
	s_add_i32 s1, s1, s3
	v_lshlrev_b64 v[82:83], 2, v[83:84]
	s_lshl_b64 s[0:1], s[0:1], 2
	v_ashrrev_i32_e32 v81, 31, v80
	s_add_u32 s10, s18, s0
	v_add_co_u32 v115, vcc_lo, s12, v85
	v_add_co_ci_u32_e32 v117, vcc_lo, s13, v86, vcc_lo
	s_addc_u32 s11, s19, s1
	v_cmp_gt_i32_e64 s0, s8, v80
	v_add_co_u32 v106, vcc_lo, s10, v82
	v_add_co_ci_u32_e32 v107, vcc_lo, s11, v83, vcc_lo
	s_delay_alu instid0(VALU_DEP_3) | instskip(NEXT) | instid1(SALU_CYCLE_1)
	s_and_b32 s1, s0, s4
	s_and_saveexec_b32 s2, s1
	s_delay_alu instid0(SALU_CYCLE_1)
	s_xor_b32 s1, exec_lo, s2
	s_cbranch_execz .LBB65_49
; %bb.45:
	s_and_not1_b32 vcc_lo, exec_lo, s24
	s_cbranch_vccnz .LBB65_47
; %bb.46:
	v_lshlrev_b64 v[82:83], 2, v[80:81]
	s_delay_alu instid0(VALU_DEP_1) | instskip(NEXT) | instid1(VALU_DEP_2)
	v_add_co_u32 v82, vcc_lo, v115, v82
	v_add_co_ci_u32_e32 v83, vcc_lo, v117, v83, vcc_lo
	flat_load_b32 v82, v[82:83]
	s_waitcnt vmcnt(0) lgkmcnt(0)
	v_mul_f32_e32 v82, s7, v82
	s_branch .LBB65_48
.LBB65_47:
	v_mov_b32_e32 v82, 0
.LBB65_48:
	v_dual_add_f32 v83, v17, v77 :: v_dual_add_f32 v84, v16, v76
	v_dual_add_f32 v85, v19, v79 :: v_dual_add_f32 v86, v18, v78
	s_delay_alu instid0(VALU_DEP_2) | instskip(SKIP_1) | instid1(VALU_DEP_3)
	v_min3_f32 v87, v84, v83, v159
	v_lshlrev_b64 v[83:84], 2, v[80:81]
	v_min_f32_e32 v85, v86, v85
	s_delay_alu instid0(VALU_DEP_1) | instskip(NEXT) | instid1(VALU_DEP_3)
	v_min3_f32 v85, v82, v85, v87
	v_add_co_u32 v82, vcc_lo, v106, v83
	s_delay_alu instid0(VALU_DEP_4)
	v_add_co_ci_u32_e32 v83, vcc_lo, v107, v84, vcc_lo
	global_store_b32 v[82:83], v85, off
.LBB65_49:
	s_or_b32 exec_lo, exec_lo, s1
	v_add_nc_u32_e32 v82, 32, v80
	s_delay_alu instid0(VALU_DEP_1) | instskip(SKIP_1) | instid1(VALU_DEP_2)
	v_cmp_gt_i32_e64 s1, s8, v82
	v_ashrrev_i32_e32 v83, 31, v82
	s_and_b32 s3, s1, s4
	s_delay_alu instid0(SALU_CYCLE_1)
	s_and_saveexec_b32 s2, s3
	s_cbranch_execz .LBB65_54
; %bb.50:
	v_cmp_ne_u32_e32 vcc_lo, 1, v88
	s_cbranch_vccnz .LBB65_52
; %bb.51:
	v_lshlrev_b64 v[84:85], 2, v[82:83]
	s_delay_alu instid0(VALU_DEP_1) | instskip(NEXT) | instid1(VALU_DEP_2)
	v_add_co_u32 v84, vcc_lo, v115, v84
	v_add_co_ci_u32_e32 v85, vcc_lo, v117, v85, vcc_lo
	flat_load_b32 v84, v[84:85]
	s_waitcnt vmcnt(0) lgkmcnt(0)
	v_mul_f32_e32 v84, s7, v84
	s_branch .LBB65_53
.LBB65_52:
	v_mov_b32_e32 v84, 0
.LBB65_53:
	v_dual_add_f32 v85, v13, v77 :: v_dual_add_f32 v86, v12, v76
	v_add_f32_e32 v87, v15, v79
	v_add_f32_e32 v119, v14, v78
	s_delay_alu instid0(VALU_DEP_3) | instskip(SKIP_1) | instid1(VALU_DEP_3)
	v_min3_f32 v125, v86, v85, v158
	v_lshlrev_b64 v[85:86], 2, v[82:83]
	v_min_f32_e32 v87, v119, v87
	s_delay_alu instid0(VALU_DEP_1) | instskip(NEXT) | instid1(VALU_DEP_3)
	v_min3_f32 v87, v84, v87, v125
	v_add_co_u32 v84, vcc_lo, v106, v85
	s_delay_alu instid0(VALU_DEP_4)
	v_add_co_ci_u32_e32 v85, vcc_lo, v107, v86, vcc_lo
	global_store_b32 v[84:85], v87, off
.LBB65_54:
	s_or_b32 exec_lo, exec_lo, s2
	v_add_nc_u32_e32 v84, 64, v80
	s_delay_alu instid0(VALU_DEP_1) | instskip(SKIP_1) | instid1(VALU_DEP_2)
	v_cmp_gt_i32_e64 s2, s8, v84
	v_ashrrev_i32_e32 v85, 31, v84
	s_and_b32 s14, s2, s4
	s_delay_alu instid0(SALU_CYCLE_1)
	s_and_saveexec_b32 s3, s14
	s_cbranch_execz .LBB65_59
; %bb.55:
	v_cmp_ne_u32_e32 vcc_lo, 1, v88
	s_cbranch_vccnz .LBB65_57
; %bb.56:
	v_lshlrev_b64 v[86:87], 2, v[84:85]
	s_delay_alu instid0(VALU_DEP_1) | instskip(NEXT) | instid1(VALU_DEP_2)
	v_add_co_u32 v86, vcc_lo, v115, v86
	v_add_co_ci_u32_e32 v87, vcc_lo, v117, v87, vcc_lo
	flat_load_b32 v86, v[86:87]
	s_waitcnt vmcnt(0) lgkmcnt(0)
	v_mul_f32_e32 v86, s7, v86
	s_branch .LBB65_58
.LBB65_57:
	v_mov_b32_e32 v86, 0
.LBB65_58:
	v_dual_add_f32 v87, v5, v77 :: v_dual_add_f32 v158, v6, v78
	v_add_f32_e32 v119, v4, v76
	v_add_f32_e32 v125, v7, v79
	s_delay_alu instid0(VALU_DEP_2) | instskip(NEXT) | instid1(VALU_DEP_2)
	v_min3_f32 v87, v119, v87, v157
	v_min_f32_e32 v119, v158, v125
	v_lshlrev_b64 v[157:158], 2, v[84:85]
	s_delay_alu instid0(VALU_DEP_2) | instskip(NEXT) | instid1(VALU_DEP_2)
	v_min3_f32 v119, v86, v119, v87
	v_add_co_u32 v86, vcc_lo, v106, v157
	s_delay_alu instid0(VALU_DEP_3)
	v_add_co_ci_u32_e32 v87, vcc_lo, v107, v158, vcc_lo
	global_store_b32 v[86:87], v119, off
.LBB65_59:
	s_or_b32 exec_lo, exec_lo, s3
	v_add_nc_u32_e32 v86, 0x60, v80
	s_delay_alu instid0(VALU_DEP_1) | instskip(SKIP_1) | instid1(VALU_DEP_2)
	v_cmp_gt_i32_e64 s3, s8, v86
	v_ashrrev_i32_e32 v87, 31, v86
	s_and_b32 s8, s3, s4
	s_delay_alu instid0(SALU_CYCLE_1)
	s_and_saveexec_b32 s4, s8
	s_cbranch_execz .LBB65_64
; %bb.60:
	v_cmp_ne_u32_e32 vcc_lo, 1, v88
	s_cbranch_vccnz .LBB65_62
; %bb.61:
	v_lshlrev_b64 v[157:158], 2, v[86:87]
	s_delay_alu instid0(VALU_DEP_1) | instskip(NEXT) | instid1(VALU_DEP_2)
	v_add_co_u32 v157, vcc_lo, v115, v157
	v_add_co_ci_u32_e32 v158, vcc_lo, v117, v158, vcc_lo
	flat_load_b32 v115, v[157:158]
	s_waitcnt vmcnt(0) lgkmcnt(0)
	v_mul_f32_e32 v115, s7, v115
	s_branch .LBB65_63
.LBB65_62:
	v_mov_b32_e32 v115, 0
.LBB65_63:
	v_dual_add_f32 v77, v1, v77 :: v_dual_add_f32 v76, v0, v76
	v_dual_add_f32 v79, v3, v79 :: v_dual_add_f32 v78, v2, v78
	s_delay_alu instid0(VALU_DEP_2) | instskip(SKIP_1) | instid1(VALU_DEP_3)
	v_min3_f32 v117, v76, v77, v156
	v_lshlrev_b64 v[76:77], 2, v[86:87]
	v_min_f32_e32 v78, v78, v79
	s_delay_alu instid0(VALU_DEP_1) | instskip(NEXT) | instid1(VALU_DEP_3)
	v_min3_f32 v78, v115, v78, v117
	v_add_co_u32 v76, vcc_lo, v106, v76
	s_delay_alu instid0(VALU_DEP_4)
	v_add_co_ci_u32_e32 v77, vcc_lo, v107, v77, vcc_lo
	global_store_b32 v[76:77], v78, off
.LBB65_64:
	s_or_b32 exec_lo, exec_lo, s4
	v_add_nc_u32_e32 v106, 8, v89
	s_delay_alu instid0(VALU_DEP_1) | instskip(SKIP_2) | instid1(VALU_DEP_3)
	v_mad_i64_i32 v[76:77], null, v106, s6, 0
	v_mad_i64_i32 v[78:79], null, v106, s5, 0
	v_cmp_gt_i32_e64 s4, s9, v106
	v_lshlrev_b64 v[76:77], 2, v[76:77]
	s_delay_alu instid0(VALU_DEP_2) | instskip(NEXT) | instid1(VALU_DEP_3)
	s_and_b32 s14, s0, s4
	v_lshlrev_b64 v[106:107], 2, v[78:79]
	s_delay_alu instid0(VALU_DEP_2) | instskip(NEXT) | instid1(VALU_DEP_3)
	v_add_co_u32 v78, vcc_lo, s12, v76
	v_add_co_ci_u32_e32 v79, vcc_lo, s13, v77, vcc_lo
	s_delay_alu instid0(VALU_DEP_3) | instskip(NEXT) | instid1(VALU_DEP_4)
	v_add_co_u32 v76, vcc_lo, s10, v106
	v_add_co_ci_u32_e32 v77, vcc_lo, s11, v107, vcc_lo
	s_and_saveexec_b32 s8, s14
	s_cbranch_execnz .LBB65_68
; %bb.65:
	s_or_b32 exec_lo, exec_lo, s8
	s_and_b32 s14, s1, s4
	s_delay_alu instid0(SALU_CYCLE_1)
	s_and_saveexec_b32 s8, s14
	s_cbranch_execnz .LBB65_72
.LBB65_66:
	s_or_b32 exec_lo, exec_lo, s8
	s_and_b32 s14, s2, s4
	s_delay_alu instid0(SALU_CYCLE_1)
	s_and_saveexec_b32 s8, s14
	s_cbranch_execnz .LBB65_76
.LBB65_67:
	s_or_b32 exec_lo, exec_lo, s8
	s_and_b32 s8, s3, s4
	s_delay_alu instid0(SALU_CYCLE_1)
	s_and_saveexec_b32 s4, s8
	s_cbranch_execnz .LBB65_80
	s_branch .LBB65_84
.LBB65_68:
	v_cmp_ne_u32_e32 vcc_lo, 1, v88
	s_cbranch_vccnz .LBB65_70
; %bb.69:
	v_lshlrev_b64 v[106:107], 2, v[80:81]
	s_delay_alu instid0(VALU_DEP_1) | instskip(NEXT) | instid1(VALU_DEP_2)
	v_add_co_u32 v106, vcc_lo, v78, v106
	v_add_co_ci_u32_e32 v107, vcc_lo, v79, v107, vcc_lo
	flat_load_b32 v106, v[106:107]
	s_waitcnt vmcnt(0) lgkmcnt(0)
	v_mul_f32_e32 v106, s7, v106
	s_branch .LBB65_71
.LBB65_70:
	v_mov_b32_e32 v106, 0
.LBB65_71:
	v_add_f32_e32 v107, v17, v73
	v_add_f32_e32 v115, v16, v72
	;; [unrolled: 1-line block ×4, first 2 shown]
	s_delay_alu instid0(VALU_DEP_3) | instskip(SKIP_1) | instid1(VALU_DEP_3)
	v_min3_f32 v107, v115, v107, v155
	v_lshlrev_b64 v[155:156], 2, v[80:81]
	v_min_f32_e32 v115, v119, v117
	s_delay_alu instid0(VALU_DEP_1) | instskip(NEXT) | instid1(VALU_DEP_3)
	v_min3_f32 v115, v106, v115, v107
	v_add_co_u32 v106, vcc_lo, v76, v155
	s_delay_alu instid0(VALU_DEP_4) | instskip(SKIP_3) | instid1(SALU_CYCLE_1)
	v_add_co_ci_u32_e32 v107, vcc_lo, v77, v156, vcc_lo
	global_store_b32 v[106:107], v115, off
	s_or_b32 exec_lo, exec_lo, s8
	s_and_b32 s14, s1, s4
	s_and_saveexec_b32 s8, s14
	s_cbranch_execz .LBB65_66
.LBB65_72:
	v_cmp_ne_u32_e32 vcc_lo, 1, v88
	s_cbranch_vccnz .LBB65_74
; %bb.73:
	v_lshlrev_b64 v[106:107], 2, v[82:83]
	s_delay_alu instid0(VALU_DEP_1) | instskip(NEXT) | instid1(VALU_DEP_2)
	v_add_co_u32 v106, vcc_lo, v78, v106
	v_add_co_ci_u32_e32 v107, vcc_lo, v79, v107, vcc_lo
	flat_load_b32 v106, v[106:107]
	s_waitcnt vmcnt(0) lgkmcnt(0)
	v_mul_f32_e32 v106, s7, v106
	s_branch .LBB65_75
.LBB65_74:
	v_mov_b32_e32 v106, 0
.LBB65_75:
	v_add_f32_e32 v107, v13, v73
	v_add_f32_e32 v115, v12, v72
	;; [unrolled: 1-line block ×4, first 2 shown]
	s_delay_alu instid0(VALU_DEP_3) | instskip(SKIP_1) | instid1(VALU_DEP_3)
	v_min3_f32 v107, v115, v107, v154
	v_lshlrev_b64 v[154:155], 2, v[82:83]
	v_min_f32_e32 v115, v119, v117
	s_delay_alu instid0(VALU_DEP_1) | instskip(NEXT) | instid1(VALU_DEP_3)
	v_min3_f32 v115, v106, v115, v107
	v_add_co_u32 v106, vcc_lo, v76, v154
	s_delay_alu instid0(VALU_DEP_4) | instskip(SKIP_3) | instid1(SALU_CYCLE_1)
	v_add_co_ci_u32_e32 v107, vcc_lo, v77, v155, vcc_lo
	global_store_b32 v[106:107], v115, off
	s_or_b32 exec_lo, exec_lo, s8
	s_and_b32 s14, s2, s4
	s_and_saveexec_b32 s8, s14
	s_cbranch_execz .LBB65_67
.LBB65_76:
	v_cmp_ne_u32_e32 vcc_lo, 1, v88
	s_cbranch_vccnz .LBB65_78
; %bb.77:
	v_lshlrev_b64 v[106:107], 2, v[84:85]
	s_delay_alu instid0(VALU_DEP_1) | instskip(NEXT) | instid1(VALU_DEP_2)
	v_add_co_u32 v106, vcc_lo, v78, v106
	v_add_co_ci_u32_e32 v107, vcc_lo, v79, v107, vcc_lo
	flat_load_b32 v106, v[106:107]
	s_waitcnt vmcnt(0) lgkmcnt(0)
	v_mul_f32_e32 v106, s7, v106
	s_branch .LBB65_79
.LBB65_78:
	v_mov_b32_e32 v106, 0
.LBB65_79:
	v_add_f32_e32 v107, v5, v73
	v_add_f32_e32 v115, v4, v72
	;; [unrolled: 1-line block ×4, first 2 shown]
	s_delay_alu instid0(VALU_DEP_3) | instskip(SKIP_1) | instid1(VALU_DEP_3)
	v_min3_f32 v107, v115, v107, v153
	v_lshlrev_b64 v[153:154], 2, v[84:85]
	v_min_f32_e32 v115, v119, v117
	s_delay_alu instid0(VALU_DEP_1) | instskip(NEXT) | instid1(VALU_DEP_3)
	v_min3_f32 v115, v106, v115, v107
	v_add_co_u32 v106, vcc_lo, v76, v153
	s_delay_alu instid0(VALU_DEP_4) | instskip(SKIP_3) | instid1(SALU_CYCLE_1)
	v_add_co_ci_u32_e32 v107, vcc_lo, v77, v154, vcc_lo
	global_store_b32 v[106:107], v115, off
	s_or_b32 exec_lo, exec_lo, s8
	s_and_b32 s8, s3, s4
	s_and_saveexec_b32 s4, s8
	s_cbranch_execz .LBB65_84
.LBB65_80:
	v_cmp_ne_u32_e32 vcc_lo, 1, v88
	s_cbranch_vccnz .LBB65_82
; %bb.81:
	v_lshlrev_b64 v[106:107], 2, v[86:87]
	s_delay_alu instid0(VALU_DEP_1) | instskip(NEXT) | instid1(VALU_DEP_2)
	v_add_co_u32 v78, vcc_lo, v78, v106
	v_add_co_ci_u32_e32 v79, vcc_lo, v79, v107, vcc_lo
	flat_load_b32 v78, v[78:79]
	s_waitcnt vmcnt(0) lgkmcnt(0)
	v_mul_f32_e32 v78, s7, v78
	s_branch .LBB65_83
.LBB65_82:
	v_mov_b32_e32 v78, 0
.LBB65_83:
	v_dual_add_f32 v73, v1, v73 :: v_dual_add_f32 v72, v0, v72
	v_dual_add_f32 v75, v3, v75 :: v_dual_add_f32 v74, v2, v74
	s_delay_alu instid0(VALU_DEP_2) | instskip(SKIP_1) | instid1(VALU_DEP_3)
	v_min3_f32 v79, v72, v73, v152
	v_lshlrev_b64 v[72:73], 2, v[86:87]
	v_min_f32_e32 v74, v74, v75
	s_delay_alu instid0(VALU_DEP_1) | instskip(NEXT) | instid1(VALU_DEP_3)
	v_min3_f32 v74, v78, v74, v79
	v_add_co_u32 v72, vcc_lo, v76, v72
	s_delay_alu instid0(VALU_DEP_4)
	v_add_co_ci_u32_e32 v73, vcc_lo, v77, v73, vcc_lo
	global_store_b32 v[72:73], v74, off
.LBB65_84:
	s_or_b32 exec_lo, exec_lo, s4
	v_add_nc_u32_e32 v76, 16, v89
	s_delay_alu instid0(VALU_DEP_1) | instskip(SKIP_2) | instid1(VALU_DEP_3)
	v_mad_i64_i32 v[72:73], null, v76, s6, 0
	v_mad_i64_i32 v[74:75], null, v76, s5, 0
	v_cmp_gt_i32_e64 s4, s9, v76
	v_lshlrev_b64 v[72:73], 2, v[72:73]
	s_delay_alu instid0(VALU_DEP_2) | instskip(NEXT) | instid1(VALU_DEP_3)
	s_and_b32 s14, s0, s4
	v_lshlrev_b64 v[76:77], 2, v[74:75]
	s_delay_alu instid0(VALU_DEP_2) | instskip(NEXT) | instid1(VALU_DEP_3)
	v_add_co_u32 v74, vcc_lo, s12, v72
	v_add_co_ci_u32_e32 v75, vcc_lo, s13, v73, vcc_lo
	s_delay_alu instid0(VALU_DEP_3) | instskip(NEXT) | instid1(VALU_DEP_4)
	v_add_co_u32 v72, vcc_lo, s10, v76
	v_add_co_ci_u32_e32 v73, vcc_lo, s11, v77, vcc_lo
	s_and_saveexec_b32 s8, s14
	s_cbranch_execnz .LBB65_88
; %bb.85:
	s_or_b32 exec_lo, exec_lo, s8
	s_and_b32 s14, s1, s4
	s_delay_alu instid0(SALU_CYCLE_1)
	s_and_saveexec_b32 s8, s14
	s_cbranch_execnz .LBB65_92
.LBB65_86:
	s_or_b32 exec_lo, exec_lo, s8
	s_and_b32 s14, s2, s4
	s_delay_alu instid0(SALU_CYCLE_1)
	s_and_saveexec_b32 s8, s14
	s_cbranch_execnz .LBB65_96
.LBB65_87:
	s_or_b32 exec_lo, exec_lo, s8
	s_and_b32 s8, s3, s4
	s_delay_alu instid0(SALU_CYCLE_1)
	s_and_saveexec_b32 s4, s8
	s_cbranch_execnz .LBB65_100
	s_branch .LBB65_104
.LBB65_88:
	v_cmp_ne_u32_e32 vcc_lo, 1, v88
	s_cbranch_vccnz .LBB65_90
; %bb.89:
	v_lshlrev_b64 v[76:77], 2, v[80:81]
	s_delay_alu instid0(VALU_DEP_1) | instskip(NEXT) | instid1(VALU_DEP_2)
	v_add_co_u32 v76, vcc_lo, v74, v76
	v_add_co_ci_u32_e32 v77, vcc_lo, v75, v77, vcc_lo
	flat_load_b32 v76, v[76:77]
	s_waitcnt vmcnt(0) lgkmcnt(0)
	v_mul_f32_e32 v76, s7, v76
	s_branch .LBB65_91
.LBB65_90:
	v_mov_b32_e32 v76, 0
.LBB65_91:
	v_dual_add_f32 v77, v17, v69 :: v_dual_add_f32 v78, v16, v68
	v_dual_add_f32 v79, v19, v71 :: v_dual_add_f32 v106, v18, v70
	s_delay_alu instid0(VALU_DEP_2) | instskip(SKIP_1) | instid1(VALU_DEP_3)
	v_min3_f32 v107, v78, v77, v151
	v_lshlrev_b64 v[77:78], 2, v[80:81]
	v_min_f32_e32 v79, v106, v79
	s_delay_alu instid0(VALU_DEP_1) | instskip(NEXT) | instid1(VALU_DEP_3)
	v_min3_f32 v79, v76, v79, v107
	v_add_co_u32 v76, vcc_lo, v72, v77
	s_delay_alu instid0(VALU_DEP_4) | instskip(SKIP_3) | instid1(SALU_CYCLE_1)
	v_add_co_ci_u32_e32 v77, vcc_lo, v73, v78, vcc_lo
	global_store_b32 v[76:77], v79, off
	s_or_b32 exec_lo, exec_lo, s8
	s_and_b32 s14, s1, s4
	s_and_saveexec_b32 s8, s14
	s_cbranch_execz .LBB65_86
.LBB65_92:
	v_cmp_ne_u32_e32 vcc_lo, 1, v88
	s_cbranch_vccnz .LBB65_94
; %bb.93:
	v_lshlrev_b64 v[76:77], 2, v[82:83]
	s_delay_alu instid0(VALU_DEP_1) | instskip(NEXT) | instid1(VALU_DEP_2)
	v_add_co_u32 v76, vcc_lo, v74, v76
	v_add_co_ci_u32_e32 v77, vcc_lo, v75, v77, vcc_lo
	flat_load_b32 v76, v[76:77]
	s_waitcnt vmcnt(0) lgkmcnt(0)
	v_mul_f32_e32 v76, s7, v76
	s_branch .LBB65_95
.LBB65_94:
	v_mov_b32_e32 v76, 0
.LBB65_95:
	v_dual_add_f32 v77, v13, v69 :: v_dual_add_f32 v78, v12, v68
	v_dual_add_f32 v79, v15, v71 :: v_dual_add_f32 v106, v14, v70
	s_delay_alu instid0(VALU_DEP_2) | instskip(SKIP_1) | instid1(VALU_DEP_3)
	v_min3_f32 v107, v78, v77, v150
	v_lshlrev_b64 v[77:78], 2, v[82:83]
	v_min_f32_e32 v79, v106, v79
	s_delay_alu instid0(VALU_DEP_1) | instskip(NEXT) | instid1(VALU_DEP_3)
	v_min3_f32 v79, v76, v79, v107
	v_add_co_u32 v76, vcc_lo, v72, v77
	s_delay_alu instid0(VALU_DEP_4) | instskip(SKIP_3) | instid1(SALU_CYCLE_1)
	v_add_co_ci_u32_e32 v77, vcc_lo, v73, v78, vcc_lo
	global_store_b32 v[76:77], v79, off
	s_or_b32 exec_lo, exec_lo, s8
	s_and_b32 s14, s2, s4
	s_and_saveexec_b32 s8, s14
	s_cbranch_execz .LBB65_87
.LBB65_96:
	v_cmp_ne_u32_e32 vcc_lo, 1, v88
	s_cbranch_vccnz .LBB65_98
; %bb.97:
	v_lshlrev_b64 v[76:77], 2, v[84:85]
	s_delay_alu instid0(VALU_DEP_1) | instskip(NEXT) | instid1(VALU_DEP_2)
	v_add_co_u32 v76, vcc_lo, v74, v76
	v_add_co_ci_u32_e32 v77, vcc_lo, v75, v77, vcc_lo
	flat_load_b32 v76, v[76:77]
	s_waitcnt vmcnt(0) lgkmcnt(0)
	v_mul_f32_e32 v76, s7, v76
	s_branch .LBB65_99
.LBB65_98:
	v_mov_b32_e32 v76, 0
.LBB65_99:
	v_dual_add_f32 v77, v5, v69 :: v_dual_add_f32 v78, v4, v68
	v_dual_add_f32 v79, v7, v71 :: v_dual_add_f32 v106, v6, v70
	s_delay_alu instid0(VALU_DEP_2) | instskip(SKIP_1) | instid1(VALU_DEP_3)
	v_min3_f32 v107, v78, v77, v149
	v_lshlrev_b64 v[77:78], 2, v[84:85]
	v_min_f32_e32 v79, v106, v79
	s_delay_alu instid0(VALU_DEP_1) | instskip(NEXT) | instid1(VALU_DEP_3)
	v_min3_f32 v79, v76, v79, v107
	v_add_co_u32 v76, vcc_lo, v72, v77
	s_delay_alu instid0(VALU_DEP_4) | instskip(SKIP_3) | instid1(SALU_CYCLE_1)
	v_add_co_ci_u32_e32 v77, vcc_lo, v73, v78, vcc_lo
	global_store_b32 v[76:77], v79, off
	s_or_b32 exec_lo, exec_lo, s8
	s_and_b32 s8, s3, s4
	s_and_saveexec_b32 s4, s8
	s_cbranch_execz .LBB65_104
.LBB65_100:
	v_cmp_ne_u32_e32 vcc_lo, 1, v88
	s_cbranch_vccnz .LBB65_102
; %bb.101:
	v_lshlrev_b64 v[76:77], 2, v[86:87]
	s_delay_alu instid0(VALU_DEP_1) | instskip(NEXT) | instid1(VALU_DEP_2)
	v_add_co_u32 v74, vcc_lo, v74, v76
	v_add_co_ci_u32_e32 v75, vcc_lo, v75, v77, vcc_lo
	flat_load_b32 v74, v[74:75]
	s_waitcnt vmcnt(0) lgkmcnt(0)
	v_mul_f32_e32 v74, s7, v74
	s_branch .LBB65_103
.LBB65_102:
	v_mov_b32_e32 v74, 0
.LBB65_103:
	v_dual_add_f32 v69, v1, v69 :: v_dual_add_f32 v68, v0, v68
	v_dual_add_f32 v71, v3, v71 :: v_dual_add_f32 v70, v2, v70
	s_delay_alu instid0(VALU_DEP_2) | instskip(SKIP_1) | instid1(VALU_DEP_3)
	v_min3_f32 v75, v68, v69, v148
	v_lshlrev_b64 v[68:69], 2, v[86:87]
	v_min_f32_e32 v70, v70, v71
	s_delay_alu instid0(VALU_DEP_1) | instskip(NEXT) | instid1(VALU_DEP_3)
	v_min3_f32 v70, v74, v70, v75
	v_add_co_u32 v68, vcc_lo, v72, v68
	s_delay_alu instid0(VALU_DEP_4)
	v_add_co_ci_u32_e32 v69, vcc_lo, v73, v69, vcc_lo
	global_store_b32 v[68:69], v70, off
.LBB65_104:
	s_or_b32 exec_lo, exec_lo, s4
	v_add_nc_u32_e32 v72, 24, v89
	s_delay_alu instid0(VALU_DEP_1) | instskip(SKIP_2) | instid1(VALU_DEP_3)
	v_mad_i64_i32 v[68:69], null, v72, s6, 0
	v_mad_i64_i32 v[70:71], null, v72, s5, 0
	v_cmp_gt_i32_e64 s4, s9, v72
	v_lshlrev_b64 v[68:69], 2, v[68:69]
	s_delay_alu instid0(VALU_DEP_2) | instskip(NEXT) | instid1(VALU_DEP_3)
	s_and_b32 s14, s0, s4
	v_lshlrev_b64 v[72:73], 2, v[70:71]
	s_delay_alu instid0(VALU_DEP_2) | instskip(NEXT) | instid1(VALU_DEP_3)
	v_add_co_u32 v70, vcc_lo, s12, v68
	v_add_co_ci_u32_e32 v71, vcc_lo, s13, v69, vcc_lo
	s_delay_alu instid0(VALU_DEP_3) | instskip(NEXT) | instid1(VALU_DEP_4)
	v_add_co_u32 v68, vcc_lo, s10, v72
	v_add_co_ci_u32_e32 v69, vcc_lo, s11, v73, vcc_lo
	s_and_saveexec_b32 s8, s14
	s_cbranch_execnz .LBB65_108
; %bb.105:
	s_or_b32 exec_lo, exec_lo, s8
	s_and_b32 s14, s1, s4
	s_delay_alu instid0(SALU_CYCLE_1)
	s_and_saveexec_b32 s8, s14
	s_cbranch_execnz .LBB65_112
.LBB65_106:
	s_or_b32 exec_lo, exec_lo, s8
	s_and_b32 s14, s2, s4
	s_delay_alu instid0(SALU_CYCLE_1)
	s_and_saveexec_b32 s8, s14
	s_cbranch_execnz .LBB65_116
.LBB65_107:
	s_or_b32 exec_lo, exec_lo, s8
	s_and_b32 s8, s3, s4
	s_delay_alu instid0(SALU_CYCLE_1)
	s_and_saveexec_b32 s4, s8
	s_cbranch_execnz .LBB65_120
	s_branch .LBB65_124
.LBB65_108:
	v_cmp_ne_u32_e32 vcc_lo, 1, v88
	s_cbranch_vccnz .LBB65_110
; %bb.109:
	v_lshlrev_b64 v[72:73], 2, v[80:81]
	s_delay_alu instid0(VALU_DEP_1) | instskip(NEXT) | instid1(VALU_DEP_2)
	v_add_co_u32 v72, vcc_lo, v70, v72
	v_add_co_ci_u32_e32 v73, vcc_lo, v71, v73, vcc_lo
	flat_load_b32 v72, v[72:73]
	s_waitcnt vmcnt(0) lgkmcnt(0)
	v_mul_f32_e32 v72, s7, v72
	s_branch .LBB65_111
.LBB65_110:
	v_mov_b32_e32 v72, 0
.LBB65_111:
	v_dual_add_f32 v73, v17, v65 :: v_dual_add_f32 v74, v16, v64
	v_dual_add_f32 v75, v19, v67 :: v_dual_add_f32 v76, v18, v66
	s_delay_alu instid0(VALU_DEP_2) | instskip(SKIP_1) | instid1(VALU_DEP_3)
	v_min3_f32 v77, v74, v73, v147
	v_lshlrev_b64 v[73:74], 2, v[80:81]
	v_min_f32_e32 v75, v76, v75
	s_delay_alu instid0(VALU_DEP_1) | instskip(NEXT) | instid1(VALU_DEP_3)
	v_min3_f32 v75, v72, v75, v77
	v_add_co_u32 v72, vcc_lo, v68, v73
	s_delay_alu instid0(VALU_DEP_4) | instskip(SKIP_3) | instid1(SALU_CYCLE_1)
	v_add_co_ci_u32_e32 v73, vcc_lo, v69, v74, vcc_lo
	global_store_b32 v[72:73], v75, off
	s_or_b32 exec_lo, exec_lo, s8
	s_and_b32 s14, s1, s4
	s_and_saveexec_b32 s8, s14
	s_cbranch_execz .LBB65_106
.LBB65_112:
	v_cmp_ne_u32_e32 vcc_lo, 1, v88
	s_cbranch_vccnz .LBB65_114
; %bb.113:
	v_lshlrev_b64 v[72:73], 2, v[82:83]
	s_delay_alu instid0(VALU_DEP_1) | instskip(NEXT) | instid1(VALU_DEP_2)
	v_add_co_u32 v72, vcc_lo, v70, v72
	v_add_co_ci_u32_e32 v73, vcc_lo, v71, v73, vcc_lo
	flat_load_b32 v72, v[72:73]
	s_waitcnt vmcnt(0) lgkmcnt(0)
	v_mul_f32_e32 v72, s7, v72
	s_branch .LBB65_115
.LBB65_114:
	v_mov_b32_e32 v72, 0
.LBB65_115:
	v_dual_add_f32 v73, v13, v65 :: v_dual_add_f32 v74, v12, v64
	v_dual_add_f32 v75, v15, v67 :: v_dual_add_f32 v76, v14, v66
	s_delay_alu instid0(VALU_DEP_2) | instskip(SKIP_1) | instid1(VALU_DEP_3)
	v_min3_f32 v77, v74, v73, v146
	v_lshlrev_b64 v[73:74], 2, v[82:83]
	v_min_f32_e32 v75, v76, v75
	s_delay_alu instid0(VALU_DEP_1) | instskip(NEXT) | instid1(VALU_DEP_3)
	v_min3_f32 v75, v72, v75, v77
	v_add_co_u32 v72, vcc_lo, v68, v73
	s_delay_alu instid0(VALU_DEP_4) | instskip(SKIP_3) | instid1(SALU_CYCLE_1)
	v_add_co_ci_u32_e32 v73, vcc_lo, v69, v74, vcc_lo
	global_store_b32 v[72:73], v75, off
	s_or_b32 exec_lo, exec_lo, s8
	s_and_b32 s14, s2, s4
	s_and_saveexec_b32 s8, s14
	s_cbranch_execz .LBB65_107
.LBB65_116:
	v_cmp_ne_u32_e32 vcc_lo, 1, v88
	s_cbranch_vccnz .LBB65_118
; %bb.117:
	v_lshlrev_b64 v[72:73], 2, v[84:85]
	s_delay_alu instid0(VALU_DEP_1) | instskip(NEXT) | instid1(VALU_DEP_2)
	v_add_co_u32 v72, vcc_lo, v70, v72
	v_add_co_ci_u32_e32 v73, vcc_lo, v71, v73, vcc_lo
	flat_load_b32 v72, v[72:73]
	s_waitcnt vmcnt(0) lgkmcnt(0)
	v_mul_f32_e32 v72, s7, v72
	s_branch .LBB65_119
.LBB65_118:
	v_mov_b32_e32 v72, 0
.LBB65_119:
	v_dual_add_f32 v73, v5, v65 :: v_dual_add_f32 v74, v4, v64
	v_dual_add_f32 v75, v7, v67 :: v_dual_add_f32 v76, v6, v66
	s_delay_alu instid0(VALU_DEP_2) | instskip(SKIP_1) | instid1(VALU_DEP_3)
	v_min3_f32 v77, v74, v73, v145
	v_lshlrev_b64 v[73:74], 2, v[84:85]
	v_min_f32_e32 v75, v76, v75
	s_delay_alu instid0(VALU_DEP_1) | instskip(NEXT) | instid1(VALU_DEP_3)
	v_min3_f32 v75, v72, v75, v77
	v_add_co_u32 v72, vcc_lo, v68, v73
	s_delay_alu instid0(VALU_DEP_4) | instskip(SKIP_3) | instid1(SALU_CYCLE_1)
	v_add_co_ci_u32_e32 v73, vcc_lo, v69, v74, vcc_lo
	global_store_b32 v[72:73], v75, off
	s_or_b32 exec_lo, exec_lo, s8
	s_and_b32 s8, s3, s4
	s_and_saveexec_b32 s4, s8
	s_cbranch_execz .LBB65_124
.LBB65_120:
	v_cmp_ne_u32_e32 vcc_lo, 1, v88
	s_cbranch_vccnz .LBB65_122
; %bb.121:
	v_lshlrev_b64 v[72:73], 2, v[86:87]
	s_delay_alu instid0(VALU_DEP_1) | instskip(NEXT) | instid1(VALU_DEP_2)
	v_add_co_u32 v70, vcc_lo, v70, v72
	v_add_co_ci_u32_e32 v71, vcc_lo, v71, v73, vcc_lo
	flat_load_b32 v70, v[70:71]
	s_waitcnt vmcnt(0) lgkmcnt(0)
	v_mul_f32_e32 v70, s7, v70
	s_branch .LBB65_123
.LBB65_122:
	v_mov_b32_e32 v70, 0
.LBB65_123:
	v_dual_add_f32 v65, v1, v65 :: v_dual_add_f32 v64, v0, v64
	v_dual_add_f32 v67, v3, v67 :: v_dual_add_f32 v66, v2, v66
	s_delay_alu instid0(VALU_DEP_2) | instskip(SKIP_1) | instid1(VALU_DEP_3)
	v_min3_f32 v71, v64, v65, v144
	v_lshlrev_b64 v[64:65], 2, v[86:87]
	v_min_f32_e32 v66, v66, v67
	s_delay_alu instid0(VALU_DEP_1) | instskip(NEXT) | instid1(VALU_DEP_3)
	v_min3_f32 v66, v70, v66, v71
	v_add_co_u32 v64, vcc_lo, v68, v64
	s_delay_alu instid0(VALU_DEP_4)
	v_add_co_ci_u32_e32 v65, vcc_lo, v69, v65, vcc_lo
	global_store_b32 v[64:65], v66, off
.LBB65_124:
	s_or_b32 exec_lo, exec_lo, s4
	v_add_nc_u32_e32 v68, 32, v89
	s_delay_alu instid0(VALU_DEP_1) | instskip(SKIP_2) | instid1(VALU_DEP_3)
	v_mad_i64_i32 v[64:65], null, v68, s6, 0
	v_mad_i64_i32 v[66:67], null, v68, s5, 0
	v_cmp_gt_i32_e64 s4, s9, v68
	v_lshlrev_b64 v[64:65], 2, v[64:65]
	s_delay_alu instid0(VALU_DEP_2) | instskip(NEXT) | instid1(VALU_DEP_3)
	s_and_b32 s14, s0, s4
	v_lshlrev_b64 v[68:69], 2, v[66:67]
	s_delay_alu instid0(VALU_DEP_2) | instskip(NEXT) | instid1(VALU_DEP_3)
	v_add_co_u32 v66, vcc_lo, s12, v64
	v_add_co_ci_u32_e32 v67, vcc_lo, s13, v65, vcc_lo
	s_delay_alu instid0(VALU_DEP_3) | instskip(NEXT) | instid1(VALU_DEP_4)
	v_add_co_u32 v64, vcc_lo, s10, v68
	v_add_co_ci_u32_e32 v65, vcc_lo, s11, v69, vcc_lo
	s_and_saveexec_b32 s8, s14
	s_cbranch_execnz .LBB65_128
; %bb.125:
	s_or_b32 exec_lo, exec_lo, s8
	s_and_b32 s14, s1, s4
	s_delay_alu instid0(SALU_CYCLE_1)
	s_and_saveexec_b32 s8, s14
	s_cbranch_execnz .LBB65_132
.LBB65_126:
	s_or_b32 exec_lo, exec_lo, s8
	s_and_b32 s14, s2, s4
	s_delay_alu instid0(SALU_CYCLE_1)
	s_and_saveexec_b32 s8, s14
	s_cbranch_execnz .LBB65_136
.LBB65_127:
	s_or_b32 exec_lo, exec_lo, s8
	s_and_b32 s8, s3, s4
	s_delay_alu instid0(SALU_CYCLE_1)
	s_and_saveexec_b32 s4, s8
	s_cbranch_execnz .LBB65_140
	s_branch .LBB65_144
.LBB65_128:
	v_cmp_ne_u32_e32 vcc_lo, 1, v88
	s_cbranch_vccnz .LBB65_130
; %bb.129:
	v_lshlrev_b64 v[68:69], 2, v[80:81]
	s_delay_alu instid0(VALU_DEP_1) | instskip(NEXT) | instid1(VALU_DEP_2)
	v_add_co_u32 v68, vcc_lo, v66, v68
	v_add_co_ci_u32_e32 v69, vcc_lo, v67, v69, vcc_lo
	flat_load_b32 v68, v[68:69]
	s_waitcnt vmcnt(0) lgkmcnt(0)
	v_mul_f32_e32 v68, s7, v68
	s_branch .LBB65_131
.LBB65_130:
	v_mov_b32_e32 v68, 0
.LBB65_131:
	v_dual_add_f32 v69, v17, v61 :: v_dual_add_f32 v70, v16, v60
	v_dual_add_f32 v71, v19, v63 :: v_dual_add_f32 v72, v18, v62
	s_delay_alu instid0(VALU_DEP_2) | instskip(SKIP_1) | instid1(VALU_DEP_3)
	v_min3_f32 v73, v70, v69, v143
	v_lshlrev_b64 v[69:70], 2, v[80:81]
	v_min_f32_e32 v71, v72, v71
	s_delay_alu instid0(VALU_DEP_1) | instskip(NEXT) | instid1(VALU_DEP_3)
	v_min3_f32 v71, v68, v71, v73
	v_add_co_u32 v68, vcc_lo, v64, v69
	s_delay_alu instid0(VALU_DEP_4) | instskip(SKIP_3) | instid1(SALU_CYCLE_1)
	v_add_co_ci_u32_e32 v69, vcc_lo, v65, v70, vcc_lo
	global_store_b32 v[68:69], v71, off
	s_or_b32 exec_lo, exec_lo, s8
	s_and_b32 s14, s1, s4
	s_and_saveexec_b32 s8, s14
	s_cbranch_execz .LBB65_126
.LBB65_132:
	v_cmp_ne_u32_e32 vcc_lo, 1, v88
	s_cbranch_vccnz .LBB65_134
; %bb.133:
	v_lshlrev_b64 v[68:69], 2, v[82:83]
	s_delay_alu instid0(VALU_DEP_1) | instskip(NEXT) | instid1(VALU_DEP_2)
	v_add_co_u32 v68, vcc_lo, v66, v68
	v_add_co_ci_u32_e32 v69, vcc_lo, v67, v69, vcc_lo
	flat_load_b32 v68, v[68:69]
	s_waitcnt vmcnt(0) lgkmcnt(0)
	v_mul_f32_e32 v68, s7, v68
	s_branch .LBB65_135
.LBB65_134:
	v_mov_b32_e32 v68, 0
.LBB65_135:
	v_dual_add_f32 v69, v13, v61 :: v_dual_add_f32 v70, v12, v60
	v_dual_add_f32 v71, v15, v63 :: v_dual_add_f32 v72, v14, v62
	s_delay_alu instid0(VALU_DEP_2) | instskip(SKIP_1) | instid1(VALU_DEP_3)
	v_min3_f32 v73, v70, v69, v142
	v_lshlrev_b64 v[69:70], 2, v[82:83]
	v_min_f32_e32 v71, v72, v71
	s_delay_alu instid0(VALU_DEP_1) | instskip(NEXT) | instid1(VALU_DEP_3)
	v_min3_f32 v71, v68, v71, v73
	v_add_co_u32 v68, vcc_lo, v64, v69
	s_delay_alu instid0(VALU_DEP_4) | instskip(SKIP_3) | instid1(SALU_CYCLE_1)
	v_add_co_ci_u32_e32 v69, vcc_lo, v65, v70, vcc_lo
	global_store_b32 v[68:69], v71, off
	s_or_b32 exec_lo, exec_lo, s8
	s_and_b32 s14, s2, s4
	s_and_saveexec_b32 s8, s14
	s_cbranch_execz .LBB65_127
.LBB65_136:
	v_cmp_ne_u32_e32 vcc_lo, 1, v88
	s_cbranch_vccnz .LBB65_138
; %bb.137:
	v_lshlrev_b64 v[68:69], 2, v[84:85]
	s_delay_alu instid0(VALU_DEP_1) | instskip(NEXT) | instid1(VALU_DEP_2)
	v_add_co_u32 v68, vcc_lo, v66, v68
	v_add_co_ci_u32_e32 v69, vcc_lo, v67, v69, vcc_lo
	flat_load_b32 v68, v[68:69]
	s_waitcnt vmcnt(0) lgkmcnt(0)
	v_mul_f32_e32 v68, s7, v68
	s_branch .LBB65_139
.LBB65_138:
	v_mov_b32_e32 v68, 0
.LBB65_139:
	v_dual_add_f32 v69, v5, v61 :: v_dual_add_f32 v70, v4, v60
	v_dual_add_f32 v71, v7, v63 :: v_dual_add_f32 v72, v6, v62
	s_delay_alu instid0(VALU_DEP_2) | instskip(SKIP_1) | instid1(VALU_DEP_3)
	v_min3_f32 v73, v70, v69, v141
	v_lshlrev_b64 v[69:70], 2, v[84:85]
	v_min_f32_e32 v71, v72, v71
	s_delay_alu instid0(VALU_DEP_1) | instskip(NEXT) | instid1(VALU_DEP_3)
	v_min3_f32 v71, v68, v71, v73
	v_add_co_u32 v68, vcc_lo, v64, v69
	s_delay_alu instid0(VALU_DEP_4) | instskip(SKIP_3) | instid1(SALU_CYCLE_1)
	v_add_co_ci_u32_e32 v69, vcc_lo, v65, v70, vcc_lo
	global_store_b32 v[68:69], v71, off
	s_or_b32 exec_lo, exec_lo, s8
	s_and_b32 s8, s3, s4
	s_and_saveexec_b32 s4, s8
	s_cbranch_execz .LBB65_144
.LBB65_140:
	v_cmp_ne_u32_e32 vcc_lo, 1, v88
	s_cbranch_vccnz .LBB65_142
; %bb.141:
	v_lshlrev_b64 v[68:69], 2, v[86:87]
	s_delay_alu instid0(VALU_DEP_1) | instskip(NEXT) | instid1(VALU_DEP_2)
	v_add_co_u32 v66, vcc_lo, v66, v68
	v_add_co_ci_u32_e32 v67, vcc_lo, v67, v69, vcc_lo
	flat_load_b32 v66, v[66:67]
	s_waitcnt vmcnt(0) lgkmcnt(0)
	v_mul_f32_e32 v66, s7, v66
	s_branch .LBB65_143
.LBB65_142:
	v_mov_b32_e32 v66, 0
.LBB65_143:
	v_dual_add_f32 v61, v1, v61 :: v_dual_add_f32 v60, v0, v60
	v_dual_add_f32 v63, v3, v63 :: v_dual_add_f32 v62, v2, v62
	s_delay_alu instid0(VALU_DEP_2) | instskip(SKIP_1) | instid1(VALU_DEP_3)
	v_min3_f32 v67, v60, v61, v140
	v_lshlrev_b64 v[60:61], 2, v[86:87]
	v_min_f32_e32 v62, v62, v63
	s_delay_alu instid0(VALU_DEP_1) | instskip(NEXT) | instid1(VALU_DEP_3)
	v_min3_f32 v62, v66, v62, v67
	v_add_co_u32 v60, vcc_lo, v64, v60
	s_delay_alu instid0(VALU_DEP_4)
	v_add_co_ci_u32_e32 v61, vcc_lo, v65, v61, vcc_lo
	global_store_b32 v[60:61], v62, off
.LBB65_144:
	s_or_b32 exec_lo, exec_lo, s4
	v_add_nc_u32_e32 v64, 40, v89
	s_delay_alu instid0(VALU_DEP_1) | instskip(SKIP_2) | instid1(VALU_DEP_3)
	v_mad_i64_i32 v[60:61], null, v64, s6, 0
	v_mad_i64_i32 v[62:63], null, v64, s5, 0
	v_cmp_gt_i32_e64 s4, s9, v64
	v_lshlrev_b64 v[60:61], 2, v[60:61]
	s_delay_alu instid0(VALU_DEP_2) | instskip(NEXT) | instid1(VALU_DEP_3)
	s_and_b32 s14, s0, s4
	v_lshlrev_b64 v[64:65], 2, v[62:63]
	s_delay_alu instid0(VALU_DEP_2) | instskip(NEXT) | instid1(VALU_DEP_3)
	v_add_co_u32 v62, vcc_lo, s12, v60
	v_add_co_ci_u32_e32 v63, vcc_lo, s13, v61, vcc_lo
	s_delay_alu instid0(VALU_DEP_3) | instskip(NEXT) | instid1(VALU_DEP_4)
	v_add_co_u32 v60, vcc_lo, s10, v64
	v_add_co_ci_u32_e32 v61, vcc_lo, s11, v65, vcc_lo
	s_and_saveexec_b32 s8, s14
	s_cbranch_execnz .LBB65_148
; %bb.145:
	s_or_b32 exec_lo, exec_lo, s8
	s_and_b32 s14, s1, s4
	s_delay_alu instid0(SALU_CYCLE_1)
	s_and_saveexec_b32 s8, s14
	s_cbranch_execnz .LBB65_152
.LBB65_146:
	s_or_b32 exec_lo, exec_lo, s8
	s_and_b32 s14, s2, s4
	s_delay_alu instid0(SALU_CYCLE_1)
	s_and_saveexec_b32 s8, s14
	s_cbranch_execnz .LBB65_156
.LBB65_147:
	s_or_b32 exec_lo, exec_lo, s8
	s_and_b32 s8, s3, s4
	s_delay_alu instid0(SALU_CYCLE_1)
	s_and_saveexec_b32 s4, s8
	s_cbranch_execnz .LBB65_160
	s_branch .LBB65_164
.LBB65_148:
	v_cmp_ne_u32_e32 vcc_lo, 1, v88
	s_cbranch_vccnz .LBB65_150
; %bb.149:
	v_lshlrev_b64 v[64:65], 2, v[80:81]
	s_delay_alu instid0(VALU_DEP_1) | instskip(NEXT) | instid1(VALU_DEP_2)
	v_add_co_u32 v64, vcc_lo, v62, v64
	v_add_co_ci_u32_e32 v65, vcc_lo, v63, v65, vcc_lo
	flat_load_b32 v64, v[64:65]
	s_waitcnt vmcnt(0) lgkmcnt(0)
	v_mul_f32_e32 v64, s7, v64
	s_branch .LBB65_151
.LBB65_150:
	v_mov_b32_e32 v64, 0
.LBB65_151:
	v_dual_add_f32 v65, v17, v57 :: v_dual_add_f32 v66, v16, v56
	v_dual_add_f32 v67, v19, v59 :: v_dual_add_f32 v68, v18, v58
	s_delay_alu instid0(VALU_DEP_2) | instskip(SKIP_1) | instid1(VALU_DEP_3)
	v_min3_f32 v69, v66, v65, v139
	v_lshlrev_b64 v[65:66], 2, v[80:81]
	v_min_f32_e32 v67, v68, v67
	s_delay_alu instid0(VALU_DEP_1) | instskip(NEXT) | instid1(VALU_DEP_3)
	v_min3_f32 v67, v64, v67, v69
	v_add_co_u32 v64, vcc_lo, v60, v65
	s_delay_alu instid0(VALU_DEP_4) | instskip(SKIP_3) | instid1(SALU_CYCLE_1)
	v_add_co_ci_u32_e32 v65, vcc_lo, v61, v66, vcc_lo
	global_store_b32 v[64:65], v67, off
	s_or_b32 exec_lo, exec_lo, s8
	s_and_b32 s14, s1, s4
	s_and_saveexec_b32 s8, s14
	s_cbranch_execz .LBB65_146
.LBB65_152:
	v_cmp_ne_u32_e32 vcc_lo, 1, v88
	s_cbranch_vccnz .LBB65_154
; %bb.153:
	v_lshlrev_b64 v[64:65], 2, v[82:83]
	s_delay_alu instid0(VALU_DEP_1) | instskip(NEXT) | instid1(VALU_DEP_2)
	v_add_co_u32 v64, vcc_lo, v62, v64
	v_add_co_ci_u32_e32 v65, vcc_lo, v63, v65, vcc_lo
	flat_load_b32 v64, v[64:65]
	s_waitcnt vmcnt(0) lgkmcnt(0)
	v_mul_f32_e32 v64, s7, v64
	s_branch .LBB65_155
.LBB65_154:
	v_mov_b32_e32 v64, 0
.LBB65_155:
	v_dual_add_f32 v65, v13, v57 :: v_dual_add_f32 v66, v12, v56
	v_dual_add_f32 v67, v15, v59 :: v_dual_add_f32 v68, v14, v58
	s_delay_alu instid0(VALU_DEP_2) | instskip(SKIP_1) | instid1(VALU_DEP_3)
	v_min3_f32 v69, v66, v65, v138
	v_lshlrev_b64 v[65:66], 2, v[82:83]
	v_min_f32_e32 v67, v68, v67
	s_delay_alu instid0(VALU_DEP_1) | instskip(NEXT) | instid1(VALU_DEP_3)
	v_min3_f32 v67, v64, v67, v69
	v_add_co_u32 v64, vcc_lo, v60, v65
	s_delay_alu instid0(VALU_DEP_4) | instskip(SKIP_3) | instid1(SALU_CYCLE_1)
	v_add_co_ci_u32_e32 v65, vcc_lo, v61, v66, vcc_lo
	global_store_b32 v[64:65], v67, off
	s_or_b32 exec_lo, exec_lo, s8
	s_and_b32 s14, s2, s4
	s_and_saveexec_b32 s8, s14
	s_cbranch_execz .LBB65_147
.LBB65_156:
	v_cmp_ne_u32_e32 vcc_lo, 1, v88
	s_cbranch_vccnz .LBB65_158
; %bb.157:
	v_lshlrev_b64 v[64:65], 2, v[84:85]
	s_delay_alu instid0(VALU_DEP_1) | instskip(NEXT) | instid1(VALU_DEP_2)
	v_add_co_u32 v64, vcc_lo, v62, v64
	v_add_co_ci_u32_e32 v65, vcc_lo, v63, v65, vcc_lo
	flat_load_b32 v64, v[64:65]
	s_waitcnt vmcnt(0) lgkmcnt(0)
	v_mul_f32_e32 v64, s7, v64
	s_branch .LBB65_159
.LBB65_158:
	v_mov_b32_e32 v64, 0
.LBB65_159:
	v_dual_add_f32 v65, v5, v57 :: v_dual_add_f32 v66, v4, v56
	v_dual_add_f32 v67, v7, v59 :: v_dual_add_f32 v68, v6, v58
	s_delay_alu instid0(VALU_DEP_2) | instskip(SKIP_1) | instid1(VALU_DEP_3)
	v_min3_f32 v69, v66, v65, v137
	v_lshlrev_b64 v[65:66], 2, v[84:85]
	v_min_f32_e32 v67, v68, v67
	s_delay_alu instid0(VALU_DEP_1) | instskip(NEXT) | instid1(VALU_DEP_3)
	v_min3_f32 v67, v64, v67, v69
	v_add_co_u32 v64, vcc_lo, v60, v65
	s_delay_alu instid0(VALU_DEP_4) | instskip(SKIP_3) | instid1(SALU_CYCLE_1)
	v_add_co_ci_u32_e32 v65, vcc_lo, v61, v66, vcc_lo
	global_store_b32 v[64:65], v67, off
	s_or_b32 exec_lo, exec_lo, s8
	s_and_b32 s8, s3, s4
	s_and_saveexec_b32 s4, s8
	s_cbranch_execz .LBB65_164
.LBB65_160:
	v_cmp_ne_u32_e32 vcc_lo, 1, v88
	s_cbranch_vccnz .LBB65_162
; %bb.161:
	v_lshlrev_b64 v[64:65], 2, v[86:87]
	s_delay_alu instid0(VALU_DEP_1) | instskip(NEXT) | instid1(VALU_DEP_2)
	v_add_co_u32 v62, vcc_lo, v62, v64
	v_add_co_ci_u32_e32 v63, vcc_lo, v63, v65, vcc_lo
	flat_load_b32 v62, v[62:63]
	s_waitcnt vmcnt(0) lgkmcnt(0)
	v_mul_f32_e32 v62, s7, v62
	s_branch .LBB65_163
.LBB65_162:
	v_mov_b32_e32 v62, 0
.LBB65_163:
	v_dual_add_f32 v57, v1, v57 :: v_dual_add_f32 v56, v0, v56
	v_dual_add_f32 v59, v3, v59 :: v_dual_add_f32 v58, v2, v58
	s_delay_alu instid0(VALU_DEP_2) | instskip(SKIP_1) | instid1(VALU_DEP_3)
	v_min3_f32 v63, v56, v57, v136
	v_lshlrev_b64 v[56:57], 2, v[86:87]
	v_min_f32_e32 v58, v58, v59
	s_delay_alu instid0(VALU_DEP_1) | instskip(NEXT) | instid1(VALU_DEP_3)
	v_min3_f32 v58, v62, v58, v63
	v_add_co_u32 v56, vcc_lo, v60, v56
	s_delay_alu instid0(VALU_DEP_4)
	v_add_co_ci_u32_e32 v57, vcc_lo, v61, v57, vcc_lo
	global_store_b32 v[56:57], v58, off
.LBB65_164:
	s_or_b32 exec_lo, exec_lo, s4
	v_add_nc_u32_e32 v60, 48, v89
	s_delay_alu instid0(VALU_DEP_1) | instskip(SKIP_2) | instid1(VALU_DEP_3)
	v_mad_i64_i32 v[56:57], null, v60, s6, 0
	v_mad_i64_i32 v[58:59], null, v60, s5, 0
	v_cmp_gt_i32_e64 s4, s9, v60
	v_lshlrev_b64 v[56:57], 2, v[56:57]
	s_delay_alu instid0(VALU_DEP_2) | instskip(NEXT) | instid1(VALU_DEP_3)
	s_and_b32 s14, s0, s4
	v_lshlrev_b64 v[60:61], 2, v[58:59]
	s_delay_alu instid0(VALU_DEP_2) | instskip(NEXT) | instid1(VALU_DEP_3)
	v_add_co_u32 v58, vcc_lo, s12, v56
	v_add_co_ci_u32_e32 v59, vcc_lo, s13, v57, vcc_lo
	s_delay_alu instid0(VALU_DEP_3) | instskip(NEXT) | instid1(VALU_DEP_4)
	v_add_co_u32 v56, vcc_lo, s10, v60
	v_add_co_ci_u32_e32 v57, vcc_lo, s11, v61, vcc_lo
	s_and_saveexec_b32 s8, s14
	s_cbranch_execnz .LBB65_168
; %bb.165:
	s_or_b32 exec_lo, exec_lo, s8
	s_and_b32 s14, s1, s4
	s_delay_alu instid0(SALU_CYCLE_1)
	s_and_saveexec_b32 s8, s14
	s_cbranch_execnz .LBB65_172
.LBB65_166:
	s_or_b32 exec_lo, exec_lo, s8
	s_and_b32 s14, s2, s4
	s_delay_alu instid0(SALU_CYCLE_1)
	s_and_saveexec_b32 s8, s14
	s_cbranch_execnz .LBB65_176
.LBB65_167:
	s_or_b32 exec_lo, exec_lo, s8
	s_and_b32 s8, s3, s4
	s_delay_alu instid0(SALU_CYCLE_1)
	s_and_saveexec_b32 s4, s8
	s_cbranch_execnz .LBB65_180
	s_branch .LBB65_184
.LBB65_168:
	v_cmp_ne_u32_e32 vcc_lo, 1, v88
	s_cbranch_vccnz .LBB65_170
; %bb.169:
	v_lshlrev_b64 v[60:61], 2, v[80:81]
	s_delay_alu instid0(VALU_DEP_1) | instskip(NEXT) | instid1(VALU_DEP_2)
	v_add_co_u32 v60, vcc_lo, v58, v60
	v_add_co_ci_u32_e32 v61, vcc_lo, v59, v61, vcc_lo
	flat_load_b32 v60, v[60:61]
	s_waitcnt vmcnt(0) lgkmcnt(0)
	v_mul_f32_e32 v60, s7, v60
	s_branch .LBB65_171
.LBB65_170:
	v_mov_b32_e32 v60, 0
.LBB65_171:
	v_dual_add_f32 v61, v17, v53 :: v_dual_add_f32 v62, v16, v52
	v_dual_add_f32 v63, v19, v55 :: v_dual_add_f32 v64, v18, v54
	s_delay_alu instid0(VALU_DEP_2) | instskip(SKIP_1) | instid1(VALU_DEP_3)
	v_min3_f32 v65, v62, v61, v135
	v_lshlrev_b64 v[61:62], 2, v[80:81]
	v_min_f32_e32 v63, v64, v63
	s_delay_alu instid0(VALU_DEP_1) | instskip(NEXT) | instid1(VALU_DEP_3)
	v_min3_f32 v63, v60, v63, v65
	v_add_co_u32 v60, vcc_lo, v56, v61
	s_delay_alu instid0(VALU_DEP_4) | instskip(SKIP_3) | instid1(SALU_CYCLE_1)
	v_add_co_ci_u32_e32 v61, vcc_lo, v57, v62, vcc_lo
	global_store_b32 v[60:61], v63, off
	s_or_b32 exec_lo, exec_lo, s8
	s_and_b32 s14, s1, s4
	s_and_saveexec_b32 s8, s14
	s_cbranch_execz .LBB65_166
.LBB65_172:
	v_cmp_ne_u32_e32 vcc_lo, 1, v88
	s_cbranch_vccnz .LBB65_174
; %bb.173:
	v_lshlrev_b64 v[60:61], 2, v[82:83]
	s_delay_alu instid0(VALU_DEP_1) | instskip(NEXT) | instid1(VALU_DEP_2)
	v_add_co_u32 v60, vcc_lo, v58, v60
	v_add_co_ci_u32_e32 v61, vcc_lo, v59, v61, vcc_lo
	flat_load_b32 v60, v[60:61]
	s_waitcnt vmcnt(0) lgkmcnt(0)
	v_mul_f32_e32 v60, s7, v60
	s_branch .LBB65_175
.LBB65_174:
	v_mov_b32_e32 v60, 0
.LBB65_175:
	v_dual_add_f32 v61, v13, v53 :: v_dual_add_f32 v62, v12, v52
	v_dual_add_f32 v63, v15, v55 :: v_dual_add_f32 v64, v14, v54
	s_delay_alu instid0(VALU_DEP_2) | instskip(SKIP_1) | instid1(VALU_DEP_3)
	v_min3_f32 v65, v62, v61, v134
	v_lshlrev_b64 v[61:62], 2, v[82:83]
	v_min_f32_e32 v63, v64, v63
	s_delay_alu instid0(VALU_DEP_1) | instskip(NEXT) | instid1(VALU_DEP_3)
	v_min3_f32 v63, v60, v63, v65
	v_add_co_u32 v60, vcc_lo, v56, v61
	s_delay_alu instid0(VALU_DEP_4) | instskip(SKIP_3) | instid1(SALU_CYCLE_1)
	v_add_co_ci_u32_e32 v61, vcc_lo, v57, v62, vcc_lo
	global_store_b32 v[60:61], v63, off
	s_or_b32 exec_lo, exec_lo, s8
	s_and_b32 s14, s2, s4
	s_and_saveexec_b32 s8, s14
	s_cbranch_execz .LBB65_167
.LBB65_176:
	v_cmp_ne_u32_e32 vcc_lo, 1, v88
	s_cbranch_vccnz .LBB65_178
; %bb.177:
	v_lshlrev_b64 v[60:61], 2, v[84:85]
	s_delay_alu instid0(VALU_DEP_1) | instskip(NEXT) | instid1(VALU_DEP_2)
	v_add_co_u32 v60, vcc_lo, v58, v60
	v_add_co_ci_u32_e32 v61, vcc_lo, v59, v61, vcc_lo
	flat_load_b32 v60, v[60:61]
	s_waitcnt vmcnt(0) lgkmcnt(0)
	v_mul_f32_e32 v60, s7, v60
	s_branch .LBB65_179
.LBB65_178:
	v_mov_b32_e32 v60, 0
.LBB65_179:
	v_dual_add_f32 v61, v5, v53 :: v_dual_add_f32 v62, v4, v52
	v_dual_add_f32 v63, v7, v55 :: v_dual_add_f32 v64, v6, v54
	s_delay_alu instid0(VALU_DEP_2) | instskip(SKIP_1) | instid1(VALU_DEP_3)
	v_min3_f32 v65, v62, v61, v133
	v_lshlrev_b64 v[61:62], 2, v[84:85]
	v_min_f32_e32 v63, v64, v63
	s_delay_alu instid0(VALU_DEP_1) | instskip(NEXT) | instid1(VALU_DEP_3)
	v_min3_f32 v63, v60, v63, v65
	v_add_co_u32 v60, vcc_lo, v56, v61
	s_delay_alu instid0(VALU_DEP_4) | instskip(SKIP_3) | instid1(SALU_CYCLE_1)
	v_add_co_ci_u32_e32 v61, vcc_lo, v57, v62, vcc_lo
	global_store_b32 v[60:61], v63, off
	s_or_b32 exec_lo, exec_lo, s8
	s_and_b32 s8, s3, s4
	s_and_saveexec_b32 s4, s8
	s_cbranch_execz .LBB65_184
.LBB65_180:
	v_cmp_ne_u32_e32 vcc_lo, 1, v88
	s_cbranch_vccnz .LBB65_182
; %bb.181:
	v_lshlrev_b64 v[60:61], 2, v[86:87]
	s_delay_alu instid0(VALU_DEP_1) | instskip(NEXT) | instid1(VALU_DEP_2)
	v_add_co_u32 v58, vcc_lo, v58, v60
	v_add_co_ci_u32_e32 v59, vcc_lo, v59, v61, vcc_lo
	flat_load_b32 v58, v[58:59]
	s_waitcnt vmcnt(0) lgkmcnt(0)
	v_mul_f32_e32 v58, s7, v58
	s_branch .LBB65_183
.LBB65_182:
	v_mov_b32_e32 v58, 0
.LBB65_183:
	v_dual_add_f32 v53, v1, v53 :: v_dual_add_f32 v52, v0, v52
	v_dual_add_f32 v55, v3, v55 :: v_dual_add_f32 v54, v2, v54
	s_delay_alu instid0(VALU_DEP_2) | instskip(SKIP_1) | instid1(VALU_DEP_3)
	v_min3_f32 v59, v52, v53, v132
	v_lshlrev_b64 v[52:53], 2, v[86:87]
	v_min_f32_e32 v54, v54, v55
	s_delay_alu instid0(VALU_DEP_1) | instskip(NEXT) | instid1(VALU_DEP_3)
	v_min3_f32 v54, v58, v54, v59
	v_add_co_u32 v52, vcc_lo, v56, v52
	s_delay_alu instid0(VALU_DEP_4)
	v_add_co_ci_u32_e32 v53, vcc_lo, v57, v53, vcc_lo
	global_store_b32 v[52:53], v54, off
.LBB65_184:
	s_or_b32 exec_lo, exec_lo, s4
	v_add_nc_u32_e32 v56, 56, v89
	s_delay_alu instid0(VALU_DEP_1) | instskip(SKIP_2) | instid1(VALU_DEP_3)
	v_mad_i64_i32 v[52:53], null, v56, s6, 0
	v_mad_i64_i32 v[54:55], null, v56, s5, 0
	v_cmp_gt_i32_e64 s4, s9, v56
	v_lshlrev_b64 v[52:53], 2, v[52:53]
	s_delay_alu instid0(VALU_DEP_2) | instskip(NEXT) | instid1(VALU_DEP_3)
	s_and_b32 s14, s0, s4
	v_lshlrev_b64 v[56:57], 2, v[54:55]
	s_delay_alu instid0(VALU_DEP_2) | instskip(NEXT) | instid1(VALU_DEP_3)
	v_add_co_u32 v54, vcc_lo, s12, v52
	v_add_co_ci_u32_e32 v55, vcc_lo, s13, v53, vcc_lo
	s_delay_alu instid0(VALU_DEP_3) | instskip(NEXT) | instid1(VALU_DEP_4)
	v_add_co_u32 v52, vcc_lo, s10, v56
	v_add_co_ci_u32_e32 v53, vcc_lo, s11, v57, vcc_lo
	s_and_saveexec_b32 s8, s14
	s_cbranch_execnz .LBB65_188
; %bb.185:
	s_or_b32 exec_lo, exec_lo, s8
	s_and_b32 s14, s1, s4
	s_delay_alu instid0(SALU_CYCLE_1)
	s_and_saveexec_b32 s8, s14
	s_cbranch_execnz .LBB65_192
.LBB65_186:
	s_or_b32 exec_lo, exec_lo, s8
	s_and_b32 s14, s2, s4
	s_delay_alu instid0(SALU_CYCLE_1)
	s_and_saveexec_b32 s8, s14
	s_cbranch_execnz .LBB65_196
.LBB65_187:
	s_or_b32 exec_lo, exec_lo, s8
	s_and_b32 s8, s3, s4
	s_delay_alu instid0(SALU_CYCLE_1)
	s_and_saveexec_b32 s4, s8
	s_cbranch_execnz .LBB65_200
	s_branch .LBB65_204
.LBB65_188:
	v_cmp_ne_u32_e32 vcc_lo, 1, v88
	s_cbranch_vccnz .LBB65_190
; %bb.189:
	v_lshlrev_b64 v[56:57], 2, v[80:81]
	s_delay_alu instid0(VALU_DEP_1) | instskip(NEXT) | instid1(VALU_DEP_2)
	v_add_co_u32 v56, vcc_lo, v54, v56
	v_add_co_ci_u32_e32 v57, vcc_lo, v55, v57, vcc_lo
	flat_load_b32 v56, v[56:57]
	s_waitcnt vmcnt(0) lgkmcnt(0)
	v_mul_f32_e32 v56, s7, v56
	s_branch .LBB65_191
.LBB65_190:
	v_mov_b32_e32 v56, 0
.LBB65_191:
	v_dual_add_f32 v57, v17, v49 :: v_dual_add_f32 v58, v16, v48
	v_dual_add_f32 v59, v19, v51 :: v_dual_add_f32 v60, v18, v50
	s_delay_alu instid0(VALU_DEP_2) | instskip(SKIP_1) | instid1(VALU_DEP_3)
	v_min3_f32 v61, v58, v57, v131
	v_lshlrev_b64 v[57:58], 2, v[80:81]
	v_min_f32_e32 v59, v60, v59
	s_delay_alu instid0(VALU_DEP_1) | instskip(NEXT) | instid1(VALU_DEP_3)
	v_min3_f32 v59, v56, v59, v61
	v_add_co_u32 v56, vcc_lo, v52, v57
	s_delay_alu instid0(VALU_DEP_4) | instskip(SKIP_3) | instid1(SALU_CYCLE_1)
	v_add_co_ci_u32_e32 v57, vcc_lo, v53, v58, vcc_lo
	global_store_b32 v[56:57], v59, off
	s_or_b32 exec_lo, exec_lo, s8
	s_and_b32 s14, s1, s4
	s_and_saveexec_b32 s8, s14
	s_cbranch_execz .LBB65_186
.LBB65_192:
	v_cmp_ne_u32_e32 vcc_lo, 1, v88
	s_cbranch_vccnz .LBB65_194
; %bb.193:
	v_lshlrev_b64 v[56:57], 2, v[82:83]
	s_delay_alu instid0(VALU_DEP_1) | instskip(NEXT) | instid1(VALU_DEP_2)
	v_add_co_u32 v56, vcc_lo, v54, v56
	v_add_co_ci_u32_e32 v57, vcc_lo, v55, v57, vcc_lo
	flat_load_b32 v56, v[56:57]
	s_waitcnt vmcnt(0) lgkmcnt(0)
	v_mul_f32_e32 v56, s7, v56
	s_branch .LBB65_195
.LBB65_194:
	v_mov_b32_e32 v56, 0
.LBB65_195:
	v_dual_add_f32 v57, v13, v49 :: v_dual_add_f32 v58, v12, v48
	v_dual_add_f32 v59, v15, v51 :: v_dual_add_f32 v60, v14, v50
	s_delay_alu instid0(VALU_DEP_2) | instskip(SKIP_1) | instid1(VALU_DEP_3)
	v_min3_f32 v61, v58, v57, v130
	v_lshlrev_b64 v[57:58], 2, v[82:83]
	v_min_f32_e32 v59, v60, v59
	s_delay_alu instid0(VALU_DEP_1) | instskip(NEXT) | instid1(VALU_DEP_3)
	v_min3_f32 v59, v56, v59, v61
	v_add_co_u32 v56, vcc_lo, v52, v57
	s_delay_alu instid0(VALU_DEP_4) | instskip(SKIP_3) | instid1(SALU_CYCLE_1)
	v_add_co_ci_u32_e32 v57, vcc_lo, v53, v58, vcc_lo
	global_store_b32 v[56:57], v59, off
	s_or_b32 exec_lo, exec_lo, s8
	s_and_b32 s14, s2, s4
	s_and_saveexec_b32 s8, s14
	s_cbranch_execz .LBB65_187
.LBB65_196:
	v_cmp_ne_u32_e32 vcc_lo, 1, v88
	s_cbranch_vccnz .LBB65_198
; %bb.197:
	v_lshlrev_b64 v[56:57], 2, v[84:85]
	s_delay_alu instid0(VALU_DEP_1) | instskip(NEXT) | instid1(VALU_DEP_2)
	v_add_co_u32 v56, vcc_lo, v54, v56
	v_add_co_ci_u32_e32 v57, vcc_lo, v55, v57, vcc_lo
	flat_load_b32 v56, v[56:57]
	s_waitcnt vmcnt(0) lgkmcnt(0)
	v_mul_f32_e32 v56, s7, v56
	s_branch .LBB65_199
.LBB65_198:
	v_mov_b32_e32 v56, 0
.LBB65_199:
	v_dual_add_f32 v57, v5, v49 :: v_dual_add_f32 v58, v4, v48
	v_dual_add_f32 v59, v7, v51 :: v_dual_add_f32 v60, v6, v50
	s_delay_alu instid0(VALU_DEP_2) | instskip(SKIP_1) | instid1(VALU_DEP_3)
	v_min3_f32 v61, v58, v57, v129
	v_lshlrev_b64 v[57:58], 2, v[84:85]
	v_min_f32_e32 v59, v60, v59
	s_delay_alu instid0(VALU_DEP_1) | instskip(NEXT) | instid1(VALU_DEP_3)
	v_min3_f32 v59, v56, v59, v61
	v_add_co_u32 v56, vcc_lo, v52, v57
	s_delay_alu instid0(VALU_DEP_4) | instskip(SKIP_3) | instid1(SALU_CYCLE_1)
	v_add_co_ci_u32_e32 v57, vcc_lo, v53, v58, vcc_lo
	global_store_b32 v[56:57], v59, off
	s_or_b32 exec_lo, exec_lo, s8
	s_and_b32 s8, s3, s4
	s_and_saveexec_b32 s4, s8
	s_cbranch_execz .LBB65_204
.LBB65_200:
	v_cmp_ne_u32_e32 vcc_lo, 1, v88
	s_cbranch_vccnz .LBB65_202
; %bb.201:
	v_lshlrev_b64 v[56:57], 2, v[86:87]
	s_delay_alu instid0(VALU_DEP_1) | instskip(NEXT) | instid1(VALU_DEP_2)
	v_add_co_u32 v54, vcc_lo, v54, v56
	v_add_co_ci_u32_e32 v55, vcc_lo, v55, v57, vcc_lo
	flat_load_b32 v54, v[54:55]
	s_waitcnt vmcnt(0) lgkmcnt(0)
	v_mul_f32_e32 v54, s7, v54
	s_branch .LBB65_203
.LBB65_202:
	v_mov_b32_e32 v54, 0
.LBB65_203:
	v_dual_add_f32 v49, v1, v49 :: v_dual_add_f32 v48, v0, v48
	v_dual_add_f32 v51, v3, v51 :: v_dual_add_f32 v50, v2, v50
	s_delay_alu instid0(VALU_DEP_2) | instskip(SKIP_1) | instid1(VALU_DEP_3)
	v_min3_f32 v55, v48, v49, v128
	v_lshlrev_b64 v[48:49], 2, v[86:87]
	v_min_f32_e32 v50, v50, v51
	s_delay_alu instid0(VALU_DEP_1) | instskip(NEXT) | instid1(VALU_DEP_3)
	v_min3_f32 v50, v54, v50, v55
	v_add_co_u32 v48, vcc_lo, v52, v48
	s_delay_alu instid0(VALU_DEP_4)
	v_add_co_ci_u32_e32 v49, vcc_lo, v53, v49, vcc_lo
	global_store_b32 v[48:49], v50, off
.LBB65_204:
	s_or_b32 exec_lo, exec_lo, s4
	v_add_nc_u32_e32 v52, 64, v89
	s_delay_alu instid0(VALU_DEP_1) | instskip(SKIP_2) | instid1(VALU_DEP_3)
	v_mad_i64_i32 v[48:49], null, v52, s6, 0
	v_mad_i64_i32 v[50:51], null, v52, s5, 0
	v_cmp_gt_i32_e64 s4, s9, v52
	v_lshlrev_b64 v[48:49], 2, v[48:49]
	s_delay_alu instid0(VALU_DEP_2) | instskip(NEXT) | instid1(VALU_DEP_3)
	s_and_b32 s14, s0, s4
	v_lshlrev_b64 v[52:53], 2, v[50:51]
	s_delay_alu instid0(VALU_DEP_2) | instskip(NEXT) | instid1(VALU_DEP_3)
	v_add_co_u32 v50, vcc_lo, s12, v48
	v_add_co_ci_u32_e32 v51, vcc_lo, s13, v49, vcc_lo
	s_delay_alu instid0(VALU_DEP_3) | instskip(NEXT) | instid1(VALU_DEP_4)
	v_add_co_u32 v48, vcc_lo, s10, v52
	v_add_co_ci_u32_e32 v49, vcc_lo, s11, v53, vcc_lo
	s_and_saveexec_b32 s8, s14
	s_cbranch_execnz .LBB65_208
; %bb.205:
	s_or_b32 exec_lo, exec_lo, s8
	s_and_b32 s14, s1, s4
	s_delay_alu instid0(SALU_CYCLE_1)
	s_and_saveexec_b32 s8, s14
	s_cbranch_execnz .LBB65_212
.LBB65_206:
	s_or_b32 exec_lo, exec_lo, s8
	s_and_b32 s14, s2, s4
	s_delay_alu instid0(SALU_CYCLE_1)
	s_and_saveexec_b32 s8, s14
	s_cbranch_execnz .LBB65_216
.LBB65_207:
	s_or_b32 exec_lo, exec_lo, s8
	s_and_b32 s8, s3, s4
	s_delay_alu instid0(SALU_CYCLE_1)
	s_and_saveexec_b32 s4, s8
	s_cbranch_execnz .LBB65_220
	s_branch .LBB65_224
.LBB65_208:
	v_cmp_ne_u32_e32 vcc_lo, 1, v88
	s_cbranch_vccnz .LBB65_210
; %bb.209:
	v_lshlrev_b64 v[52:53], 2, v[80:81]
	s_delay_alu instid0(VALU_DEP_1) | instskip(NEXT) | instid1(VALU_DEP_2)
	v_add_co_u32 v52, vcc_lo, v50, v52
	v_add_co_ci_u32_e32 v53, vcc_lo, v51, v53, vcc_lo
	flat_load_b32 v52, v[52:53]
	s_waitcnt vmcnt(0) lgkmcnt(0)
	v_mul_f32_e32 v52, s7, v52
	s_branch .LBB65_211
.LBB65_210:
	v_mov_b32_e32 v52, 0
.LBB65_211:
	v_dual_add_f32 v53, v17, v45 :: v_dual_add_f32 v54, v16, v44
	v_dual_add_f32 v55, v19, v47 :: v_dual_add_f32 v56, v18, v46
	s_delay_alu instid0(VALU_DEP_2) | instskip(SKIP_1) | instid1(VALU_DEP_3)
	v_min3_f32 v57, v54, v53, v127
	v_lshlrev_b64 v[53:54], 2, v[80:81]
	v_min_f32_e32 v55, v56, v55
	s_delay_alu instid0(VALU_DEP_1) | instskip(NEXT) | instid1(VALU_DEP_3)
	v_min3_f32 v55, v52, v55, v57
	v_add_co_u32 v52, vcc_lo, v48, v53
	s_delay_alu instid0(VALU_DEP_4) | instskip(SKIP_3) | instid1(SALU_CYCLE_1)
	v_add_co_ci_u32_e32 v53, vcc_lo, v49, v54, vcc_lo
	global_store_b32 v[52:53], v55, off
	s_or_b32 exec_lo, exec_lo, s8
	s_and_b32 s14, s1, s4
	s_and_saveexec_b32 s8, s14
	s_cbranch_execz .LBB65_206
.LBB65_212:
	v_cmp_ne_u32_e32 vcc_lo, 1, v88
	s_cbranch_vccnz .LBB65_214
; %bb.213:
	v_lshlrev_b64 v[52:53], 2, v[82:83]
	s_delay_alu instid0(VALU_DEP_1) | instskip(NEXT) | instid1(VALU_DEP_2)
	v_add_co_u32 v52, vcc_lo, v50, v52
	v_add_co_ci_u32_e32 v53, vcc_lo, v51, v53, vcc_lo
	flat_load_b32 v52, v[52:53]
	s_waitcnt vmcnt(0) lgkmcnt(0)
	v_mul_f32_e32 v52, s7, v52
	s_branch .LBB65_215
.LBB65_214:
	v_mov_b32_e32 v52, 0
.LBB65_215:
	v_dual_add_f32 v53, v13, v45 :: v_dual_add_f32 v54, v12, v44
	v_dual_add_f32 v55, v15, v47 :: v_dual_add_f32 v56, v14, v46
	s_delay_alu instid0(VALU_DEP_2) | instskip(SKIP_1) | instid1(VALU_DEP_3)
	v_min3_f32 v57, v54, v53, v126
	v_lshlrev_b64 v[53:54], 2, v[82:83]
	v_min_f32_e32 v55, v56, v55
	s_delay_alu instid0(VALU_DEP_1) | instskip(NEXT) | instid1(VALU_DEP_3)
	v_min3_f32 v55, v52, v55, v57
	v_add_co_u32 v52, vcc_lo, v48, v53
	s_delay_alu instid0(VALU_DEP_4) | instskip(SKIP_3) | instid1(SALU_CYCLE_1)
	v_add_co_ci_u32_e32 v53, vcc_lo, v49, v54, vcc_lo
	global_store_b32 v[52:53], v55, off
	s_or_b32 exec_lo, exec_lo, s8
	s_and_b32 s14, s2, s4
	s_and_saveexec_b32 s8, s14
	s_cbranch_execz .LBB65_207
.LBB65_216:
	v_cmp_ne_u32_e32 vcc_lo, 1, v88
	s_cbranch_vccnz .LBB65_218
; %bb.217:
	v_lshlrev_b64 v[52:53], 2, v[84:85]
	s_delay_alu instid0(VALU_DEP_1) | instskip(NEXT) | instid1(VALU_DEP_2)
	v_add_co_u32 v52, vcc_lo, v50, v52
	v_add_co_ci_u32_e32 v53, vcc_lo, v51, v53, vcc_lo
	flat_load_b32 v52, v[52:53]
	s_waitcnt vmcnt(0) lgkmcnt(0)
	v_mul_f32_e32 v52, s7, v52
	s_branch .LBB65_219
.LBB65_218:
	v_mov_b32_e32 v52, 0
.LBB65_219:
	v_dual_add_f32 v53, v5, v45 :: v_dual_add_f32 v54, v4, v44
	v_dual_add_f32 v55, v7, v47 :: v_dual_add_f32 v56, v6, v46
	s_delay_alu instid0(VALU_DEP_2) | instskip(SKIP_1) | instid1(VALU_DEP_3)
	v_min3_f32 v57, v54, v53, v124
	v_lshlrev_b64 v[53:54], 2, v[84:85]
	v_min_f32_e32 v55, v56, v55
	s_delay_alu instid0(VALU_DEP_1) | instskip(NEXT) | instid1(VALU_DEP_3)
	v_min3_f32 v55, v52, v55, v57
	v_add_co_u32 v52, vcc_lo, v48, v53
	s_delay_alu instid0(VALU_DEP_4) | instskip(SKIP_3) | instid1(SALU_CYCLE_1)
	v_add_co_ci_u32_e32 v53, vcc_lo, v49, v54, vcc_lo
	global_store_b32 v[52:53], v55, off
	s_or_b32 exec_lo, exec_lo, s8
	s_and_b32 s8, s3, s4
	s_and_saveexec_b32 s4, s8
	s_cbranch_execz .LBB65_224
.LBB65_220:
	v_cmp_ne_u32_e32 vcc_lo, 1, v88
	s_cbranch_vccnz .LBB65_222
; %bb.221:
	v_lshlrev_b64 v[52:53], 2, v[86:87]
	s_delay_alu instid0(VALU_DEP_1) | instskip(NEXT) | instid1(VALU_DEP_2)
	v_add_co_u32 v50, vcc_lo, v50, v52
	v_add_co_ci_u32_e32 v51, vcc_lo, v51, v53, vcc_lo
	flat_load_b32 v50, v[50:51]
	s_waitcnt vmcnt(0) lgkmcnt(0)
	v_mul_f32_e32 v50, s7, v50
	s_branch .LBB65_223
.LBB65_222:
	v_mov_b32_e32 v50, 0
.LBB65_223:
	v_dual_add_f32 v45, v1, v45 :: v_dual_add_f32 v44, v0, v44
	v_dual_add_f32 v47, v3, v47 :: v_dual_add_f32 v46, v2, v46
	s_delay_alu instid0(VALU_DEP_2) | instskip(SKIP_1) | instid1(VALU_DEP_3)
	v_min3_f32 v51, v44, v45, v123
	v_lshlrev_b64 v[44:45], 2, v[86:87]
	v_min_f32_e32 v46, v46, v47
	s_delay_alu instid0(VALU_DEP_1) | instskip(NEXT) | instid1(VALU_DEP_3)
	v_min3_f32 v46, v50, v46, v51
	v_add_co_u32 v44, vcc_lo, v48, v44
	s_delay_alu instid0(VALU_DEP_4)
	v_add_co_ci_u32_e32 v45, vcc_lo, v49, v45, vcc_lo
	global_store_b32 v[44:45], v46, off
.LBB65_224:
	s_or_b32 exec_lo, exec_lo, s4
	v_add_nc_u32_e32 v48, 0x48, v89
	s_delay_alu instid0(VALU_DEP_1) | instskip(SKIP_2) | instid1(VALU_DEP_3)
	v_mad_i64_i32 v[44:45], null, v48, s6, 0
	v_mad_i64_i32 v[46:47], null, v48, s5, 0
	v_cmp_gt_i32_e64 s4, s9, v48
	v_lshlrev_b64 v[44:45], 2, v[44:45]
	s_delay_alu instid0(VALU_DEP_2) | instskip(NEXT) | instid1(VALU_DEP_3)
	s_and_b32 s14, s0, s4
	v_lshlrev_b64 v[48:49], 2, v[46:47]
	s_delay_alu instid0(VALU_DEP_2) | instskip(NEXT) | instid1(VALU_DEP_3)
	v_add_co_u32 v46, vcc_lo, s12, v44
	v_add_co_ci_u32_e32 v47, vcc_lo, s13, v45, vcc_lo
	s_delay_alu instid0(VALU_DEP_3) | instskip(NEXT) | instid1(VALU_DEP_4)
	v_add_co_u32 v44, vcc_lo, s10, v48
	v_add_co_ci_u32_e32 v45, vcc_lo, s11, v49, vcc_lo
	s_and_saveexec_b32 s8, s14
	s_cbranch_execnz .LBB65_228
; %bb.225:
	s_or_b32 exec_lo, exec_lo, s8
	s_and_b32 s14, s1, s4
	s_delay_alu instid0(SALU_CYCLE_1)
	s_and_saveexec_b32 s8, s14
	s_cbranch_execnz .LBB65_232
.LBB65_226:
	s_or_b32 exec_lo, exec_lo, s8
	s_and_b32 s14, s2, s4
	s_delay_alu instid0(SALU_CYCLE_1)
	s_and_saveexec_b32 s8, s14
	s_cbranch_execnz .LBB65_236
.LBB65_227:
	s_or_b32 exec_lo, exec_lo, s8
	s_and_b32 s8, s3, s4
	s_delay_alu instid0(SALU_CYCLE_1)
	s_and_saveexec_b32 s4, s8
	s_cbranch_execnz .LBB65_240
	s_branch .LBB65_244
.LBB65_228:
	v_cmp_ne_u32_e32 vcc_lo, 1, v88
	s_cbranch_vccnz .LBB65_230
; %bb.229:
	v_lshlrev_b64 v[48:49], 2, v[80:81]
	s_delay_alu instid0(VALU_DEP_1) | instskip(NEXT) | instid1(VALU_DEP_2)
	v_add_co_u32 v48, vcc_lo, v46, v48
	v_add_co_ci_u32_e32 v49, vcc_lo, v47, v49, vcc_lo
	flat_load_b32 v48, v[48:49]
	s_waitcnt vmcnt(0) lgkmcnt(0)
	v_mul_f32_e32 v48, s7, v48
	s_branch .LBB65_231
.LBB65_230:
	v_mov_b32_e32 v48, 0
.LBB65_231:
	v_dual_add_f32 v49, v17, v41 :: v_dual_add_f32 v50, v16, v40
	v_dual_add_f32 v51, v19, v43 :: v_dual_add_f32 v52, v18, v42
	s_delay_alu instid0(VALU_DEP_2) | instskip(SKIP_1) | instid1(VALU_DEP_3)
	v_min3_f32 v53, v50, v49, v122
	v_lshlrev_b64 v[49:50], 2, v[80:81]
	v_min_f32_e32 v51, v52, v51
	s_delay_alu instid0(VALU_DEP_1) | instskip(NEXT) | instid1(VALU_DEP_3)
	v_min3_f32 v51, v48, v51, v53
	v_add_co_u32 v48, vcc_lo, v44, v49
	s_delay_alu instid0(VALU_DEP_4) | instskip(SKIP_3) | instid1(SALU_CYCLE_1)
	v_add_co_ci_u32_e32 v49, vcc_lo, v45, v50, vcc_lo
	global_store_b32 v[48:49], v51, off
	s_or_b32 exec_lo, exec_lo, s8
	s_and_b32 s14, s1, s4
	s_and_saveexec_b32 s8, s14
	s_cbranch_execz .LBB65_226
.LBB65_232:
	v_cmp_ne_u32_e32 vcc_lo, 1, v88
	s_cbranch_vccnz .LBB65_234
; %bb.233:
	v_lshlrev_b64 v[48:49], 2, v[82:83]
	s_delay_alu instid0(VALU_DEP_1) | instskip(NEXT) | instid1(VALU_DEP_2)
	v_add_co_u32 v48, vcc_lo, v46, v48
	v_add_co_ci_u32_e32 v49, vcc_lo, v47, v49, vcc_lo
	flat_load_b32 v48, v[48:49]
	s_waitcnt vmcnt(0) lgkmcnt(0)
	v_mul_f32_e32 v48, s7, v48
	s_branch .LBB65_235
.LBB65_234:
	v_mov_b32_e32 v48, 0
.LBB65_235:
	v_dual_add_f32 v49, v13, v41 :: v_dual_add_f32 v50, v12, v40
	v_dual_add_f32 v51, v15, v43 :: v_dual_add_f32 v52, v14, v42
	s_delay_alu instid0(VALU_DEP_2) | instskip(SKIP_1) | instid1(VALU_DEP_3)
	v_min3_f32 v53, v50, v49, v121
	v_lshlrev_b64 v[49:50], 2, v[82:83]
	v_min_f32_e32 v51, v52, v51
	s_delay_alu instid0(VALU_DEP_1) | instskip(NEXT) | instid1(VALU_DEP_3)
	v_min3_f32 v51, v48, v51, v53
	v_add_co_u32 v48, vcc_lo, v44, v49
	s_delay_alu instid0(VALU_DEP_4) | instskip(SKIP_3) | instid1(SALU_CYCLE_1)
	v_add_co_ci_u32_e32 v49, vcc_lo, v45, v50, vcc_lo
	global_store_b32 v[48:49], v51, off
	s_or_b32 exec_lo, exec_lo, s8
	s_and_b32 s14, s2, s4
	s_and_saveexec_b32 s8, s14
	s_cbranch_execz .LBB65_227
.LBB65_236:
	v_cmp_ne_u32_e32 vcc_lo, 1, v88
	s_cbranch_vccnz .LBB65_238
; %bb.237:
	v_lshlrev_b64 v[48:49], 2, v[84:85]
	s_delay_alu instid0(VALU_DEP_1) | instskip(NEXT) | instid1(VALU_DEP_2)
	v_add_co_u32 v48, vcc_lo, v46, v48
	v_add_co_ci_u32_e32 v49, vcc_lo, v47, v49, vcc_lo
	flat_load_b32 v48, v[48:49]
	s_waitcnt vmcnt(0) lgkmcnt(0)
	v_mul_f32_e32 v48, s7, v48
	s_branch .LBB65_239
.LBB65_238:
	v_mov_b32_e32 v48, 0
.LBB65_239:
	v_dual_add_f32 v49, v5, v41 :: v_dual_add_f32 v50, v4, v40
	v_dual_add_f32 v51, v7, v43 :: v_dual_add_f32 v52, v6, v42
	s_delay_alu instid0(VALU_DEP_2) | instskip(SKIP_1) | instid1(VALU_DEP_3)
	v_min3_f32 v53, v50, v49, v120
	v_lshlrev_b64 v[49:50], 2, v[84:85]
	v_min_f32_e32 v51, v52, v51
	s_delay_alu instid0(VALU_DEP_1) | instskip(NEXT) | instid1(VALU_DEP_3)
	v_min3_f32 v51, v48, v51, v53
	v_add_co_u32 v48, vcc_lo, v44, v49
	s_delay_alu instid0(VALU_DEP_4) | instskip(SKIP_3) | instid1(SALU_CYCLE_1)
	v_add_co_ci_u32_e32 v49, vcc_lo, v45, v50, vcc_lo
	global_store_b32 v[48:49], v51, off
	s_or_b32 exec_lo, exec_lo, s8
	s_and_b32 s8, s3, s4
	s_and_saveexec_b32 s4, s8
	s_cbranch_execz .LBB65_244
.LBB65_240:
	v_cmp_ne_u32_e32 vcc_lo, 1, v88
	s_cbranch_vccnz .LBB65_242
; %bb.241:
	v_lshlrev_b64 v[48:49], 2, v[86:87]
	s_delay_alu instid0(VALU_DEP_1) | instskip(NEXT) | instid1(VALU_DEP_2)
	v_add_co_u32 v46, vcc_lo, v46, v48
	v_add_co_ci_u32_e32 v47, vcc_lo, v47, v49, vcc_lo
	flat_load_b32 v46, v[46:47]
	s_waitcnt vmcnt(0) lgkmcnt(0)
	v_mul_f32_e32 v46, s7, v46
	s_branch .LBB65_243
.LBB65_242:
	v_mov_b32_e32 v46, 0
.LBB65_243:
	v_dual_add_f32 v41, v1, v41 :: v_dual_add_f32 v40, v0, v40
	v_dual_add_f32 v43, v3, v43 :: v_dual_add_f32 v42, v2, v42
	s_delay_alu instid0(VALU_DEP_2) | instskip(SKIP_1) | instid1(VALU_DEP_3)
	v_min3_f32 v47, v40, v41, v118
	v_lshlrev_b64 v[40:41], 2, v[86:87]
	v_min_f32_e32 v42, v42, v43
	s_delay_alu instid0(VALU_DEP_1) | instskip(NEXT) | instid1(VALU_DEP_3)
	v_min3_f32 v42, v46, v42, v47
	v_add_co_u32 v40, vcc_lo, v44, v40
	s_delay_alu instid0(VALU_DEP_4)
	v_add_co_ci_u32_e32 v41, vcc_lo, v45, v41, vcc_lo
	global_store_b32 v[40:41], v42, off
.LBB65_244:
	s_or_b32 exec_lo, exec_lo, s4
	v_add_nc_u32_e32 v44, 0x50, v89
	s_delay_alu instid0(VALU_DEP_1) | instskip(SKIP_2) | instid1(VALU_DEP_3)
	v_mad_i64_i32 v[40:41], null, v44, s6, 0
	v_mad_i64_i32 v[42:43], null, v44, s5, 0
	v_cmp_gt_i32_e64 s4, s9, v44
	v_lshlrev_b64 v[40:41], 2, v[40:41]
	s_delay_alu instid0(VALU_DEP_2) | instskip(NEXT) | instid1(VALU_DEP_3)
	s_and_b32 s14, s0, s4
	v_lshlrev_b64 v[44:45], 2, v[42:43]
	s_delay_alu instid0(VALU_DEP_2) | instskip(NEXT) | instid1(VALU_DEP_3)
	v_add_co_u32 v42, vcc_lo, s12, v40
	v_add_co_ci_u32_e32 v43, vcc_lo, s13, v41, vcc_lo
	s_delay_alu instid0(VALU_DEP_3) | instskip(NEXT) | instid1(VALU_DEP_4)
	v_add_co_u32 v40, vcc_lo, s10, v44
	v_add_co_ci_u32_e32 v41, vcc_lo, s11, v45, vcc_lo
	s_and_saveexec_b32 s8, s14
	s_cbranch_execnz .LBB65_248
; %bb.245:
	s_or_b32 exec_lo, exec_lo, s8
	s_and_b32 s14, s1, s4
	s_delay_alu instid0(SALU_CYCLE_1)
	s_and_saveexec_b32 s8, s14
	s_cbranch_execnz .LBB65_252
.LBB65_246:
	s_or_b32 exec_lo, exec_lo, s8
	s_and_b32 s14, s2, s4
	s_delay_alu instid0(SALU_CYCLE_1)
	s_and_saveexec_b32 s8, s14
	s_cbranch_execnz .LBB65_256
.LBB65_247:
	s_or_b32 exec_lo, exec_lo, s8
	s_and_b32 s8, s3, s4
	s_delay_alu instid0(SALU_CYCLE_1)
	s_and_saveexec_b32 s4, s8
	s_cbranch_execnz .LBB65_260
	s_branch .LBB65_264
.LBB65_248:
	v_cmp_ne_u32_e32 vcc_lo, 1, v88
	s_cbranch_vccnz .LBB65_250
; %bb.249:
	v_lshlrev_b64 v[44:45], 2, v[80:81]
	s_delay_alu instid0(VALU_DEP_1) | instskip(NEXT) | instid1(VALU_DEP_2)
	v_add_co_u32 v44, vcc_lo, v42, v44
	v_add_co_ci_u32_e32 v45, vcc_lo, v43, v45, vcc_lo
	flat_load_b32 v44, v[44:45]
	s_waitcnt vmcnt(0) lgkmcnt(0)
	v_mul_f32_e32 v44, s7, v44
	s_branch .LBB65_251
.LBB65_250:
	v_mov_b32_e32 v44, 0
.LBB65_251:
	v_dual_add_f32 v45, v17, v37 :: v_dual_add_f32 v46, v16, v36
	v_dual_add_f32 v47, v19, v39 :: v_dual_add_f32 v48, v18, v38
	s_delay_alu instid0(VALU_DEP_2) | instskip(SKIP_1) | instid1(VALU_DEP_3)
	v_min3_f32 v49, v46, v45, v116
	v_lshlrev_b64 v[45:46], 2, v[80:81]
	v_min_f32_e32 v47, v48, v47
	s_delay_alu instid0(VALU_DEP_1) | instskip(NEXT) | instid1(VALU_DEP_3)
	v_min3_f32 v47, v44, v47, v49
	v_add_co_u32 v44, vcc_lo, v40, v45
	s_delay_alu instid0(VALU_DEP_4) | instskip(SKIP_3) | instid1(SALU_CYCLE_1)
	v_add_co_ci_u32_e32 v45, vcc_lo, v41, v46, vcc_lo
	global_store_b32 v[44:45], v47, off
	s_or_b32 exec_lo, exec_lo, s8
	s_and_b32 s14, s1, s4
	s_and_saveexec_b32 s8, s14
	s_cbranch_execz .LBB65_246
.LBB65_252:
	v_cmp_ne_u32_e32 vcc_lo, 1, v88
	s_cbranch_vccnz .LBB65_254
; %bb.253:
	v_lshlrev_b64 v[44:45], 2, v[82:83]
	s_delay_alu instid0(VALU_DEP_1) | instskip(NEXT) | instid1(VALU_DEP_2)
	v_add_co_u32 v44, vcc_lo, v42, v44
	v_add_co_ci_u32_e32 v45, vcc_lo, v43, v45, vcc_lo
	flat_load_b32 v44, v[44:45]
	s_waitcnt vmcnt(0) lgkmcnt(0)
	v_mul_f32_e32 v44, s7, v44
	s_branch .LBB65_255
.LBB65_254:
	v_mov_b32_e32 v44, 0
.LBB65_255:
	v_dual_add_f32 v45, v13, v37 :: v_dual_add_f32 v46, v12, v36
	v_dual_add_f32 v47, v15, v39 :: v_dual_add_f32 v48, v14, v38
	s_delay_alu instid0(VALU_DEP_2) | instskip(SKIP_1) | instid1(VALU_DEP_3)
	v_min3_f32 v49, v46, v45, v114
	v_lshlrev_b64 v[45:46], 2, v[82:83]
	v_min_f32_e32 v47, v48, v47
	s_delay_alu instid0(VALU_DEP_1) | instskip(NEXT) | instid1(VALU_DEP_3)
	v_min3_f32 v47, v44, v47, v49
	v_add_co_u32 v44, vcc_lo, v40, v45
	s_delay_alu instid0(VALU_DEP_4) | instskip(SKIP_3) | instid1(SALU_CYCLE_1)
	v_add_co_ci_u32_e32 v45, vcc_lo, v41, v46, vcc_lo
	global_store_b32 v[44:45], v47, off
	s_or_b32 exec_lo, exec_lo, s8
	s_and_b32 s14, s2, s4
	s_and_saveexec_b32 s8, s14
	s_cbranch_execz .LBB65_247
.LBB65_256:
	v_cmp_ne_u32_e32 vcc_lo, 1, v88
	s_cbranch_vccnz .LBB65_258
; %bb.257:
	v_lshlrev_b64 v[44:45], 2, v[84:85]
	s_delay_alu instid0(VALU_DEP_1) | instskip(NEXT) | instid1(VALU_DEP_2)
	v_add_co_u32 v44, vcc_lo, v42, v44
	v_add_co_ci_u32_e32 v45, vcc_lo, v43, v45, vcc_lo
	flat_load_b32 v44, v[44:45]
	s_waitcnt vmcnt(0) lgkmcnt(0)
	v_mul_f32_e32 v44, s7, v44
	s_branch .LBB65_259
.LBB65_258:
	v_mov_b32_e32 v44, 0
.LBB65_259:
	v_dual_add_f32 v45, v5, v37 :: v_dual_add_f32 v46, v4, v36
	v_dual_add_f32 v47, v7, v39 :: v_dual_add_f32 v48, v6, v38
	s_delay_alu instid0(VALU_DEP_2) | instskip(SKIP_1) | instid1(VALU_DEP_3)
	v_min3_f32 v49, v46, v45, v113
	v_lshlrev_b64 v[45:46], 2, v[84:85]
	v_min_f32_e32 v47, v48, v47
	s_delay_alu instid0(VALU_DEP_1) | instskip(NEXT) | instid1(VALU_DEP_3)
	v_min3_f32 v47, v44, v47, v49
	v_add_co_u32 v44, vcc_lo, v40, v45
	s_delay_alu instid0(VALU_DEP_4) | instskip(SKIP_3) | instid1(SALU_CYCLE_1)
	v_add_co_ci_u32_e32 v45, vcc_lo, v41, v46, vcc_lo
	global_store_b32 v[44:45], v47, off
	s_or_b32 exec_lo, exec_lo, s8
	s_and_b32 s8, s3, s4
	s_and_saveexec_b32 s4, s8
	s_cbranch_execz .LBB65_264
.LBB65_260:
	v_cmp_ne_u32_e32 vcc_lo, 1, v88
	s_cbranch_vccnz .LBB65_262
; %bb.261:
	v_lshlrev_b64 v[44:45], 2, v[86:87]
	s_delay_alu instid0(VALU_DEP_1) | instskip(NEXT) | instid1(VALU_DEP_2)
	v_add_co_u32 v42, vcc_lo, v42, v44
	v_add_co_ci_u32_e32 v43, vcc_lo, v43, v45, vcc_lo
	flat_load_b32 v42, v[42:43]
	s_waitcnt vmcnt(0) lgkmcnt(0)
	v_mul_f32_e32 v42, s7, v42
	s_branch .LBB65_263
.LBB65_262:
	v_mov_b32_e32 v42, 0
.LBB65_263:
	v_dual_add_f32 v37, v1, v37 :: v_dual_add_f32 v36, v0, v36
	v_dual_add_f32 v39, v3, v39 :: v_dual_add_f32 v38, v2, v38
	s_delay_alu instid0(VALU_DEP_2) | instskip(SKIP_1) | instid1(VALU_DEP_3)
	v_min3_f32 v43, v36, v37, v112
	v_lshlrev_b64 v[36:37], 2, v[86:87]
	v_min_f32_e32 v38, v38, v39
	s_delay_alu instid0(VALU_DEP_1) | instskip(NEXT) | instid1(VALU_DEP_3)
	v_min3_f32 v38, v42, v38, v43
	v_add_co_u32 v36, vcc_lo, v40, v36
	s_delay_alu instid0(VALU_DEP_4)
	v_add_co_ci_u32_e32 v37, vcc_lo, v41, v37, vcc_lo
	global_store_b32 v[36:37], v38, off
.LBB65_264:
	s_or_b32 exec_lo, exec_lo, s4
	v_add_nc_u32_e32 v40, 0x58, v89
	s_delay_alu instid0(VALU_DEP_1) | instskip(SKIP_2) | instid1(VALU_DEP_3)
	v_mad_i64_i32 v[36:37], null, v40, s6, 0
	v_mad_i64_i32 v[38:39], null, v40, s5, 0
	v_cmp_gt_i32_e64 s4, s9, v40
	v_lshlrev_b64 v[36:37], 2, v[36:37]
	s_delay_alu instid0(VALU_DEP_2) | instskip(NEXT) | instid1(VALU_DEP_3)
	s_and_b32 s14, s0, s4
	v_lshlrev_b64 v[40:41], 2, v[38:39]
	s_delay_alu instid0(VALU_DEP_2) | instskip(NEXT) | instid1(VALU_DEP_3)
	v_add_co_u32 v38, vcc_lo, s12, v36
	v_add_co_ci_u32_e32 v39, vcc_lo, s13, v37, vcc_lo
	s_delay_alu instid0(VALU_DEP_3) | instskip(NEXT) | instid1(VALU_DEP_4)
	v_add_co_u32 v36, vcc_lo, s10, v40
	v_add_co_ci_u32_e32 v37, vcc_lo, s11, v41, vcc_lo
	s_and_saveexec_b32 s8, s14
	s_cbranch_execnz .LBB65_268
; %bb.265:
	s_or_b32 exec_lo, exec_lo, s8
	s_and_b32 s14, s1, s4
	s_delay_alu instid0(SALU_CYCLE_1)
	s_and_saveexec_b32 s8, s14
	s_cbranch_execnz .LBB65_272
.LBB65_266:
	s_or_b32 exec_lo, exec_lo, s8
	s_and_b32 s14, s2, s4
	s_delay_alu instid0(SALU_CYCLE_1)
	s_and_saveexec_b32 s8, s14
	s_cbranch_execnz .LBB65_276
.LBB65_267:
	s_or_b32 exec_lo, exec_lo, s8
	s_and_b32 s8, s3, s4
	s_delay_alu instid0(SALU_CYCLE_1)
	s_and_saveexec_b32 s4, s8
	s_cbranch_execnz .LBB65_280
	s_branch .LBB65_284
.LBB65_268:
	v_cmp_ne_u32_e32 vcc_lo, 1, v88
	s_cbranch_vccnz .LBB65_270
; %bb.269:
	v_lshlrev_b64 v[40:41], 2, v[80:81]
	s_delay_alu instid0(VALU_DEP_1) | instskip(NEXT) | instid1(VALU_DEP_2)
	v_add_co_u32 v40, vcc_lo, v38, v40
	v_add_co_ci_u32_e32 v41, vcc_lo, v39, v41, vcc_lo
	flat_load_b32 v40, v[40:41]
	s_waitcnt vmcnt(0) lgkmcnt(0)
	v_mul_f32_e32 v40, s7, v40
	s_branch .LBB65_271
.LBB65_270:
	v_mov_b32_e32 v40, 0
.LBB65_271:
	v_dual_add_f32 v41, v17, v33 :: v_dual_add_f32 v42, v16, v32
	v_dual_add_f32 v43, v19, v35 :: v_dual_add_f32 v44, v18, v34
	s_delay_alu instid0(VALU_DEP_2) | instskip(SKIP_1) | instid1(VALU_DEP_3)
	v_min3_f32 v45, v42, v41, v111
	v_lshlrev_b64 v[41:42], 2, v[80:81]
	v_min_f32_e32 v43, v44, v43
	s_delay_alu instid0(VALU_DEP_1) | instskip(NEXT) | instid1(VALU_DEP_3)
	v_min3_f32 v43, v40, v43, v45
	v_add_co_u32 v40, vcc_lo, v36, v41
	s_delay_alu instid0(VALU_DEP_4) | instskip(SKIP_3) | instid1(SALU_CYCLE_1)
	v_add_co_ci_u32_e32 v41, vcc_lo, v37, v42, vcc_lo
	global_store_b32 v[40:41], v43, off
	s_or_b32 exec_lo, exec_lo, s8
	s_and_b32 s14, s1, s4
	s_and_saveexec_b32 s8, s14
	s_cbranch_execz .LBB65_266
.LBB65_272:
	v_cmp_ne_u32_e32 vcc_lo, 1, v88
	s_cbranch_vccnz .LBB65_274
; %bb.273:
	v_lshlrev_b64 v[40:41], 2, v[82:83]
	s_delay_alu instid0(VALU_DEP_1) | instskip(NEXT) | instid1(VALU_DEP_2)
	v_add_co_u32 v40, vcc_lo, v38, v40
	v_add_co_ci_u32_e32 v41, vcc_lo, v39, v41, vcc_lo
	flat_load_b32 v40, v[40:41]
	s_waitcnt vmcnt(0) lgkmcnt(0)
	v_mul_f32_e32 v40, s7, v40
	s_branch .LBB65_275
.LBB65_274:
	v_mov_b32_e32 v40, 0
.LBB65_275:
	v_dual_add_f32 v41, v13, v33 :: v_dual_add_f32 v42, v12, v32
	v_dual_add_f32 v43, v15, v35 :: v_dual_add_f32 v44, v14, v34
	s_delay_alu instid0(VALU_DEP_2) | instskip(SKIP_1) | instid1(VALU_DEP_3)
	v_min3_f32 v45, v42, v41, v110
	v_lshlrev_b64 v[41:42], 2, v[82:83]
	v_min_f32_e32 v43, v44, v43
	s_delay_alu instid0(VALU_DEP_1) | instskip(NEXT) | instid1(VALU_DEP_3)
	v_min3_f32 v43, v40, v43, v45
	v_add_co_u32 v40, vcc_lo, v36, v41
	s_delay_alu instid0(VALU_DEP_4) | instskip(SKIP_3) | instid1(SALU_CYCLE_1)
	v_add_co_ci_u32_e32 v41, vcc_lo, v37, v42, vcc_lo
	global_store_b32 v[40:41], v43, off
	s_or_b32 exec_lo, exec_lo, s8
	s_and_b32 s14, s2, s4
	s_and_saveexec_b32 s8, s14
	s_cbranch_execz .LBB65_267
.LBB65_276:
	v_cmp_ne_u32_e32 vcc_lo, 1, v88
	s_cbranch_vccnz .LBB65_278
; %bb.277:
	v_lshlrev_b64 v[40:41], 2, v[84:85]
	s_delay_alu instid0(VALU_DEP_1) | instskip(NEXT) | instid1(VALU_DEP_2)
	v_add_co_u32 v40, vcc_lo, v38, v40
	v_add_co_ci_u32_e32 v41, vcc_lo, v39, v41, vcc_lo
	flat_load_b32 v40, v[40:41]
	s_waitcnt vmcnt(0) lgkmcnt(0)
	v_mul_f32_e32 v40, s7, v40
	s_branch .LBB65_279
.LBB65_278:
	v_mov_b32_e32 v40, 0
.LBB65_279:
	v_dual_add_f32 v41, v5, v33 :: v_dual_add_f32 v42, v4, v32
	v_dual_add_f32 v43, v7, v35 :: v_dual_add_f32 v44, v6, v34
	s_delay_alu instid0(VALU_DEP_2) | instskip(SKIP_1) | instid1(VALU_DEP_3)
	v_min3_f32 v45, v42, v41, v109
	v_lshlrev_b64 v[41:42], 2, v[84:85]
	v_min_f32_e32 v43, v44, v43
	s_delay_alu instid0(VALU_DEP_1) | instskip(NEXT) | instid1(VALU_DEP_3)
	v_min3_f32 v43, v40, v43, v45
	v_add_co_u32 v40, vcc_lo, v36, v41
	s_delay_alu instid0(VALU_DEP_4) | instskip(SKIP_3) | instid1(SALU_CYCLE_1)
	v_add_co_ci_u32_e32 v41, vcc_lo, v37, v42, vcc_lo
	global_store_b32 v[40:41], v43, off
	s_or_b32 exec_lo, exec_lo, s8
	s_and_b32 s8, s3, s4
	s_and_saveexec_b32 s4, s8
	s_cbranch_execz .LBB65_284
.LBB65_280:
	v_cmp_ne_u32_e32 vcc_lo, 1, v88
	s_cbranch_vccnz .LBB65_282
; %bb.281:
	v_lshlrev_b64 v[40:41], 2, v[86:87]
	s_delay_alu instid0(VALU_DEP_1) | instskip(NEXT) | instid1(VALU_DEP_2)
	v_add_co_u32 v38, vcc_lo, v38, v40
	v_add_co_ci_u32_e32 v39, vcc_lo, v39, v41, vcc_lo
	flat_load_b32 v38, v[38:39]
	s_waitcnt vmcnt(0) lgkmcnt(0)
	v_mul_f32_e32 v38, s7, v38
	s_branch .LBB65_283
.LBB65_282:
	v_mov_b32_e32 v38, 0
.LBB65_283:
	v_dual_add_f32 v33, v1, v33 :: v_dual_add_f32 v32, v0, v32
	v_dual_add_f32 v35, v3, v35 :: v_dual_add_f32 v34, v2, v34
	s_delay_alu instid0(VALU_DEP_2) | instskip(SKIP_1) | instid1(VALU_DEP_3)
	v_min3_f32 v39, v32, v33, v108
	v_lshlrev_b64 v[32:33], 2, v[86:87]
	v_min_f32_e32 v34, v34, v35
	s_delay_alu instid0(VALU_DEP_1) | instskip(NEXT) | instid1(VALU_DEP_3)
	v_min3_f32 v34, v38, v34, v39
	v_add_co_u32 v32, vcc_lo, v36, v32
	s_delay_alu instid0(VALU_DEP_4)
	v_add_co_ci_u32_e32 v33, vcc_lo, v37, v33, vcc_lo
	global_store_b32 v[32:33], v34, off
.LBB65_284:
	s_or_b32 exec_lo, exec_lo, s4
	v_add_nc_u32_e32 v36, 0x60, v89
	s_delay_alu instid0(VALU_DEP_1) | instskip(SKIP_2) | instid1(VALU_DEP_3)
	v_mad_i64_i32 v[32:33], null, v36, s6, 0
	v_mad_i64_i32 v[34:35], null, v36, s5, 0
	v_cmp_gt_i32_e64 s4, s9, v36
	v_lshlrev_b64 v[32:33], 2, v[32:33]
	s_delay_alu instid0(VALU_DEP_2) | instskip(NEXT) | instid1(VALU_DEP_3)
	s_and_b32 s14, s0, s4
	v_lshlrev_b64 v[36:37], 2, v[34:35]
	s_delay_alu instid0(VALU_DEP_2) | instskip(NEXT) | instid1(VALU_DEP_3)
	v_add_co_u32 v34, vcc_lo, s12, v32
	v_add_co_ci_u32_e32 v35, vcc_lo, s13, v33, vcc_lo
	s_delay_alu instid0(VALU_DEP_3) | instskip(NEXT) | instid1(VALU_DEP_4)
	v_add_co_u32 v32, vcc_lo, s10, v36
	v_add_co_ci_u32_e32 v33, vcc_lo, s11, v37, vcc_lo
	s_and_saveexec_b32 s8, s14
	s_cbranch_execnz .LBB65_288
; %bb.285:
	s_or_b32 exec_lo, exec_lo, s8
	s_and_b32 s14, s1, s4
	s_delay_alu instid0(SALU_CYCLE_1)
	s_and_saveexec_b32 s8, s14
	s_cbranch_execnz .LBB65_292
.LBB65_286:
	s_or_b32 exec_lo, exec_lo, s8
	s_and_b32 s14, s2, s4
	s_delay_alu instid0(SALU_CYCLE_1)
	s_and_saveexec_b32 s8, s14
	s_cbranch_execnz .LBB65_296
.LBB65_287:
	s_or_b32 exec_lo, exec_lo, s8
	s_and_b32 s8, s3, s4
	s_delay_alu instid0(SALU_CYCLE_1)
	s_and_saveexec_b32 s4, s8
	s_cbranch_execnz .LBB65_300
	s_branch .LBB65_304
.LBB65_288:
	v_cmp_ne_u32_e32 vcc_lo, 1, v88
	s_cbranch_vccnz .LBB65_290
; %bb.289:
	v_lshlrev_b64 v[36:37], 2, v[80:81]
	s_delay_alu instid0(VALU_DEP_1) | instskip(NEXT) | instid1(VALU_DEP_2)
	v_add_co_u32 v36, vcc_lo, v34, v36
	v_add_co_ci_u32_e32 v37, vcc_lo, v35, v37, vcc_lo
	flat_load_b32 v36, v[36:37]
	s_waitcnt vmcnt(0) lgkmcnt(0)
	v_mul_f32_e32 v36, s7, v36
	s_branch .LBB65_291
.LBB65_290:
	v_mov_b32_e32 v36, 0
.LBB65_291:
	v_dual_add_f32 v37, v17, v29 :: v_dual_add_f32 v38, v16, v28
	v_dual_add_f32 v39, v19, v31 :: v_dual_add_f32 v40, v18, v30
	s_delay_alu instid0(VALU_DEP_2) | instskip(SKIP_1) | instid1(VALU_DEP_3)
	v_min3_f32 v41, v38, v37, v105
	v_lshlrev_b64 v[37:38], 2, v[80:81]
	v_min_f32_e32 v39, v40, v39
	s_delay_alu instid0(VALU_DEP_1) | instskip(NEXT) | instid1(VALU_DEP_3)
	v_min3_f32 v39, v36, v39, v41
	v_add_co_u32 v36, vcc_lo, v32, v37
	s_delay_alu instid0(VALU_DEP_4) | instskip(SKIP_3) | instid1(SALU_CYCLE_1)
	v_add_co_ci_u32_e32 v37, vcc_lo, v33, v38, vcc_lo
	global_store_b32 v[36:37], v39, off
	s_or_b32 exec_lo, exec_lo, s8
	s_and_b32 s14, s1, s4
	s_and_saveexec_b32 s8, s14
	s_cbranch_execz .LBB65_286
.LBB65_292:
	v_cmp_ne_u32_e32 vcc_lo, 1, v88
	s_cbranch_vccnz .LBB65_294
; %bb.293:
	v_lshlrev_b64 v[36:37], 2, v[82:83]
	s_delay_alu instid0(VALU_DEP_1) | instskip(NEXT) | instid1(VALU_DEP_2)
	v_add_co_u32 v36, vcc_lo, v34, v36
	v_add_co_ci_u32_e32 v37, vcc_lo, v35, v37, vcc_lo
	flat_load_b32 v36, v[36:37]
	s_waitcnt vmcnt(0) lgkmcnt(0)
	v_mul_f32_e32 v36, s7, v36
	s_branch .LBB65_295
.LBB65_294:
	v_mov_b32_e32 v36, 0
.LBB65_295:
	v_dual_add_f32 v37, v13, v29 :: v_dual_add_f32 v38, v12, v28
	v_dual_add_f32 v39, v15, v31 :: v_dual_add_f32 v40, v14, v30
	s_delay_alu instid0(VALU_DEP_2) | instskip(SKIP_1) | instid1(VALU_DEP_3)
	v_min3_f32 v41, v38, v37, v104
	v_lshlrev_b64 v[37:38], 2, v[82:83]
	v_min_f32_e32 v39, v40, v39
	s_delay_alu instid0(VALU_DEP_1) | instskip(NEXT) | instid1(VALU_DEP_3)
	v_min3_f32 v39, v36, v39, v41
	v_add_co_u32 v36, vcc_lo, v32, v37
	s_delay_alu instid0(VALU_DEP_4) | instskip(SKIP_3) | instid1(SALU_CYCLE_1)
	v_add_co_ci_u32_e32 v37, vcc_lo, v33, v38, vcc_lo
	global_store_b32 v[36:37], v39, off
	s_or_b32 exec_lo, exec_lo, s8
	s_and_b32 s14, s2, s4
	s_and_saveexec_b32 s8, s14
	s_cbranch_execz .LBB65_287
.LBB65_296:
	v_cmp_ne_u32_e32 vcc_lo, 1, v88
	s_cbranch_vccnz .LBB65_298
; %bb.297:
	v_lshlrev_b64 v[36:37], 2, v[84:85]
	s_delay_alu instid0(VALU_DEP_1) | instskip(NEXT) | instid1(VALU_DEP_2)
	v_add_co_u32 v36, vcc_lo, v34, v36
	v_add_co_ci_u32_e32 v37, vcc_lo, v35, v37, vcc_lo
	flat_load_b32 v36, v[36:37]
	s_waitcnt vmcnt(0) lgkmcnt(0)
	v_mul_f32_e32 v36, s7, v36
	s_branch .LBB65_299
.LBB65_298:
	v_mov_b32_e32 v36, 0
.LBB65_299:
	v_dual_add_f32 v37, v5, v29 :: v_dual_add_f32 v38, v4, v28
	v_dual_add_f32 v39, v7, v31 :: v_dual_add_f32 v40, v6, v30
	s_delay_alu instid0(VALU_DEP_2) | instskip(SKIP_1) | instid1(VALU_DEP_3)
	v_min3_f32 v41, v38, v37, v103
	v_lshlrev_b64 v[37:38], 2, v[84:85]
	v_min_f32_e32 v39, v40, v39
	s_delay_alu instid0(VALU_DEP_1) | instskip(NEXT) | instid1(VALU_DEP_3)
	v_min3_f32 v39, v36, v39, v41
	v_add_co_u32 v36, vcc_lo, v32, v37
	s_delay_alu instid0(VALU_DEP_4) | instskip(SKIP_3) | instid1(SALU_CYCLE_1)
	v_add_co_ci_u32_e32 v37, vcc_lo, v33, v38, vcc_lo
	global_store_b32 v[36:37], v39, off
	s_or_b32 exec_lo, exec_lo, s8
	s_and_b32 s8, s3, s4
	s_and_saveexec_b32 s4, s8
	s_cbranch_execz .LBB65_304
.LBB65_300:
	v_cmp_ne_u32_e32 vcc_lo, 1, v88
	s_cbranch_vccnz .LBB65_302
; %bb.301:
	v_lshlrev_b64 v[36:37], 2, v[86:87]
	s_delay_alu instid0(VALU_DEP_1) | instskip(NEXT) | instid1(VALU_DEP_2)
	v_add_co_u32 v34, vcc_lo, v34, v36
	v_add_co_ci_u32_e32 v35, vcc_lo, v35, v37, vcc_lo
	flat_load_b32 v34, v[34:35]
	s_waitcnt vmcnt(0) lgkmcnt(0)
	v_mul_f32_e32 v34, s7, v34
	s_branch .LBB65_303
.LBB65_302:
	v_mov_b32_e32 v34, 0
.LBB65_303:
	v_dual_add_f32 v29, v1, v29 :: v_dual_add_f32 v28, v0, v28
	v_dual_add_f32 v31, v3, v31 :: v_dual_add_f32 v30, v2, v30
	s_delay_alu instid0(VALU_DEP_2) | instskip(SKIP_1) | instid1(VALU_DEP_3)
	v_min3_f32 v35, v28, v29, v102
	v_lshlrev_b64 v[28:29], 2, v[86:87]
	v_min_f32_e32 v30, v30, v31
	s_delay_alu instid0(VALU_DEP_1) | instskip(NEXT) | instid1(VALU_DEP_3)
	v_min3_f32 v30, v34, v30, v35
	v_add_co_u32 v28, vcc_lo, v32, v28
	s_delay_alu instid0(VALU_DEP_4)
	v_add_co_ci_u32_e32 v29, vcc_lo, v33, v29, vcc_lo
	global_store_b32 v[28:29], v30, off
.LBB65_304:
	s_or_b32 exec_lo, exec_lo, s4
	v_add_nc_u32_e32 v32, 0x68, v89
	s_delay_alu instid0(VALU_DEP_1) | instskip(SKIP_2) | instid1(VALU_DEP_3)
	v_mad_i64_i32 v[28:29], null, v32, s6, 0
	v_mad_i64_i32 v[30:31], null, v32, s5, 0
	v_cmp_gt_i32_e64 s4, s9, v32
	v_lshlrev_b64 v[28:29], 2, v[28:29]
	s_delay_alu instid0(VALU_DEP_2) | instskip(NEXT) | instid1(VALU_DEP_3)
	s_and_b32 s14, s0, s4
	v_lshlrev_b64 v[32:33], 2, v[30:31]
	s_delay_alu instid0(VALU_DEP_2) | instskip(NEXT) | instid1(VALU_DEP_3)
	v_add_co_u32 v30, vcc_lo, s12, v28
	v_add_co_ci_u32_e32 v31, vcc_lo, s13, v29, vcc_lo
	s_delay_alu instid0(VALU_DEP_3) | instskip(NEXT) | instid1(VALU_DEP_4)
	v_add_co_u32 v28, vcc_lo, s10, v32
	v_add_co_ci_u32_e32 v29, vcc_lo, s11, v33, vcc_lo
	s_and_saveexec_b32 s8, s14
	s_cbranch_execnz .LBB65_308
; %bb.305:
	s_or_b32 exec_lo, exec_lo, s8
	s_and_b32 s14, s1, s4
	s_delay_alu instid0(SALU_CYCLE_1)
	s_and_saveexec_b32 s8, s14
	s_cbranch_execnz .LBB65_312
.LBB65_306:
	s_or_b32 exec_lo, exec_lo, s8
	s_and_b32 s14, s2, s4
	s_delay_alu instid0(SALU_CYCLE_1)
	s_and_saveexec_b32 s8, s14
	s_cbranch_execnz .LBB65_316
.LBB65_307:
	s_or_b32 exec_lo, exec_lo, s8
	s_and_b32 s8, s3, s4
	s_delay_alu instid0(SALU_CYCLE_1)
	s_and_saveexec_b32 s4, s8
	s_cbranch_execnz .LBB65_320
	s_branch .LBB65_324
.LBB65_308:
	v_cmp_ne_u32_e32 vcc_lo, 1, v88
	s_cbranch_vccnz .LBB65_310
; %bb.309:
	v_lshlrev_b64 v[32:33], 2, v[80:81]
	s_delay_alu instid0(VALU_DEP_1) | instskip(NEXT) | instid1(VALU_DEP_2)
	v_add_co_u32 v32, vcc_lo, v30, v32
	v_add_co_ci_u32_e32 v33, vcc_lo, v31, v33, vcc_lo
	flat_load_b32 v32, v[32:33]
	s_waitcnt vmcnt(0) lgkmcnt(0)
	v_mul_f32_e32 v32, s7, v32
	s_branch .LBB65_311
.LBB65_310:
	v_mov_b32_e32 v32, 0
.LBB65_311:
	v_dual_add_f32 v33, v17, v25 :: v_dual_add_f32 v34, v16, v24
	v_dual_add_f32 v35, v19, v27 :: v_dual_add_f32 v36, v18, v26
	s_delay_alu instid0(VALU_DEP_2) | instskip(SKIP_1) | instid1(VALU_DEP_3)
	v_min3_f32 v37, v34, v33, v101
	v_lshlrev_b64 v[33:34], 2, v[80:81]
	v_min_f32_e32 v35, v36, v35
	s_delay_alu instid0(VALU_DEP_1) | instskip(NEXT) | instid1(VALU_DEP_3)
	v_min3_f32 v35, v32, v35, v37
	v_add_co_u32 v32, vcc_lo, v28, v33
	s_delay_alu instid0(VALU_DEP_4) | instskip(SKIP_3) | instid1(SALU_CYCLE_1)
	v_add_co_ci_u32_e32 v33, vcc_lo, v29, v34, vcc_lo
	global_store_b32 v[32:33], v35, off
	s_or_b32 exec_lo, exec_lo, s8
	s_and_b32 s14, s1, s4
	s_and_saveexec_b32 s8, s14
	s_cbranch_execz .LBB65_306
.LBB65_312:
	v_cmp_ne_u32_e32 vcc_lo, 1, v88
	s_cbranch_vccnz .LBB65_314
; %bb.313:
	v_lshlrev_b64 v[32:33], 2, v[82:83]
	s_delay_alu instid0(VALU_DEP_1) | instskip(NEXT) | instid1(VALU_DEP_2)
	v_add_co_u32 v32, vcc_lo, v30, v32
	v_add_co_ci_u32_e32 v33, vcc_lo, v31, v33, vcc_lo
	flat_load_b32 v32, v[32:33]
	s_waitcnt vmcnt(0) lgkmcnt(0)
	v_mul_f32_e32 v32, s7, v32
	s_branch .LBB65_315
.LBB65_314:
	v_mov_b32_e32 v32, 0
.LBB65_315:
	v_dual_add_f32 v33, v13, v25 :: v_dual_add_f32 v34, v12, v24
	v_dual_add_f32 v35, v15, v27 :: v_dual_add_f32 v36, v14, v26
	s_delay_alu instid0(VALU_DEP_2) | instskip(SKIP_1) | instid1(VALU_DEP_3)
	v_min3_f32 v37, v34, v33, v99
	v_lshlrev_b64 v[33:34], 2, v[82:83]
	v_min_f32_e32 v35, v36, v35
	s_delay_alu instid0(VALU_DEP_1) | instskip(NEXT) | instid1(VALU_DEP_3)
	v_min3_f32 v35, v32, v35, v37
	v_add_co_u32 v32, vcc_lo, v28, v33
	s_delay_alu instid0(VALU_DEP_4) | instskip(SKIP_3) | instid1(SALU_CYCLE_1)
	v_add_co_ci_u32_e32 v33, vcc_lo, v29, v34, vcc_lo
	global_store_b32 v[32:33], v35, off
	s_or_b32 exec_lo, exec_lo, s8
	s_and_b32 s14, s2, s4
	s_and_saveexec_b32 s8, s14
	s_cbranch_execz .LBB65_307
.LBB65_316:
	v_cmp_ne_u32_e32 vcc_lo, 1, v88
	s_cbranch_vccnz .LBB65_318
; %bb.317:
	v_lshlrev_b64 v[32:33], 2, v[84:85]
	s_delay_alu instid0(VALU_DEP_1) | instskip(NEXT) | instid1(VALU_DEP_2)
	v_add_co_u32 v32, vcc_lo, v30, v32
	v_add_co_ci_u32_e32 v33, vcc_lo, v31, v33, vcc_lo
	flat_load_b32 v32, v[32:33]
	s_waitcnt vmcnt(0) lgkmcnt(0)
	v_mul_f32_e32 v32, s7, v32
	s_branch .LBB65_319
.LBB65_318:
	v_mov_b32_e32 v32, 0
.LBB65_319:
	v_dual_add_f32 v33, v5, v25 :: v_dual_add_f32 v34, v4, v24
	v_dual_add_f32 v35, v7, v27 :: v_dual_add_f32 v36, v6, v26
	s_delay_alu instid0(VALU_DEP_2) | instskip(SKIP_1) | instid1(VALU_DEP_3)
	v_min3_f32 v37, v34, v33, v98
	v_lshlrev_b64 v[33:34], 2, v[84:85]
	v_min_f32_e32 v35, v36, v35
	s_delay_alu instid0(VALU_DEP_1) | instskip(NEXT) | instid1(VALU_DEP_3)
	v_min3_f32 v35, v32, v35, v37
	v_add_co_u32 v32, vcc_lo, v28, v33
	s_delay_alu instid0(VALU_DEP_4) | instskip(SKIP_3) | instid1(SALU_CYCLE_1)
	v_add_co_ci_u32_e32 v33, vcc_lo, v29, v34, vcc_lo
	global_store_b32 v[32:33], v35, off
	s_or_b32 exec_lo, exec_lo, s8
	s_and_b32 s8, s3, s4
	s_and_saveexec_b32 s4, s8
	s_cbranch_execz .LBB65_324
.LBB65_320:
	v_cmp_ne_u32_e32 vcc_lo, 1, v88
	s_cbranch_vccnz .LBB65_322
; %bb.321:
	v_lshlrev_b64 v[32:33], 2, v[86:87]
	s_delay_alu instid0(VALU_DEP_1) | instskip(NEXT) | instid1(VALU_DEP_2)
	v_add_co_u32 v30, vcc_lo, v30, v32
	v_add_co_ci_u32_e32 v31, vcc_lo, v31, v33, vcc_lo
	flat_load_b32 v30, v[30:31]
	s_waitcnt vmcnt(0) lgkmcnt(0)
	v_mul_f32_e32 v30, s7, v30
	s_branch .LBB65_323
.LBB65_322:
	v_mov_b32_e32 v30, 0
.LBB65_323:
	v_dual_add_f32 v25, v1, v25 :: v_dual_add_f32 v24, v0, v24
	v_dual_add_f32 v27, v3, v27 :: v_dual_add_f32 v26, v2, v26
	s_delay_alu instid0(VALU_DEP_2) | instskip(SKIP_1) | instid1(VALU_DEP_3)
	v_min3_f32 v31, v24, v25, v97
	v_lshlrev_b64 v[24:25], 2, v[86:87]
	v_min_f32_e32 v26, v26, v27
	s_delay_alu instid0(VALU_DEP_1) | instskip(NEXT) | instid1(VALU_DEP_3)
	v_min3_f32 v26, v30, v26, v31
	v_add_co_u32 v24, vcc_lo, v28, v24
	s_delay_alu instid0(VALU_DEP_4)
	v_add_co_ci_u32_e32 v25, vcc_lo, v29, v25, vcc_lo
	global_store_b32 v[24:25], v26, off
.LBB65_324:
	s_or_b32 exec_lo, exec_lo, s4
	v_add_nc_u32_e32 v28, 0x70, v89
	s_delay_alu instid0(VALU_DEP_1) | instskip(SKIP_2) | instid1(VALU_DEP_3)
	v_mad_i64_i32 v[24:25], null, v28, s6, 0
	v_mad_i64_i32 v[26:27], null, v28, s5, 0
	v_cmp_gt_i32_e64 s4, s9, v28
	v_lshlrev_b64 v[24:25], 2, v[24:25]
	s_delay_alu instid0(VALU_DEP_2) | instskip(NEXT) | instid1(VALU_DEP_3)
	s_and_b32 s14, s0, s4
	v_lshlrev_b64 v[28:29], 2, v[26:27]
	s_delay_alu instid0(VALU_DEP_2) | instskip(NEXT) | instid1(VALU_DEP_3)
	v_add_co_u32 v26, vcc_lo, s12, v24
	v_add_co_ci_u32_e32 v27, vcc_lo, s13, v25, vcc_lo
	s_delay_alu instid0(VALU_DEP_3) | instskip(NEXT) | instid1(VALU_DEP_4)
	v_add_co_u32 v24, vcc_lo, s10, v28
	v_add_co_ci_u32_e32 v25, vcc_lo, s11, v29, vcc_lo
	s_and_saveexec_b32 s8, s14
	s_cbranch_execnz .LBB65_328
; %bb.325:
	s_or_b32 exec_lo, exec_lo, s8
	s_and_b32 s14, s1, s4
	s_delay_alu instid0(SALU_CYCLE_1)
	s_and_saveexec_b32 s8, s14
	s_cbranch_execnz .LBB65_332
.LBB65_326:
	s_or_b32 exec_lo, exec_lo, s8
	s_and_b32 s14, s2, s4
	s_delay_alu instid0(SALU_CYCLE_1)
	s_and_saveexec_b32 s8, s14
	s_cbranch_execnz .LBB65_336
.LBB65_327:
	s_or_b32 exec_lo, exec_lo, s8
	s_and_b32 s8, s3, s4
	s_delay_alu instid0(SALU_CYCLE_1)
	s_and_saveexec_b32 s4, s8
	s_cbranch_execnz .LBB65_340
	s_branch .LBB65_344
.LBB65_328:
	v_cmp_ne_u32_e32 vcc_lo, 1, v88
	s_cbranch_vccnz .LBB65_330
; %bb.329:
	v_lshlrev_b64 v[28:29], 2, v[80:81]
	s_delay_alu instid0(VALU_DEP_1) | instskip(NEXT) | instid1(VALU_DEP_2)
	v_add_co_u32 v28, vcc_lo, v26, v28
	v_add_co_ci_u32_e32 v29, vcc_lo, v27, v29, vcc_lo
	flat_load_b32 v28, v[28:29]
	s_waitcnt vmcnt(0) lgkmcnt(0)
	v_mul_f32_e32 v28, s7, v28
	s_branch .LBB65_331
.LBB65_330:
	v_mov_b32_e32 v28, 0
.LBB65_331:
	v_dual_add_f32 v29, v17, v21 :: v_dual_add_f32 v30, v16, v20
	v_dual_add_f32 v31, v19, v23 :: v_dual_add_f32 v32, v18, v22
	s_delay_alu instid0(VALU_DEP_2) | instskip(SKIP_1) | instid1(VALU_DEP_3)
	v_min3_f32 v33, v30, v29, v96
	v_lshlrev_b64 v[29:30], 2, v[80:81]
	v_min_f32_e32 v31, v32, v31
	s_delay_alu instid0(VALU_DEP_1) | instskip(NEXT) | instid1(VALU_DEP_3)
	v_min3_f32 v31, v28, v31, v33
	v_add_co_u32 v28, vcc_lo, v24, v29
	s_delay_alu instid0(VALU_DEP_4) | instskip(SKIP_3) | instid1(SALU_CYCLE_1)
	v_add_co_ci_u32_e32 v29, vcc_lo, v25, v30, vcc_lo
	global_store_b32 v[28:29], v31, off
	s_or_b32 exec_lo, exec_lo, s8
	s_and_b32 s14, s1, s4
	s_and_saveexec_b32 s8, s14
	s_cbranch_execz .LBB65_326
.LBB65_332:
	v_cmp_ne_u32_e32 vcc_lo, 1, v88
	s_cbranch_vccnz .LBB65_334
; %bb.333:
	v_lshlrev_b64 v[28:29], 2, v[82:83]
	s_delay_alu instid0(VALU_DEP_1) | instskip(NEXT) | instid1(VALU_DEP_2)
	v_add_co_u32 v28, vcc_lo, v26, v28
	v_add_co_ci_u32_e32 v29, vcc_lo, v27, v29, vcc_lo
	flat_load_b32 v28, v[28:29]
	s_waitcnt vmcnt(0) lgkmcnt(0)
	v_mul_f32_e32 v28, s7, v28
	s_branch .LBB65_335
.LBB65_334:
	v_mov_b32_e32 v28, 0
.LBB65_335:
	v_dual_add_f32 v29, v13, v21 :: v_dual_add_f32 v30, v12, v20
	v_dual_add_f32 v31, v15, v23 :: v_dual_add_f32 v32, v14, v22
	s_delay_alu instid0(VALU_DEP_2) | instskip(SKIP_1) | instid1(VALU_DEP_3)
	v_min3_f32 v33, v30, v29, v95
	v_lshlrev_b64 v[29:30], 2, v[82:83]
	v_min_f32_e32 v31, v32, v31
	s_delay_alu instid0(VALU_DEP_1) | instskip(NEXT) | instid1(VALU_DEP_3)
	v_min3_f32 v31, v28, v31, v33
	v_add_co_u32 v28, vcc_lo, v24, v29
	s_delay_alu instid0(VALU_DEP_4) | instskip(SKIP_3) | instid1(SALU_CYCLE_1)
	v_add_co_ci_u32_e32 v29, vcc_lo, v25, v30, vcc_lo
	global_store_b32 v[28:29], v31, off
	s_or_b32 exec_lo, exec_lo, s8
	s_and_b32 s14, s2, s4
	s_and_saveexec_b32 s8, s14
	s_cbranch_execz .LBB65_327
.LBB65_336:
	v_cmp_ne_u32_e32 vcc_lo, 1, v88
	s_cbranch_vccnz .LBB65_338
; %bb.337:
	v_lshlrev_b64 v[28:29], 2, v[84:85]
	s_delay_alu instid0(VALU_DEP_1) | instskip(NEXT) | instid1(VALU_DEP_2)
	v_add_co_u32 v28, vcc_lo, v26, v28
	v_add_co_ci_u32_e32 v29, vcc_lo, v27, v29, vcc_lo
	flat_load_b32 v28, v[28:29]
	s_waitcnt vmcnt(0) lgkmcnt(0)
	v_mul_f32_e32 v28, s7, v28
	s_branch .LBB65_339
.LBB65_338:
	v_mov_b32_e32 v28, 0
.LBB65_339:
	v_dual_add_f32 v29, v5, v21 :: v_dual_add_f32 v30, v4, v20
	v_dual_add_f32 v31, v7, v23 :: v_dual_add_f32 v32, v6, v22
	s_delay_alu instid0(VALU_DEP_2) | instskip(SKIP_1) | instid1(VALU_DEP_3)
	v_min3_f32 v33, v30, v29, v94
	v_lshlrev_b64 v[29:30], 2, v[84:85]
	v_min_f32_e32 v31, v32, v31
	s_delay_alu instid0(VALU_DEP_1) | instskip(NEXT) | instid1(VALU_DEP_3)
	v_min3_f32 v31, v28, v31, v33
	v_add_co_u32 v28, vcc_lo, v24, v29
	s_delay_alu instid0(VALU_DEP_4) | instskip(SKIP_3) | instid1(SALU_CYCLE_1)
	v_add_co_ci_u32_e32 v29, vcc_lo, v25, v30, vcc_lo
	global_store_b32 v[28:29], v31, off
	s_or_b32 exec_lo, exec_lo, s8
	s_and_b32 s8, s3, s4
	s_and_saveexec_b32 s4, s8
	s_cbranch_execz .LBB65_344
.LBB65_340:
	v_cmp_ne_u32_e32 vcc_lo, 1, v88
	s_cbranch_vccnz .LBB65_342
; %bb.341:
	v_lshlrev_b64 v[28:29], 2, v[86:87]
	s_delay_alu instid0(VALU_DEP_1) | instskip(NEXT) | instid1(VALU_DEP_2)
	v_add_co_u32 v26, vcc_lo, v26, v28
	v_add_co_ci_u32_e32 v27, vcc_lo, v27, v29, vcc_lo
	flat_load_b32 v26, v[26:27]
	s_waitcnt vmcnt(0) lgkmcnt(0)
	v_mul_f32_e32 v26, s7, v26
	s_branch .LBB65_343
.LBB65_342:
	v_mov_b32_e32 v26, 0
.LBB65_343:
	v_dual_add_f32 v21, v1, v21 :: v_dual_add_f32 v20, v0, v20
	v_dual_add_f32 v23, v3, v23 :: v_dual_add_f32 v22, v2, v22
	s_delay_alu instid0(VALU_DEP_2) | instskip(SKIP_1) | instid1(VALU_DEP_3)
	v_min3_f32 v27, v20, v21, v93
	v_lshlrev_b64 v[20:21], 2, v[86:87]
	v_min_f32_e32 v22, v22, v23
	s_delay_alu instid0(VALU_DEP_1) | instskip(NEXT) | instid1(VALU_DEP_3)
	v_min3_f32 v22, v26, v22, v27
	v_add_co_u32 v20, vcc_lo, v24, v20
	s_delay_alu instid0(VALU_DEP_4)
	v_add_co_ci_u32_e32 v21, vcc_lo, v25, v21, vcc_lo
	global_store_b32 v[20:21], v22, off
.LBB65_344:
	s_or_b32 exec_lo, exec_lo, s4
	v_add_nc_u32_e32 v24, 0x78, v89
	s_delay_alu instid0(VALU_DEP_1) | instskip(SKIP_2) | instid1(VALU_DEP_3)
	v_mad_i64_i32 v[20:21], null, v24, s6, 0
	v_mad_i64_i32 v[22:23], null, v24, s5, 0
	v_cmp_gt_i32_e64 s4, s9, v24
	v_lshlrev_b64 v[20:21], 2, v[20:21]
	s_delay_alu instid0(VALU_DEP_2) | instskip(NEXT) | instid1(VALU_DEP_3)
	s_and_b32 s5, s0, s4
	v_lshlrev_b64 v[22:23], 2, v[22:23]
	s_delay_alu instid0(VALU_DEP_2) | instskip(NEXT) | instid1(VALU_DEP_3)
	v_add_co_u32 v24, vcc_lo, s12, v20
	v_add_co_ci_u32_e32 v25, vcc_lo, s13, v21, vcc_lo
	s_delay_alu instid0(VALU_DEP_3) | instskip(NEXT) | instid1(VALU_DEP_4)
	v_add_co_u32 v22, vcc_lo, s10, v22
	v_add_co_ci_u32_e32 v23, vcc_lo, s11, v23, vcc_lo
	s_and_saveexec_b32 s0, s5
	s_cbranch_execnz .LBB65_349
; %bb.345:
	s_or_b32 exec_lo, exec_lo, s0
	s_and_b32 s1, s1, s4
	s_delay_alu instid0(SALU_CYCLE_1)
	s_and_saveexec_b32 s0, s1
	s_cbranch_execnz .LBB65_353
.LBB65_346:
	s_or_b32 exec_lo, exec_lo, s0
	s_and_b32 s1, s2, s4
	s_delay_alu instid0(SALU_CYCLE_1)
	s_and_saveexec_b32 s0, s1
	s_cbranch_execnz .LBB65_357
.LBB65_347:
	s_or_b32 exec_lo, exec_lo, s0
	s_and_b32 s0, s3, s4
	s_delay_alu instid0(SALU_CYCLE_1)
	s_and_saveexec_b32 s1, s0
	s_cbranch_execnz .LBB65_361
.LBB65_348:
	s_nop 0
	s_sendmsg sendmsg(MSG_DEALLOC_VGPRS)
	s_endpgm
.LBB65_349:
	v_cmp_ne_u32_e32 vcc_lo, 1, v88
	v_lshlrev_b64 v[20:21], 2, v[80:81]
	s_cbranch_vccnz .LBB65_351
; %bb.350:
	s_delay_alu instid0(VALU_DEP_1) | instskip(NEXT) | instid1(VALU_DEP_2)
	v_add_co_u32 v26, vcc_lo, v24, v20
	v_add_co_ci_u32_e32 v27, vcc_lo, v25, v21, vcc_lo
	flat_load_b32 v26, v[26:27]
	s_waitcnt vmcnt(0) lgkmcnt(0)
	v_mul_f32_e32 v26, s7, v26
	s_branch .LBB65_352
.LBB65_351:
	v_mov_b32_e32 v26, 0
.LBB65_352:
	v_dual_add_f32 v17, v17, v9 :: v_dual_add_f32 v16, v16, v8
	v_dual_add_f32 v19, v19, v11 :: v_dual_add_f32 v18, v18, v10
	s_delay_alu instid0(VALU_DEP_2) | instskip(NEXT) | instid1(VALU_DEP_2)
	v_min3_f32 v16, v16, v17, v92
	v_min_f32_e32 v17, v18, v19
	s_delay_alu instid0(VALU_DEP_1)
	v_min3_f32 v18, v26, v17, v16
	v_add_co_u32 v16, vcc_lo, v22, v20
	v_add_co_ci_u32_e32 v17, vcc_lo, v23, v21, vcc_lo
	global_store_b32 v[16:17], v18, off
	s_or_b32 exec_lo, exec_lo, s0
	s_and_b32 s1, s1, s4
	s_delay_alu instid0(SALU_CYCLE_1)
	s_and_saveexec_b32 s0, s1
	s_cbranch_execz .LBB65_346
.LBB65_353:
	v_cmp_ne_u32_e32 vcc_lo, 1, v88
	v_lshlrev_b64 v[16:17], 2, v[82:83]
	s_cbranch_vccnz .LBB65_355
; %bb.354:
	s_delay_alu instid0(VALU_DEP_1) | instskip(NEXT) | instid1(VALU_DEP_2)
	v_add_co_u32 v18, vcc_lo, v24, v16
	v_add_co_ci_u32_e32 v19, vcc_lo, v25, v17, vcc_lo
	flat_load_b32 v18, v[18:19]
	s_waitcnt vmcnt(0) lgkmcnt(0)
	v_mul_f32_e32 v18, s7, v18
	s_branch .LBB65_356
.LBB65_355:
	v_mov_b32_e32 v18, 0
.LBB65_356:
	v_dual_add_f32 v13, v13, v9 :: v_dual_add_f32 v12, v12, v8
	v_dual_add_f32 v15, v15, v11 :: v_dual_add_f32 v14, v14, v10
	s_delay_alu instid0(VALU_DEP_2) | instskip(NEXT) | instid1(VALU_DEP_2)
	v_min3_f32 v12, v12, v13, v91
	v_min_f32_e32 v13, v14, v15
	s_delay_alu instid0(VALU_DEP_1)
	v_min3_f32 v14, v18, v13, v12
	v_add_co_u32 v12, vcc_lo, v22, v16
	v_add_co_ci_u32_e32 v13, vcc_lo, v23, v17, vcc_lo
	global_store_b32 v[12:13], v14, off
	s_or_b32 exec_lo, exec_lo, s0
	s_and_b32 s1, s2, s4
	s_delay_alu instid0(SALU_CYCLE_1)
	s_and_saveexec_b32 s0, s1
	s_cbranch_execz .LBB65_347
.LBB65_357:
	v_cmp_ne_u32_e32 vcc_lo, 1, v88
	v_lshlrev_b64 v[12:13], 2, v[84:85]
	s_cbranch_vccnz .LBB65_359
; %bb.358:
	s_delay_alu instid0(VALU_DEP_1) | instskip(NEXT) | instid1(VALU_DEP_2)
	v_add_co_u32 v14, vcc_lo, v24, v12
	v_add_co_ci_u32_e32 v15, vcc_lo, v25, v13, vcc_lo
	flat_load_b32 v14, v[14:15]
	s_waitcnt vmcnt(0) lgkmcnt(0)
	v_mul_f32_e32 v14, s7, v14
	s_branch .LBB65_360
.LBB65_359:
	v_mov_b32_e32 v14, 0
.LBB65_360:
	v_dual_add_f32 v5, v5, v9 :: v_dual_add_f32 v4, v4, v8
	v_dual_add_f32 v7, v7, v11 :: v_dual_add_f32 v6, v6, v10
	s_delay_alu instid0(VALU_DEP_2) | instskip(NEXT) | instid1(VALU_DEP_2)
	v_min3_f32 v4, v4, v5, v90
	v_min_f32_e32 v5, v6, v7
	s_delay_alu instid0(VALU_DEP_1)
	v_min3_f32 v6, v14, v5, v4
	v_add_co_u32 v4, vcc_lo, v22, v12
	v_add_co_ci_u32_e32 v5, vcc_lo, v23, v13, vcc_lo
	global_store_b32 v[4:5], v6, off
	s_or_b32 exec_lo, exec_lo, s0
	s_and_b32 s0, s3, s4
	s_delay_alu instid0(SALU_CYCLE_1)
	s_and_saveexec_b32 s1, s0
	s_cbranch_execz .LBB65_348
.LBB65_361:
	v_cmp_ne_u32_e32 vcc_lo, 1, v88
	v_lshlrev_b64 v[4:5], 2, v[86:87]
	s_cbranch_vccnz .LBB65_363
; %bb.362:
	s_delay_alu instid0(VALU_DEP_1) | instskip(NEXT) | instid1(VALU_DEP_2)
	v_add_co_u32 v6, vcc_lo, v24, v4
	v_add_co_ci_u32_e32 v7, vcc_lo, v25, v5, vcc_lo
	flat_load_b32 v6, v[6:7]
	s_waitcnt vmcnt(0) lgkmcnt(0)
	v_mul_f32_e32 v6, s7, v6
	s_branch .LBB65_364
.LBB65_363:
	v_mov_b32_e32 v6, 0
.LBB65_364:
	v_dual_add_f32 v1, v1, v9 :: v_dual_add_f32 v0, v0, v8
	v_dual_add_f32 v3, v3, v11 :: v_dual_add_f32 v2, v2, v10
	s_delay_alu instid0(VALU_DEP_2) | instskip(NEXT) | instid1(VALU_DEP_2)
	v_min3_f32 v0, v0, v1, v100
	v_min_f32_e32 v1, v2, v3
	s_delay_alu instid0(VALU_DEP_1)
	v_min3_f32 v2, v6, v1, v0
	v_add_co_u32 v0, vcc_lo, v22, v4
	v_add_co_ci_u32_e32 v1, vcc_lo, v23, v5, vcc_lo
	global_store_b32 v[0:1], v2, off
	s_nop 0
	s_sendmsg sendmsg(MSG_DEALLOC_VGPRS)
	s_endpgm
	.section	.rodata,"a",@progbits
	.p2align	6, 0x0
	.amdhsa_kernel _ZN12_GLOBAL__N_120geam_min_plus_kernelIf15HIP_vector_typeIfLj2EEfLi32ELi8ELi128ELi128ELi4ELi4ELi64ELi4ELi64ELc84ELc78ELb0ELb1ELb1EfKffEEviiiT16_PT17_ilS6_ilS4_S6_ilPT18_ili26rocblas_geam_ex_operation_
		.amdhsa_group_segment_fixed_size 8192
		.amdhsa_private_segment_fixed_size 0
		.amdhsa_kernarg_size 128
		.amdhsa_user_sgpr_count 14
		.amdhsa_user_sgpr_dispatch_ptr 0
		.amdhsa_user_sgpr_queue_ptr 0
		.amdhsa_user_sgpr_kernarg_segment_ptr 1
		.amdhsa_user_sgpr_dispatch_id 0
		.amdhsa_user_sgpr_private_segment_size 0
		.amdhsa_wavefront_size32 1
		.amdhsa_uses_dynamic_stack 0
		.amdhsa_enable_private_segment 0
		.amdhsa_system_sgpr_workgroup_id_x 1
		.amdhsa_system_sgpr_workgroup_id_y 0
		.amdhsa_system_sgpr_workgroup_id_z 1
		.amdhsa_system_sgpr_workgroup_info 0
		.amdhsa_system_vgpr_workitem_id 1
		.amdhsa_next_free_vgpr 212
		.amdhsa_next_free_sgpr 30
		.amdhsa_reserve_vcc 1
		.amdhsa_float_round_mode_32 0
		.amdhsa_float_round_mode_16_64 0
		.amdhsa_float_denorm_mode_32 3
		.amdhsa_float_denorm_mode_16_64 3
		.amdhsa_dx10_clamp 1
		.amdhsa_ieee_mode 1
		.amdhsa_fp16_overflow 0
		.amdhsa_workgroup_processor_mode 1
		.amdhsa_memory_ordered 1
		.amdhsa_forward_progress 0
		.amdhsa_shared_vgpr_count 0
		.amdhsa_exception_fp_ieee_invalid_op 0
		.amdhsa_exception_fp_denorm_src 0
		.amdhsa_exception_fp_ieee_div_zero 0
		.amdhsa_exception_fp_ieee_overflow 0
		.amdhsa_exception_fp_ieee_underflow 0
		.amdhsa_exception_fp_ieee_inexact 0
		.amdhsa_exception_int_div_zero 0
	.end_amdhsa_kernel
	.section	.text._ZN12_GLOBAL__N_120geam_min_plus_kernelIf15HIP_vector_typeIfLj2EEfLi32ELi8ELi128ELi128ELi4ELi4ELi64ELi4ELi64ELc84ELc78ELb0ELb1ELb1EfKffEEviiiT16_PT17_ilS6_ilS4_S6_ilPT18_ili26rocblas_geam_ex_operation_,"axG",@progbits,_ZN12_GLOBAL__N_120geam_min_plus_kernelIf15HIP_vector_typeIfLj2EEfLi32ELi8ELi128ELi128ELi4ELi4ELi64ELi4ELi64ELc84ELc78ELb0ELb1ELb1EfKffEEviiiT16_PT17_ilS6_ilS4_S6_ilPT18_ili26rocblas_geam_ex_operation_,comdat
.Lfunc_end65:
	.size	_ZN12_GLOBAL__N_120geam_min_plus_kernelIf15HIP_vector_typeIfLj2EEfLi32ELi8ELi128ELi128ELi4ELi4ELi64ELi4ELi64ELc84ELc78ELb0ELb1ELb1EfKffEEviiiT16_PT17_ilS6_ilS4_S6_ilPT18_ili26rocblas_geam_ex_operation_, .Lfunc_end65-_ZN12_GLOBAL__N_120geam_min_plus_kernelIf15HIP_vector_typeIfLj2EEfLi32ELi8ELi128ELi128ELi4ELi4ELi64ELi4ELi64ELc84ELc78ELb0ELb1ELb1EfKffEEviiiT16_PT17_ilS6_ilS4_S6_ilPT18_ili26rocblas_geam_ex_operation_
                                        ; -- End function
	.section	.AMDGPU.csdata,"",@progbits
; Kernel info:
; codeLenInByte = 22080
; NumSgprs: 32
; NumVgprs: 212
; ScratchSize: 0
; MemoryBound: 0
; FloatMode: 240
; IeeeMode: 1
; LDSByteSize: 8192 bytes/workgroup (compile time only)
; SGPRBlocks: 3
; VGPRBlocks: 26
; NumSGPRsForWavesPerEU: 32
; NumVGPRsForWavesPerEU: 212
; Occupancy: 7
; WaveLimiterHint : 0
; COMPUTE_PGM_RSRC2:SCRATCH_EN: 0
; COMPUTE_PGM_RSRC2:USER_SGPR: 14
; COMPUTE_PGM_RSRC2:TRAP_HANDLER: 0
; COMPUTE_PGM_RSRC2:TGID_X_EN: 1
; COMPUTE_PGM_RSRC2:TGID_Y_EN: 0
; COMPUTE_PGM_RSRC2:TGID_Z_EN: 1
; COMPUTE_PGM_RSRC2:TIDIG_COMP_CNT: 1
	.section	.text._ZN12_GLOBAL__N_120geam_min_plus_kernelIf15HIP_vector_typeIfLj2EEfLi8ELi32ELi64ELi256ELi4ELi64ELi4ELi64ELi4ELc78ELc84ELb0ELb0ELb1EPKfS3_fEEviiiT16_PT17_ilS7_ilS5_S7_ilPT18_ili26rocblas_geam_ex_operation_,"axG",@progbits,_ZN12_GLOBAL__N_120geam_min_plus_kernelIf15HIP_vector_typeIfLj2EEfLi8ELi32ELi64ELi256ELi4ELi64ELi4ELi64ELi4ELc78ELc84ELb0ELb0ELb1EPKfS3_fEEviiiT16_PT17_ilS7_ilS5_S7_ilPT18_ili26rocblas_geam_ex_operation_,comdat
	.globl	_ZN12_GLOBAL__N_120geam_min_plus_kernelIf15HIP_vector_typeIfLj2EEfLi8ELi32ELi64ELi256ELi4ELi64ELi4ELi64ELi4ELc78ELc84ELb0ELb0ELb1EPKfS3_fEEviiiT16_PT17_ilS7_ilS5_S7_ilPT18_ili26rocblas_geam_ex_operation_ ; -- Begin function _ZN12_GLOBAL__N_120geam_min_plus_kernelIf15HIP_vector_typeIfLj2EEfLi8ELi32ELi64ELi256ELi4ELi64ELi4ELi64ELi4ELc78ELc84ELb0ELb0ELb1EPKfS3_fEEviiiT16_PT17_ilS7_ilS5_S7_ilPT18_ili26rocblas_geam_ex_operation_
	.p2align	8
	.type	_ZN12_GLOBAL__N_120geam_min_plus_kernelIf15HIP_vector_typeIfLj2EEfLi8ELi32ELi64ELi256ELi4ELi64ELi4ELi64ELi4ELc78ELc84ELb0ELb0ELb1EPKfS3_fEEviiiT16_PT17_ilS7_ilS5_S7_ilPT18_ili26rocblas_geam_ex_operation_,@function
_ZN12_GLOBAL__N_120geam_min_plus_kernelIf15HIP_vector_typeIfLj2EEfLi8ELi32ELi64ELi256ELi4ELi64ELi4ELi64ELi4ELc78ELc84ELb0ELb0ELb1EPKfS3_fEEviiiT16_PT17_ilS7_ilS5_S7_ilPT18_ili26rocblas_geam_ex_operation_: ; @_ZN12_GLOBAL__N_120geam_min_plus_kernelIf15HIP_vector_typeIfLj2EEfLi8ELi32ELi64ELi256ELi4ELi64ELi4ELi64ELi4ELc78ELc84ELb0ELb0ELb1EPKfS3_fEEviiiT16_PT17_ilS7_ilS5_S7_ilPT18_ili26rocblas_geam_ex_operation_
; %bb.0:
	s_clause 0x1
	s_load_b128 s[16:19], s[0:1], 0x10
	s_load_b128 s[4:7], s[0:1], 0x28
	s_mov_b32 s12, s15
	s_mov_b32 s13, 0
	s_delay_alu instid0(SALU_CYCLE_1)
	s_lshl_b64 s[2:3], s[12:13], 2
	s_waitcnt lgkmcnt(0)
	s_add_u32 s8, s16, s2
	s_addc_u32 s9, s17, s3
	s_mov_b64 s[16:17], 0
	s_load_b32 s23, s[8:9], 0x0
	s_clause 0x1
	s_load_b128 s[8:11], s[0:1], 0x40
	s_load_b64 s[20:21], s[0:1], 0x50
	s_waitcnt lgkmcnt(0)
	v_cmp_eq_f32_e64 s15, s23, 0
	v_cmp_neq_f32_e64 s22, s23, 0
	s_add_u32 s2, s10, s2
	s_addc_u32 s3, s11, s3
	s_mov_b64 s[10:11], 0
	s_and_b32 vcc_lo, exec_lo, s15
	s_cbranch_vccnz .LBB66_2
; %bb.1:
	s_mul_i32 s5, s12, s5
	s_mul_hi_u32 s13, s12, s4
	s_mul_i32 s4, s12, s4
	s_add_i32 s5, s13, s5
	s_delay_alu instid0(SALU_CYCLE_1) | instskip(NEXT) | instid1(SALU_CYCLE_1)
	s_lshl_b64 s[4:5], s[4:5], 2
	s_add_u32 s16, s18, s4
	s_addc_u32 s17, s19, s5
.LBB66_2:
	s_load_b32 s13, s[2:3], 0x0
	v_cndmask_b32_e64 v1, 0, 1, s22
	s_and_not1_b32 vcc_lo, exec_lo, s22
	s_delay_alu instid0(VALU_DEP_1)
	v_cmp_ne_u32_e64 s3, 1, v1
	s_cbranch_vccnz .LBB66_4
; %bb.3:
	s_mul_i32 s2, s12, s9
	s_mul_hi_u32 s4, s12, s8
	s_delay_alu instid0(SALU_CYCLE_1) | instskip(SKIP_1) | instid1(SALU_CYCLE_1)
	s_add_i32 s5, s4, s2
	s_mul_i32 s4, s12, s8
	s_lshl_b64 s[4:5], s[4:5], 2
	s_delay_alu instid0(SALU_CYCLE_1)
	s_add_u32 s10, s6, s4
	s_addc_u32 s11, s7, s5
.LBB66_4:
	s_load_b128 s[4:7], s[0:1], 0x60
	s_waitcnt lgkmcnt(0)
	v_cmp_eq_f32_e64 s2, s13, 0
	s_delay_alu instid0(VALU_DEP_1) | instskip(NEXT) | instid1(SALU_CYCLE_1)
	s_and_b32 s2, exec_lo, s2
	s_mov_b32 vcc_lo, s2
	s_cbranch_vccnz .LBB66_6
; %bb.5:
	s_mul_i32 s5, s12, s5
	s_mul_hi_u32 s8, s12, s4
	s_mul_i32 s4, s12, s4
	s_add_i32 s5, s8, s5
	s_delay_alu instid0(SALU_CYCLE_1) | instskip(NEXT) | instid1(SALU_CYCLE_1)
	s_lshl_b64 s[4:5], s[4:5], 2
	s_add_u32 s8, s20, s4
	s_addc_u32 s9, s21, s5
	s_branch .LBB66_7
.LBB66_6:
	s_mov_b64 s[8:9], 0
.LBB66_7:
	s_clause 0x1
	s_load_b32 s4, s[0:1], 0x0
	s_load_b32 s18, s[0:1], 0x20
	v_and_b32_e32 v17, 0x3ff, v0
	v_bfe_u32 v16, v0, 10, 10
	v_cndmask_b32_e64 v0, 0, 1, s15
	s_waitcnt lgkmcnt(0)
	s_add_i32 s4, s4, -1
	s_delay_alu instid0(SALU_CYCLE_1) | instskip(NEXT) | instid1(SALU_CYCLE_1)
	s_ashr_i32 s5, s4, 31
	s_lshr_b32 s5, s5, 26
	s_delay_alu instid0(SALU_CYCLE_1) | instskip(NEXT) | instid1(SALU_CYCLE_1)
	s_add_i32 s4, s4, s5
	s_ashr_i32 s4, s4, 6
	s_delay_alu instid0(SALU_CYCLE_1) | instskip(SKIP_2) | instid1(VALU_DEP_1)
	s_add_i32 s5, s4, 1
	s_not_b32 s4, s4
	v_cvt_f32_u32_e32 v1, s5
	v_rcp_iflag_f32_e32 v1, v1
	s_waitcnt_depctr 0xfff
	v_mul_f32_e32 v1, 0x4f7ffffe, v1
	s_delay_alu instid0(VALU_DEP_1) | instskip(NEXT) | instid1(VALU_DEP_1)
	v_cvt_u32_f32_e32 v1, v1
	v_readfirstlane_b32 s19, v1
	v_lshl_add_u32 v1, v16, 3, v17
	s_delay_alu instid0(VALU_DEP_2) | instskip(NEXT) | instid1(VALU_DEP_1)
	s_mul_i32 s4, s4, s19
	v_and_b32_e32 v12, 63, v1
	s_mul_hi_u32 s4, s19, s4
	v_lshrrev_b32_e32 v70, 6, v1
	s_add_i32 s19, s19, s4
	s_delay_alu instid0(SALU_CYCLE_1) | instskip(SKIP_4) | instid1(SALU_CYCLE_1)
	s_mul_hi_u32 s4, s14, s19
	s_ashr_i32 s19, s18, 31
	s_mul_i32 s20, s4, s5
	s_add_i32 s21, s4, 1
	s_sub_i32 s20, s14, s20
	s_sub_i32 s22, s20, s5
	s_cmp_ge_u32 s20, s5
	s_cselect_b32 s4, s21, s4
	s_cselect_b32 s20, s22, s20
	s_add_i32 s21, s4, 1
	s_cmp_ge_u32 s20, s5
	s_mov_b32 s20, -1
	s_cselect_b32 s22, s21, s4
	v_cmp_ne_u32_e64 s4, 1, v0
	s_mul_i32 s5, s22, s5
	s_and_not1_b32 vcc_lo, exec_lo, s15
	s_sub_i32 s21, s14, s5
	s_delay_alu instid0(SALU_CYCLE_1)
	s_lshl_b32 s15, s21, 6
	s_cbranch_vccnz .LBB66_10
; %bb.8:
	v_mov_b32_e32 v1, 0
	s_mov_b32 s20, 0
	v_or_b32_e32 v2, s15, v12
	s_delay_alu instid0(VALU_DEP_1)
	v_ashrrev_i32_e32 v3, 31, v2
	s_cbranch_execz .LBB66_11
.LBB66_9:
	v_mov_b32_e32 v6, s20
	s_branch .LBB66_12
.LBB66_10:
                                        ; implicit-def: $vgpr0_vgpr1
	v_or_b32_e32 v2, s15, v12
	s_and_not1_b32 vcc_lo, exec_lo, s20
	s_delay_alu instid0(VALU_DEP_1)
	v_ashrrev_i32_e32 v3, 31, v2
	s_cbranch_vccnz .LBB66_9
.LBB66_11:
	v_mad_i64_i32 v[0:1], null, s18, v70, 0
	s_delay_alu instid0(VALU_DEP_2) | instskip(NEXT) | instid1(VALU_DEP_2)
	v_lshlrev_b64 v[4:5], 2, v[2:3]
	v_lshlrev_b64 v[0:1], 2, v[0:1]
	s_delay_alu instid0(VALU_DEP_1) | instskip(NEXT) | instid1(VALU_DEP_2)
	v_add_co_u32 v0, vcc_lo, s16, v0
	v_add_co_ci_u32_e32 v1, vcc_lo, s17, v1, vcc_lo
	s_delay_alu instid0(VALU_DEP_2) | instskip(NEXT) | instid1(VALU_DEP_2)
	v_add_co_u32 v0, vcc_lo, v0, v4
	v_add_co_ci_u32_e32 v1, vcc_lo, v1, v5, vcc_lo
	flat_load_b32 v0, v[0:1]
	s_waitcnt vmcnt(0) lgkmcnt(0)
	v_dual_mov_b32 v1, 0 :: v_dual_mul_f32 v6, s23, v0
.LBB66_12:
	s_load_b32 s20, s[0:1], 0x38
	s_lshl_b32 s22, s22, 8
	s_waitcnt lgkmcnt(0)
	s_ashr_i32 s21, s20, 31
	v_mul_lo_u32 v4, v1, s20
	v_mad_u64_u32 v[0:1], null, v70, s20, 0
	v_mul_lo_u32 v5, v70, s21
	s_delay_alu instid0(VALU_DEP_1) | instskip(NEXT) | instid1(VALU_DEP_1)
	v_add3_u32 v1, v1, v5, v4
	v_lshlrev_b64 v[4:5], 2, v[0:1]
	v_or_b32_e32 v0, s22, v12
	s_delay_alu instid0(VALU_DEP_1) | instskip(NEXT) | instid1(VALU_DEP_3)
	v_ashrrev_i32_e32 v1, 31, v0
	v_add_co_u32 v4, vcc_lo, s10, v4
	s_delay_alu instid0(VALU_DEP_4)
	v_add_co_ci_u32_e32 v5, vcc_lo, s11, v5, vcc_lo
	s_and_b32 vcc_lo, exec_lo, s3
	s_cbranch_vccnz .LBB66_17
; %bb.13:
	v_lshlrev_b64 v[7:8], 2, v[0:1]
	s_delay_alu instid0(VALU_DEP_1) | instskip(NEXT) | instid1(VALU_DEP_2)
	v_add_co_u32 v7, vcc_lo, v4, v7
	v_add_co_ci_u32_e32 v8, vcc_lo, v5, v8, vcc_lo
	s_clause 0x1
	flat_load_b32 v9, v[7:8]
	flat_load_b32 v8, v[7:8] offset:256
	s_waitcnt vmcnt(0) lgkmcnt(0)
	v_dual_mul_f32 v7, s23, v9 :: v_dual_mul_f32 v8, s23, v8
	s_and_b32 vcc_lo, exec_lo, s3
	s_cbranch_vccnz .LBB66_18
.LBB66_14:
	v_lshlrev_b64 v[9:10], 2, v[0:1]
	s_delay_alu instid0(VALU_DEP_1) | instskip(NEXT) | instid1(VALU_DEP_2)
	v_add_co_u32 v4, vcc_lo, v4, v9
	v_add_co_ci_u32_e32 v5, vcc_lo, v5, v10, vcc_lo
	s_clause 0x1
	flat_load_b32 v9, v[4:5] offset:512
	flat_load_b32 v4, v[4:5] offset:768
	s_waitcnt vmcnt(0) lgkmcnt(0)
	v_dual_mul_f32 v9, s23, v9 :: v_dual_mul_f32 v10, s23, v4
	v_add_nc_u32_e32 v11, 4, v70
	s_and_b32 vcc_lo, exec_lo, s4
	s_cbranch_vccnz .LBB66_19
.LBB66_15:
	v_mov_b32_e32 v5, 0
	s_mov_b32 s4, 0
	s_cbranch_execz .LBB66_20
; %bb.16:
	v_mov_b32_e32 v2, s4
	s_branch .LBB66_21
.LBB66_17:
	v_dual_mov_b32 v7, 0 :: v_dual_mov_b32 v8, 0
	s_and_b32 vcc_lo, exec_lo, s3
	s_cbranch_vccz .LBB66_14
.LBB66_18:
	v_dual_mov_b32 v9, 0 :: v_dual_mov_b32 v10, 0
	v_add_nc_u32_e32 v11, 4, v70
	s_and_b32 vcc_lo, exec_lo, s4
	s_cbranch_vccz .LBB66_15
.LBB66_19:
	s_mov_b32 s4, -1
                                        ; implicit-def: $vgpr4_vgpr5
.LBB66_20:
	s_delay_alu instid0(VALU_DEP_1) | instskip(SKIP_1) | instid1(VALU_DEP_2)
	v_mad_i64_i32 v[4:5], null, s18, v11, 0
	v_lshlrev_b64 v[2:3], 2, v[2:3]
	v_lshlrev_b64 v[4:5], 2, v[4:5]
	s_delay_alu instid0(VALU_DEP_1) | instskip(NEXT) | instid1(VALU_DEP_2)
	v_add_co_u32 v4, vcc_lo, s16, v4
	v_add_co_ci_u32_e32 v5, vcc_lo, s17, v5, vcc_lo
	s_delay_alu instid0(VALU_DEP_2) | instskip(NEXT) | instid1(VALU_DEP_2)
	v_add_co_u32 v2, vcc_lo, v4, v2
	v_add_co_ci_u32_e32 v3, vcc_lo, v5, v3, vcc_lo
	flat_load_b32 v2, v[2:3]
	s_waitcnt vmcnt(0) lgkmcnt(0)
	v_dual_mov_b32 v5, 0 :: v_dual_mul_f32 v2, s23, v2
.LBB66_21:
	scratch_store_b32 off, v2, off          ; 4-byte Folded Spill
	v_mul_lo_u32 v4, v5, s20
	v_mul_lo_u32 v5, v11, s21
	v_mad_u64_u32 v[2:3], null, v11, s20, 0
	s_delay_alu instid0(VALU_DEP_1) | instskip(NEXT) | instid1(VALU_DEP_1)
	v_add3_u32 v3, v3, v5, v4
	v_lshlrev_b64 v[2:3], 2, v[2:3]
	s_delay_alu instid0(VALU_DEP_1) | instskip(NEXT) | instid1(VALU_DEP_2)
	v_add_co_u32 v2, vcc_lo, s10, v2
	v_add_co_ci_u32_e32 v3, vcc_lo, s11, v3, vcc_lo
	s_and_b32 vcc_lo, exec_lo, s3
	s_cbranch_vccnz .LBB66_24
; %bb.22:
	v_lshlrev_b64 v[4:5], 2, v[0:1]
	s_delay_alu instid0(VALU_DEP_1) | instskip(NEXT) | instid1(VALU_DEP_2)
	v_add_co_u32 v4, vcc_lo, v2, v4
	v_add_co_ci_u32_e32 v5, vcc_lo, v3, v5, vcc_lo
	s_clause 0x1
	flat_load_b32 v11, v[4:5]
	flat_load_b32 v4, v[4:5] offset:256
	s_waitcnt vmcnt(0) lgkmcnt(0)
	v_dual_mul_f32 v5, s23, v11 :: v_dual_mul_f32 v4, s23, v4
	scratch_store_b32 off, v5, off offset:4 ; 4-byte Folded Spill
	s_and_b32 vcc_lo, exec_lo, s3
	scratch_store_b32 off, v4, off offset:8 ; 4-byte Folded Spill
	s_cbranch_vccnz .LBB66_25
.LBB66_23:
	v_lshlrev_b64 v[0:1], 2, v[0:1]
	s_delay_alu instid0(VALU_DEP_1) | instskip(NEXT) | instid1(VALU_DEP_2)
	v_add_co_u32 v0, vcc_lo, v2, v0
	v_add_co_ci_u32_e32 v1, vcc_lo, v3, v1, vcc_lo
	s_clause 0x1
	flat_load_b32 v2, v[0:1] offset:512
	flat_load_b32 v0, v[0:1] offset:768
	s_waitcnt vmcnt(0) lgkmcnt(0)
	v_dual_mul_f32 v1, s23, v2 :: v_dual_mul_f32 v0, s23, v0
	scratch_store_b32 off, v1, off offset:12 ; 4-byte Folded Spill
	s_branch .LBB66_26
.LBB66_24:
	v_mov_b32_e32 v4, 0
	scratch_store_b32 off, v4, off offset:4 ; 4-byte Folded Spill
	v_mov_b32_e32 v4, 0
	s_and_b32 vcc_lo, exec_lo, s3
	scratch_store_b32 off, v4, off offset:8 ; 4-byte Folded Spill
	s_cbranch_vccz .LBB66_23
.LBB66_25:
	v_mov_b32_e32 v0, 0
	scratch_store_b32 off, v0, off offset:12 ; 4-byte Folded Spill
	v_mov_b32_e32 v0, 0
.LBB66_26:
	scratch_store_b32 off, v0, off offset:16 ; 4-byte Folded Spill
	v_lshlrev_b32_e32 v0, 2, v70
	v_lshlrev_b32_e32 v74, 4, v16
	;; [unrolled: 1-line block ×3, first 2 shown]
	s_load_b32 s4, s[0:1], 0x8
	s_delay_alu instid0(VALU_DEP_3)
	v_lshl_add_u32 v76, v12, 4, v0
	ds_store_2addr_stride64_b32 v76, v7, v8 offset1:4
	ds_store_2addr_stride64_b32 v76, v9, v10 offset0:8 offset1:12
	ds_store_b32 v76, v6 offset:8192
	s_waitcnt lgkmcnt(0)
	s_waitcnt_vscnt null, 0x0
	s_barrier
	buffer_gl0_inv
	ds_load_b128 v[23:26], v74
	ds_load_b128 v[0:3], v204 offset:8192
	scratch_store_b32 off, v12, off offset:60 ; 4-byte Folded Spill
	ds_load_b128 v[12:15], v204 offset:8320
	ds_load_b128 v[8:11], v204 offset:8448
	;; [unrolled: 1-line block ×4, first 2 shown]
	s_cmp_lt_i32 s4, 9
	s_waitcnt lgkmcnt(3)
	v_add_f32_e32 v78, v14, v25
	v_dual_add_f32 v18, v1, v24 :: v_dual_add_f32 v129, v15, v26
	s_waitcnt lgkmcnt(2)
	v_dual_add_f32 v148, v0, v23 :: v_dual_add_f32 v135, v11, v26
	v_add_f32_e32 v149, v8, v23
	scratch_store_b32 off, v18, off offset:28 ; 4-byte Folded Spill
	v_add_f32_e32 v18, v13, v24
	s_waitcnt lgkmcnt(0)
	v_dual_add_f32 v150, v3, v26 :: v_dual_add_f32 v87, v12, v27
	v_dual_add_f32 v128, v2, v25 :: v_dual_add_f32 v89, v8, v27
	scratch_store_b32 off, v18, off offset:32 ; 4-byte Folded Spill
	v_dual_add_f32 v18, v9, v24 :: v_dual_add_f32 v85, v0, v27
	v_dual_add_f32 v130, v7, v26 :: v_dual_add_f32 v103, v14, v29
	v_dual_add_f32 v84, v1, v28 :: v_dual_add_f32 v105, v10, v29
	scratch_store_b32 off, v18, off offset:36 ; 4-byte Folded Spill
	v_add_f32_e32 v18, v5, v24
	v_dual_add_f32 v86, v13, v28 :: v_dual_add_f32 v107, v6, v29
	v_add_f32_e32 v88, v9, v28
	v_add_f32_e32 v90, v5, v28
	scratch_store_b32 off, v18, off offset:40 ; 4-byte Folded Spill
	v_add_f32_e32 v18, v4, v23
	v_dual_add_f32 v91, v4, v27 :: v_dual_add_f32 v100, v3, v30
	v_dual_add_f32 v102, v15, v30 :: v_dual_add_f32 v101, v2, v29
	scratch_store_b32 off, v18, off offset:44 ; 4-byte Folded Spill
	ds_load_b128 v[31:34], v204 offset:8704
	ds_load_b128 v[35:38], v204 offset:8832
	v_add_f32_e32 v146, v12, v23
	v_add_f32_e32 v80, v10, v25
	;; [unrolled: 1-line block ×3, first 2 shown]
	s_waitcnt lgkmcnt(1)
	v_dual_add_f32 v106, v7, v30 :: v_dual_add_f32 v147, v32, v24
	s_waitcnt lgkmcnt(0)
	v_dual_add_f32 v18, v36, v24 :: v_dual_add_f32 v93, v31, v27
	v_add_f32_e32 v131, v34, v26
	v_add_f32_e32 v77, v33, v25
	;; [unrolled: 1-line block ×3, first 2 shown]
	scratch_store_b32 off, v18, off offset:48 ; 4-byte Folded Spill
	v_add_f32_e32 v18, v35, v23
	v_dual_add_f32 v92, v32, v28 :: v_dual_add_f32 v111, v37, v29
	v_add_f32_e32 v95, v35, v27
	v_add_f32_e32 v109, v33, v29
	scratch_store_b32 off, v18, off offset:52 ; 4-byte Folded Spill
	ds_load_b128 v[39:42], v204 offset:8960
	ds_load_b128 v[43:46], v204 offset:9088
	v_add_f32_e32 v144, v31, v23
	v_add_f32_e32 v82, v6, v25
	;; [unrolled: 1-line block ×5, first 2 shown]
	s_waitcnt lgkmcnt(1)
	v_dual_add_f32 v110, v38, v30 :: v_dual_add_f32 v145, v40, v24
	s_waitcnt lgkmcnt(0)
	v_dual_add_f32 v18, v44, v24 :: v_dual_add_f32 v137, v39, v23
	v_dual_add_f32 v136, v43, v23 :: v_dual_add_f32 v133, v42, v26
	v_add_f32_e32 v81, v41, v25
	scratch_store_b32 off, v18, off offset:56 ; 4-byte Folded Spill
	v_dual_add_f32 v134, v46, v26 :: v_dual_add_f32 v83, v45, v25
	v_dual_add_f32 v96, v40, v28 :: v_dual_add_f32 v115, v45, v29
	;; [unrolled: 1-line block ×5, first 2 shown]
	ds_load_b128 v[23:26], v74 offset:1024
	ds_load_b128 v[27:30], v74 offset:1536
	s_waitcnt lgkmcnt(1)
	v_dual_add_f32 v116, v1, v24 :: v_dual_add_f32 v127, v15, v26
	v_dual_add_f32 v117, v0, v23 :: v_dual_add_f32 v118, v13, v24
	v_add_f32_e32 v153, v11, v26
	v_dual_add_f32 v119, v12, v23 :: v_dual_add_f32 v120, v9, v24
	v_add_f32_e32 v155, v7, v26
	;; [unrolled: 2-line block ×3, first 2 shown]
	v_add_f32_e32 v123, v4, v23
	v_dual_add_f32 v125, v32, v24 :: v_dual_add_f32 v138, v31, v23
	v_add_f32_e32 v159, v38, v26
	v_dual_add_f32 v139, v36, v24 :: v_dual_add_f32 v140, v35, v23
	;; [unrolled: 2-line block ×3, first 2 shown]
	v_add_f32_e32 v163, v46, v26
	v_add_f32_e32 v143, v44, v24
	;; [unrolled: 1-line block ×3, first 2 shown]
	s_waitcnt lgkmcnt(0)
	v_dual_add_f32 v124, v3, v26 :: v_dual_add_f32 v169, v9, v28
	v_dual_add_f32 v126, v2, v25 :: v_dual_add_f32 v171, v5, v28
	;; [unrolled: 1-line block ×10, first 2 shown]
	v_add_f32_e32 v187, v7, v30
	v_dual_add_f32 v167, v13, v28 :: v_dual_add_f32 v168, v12, v27
	v_dual_add_f32 v189, v34, v30 :: v_dual_add_f32 v170, v8, v27
	;; [unrolled: 1-line block ×5, first 2 shown]
	v_add_f32_e32 v178, v39, v27
	v_add_f32_e32 v180, v43, v27
	;; [unrolled: 1-line block ×10, first 2 shown]
	ds_load_b128 v[23:26], v74 offset:2048
	ds_load_b128 v[27:30], v74 offset:2560
	s_clause 0x1
	scratch_store_b32 off, v16, off offset:20
	scratch_store_b32 off, v17, off offset:24
	s_waitcnt lgkmcnt(1)
	v_dual_add_f32 v197, v1, v24 :: v_dual_add_f32 v198, v0, v23
	v_add_f32_e32 v217, v11, v26
	v_dual_add_f32 v199, v13, v24 :: v_dual_add_f32 v200, v12, v23
	v_add_f32_e32 v219, v7, v26
	;; [unrolled: 2-line block ×3, first 2 shown]
	v_add_f32_e32 v203, v5, v24
	v_add_f32_e32 v71, v4, v23
	v_dual_add_f32 v205, v32, v24 :: v_dual_add_f32 v206, v31, v23
	v_add_f32_e32 v223, v38, v26
	v_dual_add_f32 v207, v36, v24 :: v_dual_add_f32 v208, v35, v23
	;; [unrolled: 2-line block ×4, first 2 shown]
	s_waitcnt lgkmcnt(0)
	v_add_f32_e32 v229, v1, v28
	v_dual_add_f32 v213, v3, v26 :: v_dual_add_f32 v214, v2, v25
	v_add_f32_e32 v231, v13, v28
	v_dual_add_f32 v215, v15, v26 :: v_dual_add_f32 v216, v14, v25
	v_dual_add_f32 v233, v9, v28 :: v_dual_add_f32 v218, v10, v25
	;; [unrolled: 1-line block ×15, first 2 shown]
	v_add_f32_e32 v246, v2, v29
	v_add_f32_e32 v248, v14, v29
	;; [unrolled: 1-line block ×8, first 2 shown]
	ds_load_b128 v[23:26], v74 offset:3072
	ds_load_b128 v[27:30], v74 offset:3584
	s_waitcnt lgkmcnt(1)
	v_add_f32_e32 v61, v3, v26
	v_add_f32_e32 v51, v0, v23
	v_dual_add_f32 v48, v12, v23 :: v_dual_add_f32 v21, v2, v25
	v_dual_add_f32 v50, v9, v24 :: v_dual_add_f32 v63, v10, v25
	;; [unrolled: 1-line block ×3, first 2 shown]
	v_add_f32_e32 v55, v4, v23
	v_dual_add_f32 v20, v31, v23 :: v_dual_add_f32 v67, v33, v25
	v_dual_add_f32 v58, v35, v23 :: v_dual_add_f32 v19, v42, v26
	v_add_f32_e32 v59, v39, v23
	v_dual_add_f32 v23, v43, v23 :: v_dual_add_f32 v62, v14, v25
	s_waitcnt lgkmcnt(0)
	v_dual_add_f32 v3, v3, v30 :: v_dual_add_f32 v16, v6, v25
	v_dual_add_f32 v0, v0, v27 :: v_dual_add_f32 v7, v7, v30
	;; [unrolled: 1-line block ×5, first 2 shown]
	v_add_f32_e32 v8, v8, v27
	v_dual_add_f32 v10, v10, v29 :: v_dual_add_f32 v39, v39, v27
	v_add_f32_e32 v4, v4, v27
	v_dual_add_f32 v6, v6, v29 :: v_dual_add_f32 v27, v43, v27
	scratch_load_b32 v43, off, off offset:28 ; 4-byte Folded Reload
	v_add_f32_e32 v49, v1, v24
	v_add_f32_e32 v53, v13, v24
	v_dual_add_f32 v54, v5, v24 :: v_dual_add_f32 v17, v34, v26
	v_add_f32_e32 v57, v32, v24
	v_dual_add_f32 v56, v36, v24 :: v_dual_add_f32 v69, v37, v25
	v_add_f32_e32 v47, v40, v24
	v_add_f32_e32 v24, v44, v24
	v_dual_add_f32 v60, v15, v26 :: v_dual_add_f32 v1, v1, v28
	v_dual_add_f32 v22, v11, v26 :: v_dual_add_f32 v13, v13, v28
	;; [unrolled: 1-line block ×4, first 2 shown]
	v_add_f32_e32 v32, v32, v28
	v_add_f32_e32 v36, v36, v28
	;; [unrolled: 1-line block ×4, first 2 shown]
	v_min3_f32 v0, v0, v1, 0x7f7fffff
	v_dual_add_f32 v15, v15, v30 :: v_dual_add_f32 v66, v41, v25
	v_add_f32_e32 v11, v11, v30
	v_add_f32_e32 v37, v37, v29
	v_dual_add_f32 v41, v41, v29 :: v_dual_add_f32 v34, v34, v30
	v_dual_add_f32 v29, v45, v29 :: v_dual_add_f32 v38, v38, v30
	v_add_f32_e32 v42, v42, v30
	v_dual_add_f32 v30, v46, v30 :: v_dual_add_f32 v25, v45, v25
	s_waitcnt vmcnt(0)
	v_min3_f32 v43, v148, v43, 0x7f7fffff
	s_delay_alu instid0(VALU_DEP_1) | instskip(SKIP_3) | instid1(VALU_DEP_1)
	v_min3_f32 v150, v128, v150, v43
	scratch_load_b32 v43, off, off offset:32 ; 4-byte Folded Reload
	s_waitcnt vmcnt(0)
	v_min3_f32 v43, v146, v43, 0x7f7fffff
	v_min3_f32 v148, v78, v129, v43
	scratch_load_b32 v43, off, off offset:36 ; 4-byte Folded Reload
	s_waitcnt vmcnt(0)
	v_min3_f32 v43, v149, v43, 0x7f7fffff
	s_delay_alu instid0(VALU_DEP_1)
	v_min3_f32 v149, v80, v135, v43
	s_clause 0x1
	scratch_load_b32 v43, off, off offset:40
	scratch_load_b32 v44, off, off offset:44
	s_waitcnt vmcnt(0)
	v_min3_f32 v43, v44, v43, 0x7f7fffff
	s_delay_alu instid0(VALU_DEP_1) | instskip(SKIP_1) | instid1(VALU_DEP_1)
	v_min3_f32 v146, v82, v130, v43
	v_min3_f32 v43, v144, v147, 0x7f7fffff
	;; [unrolled: 1-line block ×3, first 2 shown]
	s_clause 0x1
	scratch_load_b32 v43, off, off offset:48
	scratch_load_b32 v44, off, off offset:52
	s_waitcnt vmcnt(0)
	v_min3_f32 v43, v44, v43, 0x7f7fffff
	s_delay_alu instid0(VALU_DEP_1) | instskip(SKIP_1) | instid1(VALU_DEP_1)
	v_min3_f32 v144, v79, v132, v43
	v_min3_f32 v43, v137, v145, 0x7f7fffff
	v_min3_f32 v145, v81, v133, v43
	scratch_load_b32 v43, off, off offset:56 ; 4-byte Folded Reload
	s_waitcnt vmcnt(0)
	v_min3_f32 v43, v136, v43, 0x7f7fffff
	s_delay_alu instid0(VALU_DEP_1) | instskip(SKIP_1) | instid1(VALU_DEP_1)
	v_min3_f32 v137, v83, v134, v43
	v_min3_f32 v43, v85, v84, 0x7f7fffff
	;; [unrolled: 1-line block ×4, first 2 shown]
	s_delay_alu instid0(VALU_DEP_1) | instskip(SKIP_3) | instid1(VALU_DEP_3)
	v_min3_f32 v134, v103, v102, v43
	v_min3_f32 v43, v89, v88, 0x7f7fffff
	;; [unrolled: 1-line block ×6, first 2 shown]
	s_delay_alu instid0(VALU_DEP_3) | instskip(SKIP_1) | instid1(VALU_DEP_3)
	v_min3_f32 v86, v14, v15, v0
	v_min3_f32 v0, v8, v9, 0x7f7fffff
	v_min3_f32 v132, v107, v106, v43
	v_min3_f32 v43, v93, v92, 0x7f7fffff
	s_delay_alu instid0(VALU_DEP_3) | instskip(SKIP_1) | instid1(VALU_DEP_3)
	v_min3_f32 v85, v10, v11, v0
	v_min3_f32 v0, v4, v5, 0x7f7fffff
	v_min3_f32 v133, v109, v108, v43
	v_min3_f32 v43, v95, v94, 0x7f7fffff
	;; [unrolled: 5-line block ×6, first 2 shown]
	s_delay_alu instid0(VALU_DEP_3)
	v_min3_f32 v80, v29, v30, v0
	s_clause 0x1
	scratch_load_b32 v0, off, off offset:4
	scratch_load_b32 v1, off, off offset:8
	v_min3_f32 v127, v152, v127, v43
	v_min3_f32 v43, v121, v120, 0x7f7fffff
	s_delay_alu instid0(VALU_DEP_1) | instskip(SKIP_1) | instid1(VALU_DEP_1)
	v_min3_f32 v126, v154, v153, v43
	v_min3_f32 v43, v123, v122, 0x7f7fffff
	v_min3_f32 v124, v156, v155, v43
	v_min3_f32 v43, v138, v125, 0x7f7fffff
	s_delay_alu instid0(VALU_DEP_1) | instskip(SKIP_1) | instid1(VALU_DEP_1)
	v_min3_f32 v125, v158, v157, v43
	v_min3_f32 v43, v140, v139, 0x7f7fffff
	;; [unrolled: 5-line block ×19, first 2 shown]
	v_min3_f32 v87, v25, v26, v16
	s_waitcnt vmcnt(0)
	ds_store_2addr_stride64_b32 v76, v0, v1 offset0:16 offset1:20
	s_clause 0x1
	scratch_load_b32 v0, off, off offset:12
	scratch_load_b32 v1, off, off offset:16
	s_waitcnt vmcnt(0)
	ds_store_2addr_stride64_b32 v76, v0, v1 offset0:24 offset1:28
	scratch_load_b32 v0, off, off           ; 4-byte Folded Reload
	s_waitcnt vmcnt(0)
	ds_store_b32 v76, v0 offset:9216
	s_waitcnt lgkmcnt(0)
	s_waitcnt_vscnt null, 0x0
	s_barrier
	buffer_gl0_inv
	s_cbranch_scc1 .LBB66_44
; %bb.27:
	s_clause 0x2
	scratch_load_b32 v4, off, off offset:60
	scratch_load_b32 v203, off, off offset:24
	;; [unrolled: 1-line block ×3, first 2 shown]
	v_add_nc_u32_e32 v6, 12, v70
	s_lshl_b32 s5, s5, 6
	v_add_nc_u32_e32 v10, 8, v70
	v_or_b32_e32 v77, 0x2000, v76
	v_add_nc_u32_e32 v78, 0x2000, v204
	v_mad_i64_i32 v[0:1], null, v6, s18, 0
	s_delay_alu instid0(VALU_DEP_4) | instskip(SKIP_2) | instid1(VALU_DEP_4)
	v_mad_i64_i32 v[8:9], null, v10, s18, 0
	v_add_nc_u32_e32 v79, 0x2400, v76
	v_or_b32_e32 v111, 0x1000, v76
	v_lshlrev_b64 v[64:65], 2, v[0:1]
	s_delay_alu instid0(VALU_DEP_4)
	v_lshlrev_b64 v[70:71], 2, v[8:9]
	s_waitcnt vmcnt(2)
	v_lshl_or_b32 v2, s14, 6, v4
	v_add_nc_u32_e32 v0, s22, v4
	v_mad_i64_i32 v[4:5], null, v6, s20, 0
	v_mad_i64_i32 v[6:7], null, v10, s20, 0
	s_delay_alu instid0(VALU_DEP_4) | instskip(NEXT) | instid1(VALU_DEP_4)
	v_subrev_nc_u32_e32 v2, s5, v2
	v_ashrrev_i32_e32 v1, 31, v0
	s_waitcnt vmcnt(1)
	v_lshl_add_u32 v138, v203, 4, 0x2400
	s_waitcnt vmcnt(0)
	v_lshl_add_u32 v139, v202, 4, 0x1000
	v_lshlrev_b64 v[66:67], 2, v[4:5]
	v_ashrrev_i32_e32 v3, 31, v2
	v_lshlrev_b64 v[0:1], 2, v[0:1]
	v_lshlrev_b64 v[68:69], 2, v[6:7]
	s_add_i32 s14, s4, -8
	s_lshl_b64 s[4:5], s[18:19], 5
	v_lshlrev_b64 v[2:3], 2, v[2:3]
	s_delay_alu instid0(VALU_DEP_1) | instskip(NEXT) | instid1(VALU_DEP_2)
	v_add_co_u32 v140, vcc_lo, s16, v2
	v_add_co_ci_u32_e32 v141, vcc_lo, s17, v3, vcc_lo
	v_add_co_u32 v142, vcc_lo, s10, v0
	v_add_co_ci_u32_e32 v143, vcc_lo, s11, v1, vcc_lo
	s_lshl_b64 s[10:11], s[20:21], 5
	s_mov_b32 s16, 0
	s_branch .LBB66_30
.LBB66_28:                              ;   in Loop: Header=BB66_30 Depth=1
	v_add_co_u32 v0, vcc_lo, v142, v66
	v_add_co_ci_u32_e32 v1, vcc_lo, v143, v67, vcc_lo
	s_clause 0x1
	flat_load_b32 v11, v[0:1] offset:512
	flat_load_b32 v1, v[0:1] offset:768
	s_waitcnt vmcnt(0) lgkmcnt(0)
	v_dual_mul_f32 v0, s23, v11 :: v_dual_mul_f32 v1, s23, v1
.LBB66_29:                              ;   in Loop: Header=BB66_30 Depth=1
	ds_load_b128 v[93:96], v74
	ds_load_b128 v[154:157], v78
	ds_load_b128 v[158:161], v78 offset:128
	ds_load_b128 v[162:165], v78 offset:256
	;; [unrolled: 1-line block ×14, first 2 shown]
	v_add_co_u32 v140, vcc_lo, v140, s4
	v_add_co_ci_u32_e32 v141, vcc_lo, s5, v141, vcc_lo
	v_add_co_u32 v142, vcc_lo, v142, s10
	s_waitcnt lgkmcnt(14)
	v_dual_add_f32 v11, v155, v94 :: v_dual_add_f32 v14, v154, v93
	s_waitcnt lgkmcnt(13)
	v_dual_add_f32 v15, v159, v94 :: v_dual_add_f32 v18, v158, v93
	;; [unrolled: 2-line block ×3, first 2 shown]
	s_waitcnt lgkmcnt(11)
	v_add_f32_e32 v23, v167, v94
	v_min3_f32 v11, v14, v11, v28
	v_min3_f32 v14, v18, v15, v29
	v_add_f32_e32 v18, v166, v93
	v_min3_f32 v15, v22, v19, v32
	s_waitcnt lgkmcnt(10)
	v_dual_add_f32 v19, v171, v94 :: v_dual_add_f32 v22, v170, v93
	s_waitcnt lgkmcnt(9)
	v_dual_add_f32 v28, v175, v94 :: v_dual_add_f32 v29, v174, v93
	s_waitcnt lgkmcnt(8)
	v_add_f32_e32 v32, v179, v94
	s_waitcnt lgkmcnt(7)
	v_dual_add_f32 v34, v178, v93 :: v_dual_add_f32 v35, v183, v94
	s_waitcnt lgkmcnt(2)
	v_dual_add_f32 v38, v182, v93 :: v_dual_add_f32 v75, v163, v191
	v_min3_f32 v4, v18, v23, v4
	v_min3_f32 v18, v22, v19, v33
	;; [unrolled: 1-line block ×3, first 2 shown]
	s_delay_alu instid0(VALU_DEP_4)
	v_min3_f32 v23, v38, v35, v40
	v_dual_add_f32 v28, v155, v98 :: v_dual_add_f32 v33, v158, v97
	v_add_f32_e32 v29, v154, v97
	v_min3_f32 v22, v34, v32, v37
	v_dual_add_f32 v32, v159, v98 :: v_dual_add_f32 v35, v162, v97
	v_dual_add_f32 v34, v163, v98 :: v_dual_add_f32 v37, v166, v97
	v_dual_add_f32 v36, v167, v98 :: v_dual_add_f32 v39, v170, v97
	v_add_f32_e32 v38, v171, v98
	v_min3_f32 v5, v29, v28, v5
	v_min3_f32 v28, v33, v32, v41
	v_min3_f32 v29, v35, v34, v44
	v_add_f32_e32 v35, v174, v97
	v_min3_f32 v32, v37, v36, v45
	v_min3_f32 v33, v39, v38, v48
	v_dual_add_f32 v34, v175, v98 :: v_dual_add_f32 v37, v178, v97
	v_dual_add_f32 v36, v179, v98 :: v_dual_add_f32 v39, v182, v97
	v_dual_add_f32 v38, v183, v98 :: v_dual_add_f32 v41, v154, v101
	v_dual_add_f32 v40, v155, v102 :: v_dual_add_f32 v45, v158, v101
	v_add_f32_e32 v44, v159, v102
	v_min3_f32 v8, v35, v34, v8
	v_min3_f32 v34, v37, v36, v49
	v_min3_f32 v35, v39, v38, v52
	v_add_f32_e32 v39, v162, v101
	v_min3_f32 v36, v41, v40, v53
	v_min3_f32 v37, v45, v44, v56
	v_dual_add_f32 v38, v163, v102 :: v_dual_add_f32 v41, v166, v101
	;; [unrolled: 11-line block ×4, first 2 shown]
	v_dual_add_f32 v54, v175, v106 :: v_dual_add_f32 v57, v178, v105
	v_dual_add_f32 v56, v179, v106 :: v_dual_add_f32 v59, v182, v105
	v_add_f32_e32 v58, v183, v106
	v_dual_add_f32 v60, v155, v187 :: v_dual_add_f32 v61, v154, v186
	v_min3_f32 v13, v53, v52, v13
	v_min3_f32 v50, v55, v54, v50
	;; [unrolled: 1-line block ×5, first 2 shown]
	v_dual_add_f32 v54, v159, v187 :: v_dual_add_f32 v55, v158, v186
	v_dual_add_f32 v56, v163, v187 :: v_dual_add_f32 v57, v162, v186
	;; [unrolled: 1-line block ×5, first 2 shown]
	v_min3_f32 v16, v55, v54, v16
	v_min3_f32 v54, v57, v56, v81
	;; [unrolled: 1-line block ×5, first 2 shown]
	v_dual_add_f32 v58, v179, v187 :: v_dual_add_f32 v59, v178, v186
	v_dual_add_f32 v60, v183, v187 :: v_dual_add_f32 v61, v182, v186
	;; [unrolled: 1-line block ×4, first 2 shown]
	v_add_f32_e32 v80, v162, v190
	v_min3_f32 v17, v59, v58, v17
	v_min3_f32 v46, v61, v60, v46
	;; [unrolled: 1-line block ×5, first 2 shown]
	v_add_f32_e32 v75, v179, v191
	v_dual_add_f32 v60, v167, v191 :: v_dual_add_f32 v61, v166, v190
	v_dual_add_f32 v62, v171, v191 :: v_dual_add_f32 v63, v170, v190
	;; [unrolled: 1-line block ×4, first 2 shown]
	v_add_f32_e32 v82, v182, v190
	v_min3_f32 v20, v61, v60, v20
	v_min3_f32 v42, v63, v62, v42
	v_min3_f32 v43, v73, v72, v43
	v_min3_f32 v60, v80, v75, v87
	s_waitcnt lgkmcnt(1)
	v_add_f32_e32 v75, v163, v195
	v_min3_f32 v61, v82, v81, v88
	v_dual_add_f32 v62, v155, v195 :: v_dual_add_f32 v63, v154, v194
	v_dual_add_f32 v72, v159, v195 :: v_dual_add_f32 v73, v158, v194
	;; [unrolled: 1-line block ×4, first 2 shown]
	v_add_f32_e32 v84, v170, v194
	v_min3_f32 v21, v63, v62, v21
	v_min3_f32 v62, v73, v72, v89
	v_min3_f32 v63, v80, v75, v90
	v_add_f32_e32 v75, v175, v195
	v_min3_f32 v72, v82, v81, v91
	v_min3_f32 v73, v84, v83, v92
	v_dual_add_f32 v80, v174, v194 :: v_dual_add_f32 v81, v179, v195
	v_dual_add_f32 v82, v178, v194 :: v_dual_add_f32 v83, v183, v195
	s_waitcnt lgkmcnt(0)
	v_dual_add_f32 v84, v182, v194 :: v_dual_add_f32 v85, v155, v199
	v_dual_add_f32 v86, v154, v198 :: v_dual_add_f32 v87, v159, v199
	v_add_f32_e32 v88, v158, v198
	v_min3_f32 v24, v80, v75, v24
	v_add_f32_e32 v75, v163, v199
	v_min3_f32 v26, v82, v81, v26
	v_min3_f32 v27, v84, v83, v27
	;; [unrolled: 1-line block ×4, first 2 shown]
	v_dual_add_f32 v80, v162, v198 :: v_dual_add_f32 v81, v167, v199
	v_dual_add_f32 v82, v166, v198 :: v_dual_add_f32 v83, v171, v199
	;; [unrolled: 1-line block ×4, first 2 shown]
	v_add_f32_e32 v88, v178, v198
	v_min3_f32 v25, v80, v75, v25
	v_add_f32_e32 v75, v183, v199
	v_min3_f32 v3, v82, v81, v3
	v_min3_f32 v6, v84, v83, v6
	;; [unrolled: 1-line block ×4, first 2 shown]
	v_dual_add_f32 v80, v182, v198 :: v_dual_add_f32 v83, v161, v96
	v_dual_add_f32 v81, v157, v96 :: v_dual_add_f32 v82, v156, v95
	;; [unrolled: 1-line block ×4, first 2 shown]
	v_add_f32_e32 v88, v168, v95
	v_min3_f32 v2, v80, v75, v2
	v_min3_f32 v150, v82, v81, v11
	v_add_f32_e32 v81, v185, v96
	v_min3_f32 v148, v84, v83, v14
	v_min3_f32 v146, v88, v87, v4
	v_dual_add_f32 v4, v173, v96 :: v_dual_add_f32 v11, v172, v95
	v_add_f32_e32 v14, v177, v96
	v_add_f32_e32 v75, v181, v96
	v_min3_f32 v149, v86, v85, v15
	v_add_f32_e32 v15, v176, v95
	v_dual_add_f32 v80, v180, v95 :: v_dual_add_f32 v83, v157, v100
	v_add_f32_e32 v82, v184, v95
	v_add_f32_e32 v84, v156, v99
	v_min3_f32 v147, v11, v4, v18
	v_min3_f32 v144, v15, v14, v19
	v_add_f32_e32 v15, v169, v100
	v_min3_f32 v145, v80, v75, v22
	v_min3_f32 v136, v84, v83, v5
	v_dual_add_f32 v4, v161, v100 :: v_dual_add_f32 v5, v160, v99
	v_add_f32_e32 v11, v165, v100
	v_min3_f32 v137, v82, v81, v23
	v_dual_add_f32 v14, v164, v99 :: v_dual_add_f32 v19, v173, v100
	v_dual_add_f32 v18, v168, v99 :: v_dual_add_f32 v23, v177, v100
	v_add_f32_e32 v75, v176, v99
	v_add_f32_e32 v22, v172, v99
	v_min3_f32 v134, v5, v4, v28
	v_min3_f32 v135, v14, v11, v29
	v_add_f32_e32 v4, v181, v100
	v_min3_f32 v130, v75, v23, v8
	v_dual_add_f32 v5, v180, v99 :: v_dual_add_f32 v8, v185, v100
	v_dual_add_f32 v11, v184, v99 :: v_dual_add_f32 v14, v157, v104
	v_min3_f32 v132, v18, v15, v32
	v_dual_add_f32 v15, v156, v103 :: v_dual_add_f32 v18, v161, v104
	v_add_f32_e32 v23, v164, v103
	s_delay_alu instid0(VALU_DEP_4)
	v_min3_f32 v128, v11, v8, v35
	v_add_f32_e32 v11, v177, v104
	v_min3_f32 v133, v22, v19, v33
	v_dual_add_f32 v19, v160, v103 :: v_dual_add_f32 v22, v165, v104
	v_min3_f32 v131, v5, v4, v34
	v_min3_f32 v129, v15, v14, v36
	v_add_f32_e32 v4, v169, v104
	s_delay_alu instid0(VALU_DEP_4)
	v_min3_f32 v127, v19, v18, v37
	v_min3_f32 v126, v23, v22, v9
	v_dual_add_f32 v5, v168, v103 :: v_dual_add_f32 v8, v173, v104
	v_add_f32_e32 v9, v172, v103
	v_dual_add_f32 v14, v176, v103 :: v_dual_add_f32 v15, v181, v104
	v_dual_add_f32 v18, v180, v103 :: v_dual_add_f32 v19, v185, v104
	v_add_f32_e32 v22, v184, v103
	v_min3_f32 v124, v5, v4, v38
	s_delay_alu instid0(VALU_DEP_4)
	v_min3_f32 v122, v14, v11, v40
	v_add_f32_e32 v11, v165, v108
	v_min3_f32 v123, v18, v15, v41
	v_min3_f32 v120, v22, v19, v12
	v_add_f32_e32 v4, v157, v108
	v_min3_f32 v125, v9, v8, v39
	v_dual_add_f32 v5, v156, v107 :: v_dual_add_f32 v8, v161, v108
	v_dual_add_f32 v9, v160, v107 :: v_dual_add_f32 v14, v169, v108
	v_add_f32_e32 v12, v164, v107
	v_dual_add_f32 v15, v168, v107 :: v_dual_add_f32 v18, v173, v108
	v_add_f32_e32 v19, v172, v107
	v_min3_f32 v121, v5, v4, v44
	v_add_f32_e32 v4, v177, v108
	v_min3_f32 v118, v9, v8, v45
	v_min3_f32 v119, v12, v11, v48
	;; [unrolled: 1-line block ×4, first 2 shown]
	v_dual_add_f32 v5, v176, v107 :: v_dual_add_f32 v8, v181, v108
	v_add_f32_e32 v9, v180, v107
	v_dual_add_f32 v11, v185, v108 :: v_dual_add_f32 v12, v184, v107
	v_dual_add_f32 v13, v157, v189 :: v_dual_add_f32 v14, v156, v188
	;; [unrolled: 1-line block ×3, first 2 shown]
	v_min3_f32 v114, v5, v4, v50
	s_delay_alu instid0(VALU_DEP_4)
	v_min3_f32 v112, v12, v11, v52
	v_add_f32_e32 v11, v173, v189
	v_min3_f32 v113, v14, v13, v53
	v_min3_f32 v109, v18, v15, v16
	v_add_f32_e32 v4, v165, v189
	v_min3_f32 v115, v9, v8, v51
	v_dual_add_f32 v5, v164, v188 :: v_dual_add_f32 v8, v169, v189
	v_add_f32_e32 v9, v168, v188
	v_dual_add_f32 v12, v172, v188 :: v_dual_add_f32 v13, v177, v189
	v_dual_add_f32 v14, v176, v188 :: v_dual_add_f32 v15, v181, v189
	v_add_f32_e32 v16, v180, v188
	v_min3_f32 v110, v5, v4, v54
	s_delay_alu instid0(VALU_DEP_4)
	v_min3_f32 v108, v12, v11, v56
	v_add_f32_e32 v11, v161, v193
	v_min3_f32 v106, v14, v13, v57
	v_min3_f32 v105, v16, v15, v17
	v_add_f32_e32 v4, v185, v189
	v_min3_f32 v107, v9, v8, v55
	v_dual_add_f32 v5, v184, v188 :: v_dual_add_f32 v8, v157, v193
	v_add_f32_e32 v9, v156, v192
	v_dual_add_f32 v12, v160, v192 :: v_dual_add_f32 v13, v165, v193
	v_dual_add_f32 v14, v164, v192 :: v_dual_add_f32 v15, v169, v193
	v_add_f32_e32 v16, v168, v192
	;; [unrolled: 13-line block ×6, first 2 shown]
	v_min3_f32 v83, v5, v4, v3
	v_min3_f32 v84, v9, v8, v6
	;; [unrolled: 1-line block ×5, first 2 shown]
	v_add_co_ci_u32_e32 v143, vcc_lo, s11, v143, vcc_lo
	s_add_i32 s16, s16, 8
	ds_store_b32 v79, v151
	ds_store_2addr_stride64_b32 v111, v152, v153 offset1:4
	ds_store_2addr_stride64_b32 v111, v0, v1 offset0:8 offset1:12
	s_cmp_ge_i32 s16, s14
	s_waitcnt lgkmcnt(0)
	s_barrier
	buffer_gl0_inv
	s_cbranch_scc1 .LBB66_45
.LBB66_30:                              ; =>This Inner Loop Header: Depth=1
	s_and_b32 vcc_lo, exec_lo, s3
	s_cbranch_vccnz .LBB66_34
; %bb.31:                               ;   in Loop: Header=BB66_30 Depth=1
	v_add_co_u32 v0, vcc_lo, v140, v70
	v_add_co_ci_u32_e32 v1, vcc_lo, v141, v71, vcc_lo
	flat_load_b32 v0, v[0:1]
	s_waitcnt vmcnt(0) lgkmcnt(0)
	v_mul_f32_e32 v151, s23, v0
	s_and_b32 vcc_lo, exec_lo, s3
	s_cbranch_vccnz .LBB66_35
.LBB66_32:                              ;   in Loop: Header=BB66_30 Depth=1
	v_add_co_u32 v0, vcc_lo, v142, v68
	v_add_co_ci_u32_e32 v1, vcc_lo, v143, v69, vcc_lo
	s_clause 0x1
	flat_load_b32 v2, v[0:1]
	flat_load_b32 v0, v[0:1] offset:256
	s_waitcnt vmcnt(0) lgkmcnt(0)
	v_dual_mul_f32 v152, s23, v2 :: v_dual_mul_f32 v153, s23, v0
	s_and_b32 vcc_lo, exec_lo, s3
	s_cbranch_vccnz .LBB66_36
.LBB66_33:                              ;   in Loop: Header=BB66_30 Depth=1
	v_add_co_u32 v0, vcc_lo, v142, v68
	v_add_co_ci_u32_e32 v1, vcc_lo, v143, v69, vcc_lo
	s_clause 0x1
	flat_load_b32 v2, v[0:1] offset:512
	flat_load_b32 v0, v[0:1] offset:768
	s_waitcnt vmcnt(0) lgkmcnt(0)
	v_dual_mul_f32 v154, s23, v2 :: v_dual_mul_f32 v155, s23, v0
	s_branch .LBB66_37
.LBB66_34:                              ;   in Loop: Header=BB66_30 Depth=1
	v_mov_b32_e32 v151, 0
	s_and_b32 vcc_lo, exec_lo, s3
	s_cbranch_vccz .LBB66_32
.LBB66_35:                              ;   in Loop: Header=BB66_30 Depth=1
	v_dual_mov_b32 v152, 0 :: v_dual_mov_b32 v153, 0
	s_and_b32 vcc_lo, exec_lo, s3
	s_cbranch_vccz .LBB66_33
.LBB66_36:                              ;   in Loop: Header=BB66_30 Depth=1
	v_dual_mov_b32 v154, 0 :: v_dual_mov_b32 v155, 0
.LBB66_37:                              ;   in Loop: Header=BB66_30 Depth=1
	ds_load_b128 v[32:35], v138
	ds_load_b128 v[28:31], v138 offset:128
	ds_load_b128 v[24:27], v138 offset:256
	;; [unrolled: 1-line block ×7, first 2 shown]
	ds_load_b128 v[60:63], v139
	ds_load_b128 v[56:59], v139 offset:512
	ds_load_b128 v[52:55], v139 offset:1024
	;; [unrolled: 1-line block ×7, first 2 shown]
	s_and_b32 vcc_lo, exec_lo, s3
	ds_store_b32 v77, v151
	ds_store_2addr_stride64_b32 v76, v152, v153 offset1:4
	ds_store_2addr_stride64_b32 v76, v154, v155 offset0:8 offset1:12
	s_waitcnt lgkmcnt(0)
	s_barrier
	buffer_gl0_inv
	s_cbranch_vccnz .LBB66_40
; %bb.38:                               ;   in Loop: Header=BB66_30 Depth=1
	v_add_co_u32 v151, vcc_lo, v140, v64
	v_add_co_ci_u32_e32 v152, vcc_lo, v141, v65, vcc_lo
	flat_load_b32 v72, v[151:152]
	s_waitcnt vmcnt(0) lgkmcnt(0)
	v_mul_f32_e32 v151, s23, v72
	s_and_b32 vcc_lo, exec_lo, s3
	s_cbranch_vccnz .LBB66_41
.LBB66_39:                              ;   in Loop: Header=BB66_30 Depth=1
	v_add_co_u32 v152, vcc_lo, v142, v66
	v_add_co_ci_u32_e32 v153, vcc_lo, v143, v67, vcc_lo
	s_clause 0x1
	flat_load_b32 v72, v[152:153]
	flat_load_b32 v73, v[152:153] offset:256
	s_waitcnt vmcnt(0) lgkmcnt(0)
	v_dual_mul_f32 v152, s23, v72 :: v_dual_mul_f32 v153, s23, v73
	s_branch .LBB66_42
.LBB66_40:                              ;   in Loop: Header=BB66_30 Depth=1
	v_mov_b32_e32 v151, 0
	s_and_b32 vcc_lo, exec_lo, s3
	s_cbranch_vccz .LBB66_39
.LBB66_41:                              ;   in Loop: Header=BB66_30 Depth=1
	v_dual_mov_b32 v152, 0 :: v_dual_mov_b32 v153, 0
.LBB66_42:                              ;   in Loop: Header=BB66_30 Depth=1
	v_dual_add_f32 v72, v33, v61 :: v_dual_add_f32 v73, v32, v60
	v_dual_add_f32 v75, v29, v61 :: v_dual_add_f32 v154, v28, v60
	;; [unrolled: 1-line block ×3, first 2 shown]
	s_delay_alu instid0(VALU_DEP_3) | instskip(SKIP_1) | instid1(VALU_DEP_4)
	v_min3_f32 v72, v73, v72, v150
	v_add_f32_e32 v150, v13, v61
	v_min3_f32 v73, v154, v75, v148
	v_add_f32_e32 v148, v17, v61
	;; [unrolled: 2-line block ×3, first 2 shown]
	v_dual_add_f32 v154, v12, v60 :: v_dual_add_f32 v155, v9, v61
	v_dual_add_f32 v156, v8, v60 :: v_dual_add_f32 v157, v5, v61
	;; [unrolled: 1-line block ×3, first 2 shown]
	v_add_f32_e32 v60, v0, v60
	v_min3_f32 v146, v149, v148, v146
	s_delay_alu instid0(VALU_DEP_4) | instskip(SKIP_1) | instid1(VALU_DEP_4)
	v_min3_f32 v144, v156, v155, v144
	v_dual_add_f32 v148, v29, v57 :: v_dual_add_f32 v149, v28, v56
	v_min3_f32 v60, v60, v61, v137
	v_add_f32_e32 v61, v33, v57
	v_add_f32_e32 v137, v32, v56
	v_min3_f32 v147, v154, v150, v147
	v_add_f32_e32 v150, v25, v57
	v_dual_add_f32 v154, v24, v56 :: v_dual_add_f32 v155, v17, v57
	v_add_f32_e32 v156, v16, v56
	v_min3_f32 v145, v158, v157, v145
	v_dual_add_f32 v157, v13, v57 :: v_dual_add_f32 v158, v12, v56
	v_min3_f32 v61, v137, v61, v136
	v_min3_f32 v134, v149, v148, v134
	;; [unrolled: 1-line block ×3, first 2 shown]
	v_dual_add_f32 v136, v9, v57 :: v_dual_add_f32 v149, v4, v56
	v_add_f32_e32 v137, v8, v56
	v_min3_f32 v135, v154, v150, v135
	v_add_f32_e32 v148, v5, v57
	v_dual_add_f32 v57, v1, v57 :: v_dual_add_f32 v56, v0, v56
	v_add_f32_e32 v155, v29, v53
	v_add_f32_e32 v150, v33, v53
	v_add_f32_e32 v154, v32, v52
	v_add_f32_e32 v156, v28, v52
	v_min3_f32 v130, v137, v136, v130
	v_min3_f32 v56, v56, v57, v128
	v_add_f32_e32 v128, v25, v53
	v_add_f32_e32 v136, v17, v53
	v_min3_f32 v127, v156, v155, v127
	v_add_f32_e32 v137, v16, v52
	v_add_f32_e32 v155, v5, v53
	v_min3_f32 v57, v154, v150, v129
	v_add_f32_e32 v129, v24, v52
	v_min3_f32 v131, v149, v148, v131
	v_dual_add_f32 v148, v13, v53 :: v_dual_add_f32 v149, v12, v52
	v_add_f32_e32 v150, v9, v53
	v_add_f32_e32 v154, v8, v52
	;; [unrolled: 1-line block ×3, first 2 shown]
	v_min3_f32 v126, v129, v128, v126
	v_dual_add_f32 v53, v1, v53 :: v_dual_add_f32 v52, v0, v52
	v_dual_add_f32 v128, v33, v49 :: v_dual_add_f32 v129, v32, v48
	v_min3_f32 v124, v137, v136, v124
	v_dual_add_f32 v136, v29, v49 :: v_dual_add_f32 v137, v28, v48
	v_min3_f32 v125, v149, v148, v125
	;; [unrolled: 2-line block ×3, first 2 shown]
	v_add_f32_e32 v150, v17, v49
	v_add_f32_e32 v154, v16, v48
	v_min3_f32 v120, v52, v53, v120
	v_dual_add_f32 v52, v13, v49 :: v_dual_add_f32 v53, v12, v48
	v_min3_f32 v121, v129, v128, v121
	v_dual_add_f32 v128, v9, v49 :: v_dual_add_f32 v129, v8, v48
	;; [unrolled: 2-line block ×3, first 2 shown]
	v_dual_add_f32 v49, v1, v49 :: v_dual_add_f32 v48, v0, v48
	v_min3_f32 v119, v149, v148, v119
	v_dual_add_f32 v148, v33, v45 :: v_dual_add_f32 v149, v32, v44
	v_min3_f32 v133, v158, v157, v133
	s_delay_alu instid0(VALU_DEP_4)
	v_min3_f32 v112, v48, v49, v112
	v_dual_add_f32 v48, v29, v45 :: v_dual_add_f32 v49, v28, v44
	v_min3_f32 v116, v53, v52, v116
	v_dual_add_f32 v52, v25, v45 :: v_dual_add_f32 v53, v24, v44
	;; [unrolled: 2-line block ×7, first 2 shown]
	v_dual_add_f32 v52, v33, v41 :: v_dual_add_f32 v53, v32, v40
	v_min3_f32 v107, v129, v128, v107
	v_dual_add_f32 v128, v29, v41 :: v_dual_add_f32 v129, v28, v40
	v_min3_f32 v108, v137, v136, v108
	;; [unrolled: 2-line block ×6, first 2 shown]
	v_dual_add_f32 v128, v5, v41 :: v_dual_add_f32 v129, v4, v40
	v_dual_add_f32 v41, v1, v41 :: v_dual_add_f32 v40, v0, v40
	v_min3_f32 v123, v156, v155, v123
	v_min3_f32 v106, v149, v148, v106
	;; [unrolled: 1-line block ×3, first 2 shown]
	s_and_b32 vcc_lo, exec_lo, s3
	v_min3_f32 v96, v40, v41, v96
	v_dual_add_f32 v40, v33, v37 :: v_dual_add_f32 v41, v32, v36
	v_min3_f32 v99, v45, v44, v99
	v_dual_add_f32 v44, v29, v37 :: v_dual_add_f32 v45, v28, v36
	;; [unrolled: 2-line block ×4, first 2 shown]
	v_min3_f32 v98, v129, v128, v98
	v_add_f32_e32 v129, v12, v36
	v_min3_f32 v95, v41, v40, v95
	v_add_f32_e32 v41, v8, v36
	v_min3_f32 v93, v45, v44, v93
	v_dual_add_f32 v44, v5, v37 :: v_dual_add_f32 v45, v4, v36
	v_dual_add_f32 v36, v0, v36 :: v_dual_add_f32 v17, v17, v21
	;; [unrolled: 1-line block ×3, first 2 shown]
	v_add_f32_e32 v16, v16, v20
	v_add_f32_e32 v4, v4, v20
	v_add_f32_e32 v128, v13, v37
	v_add_f32_e32 v40, v9, v37
	v_add_f32_e32 v37, v1, v37
	v_dual_add_f32 v29, v29, v21 :: v_dual_add_f32 v28, v28, v20
	v_dual_add_f32 v9, v9, v21 :: v_dual_add_f32 v8, v8, v20
	v_min3_f32 v155, v4, v5, v82
	v_add_f32_e32 v1, v1, v21
	v_min3_f32 v149, v16, v17, v83
	v_add_f32_e32 v0, v0, v20
	v_dual_add_f32 v4, v35, v63 :: v_dual_add_f32 v5, v34, v62
	v_dual_add_f32 v16, v19, v63 :: v_dual_add_f32 v17, v18, v62
	v_min3_f32 v117, v154, v150, v117
	v_dual_add_f32 v33, v33, v21 :: v_dual_add_f32 v32, v32, v20
	v_add_f32_e32 v13, v13, v21
	v_min3_f32 v148, v28, v29, v86
	v_dual_add_f32 v25, v25, v21 :: v_dual_add_f32 v12, v12, v20
	v_min3_f32 v0, v0, v1, v80
	v_add_f32_e32 v1, v15, v63
	v_min3_f32 v28, v5, v4, v72
	v_min3_f32 v4, v17, v16, v146
	v_add_f32_e32 v5, v14, v62
	v_min3_f32 v154, v8, v9, v81
	v_dual_add_f32 v8, v31, v63 :: v_dual_add_f32 v21, v34, v58
	v_dual_add_f32 v9, v30, v62 :: v_dual_add_f32 v16, v3, v63
	;; [unrolled: 1-line block ×3, first 2 shown]
	v_min3_f32 v92, v129, v128, v92
	v_min3_f32 v137, v32, v33, v88
	;; [unrolled: 1-line block ×3, first 2 shown]
	v_dual_add_f32 v12, v27, v63 :: v_dual_add_f32 v13, v26, v62
	v_min3_f32 v128, v41, v40, v89
	v_min3_f32 v29, v9, v8, v73
	v_dual_add_f32 v8, v11, v63 :: v_dual_add_f32 v9, v10, v62
	v_min3_f32 v33, v5, v1, v147
	v_min3_f32 v40, v17, v16, v60
	;; [unrolled: 1-line block ×3, first 2 shown]
	v_dual_add_f32 v17, v15, v59 :: v_dual_add_f32 v20, v14, v58
	v_min3_f32 v94, v49, v48, v94
	v_min3_f32 v136, v36, v37, v87
	v_min3_f32 v25, v24, v25, v85
	v_min3_f32 v32, v13, v12, v75
	v_dual_add_f32 v12, v7, v63 :: v_dual_add_f32 v13, v6, v62
	v_add_f32_e32 v1, v31, v59
	v_dual_add_f32 v21, v11, v59 :: v_dual_add_f32 v24, v10, v58
	v_min3_f32 v48, v20, v17, v133
	v_add_f32_e32 v17, v34, v54
	v_min3_f32 v36, v9, v8, v144
	v_dual_add_f32 v8, v30, v58 :: v_dual_add_f32 v9, v27, v59
	v_add_f32_e32 v16, v18, v58
	v_min3_f32 v129, v45, v44, v90
	v_dual_add_f32 v20, v31, v55 :: v_dual_add_f32 v81, v30, v46
	s_delay_alu instid0(VALU_DEP_4)
	v_min3_f32 v41, v8, v1, v134
	v_min3_f32 v8, v24, v21, v130
	v_add_f32_e32 v21, v30, v54
	v_min3_f32 v37, v13, v12, v145
	v_dual_add_f32 v12, v26, v58 :: v_dual_add_f32 v13, v19, v59
	v_add_f32_e32 v1, v7, v59
	v_add_f32_e32 v24, v27, v55
	v_min3_f32 v91, v53, v52, v91
	s_delay_alu instid0(VALU_DEP_4)
	v_min3_f32 v44, v12, v9, v135
	v_min3_f32 v45, v16, v13, v132
	v_dual_add_f32 v9, v6, v58 :: v_dual_add_f32 v12, v3, v59
	v_dual_add_f32 v13, v2, v58 :: v_dual_add_f32 v16, v35, v55
	v_add_f32_e32 v73, v34, v46
	v_add_f32_e32 v58, v26, v54
	s_delay_alu instid0(VALU_DEP_4) | instskip(NEXT) | instid1(VALU_DEP_4)
	v_min3_f32 v49, v9, v1, v131
	v_min3_f32 v52, v13, v12, v56
	;; [unrolled: 1-line block ×5, first 2 shown]
	v_dual_add_f32 v1, v19, v55 :: v_dual_add_f32 v12, v18, v54
	v_dual_add_f32 v17, v11, v55 :: v_dual_add_f32 v20, v10, v54
	;; [unrolled: 1-line block ×5, first 2 shown]
	v_min3_f32 v54, v12, v1, v124
	v_min3_f32 v57, v20, v17, v122
	;; [unrolled: 1-line block ×3, first 2 shown]
	v_dual_add_f32 v1, v35, v51 :: v_dual_add_f32 v62, v18, v50
	v_dual_add_f32 v20, v27, v51 :: v_dual_add_f32 v21, v26, v50
	v_add_f32_e32 v24, v19, v51
	v_min3_f32 v55, v16, v13, v125
	v_dual_add_f32 v13, v34, v50 :: v_dual_add_f32 v16, v31, v51
	v_add_f32_e32 v17, v30, v50
	v_dual_add_f32 v63, v15, v51 :: v_dual_add_f32 v72, v14, v50
	v_min3_f32 v61, v21, v20, v119
	v_min3_f32 v62, v62, v24, v117
	v_dual_add_f32 v21, v3, v51 :: v_dual_add_f32 v24, v2, v50
	v_min3_f32 v12, v60, v59, v120
	v_min3_f32 v59, v13, v1, v121
	;; [unrolled: 1-line block ×3, first 2 shown]
	v_dual_add_f32 v1, v11, v51 :: v_dual_add_f32 v20, v6, v50
	v_add_f32_e32 v72, v35, v47
	v_add_f32_e32 v75, v31, v47
	v_min3_f32 v63, v24, v21, v112
	v_add_f32_e32 v21, v18, v46
	v_min3_f32 v60, v17, v16, v118
	v_dual_add_f32 v16, v10, v50 :: v_dual_add_f32 v17, v7, v51
	v_min3_f32 v80, v73, v72, v113
	v_dual_add_f32 v24, v15, v47 :: v_dual_add_f32 v89, v2, v42
	s_delay_alu instid0(VALU_DEP_3) | instskip(NEXT) | instid1(VALU_DEP_4)
	v_min3_f32 v50, v16, v1, v114
	v_min3_f32 v51, v20, v17, v115
	v_dual_add_f32 v1, v27, v47 :: v_dual_add_f32 v86, v6, v46
	v_add_f32_e32 v17, v26, v46
	v_add_f32_e32 v72, v14, v46
	v_min3_f32 v16, v81, v75, v109
	v_add_f32_e32 v73, v11, v47
	v_add_f32_e32 v75, v10, v46
	;; [unrolled: 1-line block ×4, first 2 shown]
	v_min3_f32 v81, v17, v1, v110
	v_min3_f32 v83, v72, v24, v108
	;; [unrolled: 1-line block ×3, first 2 shown]
	v_dual_add_f32 v1, v3, v47 :: v_dual_add_f32 v24, v34, v42
	v_min3_f32 v17, v86, v85, v105
	v_dual_add_f32 v86, v26, v42 :: v_dual_add_f32 v75, v27, v43
	v_dual_add_f32 v72, v31, v43 :: v_dual_add_f32 v73, v30, v42
	;; [unrolled: 1-line block ×3, first 2 shown]
	s_delay_alu instid0(VALU_DEP_3)
	v_min3_f32 v86, v86, v75, v102
	v_add_f32_e32 v75, v6, v42
	v_min3_f32 v82, v21, v20, v107
	v_dual_add_f32 v20, v2, v46 :: v_dual_add_f32 v21, v35, v43
	v_add_f32_e32 v90, v35, v39
	v_add_f32_e32 v35, v35, v23
	s_delay_alu instid0(VALU_DEP_3) | instskip(NEXT) | instid1(VALU_DEP_4)
	v_min3_f32 v46, v20, v1, v103
	v_min3_f32 v47, v24, v21, v104
	;; [unrolled: 1-line block ×3, first 2 shown]
	v_add_f32_e32 v1, v15, v43
	v_dual_add_f32 v21, v14, v42 :: v_dual_add_f32 v24, v11, v43
	v_add_f32_e32 v99, v34, v38
	v_min3_f32 v85, v73, v72, v101
	v_dual_add_f32 v72, v10, v42 :: v_dual_add_f32 v73, v7, v43
	v_add_f32_e32 v88, v3, v43
	v_min3_f32 v42, v21, v1, v100
	v_dual_add_f32 v1, v31, v39 :: v_dual_add_f32 v34, v34, v22
	s_delay_alu instid0(VALU_DEP_4)
	v_min3_f32 v87, v75, v73, v98
	v_add_f32_e32 v73, v26, v38
	v_min3_f32 v43, v72, v24, v97
	v_add_f32_e32 v24, v30, v38
	v_add_f32_e32 v72, v27, v39
	;; [unrolled: 1-line block ×4, first 2 shown]
	v_min3_f32 v21, v99, v90, v95
	v_add_f32_e32 v95, v18, v38
	v_add_f32_e32 v18, v18, v22
	v_min3_f32 v88, v89, v88, v96
	v_add_f32_e32 v99, v10, v38
	v_min3_f32 v89, v24, v1, v93
	v_min3_f32 v90, v73, v72, v94
	v_dual_add_f32 v1, v7, v39 :: v_dual_add_f32 v14, v14, v22
	v_add_f32_e32 v72, v6, v38
	v_dual_add_f32 v96, v15, v39 :: v_dual_add_f32 v73, v30, v22
	v_dual_add_f32 v98, v11, v39 :: v_dual_add_f32 v93, v26, v22
	v_min3_f32 v91, v95, v75, v91
	v_dual_add_f32 v39, v3, v39 :: v_dual_add_f32 v10, v10, v22
	v_dual_add_f32 v38, v2, v38 :: v_dual_add_f32 v31, v31, v23
	;; [unrolled: 1-line block ×3, first 2 shown]
	v_min3_f32 v26, v72, v1, v129
	v_min3_f32 v30, v34, v35, v137
	v_add_f32_e32 v1, v19, v23
	v_add_f32_e32 v15, v15, v23
	;; [unrolled: 1-line block ×3, first 2 shown]
	v_dual_add_f32 v19, v7, v23 :: v_dual_add_f32 v34, v6, v22
	v_add_f32_e32 v23, v3, v23
	v_min3_f32 v92, v97, v96, v92
	v_min3_f32 v24, v99, v98, v128
	;; [unrolled: 1-line block ×10, first 2 shown]
	s_cbranch_vccz .LBB66_28
; %bb.43:                               ;   in Loop: Header=BB66_30 Depth=1
	v_dual_mov_b32 v0, 0 :: v_dual_mov_b32 v1, 0
	s_branch .LBB66_29
.LBB66_44:
	s_clause 0x1
	scratch_load_b32 v202, off, off offset:20
	scratch_load_b32 v203, off, off offset:24
.LBB66_45:
	ds_load_b128 v[32:35], v204 offset:9216
	ds_load_b128 v[60:63], v74 offset:4096
	s_clause 0x2
	s_load_b64 s[4:5], s[0:1], 0x78
	s_load_b32 s3, s[0:1], 0x70
	s_load_b32 s0, s[0:1], 0x58
	s_waitcnt vmcnt(1)
	v_add_nc_u32_e32 v111, s22, v202
	s_waitcnt vmcnt(0) lgkmcnt(0)
	v_dual_add_f32 v7, v32, v60 :: v_dual_add_nc_u32 v76, s15, v203
	v_add_f32_e32 v6, v33, v61
	s_delay_alu instid0(VALU_DEP_3)
	v_mad_i64_i32 v[2:3], null, v111, s3, 0
	v_mad_i64_i32 v[4:5], null, v111, s0, 0
	s_mul_i32 s1, s12, s5
	s_mul_hi_u32 s5, s12, s4
	s_mul_i32 s4, s12, s4
	s_add_i32 s5, s5, s1
	s_delay_alu instid0(VALU_DEP_2)
	v_lshlrev_b64 v[2:3], 2, v[2:3]
	v_dual_add_f32 v9, v34, v62 :: v_dual_add_nc_u32 v0, 8, v76
	v_add_f32_e32 v8, v35, v63
	v_min3_f32 v6, v7, v6, v150
	s_lshl_b64 s[4:5], s[4:5], 2
	v_lshlrev_b64 v[4:5], 2, v[4:5]
	s_add_u32 s1, s6, s4
	v_ashrrev_i32_e32 v77, 31, v76
	s_addc_u32 s4, s7, s5
	v_min3_f32 v6, v9, v8, v6
	v_add_co_u32 v138, vcc_lo, s1, v2
	v_add_co_ci_u32_e32 v139, vcc_lo, s4, v3, vcc_lo
	v_add_co_u32 v140, vcc_lo, s8, v4
	v_lshlrev_b64 v[66:67], 2, v[76:77]
	v_ashrrev_i32_e32 v1, 31, v0
	v_add_co_ci_u32_e32 v141, vcc_lo, s9, v5, vcc_lo
	v_max_f32_e32 v2, v6, v6
	s_mov_b32 vcc_lo, s2
	s_cbranch_vccz .LBB66_47
; %bb.46:
	v_add_co_u32 v3, vcc_lo, v138, v66
	s_delay_alu instid0(VALU_DEP_2)
	v_min_f32_e32 v5, 0, v2
	v_add_co_ci_u32_e32 v4, vcc_lo, v139, v67, vcc_lo
	s_mov_b32 s5, 0
	global_store_b32 v[3:4], v5, off
	s_branch .LBB66_48
.LBB66_47:
	s_mov_b32 s5, -1
.LBB66_48:
	ds_load_b128 v[28:31], v204 offset:9344
	ds_load_b128 v[24:27], v204 offset:9472
	v_lshlrev_b64 v[64:65], 2, v[0:1]
	s_and_not1_b32 vcc_lo, exec_lo, s5
	s_cbranch_vccnz .LBB66_50
; %bb.49:
	v_add_co_u32 v0, vcc_lo, v140, v66
	v_add_co_ci_u32_e32 v1, vcc_lo, v141, v67, vcc_lo
	flat_load_b32 v0, v[0:1]
	s_waitcnt vmcnt(0) lgkmcnt(0)
	v_mul_f32_e32 v3, s13, v0
	v_add_co_u32 v0, vcc_lo, v138, v66
	v_add_co_ci_u32_e32 v1, vcc_lo, v139, v67, vcc_lo
	s_delay_alu instid0(VALU_DEP_3)
	v_min_f32_e32 v4, v3, v2
	v_add_co_u32 v2, vcc_lo, v140, v64
	v_add_co_ci_u32_e32 v3, vcc_lo, v141, v65, vcc_lo
	global_store_b32 v[0:1], v4, off
	flat_load_b32 v0, v[2:3]
	s_waitcnt vmcnt(0) lgkmcnt(0)
	v_mul_f32_e32 v69, s13, v0
	s_branch .LBB66_51
.LBB66_50:
	v_mov_b32_e32 v69, s5
.LBB66_51:
	ds_load_b128 v[16:19], v204 offset:9728
	ds_load_b128 v[12:15], v204 offset:9856
	;; [unrolled: 1-line block ×10, first 2 shown]
	s_waitcnt lgkmcnt(10)
	v_dual_add_f32 v68, v25, v61 :: v_dual_add_f32 v73, v31, v63
	v_dual_add_f32 v70, v24, v60 :: v_dual_add_f32 v71, v29, v61
	ds_load_b128 v[20:23], v204 offset:9600
	ds_load_b128 v[4:7], v74 offset:7680
	v_dual_add_f32 v72, v28, v60 :: v_dual_add_f32 v75, v27, v63
	v_add_f32_e32 v74, v30, v62
	v_min3_f32 v68, v70, v68, v149
	v_dual_add_f32 v77, v26, v62 :: v_dual_add_nc_u32 v70, 16, v76
	s_delay_alu instid0(VALU_DEP_4) | instskip(NEXT) | instid1(VALU_DEP_4)
	v_min3_f32 v72, v72, v71, v148
	v_min_f32_e32 v73, v74, v73
	s_delay_alu instid0(VALU_DEP_3) | instskip(SKIP_2) | instid1(VALU_DEP_4)
	v_min3_f32 v75, v77, v75, v68
	v_add_nc_u32_e32 v68, 24, v76
	v_ashrrev_i32_e32 v71, 31, v70
	v_min3_f32 v77, v69, v73, v72
	v_add_co_u32 v73, vcc_lo, v138, v64
	v_add_co_ci_u32_e32 v74, vcc_lo, v139, v65, vcc_lo
	s_delay_alu instid0(VALU_DEP_4)
	v_lshlrev_b64 v[70:71], 2, v[70:71]
	v_ashrrev_i32_e32 v69, 31, v68
	v_max_f32_e32 v72, v75, v75
	s_mov_b32 vcc_lo, s2
	global_store_b32 v[73:74], v77, off
	s_cbranch_vccz .LBB66_54
; %bb.52:
	v_add_co_u32 v73, vcc_lo, v138, v70
	v_min_f32_e32 v75, 0, v72
	v_add_co_ci_u32_e32 v74, vcc_lo, v139, v71, vcc_lo
	s_mov_b32 s5, 0
	global_store_b32 v[73:74], v75, off
	v_lshlrev_b64 v[68:69], 2, v[68:69]
	s_cbranch_execz .LBB66_55
; %bb.53:
	v_mov_b32_e32 v73, s5
	s_branch .LBB66_56
.LBB66_54:
	s_mov_b32 s5, -1
	v_lshlrev_b64 v[68:69], 2, v[68:69]
.LBB66_55:
	v_add_co_u32 v73, vcc_lo, v140, v70
	v_add_co_ci_u32_e32 v74, vcc_lo, v141, v71, vcc_lo
	flat_load_b32 v73, v[73:74]
	s_waitcnt vmcnt(0) lgkmcnt(0)
	v_mul_f32_e32 v75, s13, v73
	v_add_co_u32 v73, vcc_lo, v138, v70
	v_add_co_ci_u32_e32 v74, vcc_lo, v139, v71, vcc_lo
	v_add_co_u32 v77, vcc_lo, v140, v68
	s_delay_alu instid0(VALU_DEP_4)
	v_min_f32_e32 v72, v75, v72
	v_add_co_ci_u32_e32 v78, vcc_lo, v141, v69, vcc_lo
	global_store_b32 v[73:74], v72, off
	flat_load_b32 v72, v[77:78]
	s_waitcnt vmcnt(0) lgkmcnt(0)
	v_mul_f32_e32 v73, s13, v72
.LBB66_56:
	s_waitcnt lgkmcnt(1)
	v_dual_add_f32 v72, v17, v61 :: v_dual_add_f32 v77, v20, v60
	v_dual_add_f32 v74, v16, v60 :: v_dual_add_f32 v75, v21, v61
	;; [unrolled: 1-line block ×4, first 2 shown]
	s_delay_alu instid0(VALU_DEP_3) | instskip(NEXT) | instid1(VALU_DEP_4)
	v_min3_f32 v72, v74, v72, v147
	v_min3_f32 v77, v77, v75, v146
	s_delay_alu instid0(VALU_DEP_4) | instskip(NEXT) | instid1(VALU_DEP_3)
	v_min_f32_e32 v78, v79, v78
	v_min3_f32 v142, v143, v142, v72
	v_add_nc_u32_e32 v74, 32, v76
	s_delay_alu instid0(VALU_DEP_3)
	v_min3_f32 v143, v73, v78, v77
	v_add_nc_u32_e32 v72, 40, v76
	v_add_co_u32 v78, vcc_lo, v138, v68
	v_max_f32_e32 v77, v142, v142
	v_ashrrev_i32_e32 v75, 31, v74
	v_add_co_ci_u32_e32 v79, vcc_lo, v139, v69, vcc_lo
	v_ashrrev_i32_e32 v73, 31, v72
	s_mov_b32 vcc_lo, s2
	s_delay_alu instid0(VALU_DEP_3)
	v_lshlrev_b64 v[74:75], 2, v[74:75]
	global_store_b32 v[78:79], v143, off
	s_cbranch_vccz .LBB66_59
; %bb.57:
	v_add_co_u32 v78, vcc_lo, v138, v74
	v_min_f32_e32 v142, 0, v77
	v_add_co_ci_u32_e32 v79, vcc_lo, v139, v75, vcc_lo
	s_mov_b32 s5, 0
	global_store_b32 v[78:79], v142, off
	v_lshlrev_b64 v[72:73], 2, v[72:73]
	s_cbranch_execz .LBB66_60
; %bb.58:
	v_mov_b32_e32 v77, s5
	s_branch .LBB66_61
.LBB66_59:
	s_mov_b32 s5, -1
	v_lshlrev_b64 v[72:73], 2, v[72:73]
.LBB66_60:
	v_add_co_u32 v78, vcc_lo, v140, v74
	v_add_co_ci_u32_e32 v79, vcc_lo, v141, v75, vcc_lo
	flat_load_b32 v78, v[78:79]
	s_waitcnt vmcnt(0) lgkmcnt(0)
	v_mul_f32_e32 v142, s13, v78
	v_add_co_u32 v78, vcc_lo, v138, v74
	v_add_co_ci_u32_e32 v79, vcc_lo, v139, v75, vcc_lo
	s_delay_alu instid0(VALU_DEP_3)
	v_min_f32_e32 v77, v142, v77
	v_add_co_u32 v142, vcc_lo, v140, v72
	v_add_co_ci_u32_e32 v143, vcc_lo, v141, v73, vcc_lo
	global_store_b32 v[78:79], v77, off
	flat_load_b32 v77, v[142:143]
	s_waitcnt vmcnt(0) lgkmcnt(0)
	v_mul_f32_e32 v77, s13, v77
.LBB66_61:
	v_dual_add_f32 v78, v9, v61 :: v_dual_add_f32 v79, v8, v60
	v_dual_add_f32 v142, v13, v61 :: v_dual_add_f32 v143, v12, v60
	v_add_f32_e32 v146, v15, v63
	v_dual_add_f32 v147, v11, v63 :: v_dual_add_f32 v148, v10, v62
	s_delay_alu instid0(VALU_DEP_4) | instskip(SKIP_2) | instid1(VALU_DEP_2)
	v_min3_f32 v79, v79, v78, v145
	v_dual_add_f32 v145, v14, v62 :: v_dual_add_nc_u32 v78, 48, v76
	v_min3_f32 v142, v143, v142, v144
	v_dual_min_f32 v143, v145, v146 :: v_dual_add_nc_u32 v76, 56, v76
	s_delay_alu instid0(VALU_DEP_4) | instskip(NEXT) | instid1(VALU_DEP_4)
	v_min3_f32 v145, v148, v147, v79
	v_ashrrev_i32_e32 v79, 31, v78
	s_delay_alu instid0(VALU_DEP_3) | instskip(SKIP_1) | instid1(VALU_DEP_3)
	v_min3_f32 v146, v77, v143, v142
	v_add_co_u32 v143, vcc_lo, v138, v72
	v_lshlrev_b64 v[78:79], 2, v[78:79]
	v_add_co_ci_u32_e32 v144, vcc_lo, v139, v73, vcc_lo
	v_ashrrev_i32_e32 v77, 31, v76
	v_max_f32_e32 v142, v145, v145
	s_mov_b32 vcc_lo, s2
	global_store_b32 v[143:144], v146, off
	s_cbranch_vccz .LBB66_64
; %bb.62:
	v_add_co_u32 v143, vcc_lo, v138, v78
	v_min_f32_e32 v145, 0, v142
	v_add_co_ci_u32_e32 v144, vcc_lo, v139, v79, vcc_lo
	s_mov_b32 s5, 0
	global_store_b32 v[143:144], v145, off
	v_lshlrev_b64 v[76:77], 2, v[76:77]
	s_cbranch_execz .LBB66_65
; %bb.63:
	v_mov_b32_e32 v140, s5
	s_branch .LBB66_66
.LBB66_64:
	s_mov_b32 s5, -1
	v_lshlrev_b64 v[76:77], 2, v[76:77]
.LBB66_65:
	v_add_co_u32 v143, vcc_lo, v140, v78
	v_add_co_ci_u32_e32 v144, vcc_lo, v141, v79, vcc_lo
	flat_load_b32 v143, v[143:144]
	s_waitcnt vmcnt(0) lgkmcnt(0)
	v_mul_f32_e32 v145, s13, v143
	v_add_co_u32 v143, vcc_lo, v138, v78
	v_add_co_ci_u32_e32 v144, vcc_lo, v139, v79, vcc_lo
	v_add_co_u32 v140, vcc_lo, v140, v76
	s_delay_alu instid0(VALU_DEP_4)
	v_min_f32_e32 v142, v145, v142
	v_add_co_ci_u32_e32 v141, vcc_lo, v141, v77, vcc_lo
	global_store_b32 v[143:144], v142, off
	flat_load_b32 v140, v[140:141]
	s_waitcnt vmcnt(0) lgkmcnt(0)
	v_mul_f32_e32 v140, s13, v140
.LBB66_66:
	v_dual_add_f32 v141, v33, v57 :: v_dual_add_f32 v142, v32, v56
	v_dual_add_f32 v61, v1, v61 :: v_dual_add_f32 v60, v0, v60
	v_add_f32_e32 v143, v34, v58
	v_add_f32_e32 v62, v2, v62
	s_delay_alu instid0(VALU_DEP_4) | instskip(SKIP_3) | instid1(VALU_DEP_3)
	v_min3_f32 v136, v142, v141, v136
	v_add_f32_e32 v142, v35, v59
	v_add_nc_u32_e32 v141, 32, v111
	v_min3_f32 v137, v60, v61, v137
	v_min3_f32 v136, v143, v142, v136
	v_add_f32_e32 v63, v3, v63
	s_delay_alu instid0(VALU_DEP_4) | instskip(NEXT) | instid1(VALU_DEP_3)
	v_mad_i64_i32 v[60:61], null, v141, s3, 0
	v_max_f32_e32 v136, v136, v136
	s_delay_alu instid0(VALU_DEP_3) | instskip(SKIP_1) | instid1(VALU_DEP_4)
	v_min_f32_e32 v144, v62, v63
	v_mad_i64_i32 v[62:63], null, v141, s0, 0
	v_lshlrev_b64 v[60:61], 2, v[60:61]
	s_delay_alu instid0(VALU_DEP_3)
	v_min3_f32 v140, v140, v144, v137
	v_add_co_u32 v137, vcc_lo, v138, v76
	v_add_co_ci_u32_e32 v138, vcc_lo, v139, v77, vcc_lo
	v_lshlrev_b64 v[62:63], 2, v[62:63]
	v_add_co_u32 v60, vcc_lo, s1, v60
	v_add_co_ci_u32_e32 v61, vcc_lo, s4, v61, vcc_lo
	global_store_b32 v[137:138], v140, off
	v_add_co_u32 v62, vcc_lo, s8, v62
	v_add_co_ci_u32_e32 v63, vcc_lo, s9, v63, vcc_lo
	s_mov_b32 vcc_lo, s2
	s_cbranch_vccz .LBB66_69
; %bb.67:
	v_add_co_u32 v137, vcc_lo, v60, v66
	v_min_f32_e32 v139, 0, v136
	v_add_co_ci_u32_e32 v138, vcc_lo, v61, v67, vcc_lo
	s_mov_b32 s5, 0
	global_store_b32 v[137:138], v139, off
	s_cbranch_execz .LBB66_70
; %bb.68:
	v_mov_b32_e32 v136, s5
	s_branch .LBB66_71
.LBB66_69:
	s_mov_b32 s5, -1
.LBB66_70:
	v_add_co_u32 v137, vcc_lo, v62, v66
	v_add_co_ci_u32_e32 v138, vcc_lo, v63, v67, vcc_lo
	flat_load_b32 v137, v[137:138]
	s_waitcnt vmcnt(0) lgkmcnt(0)
	v_mul_f32_e32 v139, s13, v137
	v_add_co_u32 v137, vcc_lo, v60, v66
	v_add_co_ci_u32_e32 v138, vcc_lo, v61, v67, vcc_lo
	s_delay_alu instid0(VALU_DEP_3)
	v_min_f32_e32 v136, v139, v136
	v_add_co_u32 v139, vcc_lo, v62, v64
	v_add_co_ci_u32_e32 v140, vcc_lo, v63, v65, vcc_lo
	global_store_b32 v[137:138], v136, off
	flat_load_b32 v136, v[139:140]
	s_waitcnt vmcnt(0) lgkmcnt(0)
	v_mul_f32_e32 v136, s13, v136
.LBB66_71:
	v_dual_add_f32 v137, v29, v57 :: v_dual_add_f32 v138, v28, v56
	v_dual_add_f32 v139, v25, v57 :: v_dual_add_f32 v140, v24, v56
	v_dual_add_f32 v141, v31, v59 :: v_dual_add_f32 v142, v30, v58
	s_delay_alu instid0(VALU_DEP_3) | instskip(SKIP_1) | instid1(VALU_DEP_4)
	v_min3_f32 v134, v138, v137, v134
	v_dual_add_f32 v137, v27, v59 :: v_dual_add_f32 v138, v26, v58
	v_min3_f32 v135, v140, v139, v135
	s_delay_alu instid0(VALU_DEP_4) | instskip(NEXT) | instid1(VALU_DEP_2)
	v_min_f32_e32 v139, v142, v141
	v_min3_f32 v137, v138, v137, v135
	v_add_co_u32 v135, vcc_lo, v60, v64
	s_delay_alu instid0(VALU_DEP_3) | instskip(SKIP_1) | instid1(VALU_DEP_4)
	v_min3_f32 v138, v136, v139, v134
	v_add_co_ci_u32_e32 v136, vcc_lo, v61, v65, vcc_lo
	v_max_f32_e32 v134, v137, v137
	s_mov_b32 vcc_lo, s2
	global_store_b32 v[135:136], v138, off
	s_cbranch_vccz .LBB66_74
; %bb.72:
	v_add_co_u32 v135, vcc_lo, v60, v70
	v_min_f32_e32 v137, 0, v134
	v_add_co_ci_u32_e32 v136, vcc_lo, v61, v71, vcc_lo
	s_mov_b32 s5, 0
	global_store_b32 v[135:136], v137, off
	s_cbranch_execz .LBB66_75
; %bb.73:
	v_mov_b32_e32 v134, s5
	s_branch .LBB66_76
.LBB66_74:
	s_mov_b32 s5, -1
.LBB66_75:
	v_add_co_u32 v135, vcc_lo, v62, v70
	v_add_co_ci_u32_e32 v136, vcc_lo, v63, v71, vcc_lo
	flat_load_b32 v135, v[135:136]
	s_waitcnt vmcnt(0) lgkmcnt(0)
	v_mul_f32_e32 v137, s13, v135
	v_add_co_u32 v135, vcc_lo, v60, v70
	v_add_co_ci_u32_e32 v136, vcc_lo, v61, v71, vcc_lo
	s_delay_alu instid0(VALU_DEP_3)
	v_min_f32_e32 v134, v137, v134
	v_add_co_u32 v137, vcc_lo, v62, v68
	v_add_co_ci_u32_e32 v138, vcc_lo, v63, v69, vcc_lo
	global_store_b32 v[135:136], v134, off
	flat_load_b32 v134, v[137:138]
	s_waitcnt vmcnt(0) lgkmcnt(0)
	v_mul_f32_e32 v134, s13, v134
.LBB66_76:
	v_dual_add_f32 v135, v21, v57 :: v_dual_add_f32 v136, v20, v56
	v_dual_add_f32 v137, v17, v57 :: v_dual_add_f32 v138, v16, v56
	v_dual_add_f32 v139, v23, v59 :: v_dual_add_f32 v140, v22, v58
	s_delay_alu instid0(VALU_DEP_3) | instskip(SKIP_1) | instid1(VALU_DEP_4)
	v_min3_f32 v132, v136, v135, v132
	v_dual_add_f32 v135, v19, v59 :: v_dual_add_f32 v136, v18, v58
	v_min3_f32 v133, v138, v137, v133
	s_delay_alu instid0(VALU_DEP_4) | instskip(NEXT) | instid1(VALU_DEP_2)
	v_min_f32_e32 v137, v140, v139
	v_min3_f32 v135, v136, v135, v133
	v_add_co_u32 v133, vcc_lo, v60, v68
	s_delay_alu instid0(VALU_DEP_3) | instskip(SKIP_1) | instid1(VALU_DEP_4)
	v_min3_f32 v136, v134, v137, v132
	v_add_co_ci_u32_e32 v134, vcc_lo, v61, v69, vcc_lo
	v_max_f32_e32 v132, v135, v135
	s_mov_b32 vcc_lo, s2
	global_store_b32 v[133:134], v136, off
	;; [unrolled: 47-line block ×3, first 2 shown]
	s_cbranch_vccz .LBB66_84
; %bb.82:
	v_add_co_u32 v131, vcc_lo, v60, v78
	v_min_f32_e32 v133, 0, v130
	v_add_co_ci_u32_e32 v132, vcc_lo, v61, v79, vcc_lo
	s_mov_b32 s5, 0
	global_store_b32 v[131:132], v133, off
	s_cbranch_execz .LBB66_85
; %bb.83:
	v_mov_b32_e32 v62, s5
	s_branch .LBB66_86
.LBB66_84:
	s_mov_b32 s5, -1
.LBB66_85:
	v_add_co_u32 v131, vcc_lo, v62, v78
	v_add_co_ci_u32_e32 v132, vcc_lo, v63, v79, vcc_lo
	flat_load_b32 v131, v[131:132]
	s_waitcnt vmcnt(0) lgkmcnt(0)
	v_mul_f32_e32 v133, s13, v131
	v_add_co_u32 v131, vcc_lo, v60, v78
	v_add_co_ci_u32_e32 v132, vcc_lo, v61, v79, vcc_lo
	v_add_co_u32 v62, vcc_lo, v62, v76
	s_delay_alu instid0(VALU_DEP_4)
	v_min_f32_e32 v130, v133, v130
	v_add_co_ci_u32_e32 v63, vcc_lo, v63, v77, vcc_lo
	global_store_b32 v[131:132], v130, off
	flat_load_b32 v62, v[62:63]
	s_waitcnt vmcnt(0) lgkmcnt(0)
	v_mul_f32_e32 v62, s13, v62
.LBB66_86:
	v_dual_add_f32 v63, v33, v53 :: v_dual_add_f32 v130, v32, v52
	v_dual_add_f32 v57, v1, v57 :: v_dual_add_f32 v56, v0, v56
	;; [unrolled: 1-line block ×3, first 2 shown]
	s_delay_alu instid0(VALU_DEP_3) | instskip(SKIP_1) | instid1(VALU_DEP_4)
	v_min3_f32 v63, v130, v63, v129
	v_add_nc_u32_e32 v129, 64, v111
	v_min3_f32 v128, v56, v57, v128
	v_dual_add_f32 v130, v35, v55 :: v_dual_add_f32 v131, v34, v54
	v_min_f32_e32 v132, v58, v59
	s_delay_alu instid0(VALU_DEP_4) | instskip(SKIP_1) | instid1(VALU_DEP_3)
	v_mad_i64_i32 v[56:57], null, v129, s3, 0
	v_mad_i64_i32 v[58:59], null, v129, s0, 0
	v_min3_f32 v128, v62, v132, v128
	v_add_co_u32 v62, vcc_lo, v60, v76
	v_min3_f32 v129, v131, v130, v63
	v_lshlrev_b64 v[56:57], 2, v[56:57]
	v_add_co_ci_u32_e32 v63, vcc_lo, v61, v77, vcc_lo
	v_lshlrev_b64 v[58:59], 2, v[58:59]
	s_delay_alu instid0(VALU_DEP_4) | instskip(NEXT) | instid1(VALU_DEP_4)
	v_max_f32_e32 v60, v129, v129
	v_add_co_u32 v56, vcc_lo, s1, v56
	v_add_co_ci_u32_e32 v57, vcc_lo, s4, v57, vcc_lo
	s_delay_alu instid0(VALU_DEP_4)
	v_add_co_u32 v58, vcc_lo, s8, v58
	v_add_co_ci_u32_e32 v59, vcc_lo, s9, v59, vcc_lo
	s_mov_b32 vcc_lo, s2
	global_store_b32 v[62:63], v128, off
	s_cbranch_vccz .LBB66_89
; %bb.87:
	v_add_co_u32 v61, vcc_lo, v56, v66
	v_min_f32_e32 v63, 0, v60
	v_add_co_ci_u32_e32 v62, vcc_lo, v57, v67, vcc_lo
	s_mov_b32 s5, 0
	global_store_b32 v[61:62], v63, off
	s_cbranch_execz .LBB66_90
; %bb.88:
	v_mov_b32_e32 v60, s5
	s_branch .LBB66_91
.LBB66_89:
	s_mov_b32 s5, -1
.LBB66_90:
	v_add_co_u32 v61, vcc_lo, v58, v66
	v_add_co_ci_u32_e32 v62, vcc_lo, v59, v67, vcc_lo
	flat_load_b32 v61, v[61:62]
	s_waitcnt vmcnt(0) lgkmcnt(0)
	v_mul_f32_e32 v63, s13, v61
	v_add_co_u32 v61, vcc_lo, v56, v66
	v_add_co_ci_u32_e32 v62, vcc_lo, v57, v67, vcc_lo
	v_add_co_u32 v128, vcc_lo, v58, v64
	s_delay_alu instid0(VALU_DEP_4)
	v_min_f32_e32 v60, v63, v60
	v_add_co_ci_u32_e32 v129, vcc_lo, v59, v65, vcc_lo
	global_store_b32 v[61:62], v60, off
	flat_load_b32 v60, v[128:129]
	s_waitcnt vmcnt(0) lgkmcnt(0)
	v_mul_f32_e32 v60, s13, v60
.LBB66_91:
	v_dual_add_f32 v61, v29, v53 :: v_dual_add_f32 v62, v28, v52
	v_dual_add_f32 v63, v25, v53 :: v_dual_add_f32 v128, v24, v52
	v_dual_add_f32 v129, v31, v55 :: v_dual_add_f32 v130, v30, v54
	s_delay_alu instid0(VALU_DEP_3) | instskip(NEXT) | instid1(VALU_DEP_3)
	v_min3_f32 v61, v62, v61, v127
	v_min3_f32 v62, v128, v63, v126
	v_dual_add_f32 v63, v27, v55 :: v_dual_add_f32 v126, v26, v54
	s_delay_alu instid0(VALU_DEP_1) | instskip(SKIP_1) | instid1(VALU_DEP_1)
	v_min3_f32 v63, v126, v63, v62
	v_min_f32_e32 v127, v130, v129
	v_min3_f32 v126, v60, v127, v61
	s_delay_alu instid0(VALU_DEP_3)
	v_max_f32_e32 v60, v63, v63
	v_add_co_u32 v61, vcc_lo, v56, v64
	v_add_co_ci_u32_e32 v62, vcc_lo, v57, v65, vcc_lo
	s_mov_b32 vcc_lo, s2
	global_store_b32 v[61:62], v126, off
	s_cbranch_vccz .LBB66_94
; %bb.92:
	v_add_co_u32 v61, vcc_lo, v56, v70
	v_min_f32_e32 v63, 0, v60
	v_add_co_ci_u32_e32 v62, vcc_lo, v57, v71, vcc_lo
	s_mov_b32 s5, 0
	global_store_b32 v[61:62], v63, off
	s_cbranch_execz .LBB66_95
; %bb.93:
	v_mov_b32_e32 v60, s5
	s_branch .LBB66_96
.LBB66_94:
	s_mov_b32 s5, -1
.LBB66_95:
	v_add_co_u32 v61, vcc_lo, v58, v70
	v_add_co_ci_u32_e32 v62, vcc_lo, v59, v71, vcc_lo
	flat_load_b32 v61, v[61:62]
	s_waitcnt vmcnt(0) lgkmcnt(0)
	v_mul_f32_e32 v63, s13, v61
	v_add_co_u32 v61, vcc_lo, v56, v70
	v_add_co_ci_u32_e32 v62, vcc_lo, v57, v71, vcc_lo
	v_add_co_u32 v126, vcc_lo, v58, v68
	s_delay_alu instid0(VALU_DEP_4)
	v_min_f32_e32 v60, v63, v60
	v_add_co_ci_u32_e32 v127, vcc_lo, v59, v69, vcc_lo
	global_store_b32 v[61:62], v60, off
	flat_load_b32 v60, v[126:127]
	s_waitcnt vmcnt(0) lgkmcnt(0)
	v_mul_f32_e32 v60, s13, v60
.LBB66_96:
	v_dual_add_f32 v61, v21, v53 :: v_dual_add_f32 v62, v20, v52
	v_dual_add_f32 v63, v17, v53 :: v_dual_add_f32 v126, v16, v52
	;; [unrolled: 1-line block ×3, first 2 shown]
	s_delay_alu instid0(VALU_DEP_3) | instskip(SKIP_1) | instid1(VALU_DEP_4)
	v_min3_f32 v61, v62, v61, v124
	v_add_f32_e32 v124, v18, v54
	v_min3_f32 v62, v126, v63, v125
	v_add_f32_e32 v63, v19, v55
	v_min_f32_e32 v125, v128, v127
	s_delay_alu instid0(VALU_DEP_2) | instskip(NEXT) | instid1(VALU_DEP_2)
	v_min3_f32 v63, v124, v63, v62
	v_min3_f32 v124, v60, v125, v61
	v_add_co_u32 v61, vcc_lo, v56, v68
	v_add_co_ci_u32_e32 v62, vcc_lo, v57, v69, vcc_lo
	s_delay_alu instid0(VALU_DEP_4)
	v_max_f32_e32 v60, v63, v63
	s_mov_b32 vcc_lo, s2
	global_store_b32 v[61:62], v124, off
	s_cbranch_vccz .LBB66_99
; %bb.97:
	v_add_co_u32 v61, vcc_lo, v56, v74
	v_min_f32_e32 v63, 0, v60
	v_add_co_ci_u32_e32 v62, vcc_lo, v57, v75, vcc_lo
	s_mov_b32 s5, 0
	global_store_b32 v[61:62], v63, off
	s_cbranch_execz .LBB66_100
; %bb.98:
	v_mov_b32_e32 v60, s5
	s_branch .LBB66_101
.LBB66_99:
	s_mov_b32 s5, -1
.LBB66_100:
	v_add_co_u32 v61, vcc_lo, v58, v74
	v_add_co_ci_u32_e32 v62, vcc_lo, v59, v75, vcc_lo
	flat_load_b32 v61, v[61:62]
	s_waitcnt vmcnt(0) lgkmcnt(0)
	v_mul_f32_e32 v63, s13, v61
	v_add_co_u32 v61, vcc_lo, v56, v74
	v_add_co_ci_u32_e32 v62, vcc_lo, v57, v75, vcc_lo
	v_add_co_u32 v124, vcc_lo, v58, v72
	s_delay_alu instid0(VALU_DEP_4)
	v_min_f32_e32 v60, v63, v60
	v_add_co_ci_u32_e32 v125, vcc_lo, v59, v73, vcc_lo
	global_store_b32 v[61:62], v60, off
	flat_load_b32 v60, v[124:125]
	s_waitcnt vmcnt(0) lgkmcnt(0)
	v_mul_f32_e32 v60, s13, v60
.LBB66_101:
	v_dual_add_f32 v61, v13, v53 :: v_dual_add_f32 v62, v12, v52
	v_dual_add_f32 v63, v9, v53 :: v_dual_add_f32 v124, v8, v52
	;; [unrolled: 1-line block ×3, first 2 shown]
	s_delay_alu instid0(VALU_DEP_3) | instskip(SKIP_1) | instid1(VALU_DEP_4)
	v_min3_f32 v61, v62, v61, v122
	v_add_f32_e32 v122, v10, v54
	v_min3_f32 v62, v124, v63, v123
	v_add_f32_e32 v63, v11, v55
	s_delay_alu instid0(VALU_DEP_1) | instskip(SKIP_1) | instid1(VALU_DEP_1)
	v_min3_f32 v63, v122, v63, v62
	v_min_f32_e32 v123, v126, v125
	v_min3_f32 v122, v60, v123, v61
	s_delay_alu instid0(VALU_DEP_3)
	v_max_f32_e32 v60, v63, v63
	v_add_co_u32 v61, vcc_lo, v56, v72
	v_add_co_ci_u32_e32 v62, vcc_lo, v57, v73, vcc_lo
	s_mov_b32 vcc_lo, s2
	global_store_b32 v[61:62], v122, off
	s_cbranch_vccz .LBB66_104
; %bb.102:
	v_add_co_u32 v61, vcc_lo, v56, v78
	v_min_f32_e32 v63, 0, v60
	v_add_co_ci_u32_e32 v62, vcc_lo, v57, v79, vcc_lo
	s_mov_b32 s5, 0
	global_store_b32 v[61:62], v63, off
	s_cbranch_execz .LBB66_105
; %bb.103:
	v_mov_b32_e32 v58, s5
	s_branch .LBB66_106
.LBB66_104:
	s_mov_b32 s5, -1
.LBB66_105:
	v_add_co_u32 v61, vcc_lo, v58, v78
	v_add_co_ci_u32_e32 v62, vcc_lo, v59, v79, vcc_lo
	flat_load_b32 v61, v[61:62]
	s_waitcnt vmcnt(0) lgkmcnt(0)
	v_mul_f32_e32 v63, s13, v61
	v_add_co_u32 v61, vcc_lo, v56, v78
	v_add_co_ci_u32_e32 v62, vcc_lo, v57, v79, vcc_lo
	v_add_co_u32 v58, vcc_lo, v58, v76
	s_delay_alu instid0(VALU_DEP_4)
	v_min_f32_e32 v60, v63, v60
	v_add_co_ci_u32_e32 v59, vcc_lo, v59, v77, vcc_lo
	global_store_b32 v[61:62], v60, off
	flat_load_b32 v58, v[58:59]
	s_waitcnt vmcnt(0) lgkmcnt(0)
	v_mul_f32_e32 v58, s13, v58
.LBB66_106:
	v_dual_add_f32 v59, v33, v49 :: v_dual_add_f32 v60, v32, v48
	v_dual_add_f32 v53, v1, v53 :: v_dual_add_f32 v52, v0, v52
	;; [unrolled: 1-line block ×3, first 2 shown]
	s_delay_alu instid0(VALU_DEP_3) | instskip(SKIP_1) | instid1(VALU_DEP_4)
	v_min3_f32 v59, v60, v59, v121
	v_dual_add_f32 v63, v34, v50 :: v_dual_add_nc_u32 v60, 0x60, v111
	v_min3_f32 v61, v52, v53, v120
	s_delay_alu instid0(VALU_DEP_4) | instskip(SKIP_1) | instid1(VALU_DEP_4)
	v_min_f32_e32 v120, v54, v55
	v_add_f32_e32 v62, v35, v51
	v_mad_i64_i32 v[52:53], null, v60, s3, 0
	v_mad_i64_i32 v[54:55], null, v60, s0, 0
	s_delay_alu instid0(VALU_DEP_4)
	v_min3_f32 v61, v58, v120, v61
	v_add_co_u32 v58, vcc_lo, v56, v76
	v_min3_f32 v60, v63, v62, v59
	v_lshlrev_b64 v[52:53], 2, v[52:53]
	v_add_co_ci_u32_e32 v59, vcc_lo, v57, v77, vcc_lo
	v_lshlrev_b64 v[54:55], 2, v[54:55]
	s_delay_alu instid0(VALU_DEP_4) | instskip(NEXT) | instid1(VALU_DEP_4)
	v_max_f32_e32 v56, v60, v60
	v_add_co_u32 v52, vcc_lo, s1, v52
	v_add_co_ci_u32_e32 v53, vcc_lo, s4, v53, vcc_lo
	s_delay_alu instid0(VALU_DEP_4)
	v_add_co_u32 v54, vcc_lo, s8, v54
	v_add_co_ci_u32_e32 v55, vcc_lo, s9, v55, vcc_lo
	s_mov_b32 vcc_lo, s2
	global_store_b32 v[58:59], v61, off
	s_cbranch_vccz .LBB66_109
; %bb.107:
	v_add_co_u32 v57, vcc_lo, v52, v66
	v_min_f32_e32 v59, 0, v56
	v_add_co_ci_u32_e32 v58, vcc_lo, v53, v67, vcc_lo
	s_mov_b32 s5, 0
	global_store_b32 v[57:58], v59, off
	s_cbranch_execz .LBB66_110
; %bb.108:
	v_mov_b32_e32 v56, s5
	s_branch .LBB66_111
.LBB66_109:
	s_mov_b32 s5, -1
.LBB66_110:
	v_add_co_u32 v57, vcc_lo, v54, v66
	v_add_co_ci_u32_e32 v58, vcc_lo, v55, v67, vcc_lo
	flat_load_b32 v57, v[57:58]
	s_waitcnt vmcnt(0) lgkmcnt(0)
	v_mul_f32_e32 v59, s13, v57
	v_add_co_u32 v57, vcc_lo, v52, v66
	v_add_co_ci_u32_e32 v58, vcc_lo, v53, v67, vcc_lo
	s_delay_alu instid0(VALU_DEP_3)
	v_min_f32_e32 v56, v59, v56
	v_add_co_u32 v59, vcc_lo, v54, v64
	v_add_co_ci_u32_e32 v60, vcc_lo, v55, v65, vcc_lo
	global_store_b32 v[57:58], v56, off
	flat_load_b32 v56, v[59:60]
	s_waitcnt vmcnt(0) lgkmcnt(0)
	v_mul_f32_e32 v56, s13, v56
.LBB66_111:
	v_dual_add_f32 v57, v29, v49 :: v_dual_add_f32 v58, v28, v48
	v_dual_add_f32 v59, v25, v49 :: v_dual_add_f32 v60, v24, v48
	v_dual_add_f32 v61, v31, v51 :: v_dual_add_f32 v62, v30, v50
	s_delay_alu instid0(VALU_DEP_3) | instskip(NEXT) | instid1(VALU_DEP_3)
	v_min3_f32 v57, v58, v57, v118
	v_min3_f32 v58, v60, v59, v119
	v_dual_add_f32 v59, v27, v51 :: v_dual_add_f32 v60, v26, v50
	s_delay_alu instid0(VALU_DEP_1) | instskip(SKIP_1) | instid1(VALU_DEP_1)
	v_min3_f32 v59, v60, v59, v58
	v_min_f32_e32 v61, v62, v61
	v_min3_f32 v60, v56, v61, v57
	s_delay_alu instid0(VALU_DEP_3)
	v_max_f32_e32 v56, v59, v59
	v_add_co_u32 v57, vcc_lo, v52, v64
	v_add_co_ci_u32_e32 v58, vcc_lo, v53, v65, vcc_lo
	s_mov_b32 vcc_lo, s2
	global_store_b32 v[57:58], v60, off
	s_cbranch_vccz .LBB66_114
; %bb.112:
	v_add_co_u32 v57, vcc_lo, v52, v70
	v_min_f32_e32 v59, 0, v56
	v_add_co_ci_u32_e32 v58, vcc_lo, v53, v71, vcc_lo
	s_mov_b32 s5, 0
	global_store_b32 v[57:58], v59, off
	s_cbranch_execz .LBB66_115
; %bb.113:
	v_mov_b32_e32 v56, s5
	s_branch .LBB66_116
.LBB66_114:
	s_mov_b32 s5, -1
.LBB66_115:
	v_add_co_u32 v57, vcc_lo, v54, v70
	v_add_co_ci_u32_e32 v58, vcc_lo, v55, v71, vcc_lo
	flat_load_b32 v57, v[57:58]
	s_waitcnt vmcnt(0) lgkmcnt(0)
	v_mul_f32_e32 v59, s13, v57
	v_add_co_u32 v57, vcc_lo, v52, v70
	v_add_co_ci_u32_e32 v58, vcc_lo, v53, v71, vcc_lo
	s_delay_alu instid0(VALU_DEP_3)
	v_min_f32_e32 v56, v59, v56
	v_add_co_u32 v59, vcc_lo, v54, v68
	v_add_co_ci_u32_e32 v60, vcc_lo, v55, v69, vcc_lo
	global_store_b32 v[57:58], v56, off
	flat_load_b32 v56, v[59:60]
	s_waitcnt vmcnt(0) lgkmcnt(0)
	v_mul_f32_e32 v56, s13, v56
.LBB66_116:
	v_dual_add_f32 v57, v21, v49 :: v_dual_add_f32 v58, v20, v48
	v_dual_add_f32 v59, v17, v49 :: v_dual_add_f32 v60, v16, v48
	v_dual_add_f32 v61, v23, v51 :: v_dual_add_f32 v62, v22, v50
	s_delay_alu instid0(VALU_DEP_3) | instskip(NEXT) | instid1(VALU_DEP_3)
	v_min3_f32 v57, v58, v57, v117
	v_min3_f32 v58, v60, v59, v116
	v_dual_add_f32 v59, v19, v51 :: v_dual_add_f32 v60, v18, v50
	s_delay_alu instid0(VALU_DEP_1) | instskip(SKIP_1) | instid1(VALU_DEP_1)
	v_min3_f32 v59, v60, v59, v58
	v_min_f32_e32 v61, v62, v61
	v_min3_f32 v60, v56, v61, v57
	s_delay_alu instid0(VALU_DEP_3)
	v_max_f32_e32 v56, v59, v59
	;; [unrolled: 47-line block ×3, first 2 shown]
	v_add_co_u32 v57, vcc_lo, v52, v72
	v_add_co_ci_u32_e32 v58, vcc_lo, v53, v73, vcc_lo
	s_mov_b32 vcc_lo, s2
	global_store_b32 v[57:58], v60, off
	s_cbranch_vccz .LBB66_124
; %bb.122:
	v_add_co_u32 v57, vcc_lo, v52, v78
	v_min_f32_e32 v59, 0, v56
	v_add_co_ci_u32_e32 v58, vcc_lo, v53, v79, vcc_lo
	s_mov_b32 s5, 0
	global_store_b32 v[57:58], v59, off
	s_cbranch_execz .LBB66_125
; %bb.123:
	v_mov_b32_e32 v54, s5
	s_branch .LBB66_126
.LBB66_124:
	s_mov_b32 s5, -1
.LBB66_125:
	v_add_co_u32 v57, vcc_lo, v54, v78
	v_add_co_ci_u32_e32 v58, vcc_lo, v55, v79, vcc_lo
	flat_load_b32 v57, v[57:58]
	s_waitcnt vmcnt(0) lgkmcnt(0)
	v_mul_f32_e32 v59, s13, v57
	v_add_co_u32 v57, vcc_lo, v52, v78
	v_add_co_ci_u32_e32 v58, vcc_lo, v53, v79, vcc_lo
	v_add_co_u32 v54, vcc_lo, v54, v76
	s_delay_alu instid0(VALU_DEP_4)
	v_min_f32_e32 v56, v59, v56
	v_add_co_ci_u32_e32 v55, vcc_lo, v55, v77, vcc_lo
	global_store_b32 v[57:58], v56, off
	flat_load_b32 v54, v[54:55]
	s_waitcnt vmcnt(0) lgkmcnt(0)
	v_mul_f32_e32 v54, s13, v54
.LBB66_126:
	v_dual_add_f32 v55, v33, v45 :: v_dual_add_f32 v56, v32, v44
	v_dual_add_f32 v49, v1, v49 :: v_dual_add_f32 v48, v0, v48
	;; [unrolled: 1-line block ×3, first 2 shown]
	s_delay_alu instid0(VALU_DEP_3) | instskip(SKIP_1) | instid1(VALU_DEP_4)
	v_min3_f32 v55, v56, v55, v113
	v_dual_add_f32 v59, v34, v46 :: v_dual_add_nc_u32 v56, 0x80, v111
	v_min3_f32 v57, v48, v49, v112
	s_delay_alu instid0(VALU_DEP_4) | instskip(SKIP_1) | instid1(VALU_DEP_4)
	v_min_f32_e32 v60, v50, v51
	v_add_f32_e32 v58, v35, v47
	v_mad_i64_i32 v[48:49], null, v56, s3, 0
	v_mad_i64_i32 v[50:51], null, v56, s0, 0
	s_delay_alu instid0(VALU_DEP_4)
	v_min3_f32 v57, v54, v60, v57
	v_add_co_u32 v54, vcc_lo, v52, v76
	v_min3_f32 v56, v59, v58, v55
	v_lshlrev_b64 v[48:49], 2, v[48:49]
	v_add_co_ci_u32_e32 v55, vcc_lo, v53, v77, vcc_lo
	v_lshlrev_b64 v[50:51], 2, v[50:51]
	s_delay_alu instid0(VALU_DEP_4) | instskip(NEXT) | instid1(VALU_DEP_4)
	v_max_f32_e32 v52, v56, v56
	v_add_co_u32 v48, vcc_lo, s1, v48
	v_add_co_ci_u32_e32 v49, vcc_lo, s4, v49, vcc_lo
	s_delay_alu instid0(VALU_DEP_4)
	v_add_co_u32 v50, vcc_lo, s8, v50
	v_add_co_ci_u32_e32 v51, vcc_lo, s9, v51, vcc_lo
	s_mov_b32 vcc_lo, s2
	global_store_b32 v[54:55], v57, off
	s_cbranch_vccz .LBB66_129
; %bb.127:
	v_add_co_u32 v53, vcc_lo, v48, v66
	v_min_f32_e32 v55, 0, v52
	v_add_co_ci_u32_e32 v54, vcc_lo, v49, v67, vcc_lo
	s_mov_b32 s5, 0
	global_store_b32 v[53:54], v55, off
	s_cbranch_execz .LBB66_130
; %bb.128:
	v_mov_b32_e32 v52, s5
	s_branch .LBB66_131
.LBB66_129:
	s_mov_b32 s5, -1
.LBB66_130:
	v_add_co_u32 v53, vcc_lo, v50, v66
	v_add_co_ci_u32_e32 v54, vcc_lo, v51, v67, vcc_lo
	flat_load_b32 v53, v[53:54]
	s_waitcnt vmcnt(0) lgkmcnt(0)
	v_mul_f32_e32 v55, s13, v53
	v_add_co_u32 v53, vcc_lo, v48, v66
	v_add_co_ci_u32_e32 v54, vcc_lo, v49, v67, vcc_lo
	s_delay_alu instid0(VALU_DEP_3)
	v_min_f32_e32 v52, v55, v52
	v_add_co_u32 v55, vcc_lo, v50, v64
	v_add_co_ci_u32_e32 v56, vcc_lo, v51, v65, vcc_lo
	global_store_b32 v[53:54], v52, off
	flat_load_b32 v52, v[55:56]
	s_waitcnt vmcnt(0) lgkmcnt(0)
	v_mul_f32_e32 v52, s13, v52
.LBB66_131:
	v_dual_add_f32 v53, v29, v45 :: v_dual_add_f32 v54, v28, v44
	v_dual_add_f32 v55, v25, v45 :: v_dual_add_f32 v56, v24, v44
	v_dual_add_f32 v57, v31, v47 :: v_dual_add_f32 v58, v30, v46
	s_delay_alu instid0(VALU_DEP_3) | instskip(NEXT) | instid1(VALU_DEP_3)
	v_min3_f32 v53, v54, v53, v109
	v_min3_f32 v54, v56, v55, v110
	v_dual_add_f32 v55, v27, v47 :: v_dual_add_f32 v56, v26, v46
	s_delay_alu instid0(VALU_DEP_1) | instskip(SKIP_1) | instid1(VALU_DEP_1)
	v_min3_f32 v55, v56, v55, v54
	v_min_f32_e32 v57, v58, v57
	v_min3_f32 v56, v52, v57, v53
	s_delay_alu instid0(VALU_DEP_3)
	v_max_f32_e32 v52, v55, v55
	v_add_co_u32 v53, vcc_lo, v48, v64
	v_add_co_ci_u32_e32 v54, vcc_lo, v49, v65, vcc_lo
	s_mov_b32 vcc_lo, s2
	global_store_b32 v[53:54], v56, off
	s_cbranch_vccz .LBB66_134
; %bb.132:
	v_add_co_u32 v53, vcc_lo, v48, v70
	v_min_f32_e32 v55, 0, v52
	v_add_co_ci_u32_e32 v54, vcc_lo, v49, v71, vcc_lo
	s_mov_b32 s5, 0
	global_store_b32 v[53:54], v55, off
	s_cbranch_execz .LBB66_135
; %bb.133:
	v_mov_b32_e32 v52, s5
	s_branch .LBB66_136
.LBB66_134:
	s_mov_b32 s5, -1
.LBB66_135:
	v_add_co_u32 v53, vcc_lo, v50, v70
	v_add_co_ci_u32_e32 v54, vcc_lo, v51, v71, vcc_lo
	flat_load_b32 v53, v[53:54]
	s_waitcnt vmcnt(0) lgkmcnt(0)
	v_mul_f32_e32 v55, s13, v53
	v_add_co_u32 v53, vcc_lo, v48, v70
	v_add_co_ci_u32_e32 v54, vcc_lo, v49, v71, vcc_lo
	s_delay_alu instid0(VALU_DEP_3)
	v_min_f32_e32 v52, v55, v52
	v_add_co_u32 v55, vcc_lo, v50, v68
	v_add_co_ci_u32_e32 v56, vcc_lo, v51, v69, vcc_lo
	global_store_b32 v[53:54], v52, off
	flat_load_b32 v52, v[55:56]
	s_waitcnt vmcnt(0) lgkmcnt(0)
	v_mul_f32_e32 v52, s13, v52
.LBB66_136:
	v_dual_add_f32 v53, v21, v45 :: v_dual_add_f32 v54, v20, v44
	v_dual_add_f32 v55, v17, v45 :: v_dual_add_f32 v56, v16, v44
	v_dual_add_f32 v57, v23, v47 :: v_dual_add_f32 v58, v22, v46
	s_delay_alu instid0(VALU_DEP_3) | instskip(NEXT) | instid1(VALU_DEP_3)
	v_min3_f32 v53, v54, v53, v107
	v_min3_f32 v54, v56, v55, v108
	v_dual_add_f32 v55, v19, v47 :: v_dual_add_f32 v56, v18, v46
	s_delay_alu instid0(VALU_DEP_1) | instskip(SKIP_1) | instid1(VALU_DEP_1)
	v_min3_f32 v55, v56, v55, v54
	v_min_f32_e32 v57, v58, v57
	v_min3_f32 v56, v52, v57, v53
	s_delay_alu instid0(VALU_DEP_3)
	v_max_f32_e32 v52, v55, v55
	;; [unrolled: 47-line block ×3, first 2 shown]
	v_add_co_u32 v53, vcc_lo, v48, v72
	v_add_co_ci_u32_e32 v54, vcc_lo, v49, v73, vcc_lo
	s_mov_b32 vcc_lo, s2
	global_store_b32 v[53:54], v56, off
	s_cbranch_vccz .LBB66_144
; %bb.142:
	v_add_co_u32 v53, vcc_lo, v48, v78
	v_min_f32_e32 v55, 0, v52
	v_add_co_ci_u32_e32 v54, vcc_lo, v49, v79, vcc_lo
	s_mov_b32 s5, 0
	global_store_b32 v[53:54], v55, off
	s_cbranch_execz .LBB66_145
; %bb.143:
	v_mov_b32_e32 v50, s5
	s_branch .LBB66_146
.LBB66_144:
	s_mov_b32 s5, -1
.LBB66_145:
	v_add_co_u32 v53, vcc_lo, v50, v78
	v_add_co_ci_u32_e32 v54, vcc_lo, v51, v79, vcc_lo
	flat_load_b32 v53, v[53:54]
	s_waitcnt vmcnt(0) lgkmcnt(0)
	v_mul_f32_e32 v55, s13, v53
	v_add_co_u32 v53, vcc_lo, v48, v78
	v_add_co_ci_u32_e32 v54, vcc_lo, v49, v79, vcc_lo
	v_add_co_u32 v50, vcc_lo, v50, v76
	s_delay_alu instid0(VALU_DEP_4)
	v_min_f32_e32 v52, v55, v52
	v_add_co_ci_u32_e32 v51, vcc_lo, v51, v77, vcc_lo
	global_store_b32 v[53:54], v52, off
	flat_load_b32 v50, v[50:51]
	s_waitcnt vmcnt(0) lgkmcnt(0)
	v_mul_f32_e32 v50, s13, v50
.LBB66_146:
	v_dual_add_f32 v51, v33, v41 :: v_dual_add_f32 v52, v32, v40
	v_dual_add_f32 v45, v1, v45 :: v_dual_add_f32 v44, v0, v44
	v_dual_add_f32 v47, v3, v47 :: v_dual_add_f32 v46, v2, v46
	s_delay_alu instid0(VALU_DEP_3) | instskip(SKIP_1) | instid1(VALU_DEP_4)
	v_min3_f32 v51, v52, v51, v104
	v_dual_add_f32 v55, v34, v42 :: v_dual_add_nc_u32 v52, 0xa0, v111
	v_min3_f32 v53, v44, v45, v103
	s_delay_alu instid0(VALU_DEP_4) | instskip(SKIP_1) | instid1(VALU_DEP_4)
	v_min_f32_e32 v56, v46, v47
	v_add_f32_e32 v54, v35, v43
	v_mad_i64_i32 v[44:45], null, v52, s3, 0
	v_mad_i64_i32 v[46:47], null, v52, s0, 0
	s_delay_alu instid0(VALU_DEP_4)
	v_min3_f32 v53, v50, v56, v53
	v_add_co_u32 v50, vcc_lo, v48, v76
	v_min3_f32 v52, v55, v54, v51
	v_lshlrev_b64 v[44:45], 2, v[44:45]
	v_add_co_ci_u32_e32 v51, vcc_lo, v49, v77, vcc_lo
	v_lshlrev_b64 v[46:47], 2, v[46:47]
	s_delay_alu instid0(VALU_DEP_4) | instskip(NEXT) | instid1(VALU_DEP_4)
	v_max_f32_e32 v48, v52, v52
	v_add_co_u32 v44, vcc_lo, s1, v44
	v_add_co_ci_u32_e32 v45, vcc_lo, s4, v45, vcc_lo
	s_delay_alu instid0(VALU_DEP_4)
	v_add_co_u32 v46, vcc_lo, s8, v46
	v_add_co_ci_u32_e32 v47, vcc_lo, s9, v47, vcc_lo
	s_mov_b32 vcc_lo, s2
	global_store_b32 v[50:51], v53, off
	s_cbranch_vccz .LBB66_149
; %bb.147:
	v_add_co_u32 v49, vcc_lo, v44, v66
	v_min_f32_e32 v51, 0, v48
	v_add_co_ci_u32_e32 v50, vcc_lo, v45, v67, vcc_lo
	s_mov_b32 s5, 0
	global_store_b32 v[49:50], v51, off
	s_cbranch_execz .LBB66_150
; %bb.148:
	v_mov_b32_e32 v48, s5
	s_branch .LBB66_151
.LBB66_149:
	s_mov_b32 s5, -1
.LBB66_150:
	v_add_co_u32 v49, vcc_lo, v46, v66
	v_add_co_ci_u32_e32 v50, vcc_lo, v47, v67, vcc_lo
	flat_load_b32 v49, v[49:50]
	s_waitcnt vmcnt(0) lgkmcnt(0)
	v_mul_f32_e32 v51, s13, v49
	v_add_co_u32 v49, vcc_lo, v44, v66
	v_add_co_ci_u32_e32 v50, vcc_lo, v45, v67, vcc_lo
	s_delay_alu instid0(VALU_DEP_3)
	v_min_f32_e32 v48, v51, v48
	v_add_co_u32 v51, vcc_lo, v46, v64
	v_add_co_ci_u32_e32 v52, vcc_lo, v47, v65, vcc_lo
	global_store_b32 v[49:50], v48, off
	flat_load_b32 v48, v[51:52]
	s_waitcnt vmcnt(0) lgkmcnt(0)
	v_mul_f32_e32 v48, s13, v48
.LBB66_151:
	v_dual_add_f32 v49, v29, v41 :: v_dual_add_f32 v50, v28, v40
	v_dual_add_f32 v51, v25, v41 :: v_dual_add_f32 v52, v24, v40
	v_dual_add_f32 v53, v31, v43 :: v_dual_add_f32 v54, v30, v42
	s_delay_alu instid0(VALU_DEP_3) | instskip(NEXT) | instid1(VALU_DEP_3)
	v_min3_f32 v49, v50, v49, v101
	v_min3_f32 v50, v52, v51, v102
	v_dual_add_f32 v51, v27, v43 :: v_dual_add_f32 v52, v26, v42
	s_delay_alu instid0(VALU_DEP_1) | instskip(SKIP_1) | instid1(VALU_DEP_1)
	v_min3_f32 v51, v52, v51, v50
	v_min_f32_e32 v53, v54, v53
	v_min3_f32 v52, v48, v53, v49
	s_delay_alu instid0(VALU_DEP_3)
	v_max_f32_e32 v48, v51, v51
	v_add_co_u32 v49, vcc_lo, v44, v64
	v_add_co_ci_u32_e32 v50, vcc_lo, v45, v65, vcc_lo
	s_mov_b32 vcc_lo, s2
	global_store_b32 v[49:50], v52, off
	s_cbranch_vccz .LBB66_154
; %bb.152:
	v_add_co_u32 v49, vcc_lo, v44, v70
	v_min_f32_e32 v51, 0, v48
	v_add_co_ci_u32_e32 v50, vcc_lo, v45, v71, vcc_lo
	s_mov_b32 s5, 0
	global_store_b32 v[49:50], v51, off
	s_cbranch_execz .LBB66_155
; %bb.153:
	v_mov_b32_e32 v48, s5
	s_branch .LBB66_156
.LBB66_154:
	s_mov_b32 s5, -1
.LBB66_155:
	v_add_co_u32 v49, vcc_lo, v46, v70
	v_add_co_ci_u32_e32 v50, vcc_lo, v47, v71, vcc_lo
	flat_load_b32 v49, v[49:50]
	s_waitcnt vmcnt(0) lgkmcnt(0)
	v_mul_f32_e32 v51, s13, v49
	v_add_co_u32 v49, vcc_lo, v44, v70
	v_add_co_ci_u32_e32 v50, vcc_lo, v45, v71, vcc_lo
	s_delay_alu instid0(VALU_DEP_3)
	v_min_f32_e32 v48, v51, v48
	v_add_co_u32 v51, vcc_lo, v46, v68
	v_add_co_ci_u32_e32 v52, vcc_lo, v47, v69, vcc_lo
	global_store_b32 v[49:50], v48, off
	flat_load_b32 v48, v[51:52]
	s_waitcnt vmcnt(0) lgkmcnt(0)
	v_mul_f32_e32 v48, s13, v48
.LBB66_156:
	v_dual_add_f32 v49, v21, v41 :: v_dual_add_f32 v50, v20, v40
	v_dual_add_f32 v51, v17, v41 :: v_dual_add_f32 v52, v16, v40
	v_dual_add_f32 v53, v23, v43 :: v_dual_add_f32 v54, v22, v42
	s_delay_alu instid0(VALU_DEP_3) | instskip(NEXT) | instid1(VALU_DEP_3)
	v_min3_f32 v49, v50, v49, v99
	v_min3_f32 v50, v52, v51, v100
	v_dual_add_f32 v51, v19, v43 :: v_dual_add_f32 v52, v18, v42
	s_delay_alu instid0(VALU_DEP_1) | instskip(SKIP_1) | instid1(VALU_DEP_1)
	v_min3_f32 v51, v52, v51, v50
	v_min_f32_e32 v53, v54, v53
	v_min3_f32 v52, v48, v53, v49
	s_delay_alu instid0(VALU_DEP_3)
	v_max_f32_e32 v48, v51, v51
	;; [unrolled: 47-line block ×3, first 2 shown]
	v_add_co_u32 v49, vcc_lo, v44, v72
	v_add_co_ci_u32_e32 v50, vcc_lo, v45, v73, vcc_lo
	s_mov_b32 vcc_lo, s2
	global_store_b32 v[49:50], v52, off
	s_cbranch_vccz .LBB66_164
; %bb.162:
	v_add_co_u32 v49, vcc_lo, v44, v78
	v_min_f32_e32 v51, 0, v48
	v_add_co_ci_u32_e32 v50, vcc_lo, v45, v79, vcc_lo
	s_mov_b32 s5, 0
	global_store_b32 v[49:50], v51, off
	s_cbranch_execz .LBB66_165
; %bb.163:
	v_mov_b32_e32 v46, s5
	s_branch .LBB66_166
.LBB66_164:
	s_mov_b32 s5, -1
.LBB66_165:
	v_add_co_u32 v49, vcc_lo, v46, v78
	v_add_co_ci_u32_e32 v50, vcc_lo, v47, v79, vcc_lo
	flat_load_b32 v49, v[49:50]
	s_waitcnt vmcnt(0) lgkmcnt(0)
	v_mul_f32_e32 v51, s13, v49
	v_add_co_u32 v49, vcc_lo, v44, v78
	v_add_co_ci_u32_e32 v50, vcc_lo, v45, v79, vcc_lo
	v_add_co_u32 v46, vcc_lo, v46, v76
	s_delay_alu instid0(VALU_DEP_4)
	v_min_f32_e32 v48, v51, v48
	v_add_co_ci_u32_e32 v47, vcc_lo, v47, v77, vcc_lo
	global_store_b32 v[49:50], v48, off
	flat_load_b32 v46, v[46:47]
	s_waitcnt vmcnt(0) lgkmcnt(0)
	v_mul_f32_e32 v46, s13, v46
.LBB66_166:
	v_dual_add_f32 v47, v33, v37 :: v_dual_add_f32 v48, v32, v36
	v_dual_add_f32 v41, v1, v41 :: v_dual_add_f32 v40, v0, v40
	;; [unrolled: 1-line block ×3, first 2 shown]
	s_delay_alu instid0(VALU_DEP_3) | instskip(SKIP_1) | instid1(VALU_DEP_4)
	v_min3_f32 v47, v48, v47, v95
	v_dual_add_f32 v51, v34, v38 :: v_dual_add_nc_u32 v48, 0xc0, v111
	v_min3_f32 v49, v40, v41, v96
	s_delay_alu instid0(VALU_DEP_4) | instskip(SKIP_1) | instid1(VALU_DEP_4)
	v_min_f32_e32 v52, v42, v43
	v_add_f32_e32 v50, v35, v39
	v_mad_i64_i32 v[40:41], null, v48, s3, 0
	v_mad_i64_i32 v[42:43], null, v48, s0, 0
	s_delay_alu instid0(VALU_DEP_4)
	v_min3_f32 v49, v46, v52, v49
	v_add_co_u32 v46, vcc_lo, v44, v76
	v_min3_f32 v48, v51, v50, v47
	v_lshlrev_b64 v[40:41], 2, v[40:41]
	v_add_co_ci_u32_e32 v47, vcc_lo, v45, v77, vcc_lo
	v_lshlrev_b64 v[42:43], 2, v[42:43]
	s_delay_alu instid0(VALU_DEP_4) | instskip(NEXT) | instid1(VALU_DEP_4)
	v_max_f32_e32 v44, v48, v48
	v_add_co_u32 v40, vcc_lo, s1, v40
	v_add_co_ci_u32_e32 v41, vcc_lo, s4, v41, vcc_lo
	s_delay_alu instid0(VALU_DEP_4)
	v_add_co_u32 v42, vcc_lo, s8, v42
	v_add_co_ci_u32_e32 v43, vcc_lo, s9, v43, vcc_lo
	s_mov_b32 vcc_lo, s2
	global_store_b32 v[46:47], v49, off
	s_cbranch_vccz .LBB66_169
; %bb.167:
	v_add_co_u32 v45, vcc_lo, v40, v66
	v_min_f32_e32 v47, 0, v44
	v_add_co_ci_u32_e32 v46, vcc_lo, v41, v67, vcc_lo
	s_mov_b32 s5, 0
	global_store_b32 v[45:46], v47, off
	s_cbranch_execz .LBB66_170
; %bb.168:
	v_mov_b32_e32 v44, s5
	s_branch .LBB66_171
.LBB66_169:
	s_mov_b32 s5, -1
.LBB66_170:
	v_add_co_u32 v45, vcc_lo, v42, v66
	v_add_co_ci_u32_e32 v46, vcc_lo, v43, v67, vcc_lo
	flat_load_b32 v45, v[45:46]
	s_waitcnt vmcnt(0) lgkmcnt(0)
	v_mul_f32_e32 v47, s13, v45
	v_add_co_u32 v45, vcc_lo, v40, v66
	v_add_co_ci_u32_e32 v46, vcc_lo, v41, v67, vcc_lo
	s_delay_alu instid0(VALU_DEP_3)
	v_min_f32_e32 v44, v47, v44
	v_add_co_u32 v47, vcc_lo, v42, v64
	v_add_co_ci_u32_e32 v48, vcc_lo, v43, v65, vcc_lo
	global_store_b32 v[45:46], v44, off
	flat_load_b32 v44, v[47:48]
	s_waitcnt vmcnt(0) lgkmcnt(0)
	v_mul_f32_e32 v44, s13, v44
.LBB66_171:
	v_dual_add_f32 v45, v29, v37 :: v_dual_add_f32 v46, v28, v36
	v_dual_add_f32 v47, v25, v37 :: v_dual_add_f32 v48, v24, v36
	v_dual_add_f32 v49, v31, v39 :: v_dual_add_f32 v50, v30, v38
	s_delay_alu instid0(VALU_DEP_3) | instskip(NEXT) | instid1(VALU_DEP_3)
	v_min3_f32 v45, v46, v45, v93
	v_min3_f32 v46, v48, v47, v94
	v_dual_add_f32 v47, v27, v39 :: v_dual_add_f32 v48, v26, v38
	s_delay_alu instid0(VALU_DEP_1) | instskip(SKIP_1) | instid1(VALU_DEP_1)
	v_min3_f32 v47, v48, v47, v46
	v_min_f32_e32 v49, v50, v49
	v_min3_f32 v48, v44, v49, v45
	s_delay_alu instid0(VALU_DEP_3)
	v_max_f32_e32 v44, v47, v47
	v_add_co_u32 v45, vcc_lo, v40, v64
	v_add_co_ci_u32_e32 v46, vcc_lo, v41, v65, vcc_lo
	s_mov_b32 vcc_lo, s2
	global_store_b32 v[45:46], v48, off
	s_cbranch_vccz .LBB66_174
; %bb.172:
	v_add_co_u32 v45, vcc_lo, v40, v70
	v_min_f32_e32 v47, 0, v44
	v_add_co_ci_u32_e32 v46, vcc_lo, v41, v71, vcc_lo
	s_mov_b32 s5, 0
	global_store_b32 v[45:46], v47, off
	s_cbranch_execz .LBB66_175
; %bb.173:
	v_mov_b32_e32 v44, s5
	s_branch .LBB66_176
.LBB66_174:
	s_mov_b32 s5, -1
.LBB66_175:
	v_add_co_u32 v45, vcc_lo, v42, v70
	v_add_co_ci_u32_e32 v46, vcc_lo, v43, v71, vcc_lo
	flat_load_b32 v45, v[45:46]
	s_waitcnt vmcnt(0) lgkmcnt(0)
	v_mul_f32_e32 v47, s13, v45
	v_add_co_u32 v45, vcc_lo, v40, v70
	v_add_co_ci_u32_e32 v46, vcc_lo, v41, v71, vcc_lo
	s_delay_alu instid0(VALU_DEP_3)
	v_min_f32_e32 v44, v47, v44
	v_add_co_u32 v47, vcc_lo, v42, v68
	v_add_co_ci_u32_e32 v48, vcc_lo, v43, v69, vcc_lo
	global_store_b32 v[45:46], v44, off
	flat_load_b32 v44, v[47:48]
	s_waitcnt vmcnt(0) lgkmcnt(0)
	v_mul_f32_e32 v44, s13, v44
.LBB66_176:
	v_dual_add_f32 v45, v21, v37 :: v_dual_add_f32 v46, v20, v36
	v_dual_add_f32 v47, v17, v37 :: v_dual_add_f32 v48, v16, v36
	v_dual_add_f32 v49, v23, v39 :: v_dual_add_f32 v50, v22, v38
	s_delay_alu instid0(VALU_DEP_3) | instskip(NEXT) | instid1(VALU_DEP_3)
	v_min3_f32 v45, v46, v45, v91
	v_min3_f32 v46, v48, v47, v92
	v_dual_add_f32 v47, v19, v39 :: v_dual_add_f32 v48, v18, v38
	s_delay_alu instid0(VALU_DEP_1) | instskip(SKIP_1) | instid1(VALU_DEP_1)
	v_min3_f32 v47, v48, v47, v46
	v_min_f32_e32 v49, v50, v49
	v_min3_f32 v48, v44, v49, v45
	s_delay_alu instid0(VALU_DEP_3)
	v_max_f32_e32 v44, v47, v47
	;; [unrolled: 47-line block ×3, first 2 shown]
	v_add_co_u32 v45, vcc_lo, v40, v72
	v_add_co_ci_u32_e32 v46, vcc_lo, v41, v73, vcc_lo
	s_mov_b32 vcc_lo, s2
	global_store_b32 v[45:46], v48, off
	s_cbranch_vccz .LBB66_184
; %bb.182:
	v_add_co_u32 v45, vcc_lo, v40, v78
	v_min_f32_e32 v47, 0, v44
	v_add_co_ci_u32_e32 v46, vcc_lo, v41, v79, vcc_lo
	s_mov_b32 s5, 0
	global_store_b32 v[45:46], v47, off
	s_cbranch_execz .LBB66_185
; %bb.183:
	v_mov_b32_e32 v42, s5
	s_branch .LBB66_186
.LBB66_184:
	s_mov_b32 s5, -1
.LBB66_185:
	v_add_co_u32 v45, vcc_lo, v42, v78
	v_add_co_ci_u32_e32 v46, vcc_lo, v43, v79, vcc_lo
	flat_load_b32 v45, v[45:46]
	s_waitcnt vmcnt(0) lgkmcnt(0)
	v_mul_f32_e32 v47, s13, v45
	v_add_co_u32 v45, vcc_lo, v40, v78
	v_add_co_ci_u32_e32 v46, vcc_lo, v41, v79, vcc_lo
	v_add_co_u32 v42, vcc_lo, v42, v76
	s_delay_alu instid0(VALU_DEP_4)
	v_min_f32_e32 v44, v47, v44
	v_add_co_ci_u32_e32 v43, vcc_lo, v43, v77, vcc_lo
	global_store_b32 v[45:46], v44, off
	flat_load_b32 v42, v[42:43]
	s_waitcnt vmcnt(0) lgkmcnt(0)
	v_mul_f32_e32 v42, s13, v42
.LBB66_186:
	v_dual_add_f32 v37, v1, v37 :: v_dual_add_f32 v36, v0, v36
	s_waitcnt lgkmcnt(0)
	v_dual_add_f32 v33, v33, v5 :: v_dual_add_f32 v32, v32, v4
	v_dual_add_f32 v38, v2, v38 :: v_dual_add_nc_u32 v43, 0xe0, v111
	s_delay_alu instid0(VALU_DEP_3) | instskip(SKIP_1) | instid1(VALU_DEP_4)
	v_min3_f32 v36, v36, v37, v87
	v_add_f32_e32 v39, v3, v39
	v_min3_f32 v37, v32, v33, v88
	s_delay_alu instid0(VALU_DEP_4) | instskip(SKIP_3) | instid1(VALU_DEP_4)
	v_mad_i64_i32 v[32:33], null, v43, s3, 0
	v_dual_add_f32 v44, v35, v7 :: v_dual_add_f32 v45, v34, v6
	v_mad_i64_i32 v[34:35], null, v43, s0, 0
	v_min_f32_e32 v38, v38, v39
	v_lshlrev_b64 v[32:33], 2, v[32:33]
	s_delay_alu instid0(VALU_DEP_4)
	v_min3_f32 v39, v45, v44, v37
	v_add_co_u32 v37, vcc_lo, v40, v76
	v_lshlrev_b64 v[34:35], 2, v[34:35]
	v_min3_f32 v42, v42, v38, v36
	v_add_co_ci_u32_e32 v38, vcc_lo, v41, v77, vcc_lo
	v_add_co_u32 v32, vcc_lo, s1, v32
	v_add_co_ci_u32_e32 v33, vcc_lo, s4, v33, vcc_lo
	v_add_co_u32 v34, vcc_lo, s8, v34
	v_add_co_ci_u32_e32 v35, vcc_lo, s9, v35, vcc_lo
	v_max_f32_e32 v36, v39, v39
	s_mov_b32 vcc_lo, s2
	global_store_b32 v[37:38], v42, off
	s_cbranch_vccz .LBB66_189
; %bb.187:
	v_add_co_u32 v37, vcc_lo, v32, v66
	v_min_f32_e32 v39, 0, v36
	v_add_co_ci_u32_e32 v38, vcc_lo, v33, v67, vcc_lo
	s_mov_b32 s0, 0
	global_store_b32 v[37:38], v39, off
	s_cbranch_execz .LBB66_190
; %bb.188:
	v_mov_b32_e32 v36, s0
	s_branch .LBB66_191
.LBB66_189:
	s_mov_b32 s0, -1
.LBB66_190:
	v_add_co_u32 v37, vcc_lo, v34, v66
	v_add_co_ci_u32_e32 v38, vcc_lo, v35, v67, vcc_lo
	flat_load_b32 v37, v[37:38]
	s_waitcnt vmcnt(0) lgkmcnt(0)
	v_mul_f32_e32 v39, s13, v37
	v_add_co_u32 v37, vcc_lo, v32, v66
	v_add_co_ci_u32_e32 v38, vcc_lo, v33, v67, vcc_lo
	s_delay_alu instid0(VALU_DEP_3)
	v_min_f32_e32 v36, v39, v36
	v_add_co_u32 v39, vcc_lo, v34, v64
	v_add_co_ci_u32_e32 v40, vcc_lo, v35, v65, vcc_lo
	global_store_b32 v[37:38], v36, off
	flat_load_b32 v36, v[39:40]
	s_waitcnt vmcnt(0) lgkmcnt(0)
	v_mul_f32_e32 v36, s13, v36
.LBB66_191:
	v_dual_add_f32 v25, v25, v5 :: v_dual_add_f32 v24, v24, v4
	v_dual_add_f32 v29, v29, v5 :: v_dual_add_f32 v28, v28, v4
	v_dual_add_f32 v31, v31, v7 :: v_dual_add_f32 v30, v30, v6
	s_delay_alu instid0(VALU_DEP_3) | instskip(SKIP_1) | instid1(VALU_DEP_4)
	v_min3_f32 v24, v24, v25, v85
	v_dual_add_f32 v25, v27, v7 :: v_dual_add_f32 v26, v26, v6
	v_min3_f32 v28, v28, v29, v86
	s_delay_alu instid0(VALU_DEP_2) | instskip(SKIP_3) | instid1(VALU_DEP_4)
	v_min3_f32 v24, v26, v25, v24
	v_min_f32_e32 v27, v30, v31
	v_add_co_u32 v25, vcc_lo, v32, v64
	v_add_co_ci_u32_e32 v26, vcc_lo, v33, v65, vcc_lo
	v_max_f32_e32 v24, v24, v24
	s_delay_alu instid0(VALU_DEP_4)
	v_min3_f32 v27, v36, v27, v28
	s_mov_b32 vcc_lo, s2
	global_store_b32 v[25:26], v27, off
	s_cbranch_vccz .LBB66_194
; %bb.192:
	v_add_co_u32 v25, vcc_lo, v32, v70
	v_min_f32_e32 v27, 0, v24
	v_add_co_ci_u32_e32 v26, vcc_lo, v33, v71, vcc_lo
	s_mov_b32 s0, 0
	global_store_b32 v[25:26], v27, off
	s_cbranch_execz .LBB66_195
; %bb.193:
	v_mov_b32_e32 v24, s0
	s_branch .LBB66_196
.LBB66_194:
	s_mov_b32 s0, -1
.LBB66_195:
	v_add_co_u32 v25, vcc_lo, v34, v70
	v_add_co_ci_u32_e32 v26, vcc_lo, v35, v71, vcc_lo
	flat_load_b32 v25, v[25:26]
	s_waitcnt vmcnt(0) lgkmcnt(0)
	v_mul_f32_e32 v27, s13, v25
	v_add_co_u32 v25, vcc_lo, v32, v70
	v_add_co_ci_u32_e32 v26, vcc_lo, v33, v71, vcc_lo
	s_delay_alu instid0(VALU_DEP_3)
	v_min_f32_e32 v24, v27, v24
	v_add_co_u32 v27, vcc_lo, v34, v68
	v_add_co_ci_u32_e32 v28, vcc_lo, v35, v69, vcc_lo
	global_store_b32 v[25:26], v24, off
	flat_load_b32 v24, v[27:28]
	s_waitcnt vmcnt(0) lgkmcnt(0)
	v_mul_f32_e32 v24, s13, v24
.LBB66_196:
	v_dual_add_f32 v17, v17, v5 :: v_dual_add_f32 v16, v16, v4
	v_dual_add_f32 v21, v21, v5 :: v_dual_add_f32 v20, v20, v4
	v_dual_add_f32 v23, v23, v7 :: v_dual_add_f32 v22, v22, v6
	s_delay_alu instid0(VALU_DEP_3) | instskip(SKIP_1) | instid1(VALU_DEP_4)
	v_min3_f32 v16, v16, v17, v84
	v_dual_add_f32 v17, v19, v7 :: v_dual_add_f32 v18, v18, v6
	v_min3_f32 v20, v20, v21, v83
	s_delay_alu instid0(VALU_DEP_2) | instskip(SKIP_3) | instid1(VALU_DEP_4)
	v_min3_f32 v16, v18, v17, v16
	v_min_f32_e32 v19, v22, v23
	v_add_co_u32 v17, vcc_lo, v32, v68
	v_add_co_ci_u32_e32 v18, vcc_lo, v33, v69, vcc_lo
	v_max_f32_e32 v16, v16, v16
	s_delay_alu instid0(VALU_DEP_4)
	v_min3_f32 v19, v24, v19, v20
	;; [unrolled: 47-line block ×3, first 2 shown]
	s_mov_b32 vcc_lo, s2
	global_store_b32 v[9:10], v11, off
	s_cbranch_vccz .LBB66_204
; %bb.202:
	v_add_co_u32 v9, vcc_lo, v32, v78
	v_min_f32_e32 v11, 0, v8
	v_add_co_ci_u32_e32 v10, vcc_lo, v33, v79, vcc_lo
	s_mov_b32 s0, 0
	global_store_b32 v[9:10], v11, off
	s_cbranch_execz .LBB66_205
; %bb.203:
	v_mov_b32_e32 v8, s0
	s_branch .LBB66_206
.LBB66_204:
	s_mov_b32 s0, -1
.LBB66_205:
	v_add_co_u32 v9, vcc_lo, v34, v78
	v_add_co_ci_u32_e32 v10, vcc_lo, v35, v79, vcc_lo
	flat_load_b32 v9, v[9:10]
	s_waitcnt vmcnt(0) lgkmcnt(0)
	v_mul_f32_e32 v11, s13, v9
	v_add_co_u32 v9, vcc_lo, v32, v78
	v_add_co_ci_u32_e32 v10, vcc_lo, v33, v79, vcc_lo
	s_delay_alu instid0(VALU_DEP_3)
	v_min_f32_e32 v8, v11, v8
	v_add_co_u32 v11, vcc_lo, v34, v76
	v_add_co_ci_u32_e32 v12, vcc_lo, v35, v77, vcc_lo
	global_store_b32 v[9:10], v8, off
	flat_load_b32 v8, v[11:12]
	s_waitcnt vmcnt(0) lgkmcnt(0)
	v_mul_f32_e32 v8, s13, v8
.LBB66_206:
	v_dual_add_f32 v3, v3, v7 :: v_dual_add_f32 v2, v2, v6
	v_dual_add_f32 v1, v1, v5 :: v_dual_add_f32 v0, v0, v4
	s_delay_alu instid0(VALU_DEP_2) | instskip(NEXT) | instid1(VALU_DEP_2)
	v_min_f32_e32 v2, v2, v3
	v_min3_f32 v0, v0, v1, v80
	s_delay_alu instid0(VALU_DEP_1)
	v_min3_f32 v2, v8, v2, v0
	v_add_co_u32 v0, vcc_lo, v32, v76
	v_add_co_ci_u32_e32 v1, vcc_lo, v33, v77, vcc_lo
	global_store_b32 v[0:1], v2, off
	s_nop 0
	s_sendmsg sendmsg(MSG_DEALLOC_VGPRS)
	s_endpgm
	.section	.rodata,"a",@progbits
	.p2align	6, 0x0
	.amdhsa_kernel _ZN12_GLOBAL__N_120geam_min_plus_kernelIf15HIP_vector_typeIfLj2EEfLi8ELi32ELi64ELi256ELi4ELi64ELi4ELi64ELi4ELc78ELc84ELb0ELb0ELb1EPKfS3_fEEviiiT16_PT17_ilS7_ilS5_S7_ilPT18_ili26rocblas_geam_ex_operation_
		.amdhsa_group_segment_fixed_size 10240
		.amdhsa_private_segment_fixed_size 68
		.amdhsa_kernarg_size 136
		.amdhsa_user_sgpr_count 14
		.amdhsa_user_sgpr_dispatch_ptr 0
		.amdhsa_user_sgpr_queue_ptr 0
		.amdhsa_user_sgpr_kernarg_segment_ptr 1
		.amdhsa_user_sgpr_dispatch_id 0
		.amdhsa_user_sgpr_private_segment_size 0
		.amdhsa_wavefront_size32 1
		.amdhsa_uses_dynamic_stack 0
		.amdhsa_enable_private_segment 1
		.amdhsa_system_sgpr_workgroup_id_x 1
		.amdhsa_system_sgpr_workgroup_id_y 0
		.amdhsa_system_sgpr_workgroup_id_z 1
		.amdhsa_system_sgpr_workgroup_info 0
		.amdhsa_system_vgpr_workitem_id 1
		.amdhsa_next_free_vgpr 256
		.amdhsa_next_free_sgpr 24
		.amdhsa_reserve_vcc 1
		.amdhsa_float_round_mode_32 0
		.amdhsa_float_round_mode_16_64 0
		.amdhsa_float_denorm_mode_32 3
		.amdhsa_float_denorm_mode_16_64 3
		.amdhsa_dx10_clamp 1
		.amdhsa_ieee_mode 1
		.amdhsa_fp16_overflow 0
		.amdhsa_workgroup_processor_mode 1
		.amdhsa_memory_ordered 1
		.amdhsa_forward_progress 0
		.amdhsa_shared_vgpr_count 0
		.amdhsa_exception_fp_ieee_invalid_op 0
		.amdhsa_exception_fp_denorm_src 0
		.amdhsa_exception_fp_ieee_div_zero 0
		.amdhsa_exception_fp_ieee_overflow 0
		.amdhsa_exception_fp_ieee_underflow 0
		.amdhsa_exception_fp_ieee_inexact 0
		.amdhsa_exception_int_div_zero 0
	.end_amdhsa_kernel
	.section	.text._ZN12_GLOBAL__N_120geam_min_plus_kernelIf15HIP_vector_typeIfLj2EEfLi8ELi32ELi64ELi256ELi4ELi64ELi4ELi64ELi4ELc78ELc84ELb0ELb0ELb1EPKfS3_fEEviiiT16_PT17_ilS7_ilS5_S7_ilPT18_ili26rocblas_geam_ex_operation_,"axG",@progbits,_ZN12_GLOBAL__N_120geam_min_plus_kernelIf15HIP_vector_typeIfLj2EEfLi8ELi32ELi64ELi256ELi4ELi64ELi4ELi64ELi4ELc78ELc84ELb0ELb0ELb1EPKfS3_fEEviiiT16_PT17_ilS7_ilS5_S7_ilPT18_ili26rocblas_geam_ex_operation_,comdat
.Lfunc_end66:
	.size	_ZN12_GLOBAL__N_120geam_min_plus_kernelIf15HIP_vector_typeIfLj2EEfLi8ELi32ELi64ELi256ELi4ELi64ELi4ELi64ELi4ELc78ELc84ELb0ELb0ELb1EPKfS3_fEEviiiT16_PT17_ilS7_ilS5_S7_ilPT18_ili26rocblas_geam_ex_operation_, .Lfunc_end66-_ZN12_GLOBAL__N_120geam_min_plus_kernelIf15HIP_vector_typeIfLj2EEfLi8ELi32ELi64ELi256ELi4ELi64ELi4ELi64ELi4ELc78ELc84ELb0ELb0ELb1EPKfS3_fEEviiiT16_PT17_ilS7_ilS5_S7_ilPT18_ili26rocblas_geam_ex_operation_
                                        ; -- End function
	.section	.AMDGPU.csdata,"",@progbits
; Kernel info:
; codeLenInByte = 18160
; NumSgprs: 26
; NumVgprs: 256
; ScratchSize: 68
; MemoryBound: 0
; FloatMode: 240
; IeeeMode: 1
; LDSByteSize: 10240 bytes/workgroup (compile time only)
; SGPRBlocks: 3
; VGPRBlocks: 31
; NumSGPRsForWavesPerEU: 26
; NumVGPRsForWavesPerEU: 256
; Occupancy: 5
; WaveLimiterHint : 1
; COMPUTE_PGM_RSRC2:SCRATCH_EN: 1
; COMPUTE_PGM_RSRC2:USER_SGPR: 14
; COMPUTE_PGM_RSRC2:TRAP_HANDLER: 0
; COMPUTE_PGM_RSRC2:TGID_X_EN: 1
; COMPUTE_PGM_RSRC2:TGID_Y_EN: 0
; COMPUTE_PGM_RSRC2:TGID_Z_EN: 1
; COMPUTE_PGM_RSRC2:TIDIG_COMP_CNT: 1
	.section	.text._ZN12_GLOBAL__N_120geam_min_plus_kernelIf15HIP_vector_typeIfLj2EEfLi8ELi32ELi64ELi256ELi4ELi64ELi4ELi64ELi4ELc78ELc84ELb1ELb0ELb1EfKffEEviiiT16_PT17_ilS6_ilS4_S6_ilPT18_ili26rocblas_geam_ex_operation_,"axG",@progbits,_ZN12_GLOBAL__N_120geam_min_plus_kernelIf15HIP_vector_typeIfLj2EEfLi8ELi32ELi64ELi256ELi4ELi64ELi4ELi64ELi4ELc78ELc84ELb1ELb0ELb1EfKffEEviiiT16_PT17_ilS6_ilS4_S6_ilPT18_ili26rocblas_geam_ex_operation_,comdat
	.globl	_ZN12_GLOBAL__N_120geam_min_plus_kernelIf15HIP_vector_typeIfLj2EEfLi8ELi32ELi64ELi256ELi4ELi64ELi4ELi64ELi4ELc78ELc84ELb1ELb0ELb1EfKffEEviiiT16_PT17_ilS6_ilS4_S6_ilPT18_ili26rocblas_geam_ex_operation_ ; -- Begin function _ZN12_GLOBAL__N_120geam_min_plus_kernelIf15HIP_vector_typeIfLj2EEfLi8ELi32ELi64ELi256ELi4ELi64ELi4ELi64ELi4ELc78ELc84ELb1ELb0ELb1EfKffEEviiiT16_PT17_ilS6_ilS4_S6_ilPT18_ili26rocblas_geam_ex_operation_
	.p2align	8
	.type	_ZN12_GLOBAL__N_120geam_min_plus_kernelIf15HIP_vector_typeIfLj2EEfLi8ELi32ELi64ELi256ELi4ELi64ELi4ELi64ELi4ELc78ELc84ELb1ELb0ELb1EfKffEEviiiT16_PT17_ilS6_ilS4_S6_ilPT18_ili26rocblas_geam_ex_operation_,@function
_ZN12_GLOBAL__N_120geam_min_plus_kernelIf15HIP_vector_typeIfLj2EEfLi8ELi32ELi64ELi256ELi4ELi64ELi4ELi64ELi4ELc78ELc84ELb1ELb0ELb1EfKffEEviiiT16_PT17_ilS6_ilS4_S6_ilPT18_ili26rocblas_geam_ex_operation_: ; @_ZN12_GLOBAL__N_120geam_min_plus_kernelIf15HIP_vector_typeIfLj2EEfLi8ELi32ELi64ELi256ELi4ELi64ELi4ELi64ELi4ELc78ELc84ELb1ELb0ELb1EfKffEEviiiT16_PT17_ilS6_ilS4_S6_ilPT18_ili26rocblas_geam_ex_operation_
; %bb.0:
	s_clause 0x1
	s_load_b64 s[8:9], s[0:1], 0x8
	s_load_b128 s[4:7], s[0:1], 0x20
	s_waitcnt lgkmcnt(0)
	v_cmp_eq_f32_e64 s2, s9, 0
	s_delay_alu instid0(VALU_DEP_1)
	s_and_b32 vcc_lo, exec_lo, s2
	s_cbranch_vccnz .LBB67_3
; %bb.1:
	s_load_b64 s[10:11], s[0:1], 0x10
	s_mul_i32 s3, s15, s5
	s_mul_hi_u32 s5, s15, s4
	s_mul_i32 s4, s15, s4
	s_add_i32 s5, s5, s3
	s_delay_alu instid0(SALU_CYCLE_1)
	s_lshl_b64 s[4:5], s[4:5], 2
	s_waitcnt lgkmcnt(0)
	s_add_u32 s10, s10, s4
	s_addc_u32 s11, s11, s5
	s_and_not1_b32 vcc_lo, exec_lo, s2
	s_cbranch_vccnz .LBB67_4
.LBB67_2:
	s_mov_b32 s20, 0
	s_mov_b64 s[12:13], 0
	s_cbranch_execz .LBB67_5
	s_branch .LBB67_6
.LBB67_3:
	s_mov_b64 s[10:11], 0
	s_and_not1_b32 vcc_lo, exec_lo, s2
	s_cbranch_vccz .LBB67_2
.LBB67_4:
	s_mov_b32 s20, -1
                                        ; implicit-def: $sgpr12_sgpr13
.LBB67_5:
	s_load_b64 s[2:3], s[0:1], 0x38
	s_mov_b32 s20, 0
	s_waitcnt lgkmcnt(0)
	s_mul_i32 s3, s15, s3
	s_mul_hi_u32 s4, s15, s2
	s_mul_i32 s2, s15, s2
	s_add_i32 s3, s4, s3
	s_delay_alu instid0(SALU_CYCLE_1) | instskip(NEXT) | instid1(SALU_CYCLE_1)
	s_lshl_b64 s[2:3], s[2:3], 2
	s_add_u32 s12, s6, s2
	s_addc_u32 s13, s7, s3
.LBB67_6:
	s_clause 0x1
	s_load_b32 s3, s[0:1], 0x40
	s_load_b128 s[4:7], s[0:1], 0x58
	s_waitcnt lgkmcnt(0)
	v_cmp_eq_f32_e64 s2, s3, 0
	s_delay_alu instid0(VALU_DEP_1) | instskip(NEXT) | instid1(SALU_CYCLE_1)
	s_and_b32 s2, exec_lo, s2
	s_mov_b32 vcc_lo, s2
	s_cbranch_vccnz .LBB67_8
; %bb.7:
	s_load_b64 s[16:17], s[0:1], 0x48
	s_mul_i32 s5, s15, s5
	s_mul_hi_u32 s9, s15, s4
	s_delay_alu instid0(SALU_CYCLE_1) | instskip(SKIP_3) | instid1(SALU_CYCLE_1)
	s_add_i32 s5, s9, s5
	s_mul_i32 s9, s20, s4
	s_mul_i32 s4, s15, s4
	s_add_i32 s5, s5, s9
	s_lshl_b64 s[4:5], s[4:5], 2
	s_waitcnt lgkmcnt(0)
	s_add_u32 s4, s16, s4
	s_addc_u32 s5, s17, s5
	s_branch .LBB67_9
.LBB67_8:
	s_mov_b64 s[4:5], 0
.LBB67_9:
	s_clause 0x1
	s_load_b32 s9, s[0:1], 0x0
	s_load_b32 s16, s[0:1], 0x18
	v_and_b32_e32 v11, 0x3ff, v0
	v_bfe_u32 v12, v0, 10, 10
	s_load_b32 s18, s[0:1], 0x30
	s_delay_alu instid0(VALU_DEP_2) | instskip(NEXT) | instid1(VALU_DEP_2)
	v_lshlrev_b32_e32 v175, 4, v11
	v_lshl_add_u32 v0, v12, 3, v11
	v_lshlrev_b32_e32 v72, 4, v12
	s_delay_alu instid0(VALU_DEP_2) | instskip(SKIP_1) | instid1(VALU_DEP_2)
	v_lshrrev_b32_e32 v23, 6, v0
	v_and_b32_e32 v8, 63, v0
	v_add_nc_u32_e32 v10, 4, v23
	s_waitcnt lgkmcnt(0)
	s_add_i32 s9, s9, -1
	v_mad_i64_i32 v[2:3], null, s16, v23, 0
	s_ashr_i32 s17, s9, 31
	s_delay_alu instid0(SALU_CYCLE_1) | instskip(NEXT) | instid1(SALU_CYCLE_1)
	s_lshr_b32 s17, s17, 26
	s_add_i32 s9, s9, s17
	s_delay_alu instid0(SALU_CYCLE_1) | instskip(NEXT) | instid1(VALU_DEP_1)
	s_ashr_i32 s9, s9, 6
	v_lshlrev_b64 v[2:3], 2, v[2:3]
	s_add_i32 s17, s9, 1
	s_not_b32 s9, s9
	v_cvt_f32_u32_e32 v1, s17
	s_delay_alu instid0(VALU_DEP_1) | instskip(SKIP_2) | instid1(VALU_DEP_1)
	v_rcp_iflag_f32_e32 v1, v1
	s_waitcnt_depctr 0xfff
	v_mul_f32_e32 v1, 0x4f7ffffe, v1
	v_cvt_u32_f32_e32 v1, v1
	s_delay_alu instid0(VALU_DEP_1) | instskip(SKIP_1) | instid1(VALU_DEP_2)
	v_readfirstlane_b32 s19, v1
	v_mad_i64_i32 v[0:1], null, s18, v23, 0
	s_mul_i32 s9, s9, s19
	s_delay_alu instid0(SALU_CYCLE_1) | instskip(NEXT) | instid1(SALU_CYCLE_1)
	s_mul_hi_u32 s9, s19, s9
	s_add_i32 s19, s19, s9
	s_delay_alu instid0(VALU_DEP_1) | instskip(SKIP_1) | instid1(SALU_CYCLE_1)
	v_lshlrev_b64 v[0:1], 2, v[0:1]
	s_mul_hi_u32 s9, s14, s19
	s_mul_i32 s19, s9, s17
	s_add_i32 s21, s9, 1
	s_sub_i32 s19, s14, s19
	s_delay_alu instid0(VALU_DEP_1)
	v_add_co_u32 v0, vcc_lo, s12, v0
	s_sub_i32 s22, s19, s17
	s_cmp_ge_u32 s19, s17
	v_add_co_ci_u32_e32 v1, vcc_lo, s13, v1, vcc_lo
	s_cselect_b32 s9, s21, s9
	s_cselect_b32 s19, s22, s19
	s_add_i32 s21, s9, 1
	s_cmp_ge_u32 s19, s17
	v_add_co_u32 v2, vcc_lo, s10, v2
	s_cselect_b32 s9, s21, s9
	v_add_co_ci_u32_e32 v3, vcc_lo, s11, v3, vcc_lo
	s_lshl_b32 s21, s9, 8
	s_mul_i32 s9, s9, s17
	v_or_b32_e32 v4, s21, v8
	s_sub_i32 s9, s14, s9
	s_delay_alu instid0(SALU_CYCLE_1) | instskip(SKIP_3) | instid1(VALU_DEP_2)
	s_lshl_b32 s14, s9, 6
	s_cmp_lt_i32 s8, 9
	v_or_b32_e32 v6, s14, v8
	v_ashrrev_i32_e32 v5, 31, v4
	v_ashrrev_i32_e32 v7, 31, v6
	s_delay_alu instid0(VALU_DEP_2) | instskip(NEXT) | instid1(VALU_DEP_2)
	v_lshlrev_b64 v[16:17], 2, v[4:5]
	v_lshlrev_b64 v[18:19], 2, v[6:7]
	s_delay_alu instid0(VALU_DEP_2) | instskip(NEXT) | instid1(VALU_DEP_3)
	v_add_co_u32 v0, vcc_lo, v0, v16
	v_add_co_ci_u32_e32 v1, vcc_lo, v1, v17, vcc_lo
	s_delay_alu instid0(VALU_DEP_3) | instskip(NEXT) | instid1(VALU_DEP_4)
	v_add_co_u32 v2, vcc_lo, v2, v18
	v_add_co_ci_u32_e32 v3, vcc_lo, v3, v19, vcc_lo
	s_clause 0x3
	flat_load_b32 v4, v[0:1]
	flat_load_b32 v5, v[0:1] offset:256
	flat_load_b32 v6, v[0:1] offset:512
	;; [unrolled: 1-line block ×3, first 2 shown]
	flat_load_b32 v9, v[2:3]
	v_mad_i64_i32 v[0:1], null, s18, v10, 0
	v_mad_i64_i32 v[2:3], null, s16, v10, 0
	v_lshlrev_b32_e32 v10, 2, v23
	scratch_store_b32 off, v11, off         ; 4-byte Folded Spill
	v_lshlrev_b64 v[0:1], 2, v[0:1]
	v_lshl_add_u32 v76, v8, 4, v10
	v_lshlrev_b64 v[2:3], 2, v[2:3]
	s_delay_alu instid0(VALU_DEP_3) | instskip(NEXT) | instid1(VALU_DEP_4)
	v_add_co_u32 v0, vcc_lo, s12, v0
	v_add_co_ci_u32_e32 v1, vcc_lo, s13, v1, vcc_lo
	s_delay_alu instid0(VALU_DEP_3) | instskip(NEXT) | instid1(VALU_DEP_4)
	v_add_co_u32 v2, vcc_lo, s10, v2
	v_add_co_ci_u32_e32 v3, vcc_lo, s11, v3, vcc_lo
	s_delay_alu instid0(VALU_DEP_4) | instskip(NEXT) | instid1(VALU_DEP_4)
	v_add_co_u32 v0, vcc_lo, v0, v16
	v_add_co_ci_u32_e32 v1, vcc_lo, v1, v17, vcc_lo
	s_delay_alu instid0(VALU_DEP_4) | instskip(NEXT) | instid1(VALU_DEP_4)
	v_add_co_u32 v2, vcc_lo, v2, v18
	v_add_co_ci_u32_e32 v3, vcc_lo, v3, v19, vcc_lo
	flat_load_b32 v8, v[0:1]
	scratch_store_b32 off, v12, off offset:4 ; 4-byte Folded Spill
	s_waitcnt vmcnt(0) lgkmcnt(0)
	scratch_store_b32 off, v8, off offset:8 ; 4-byte Folded Spill
	flat_load_b32 v8, v[0:1] offset:256
	s_waitcnt vmcnt(0) lgkmcnt(0)
	scratch_store_b32 off, v8, off offset:12 ; 4-byte Folded Spill
	s_clause 0x1
	flat_load_b32 v80, v[0:1] offset:512
	flat_load_b32 v25, v[0:1] offset:768
	flat_load_b32 v78, v[2:3]
	ds_store_2addr_stride64_b32 v76, v4, v5 offset1:4
	ds_store_2addr_stride64_b32 v76, v6, v7 offset0:8 offset1:12
	ds_store_b32 v76, v9 offset:8192
	s_waitcnt vmcnt(0) lgkmcnt(0)
	s_waitcnt_vscnt null, 0x0
	s_barrier
	buffer_gl0_inv
	ds_load_b128 v[26:29], v72
	ds_load_b128 v[0:3], v175 offset:8192
	ds_load_b128 v[12:15], v175 offset:8320
	;; [unrolled: 1-line block ×5, first 2 shown]
	s_waitcnt lgkmcnt(4)
	v_add_f32_e32 v20, v1, v27
	v_dual_add_f32 v150, v0, v26 :: v_dual_add_f32 v145, v3, v29
	s_waitcnt lgkmcnt(3)
	v_add_f32_e32 v146, v15, v29
	s_waitcnt lgkmcnt(2)
	v_add_f32_e32 v149, v11, v29
	scratch_store_b32 off, v20, off offset:16 ; 4-byte Folded Spill
	v_add_f32_e32 v20, v13, v27
	s_waitcnt lgkmcnt(0)
	v_dual_add_f32 v144, v7, v29 :: v_dual_add_f32 v81, v0, v30
	v_dual_add_f32 v138, v6, v28 :: v_dual_add_f32 v103, v3, v33
	scratch_store_b32 off, v20, off offset:20 ; 4-byte Folded Spill
	v_dual_add_f32 v20, v12, v26 :: v_dual_add_f32 v137, v1, v31
	v_dual_add_f32 v90, v12, v30 :: v_dual_add_f32 v109, v7, v33
	v_add_f32_e32 v92, v8, v30
	scratch_store_b32 off, v20, off offset:32 ; 4-byte Folded Spill
	v_add_f32_e32 v20, v9, v27
	v_add_f32_e32 v94, v4, v30
	;; [unrolled: 1-line block ×5, first 2 shown]
	scratch_store_b32 off, v20, off offset:24 ; 4-byte Folded Spill
	v_add_f32_e32 v20, v8, v26
	v_dual_add_f32 v110, v6, v32 :: v_dual_add_f32 v105, v15, v33
	v_add_f32_e32 v89, v13, v31
	v_add_f32_e32 v91, v9, v31
	scratch_store_b32 off, v20, off offset:36 ; 4-byte Folded Spill
	v_dual_add_f32 v20, v5, v27 :: v_dual_add_f32 v107, v11, v33
	v_add_f32_e32 v93, v5, v31
	scratch_store_b32 off, v20, off offset:28 ; 4-byte Folded Spill
	v_add_f32_e32 v20, v4, v26
	scratch_store_b32 off, v20, off offset:40 ; 4-byte Folded Spill
	ds_load_b128 v[34:37], v175 offset:8704
	ds_load_b128 v[38:41], v175 offset:8832
	v_add_f32_e32 v148, v2, v28
	s_waitcnt lgkmcnt(1)
	v_dual_add_f32 v20, v35, v27 :: v_dual_add_f32 v111, v37, v33
	s_waitcnt lgkmcnt(0)
	v_add_f32_e32 v113, v41, v33
	v_add_f32_e32 v147, v37, v29
	;; [unrolled: 1-line block ×3, first 2 shown]
	scratch_store_b32 off, v20, off offset:44 ; 4-byte Folded Spill
	v_dual_add_f32 v20, v34, v26 :: v_dual_add_f32 v141, v41, v29
	v_add_f32_e32 v82, v40, v28
	v_dual_add_f32 v96, v34, v30 :: v_dual_add_f32 v97, v39, v31
	scratch_store_b32 off, v20, off offset:52 ; 4-byte Folded Spill
	v_add_f32_e32 v20, v39, v27
	v_add_f32_e32 v98, v38, v30
	v_dual_add_f32 v112, v36, v32 :: v_dual_add_f32 v95, v35, v31
	scratch_store_b32 off, v20, off offset:48 ; 4-byte Folded Spill
	v_add_f32_e32 v20, v38, v26
	scratch_store_b32 off, v20, off offset:56 ; 4-byte Folded Spill
	ds_load_b128 v[42:45], v175 offset:8960
	ds_load_b128 v[46:49], v175 offset:9088
	v_add_f32_e32 v140, v14, v28
	v_add_f32_e32 v134, v10, v28
	;; [unrolled: 1-line block ×3, first 2 shown]
	s_waitcnt lgkmcnt(1)
	v_dual_add_f32 v20, v43, v27 :: v_dual_add_f32 v115, v45, v33
	s_waitcnt lgkmcnt(0)
	v_add_f32_e32 v117, v49, v33
	v_dual_add_f32 v142, v45, v29 :: v_dual_add_f32 v135, v44, v28
	scratch_store_b32 off, v20, off offset:60 ; 4-byte Folded Spill
	v_dual_add_f32 v20, v42, v26 :: v_dual_add_f32 v143, v49, v29
	v_dual_add_f32 v136, v48, v28 :: v_dual_add_f32 v99, v43, v31
	v_add_f32_e32 v100, v42, v30
	scratch_store_b32 off, v20, off offset:68 ; 4-byte Folded Spill
	v_add_f32_e32 v20, v47, v27
	v_dual_add_f32 v101, v47, v31 :: v_dual_add_f32 v102, v46, v30
	v_add_f32_e32 v116, v44, v32
	v_add_f32_e32 v118, v48, v32
	scratch_store_b32 off, v20, off offset:64 ; 4-byte Folded Spill
	v_add_f32_e32 v20, v46, v26
	scratch_store_b32 off, v20, off offset:72 ; 4-byte Folded Spill
	ds_load_b128 v[26:29], v72 offset:1024
	ds_load_b128 v[30:33], v72 offset:1536
	s_waitcnt lgkmcnt(1)
	v_dual_add_f32 v119, v1, v27 :: v_dual_add_f32 v120, v0, v26
	v_add_f32_e32 v131, v2, v28
	v_dual_add_f32 v121, v13, v27 :: v_dual_add_f32 v122, v12, v26
	v_add_f32_e32 v133, v14, v28
	;; [unrolled: 2-line block ×5, first 2 shown]
	v_add_f32_e32 v129, v39, v27
	v_dual_add_f32 v151, v38, v26 :: v_dual_add_f32 v152, v43, v27
	s_waitcnt lgkmcnt(0)
	v_add_f32_e32 v179, v38, v30
	v_dual_add_f32 v153, v42, v26 :: v_dual_add_f32 v154, v47, v27
	v_add_f32_e32 v181, v42, v30
	v_dual_add_f32 v155, v46, v26 :: v_dual_add_f32 v130, v3, v29
	v_dual_add_f32 v183, v46, v30 :: v_dual_add_f32 v132, v15, v29
	;; [unrolled: 1-line block ×5, first 2 shown]
	v_add_f32_e32 v191, v6, v32
	v_dual_add_f32 v161, v36, v28 :: v_dual_add_f32 v162, v41, v29
	v_add_f32_e32 v193, v36, v32
	v_dual_add_f32 v163, v40, v28 :: v_dual_add_f32 v164, v45, v29
	;; [unrolled: 2-line block ×3, first 2 shown]
	v_dual_add_f32 v197, v44, v32 :: v_dual_add_f32 v168, v1, v31
	v_add_f32_e32 v199, v48, v32
	v_dual_add_f32 v169, v0, v30 :: v_dual_add_f32 v170, v13, v31
	v_dual_add_f32 v171, v12, v30 :: v_dual_add_f32 v172, v9, v31
	v_dual_add_f32 v173, v8, v30 :: v_dual_add_f32 v174, v5, v31
	v_add_f32_e32 v24, v4, v30
	v_dual_add_f32 v176, v35, v31 :: v_dual_add_f32 v177, v34, v30
	v_add_f32_e32 v178, v39, v31
	v_add_f32_e32 v180, v43, v31
	;; [unrolled: 1-line block ×11, first 2 shown]
	ds_load_b128 v[26:29], v72 offset:2048
	ds_load_b128 v[30:33], v72 offset:2560
	s_waitcnt lgkmcnt(0)
	v_dual_add_f32 v200, v1, v27 :: v_dual_add_f32 v235, v12, v30
	v_dual_add_f32 v201, v0, v26 :: v_dual_add_f32 v202, v13, v27
	v_add_f32_e32 v237, v8, v30
	v_dual_add_f32 v203, v12, v26 :: v_dual_add_f32 v204, v9, v27
	v_add_f32_e32 v239, v4, v30
	v_dual_add_f32 v205, v8, v26 :: v_dual_add_f32 v206, v5, v27
	v_add_f32_e32 v241, v34, v30
	v_dual_add_f32 v207, v4, v26 :: v_dual_add_f32 v208, v35, v27
	v_add_f32_e32 v243, v38, v30
	v_dual_add_f32 v209, v34, v26 :: v_dual_add_f32 v210, v39, v27
	v_add_f32_e32 v245, v42, v30
	v_dual_add_f32 v211, v38, v26 :: v_dual_add_f32 v212, v43, v27
	v_add_f32_e32 v247, v46, v30
	v_dual_add_f32 v213, v42, v26 :: v_dual_add_f32 v214, v47, v27
	v_add_f32_e32 v249, v2, v32
	v_dual_add_f32 v215, v46, v26 :: v_dual_add_f32 v216, v3, v29
	v_add_f32_e32 v251, v14, v32
	v_dual_add_f32 v217, v2, v28 :: v_dual_add_f32 v218, v15, v29
	v_add_f32_e32 v253, v10, v32
	v_dual_add_f32 v219, v14, v28 :: v_dual_add_f32 v220, v11, v29
	v_add_f32_e32 v255, v6, v32
	v_dual_add_f32 v221, v10, v28 :: v_dual_add_f32 v222, v7, v29
	v_add_f32_e32 v75, v36, v32
	v_dual_add_f32 v223, v6, v28 :: v_dual_add_f32 v224, v37, v29
	v_add_f32_e32 v51, v48, v32
	v_dual_add_f32 v225, v36, v28 :: v_dual_add_f32 v226, v41, v29
	v_dual_add_f32 v227, v40, v28 :: v_dual_add_f32 v228, v45, v29
	;; [unrolled: 1-line block ×5, first 2 shown]
	v_add_f32_e32 v236, v9, v31
	v_add_f32_e32 v238, v5, v31
	v_dual_add_f32 v240, v35, v31 :: v_dual_add_f32 v73, v41, v33
	v_add_f32_e32 v242, v39, v31
	v_add_f32_e32 v244, v43, v31
	;; [unrolled: 1-line block ×12, first 2 shown]
	ds_load_b128 v[26:29], v72 offset:3072
	ds_load_b128 v[30:33], v72 offset:3584
	s_waitcnt lgkmcnt(1)
	v_add_f32_e32 v55, v0, v26
	v_dual_add_f32 v58, v12, v26 :: v_dual_add_f32 v21, v45, v29
	v_add_f32_e32 v59, v8, v26
	v_add_f32_e32 v66, v4, v26
	;; [unrolled: 1-line block ×6, first 2 shown]
	s_waitcnt lgkmcnt(0)
	v_add_f32_e32 v0, v0, v30
	v_add_f32_e32 v12, v12, v30
	;; [unrolled: 1-line block ×8, first 2 shown]
	scratch_load_b32 v46, off, off offset:16 ; 4-byte Folded Reload
	v_add_f32_e32 v53, v1, v27
	v_add_f32_e32 v57, v13, v27
	;; [unrolled: 1-line block ×11, first 2 shown]
	v_dual_add_f32 v71, v6, v28 :: v_dual_add_f32 v84, v37, v29
	v_dual_add_f32 v43, v43, v31 :: v_dual_add_f32 v86, v36, v28
	;; [unrolled: 1-line block ×5, first 2 shown]
	v_add_f32_e32 v13, v13, v31
	v_add_f32_e32 v9, v9, v31
	;; [unrolled: 1-line block ×10, first 2 shown]
	v_dual_add_f32 v3, v3, v33 :: v_dual_add_f32 v2, v2, v32
	v_add_f32_e32 v15, v15, v33
	v_add_f32_e32 v11, v11, v33
	v_add_f32_e32 v7, v7, v33
	v_add_f32_e32 v37, v37, v33
	v_add_f32_e32 v41, v41, v33
	v_add_f32_e32 v33, v49, v33
	v_min3_f32 v0, v0, v1, 0x7f7fffff
	v_add_f32_e32 v14, v14, v32
	v_add_f32_e32 v10, v10, v32
	;; [unrolled: 1-line block ×7, first 2 shown]
	v_min3_f32 v20, v20, v67, 0x7f7fffff
	v_add_f32_e32 v29, v49, v29
	s_waitcnt vmcnt(0)
	v_min3_f32 v46, v150, v46, 0x7f7fffff
	s_delay_alu instid0(VALU_DEP_1)
	v_min3_f32 v150, v148, v145, v46
	s_clause 0x1
	scratch_load_b32 v46, off, off offset:20
	scratch_load_b32 v47, off, off offset:32
	s_waitcnt vmcnt(0)
	v_min3_f32 v46, v47, v46, 0x7f7fffff
	s_delay_alu instid0(VALU_DEP_1)
	v_min3_f32 v148, v140, v146, v46
	s_clause 0x1
	scratch_load_b32 v46, off, off offset:24
	scratch_load_b32 v47, off, off offset:36
	s_waitcnt vmcnt(0)
	v_min3_f32 v46, v47, v46, 0x7f7fffff
	s_delay_alu instid0(VALU_DEP_1)
	v_min3_f32 v149, v134, v149, v46
	s_clause 0x1
	scratch_load_b32 v46, off, off offset:28
	scratch_load_b32 v47, off, off offset:40
	s_waitcnt vmcnt(0)
	v_min3_f32 v46, v47, v46, 0x7f7fffff
	s_delay_alu instid0(VALU_DEP_1)
	v_min3_f32 v145, v138, v144, v46
	s_clause 0x1
	scratch_load_b32 v46, off, off offset:44
	scratch_load_b32 v47, off, off offset:52
	s_waitcnt vmcnt(0)
	v_min3_f32 v46, v47, v46, 0x7f7fffff
	s_delay_alu instid0(VALU_DEP_1)
	v_min3_f32 v146, v139, v147, v46
	s_clause 0x1
	scratch_load_b32 v46, off, off offset:48
	scratch_load_b32 v47, off, off offset:56
	s_waitcnt vmcnt(0)
	v_min3_f32 v46, v47, v46, 0x7f7fffff
	s_delay_alu instid0(VALU_DEP_1)
	v_min3_f32 v141, v82, v141, v46
	s_clause 0x1
	scratch_load_b32 v46, off, off offset:60
	scratch_load_b32 v47, off, off offset:68
	s_waitcnt vmcnt(0)
	v_min3_f32 v46, v47, v46, 0x7f7fffff
	s_delay_alu instid0(VALU_DEP_1)
	v_min3_f32 v142, v135, v142, v46
	s_clause 0x1
	scratch_load_b32 v46, off, off offset:64
	scratch_load_b32 v47, off, off offset:72
	s_waitcnt vmcnt(0)
	v_min3_f32 v46, v47, v46, 0x7f7fffff
	s_delay_alu instid0(VALU_DEP_1) | instskip(SKIP_1) | instid1(VALU_DEP_1)
	v_min3_f32 v138, v136, v143, v46
	v_min3_f32 v46, v81, v137, 0x7f7fffff
	;; [unrolled: 1-line block ×4, first 2 shown]
	s_delay_alu instid0(VALU_DEP_1) | instskip(SKIP_1) | instid1(VALU_DEP_1)
	v_min3_f32 v143, v106, v105, v46
	v_min3_f32 v46, v92, v91, 0x7f7fffff
	v_min3_f32 v144, v108, v107, v46
	v_min3_f32 v46, v94, v93, 0x7f7fffff
	v_min3_f32 v94, v2, v3, v0
	v_min3_f32 v0, v12, v13, 0x7f7fffff
	s_delay_alu instid0(VALU_DEP_3) | instskip(SKIP_1) | instid1(VALU_DEP_3)
	v_min3_f32 v139, v110, v109, v46
	v_min3_f32 v46, v96, v95, 0x7f7fffff
	v_min3_f32 v91, v14, v15, v0
	v_min3_f32 v0, v8, v9, 0x7f7fffff
	v_min3_f32 v95, v88, v87, v20
	v_min3_f32 v20, v64, v62, 0x7f7fffff
	v_min3_f32 v140, v112, v111, v46
	v_min3_f32 v46, v98, v97, 0x7f7fffff
	v_min3_f32 v92, v10, v11, v0
	v_min3_f32 v0, v4, v5, 0x7f7fffff
	v_min3_f32 v96, v22, v21, v20
	v_min3_f32 v20, v26, v27, 0x7f7fffff
	v_min3_f32 v136, v114, v113, v46
	v_min3_f32 v46, v100, v99, 0x7f7fffff
	v_min3_f32 v89, v6, v7, v0
	v_min3_f32 v0, v34, v35, 0x7f7fffff
	v_min3_f32 v93, v28, v29, v20
	s_delay_alu instid0(VALU_DEP_4) | instskip(SKIP_1) | instid1(VALU_DEP_4)
	v_min3_f32 v137, v116, v115, v46
	v_min3_f32 v46, v102, v101, 0x7f7fffff
	v_min3_f32 v90, v36, v37, v0
	v_min3_f32 v0, v38, v39, 0x7f7fffff
	s_delay_alu instid0(VALU_DEP_3) | instskip(SKIP_1) | instid1(VALU_DEP_3)
	v_min3_f32 v134, v118, v117, v46
	v_min3_f32 v46, v120, v119, 0x7f7fffff
	v_min3_f32 v81, v40, v41, v0
	v_min3_f32 v0, v42, v43, 0x7f7fffff
	s_delay_alu instid0(VALU_DEP_3) | instskip(SKIP_1) | instid1(VALU_DEP_3)
	;; [unrolled: 5-line block ×3, first 2 shown]
	v_min3_f32 v132, v133, v132, v46
	v_min3_f32 v46, v124, v123, 0x7f7fffff
	;; [unrolled: 1-line block ×3, first 2 shown]
	s_clause 0x1
	scratch_load_b32 v0, off, off offset:8
	scratch_load_b32 v1, off, off offset:12
	s_waitcnt vmcnt(0)
	ds_store_2addr_stride64_b32 v76, v0, v1 offset0:16 offset1:20
	ds_store_2addr_stride64_b32 v76, v80, v25 offset0:24 offset1:28
	ds_store_b32 v76, v78 offset:9216
	v_min3_f32 v133, v157, v156, v46
	v_min3_f32 v46, v126, v125, 0x7f7fffff
	s_waitcnt lgkmcnt(0)
	s_waitcnt_vscnt null, 0x0
	s_barrier
	buffer_gl0_inv
	v_min3_f32 v130, v159, v158, v46
	v_min3_f32 v46, v128, v127, 0x7f7fffff
	s_delay_alu instid0(VALU_DEP_1) | instskip(SKIP_1) | instid1(VALU_DEP_1)
	v_min3_f32 v131, v161, v160, v46
	v_min3_f32 v46, v151, v129, 0x7f7fffff
	v_min3_f32 v128, v163, v162, v46
	v_min3_f32 v46, v153, v152, 0x7f7fffff
	s_delay_alu instid0(VALU_DEP_1) | instskip(SKIP_1) | instid1(VALU_DEP_1)
	v_min3_f32 v129, v165, v164, v46
	v_min3_f32 v46, v155, v154, 0x7f7fffff
	;; [unrolled: 5-line block ×16, first 2 shown]
	v_min3_f32 v97, v71, v69, v46
	v_min3_f32 v46, v70, v68, 0x7f7fffff
	s_delay_alu instid0(VALU_DEP_1)
	v_min3_f32 v98, v86, v84, v46
	s_cbranch_scc1 .LBB67_12
; %bb.10:
	s_clause 0x1
	scratch_load_b32 v177, off, off
	scratch_load_b32 v176, off, off offset:4
	v_add_nc_u32_e32 v8, 8, v23
	v_add_nc_u32_e32 v6, 12, v23
	v_add_co_u32 v83, vcc_lo, s10, v18
	v_add_co_ci_u32_e32 v84, vcc_lo, s11, v19, vcc_lo
	s_delay_alu instid0(VALU_DEP_4) | instskip(NEXT) | instid1(VALU_DEP_4)
	v_mad_i64_i32 v[0:1], null, v8, s18, 0
	v_mad_i64_i32 v[2:3], null, v6, s16, 0
	;; [unrolled: 1-line block ×4, first 2 shown]
	v_add_co_u32 v87, vcc_lo, s12, v16
	v_lshlrev_b64 v[64:65], 2, v[0:1]
	v_lshlrev_b64 v[66:67], 2, v[2:3]
	;; [unrolled: 1-line block ×3, first 2 shown]
	v_or_b32_e32 v73, 0x2000, v76
	v_lshlrev_b64 v[70:71], 2, v[6:7]
	v_add_nc_u32_e32 v78, 0x2000, v175
	v_add_nc_u32_e32 v74, 0x2400, v76
	v_or_b32_e32 v80, 0x1000, v76
	v_add_co_ci_u32_e32 v88, vcc_lo, s13, v17, vcc_lo
	s_ashr_i32 s17, s16, 31
	s_ashr_i32 s19, s18, 31
	s_add_i32 s22, s8, -8
	s_lshl_b64 s[8:9], s[18:19], 5
	s_lshl_b64 s[10:11], s[16:17], 5
	s_mov_b32 s12, 0
	s_waitcnt vmcnt(1)
	v_lshl_add_u32 v85, v177, 4, 0x2400
	s_waitcnt vmcnt(0)
	v_lshl_add_u32 v86, v176, 4, 0x1000
.LBB67_11:                              ; =>This Inner Loop Header: Depth=1
	v_add_co_u32 v0, vcc_lo, v83, v70
	v_add_co_ci_u32_e32 v1, vcc_lo, v84, v71, vcc_lo
	s_add_i32 s12, s12, 8
	s_delay_alu instid0(SALU_CYCLE_1)
	s_cmp_ge_i32 s12, s22
	flat_load_b32 v155, v[0:1]
	v_add_co_u32 v0, vcc_lo, v87, v64
	v_add_co_ci_u32_e32 v1, vcc_lo, v88, v65, vcc_lo
	s_clause 0x3
	flat_load_b32 v151, v[0:1]
	flat_load_b32 v152, v[0:1] offset:256
	flat_load_b32 v153, v[0:1] offset:512
	;; [unrolled: 1-line block ×3, first 2 shown]
	ds_load_b128 v[28:31], v85
	ds_load_b128 v[24:27], v85 offset:128
	ds_load_b128 v[20:23], v85 offset:256
	;; [unrolled: 1-line block ×7, first 2 shown]
	ds_load_b128 v[60:63], v86
	ds_load_b128 v[56:59], v86 offset:512
	ds_load_b128 v[52:55], v86 offset:1024
	;; [unrolled: 1-line block ×7, first 2 shown]
	s_waitcnt vmcnt(4) lgkmcnt(20)
	ds_store_b32 v73, v155
	s_waitcnt vmcnt(2) lgkmcnt(19)
	ds_store_2addr_stride64_b32 v76, v151, v152 offset1:4
	s_waitcnt vmcnt(0) lgkmcnt(18)
	ds_store_2addr_stride64_b32 v76, v153, v154 offset0:8 offset1:12
	s_waitcnt lgkmcnt(10)
	v_add_f32_e32 v75, v29, v61
	v_add_f32_e32 v77, v28, v60
	s_waitcnt lgkmcnt(0)
	s_barrier
	buffer_gl0_inv
	v_min3_f32 v150, v77, v75, v150
	v_add_f32_e32 v75, v25, v61
	v_add_f32_e32 v77, v24, v60
	s_delay_alu instid0(VALU_DEP_1) | instskip(SKIP_2) | instid1(VALU_DEP_1)
	v_min3_f32 v148, v77, v75, v148
	v_add_f32_e32 v75, v21, v61
	v_add_f32_e32 v77, v20, v60
	v_min3_f32 v149, v77, v75, v149
	v_add_f32_e32 v75, v17, v61
	v_add_f32_e32 v77, v16, v60
	s_delay_alu instid0(VALU_DEP_1) | instskip(SKIP_2) | instid1(VALU_DEP_1)
	v_min3_f32 v156, v77, v75, v145
	v_add_f32_e32 v75, v13, v61
	v_add_f32_e32 v77, v12, v60
	v_min3_f32 v157, v77, v75, v146
	v_add_f32_e32 v75, v9, v61
	v_add_f32_e32 v77, v8, v60
	s_delay_alu instid0(VALU_DEP_1) | instskip(SKIP_3) | instid1(VALU_DEP_2)
	v_min3_f32 v158, v77, v75, v141
	v_add_f32_e32 v75, v5, v61
	v_add_f32_e32 v77, v4, v60
	v_dual_add_f32 v61, v1, v61 :: v_dual_add_f32 v60, v0, v60
	v_min3_f32 v159, v77, v75, v142
	v_add_f32_e32 v75, v4, v36
	s_delay_alu instid0(VALU_DEP_3) | instskip(SKIP_1) | instid1(VALU_DEP_1)
	v_min3_f32 v160, v60, v61, v138
	v_dual_add_f32 v60, v29, v57 :: v_dual_add_f32 v61, v28, v56
	v_min3_f32 v146, v61, v60, v147
	v_dual_add_f32 v60, v25, v57 :: v_dual_add_f32 v61, v24, v56
	s_delay_alu instid0(VALU_DEP_1) | instskip(SKIP_1) | instid1(VALU_DEP_1)
	v_min3_f32 v145, v61, v60, v143
	v_dual_add_f32 v60, v21, v57 :: v_dual_add_f32 v61, v20, v56
	v_min3_f32 v143, v61, v60, v144
	v_dual_add_f32 v60, v17, v57 :: v_dual_add_f32 v61, v16, v56
	s_delay_alu instid0(VALU_DEP_1) | instskip(SKIP_1) | instid1(VALU_DEP_1)
	v_min3_f32 v142, v61, v60, v139
	v_dual_add_f32 v60, v13, v57 :: v_dual_add_f32 v61, v12, v56
	v_min3_f32 v141, v61, v60, v140
	v_dual_add_f32 v60, v9, v57 :: v_dual_add_f32 v61, v8, v56
	s_delay_alu instid0(VALU_DEP_1) | instskip(SKIP_2) | instid1(VALU_DEP_2)
	v_min3_f32 v140, v61, v60, v136
	v_dual_add_f32 v60, v5, v57 :: v_dual_add_f32 v61, v4, v56
	v_dual_add_f32 v57, v1, v57 :: v_dual_add_f32 v56, v0, v56
	v_min3_f32 v139, v61, v60, v137
	s_delay_alu instid0(VALU_DEP_2) | instskip(SKIP_1) | instid1(VALU_DEP_1)
	v_min3_f32 v138, v56, v57, v134
	v_dual_add_f32 v56, v29, v53 :: v_dual_add_f32 v57, v28, v52
	v_min3_f32 v137, v57, v56, v135
	v_dual_add_f32 v56, v25, v53 :: v_dual_add_f32 v57, v24, v52
	s_delay_alu instid0(VALU_DEP_1) | instskip(SKIP_1) | instid1(VALU_DEP_1)
	v_min3_f32 v136, v57, v56, v132
	v_dual_add_f32 v56, v21, v53 :: v_dual_add_f32 v57, v20, v52
	v_min3_f32 v135, v57, v56, v133
	v_dual_add_f32 v56, v17, v53 :: v_dual_add_f32 v57, v16, v52
	s_delay_alu instid0(VALU_DEP_1) | instskip(SKIP_1) | instid1(VALU_DEP_1)
	v_min3_f32 v134, v57, v56, v130
	v_dual_add_f32 v56, v13, v53 :: v_dual_add_f32 v57, v12, v52
	v_min3_f32 v133, v57, v56, v131
	v_dual_add_f32 v56, v9, v53 :: v_dual_add_f32 v57, v8, v52
	s_delay_alu instid0(VALU_DEP_1) | instskip(SKIP_2) | instid1(VALU_DEP_2)
	v_min3_f32 v132, v57, v56, v128
	v_dual_add_f32 v56, v5, v53 :: v_dual_add_f32 v57, v4, v52
	v_dual_add_f32 v53, v1, v53 :: v_dual_add_f32 v52, v0, v52
	v_min3_f32 v131, v57, v56, v129
	s_delay_alu instid0(VALU_DEP_2) | instskip(SKIP_1) | instid1(VALU_DEP_1)
	;; [unrolled: 20-line block ×3, first 2 shown]
	v_min3_f32 v121, v48, v49, v116
	v_dual_add_f32 v48, v29, v45 :: v_dual_add_f32 v49, v28, v44
	v_min3_f32 v120, v49, v48, v123
	v_dual_add_f32 v48, v25, v45 :: v_dual_add_f32 v49, v24, v44
	s_delay_alu instid0(VALU_DEP_1) | instskip(SKIP_1) | instid1(VALU_DEP_1)
	v_min3_f32 v119, v49, v48, v117
	v_dual_add_f32 v48, v21, v45 :: v_dual_add_f32 v49, v20, v44
	v_min3_f32 v117, v49, v48, v118
	v_dual_add_f32 v48, v17, v45 :: v_dual_add_f32 v49, v16, v44
	s_delay_alu instid0(VALU_DEP_1) | instskip(SKIP_1) | instid1(VALU_DEP_1)
	v_min3_f32 v116, v49, v48, v114
	v_dual_add_f32 v48, v13, v45 :: v_dual_add_f32 v49, v12, v44
	v_min3_f32 v115, v49, v48, v115
	v_dual_add_f32 v48, v9, v45 :: v_dual_add_f32 v49, v8, v44
	s_delay_alu instid0(VALU_DEP_1) | instskip(SKIP_2) | instid1(VALU_DEP_1)
	v_min3_f32 v114, v49, v48, v112
	v_dual_add_f32 v48, v5, v45 :: v_dual_add_f32 v49, v4, v44
	v_dual_add_f32 v45, v1, v45 :: v_dual_add_f32 v44, v0, v44
	v_min3_f32 v112, v44, v45, v110
	v_dual_add_f32 v44, v29, v41 :: v_dual_add_f32 v45, v28, v40
	s_delay_alu instid0(VALU_DEP_1) | instskip(SKIP_1) | instid1(VALU_DEP_1)
	v_min3_f32 v111, v45, v44, v111
	v_dual_add_f32 v44, v25, v41 :: v_dual_add_f32 v45, v24, v40
	v_min3_f32 v110, v45, v44, v108
	v_dual_add_f32 v44, v21, v41 :: v_dual_add_f32 v45, v20, v40
	s_delay_alu instid0(VALU_DEP_1) | instskip(SKIP_1) | instid1(VALU_DEP_1)
	v_min3_f32 v108, v45, v44, v109
	;; [unrolled: 5-line block ×3, first 2 shown]
	v_dual_add_f32 v44, v9, v41 :: v_dual_add_f32 v45, v8, v40
	v_min3_f32 v57, v45, v44, v104
	v_dual_add_f32 v44, v5, v41 :: v_dual_add_f32 v45, v4, v40
	v_dual_add_f32 v41, v1, v41 :: v_dual_add_f32 v40, v0, v40
	v_min3_f32 v113, v49, v48, v113
	v_add_f32_e32 v4, v4, v32
	s_delay_alu instid0(VALU_DEP_4) | instskip(NEXT) | instid1(VALU_DEP_4)
	v_min3_f32 v56, v45, v44, v105
	v_min3_f32 v53, v40, v41, v102
	v_dual_add_f32 v40, v29, v37 :: v_dual_add_f32 v41, v28, v36
	v_dual_add_f32 v29, v29, v33 :: v_dual_add_f32 v28, v28, v32
	s_delay_alu instid0(VALU_DEP_2) | instskip(SKIP_2) | instid1(VALU_DEP_2)
	v_min3_f32 v52, v41, v40, v103
	v_dual_add_f32 v40, v25, v37 :: v_dual_add_f32 v41, v24, v36
	v_dual_add_f32 v25, v25, v33 :: v_dual_add_f32 v24, v24, v32
	v_min3_f32 v49, v41, v40, v100
	v_dual_add_f32 v40, v21, v37 :: v_dual_add_f32 v41, v20, v36
	v_dual_add_f32 v21, v21, v33 :: v_dual_add_f32 v20, v20, v32
	s_delay_alu instid0(VALU_DEP_4) | instskip(NEXT) | instid1(VALU_DEP_3)
	v_min3_f32 v24, v24, v25, v91
	v_min3_f32 v48, v41, v40, v101
	v_dual_add_f32 v40, v17, v37 :: v_dual_add_f32 v41, v16, v36
	s_delay_alu instid0(VALU_DEP_4) | instskip(SKIP_1) | instid1(VALU_DEP_3)
	v_min3_f32 v20, v20, v21, v92
	v_dual_add_f32 v17, v17, v33 :: v_dual_add_f32 v16, v16, v32
	v_min3_f32 v45, v41, v40, v97
	v_dual_add_f32 v40, v13, v37 :: v_dual_add_f32 v41, v12, v36
	v_dual_add_f32 v13, v13, v33 :: v_dual_add_f32 v12, v12, v32
	s_delay_alu instid0(VALU_DEP_4) | instskip(NEXT) | instid1(VALU_DEP_3)
	v_min3_f32 v16, v16, v17, v89
	v_min3_f32 v44, v41, v40, v98
	v_dual_add_f32 v40, v9, v37 :: v_dual_add_f32 v41, v8, v36
	v_add_f32_e32 v36, v0, v36
	v_add_f32_e32 v0, v0, v32
	v_min3_f32 v28, v28, v29, v94
	v_min3_f32 v12, v12, v13, v90
	;; [unrolled: 1-line block ×3, first 2 shown]
	v_add_f32_e32 v40, v5, v37
	v_add_f32_e32 v37, v1, v37
	;; [unrolled: 1-line block ×4, first 2 shown]
	v_dual_add_f32 v9, v9, v33 :: v_dual_add_f32 v8, v8, v32
	s_delay_alu instid0(VALU_DEP_4) | instskip(NEXT) | instid1(VALU_DEP_4)
	v_min3_f32 v36, v36, v37, v93
	v_min3_f32 v4, v4, v5, v82
	s_delay_alu instid0(VALU_DEP_4) | instskip(SKIP_4) | instid1(VALU_DEP_3)
	v_min3_f32 v0, v0, v1, v99
	v_add_f32_e32 v1, v31, v63
	v_add_f32_e32 v5, v30, v62
	v_min3_f32 v8, v8, v9, v81
	v_min3_f32 v40, v75, v40, v96
	;; [unrolled: 1-line block ×3, first 2 shown]
	v_add_f32_e32 v1, v27, v63
	v_add_f32_e32 v5, v26, v62
	s_delay_alu instid0(VALU_DEP_1) | instskip(SKIP_2) | instid1(VALU_DEP_1)
	v_min3_f32 v93, v5, v1, v148
	v_add_f32_e32 v1, v23, v63
	v_add_f32_e32 v5, v22, v62
	v_min3_f32 v92, v5, v1, v149
	v_add_f32_e32 v1, v19, v63
	v_add_f32_e32 v5, v18, v62
	s_delay_alu instid0(VALU_DEP_1) | instskip(SKIP_2) | instid1(VALU_DEP_1)
	v_min3_f32 v91, v5, v1, v156
	v_add_f32_e32 v1, v15, v63
	v_add_f32_e32 v5, v14, v62
	v_min3_f32 v90, v5, v1, v157
	;; [unrolled: 7-line block ×27, first 2 shown]
	v_add_f32_e32 v1, v3, v39
	v_add_f32_e32 v5, v2, v38
	;; [unrolled: 1-line block ×3, first 2 shown]
	s_delay_alu instid0(VALU_DEP_2) | instskip(SKIP_2) | instid1(VALU_DEP_1)
	v_min3_f32 v166, v5, v1, v36
	v_add_f32_e32 v1, v31, v35
	v_add_f32_e32 v5, v30, v34
	v_min3_f32 v167, v5, v1, v28
	v_add_f32_e32 v1, v27, v35
	v_add_f32_e32 v5, v26, v34
	s_delay_alu instid0(VALU_DEP_1) | instskip(SKIP_2) | instid1(VALU_DEP_1)
	v_min3_f32 v168, v5, v1, v24
	v_add_f32_e32 v1, v23, v35
	v_add_f32_e32 v5, v22, v34
	v_min3_f32 v169, v5, v1, v20
	v_add_f32_e32 v1, v19, v35
	v_add_f32_e32 v5, v18, v34
	s_delay_alu instid0(VALU_DEP_1) | instskip(SKIP_2) | instid1(VALU_DEP_1)
	;; [unrolled: 7-line block ×3, first 2 shown]
	v_min3_f32 v172, v5, v1, v8
	v_add_f32_e32 v1, v7, v35
	v_add_f32_e32 v5, v6, v34
	v_min3_f32 v173, v5, v1, v4
	v_add_f32_e32 v1, v3, v35
	s_delay_alu instid0(VALU_DEP_1)
	v_min3_f32 v174, v2, v1, v0
	v_add_co_u32 v0, vcc_lo, v83, v66
	v_add_co_ci_u32_e32 v1, vcc_lo, v84, v67, vcc_lo
	flat_load_b32 v155, v[0:1]
	v_add_co_u32 v0, vcc_lo, v87, v68
	v_add_co_ci_u32_e32 v1, vcc_lo, v88, v69, vcc_lo
	s_clause 0x3
	flat_load_b32 v151, v[0:1]
	flat_load_b32 v152, v[0:1] offset:256
	flat_load_b32 v153, v[0:1] offset:512
	;; [unrolled: 1-line block ×3, first 2 shown]
	ds_load_b128 v[32:35], v78
	ds_load_b128 v[28:31], v78 offset:128
	ds_load_b128 v[24:27], v78 offset:256
	;; [unrolled: 1-line block ×7, first 2 shown]
	ds_load_b128 v[60:63], v72
	ds_load_b128 v[56:59], v72 offset:512
	ds_load_b128 v[52:55], v72 offset:1024
	;; [unrolled: 1-line block ×7, first 2 shown]
	v_add_co_u32 v87, vcc_lo, v87, s8
	v_add_co_ci_u32_e32 v88, vcc_lo, s9, v88, vcc_lo
	v_add_co_u32 v83, vcc_lo, v83, s10
	v_add_co_ci_u32_e32 v84, vcc_lo, s11, v84, vcc_lo
	s_waitcnt vmcnt(4) lgkmcnt(20)
	ds_store_b32 v74, v155
	s_waitcnt vmcnt(2) lgkmcnt(19)
	ds_store_2addr_stride64_b32 v80, v151, v152 offset1:4
	s_waitcnt vmcnt(0) lgkmcnt(18)
	ds_store_2addr_stride64_b32 v80, v153, v154 offset0:8 offset1:12
	s_waitcnt lgkmcnt(10)
	v_dual_add_f32 v108, v33, v61 :: v_dual_add_f32 v109, v32, v60
	s_waitcnt lgkmcnt(0)
	s_barrier
	buffer_gl0_inv
	v_min3_f32 v122, v109, v108, v94
	v_add_f32_e32 v94, v29, v61
	v_add_f32_e32 v108, v28, v60
	s_delay_alu instid0(VALU_DEP_1) | instskip(SKIP_1) | instid1(VALU_DEP_1)
	v_min3_f32 v124, v108, v94, v93
	v_dual_add_f32 v93, v25, v61 :: v_dual_add_f32 v94, v24, v60
	v_min3_f32 v125, v94, v93, v92
	v_dual_add_f32 v92, v21, v61 :: v_dual_add_f32 v93, v20, v60
	s_delay_alu instid0(VALU_DEP_1) | instskip(SKIP_1) | instid1(VALU_DEP_1)
	v_min3_f32 v126, v93, v92, v91
	v_dual_add_f32 v91, v17, v61 :: v_dual_add_f32 v92, v16, v60
	v_min3_f32 v127, v92, v91, v90
	v_dual_add_f32 v90, v9, v61 :: v_dual_add_f32 v91, v8, v60
	s_delay_alu instid0(VALU_DEP_1) | instskip(SKIP_2) | instid1(VALU_DEP_2)
	v_min3_f32 v128, v91, v90, v89
	v_dual_add_f32 v89, v5, v61 :: v_dual_add_f32 v90, v4, v60
	v_dual_add_f32 v61, v1, v61 :: v_dual_add_f32 v60, v0, v60
	v_min3_f32 v129, v90, v89, v82
	s_delay_alu instid0(VALU_DEP_2) | instskip(SKIP_1) | instid1(VALU_DEP_1)
	v_min3_f32 v132, v60, v61, v81
	v_dual_add_f32 v60, v33, v57 :: v_dual_add_f32 v61, v32, v56
	v_min3_f32 v121, v61, v60, v95
	v_dual_add_f32 v60, v29, v57 :: v_dual_add_f32 v61, v28, v56
	s_delay_alu instid0(VALU_DEP_1) | instskip(SKIP_1) | instid1(VALU_DEP_1)
	v_min3_f32 v120, v61, v60, v96
	v_dual_add_f32 v60, v25, v57 :: v_dual_add_f32 v61, v24, v56
	v_min3_f32 v119, v61, v60, v97
	v_dual_add_f32 v60, v21, v57 :: v_dual_add_f32 v61, v20, v56
	s_delay_alu instid0(VALU_DEP_1) | instskip(SKIP_1) | instid1(VALU_DEP_1)
	v_min3_f32 v118, v61, v60, v98
	v_dual_add_f32 v60, v17, v57 :: v_dual_add_f32 v61, v16, v56
	v_min3_f32 v117, v61, v60, v99
	v_dual_add_f32 v60, v9, v57 :: v_dual_add_f32 v61, v8, v56
	s_delay_alu instid0(VALU_DEP_1) | instskip(SKIP_2) | instid1(VALU_DEP_2)
	v_min3_f32 v116, v61, v60, v100
	v_dual_add_f32 v60, v5, v57 :: v_dual_add_f32 v61, v4, v56
	v_dual_add_f32 v57, v1, v57 :: v_dual_add_f32 v56, v0, v56
	v_min3_f32 v115, v61, v60, v101
	s_delay_alu instid0(VALU_DEP_2) | instskip(SKIP_1) | instid1(VALU_DEP_1)
	v_min3_f32 v114, v56, v57, v102
	v_dual_add_f32 v56, v33, v53 :: v_dual_add_f32 v57, v32, v52
	v_min3_f32 v113, v57, v56, v103
	v_dual_add_f32 v56, v29, v53 :: v_dual_add_f32 v57, v28, v52
	;; [unrolled: 20-line block ×5, first 2 shown]
	s_delay_alu instid0(VALU_DEP_1) | instskip(SKIP_1) | instid1(VALU_DEP_1)
	v_min3_f32 v82, v45, v44, v150
	v_dual_add_f32 v44, v25, v41 :: v_dual_add_f32 v45, v24, v40
	v_min3_f32 v81, v45, v44, v156
	v_dual_add_f32 v44, v21, v41 :: v_dual_add_f32 v45, v20, v40
	s_delay_alu instid0(VALU_DEP_1) | instskip(SKIP_1) | instid1(VALU_DEP_1)
	v_min3_f32 v61, v45, v44, v157
	v_dual_add_f32 v44, v17, v41 :: v_dual_add_f32 v45, v16, v40
	v_min3_f32 v60, v45, v44, v158
	v_dual_add_f32 v44, v9, v41 :: v_dual_add_f32 v45, v8, v40
	s_delay_alu instid0(VALU_DEP_1) | instskip(SKIP_2) | instid1(VALU_DEP_2)
	v_min3_f32 v57, v45, v44, v159
	v_dual_add_f32 v44, v5, v41 :: v_dual_add_f32 v45, v4, v40
	v_dual_add_f32 v41, v1, v41 :: v_dual_add_f32 v40, v0, v40
	v_min3_f32 v56, v45, v44, v160
	s_delay_alu instid0(VALU_DEP_2) | instskip(SKIP_2) | instid1(VALU_DEP_2)
	v_min3_f32 v53, v40, v41, v161
	v_dual_add_f32 v40, v33, v37 :: v_dual_add_f32 v41, v32, v36
	v_dual_add_f32 v33, v33, v13 :: v_dual_add_f32 v32, v32, v12
	v_min3_f32 v52, v41, v40, v75
	v_dual_add_f32 v40, v29, v37 :: v_dual_add_f32 v41, v28, v36
	v_add_f32_e32 v75, v4, v36
	v_add_f32_e32 v4, v4, v12
	v_min3_f32 v32, v32, v33, v167
	v_add_f32_e32 v29, v29, v13
	v_min3_f32 v49, v41, v40, v77
	v_dual_add_f32 v40, v25, v37 :: v_dual_add_f32 v41, v24, v36
	v_dual_add_f32 v28, v28, v12 :: v_dual_add_f32 v25, v25, v13
	v_add_f32_e32 v24, v24, v12
	s_delay_alu instid0(VALU_DEP_3) | instskip(SKIP_1) | instid1(VALU_DEP_4)
	v_min3_f32 v48, v41, v40, v79
	v_dual_add_f32 v40, v21, v37 :: v_dual_add_f32 v41, v20, v36
	v_min3_f32 v28, v28, v29, v168
	s_delay_alu instid0(VALU_DEP_4) | instskip(SKIP_1) | instid1(VALU_DEP_4)
	v_min3_f32 v24, v24, v25, v169
	v_dual_add_f32 v21, v21, v13 :: v_dual_add_f32 v20, v20, v12
	v_min3_f32 v45, v41, v40, v162
	v_dual_add_f32 v40, v17, v37 :: v_dual_add_f32 v41, v16, v36
	v_add_f32_e32 v17, v17, v13
	s_delay_alu instid0(VALU_DEP_4) | instskip(SKIP_1) | instid1(VALU_DEP_4)
	v_min3_f32 v20, v20, v21, v170
	v_add_f32_e32 v16, v16, v12
	v_min3_f32 v44, v41, v40, v163
	v_dual_add_f32 v40, v9, v37 :: v_dual_add_f32 v41, v8, v36
	v_add_f32_e32 v36, v0, v36
	v_add_f32_e32 v0, v0, v12
	v_min3_f32 v16, v16, v17, v171
	v_add_f32_e32 v9, v9, v13
	v_min3_f32 v41, v41, v40, v164
	v_add_f32_e32 v40, v5, v37
	v_add_f32_e32 v37, v1, v37
	;; [unrolled: 1-line block ×3, first 2 shown]
	v_dual_add_f32 v1, v1, v13 :: v_dual_add_f32 v8, v8, v12
	s_delay_alu instid0(VALU_DEP_4) | instskip(NEXT) | instid1(VALU_DEP_4)
	v_min3_f32 v40, v75, v40, v165
	v_min3_f32 v36, v36, v37, v166
	s_delay_alu instid0(VALU_DEP_4) | instskip(NEXT) | instid1(VALU_DEP_4)
	v_min3_f32 v4, v4, v5, v173
	v_min3_f32 v0, v0, v1, v174
	v_add_f32_e32 v1, v35, v63
	v_add_f32_e32 v5, v34, v62
	v_min3_f32 v8, v8, v9, v172
	s_delay_alu instid0(VALU_DEP_2) | instskip(SKIP_2) | instid1(VALU_DEP_1)
	v_min3_f32 v150, v5, v1, v122
	v_add_f32_e32 v1, v31, v63
	v_add_f32_e32 v5, v30, v62
	v_min3_f32 v148, v5, v1, v124
	v_add_f32_e32 v1, v27, v63
	v_add_f32_e32 v5, v26, v62
	s_delay_alu instid0(VALU_DEP_1) | instskip(SKIP_2) | instid1(VALU_DEP_1)
	v_min3_f32 v149, v5, v1, v125
	v_add_f32_e32 v1, v23, v63
	v_add_f32_e32 v5, v22, v62
	v_min3_f32 v145, v5, v1, v126
	v_add_f32_e32 v1, v19, v63
	v_add_f32_e32 v5, v18, v62
	s_delay_alu instid0(VALU_DEP_1) | instskip(SKIP_2) | instid1(VALU_DEP_1)
	;; [unrolled: 7-line block ×26, first 2 shown]
	v_min3_f32 v98, v5, v1, v44
	v_add_f32_e32 v1, v11, v39
	v_add_f32_e32 v5, v10, v38
	v_min3_f32 v95, v5, v1, v41
	v_add_f32_e32 v1, v7, v39
	v_add_f32_e32 v5, v6, v38
	s_delay_alu instid0(VALU_DEP_1) | instskip(SKIP_3) | instid1(VALU_DEP_2)
	v_min3_f32 v96, v5, v1, v40
	v_add_f32_e32 v1, v3, v39
	v_add_f32_e32 v5, v2, v38
	;; [unrolled: 1-line block ×3, first 2 shown]
	v_min3_f32 v93, v5, v1, v36
	v_add_f32_e32 v1, v35, v15
	v_add_f32_e32 v5, v34, v14
	s_delay_alu instid0(VALU_DEP_1) | instskip(SKIP_2) | instid1(VALU_DEP_1)
	v_min3_f32 v94, v5, v1, v32
	v_add_f32_e32 v1, v31, v15
	v_add_f32_e32 v5, v30, v14
	v_min3_f32 v91, v5, v1, v28
	v_add_f32_e32 v1, v27, v15
	v_add_f32_e32 v5, v26, v14
	s_delay_alu instid0(VALU_DEP_1) | instskip(SKIP_2) | instid1(VALU_DEP_1)
	v_min3_f32 v92, v5, v1, v24
	v_add_f32_e32 v1, v23, v15
	v_add_f32_e32 v5, v22, v14
	;; [unrolled: 7-line block ×3, first 2 shown]
	v_min3_f32 v81, v5, v1, v8
	v_add_f32_e32 v1, v7, v15
	v_add_f32_e32 v5, v6, v14
	s_delay_alu instid0(VALU_DEP_1) | instskip(SKIP_1) | instid1(VALU_DEP_1)
	v_min3_f32 v82, v5, v1, v4
	v_add_f32_e32 v1, v3, v15
	v_min3_f32 v99, v2, v1, v0
	s_cbranch_scc0 .LBB67_11
	s_branch .LBB67_13
.LBB67_12:
	s_clause 0x1
	scratch_load_b32 v176, off, off offset:4
	scratch_load_b32 v177, off, off
.LBB67_13:
	s_clause 0x2
	s_load_b64 s[10:11], s[0:1], 0x70
	s_load_b32 s8, s[0:1], 0x68
	s_load_b32 s0, s[0:1], 0x50
	ds_load_b128 v[32:35], v175 offset:9216
	ds_load_b128 v[60:63], v72 offset:4096
	s_waitcnt vmcnt(1)
	v_add_nc_u32_e32 v80, s21, v176
	s_waitcnt vmcnt(0)
	v_add_nc_u32_e32 v76, s14, v177
	s_waitcnt lgkmcnt(0)
	s_mul_i32 s1, s15, s11
	v_mad_i64_i32 v[2:3], null, v80, s8, 0
	v_add_f32_e32 v7, v32, v60
	v_mad_i64_i32 v[4:5], null, v80, s0, 0
	s_mul_hi_u32 s9, s15, s10
	v_add_f32_e32 v6, v33, v61
	s_mul_i32 s11, s20, s10
	s_add_i32 s1, s9, s1
	s_mul_i32 s10, s15, s10
	s_add_i32 s11, s1, s11
	v_lshlrev_b64 v[2:3], 2, v[2:3]
	v_dual_add_f32 v9, v34, v62 :: v_dual_add_nc_u32 v0, 8, v76
	v_add_f32_e32 v8, v35, v63
	v_min3_f32 v6, v7, v6, v150
	s_lshl_b64 s[10:11], s[10:11], 2
	v_lshlrev_b64 v[4:5], 2, v[4:5]
	s_add_u32 s1, s6, s10
	v_ashrrev_i32_e32 v77, 31, v76
	s_addc_u32 s6, s7, s11
	v_min3_f32 v6, v9, v8, v6
	v_add_co_u32 v83, vcc_lo, s1, v2
	v_add_co_ci_u32_e32 v84, vcc_lo, s6, v3, vcc_lo
	v_add_co_u32 v85, vcc_lo, s4, v4
	v_lshlrev_b64 v[66:67], 2, v[76:77]
	v_ashrrev_i32_e32 v1, 31, v0
	v_add_co_ci_u32_e32 v86, vcc_lo, s5, v5, vcc_lo
	v_max_f32_e32 v2, v6, v6
	s_mov_b32 vcc_lo, s2
	s_cbranch_vccz .LBB67_15
; %bb.14:
	v_add_co_u32 v3, vcc_lo, v83, v66
	s_delay_alu instid0(VALU_DEP_2)
	v_min_f32_e32 v5, 0, v2
	v_add_co_ci_u32_e32 v4, vcc_lo, v84, v67, vcc_lo
	s_mov_b32 s7, 0
	global_store_b32 v[3:4], v5, off
	s_branch .LBB67_16
.LBB67_15:
	s_mov_b32 s7, -1
.LBB67_16:
	ds_load_b128 v[28:31], v175 offset:9344
	ds_load_b128 v[24:27], v175 offset:9472
	v_lshlrev_b64 v[64:65], 2, v[0:1]
	s_and_not1_b32 vcc_lo, exec_lo, s7
	s_cbranch_vccnz .LBB67_18
; %bb.17:
	v_add_co_u32 v0, vcc_lo, v85, v66
	v_add_co_ci_u32_e32 v1, vcc_lo, v86, v67, vcc_lo
	flat_load_b32 v0, v[0:1]
	s_waitcnt vmcnt(0) lgkmcnt(0)
	v_mul_f32_e32 v3, s3, v0
	v_add_co_u32 v0, vcc_lo, v83, v66
	v_add_co_ci_u32_e32 v1, vcc_lo, v84, v67, vcc_lo
	s_delay_alu instid0(VALU_DEP_3)
	v_min_f32_e32 v4, v3, v2
	v_add_co_u32 v2, vcc_lo, v85, v64
	v_add_co_ci_u32_e32 v3, vcc_lo, v86, v65, vcc_lo
	global_store_b32 v[0:1], v4, off
	flat_load_b32 v0, v[2:3]
	s_waitcnt vmcnt(0) lgkmcnt(0)
	v_mul_f32_e32 v69, s3, v0
	s_branch .LBB67_19
.LBB67_18:
	v_mov_b32_e32 v69, s7
.LBB67_19:
	ds_load_b128 v[16:19], v175 offset:9728
	ds_load_b128 v[12:15], v175 offset:9856
	;; [unrolled: 1-line block ×10, first 2 shown]
	s_waitcnt lgkmcnt(10)
	v_dual_add_f32 v68, v25, v61 :: v_dual_add_f32 v73, v31, v63
	v_dual_add_f32 v70, v24, v60 :: v_dual_add_f32 v71, v29, v61
	ds_load_b128 v[20:23], v175 offset:9600
	ds_load_b128 v[4:7], v72 offset:7680
	v_dual_add_f32 v72, v28, v60 :: v_dual_add_f32 v75, v27, v63
	v_add_f32_e32 v74, v30, v62
	v_min3_f32 v68, v70, v68, v149
	v_dual_add_f32 v77, v26, v62 :: v_dual_add_nc_u32 v70, 16, v76
	s_delay_alu instid0(VALU_DEP_4) | instskip(NEXT) | instid1(VALU_DEP_4)
	v_min3_f32 v72, v72, v71, v148
	v_min_f32_e32 v73, v74, v73
	s_delay_alu instid0(VALU_DEP_3) | instskip(SKIP_2) | instid1(VALU_DEP_4)
	v_min3_f32 v75, v77, v75, v68
	v_add_nc_u32_e32 v68, 24, v76
	v_ashrrev_i32_e32 v71, 31, v70
	v_min3_f32 v77, v69, v73, v72
	v_add_co_u32 v73, vcc_lo, v83, v64
	v_add_co_ci_u32_e32 v74, vcc_lo, v84, v65, vcc_lo
	s_delay_alu instid0(VALU_DEP_4)
	v_lshlrev_b64 v[70:71], 2, v[70:71]
	v_ashrrev_i32_e32 v69, 31, v68
	v_max_f32_e32 v72, v75, v75
	s_mov_b32 vcc_lo, s2
	global_store_b32 v[73:74], v77, off
	s_cbranch_vccz .LBB67_22
; %bb.20:
	v_add_co_u32 v73, vcc_lo, v83, v70
	v_min_f32_e32 v75, 0, v72
	v_add_co_ci_u32_e32 v74, vcc_lo, v84, v71, vcc_lo
	s_mov_b32 s7, 0
	global_store_b32 v[73:74], v75, off
	v_lshlrev_b64 v[68:69], 2, v[68:69]
	s_cbranch_execz .LBB67_23
; %bb.21:
	v_mov_b32_e32 v73, s7
	s_branch .LBB67_24
.LBB67_22:
	s_mov_b32 s7, -1
	v_lshlrev_b64 v[68:69], 2, v[68:69]
.LBB67_23:
	v_add_co_u32 v73, vcc_lo, v85, v70
	v_add_co_ci_u32_e32 v74, vcc_lo, v86, v71, vcc_lo
	flat_load_b32 v73, v[73:74]
	s_waitcnt vmcnt(0) lgkmcnt(0)
	v_mul_f32_e32 v75, s3, v73
	v_add_co_u32 v73, vcc_lo, v83, v70
	v_add_co_ci_u32_e32 v74, vcc_lo, v84, v71, vcc_lo
	v_add_co_u32 v77, vcc_lo, v85, v68
	s_delay_alu instid0(VALU_DEP_4)
	v_min_f32_e32 v72, v75, v72
	v_add_co_ci_u32_e32 v78, vcc_lo, v86, v69, vcc_lo
	global_store_b32 v[73:74], v72, off
	flat_load_b32 v72, v[77:78]
	s_waitcnt vmcnt(0) lgkmcnt(0)
	v_mul_f32_e32 v73, s3, v72
.LBB67_24:
	s_waitcnt lgkmcnt(1)
	v_dual_add_f32 v72, v17, v61 :: v_dual_add_f32 v77, v20, v60
	v_dual_add_f32 v74, v16, v60 :: v_dual_add_f32 v75, v21, v61
	v_dual_add_f32 v78, v23, v63 :: v_dual_add_f32 v79, v22, v62
	v_dual_add_f32 v87, v19, v63 :: v_dual_add_f32 v88, v18, v62
	s_delay_alu instid0(VALU_DEP_3) | instskip(NEXT) | instid1(VALU_DEP_4)
	v_min3_f32 v72, v74, v72, v146
	v_min3_f32 v77, v77, v75, v145
	s_delay_alu instid0(VALU_DEP_4) | instskip(NEXT) | instid1(VALU_DEP_3)
	v_min_f32_e32 v78, v79, v78
	v_min3_f32 v87, v88, v87, v72
	v_add_nc_u32_e32 v74, 32, v76
	s_delay_alu instid0(VALU_DEP_3)
	v_min3_f32 v88, v73, v78, v77
	v_add_nc_u32_e32 v72, 40, v76
	v_add_co_u32 v78, vcc_lo, v83, v68
	v_max_f32_e32 v77, v87, v87
	v_ashrrev_i32_e32 v75, 31, v74
	v_add_co_ci_u32_e32 v79, vcc_lo, v84, v69, vcc_lo
	v_ashrrev_i32_e32 v73, 31, v72
	s_mov_b32 vcc_lo, s2
	s_delay_alu instid0(VALU_DEP_3)
	v_lshlrev_b64 v[74:75], 2, v[74:75]
	global_store_b32 v[78:79], v88, off
	s_cbranch_vccz .LBB67_27
; %bb.25:
	v_add_co_u32 v78, vcc_lo, v83, v74
	v_min_f32_e32 v87, 0, v77
	v_add_co_ci_u32_e32 v79, vcc_lo, v84, v75, vcc_lo
	s_mov_b32 s7, 0
	global_store_b32 v[78:79], v87, off
	v_lshlrev_b64 v[72:73], 2, v[72:73]
	s_cbranch_execz .LBB67_28
; %bb.26:
	v_mov_b32_e32 v77, s7
	s_branch .LBB67_29
.LBB67_27:
	s_mov_b32 s7, -1
	v_lshlrev_b64 v[72:73], 2, v[72:73]
.LBB67_28:
	v_add_co_u32 v78, vcc_lo, v85, v74
	v_add_co_ci_u32_e32 v79, vcc_lo, v86, v75, vcc_lo
	flat_load_b32 v78, v[78:79]
	s_waitcnt vmcnt(0) lgkmcnt(0)
	v_mul_f32_e32 v87, s3, v78
	v_add_co_u32 v78, vcc_lo, v83, v74
	v_add_co_ci_u32_e32 v79, vcc_lo, v84, v75, vcc_lo
	s_delay_alu instid0(VALU_DEP_3)
	v_min_f32_e32 v77, v87, v77
	v_add_co_u32 v87, vcc_lo, v85, v72
	v_add_co_ci_u32_e32 v88, vcc_lo, v86, v73, vcc_lo
	global_store_b32 v[78:79], v77, off
	flat_load_b32 v77, v[87:88]
	s_waitcnt vmcnt(0) lgkmcnt(0)
	v_mul_f32_e32 v77, s3, v77
.LBB67_29:
	v_dual_add_f32 v78, v9, v61 :: v_dual_add_f32 v79, v8, v60
	v_dual_add_f32 v87, v13, v61 :: v_dual_add_f32 v88, v12, v60
	v_add_f32_e32 v145, v15, v63
	v_add_f32_e32 v146, v11, v63
	s_delay_alu instid0(VALU_DEP_4)
	v_min3_f32 v79, v79, v78, v142
	v_add_f32_e32 v142, v14, v62
	v_add_f32_e32 v148, v10, v62
	v_add_nc_u32_e32 v78, 48, v76
	v_min3_f32 v87, v88, v87, v141
	v_add_nc_u32_e32 v76, 56, v76
	v_min_f32_e32 v88, v142, v145
	v_min3_f32 v145, v148, v146, v79
	v_ashrrev_i32_e32 v79, 31, v78
	v_add_co_u32 v141, vcc_lo, v83, v72
	s_delay_alu instid0(VALU_DEP_4) | instskip(NEXT) | instid1(VALU_DEP_4)
	v_min3_f32 v88, v77, v88, v87
	v_max_f32_e32 v87, v145, v145
	s_delay_alu instid0(VALU_DEP_4)
	v_lshlrev_b64 v[78:79], 2, v[78:79]
	v_add_co_ci_u32_e32 v142, vcc_lo, v84, v73, vcc_lo
	v_ashrrev_i32_e32 v77, 31, v76
	s_mov_b32 vcc_lo, s2
	global_store_b32 v[141:142], v88, off
	s_cbranch_vccz .LBB67_32
; %bb.30:
	v_add_co_u32 v141, vcc_lo, v83, v78
	v_min_f32_e32 v88, 0, v87
	v_add_co_ci_u32_e32 v142, vcc_lo, v84, v79, vcc_lo
	s_mov_b32 s7, 0
	global_store_b32 v[141:142], v88, off
	v_lshlrev_b64 v[76:77], 2, v[76:77]
	s_cbranch_execz .LBB67_33
; %bb.31:
	v_mov_b32_e32 v85, s7
	s_branch .LBB67_34
.LBB67_32:
	s_mov_b32 s7, -1
	v_lshlrev_b64 v[76:77], 2, v[76:77]
.LBB67_33:
	v_add_co_u32 v141, vcc_lo, v85, v78
	v_add_co_ci_u32_e32 v142, vcc_lo, v86, v79, vcc_lo
	flat_load_b32 v88, v[141:142]
	v_add_co_u32 v141, vcc_lo, v83, v78
	v_add_co_ci_u32_e32 v142, vcc_lo, v84, v79, vcc_lo
	v_add_co_u32 v85, vcc_lo, v85, v76
	v_add_co_ci_u32_e32 v86, vcc_lo, v86, v77, vcc_lo
	s_waitcnt vmcnt(0) lgkmcnt(0)
	v_mul_f32_e32 v88, s3, v88
	s_delay_alu instid0(VALU_DEP_1)
	v_min_f32_e32 v87, v88, v87
	global_store_b32 v[141:142], v87, off
	flat_load_b32 v85, v[85:86]
	s_waitcnt vmcnt(0) lgkmcnt(0)
	v_mul_f32_e32 v85, s3, v85
.LBB67_34:
	v_dual_add_f32 v86, v33, v57 :: v_dual_add_f32 v87, v32, v56
	v_dual_add_f32 v61, v1, v61 :: v_dual_add_f32 v60, v0, v60
	;; [unrolled: 1-line block ×3, first 2 shown]
	s_delay_alu instid0(VALU_DEP_3) | instskip(SKIP_1) | instid1(VALU_DEP_4)
	v_min3_f32 v86, v87, v86, v147
	v_add_nc_u32_e32 v87, 32, v80
	v_min3_f32 v88, v60, v61, v138
	v_dual_add_f32 v138, v35, v59 :: v_dual_add_f32 v141, v34, v58
	v_min_f32_e32 v142, v62, v63
	s_delay_alu instid0(VALU_DEP_4) | instskip(SKIP_1) | instid1(VALU_DEP_3)
	v_mad_i64_i32 v[60:61], null, v87, s8, 0
	v_mad_i64_i32 v[62:63], null, v87, s0, 0
	v_min3_f32 v88, v85, v142, v88
	v_add_co_u32 v85, vcc_lo, v83, v76
	v_min3_f32 v87, v141, v138, v86
	v_lshlrev_b64 v[60:61], 2, v[60:61]
	v_add_co_ci_u32_e32 v86, vcc_lo, v84, v77, vcc_lo
	v_lshlrev_b64 v[62:63], 2, v[62:63]
	s_delay_alu instid0(VALU_DEP_4) | instskip(NEXT) | instid1(VALU_DEP_4)
	v_max_f32_e32 v83, v87, v87
	v_add_co_u32 v60, vcc_lo, s1, v60
	v_add_co_ci_u32_e32 v61, vcc_lo, s6, v61, vcc_lo
	s_delay_alu instid0(VALU_DEP_4)
	v_add_co_u32 v62, vcc_lo, s4, v62
	v_add_co_ci_u32_e32 v63, vcc_lo, s5, v63, vcc_lo
	s_mov_b32 vcc_lo, s2
	global_store_b32 v[85:86], v88, off
	s_cbranch_vccz .LBB67_37
; %bb.35:
	v_add_co_u32 v84, vcc_lo, v60, v66
	v_min_f32_e32 v86, 0, v83
	v_add_co_ci_u32_e32 v85, vcc_lo, v61, v67, vcc_lo
	s_mov_b32 s7, 0
	global_store_b32 v[84:85], v86, off
	s_cbranch_execz .LBB67_38
; %bb.36:
	v_mov_b32_e32 v83, s7
	s_branch .LBB67_39
.LBB67_37:
	s_mov_b32 s7, -1
.LBB67_38:
	v_add_co_u32 v84, vcc_lo, v62, v66
	v_add_co_ci_u32_e32 v85, vcc_lo, v63, v67, vcc_lo
	flat_load_b32 v84, v[84:85]
	s_waitcnt vmcnt(0) lgkmcnt(0)
	v_mul_f32_e32 v86, s3, v84
	v_add_co_u32 v84, vcc_lo, v60, v66
	v_add_co_ci_u32_e32 v85, vcc_lo, v61, v67, vcc_lo
	s_delay_alu instid0(VALU_DEP_3)
	v_min_f32_e32 v83, v86, v83
	v_add_co_u32 v86, vcc_lo, v62, v64
	v_add_co_ci_u32_e32 v87, vcc_lo, v63, v65, vcc_lo
	global_store_b32 v[84:85], v83, off
	flat_load_b32 v83, v[86:87]
	s_waitcnt vmcnt(0) lgkmcnt(0)
	v_mul_f32_e32 v83, s3, v83
.LBB67_39:
	v_dual_add_f32 v84, v29, v57 :: v_dual_add_f32 v85, v28, v56
	v_dual_add_f32 v86, v25, v57 :: v_dual_add_f32 v87, v24, v56
	v_add_f32_e32 v88, v31, v59
	v_add_f32_e32 v138, v30, v58
	s_delay_alu instid0(VALU_DEP_4) | instskip(NEXT) | instid1(VALU_DEP_4)
	v_min3_f32 v84, v85, v84, v143
	v_min3_f32 v85, v87, v86, v144
	v_dual_add_f32 v87, v26, v58 :: v_dual_add_f32 v86, v27, v59
	s_delay_alu instid0(VALU_DEP_4) | instskip(NEXT) | instid1(VALU_DEP_2)
	v_min_f32_e32 v88, v138, v88
	v_min3_f32 v86, v87, v86, v85
	s_delay_alu instid0(VALU_DEP_2) | instskip(SKIP_2) | instid1(VALU_DEP_4)
	v_min3_f32 v87, v83, v88, v84
	v_add_co_u32 v84, vcc_lo, v60, v64
	v_add_co_ci_u32_e32 v85, vcc_lo, v61, v65, vcc_lo
	v_max_f32_e32 v83, v86, v86
	s_mov_b32 vcc_lo, s2
	global_store_b32 v[84:85], v87, off
	s_cbranch_vccz .LBB67_42
; %bb.40:
	v_add_co_u32 v84, vcc_lo, v60, v70
	v_min_f32_e32 v86, 0, v83
	v_add_co_ci_u32_e32 v85, vcc_lo, v61, v71, vcc_lo
	s_mov_b32 s7, 0
	global_store_b32 v[84:85], v86, off
	s_cbranch_execz .LBB67_43
; %bb.41:
	v_mov_b32_e32 v83, s7
	s_branch .LBB67_44
.LBB67_42:
	s_mov_b32 s7, -1
.LBB67_43:
	v_add_co_u32 v84, vcc_lo, v62, v70
	v_add_co_ci_u32_e32 v85, vcc_lo, v63, v71, vcc_lo
	flat_load_b32 v84, v[84:85]
	s_waitcnt vmcnt(0) lgkmcnt(0)
	v_mul_f32_e32 v86, s3, v84
	v_add_co_u32 v84, vcc_lo, v60, v70
	v_add_co_ci_u32_e32 v85, vcc_lo, v61, v71, vcc_lo
	s_delay_alu instid0(VALU_DEP_3)
	v_min_f32_e32 v83, v86, v83
	v_add_co_u32 v86, vcc_lo, v62, v68
	v_add_co_ci_u32_e32 v87, vcc_lo, v63, v69, vcc_lo
	global_store_b32 v[84:85], v83, off
	flat_load_b32 v83, v[86:87]
	s_waitcnt vmcnt(0) lgkmcnt(0)
	v_mul_f32_e32 v83, s3, v83
.LBB67_44:
	v_dual_add_f32 v84, v21, v57 :: v_dual_add_f32 v85, v20, v56
	v_dual_add_f32 v86, v17, v57 :: v_dual_add_f32 v87, v16, v56
	v_add_f32_e32 v88, v23, v59
	v_add_f32_e32 v138, v22, v58
	s_delay_alu instid0(VALU_DEP_4) | instskip(NEXT) | instid1(VALU_DEP_4)
	v_min3_f32 v84, v85, v84, v139
	v_min3_f32 v85, v87, v86, v140
	v_dual_add_f32 v87, v18, v58 :: v_dual_add_f32 v86, v19, v59
	s_delay_alu instid0(VALU_DEP_4) | instskip(NEXT) | instid1(VALU_DEP_2)
	v_min_f32_e32 v88, v138, v88
	v_min3_f32 v86, v87, v86, v85
	s_delay_alu instid0(VALU_DEP_2) | instskip(SKIP_2) | instid1(VALU_DEP_4)
	v_min3_f32 v87, v83, v88, v84
	v_add_co_u32 v84, vcc_lo, v60, v68
	v_add_co_ci_u32_e32 v85, vcc_lo, v61, v69, vcc_lo
	v_max_f32_e32 v83, v86, v86
	;; [unrolled: 48-line block ×3, first 2 shown]
	s_mov_b32 vcc_lo, s2
	global_store_b32 v[84:85], v87, off
	s_cbranch_vccz .LBB67_52
; %bb.50:
	v_add_co_u32 v84, vcc_lo, v60, v78
	v_min_f32_e32 v86, 0, v83
	v_add_co_ci_u32_e32 v85, vcc_lo, v61, v79, vcc_lo
	s_mov_b32 s7, 0
	global_store_b32 v[84:85], v86, off
	s_cbranch_execz .LBB67_53
; %bb.51:
	v_mov_b32_e32 v62, s7
	s_branch .LBB67_54
.LBB67_52:
	s_mov_b32 s7, -1
.LBB67_53:
	v_add_co_u32 v84, vcc_lo, v62, v78
	v_add_co_ci_u32_e32 v85, vcc_lo, v63, v79, vcc_lo
	flat_load_b32 v84, v[84:85]
	s_waitcnt vmcnt(0) lgkmcnt(0)
	v_mul_f32_e32 v86, s3, v84
	v_add_co_u32 v84, vcc_lo, v60, v78
	v_add_co_ci_u32_e32 v85, vcc_lo, v61, v79, vcc_lo
	v_add_co_u32 v62, vcc_lo, v62, v76
	s_delay_alu instid0(VALU_DEP_4)
	v_min_f32_e32 v83, v86, v83
	v_add_co_ci_u32_e32 v63, vcc_lo, v63, v77, vcc_lo
	global_store_b32 v[84:85], v83, off
	flat_load_b32 v62, v[62:63]
	s_waitcnt vmcnt(0) lgkmcnt(0)
	v_mul_f32_e32 v62, s3, v62
.LBB67_54:
	v_dual_add_f32 v63, v33, v53 :: v_dual_add_f32 v58, v2, v58
	v_dual_add_f32 v83, v32, v52 :: v_dual_add_f32 v86, v34, v54
	;; [unrolled: 1-line block ×3, first 2 shown]
	v_add_f32_e32 v59, v3, v59
	s_delay_alu instid0(VALU_DEP_3) | instskip(SKIP_4) | instid1(VALU_DEP_4)
	v_min3_f32 v63, v83, v63, v135
	v_add_nc_u32_e32 v83, 64, v80
	v_add_f32_e32 v85, v35, v55
	v_min3_f32 v84, v56, v57, v134
	v_min_f32_e32 v87, v58, v59
	v_mad_i64_i32 v[56:57], null, v83, s8, 0
	v_mad_i64_i32 v[58:59], null, v83, s0, 0
	s_delay_alu instid0(VALU_DEP_3)
	v_min3_f32 v84, v62, v87, v84
	v_add_co_u32 v62, vcc_lo, v60, v76
	v_min3_f32 v83, v86, v85, v63
	v_lshlrev_b64 v[56:57], 2, v[56:57]
	v_add_co_ci_u32_e32 v63, vcc_lo, v61, v77, vcc_lo
	v_lshlrev_b64 v[58:59], 2, v[58:59]
	s_delay_alu instid0(VALU_DEP_4) | instskip(NEXT) | instid1(VALU_DEP_4)
	v_max_f32_e32 v60, v83, v83
	v_add_co_u32 v56, vcc_lo, s1, v56
	v_add_co_ci_u32_e32 v57, vcc_lo, s6, v57, vcc_lo
	s_delay_alu instid0(VALU_DEP_4)
	v_add_co_u32 v58, vcc_lo, s4, v58
	v_add_co_ci_u32_e32 v59, vcc_lo, s5, v59, vcc_lo
	s_mov_b32 vcc_lo, s2
	global_store_b32 v[62:63], v84, off
	s_cbranch_vccz .LBB67_57
; %bb.55:
	v_add_co_u32 v61, vcc_lo, v56, v66
	v_min_f32_e32 v63, 0, v60
	v_add_co_ci_u32_e32 v62, vcc_lo, v57, v67, vcc_lo
	s_mov_b32 s7, 0
	global_store_b32 v[61:62], v63, off
	s_cbranch_execz .LBB67_58
; %bb.56:
	v_mov_b32_e32 v60, s7
	s_branch .LBB67_59
.LBB67_57:
	s_mov_b32 s7, -1
.LBB67_58:
	v_add_co_u32 v61, vcc_lo, v58, v66
	v_add_co_ci_u32_e32 v62, vcc_lo, v59, v67, vcc_lo
	flat_load_b32 v61, v[61:62]
	s_waitcnt vmcnt(0) lgkmcnt(0)
	v_mul_f32_e32 v63, s3, v61
	v_add_co_u32 v61, vcc_lo, v56, v66
	v_add_co_ci_u32_e32 v62, vcc_lo, v57, v67, vcc_lo
	v_add_co_u32 v83, vcc_lo, v58, v64
	s_delay_alu instid0(VALU_DEP_4)
	v_min_f32_e32 v60, v63, v60
	v_add_co_ci_u32_e32 v84, vcc_lo, v59, v65, vcc_lo
	global_store_b32 v[61:62], v60, off
	flat_load_b32 v60, v[83:84]
	s_waitcnt vmcnt(0) lgkmcnt(0)
	v_mul_f32_e32 v60, s3, v60
.LBB67_59:
	v_dual_add_f32 v61, v29, v53 :: v_dual_add_f32 v62, v28, v52
	v_dual_add_f32 v63, v25, v53 :: v_dual_add_f32 v84, v31, v55
	v_add_f32_e32 v83, v24, v52
	v_add_f32_e32 v85, v30, v54
	s_delay_alu instid0(VALU_DEP_4) | instskip(NEXT) | instid1(VALU_DEP_3)
	v_min3_f32 v61, v62, v61, v132
	v_min3_f32 v62, v83, v63, v133
	s_delay_alu instid0(VALU_DEP_3) | instskip(SKIP_1) | instid1(VALU_DEP_1)
	v_dual_add_f32 v63, v27, v55 :: v_dual_min_f32 v84, v85, v84
	v_add_f32_e32 v83, v26, v54
	v_min3_f32 v63, v83, v63, v62
	s_delay_alu instid0(VALU_DEP_3) | instskip(SKIP_2) | instid1(VALU_DEP_4)
	v_min3_f32 v83, v60, v84, v61
	v_add_co_u32 v61, vcc_lo, v56, v64
	v_add_co_ci_u32_e32 v62, vcc_lo, v57, v65, vcc_lo
	v_max_f32_e32 v60, v63, v63
	s_mov_b32 vcc_lo, s2
	global_store_b32 v[61:62], v83, off
	s_cbranch_vccz .LBB67_62
; %bb.60:
	v_add_co_u32 v61, vcc_lo, v56, v70
	v_min_f32_e32 v63, 0, v60
	v_add_co_ci_u32_e32 v62, vcc_lo, v57, v71, vcc_lo
	s_mov_b32 s7, 0
	global_store_b32 v[61:62], v63, off
	s_cbranch_execz .LBB67_63
; %bb.61:
	v_mov_b32_e32 v60, s7
	s_branch .LBB67_64
.LBB67_62:
	s_mov_b32 s7, -1
.LBB67_63:
	v_add_co_u32 v61, vcc_lo, v58, v70
	v_add_co_ci_u32_e32 v62, vcc_lo, v59, v71, vcc_lo
	flat_load_b32 v61, v[61:62]
	s_waitcnt vmcnt(0) lgkmcnt(0)
	v_mul_f32_e32 v63, s3, v61
	v_add_co_u32 v61, vcc_lo, v56, v70
	v_add_co_ci_u32_e32 v62, vcc_lo, v57, v71, vcc_lo
	v_add_co_u32 v83, vcc_lo, v58, v68
	s_delay_alu instid0(VALU_DEP_4)
	v_min_f32_e32 v60, v63, v60
	v_add_co_ci_u32_e32 v84, vcc_lo, v59, v69, vcc_lo
	global_store_b32 v[61:62], v60, off
	flat_load_b32 v60, v[83:84]
	s_waitcnt vmcnt(0) lgkmcnt(0)
	v_mul_f32_e32 v60, s3, v60
.LBB67_64:
	v_dual_add_f32 v61, v21, v53 :: v_dual_add_f32 v62, v20, v52
	v_dual_add_f32 v63, v17, v53 :: v_dual_add_f32 v84, v23, v55
	v_add_f32_e32 v83, v16, v52
	v_add_f32_e32 v85, v22, v54
	s_delay_alu instid0(VALU_DEP_4) | instskip(NEXT) | instid1(VALU_DEP_3)
	v_min3_f32 v61, v62, v61, v130
	v_min3_f32 v62, v83, v63, v131
	s_delay_alu instid0(VALU_DEP_3) | instskip(SKIP_1) | instid1(VALU_DEP_1)
	v_dual_add_f32 v63, v19, v55 :: v_dual_min_f32 v84, v85, v84
	v_add_f32_e32 v83, v18, v54
	v_min3_f32 v63, v83, v63, v62
	s_delay_alu instid0(VALU_DEP_3) | instskip(SKIP_2) | instid1(VALU_DEP_4)
	v_min3_f32 v83, v60, v84, v61
	v_add_co_u32 v61, vcc_lo, v56, v68
	v_add_co_ci_u32_e32 v62, vcc_lo, v57, v69, vcc_lo
	v_max_f32_e32 v60, v63, v63
	;; [unrolled: 48-line block ×3, first 2 shown]
	s_mov_b32 vcc_lo, s2
	global_store_b32 v[61:62], v83, off
	s_cbranch_vccz .LBB67_72
; %bb.70:
	v_add_co_u32 v61, vcc_lo, v56, v78
	v_min_f32_e32 v63, 0, v60
	v_add_co_ci_u32_e32 v62, vcc_lo, v57, v79, vcc_lo
	s_mov_b32 s7, 0
	global_store_b32 v[61:62], v63, off
	s_cbranch_execz .LBB67_73
; %bb.71:
	v_mov_b32_e32 v58, s7
	s_branch .LBB67_74
.LBB67_72:
	s_mov_b32 s7, -1
.LBB67_73:
	v_add_co_u32 v61, vcc_lo, v58, v78
	v_add_co_ci_u32_e32 v62, vcc_lo, v59, v79, vcc_lo
	flat_load_b32 v61, v[61:62]
	s_waitcnt vmcnt(0) lgkmcnt(0)
	v_mul_f32_e32 v63, s3, v61
	v_add_co_u32 v61, vcc_lo, v56, v78
	v_add_co_ci_u32_e32 v62, vcc_lo, v57, v79, vcc_lo
	v_add_co_u32 v58, vcc_lo, v58, v76
	s_delay_alu instid0(VALU_DEP_4)
	v_min_f32_e32 v60, v63, v60
	v_add_co_ci_u32_e32 v59, vcc_lo, v59, v77, vcc_lo
	global_store_b32 v[61:62], v60, off
	flat_load_b32 v58, v[58:59]
	s_waitcnt vmcnt(0) lgkmcnt(0)
	v_mul_f32_e32 v58, s3, v58
.LBB67_74:
	v_dual_add_f32 v59, v33, v49 :: v_dual_add_f32 v60, v32, v48
	v_dual_add_f32 v53, v1, v53 :: v_dual_add_f32 v52, v0, v52
	;; [unrolled: 1-line block ×3, first 2 shown]
	s_delay_alu instid0(VALU_DEP_3) | instskip(SKIP_1) | instid1(VALU_DEP_4)
	v_min3_f32 v59, v60, v59, v127
	v_add_nc_u32_e32 v60, 0x60, v80
	v_min3_f32 v61, v52, v53, v126
	v_dual_add_f32 v62, v35, v51 :: v_dual_add_f32 v63, v34, v50
	v_min_f32_e32 v83, v54, v55
	s_delay_alu instid0(VALU_DEP_4) | instskip(SKIP_1) | instid1(VALU_DEP_3)
	v_mad_i64_i32 v[52:53], null, v60, s8, 0
	v_mad_i64_i32 v[54:55], null, v60, s0, 0
	v_min3_f32 v61, v58, v83, v61
	v_add_co_u32 v58, vcc_lo, v56, v76
	v_min3_f32 v60, v63, v62, v59
	v_lshlrev_b64 v[52:53], 2, v[52:53]
	v_add_co_ci_u32_e32 v59, vcc_lo, v57, v77, vcc_lo
	v_lshlrev_b64 v[54:55], 2, v[54:55]
	s_delay_alu instid0(VALU_DEP_4) | instskip(NEXT) | instid1(VALU_DEP_4)
	v_max_f32_e32 v56, v60, v60
	v_add_co_u32 v52, vcc_lo, s1, v52
	v_add_co_ci_u32_e32 v53, vcc_lo, s6, v53, vcc_lo
	s_delay_alu instid0(VALU_DEP_4)
	v_add_co_u32 v54, vcc_lo, s4, v54
	v_add_co_ci_u32_e32 v55, vcc_lo, s5, v55, vcc_lo
	s_mov_b32 vcc_lo, s2
	global_store_b32 v[58:59], v61, off
	s_cbranch_vccz .LBB67_77
; %bb.75:
	v_add_co_u32 v57, vcc_lo, v52, v66
	v_min_f32_e32 v59, 0, v56
	v_add_co_ci_u32_e32 v58, vcc_lo, v53, v67, vcc_lo
	s_mov_b32 s7, 0
	global_store_b32 v[57:58], v59, off
	s_cbranch_execz .LBB67_78
; %bb.76:
	v_mov_b32_e32 v56, s7
	s_branch .LBB67_79
.LBB67_77:
	s_mov_b32 s7, -1
.LBB67_78:
	v_add_co_u32 v57, vcc_lo, v54, v66
	v_add_co_ci_u32_e32 v58, vcc_lo, v55, v67, vcc_lo
	flat_load_b32 v57, v[57:58]
	s_waitcnt vmcnt(0) lgkmcnt(0)
	v_mul_f32_e32 v59, s3, v57
	v_add_co_u32 v57, vcc_lo, v52, v66
	v_add_co_ci_u32_e32 v58, vcc_lo, v53, v67, vcc_lo
	s_delay_alu instid0(VALU_DEP_3)
	v_min_f32_e32 v56, v59, v56
	v_add_co_u32 v59, vcc_lo, v54, v64
	v_add_co_ci_u32_e32 v60, vcc_lo, v55, v65, vcc_lo
	global_store_b32 v[57:58], v56, off
	flat_load_b32 v56, v[59:60]
	s_waitcnt vmcnt(0) lgkmcnt(0)
	v_mul_f32_e32 v56, s3, v56
.LBB67_79:
	v_dual_add_f32 v57, v29, v49 :: v_dual_add_f32 v58, v28, v48
	v_dual_add_f32 v59, v25, v49 :: v_dual_add_f32 v60, v24, v48
	v_dual_add_f32 v61, v31, v51 :: v_dual_add_f32 v62, v30, v50
	s_delay_alu instid0(VALU_DEP_3) | instskip(NEXT) | instid1(VALU_DEP_3)
	v_min3_f32 v57, v58, v57, v124
	v_min3_f32 v58, v60, v59, v125
	v_dual_add_f32 v59, v27, v51 :: v_dual_add_f32 v60, v26, v50
	s_delay_alu instid0(VALU_DEP_1) | instskip(SKIP_1) | instid1(VALU_DEP_1)
	v_min3_f32 v59, v60, v59, v58
	v_min_f32_e32 v61, v62, v61
	v_min3_f32 v60, v56, v61, v57
	s_delay_alu instid0(VALU_DEP_3)
	v_max_f32_e32 v56, v59, v59
	v_add_co_u32 v57, vcc_lo, v52, v64
	v_add_co_ci_u32_e32 v58, vcc_lo, v53, v65, vcc_lo
	s_mov_b32 vcc_lo, s2
	global_store_b32 v[57:58], v60, off
	s_cbranch_vccz .LBB67_82
; %bb.80:
	v_add_co_u32 v57, vcc_lo, v52, v70
	v_min_f32_e32 v59, 0, v56
	v_add_co_ci_u32_e32 v58, vcc_lo, v53, v71, vcc_lo
	s_mov_b32 s7, 0
	global_store_b32 v[57:58], v59, off
	s_cbranch_execz .LBB67_83
; %bb.81:
	v_mov_b32_e32 v56, s7
	s_branch .LBB67_84
.LBB67_82:
	s_mov_b32 s7, -1
.LBB67_83:
	v_add_co_u32 v57, vcc_lo, v54, v70
	v_add_co_ci_u32_e32 v58, vcc_lo, v55, v71, vcc_lo
	flat_load_b32 v57, v[57:58]
	s_waitcnt vmcnt(0) lgkmcnt(0)
	v_mul_f32_e32 v59, s3, v57
	v_add_co_u32 v57, vcc_lo, v52, v70
	v_add_co_ci_u32_e32 v58, vcc_lo, v53, v71, vcc_lo
	s_delay_alu instid0(VALU_DEP_3)
	v_min_f32_e32 v56, v59, v56
	v_add_co_u32 v59, vcc_lo, v54, v68
	v_add_co_ci_u32_e32 v60, vcc_lo, v55, v69, vcc_lo
	global_store_b32 v[57:58], v56, off
	flat_load_b32 v56, v[59:60]
	s_waitcnt vmcnt(0) lgkmcnt(0)
	v_mul_f32_e32 v56, s3, v56
.LBB67_84:
	v_dual_add_f32 v57, v21, v49 :: v_dual_add_f32 v58, v20, v48
	v_dual_add_f32 v59, v17, v49 :: v_dual_add_f32 v60, v16, v48
	v_dual_add_f32 v61, v23, v51 :: v_dual_add_f32 v62, v22, v50
	s_delay_alu instid0(VALU_DEP_3) | instskip(NEXT) | instid1(VALU_DEP_3)
	v_min3_f32 v57, v58, v57, v121
	v_min3_f32 v58, v60, v59, v122
	v_dual_add_f32 v59, v19, v51 :: v_dual_add_f32 v60, v18, v50
	s_delay_alu instid0(VALU_DEP_1) | instskip(SKIP_1) | instid1(VALU_DEP_1)
	v_min3_f32 v59, v60, v59, v58
	v_min_f32_e32 v61, v62, v61
	v_min3_f32 v60, v56, v61, v57
	s_delay_alu instid0(VALU_DEP_3)
	v_max_f32_e32 v56, v59, v59
	;; [unrolled: 47-line block ×3, first 2 shown]
	v_add_co_u32 v57, vcc_lo, v52, v72
	v_add_co_ci_u32_e32 v58, vcc_lo, v53, v73, vcc_lo
	s_mov_b32 vcc_lo, s2
	global_store_b32 v[57:58], v60, off
	s_cbranch_vccz .LBB67_92
; %bb.90:
	v_add_co_u32 v57, vcc_lo, v52, v78
	v_min_f32_e32 v59, 0, v56
	v_add_co_ci_u32_e32 v58, vcc_lo, v53, v79, vcc_lo
	s_mov_b32 s7, 0
	global_store_b32 v[57:58], v59, off
	s_cbranch_execz .LBB67_93
; %bb.91:
	v_mov_b32_e32 v54, s7
	s_branch .LBB67_94
.LBB67_92:
	s_mov_b32 s7, -1
.LBB67_93:
	v_add_co_u32 v57, vcc_lo, v54, v78
	v_add_co_ci_u32_e32 v58, vcc_lo, v55, v79, vcc_lo
	flat_load_b32 v57, v[57:58]
	s_waitcnt vmcnt(0) lgkmcnt(0)
	v_mul_f32_e32 v59, s3, v57
	v_add_co_u32 v57, vcc_lo, v52, v78
	v_add_co_ci_u32_e32 v58, vcc_lo, v53, v79, vcc_lo
	v_add_co_u32 v54, vcc_lo, v54, v76
	s_delay_alu instid0(VALU_DEP_4)
	v_min_f32_e32 v56, v59, v56
	v_add_co_ci_u32_e32 v55, vcc_lo, v55, v77, vcc_lo
	global_store_b32 v[57:58], v56, off
	flat_load_b32 v54, v[54:55]
	s_waitcnt vmcnt(0) lgkmcnt(0)
	v_mul_f32_e32 v54, s3, v54
.LBB67_94:
	v_dual_add_f32 v55, v33, v45 :: v_dual_add_f32 v56, v32, v44
	v_dual_add_f32 v49, v1, v49 :: v_dual_add_f32 v48, v0, v48
	;; [unrolled: 1-line block ×3, first 2 shown]
	s_delay_alu instid0(VALU_DEP_3) | instskip(SKIP_1) | instid1(VALU_DEP_4)
	v_min3_f32 v55, v56, v55, v123
	v_add_nc_u32_e32 v56, 0x80, v80
	v_min3_f32 v57, v48, v49, v116
	v_dual_add_f32 v58, v35, v47 :: v_dual_add_f32 v59, v34, v46
	v_min_f32_e32 v60, v50, v51
	s_delay_alu instid0(VALU_DEP_4) | instskip(SKIP_1) | instid1(VALU_DEP_3)
	v_mad_i64_i32 v[48:49], null, v56, s8, 0
	v_mad_i64_i32 v[50:51], null, v56, s0, 0
	v_min3_f32 v57, v54, v60, v57
	v_add_co_u32 v54, vcc_lo, v52, v76
	v_min3_f32 v56, v59, v58, v55
	v_lshlrev_b64 v[48:49], 2, v[48:49]
	v_add_co_ci_u32_e32 v55, vcc_lo, v53, v77, vcc_lo
	v_lshlrev_b64 v[50:51], 2, v[50:51]
	s_delay_alu instid0(VALU_DEP_4) | instskip(NEXT) | instid1(VALU_DEP_4)
	v_max_f32_e32 v52, v56, v56
	v_add_co_u32 v48, vcc_lo, s1, v48
	v_add_co_ci_u32_e32 v49, vcc_lo, s6, v49, vcc_lo
	s_delay_alu instid0(VALU_DEP_4)
	v_add_co_u32 v50, vcc_lo, s4, v50
	v_add_co_ci_u32_e32 v51, vcc_lo, s5, v51, vcc_lo
	s_mov_b32 vcc_lo, s2
	global_store_b32 v[54:55], v57, off
	s_cbranch_vccz .LBB67_97
; %bb.95:
	v_add_co_u32 v53, vcc_lo, v48, v66
	v_min_f32_e32 v55, 0, v52
	v_add_co_ci_u32_e32 v54, vcc_lo, v49, v67, vcc_lo
	s_mov_b32 s7, 0
	global_store_b32 v[53:54], v55, off
	s_cbranch_execz .LBB67_98
; %bb.96:
	v_mov_b32_e32 v52, s7
	s_branch .LBB67_99
.LBB67_97:
	s_mov_b32 s7, -1
.LBB67_98:
	v_add_co_u32 v53, vcc_lo, v50, v66
	v_add_co_ci_u32_e32 v54, vcc_lo, v51, v67, vcc_lo
	flat_load_b32 v53, v[53:54]
	s_waitcnt vmcnt(0) lgkmcnt(0)
	v_mul_f32_e32 v55, s3, v53
	v_add_co_u32 v53, vcc_lo, v48, v66
	v_add_co_ci_u32_e32 v54, vcc_lo, v49, v67, vcc_lo
	s_delay_alu instid0(VALU_DEP_3)
	v_min_f32_e32 v52, v55, v52
	v_add_co_u32 v55, vcc_lo, v50, v64
	v_add_co_ci_u32_e32 v56, vcc_lo, v51, v65, vcc_lo
	global_store_b32 v[53:54], v52, off
	flat_load_b32 v52, v[55:56]
	s_waitcnt vmcnt(0) lgkmcnt(0)
	v_mul_f32_e32 v52, s3, v52
.LBB67_99:
	v_dual_add_f32 v53, v29, v45 :: v_dual_add_f32 v54, v28, v44
	v_dual_add_f32 v55, v25, v45 :: v_dual_add_f32 v56, v24, v44
	v_dual_add_f32 v57, v31, v47 :: v_dual_add_f32 v58, v30, v46
	s_delay_alu instid0(VALU_DEP_3) | instskip(NEXT) | instid1(VALU_DEP_3)
	v_min3_f32 v53, v54, v53, v117
	v_min3_f32 v54, v56, v55, v118
	v_dual_add_f32 v55, v27, v47 :: v_dual_add_f32 v56, v26, v46
	s_delay_alu instid0(VALU_DEP_1) | instskip(SKIP_1) | instid1(VALU_DEP_1)
	v_min3_f32 v55, v56, v55, v54
	v_min_f32_e32 v57, v58, v57
	v_min3_f32 v56, v52, v57, v53
	s_delay_alu instid0(VALU_DEP_3)
	v_max_f32_e32 v52, v55, v55
	v_add_co_u32 v53, vcc_lo, v48, v64
	v_add_co_ci_u32_e32 v54, vcc_lo, v49, v65, vcc_lo
	s_mov_b32 vcc_lo, s2
	global_store_b32 v[53:54], v56, off
	s_cbranch_vccz .LBB67_102
; %bb.100:
	v_add_co_u32 v53, vcc_lo, v48, v70
	v_min_f32_e32 v55, 0, v52
	v_add_co_ci_u32_e32 v54, vcc_lo, v49, v71, vcc_lo
	s_mov_b32 s7, 0
	global_store_b32 v[53:54], v55, off
	s_cbranch_execz .LBB67_103
; %bb.101:
	v_mov_b32_e32 v52, s7
	s_branch .LBB67_104
.LBB67_102:
	s_mov_b32 s7, -1
.LBB67_103:
	v_add_co_u32 v53, vcc_lo, v50, v70
	v_add_co_ci_u32_e32 v54, vcc_lo, v51, v71, vcc_lo
	flat_load_b32 v53, v[53:54]
	s_waitcnt vmcnt(0) lgkmcnt(0)
	v_mul_f32_e32 v55, s3, v53
	v_add_co_u32 v53, vcc_lo, v48, v70
	v_add_co_ci_u32_e32 v54, vcc_lo, v49, v71, vcc_lo
	s_delay_alu instid0(VALU_DEP_3)
	v_min_f32_e32 v52, v55, v52
	v_add_co_u32 v55, vcc_lo, v50, v68
	v_add_co_ci_u32_e32 v56, vcc_lo, v51, v69, vcc_lo
	global_store_b32 v[53:54], v52, off
	flat_load_b32 v52, v[55:56]
	s_waitcnt vmcnt(0) lgkmcnt(0)
	v_mul_f32_e32 v52, s3, v52
.LBB67_104:
	v_dual_add_f32 v53, v21, v45 :: v_dual_add_f32 v54, v20, v44
	v_dual_add_f32 v55, v17, v45 :: v_dual_add_f32 v56, v16, v44
	v_dual_add_f32 v57, v23, v47 :: v_dual_add_f32 v58, v22, v46
	s_delay_alu instid0(VALU_DEP_3) | instskip(NEXT) | instid1(VALU_DEP_3)
	v_min3_f32 v53, v54, v53, v114
	v_min3_f32 v54, v56, v55, v115
	v_dual_add_f32 v55, v19, v47 :: v_dual_add_f32 v56, v18, v46
	s_delay_alu instid0(VALU_DEP_1) | instskip(SKIP_1) | instid1(VALU_DEP_1)
	v_min3_f32 v55, v56, v55, v54
	v_min_f32_e32 v57, v58, v57
	v_min3_f32 v56, v52, v57, v53
	s_delay_alu instid0(VALU_DEP_3)
	v_max_f32_e32 v52, v55, v55
	;; [unrolled: 47-line block ×3, first 2 shown]
	v_add_co_u32 v53, vcc_lo, v48, v72
	v_add_co_ci_u32_e32 v54, vcc_lo, v49, v73, vcc_lo
	s_mov_b32 vcc_lo, s2
	global_store_b32 v[53:54], v56, off
	s_cbranch_vccz .LBB67_112
; %bb.110:
	v_add_co_u32 v53, vcc_lo, v48, v78
	v_min_f32_e32 v55, 0, v52
	v_add_co_ci_u32_e32 v54, vcc_lo, v49, v79, vcc_lo
	s_mov_b32 s7, 0
	global_store_b32 v[53:54], v55, off
	s_cbranch_execz .LBB67_113
; %bb.111:
	v_mov_b32_e32 v50, s7
	s_branch .LBB67_114
.LBB67_112:
	s_mov_b32 s7, -1
.LBB67_113:
	v_add_co_u32 v53, vcc_lo, v50, v78
	v_add_co_ci_u32_e32 v54, vcc_lo, v51, v79, vcc_lo
	flat_load_b32 v53, v[53:54]
	s_waitcnt vmcnt(0) lgkmcnt(0)
	v_mul_f32_e32 v55, s3, v53
	v_add_co_u32 v53, vcc_lo, v48, v78
	v_add_co_ci_u32_e32 v54, vcc_lo, v49, v79, vcc_lo
	v_add_co_u32 v50, vcc_lo, v50, v76
	s_delay_alu instid0(VALU_DEP_4)
	v_min_f32_e32 v52, v55, v52
	v_add_co_ci_u32_e32 v51, vcc_lo, v51, v77, vcc_lo
	global_store_b32 v[53:54], v52, off
	flat_load_b32 v50, v[50:51]
	s_waitcnt vmcnt(0) lgkmcnt(0)
	v_mul_f32_e32 v50, s3, v50
.LBB67_114:
	v_dual_add_f32 v51, v33, v41 :: v_dual_add_f32 v52, v32, v40
	v_dual_add_f32 v45, v1, v45 :: v_dual_add_f32 v44, v0, v44
	;; [unrolled: 1-line block ×3, first 2 shown]
	s_delay_alu instid0(VALU_DEP_3) | instskip(SKIP_1) | instid1(VALU_DEP_4)
	v_min3_f32 v51, v52, v51, v111
	v_add_nc_u32_e32 v52, 0xa0, v80
	v_min3_f32 v53, v44, v45, v110
	v_dual_add_f32 v54, v35, v43 :: v_dual_add_f32 v55, v34, v42
	v_min_f32_e32 v56, v46, v47
	s_delay_alu instid0(VALU_DEP_4) | instskip(SKIP_1) | instid1(VALU_DEP_3)
	v_mad_i64_i32 v[44:45], null, v52, s8, 0
	v_mad_i64_i32 v[46:47], null, v52, s0, 0
	v_min3_f32 v53, v50, v56, v53
	v_add_co_u32 v50, vcc_lo, v48, v76
	v_min3_f32 v52, v55, v54, v51
	v_lshlrev_b64 v[44:45], 2, v[44:45]
	v_add_co_ci_u32_e32 v51, vcc_lo, v49, v77, vcc_lo
	v_lshlrev_b64 v[46:47], 2, v[46:47]
	s_delay_alu instid0(VALU_DEP_4) | instskip(NEXT) | instid1(VALU_DEP_4)
	v_max_f32_e32 v48, v52, v52
	v_add_co_u32 v44, vcc_lo, s1, v44
	v_add_co_ci_u32_e32 v45, vcc_lo, s6, v45, vcc_lo
	s_delay_alu instid0(VALU_DEP_4)
	v_add_co_u32 v46, vcc_lo, s4, v46
	v_add_co_ci_u32_e32 v47, vcc_lo, s5, v47, vcc_lo
	s_mov_b32 vcc_lo, s2
	global_store_b32 v[50:51], v53, off
	s_cbranch_vccz .LBB67_117
; %bb.115:
	v_add_co_u32 v49, vcc_lo, v44, v66
	v_min_f32_e32 v51, 0, v48
	v_add_co_ci_u32_e32 v50, vcc_lo, v45, v67, vcc_lo
	s_mov_b32 s7, 0
	global_store_b32 v[49:50], v51, off
	s_cbranch_execz .LBB67_118
; %bb.116:
	v_mov_b32_e32 v48, s7
	s_branch .LBB67_119
.LBB67_117:
	s_mov_b32 s7, -1
.LBB67_118:
	v_add_co_u32 v49, vcc_lo, v46, v66
	v_add_co_ci_u32_e32 v50, vcc_lo, v47, v67, vcc_lo
	flat_load_b32 v49, v[49:50]
	s_waitcnt vmcnt(0) lgkmcnt(0)
	v_mul_f32_e32 v51, s3, v49
	v_add_co_u32 v49, vcc_lo, v44, v66
	v_add_co_ci_u32_e32 v50, vcc_lo, v45, v67, vcc_lo
	s_delay_alu instid0(VALU_DEP_3)
	v_min_f32_e32 v48, v51, v48
	v_add_co_u32 v51, vcc_lo, v46, v64
	v_add_co_ci_u32_e32 v52, vcc_lo, v47, v65, vcc_lo
	global_store_b32 v[49:50], v48, off
	flat_load_b32 v48, v[51:52]
	s_waitcnt vmcnt(0) lgkmcnt(0)
	v_mul_f32_e32 v48, s3, v48
.LBB67_119:
	v_dual_add_f32 v49, v29, v41 :: v_dual_add_f32 v50, v28, v40
	v_dual_add_f32 v51, v25, v41 :: v_dual_add_f32 v52, v24, v40
	v_dual_add_f32 v53, v31, v43 :: v_dual_add_f32 v54, v30, v42
	s_delay_alu instid0(VALU_DEP_3) | instskip(NEXT) | instid1(VALU_DEP_3)
	v_min3_f32 v49, v50, v49, v108
	v_min3_f32 v50, v52, v51, v109
	v_dual_add_f32 v51, v27, v43 :: v_dual_add_f32 v52, v26, v42
	s_delay_alu instid0(VALU_DEP_1) | instskip(SKIP_1) | instid1(VALU_DEP_1)
	v_min3_f32 v51, v52, v51, v50
	v_min_f32_e32 v53, v54, v53
	v_min3_f32 v52, v48, v53, v49
	s_delay_alu instid0(VALU_DEP_3)
	v_max_f32_e32 v48, v51, v51
	v_add_co_u32 v49, vcc_lo, v44, v64
	v_add_co_ci_u32_e32 v50, vcc_lo, v45, v65, vcc_lo
	s_mov_b32 vcc_lo, s2
	global_store_b32 v[49:50], v52, off
	s_cbranch_vccz .LBB67_122
; %bb.120:
	v_add_co_u32 v49, vcc_lo, v44, v70
	v_min_f32_e32 v51, 0, v48
	v_add_co_ci_u32_e32 v50, vcc_lo, v45, v71, vcc_lo
	s_mov_b32 s7, 0
	global_store_b32 v[49:50], v51, off
	s_cbranch_execz .LBB67_123
; %bb.121:
	v_mov_b32_e32 v48, s7
	s_branch .LBB67_124
.LBB67_122:
	s_mov_b32 s7, -1
.LBB67_123:
	v_add_co_u32 v49, vcc_lo, v46, v70
	v_add_co_ci_u32_e32 v50, vcc_lo, v47, v71, vcc_lo
	flat_load_b32 v49, v[49:50]
	s_waitcnt vmcnt(0) lgkmcnt(0)
	v_mul_f32_e32 v51, s3, v49
	v_add_co_u32 v49, vcc_lo, v44, v70
	v_add_co_ci_u32_e32 v50, vcc_lo, v45, v71, vcc_lo
	s_delay_alu instid0(VALU_DEP_3)
	v_min_f32_e32 v48, v51, v48
	v_add_co_u32 v51, vcc_lo, v46, v68
	v_add_co_ci_u32_e32 v52, vcc_lo, v47, v69, vcc_lo
	global_store_b32 v[49:50], v48, off
	flat_load_b32 v48, v[51:52]
	s_waitcnt vmcnt(0) lgkmcnt(0)
	v_mul_f32_e32 v48, s3, v48
.LBB67_124:
	v_dual_add_f32 v49, v21, v41 :: v_dual_add_f32 v50, v20, v40
	v_dual_add_f32 v51, v17, v41 :: v_dual_add_f32 v52, v16, v40
	v_dual_add_f32 v53, v23, v43 :: v_dual_add_f32 v54, v22, v42
	s_delay_alu instid0(VALU_DEP_3) | instskip(NEXT) | instid1(VALU_DEP_3)
	v_min3_f32 v49, v50, v49, v106
	v_min3_f32 v50, v52, v51, v107
	v_dual_add_f32 v51, v19, v43 :: v_dual_add_f32 v52, v18, v42
	s_delay_alu instid0(VALU_DEP_1) | instskip(SKIP_1) | instid1(VALU_DEP_1)
	v_min3_f32 v51, v52, v51, v50
	v_min_f32_e32 v53, v54, v53
	v_min3_f32 v52, v48, v53, v49
	s_delay_alu instid0(VALU_DEP_3)
	v_max_f32_e32 v48, v51, v51
	;; [unrolled: 47-line block ×3, first 2 shown]
	v_add_co_u32 v49, vcc_lo, v44, v72
	v_add_co_ci_u32_e32 v50, vcc_lo, v45, v73, vcc_lo
	s_mov_b32 vcc_lo, s2
	global_store_b32 v[49:50], v52, off
	s_cbranch_vccz .LBB67_132
; %bb.130:
	v_add_co_u32 v49, vcc_lo, v44, v78
	v_min_f32_e32 v51, 0, v48
	v_add_co_ci_u32_e32 v50, vcc_lo, v45, v79, vcc_lo
	s_mov_b32 s7, 0
	global_store_b32 v[49:50], v51, off
	s_cbranch_execz .LBB67_133
; %bb.131:
	v_mov_b32_e32 v46, s7
	s_branch .LBB67_134
.LBB67_132:
	s_mov_b32 s7, -1
.LBB67_133:
	v_add_co_u32 v49, vcc_lo, v46, v78
	v_add_co_ci_u32_e32 v50, vcc_lo, v47, v79, vcc_lo
	flat_load_b32 v49, v[49:50]
	s_waitcnt vmcnt(0) lgkmcnt(0)
	v_mul_f32_e32 v51, s3, v49
	v_add_co_u32 v49, vcc_lo, v44, v78
	v_add_co_ci_u32_e32 v50, vcc_lo, v45, v79, vcc_lo
	v_add_co_u32 v46, vcc_lo, v46, v76
	s_delay_alu instid0(VALU_DEP_4)
	v_min_f32_e32 v48, v51, v48
	v_add_co_ci_u32_e32 v47, vcc_lo, v47, v77, vcc_lo
	global_store_b32 v[49:50], v48, off
	flat_load_b32 v46, v[46:47]
	s_waitcnt vmcnt(0) lgkmcnt(0)
	v_mul_f32_e32 v46, s3, v46
.LBB67_134:
	v_dual_add_f32 v47, v33, v37 :: v_dual_add_f32 v48, v32, v36
	v_dual_add_f32 v41, v1, v41 :: v_dual_add_f32 v40, v0, v40
	;; [unrolled: 1-line block ×3, first 2 shown]
	s_delay_alu instid0(VALU_DEP_3) | instskip(SKIP_1) | instid1(VALU_DEP_4)
	v_min3_f32 v47, v48, v47, v103
	v_add_nc_u32_e32 v48, 0xc0, v80
	v_min3_f32 v49, v40, v41, v102
	v_dual_add_f32 v50, v35, v39 :: v_dual_add_f32 v51, v34, v38
	v_min_f32_e32 v52, v42, v43
	s_delay_alu instid0(VALU_DEP_4) | instskip(SKIP_1) | instid1(VALU_DEP_3)
	v_mad_i64_i32 v[40:41], null, v48, s8, 0
	v_mad_i64_i32 v[42:43], null, v48, s0, 0
	v_min3_f32 v49, v46, v52, v49
	v_add_co_u32 v46, vcc_lo, v44, v76
	v_min3_f32 v48, v51, v50, v47
	v_lshlrev_b64 v[40:41], 2, v[40:41]
	v_add_co_ci_u32_e32 v47, vcc_lo, v45, v77, vcc_lo
	v_lshlrev_b64 v[42:43], 2, v[42:43]
	s_delay_alu instid0(VALU_DEP_4) | instskip(NEXT) | instid1(VALU_DEP_4)
	v_max_f32_e32 v44, v48, v48
	v_add_co_u32 v40, vcc_lo, s1, v40
	v_add_co_ci_u32_e32 v41, vcc_lo, s6, v41, vcc_lo
	s_delay_alu instid0(VALU_DEP_4)
	v_add_co_u32 v42, vcc_lo, s4, v42
	v_add_co_ci_u32_e32 v43, vcc_lo, s5, v43, vcc_lo
	s_mov_b32 vcc_lo, s2
	global_store_b32 v[46:47], v49, off
	s_cbranch_vccz .LBB67_137
; %bb.135:
	v_add_co_u32 v45, vcc_lo, v40, v66
	v_min_f32_e32 v47, 0, v44
	v_add_co_ci_u32_e32 v46, vcc_lo, v41, v67, vcc_lo
	s_mov_b32 s7, 0
	global_store_b32 v[45:46], v47, off
	s_cbranch_execz .LBB67_138
; %bb.136:
	v_mov_b32_e32 v44, s7
	s_branch .LBB67_139
.LBB67_137:
	s_mov_b32 s7, -1
.LBB67_138:
	v_add_co_u32 v45, vcc_lo, v42, v66
	v_add_co_ci_u32_e32 v46, vcc_lo, v43, v67, vcc_lo
	flat_load_b32 v45, v[45:46]
	s_waitcnt vmcnt(0) lgkmcnt(0)
	v_mul_f32_e32 v47, s3, v45
	v_add_co_u32 v45, vcc_lo, v40, v66
	v_add_co_ci_u32_e32 v46, vcc_lo, v41, v67, vcc_lo
	s_delay_alu instid0(VALU_DEP_3)
	v_min_f32_e32 v44, v47, v44
	v_add_co_u32 v47, vcc_lo, v42, v64
	v_add_co_ci_u32_e32 v48, vcc_lo, v43, v65, vcc_lo
	global_store_b32 v[45:46], v44, off
	flat_load_b32 v44, v[47:48]
	s_waitcnt vmcnt(0) lgkmcnt(0)
	v_mul_f32_e32 v44, s3, v44
.LBB67_139:
	v_dual_add_f32 v45, v29, v37 :: v_dual_add_f32 v46, v28, v36
	v_dual_add_f32 v47, v25, v37 :: v_dual_add_f32 v48, v24, v36
	v_dual_add_f32 v49, v31, v39 :: v_dual_add_f32 v50, v30, v38
	s_delay_alu instid0(VALU_DEP_3) | instskip(NEXT) | instid1(VALU_DEP_3)
	v_min3_f32 v45, v46, v45, v100
	v_min3_f32 v46, v48, v47, v101
	v_dual_add_f32 v47, v27, v39 :: v_dual_add_f32 v48, v26, v38
	s_delay_alu instid0(VALU_DEP_1) | instskip(SKIP_1) | instid1(VALU_DEP_1)
	v_min3_f32 v47, v48, v47, v46
	v_min_f32_e32 v49, v50, v49
	v_min3_f32 v48, v44, v49, v45
	s_delay_alu instid0(VALU_DEP_3)
	v_max_f32_e32 v44, v47, v47
	v_add_co_u32 v45, vcc_lo, v40, v64
	v_add_co_ci_u32_e32 v46, vcc_lo, v41, v65, vcc_lo
	s_mov_b32 vcc_lo, s2
	global_store_b32 v[45:46], v48, off
	s_cbranch_vccz .LBB67_142
; %bb.140:
	v_add_co_u32 v45, vcc_lo, v40, v70
	v_min_f32_e32 v47, 0, v44
	v_add_co_ci_u32_e32 v46, vcc_lo, v41, v71, vcc_lo
	s_mov_b32 s7, 0
	global_store_b32 v[45:46], v47, off
	s_cbranch_execz .LBB67_143
; %bb.141:
	v_mov_b32_e32 v44, s7
	s_branch .LBB67_144
.LBB67_142:
	s_mov_b32 s7, -1
.LBB67_143:
	v_add_co_u32 v45, vcc_lo, v42, v70
	v_add_co_ci_u32_e32 v46, vcc_lo, v43, v71, vcc_lo
	flat_load_b32 v45, v[45:46]
	s_waitcnt vmcnt(0) lgkmcnt(0)
	v_mul_f32_e32 v47, s3, v45
	v_add_co_u32 v45, vcc_lo, v40, v70
	v_add_co_ci_u32_e32 v46, vcc_lo, v41, v71, vcc_lo
	s_delay_alu instid0(VALU_DEP_3)
	v_min_f32_e32 v44, v47, v44
	v_add_co_u32 v47, vcc_lo, v42, v68
	v_add_co_ci_u32_e32 v48, vcc_lo, v43, v69, vcc_lo
	global_store_b32 v[45:46], v44, off
	flat_load_b32 v44, v[47:48]
	s_waitcnt vmcnt(0) lgkmcnt(0)
	v_mul_f32_e32 v44, s3, v44
.LBB67_144:
	v_dual_add_f32 v45, v21, v37 :: v_dual_add_f32 v46, v20, v36
	v_dual_add_f32 v47, v17, v37 :: v_dual_add_f32 v48, v16, v36
	v_dual_add_f32 v49, v23, v39 :: v_dual_add_f32 v50, v22, v38
	s_delay_alu instid0(VALU_DEP_3) | instskip(NEXT) | instid1(VALU_DEP_3)
	v_min3_f32 v45, v46, v45, v97
	v_min3_f32 v46, v48, v47, v98
	v_dual_add_f32 v47, v19, v39 :: v_dual_add_f32 v48, v18, v38
	s_delay_alu instid0(VALU_DEP_1) | instskip(SKIP_1) | instid1(VALU_DEP_1)
	v_min3_f32 v47, v48, v47, v46
	v_min_f32_e32 v49, v50, v49
	v_min3_f32 v48, v44, v49, v45
	s_delay_alu instid0(VALU_DEP_3)
	v_max_f32_e32 v44, v47, v47
	;; [unrolled: 47-line block ×3, first 2 shown]
	v_add_co_u32 v45, vcc_lo, v40, v72
	v_add_co_ci_u32_e32 v46, vcc_lo, v41, v73, vcc_lo
	s_mov_b32 vcc_lo, s2
	global_store_b32 v[45:46], v48, off
	s_cbranch_vccz .LBB67_152
; %bb.150:
	v_add_co_u32 v45, vcc_lo, v40, v78
	v_min_f32_e32 v47, 0, v44
	v_add_co_ci_u32_e32 v46, vcc_lo, v41, v79, vcc_lo
	s_mov_b32 s7, 0
	global_store_b32 v[45:46], v47, off
	s_cbranch_execz .LBB67_153
; %bb.151:
	v_mov_b32_e32 v42, s7
	s_branch .LBB67_154
.LBB67_152:
	s_mov_b32 s7, -1
.LBB67_153:
	v_add_co_u32 v45, vcc_lo, v42, v78
	v_add_co_ci_u32_e32 v46, vcc_lo, v43, v79, vcc_lo
	flat_load_b32 v45, v[45:46]
	s_waitcnt vmcnt(0) lgkmcnt(0)
	v_mul_f32_e32 v47, s3, v45
	v_add_co_u32 v45, vcc_lo, v40, v78
	v_add_co_ci_u32_e32 v46, vcc_lo, v41, v79, vcc_lo
	v_add_co_u32 v42, vcc_lo, v42, v76
	s_delay_alu instid0(VALU_DEP_4)
	v_min_f32_e32 v44, v47, v44
	v_add_co_ci_u32_e32 v43, vcc_lo, v43, v77, vcc_lo
	global_store_b32 v[45:46], v44, off
	flat_load_b32 v42, v[42:43]
	s_waitcnt vmcnt(0) lgkmcnt(0)
	v_mul_f32_e32 v42, s3, v42
.LBB67_154:
	v_dual_add_f32 v37, v1, v37 :: v_dual_add_f32 v36, v0, v36
	s_waitcnt lgkmcnt(0)
	v_dual_add_f32 v33, v33, v5 :: v_dual_add_f32 v32, v32, v4
	v_dual_add_f32 v38, v2, v38 :: v_dual_add_nc_u32 v43, 0xe0, v80
	s_delay_alu instid0(VALU_DEP_3) | instskip(SKIP_1) | instid1(VALU_DEP_4)
	v_min3_f32 v36, v36, v37, v93
	v_add_f32_e32 v39, v3, v39
	v_min3_f32 v37, v32, v33, v94
	s_delay_alu instid0(VALU_DEP_4) | instskip(SKIP_3) | instid1(VALU_DEP_4)
	v_mad_i64_i32 v[32:33], null, v43, s8, 0
	v_dual_add_f32 v44, v35, v7 :: v_dual_add_f32 v45, v34, v6
	v_mad_i64_i32 v[34:35], null, v43, s0, 0
	v_min_f32_e32 v38, v38, v39
	v_lshlrev_b64 v[32:33], 2, v[32:33]
	s_delay_alu instid0(VALU_DEP_4)
	v_min3_f32 v39, v45, v44, v37
	v_add_co_u32 v37, vcc_lo, v40, v76
	v_lshlrev_b64 v[34:35], 2, v[34:35]
	v_min3_f32 v42, v42, v38, v36
	v_add_co_ci_u32_e32 v38, vcc_lo, v41, v77, vcc_lo
	v_add_co_u32 v32, vcc_lo, s1, v32
	v_add_co_ci_u32_e32 v33, vcc_lo, s6, v33, vcc_lo
	v_add_co_u32 v34, vcc_lo, s4, v34
	v_add_co_ci_u32_e32 v35, vcc_lo, s5, v35, vcc_lo
	v_max_f32_e32 v36, v39, v39
	s_mov_b32 vcc_lo, s2
	global_store_b32 v[37:38], v42, off
	s_cbranch_vccz .LBB67_157
; %bb.155:
	v_add_co_u32 v37, vcc_lo, v32, v66
	v_min_f32_e32 v39, 0, v36
	v_add_co_ci_u32_e32 v38, vcc_lo, v33, v67, vcc_lo
	s_mov_b32 s0, 0
	global_store_b32 v[37:38], v39, off
	s_cbranch_execz .LBB67_158
; %bb.156:
	v_mov_b32_e32 v36, s0
	s_branch .LBB67_159
.LBB67_157:
	s_mov_b32 s0, -1
.LBB67_158:
	v_add_co_u32 v37, vcc_lo, v34, v66
	v_add_co_ci_u32_e32 v38, vcc_lo, v35, v67, vcc_lo
	flat_load_b32 v37, v[37:38]
	s_waitcnt vmcnt(0) lgkmcnt(0)
	v_mul_f32_e32 v39, s3, v37
	v_add_co_u32 v37, vcc_lo, v32, v66
	v_add_co_ci_u32_e32 v38, vcc_lo, v33, v67, vcc_lo
	s_delay_alu instid0(VALU_DEP_3)
	v_min_f32_e32 v36, v39, v36
	v_add_co_u32 v39, vcc_lo, v34, v64
	v_add_co_ci_u32_e32 v40, vcc_lo, v35, v65, vcc_lo
	global_store_b32 v[37:38], v36, off
	flat_load_b32 v36, v[39:40]
	s_waitcnt vmcnt(0) lgkmcnt(0)
	v_mul_f32_e32 v36, s3, v36
.LBB67_159:
	v_dual_add_f32 v25, v25, v5 :: v_dual_add_f32 v24, v24, v4
	v_dual_add_f32 v29, v29, v5 :: v_dual_add_f32 v28, v28, v4
	v_dual_add_f32 v31, v31, v7 :: v_dual_add_f32 v30, v30, v6
	s_delay_alu instid0(VALU_DEP_3) | instskip(SKIP_1) | instid1(VALU_DEP_4)
	v_min3_f32 v24, v24, v25, v92
	v_dual_add_f32 v25, v27, v7 :: v_dual_add_f32 v26, v26, v6
	v_min3_f32 v28, v28, v29, v91
	s_delay_alu instid0(VALU_DEP_2) | instskip(SKIP_3) | instid1(VALU_DEP_4)
	v_min3_f32 v24, v26, v25, v24
	v_min_f32_e32 v27, v30, v31
	v_add_co_u32 v25, vcc_lo, v32, v64
	v_add_co_ci_u32_e32 v26, vcc_lo, v33, v65, vcc_lo
	v_max_f32_e32 v24, v24, v24
	s_delay_alu instid0(VALU_DEP_4)
	v_min3_f32 v27, v36, v27, v28
	s_mov_b32 vcc_lo, s2
	global_store_b32 v[25:26], v27, off
	s_cbranch_vccz .LBB67_162
; %bb.160:
	v_add_co_u32 v25, vcc_lo, v32, v70
	v_min_f32_e32 v27, 0, v24
	v_add_co_ci_u32_e32 v26, vcc_lo, v33, v71, vcc_lo
	s_mov_b32 s0, 0
	global_store_b32 v[25:26], v27, off
	s_cbranch_execz .LBB67_163
; %bb.161:
	v_mov_b32_e32 v24, s0
	s_branch .LBB67_164
.LBB67_162:
	s_mov_b32 s0, -1
.LBB67_163:
	v_add_co_u32 v25, vcc_lo, v34, v70
	v_add_co_ci_u32_e32 v26, vcc_lo, v35, v71, vcc_lo
	flat_load_b32 v25, v[25:26]
	s_waitcnt vmcnt(0) lgkmcnt(0)
	v_mul_f32_e32 v27, s3, v25
	v_add_co_u32 v25, vcc_lo, v32, v70
	v_add_co_ci_u32_e32 v26, vcc_lo, v33, v71, vcc_lo
	s_delay_alu instid0(VALU_DEP_3)
	v_min_f32_e32 v24, v27, v24
	v_add_co_u32 v27, vcc_lo, v34, v68
	v_add_co_ci_u32_e32 v28, vcc_lo, v35, v69, vcc_lo
	global_store_b32 v[25:26], v24, off
	flat_load_b32 v24, v[27:28]
	s_waitcnt vmcnt(0) lgkmcnt(0)
	v_mul_f32_e32 v24, s3, v24
.LBB67_164:
	v_dual_add_f32 v17, v17, v5 :: v_dual_add_f32 v16, v16, v4
	v_dual_add_f32 v21, v21, v5 :: v_dual_add_f32 v20, v20, v4
	v_dual_add_f32 v23, v23, v7 :: v_dual_add_f32 v22, v22, v6
	s_delay_alu instid0(VALU_DEP_3) | instskip(SKIP_1) | instid1(VALU_DEP_4)
	v_min3_f32 v16, v16, v17, v90
	v_dual_add_f32 v17, v19, v7 :: v_dual_add_f32 v18, v18, v6
	v_min3_f32 v20, v20, v21, v89
	s_delay_alu instid0(VALU_DEP_2) | instskip(SKIP_3) | instid1(VALU_DEP_4)
	v_min3_f32 v16, v18, v17, v16
	v_min_f32_e32 v19, v22, v23
	v_add_co_u32 v17, vcc_lo, v32, v68
	v_add_co_ci_u32_e32 v18, vcc_lo, v33, v69, vcc_lo
	v_max_f32_e32 v16, v16, v16
	s_delay_alu instid0(VALU_DEP_4)
	v_min3_f32 v19, v24, v19, v20
	;; [unrolled: 47-line block ×3, first 2 shown]
	s_mov_b32 vcc_lo, s2
	global_store_b32 v[9:10], v11, off
	s_cbranch_vccz .LBB67_172
; %bb.170:
	v_add_co_u32 v9, vcc_lo, v32, v78
	v_min_f32_e32 v11, 0, v8
	v_add_co_ci_u32_e32 v10, vcc_lo, v33, v79, vcc_lo
	s_mov_b32 s0, 0
	global_store_b32 v[9:10], v11, off
	s_cbranch_execz .LBB67_173
; %bb.171:
	v_mov_b32_e32 v8, s0
	s_branch .LBB67_174
.LBB67_172:
	s_mov_b32 s0, -1
.LBB67_173:
	v_add_co_u32 v9, vcc_lo, v34, v78
	v_add_co_ci_u32_e32 v10, vcc_lo, v35, v79, vcc_lo
	flat_load_b32 v9, v[9:10]
	s_waitcnt vmcnt(0) lgkmcnt(0)
	v_mul_f32_e32 v11, s3, v9
	v_add_co_u32 v9, vcc_lo, v32, v78
	v_add_co_ci_u32_e32 v10, vcc_lo, v33, v79, vcc_lo
	s_delay_alu instid0(VALU_DEP_3)
	v_min_f32_e32 v8, v11, v8
	v_add_co_u32 v11, vcc_lo, v34, v76
	v_add_co_ci_u32_e32 v12, vcc_lo, v35, v77, vcc_lo
	global_store_b32 v[9:10], v8, off
	flat_load_b32 v8, v[11:12]
	s_waitcnt vmcnt(0) lgkmcnt(0)
	v_mul_f32_e32 v8, s3, v8
.LBB67_174:
	v_dual_add_f32 v3, v3, v7 :: v_dual_add_f32 v2, v2, v6
	v_dual_add_f32 v1, v1, v5 :: v_dual_add_f32 v0, v0, v4
	s_delay_alu instid0(VALU_DEP_2) | instskip(NEXT) | instid1(VALU_DEP_2)
	v_min_f32_e32 v2, v2, v3
	v_min3_f32 v0, v0, v1, v99
	s_delay_alu instid0(VALU_DEP_1)
	v_min3_f32 v2, v8, v2, v0
	v_add_co_u32 v0, vcc_lo, v32, v76
	v_add_co_ci_u32_e32 v1, vcc_lo, v33, v77, vcc_lo
	global_store_b32 v[0:1], v2, off
	s_nop 0
	s_sendmsg sendmsg(MSG_DEALLOC_VGPRS)
	s_endpgm
	.section	.rodata,"a",@progbits
	.p2align	6, 0x0
	.amdhsa_kernel _ZN12_GLOBAL__N_120geam_min_plus_kernelIf15HIP_vector_typeIfLj2EEfLi8ELi32ELi64ELi256ELi4ELi64ELi4ELi64ELi4ELc78ELc84ELb1ELb0ELb1EfKffEEviiiT16_PT17_ilS6_ilS4_S6_ilPT18_ili26rocblas_geam_ex_operation_
		.amdhsa_group_segment_fixed_size 10240
		.amdhsa_private_segment_fixed_size 80
		.amdhsa_kernarg_size 128
		.amdhsa_user_sgpr_count 14
		.amdhsa_user_sgpr_dispatch_ptr 0
		.amdhsa_user_sgpr_queue_ptr 0
		.amdhsa_user_sgpr_kernarg_segment_ptr 1
		.amdhsa_user_sgpr_dispatch_id 0
		.amdhsa_user_sgpr_private_segment_size 0
		.amdhsa_wavefront_size32 1
		.amdhsa_uses_dynamic_stack 0
		.amdhsa_enable_private_segment 1
		.amdhsa_system_sgpr_workgroup_id_x 1
		.amdhsa_system_sgpr_workgroup_id_y 0
		.amdhsa_system_sgpr_workgroup_id_z 1
		.amdhsa_system_sgpr_workgroup_info 0
		.amdhsa_system_vgpr_workitem_id 1
		.amdhsa_next_free_vgpr 256
		.amdhsa_next_free_sgpr 23
		.amdhsa_reserve_vcc 1
		.amdhsa_float_round_mode_32 0
		.amdhsa_float_round_mode_16_64 0
		.amdhsa_float_denorm_mode_32 3
		.amdhsa_float_denorm_mode_16_64 3
		.amdhsa_dx10_clamp 1
		.amdhsa_ieee_mode 1
		.amdhsa_fp16_overflow 0
		.amdhsa_workgroup_processor_mode 1
		.amdhsa_memory_ordered 1
		.amdhsa_forward_progress 0
		.amdhsa_shared_vgpr_count 0
		.amdhsa_exception_fp_ieee_invalid_op 0
		.amdhsa_exception_fp_denorm_src 0
		.amdhsa_exception_fp_ieee_div_zero 0
		.amdhsa_exception_fp_ieee_overflow 0
		.amdhsa_exception_fp_ieee_underflow 0
		.amdhsa_exception_fp_ieee_inexact 0
		.amdhsa_exception_int_div_zero 0
	.end_amdhsa_kernel
	.section	.text._ZN12_GLOBAL__N_120geam_min_plus_kernelIf15HIP_vector_typeIfLj2EEfLi8ELi32ELi64ELi256ELi4ELi64ELi4ELi64ELi4ELc78ELc84ELb1ELb0ELb1EfKffEEviiiT16_PT17_ilS6_ilS4_S6_ilPT18_ili26rocblas_geam_ex_operation_,"axG",@progbits,_ZN12_GLOBAL__N_120geam_min_plus_kernelIf15HIP_vector_typeIfLj2EEfLi8ELi32ELi64ELi256ELi4ELi64ELi4ELi64ELi4ELc78ELc84ELb1ELb0ELb1EfKffEEviiiT16_PT17_ilS6_ilS4_S6_ilPT18_ili26rocblas_geam_ex_operation_,comdat
.Lfunc_end67:
	.size	_ZN12_GLOBAL__N_120geam_min_plus_kernelIf15HIP_vector_typeIfLj2EEfLi8ELi32ELi64ELi256ELi4ELi64ELi4ELi64ELi4ELc78ELc84ELb1ELb0ELb1EfKffEEviiiT16_PT17_ilS6_ilS4_S6_ilPT18_ili26rocblas_geam_ex_operation_, .Lfunc_end67-_ZN12_GLOBAL__N_120geam_min_plus_kernelIf15HIP_vector_typeIfLj2EEfLi8ELi32ELi64ELi256ELi4ELi64ELi4ELi64ELi4ELc78ELc84ELb1ELb0ELb1EfKffEEviiiT16_PT17_ilS6_ilS4_S6_ilPT18_ili26rocblas_geam_ex_operation_
                                        ; -- End function
	.section	.AMDGPU.csdata,"",@progbits
; Kernel info:
; codeLenInByte = 17872
; NumSgprs: 25
; NumVgprs: 256
; ScratchSize: 80
; MemoryBound: 0
; FloatMode: 240
; IeeeMode: 1
; LDSByteSize: 10240 bytes/workgroup (compile time only)
; SGPRBlocks: 3
; VGPRBlocks: 31
; NumSGPRsForWavesPerEU: 25
; NumVGPRsForWavesPerEU: 256
; Occupancy: 5
; WaveLimiterHint : 1
; COMPUTE_PGM_RSRC2:SCRATCH_EN: 1
; COMPUTE_PGM_RSRC2:USER_SGPR: 14
; COMPUTE_PGM_RSRC2:TRAP_HANDLER: 0
; COMPUTE_PGM_RSRC2:TGID_X_EN: 1
; COMPUTE_PGM_RSRC2:TGID_Y_EN: 0
; COMPUTE_PGM_RSRC2:TGID_Z_EN: 1
; COMPUTE_PGM_RSRC2:TIDIG_COMP_CNT: 1
	.section	.text._ZN12_GLOBAL__N_120geam_min_plus_kernelIf15HIP_vector_typeIfLj2EEfLi8ELi32ELi64ELi256ELi4ELi64ELi4ELi64ELi4ELc78ELc84ELb0ELb0ELb1EfKffEEviiiT16_PT17_ilS6_ilS4_S6_ilPT18_ili26rocblas_geam_ex_operation_,"axG",@progbits,_ZN12_GLOBAL__N_120geam_min_plus_kernelIf15HIP_vector_typeIfLj2EEfLi8ELi32ELi64ELi256ELi4ELi64ELi4ELi64ELi4ELc78ELc84ELb0ELb0ELb1EfKffEEviiiT16_PT17_ilS6_ilS4_S6_ilPT18_ili26rocblas_geam_ex_operation_,comdat
	.globl	_ZN12_GLOBAL__N_120geam_min_plus_kernelIf15HIP_vector_typeIfLj2EEfLi8ELi32ELi64ELi256ELi4ELi64ELi4ELi64ELi4ELc78ELc84ELb0ELb0ELb1EfKffEEviiiT16_PT17_ilS6_ilS4_S6_ilPT18_ili26rocblas_geam_ex_operation_ ; -- Begin function _ZN12_GLOBAL__N_120geam_min_plus_kernelIf15HIP_vector_typeIfLj2EEfLi8ELi32ELi64ELi256ELi4ELi64ELi4ELi64ELi4ELc78ELc84ELb0ELb0ELb1EfKffEEviiiT16_PT17_ilS6_ilS4_S6_ilPT18_ili26rocblas_geam_ex_operation_
	.p2align	8
	.type	_ZN12_GLOBAL__N_120geam_min_plus_kernelIf15HIP_vector_typeIfLj2EEfLi8ELi32ELi64ELi256ELi4ELi64ELi4ELi64ELi4ELc78ELc84ELb0ELb0ELb1EfKffEEviiiT16_PT17_ilS6_ilS4_S6_ilPT18_ili26rocblas_geam_ex_operation_,@function
_ZN12_GLOBAL__N_120geam_min_plus_kernelIf15HIP_vector_typeIfLj2EEfLi8ELi32ELi64ELi256ELi4ELi64ELi4ELi64ELi4ELc78ELc84ELb0ELb0ELb1EfKffEEviiiT16_PT17_ilS6_ilS4_S6_ilPT18_ili26rocblas_geam_ex_operation_: ; @_ZN12_GLOBAL__N_120geam_min_plus_kernelIf15HIP_vector_typeIfLj2EEfLi8ELi32ELi64ELi256ELi4ELi64ELi4ELi64ELi4ELc78ELc84ELb0ELb0ELb1EfKffEEviiiT16_PT17_ilS6_ilS4_S6_ilPT18_ili26rocblas_geam_ex_operation_
; %bb.0:
	s_clause 0x1
	s_load_b64 s[12:13], s[0:1], 0x8
	s_load_b128 s[4:7], s[0:1], 0x20
	s_waitcnt lgkmcnt(0)
	v_cmp_eq_f32_e64 s2, s13, 0
	s_delay_alu instid0(VALU_DEP_1)
	s_and_b32 vcc_lo, exec_lo, s2
	s_cbranch_vccnz .LBB68_3
; %bb.1:
	s_load_b64 s[8:9], s[0:1], 0x10
	s_mul_i32 s3, s15, s5
	s_mul_hi_u32 s5, s15, s4
	s_mul_i32 s4, s15, s4
	s_add_i32 s5, s5, s3
	s_delay_alu instid0(SALU_CYCLE_1)
	s_lshl_b64 s[4:5], s[4:5], 2
	s_waitcnt lgkmcnt(0)
	s_add_u32 s16, s8, s4
	s_addc_u32 s17, s9, s5
	v_cndmask_b32_e64 v1, 0, 1, s2
	s_and_not1_b32 vcc_lo, exec_lo, s2
	s_delay_alu instid0(VALU_DEP_1)
	v_cmp_ne_u32_e64 s4, 1, v1
	s_cbranch_vccnz .LBB68_4
.LBB68_2:
	s_mov_b32 s23, 0
	s_mov_b64 s[18:19], 0
	s_cbranch_execz .LBB68_5
	s_branch .LBB68_6
.LBB68_3:
	s_mov_b64 s[16:17], 0
	v_cndmask_b32_e64 v1, 0, 1, s2
	s_and_not1_b32 vcc_lo, exec_lo, s2
	s_delay_alu instid0(VALU_DEP_1)
	v_cmp_ne_u32_e64 s4, 1, v1
	s_cbranch_vccz .LBB68_2
.LBB68_4:
	s_mov_b32 s23, -1
                                        ; implicit-def: $sgpr18_sgpr19
.LBB68_5:
	s_load_b64 s[2:3], s[0:1], 0x38
	s_mov_b32 s23, 0
	s_waitcnt lgkmcnt(0)
	s_mul_i32 s3, s15, s3
	s_mul_hi_u32 s5, s15, s2
	s_mul_i32 s2, s15, s2
	s_add_i32 s3, s5, s3
	s_delay_alu instid0(SALU_CYCLE_1) | instskip(NEXT) | instid1(SALU_CYCLE_1)
	s_lshl_b64 s[2:3], s[2:3], 2
	s_add_u32 s18, s6, s2
	s_addc_u32 s19, s7, s3
.LBB68_6:
	s_clause 0x1
	s_load_b32 s22, s[0:1], 0x40
	s_load_b128 s[8:11], s[0:1], 0x58
	s_waitcnt lgkmcnt(0)
	v_cmp_eq_f32_e64 s2, s22, 0
	s_delay_alu instid0(VALU_DEP_1) | instskip(NEXT) | instid1(SALU_CYCLE_1)
	s_and_b32 s2, exec_lo, s2
	s_mov_b32 vcc_lo, s2
	s_cbranch_vccnz .LBB68_8
; %bb.7:
	s_load_b64 s[6:7], s[0:1], 0x48
	s_mul_i32 s3, s15, s9
	s_mul_hi_u32 s5, s15, s8
	s_delay_alu instid0(SALU_CYCLE_1) | instskip(SKIP_3) | instid1(SALU_CYCLE_1)
	s_add_i32 s3, s5, s3
	s_mul_i32 s5, s23, s8
	s_mul_i32 s8, s15, s8
	s_add_i32 s9, s3, s5
	s_lshl_b64 s[8:9], s[8:9], 2
	s_waitcnt lgkmcnt(0)
	s_add_u32 s6, s6, s8
	s_addc_u32 s7, s7, s9
	s_branch .LBB68_9
.LBB68_8:
	s_mov_b64 s[6:7], 0
.LBB68_9:
	s_clause 0x1
	s_load_b32 s3, s[0:1], 0x0
	s_load_b32 s8, s[0:1], 0x18
	v_and_b32_e32 v17, 0x3ff, v0
	v_bfe_u32 v16, v0, 10, 10
	s_delay_alu instid0(VALU_DEP_1) | instskip(NEXT) | instid1(VALU_DEP_1)
	v_lshl_add_u32 v0, v16, 3, v17
	v_lshrrev_b32_e32 v70, 6, v0
	v_and_b32_e32 v12, 63, v0
	s_waitcnt lgkmcnt(0)
	s_add_i32 s3, s3, -1
	s_delay_alu instid0(SALU_CYCLE_1) | instskip(NEXT) | instid1(SALU_CYCLE_1)
	s_ashr_i32 s5, s3, 31
	s_lshr_b32 s5, s5, 26
	s_delay_alu instid0(SALU_CYCLE_1) | instskip(NEXT) | instid1(SALU_CYCLE_1)
	s_add_i32 s3, s3, s5
	s_ashr_i32 s3, s3, 6
	s_delay_alu instid0(SALU_CYCLE_1) | instskip(SKIP_2) | instid1(VALU_DEP_1)
	s_add_i32 s5, s3, 1
	s_not_b32 s3, s3
	v_cvt_f32_u32_e32 v1, s5
	v_rcp_iflag_f32_e32 v1, v1
	s_waitcnt_depctr 0xfff
	v_mul_f32_e32 v1, 0x4f7ffffe, v1
	s_delay_alu instid0(VALU_DEP_1) | instskip(NEXT) | instid1(VALU_DEP_1)
	v_cvt_u32_f32_e32 v1, v1
	v_readfirstlane_b32 s9, v1
	s_delay_alu instid0(VALU_DEP_1) | instskip(NEXT) | instid1(SALU_CYCLE_1)
	s_mul_i32 s3, s3, s9
	s_mul_hi_u32 s3, s9, s3
	s_delay_alu instid0(SALU_CYCLE_1) | instskip(NEXT) | instid1(SALU_CYCLE_1)
	s_add_i32 s9, s9, s3
	s_mul_hi_u32 s3, s14, s9
	s_ashr_i32 s9, s8, 31
	s_mul_i32 s20, s3, s5
	s_add_i32 s21, s3, 1
	s_sub_i32 s20, s14, s20
	s_delay_alu instid0(SALU_CYCLE_1)
	s_sub_i32 s24, s20, s5
	s_cmp_ge_u32 s20, s5
	s_cselect_b32 s3, s21, s3
	s_cselect_b32 s20, s24, s20
	s_add_i32 s21, s3, 1
	s_cmp_ge_u32 s20, s5
	s_mov_b32 s20, -1
	s_cselect_b32 s3, s21, s3
	s_and_b32 vcc_lo, exec_lo, s4
	s_mul_i32 s5, s3, s5
	s_delay_alu instid0(SALU_CYCLE_1) | instskip(NEXT) | instid1(SALU_CYCLE_1)
	s_sub_i32 s21, s14, s5
	s_lshl_b32 s24, s21, 6
	s_cbranch_vccnz .LBB68_11
; %bb.10:
	v_mov_b32_e32 v1, 0
	s_mov_b32 s20, 0
	s_branch .LBB68_12
.LBB68_11:
                                        ; implicit-def: $vgpr0_vgpr1
.LBB68_12:
	v_or_b32_e32 v2, s24, v12
	v_cmp_neq_f32_e64 s26, s13, 0
	s_and_not1_b32 vcc_lo, exec_lo, s20
	s_delay_alu instid0(VALU_DEP_2)
	v_ashrrev_i32_e32 v3, 31, v2
	s_cbranch_vccnz .LBB68_14
; %bb.13:
	v_mad_i64_i32 v[0:1], null, s8, v70, 0
	s_delay_alu instid0(VALU_DEP_2) | instskip(NEXT) | instid1(VALU_DEP_2)
	v_lshlrev_b64 v[4:5], 2, v[2:3]
	v_lshlrev_b64 v[0:1], 2, v[0:1]
	s_delay_alu instid0(VALU_DEP_1) | instskip(NEXT) | instid1(VALU_DEP_2)
	v_add_co_u32 v0, vcc_lo, s16, v0
	v_add_co_ci_u32_e32 v1, vcc_lo, s17, v1, vcc_lo
	s_delay_alu instid0(VALU_DEP_2) | instskip(NEXT) | instid1(VALU_DEP_2)
	v_add_co_u32 v0, vcc_lo, v0, v4
	v_add_co_ci_u32_e32 v1, vcc_lo, v1, v5, vcc_lo
	flat_load_b32 v0, v[0:1]
	s_waitcnt vmcnt(0) lgkmcnt(0)
	v_dual_mov_b32 v1, 0 :: v_dual_mul_f32 v6, s13, v0
	s_branch .LBB68_15
.LBB68_14:
	v_mov_b32_e32 v6, s20
.LBB68_15:
	s_load_b32 s20, s[0:1], 0x30
	s_lshl_b32 s25, s3, 8
	v_cndmask_b32_e64 v7, 0, 1, s26
	s_delay_alu instid0(VALU_DEP_1)
	v_cmp_ne_u32_e64 s3, 1, v7
	s_waitcnt lgkmcnt(0)
	s_ashr_i32 s21, s20, 31
	v_mul_lo_u32 v4, v1, s20
	v_mad_u64_u32 v[0:1], null, v70, s20, 0
	v_mul_lo_u32 v5, v70, s21
	s_delay_alu instid0(VALU_DEP_1) | instskip(NEXT) | instid1(VALU_DEP_1)
	v_add3_u32 v1, v1, v5, v4
	v_lshlrev_b64 v[4:5], 2, v[0:1]
	v_or_b32_e32 v0, s25, v12
	s_delay_alu instid0(VALU_DEP_1) | instskip(NEXT) | instid1(VALU_DEP_3)
	v_ashrrev_i32_e32 v1, 31, v0
	v_add_co_u32 v4, vcc_lo, s18, v4
	s_delay_alu instid0(VALU_DEP_4)
	v_add_co_ci_u32_e32 v5, vcc_lo, s19, v5, vcc_lo
	s_and_not1_b32 vcc_lo, exec_lo, s26
	s_cbranch_vccnz .LBB68_20
; %bb.16:
	v_lshlrev_b64 v[7:8], 2, v[0:1]
	s_delay_alu instid0(VALU_DEP_1) | instskip(NEXT) | instid1(VALU_DEP_2)
	v_add_co_u32 v7, vcc_lo, v4, v7
	v_add_co_ci_u32_e32 v8, vcc_lo, v5, v8, vcc_lo
	s_clause 0x1
	flat_load_b32 v9, v[7:8]
	flat_load_b32 v8, v[7:8] offset:256
	s_waitcnt vmcnt(0) lgkmcnt(0)
	v_dual_mul_f32 v7, s13, v9 :: v_dual_mul_f32 v8, s13, v8
	s_and_b32 vcc_lo, exec_lo, s3
	s_cbranch_vccnz .LBB68_21
.LBB68_17:
	v_lshlrev_b64 v[9:10], 2, v[0:1]
	s_delay_alu instid0(VALU_DEP_1) | instskip(NEXT) | instid1(VALU_DEP_2)
	v_add_co_u32 v4, vcc_lo, v4, v9
	v_add_co_ci_u32_e32 v5, vcc_lo, v5, v10, vcc_lo
	s_clause 0x1
	flat_load_b32 v9, v[4:5] offset:512
	flat_load_b32 v4, v[4:5] offset:768
	s_waitcnt vmcnt(0) lgkmcnt(0)
	v_dual_mul_f32 v9, s13, v9 :: v_dual_mul_f32 v10, s13, v4
	v_add_nc_u32_e32 v11, 4, v70
	s_and_b32 vcc_lo, exec_lo, s4
	s_cbranch_vccnz .LBB68_22
.LBB68_18:
	v_mov_b32_e32 v5, 0
	s_mov_b32 s4, 0
	s_cbranch_execz .LBB68_23
; %bb.19:
	v_mov_b32_e32 v2, s4
	s_branch .LBB68_24
.LBB68_20:
	v_dual_mov_b32 v7, 0 :: v_dual_mov_b32 v8, 0
	s_and_b32 vcc_lo, exec_lo, s3
	s_cbranch_vccz .LBB68_17
.LBB68_21:
	v_dual_mov_b32 v9, 0 :: v_dual_mov_b32 v10, 0
	v_add_nc_u32_e32 v11, 4, v70
	s_and_b32 vcc_lo, exec_lo, s4
	s_cbranch_vccz .LBB68_18
.LBB68_22:
	s_mov_b32 s4, -1
                                        ; implicit-def: $vgpr4_vgpr5
.LBB68_23:
	s_delay_alu instid0(VALU_DEP_1) | instskip(SKIP_1) | instid1(VALU_DEP_2)
	v_mad_i64_i32 v[4:5], null, s8, v11, 0
	v_lshlrev_b64 v[2:3], 2, v[2:3]
	v_lshlrev_b64 v[4:5], 2, v[4:5]
	s_delay_alu instid0(VALU_DEP_1) | instskip(NEXT) | instid1(VALU_DEP_2)
	v_add_co_u32 v4, vcc_lo, s16, v4
	v_add_co_ci_u32_e32 v5, vcc_lo, s17, v5, vcc_lo
	s_delay_alu instid0(VALU_DEP_2) | instskip(NEXT) | instid1(VALU_DEP_2)
	v_add_co_u32 v2, vcc_lo, v4, v2
	v_add_co_ci_u32_e32 v3, vcc_lo, v5, v3, vcc_lo
	flat_load_b32 v2, v[2:3]
	s_waitcnt vmcnt(0) lgkmcnt(0)
	v_dual_mov_b32 v5, 0 :: v_dual_mul_f32 v2, s13, v2
.LBB68_24:
	scratch_store_b32 off, v2, off          ; 4-byte Folded Spill
	v_mul_lo_u32 v4, v5, s20
	v_mul_lo_u32 v5, v11, s21
	v_mad_u64_u32 v[2:3], null, v11, s20, 0
	s_delay_alu instid0(VALU_DEP_1) | instskip(NEXT) | instid1(VALU_DEP_1)
	v_add3_u32 v3, v3, v5, v4
	v_lshlrev_b64 v[2:3], 2, v[2:3]
	s_delay_alu instid0(VALU_DEP_1) | instskip(NEXT) | instid1(VALU_DEP_2)
	v_add_co_u32 v2, vcc_lo, s18, v2
	v_add_co_ci_u32_e32 v3, vcc_lo, s19, v3, vcc_lo
	s_and_b32 vcc_lo, exec_lo, s3
	s_cbranch_vccnz .LBB68_27
; %bb.25:
	v_lshlrev_b64 v[4:5], 2, v[0:1]
	s_delay_alu instid0(VALU_DEP_1) | instskip(NEXT) | instid1(VALU_DEP_2)
	v_add_co_u32 v4, vcc_lo, v2, v4
	v_add_co_ci_u32_e32 v5, vcc_lo, v3, v5, vcc_lo
	s_clause 0x1
	flat_load_b32 v11, v[4:5]
	flat_load_b32 v4, v[4:5] offset:256
	s_waitcnt vmcnt(0) lgkmcnt(0)
	v_dual_mul_f32 v5, s13, v11 :: v_dual_mul_f32 v4, s13, v4
	scratch_store_b32 off, v5, off offset:4 ; 4-byte Folded Spill
	s_and_b32 vcc_lo, exec_lo, s3
	scratch_store_b32 off, v4, off offset:8 ; 4-byte Folded Spill
	s_cbranch_vccnz .LBB68_28
.LBB68_26:
	v_lshlrev_b64 v[0:1], 2, v[0:1]
	s_delay_alu instid0(VALU_DEP_1) | instskip(NEXT) | instid1(VALU_DEP_2)
	v_add_co_u32 v0, vcc_lo, v2, v0
	v_add_co_ci_u32_e32 v1, vcc_lo, v3, v1, vcc_lo
	s_clause 0x1
	flat_load_b32 v2, v[0:1] offset:512
	flat_load_b32 v0, v[0:1] offset:768
	s_waitcnt vmcnt(0) lgkmcnt(0)
	v_dual_mul_f32 v1, s13, v2 :: v_dual_mul_f32 v0, s13, v0
	scratch_store_b32 off, v1, off offset:12 ; 4-byte Folded Spill
	s_branch .LBB68_29
.LBB68_27:
	v_mov_b32_e32 v4, 0
	scratch_store_b32 off, v4, off offset:4 ; 4-byte Folded Spill
	v_mov_b32_e32 v4, 0
	s_and_b32 vcc_lo, exec_lo, s3
	scratch_store_b32 off, v4, off offset:8 ; 4-byte Folded Spill
	s_cbranch_vccz .LBB68_26
.LBB68_28:
	v_mov_b32_e32 v0, 0
	scratch_store_b32 off, v0, off offset:12 ; 4-byte Folded Spill
	v_mov_b32_e32 v0, 0
.LBB68_29:
	scratch_store_b32 off, v0, off offset:16 ; 4-byte Folded Spill
	v_lshlrev_b32_e32 v0, 2, v70
	v_lshlrev_b32_e32 v74, 4, v16
	;; [unrolled: 1-line block ×3, first 2 shown]
	s_cmp_lt_i32 s12, 9
	s_delay_alu instid0(VALU_DEP_3)
	v_lshl_add_u32 v76, v12, 4, v0
	ds_store_2addr_stride64_b32 v76, v7, v8 offset1:4
	ds_store_2addr_stride64_b32 v76, v9, v10 offset0:8 offset1:12
	ds_store_b32 v76, v6 offset:8192
	s_waitcnt lgkmcnt(0)
	s_waitcnt_vscnt null, 0x0
	s_barrier
	buffer_gl0_inv
	ds_load_b128 v[23:26], v74
	ds_load_b128 v[0:3], v204 offset:8192
	scratch_store_b32 off, v12, off offset:60 ; 4-byte Folded Spill
	ds_load_b128 v[12:15], v204 offset:8320
	ds_load_b128 v[8:11], v204 offset:8448
	;; [unrolled: 1-line block ×4, first 2 shown]
	s_waitcnt lgkmcnt(3)
	v_add_f32_e32 v78, v14, v25
	v_dual_add_f32 v18, v1, v24 :: v_dual_add_f32 v129, v15, v26
	s_waitcnt lgkmcnt(2)
	v_dual_add_f32 v148, v0, v23 :: v_dual_add_f32 v135, v11, v26
	v_add_f32_e32 v149, v8, v23
	scratch_store_b32 off, v18, off offset:28 ; 4-byte Folded Spill
	v_add_f32_e32 v18, v13, v24
	s_waitcnt lgkmcnt(0)
	v_dual_add_f32 v150, v3, v26 :: v_dual_add_f32 v87, v12, v27
	v_dual_add_f32 v128, v2, v25 :: v_dual_add_f32 v89, v8, v27
	scratch_store_b32 off, v18, off offset:32 ; 4-byte Folded Spill
	v_dual_add_f32 v18, v9, v24 :: v_dual_add_f32 v85, v0, v27
	v_dual_add_f32 v130, v7, v26 :: v_dual_add_f32 v103, v14, v29
	;; [unrolled: 1-line block ×3, first 2 shown]
	scratch_store_b32 off, v18, off offset:36 ; 4-byte Folded Spill
	v_add_f32_e32 v18, v5, v24
	v_dual_add_f32 v86, v13, v28 :: v_dual_add_f32 v107, v6, v29
	v_add_f32_e32 v88, v9, v28
	v_add_f32_e32 v90, v5, v28
	scratch_store_b32 off, v18, off offset:40 ; 4-byte Folded Spill
	v_add_f32_e32 v18, v4, v23
	v_dual_add_f32 v91, v4, v27 :: v_dual_add_f32 v100, v3, v30
	v_dual_add_f32 v102, v15, v30 :: v_dual_add_f32 v101, v2, v29
	scratch_store_b32 off, v18, off offset:44 ; 4-byte Folded Spill
	ds_load_b128 v[31:34], v204 offset:8704
	ds_load_b128 v[35:38], v204 offset:8832
	v_add_f32_e32 v146, v12, v23
	v_add_f32_e32 v80, v10, v25
	;; [unrolled: 1-line block ×3, first 2 shown]
	s_waitcnt lgkmcnt(1)
	v_dual_add_f32 v106, v7, v30 :: v_dual_add_f32 v147, v32, v24
	s_waitcnt lgkmcnt(0)
	v_dual_add_f32 v18, v36, v24 :: v_dual_add_f32 v93, v31, v27
	v_add_f32_e32 v131, v34, v26
	v_add_f32_e32 v77, v33, v25
	v_add_f32_e32 v79, v37, v25
	scratch_store_b32 off, v18, off offset:48 ; 4-byte Folded Spill
	v_add_f32_e32 v18, v35, v23
	v_dual_add_f32 v92, v32, v28 :: v_dual_add_f32 v111, v37, v29
	v_add_f32_e32 v95, v35, v27
	v_add_f32_e32 v109, v33, v29
	scratch_store_b32 off, v18, off offset:52 ; 4-byte Folded Spill
	ds_load_b128 v[39:42], v204 offset:8960
	ds_load_b128 v[43:46], v204 offset:9088
	v_add_f32_e32 v144, v31, v23
	v_add_f32_e32 v82, v6, v25
	;; [unrolled: 1-line block ×5, first 2 shown]
	s_waitcnt lgkmcnt(1)
	v_dual_add_f32 v110, v38, v30 :: v_dual_add_f32 v145, v40, v24
	s_waitcnt lgkmcnt(0)
	v_dual_add_f32 v18, v44, v24 :: v_dual_add_f32 v137, v39, v23
	v_dual_add_f32 v136, v43, v23 :: v_dual_add_f32 v133, v42, v26
	v_add_f32_e32 v81, v41, v25
	scratch_store_b32 off, v18, off offset:56 ; 4-byte Folded Spill
	v_dual_add_f32 v134, v46, v26 :: v_dual_add_f32 v83, v45, v25
	v_dual_add_f32 v96, v40, v28 :: v_dual_add_f32 v115, v45, v29
	v_dual_add_f32 v97, v39, v27 :: v_dual_add_f32 v98, v44, v28
	v_dual_add_f32 v99, v43, v27 :: v_dual_add_f32 v112, v42, v30
	v_dual_add_f32 v113, v41, v29 :: v_dual_add_f32 v114, v46, v30
	ds_load_b128 v[23:26], v74 offset:1024
	ds_load_b128 v[27:30], v74 offset:1536
	s_waitcnt lgkmcnt(1)
	v_dual_add_f32 v116, v1, v24 :: v_dual_add_f32 v127, v15, v26
	v_dual_add_f32 v117, v0, v23 :: v_dual_add_f32 v118, v13, v24
	v_add_f32_e32 v153, v11, v26
	v_dual_add_f32 v119, v12, v23 :: v_dual_add_f32 v120, v9, v24
	v_add_f32_e32 v155, v7, v26
	;; [unrolled: 2-line block ×3, first 2 shown]
	v_add_f32_e32 v123, v4, v23
	v_dual_add_f32 v125, v32, v24 :: v_dual_add_f32 v138, v31, v23
	v_add_f32_e32 v159, v38, v26
	v_dual_add_f32 v139, v36, v24 :: v_dual_add_f32 v140, v35, v23
	;; [unrolled: 2-line block ×3, first 2 shown]
	v_add_f32_e32 v163, v46, v26
	v_add_f32_e32 v143, v44, v24
	;; [unrolled: 1-line block ×3, first 2 shown]
	s_waitcnt lgkmcnt(0)
	v_dual_add_f32 v124, v3, v26 :: v_dual_add_f32 v169, v9, v28
	v_dual_add_f32 v126, v2, v25 :: v_dual_add_f32 v171, v5, v28
	;; [unrolled: 1-line block ×10, first 2 shown]
	v_add_f32_e32 v187, v7, v30
	v_dual_add_f32 v167, v13, v28 :: v_dual_add_f32 v168, v12, v27
	v_dual_add_f32 v189, v34, v30 :: v_dual_add_f32 v170, v8, v27
	;; [unrolled: 1-line block ×5, first 2 shown]
	v_add_f32_e32 v178, v39, v27
	v_add_f32_e32 v180, v43, v27
	;; [unrolled: 1-line block ×10, first 2 shown]
	ds_load_b128 v[23:26], v74 offset:2048
	ds_load_b128 v[27:30], v74 offset:2560
	s_clause 0x1
	scratch_store_b32 off, v16, off offset:20
	scratch_store_b32 off, v17, off offset:24
	s_waitcnt lgkmcnt(1)
	v_dual_add_f32 v197, v1, v24 :: v_dual_add_f32 v198, v0, v23
	v_add_f32_e32 v217, v11, v26
	v_dual_add_f32 v199, v13, v24 :: v_dual_add_f32 v200, v12, v23
	v_add_f32_e32 v219, v7, v26
	;; [unrolled: 2-line block ×3, first 2 shown]
	v_add_f32_e32 v203, v5, v24
	v_add_f32_e32 v71, v4, v23
	v_dual_add_f32 v205, v32, v24 :: v_dual_add_f32 v206, v31, v23
	v_add_f32_e32 v223, v38, v26
	v_dual_add_f32 v207, v36, v24 :: v_dual_add_f32 v208, v35, v23
	v_add_f32_e32 v225, v42, v26
	v_dual_add_f32 v209, v40, v24 :: v_dual_add_f32 v210, v39, v23
	v_add_f32_e32 v227, v46, v26
	v_dual_add_f32 v211, v44, v24 :: v_dual_add_f32 v212, v43, v23
	s_waitcnt lgkmcnt(0)
	v_add_f32_e32 v229, v1, v28
	v_dual_add_f32 v213, v3, v26 :: v_dual_add_f32 v214, v2, v25
	v_add_f32_e32 v231, v13, v28
	v_dual_add_f32 v215, v15, v26 :: v_dual_add_f32 v216, v14, v25
	v_dual_add_f32 v233, v9, v28 :: v_dual_add_f32 v218, v10, v25
	;; [unrolled: 1-line block ×15, first 2 shown]
	v_add_f32_e32 v246, v2, v29
	v_add_f32_e32 v248, v14, v29
	v_add_f32_e32 v250, v10, v29
	v_add_f32_e32 v252, v6, v29
	v_add_f32_e32 v254, v33, v29
	v_add_f32_e32 v72, v37, v29
	v_add_f32_e32 v68, v41, v29
	v_add_f32_e32 v64, v45, v29
	ds_load_b128 v[23:26], v74 offset:3072
	ds_load_b128 v[27:30], v74 offset:3584
	s_waitcnt lgkmcnt(1)
	v_add_f32_e32 v61, v3, v26
	v_add_f32_e32 v51, v0, v23
	v_dual_add_f32 v48, v12, v23 :: v_dual_add_f32 v21, v14, v25
	v_dual_add_f32 v50, v9, v24 :: v_dual_add_f32 v63, v10, v25
	;; [unrolled: 1-line block ×4, first 2 shown]
	v_add_f32_e32 v55, v4, v23
	v_dual_add_f32 v56, v31, v23 :: v_dual_add_f32 v67, v33, v25
	v_dual_add_f32 v20, v35, v23 :: v_dual_add_f32 v19, v42, v26
	v_add_f32_e32 v59, v39, v23
	v_add_f32_e32 v23, v43, v23
	;; [unrolled: 1-line block ×3, first 2 shown]
	s_waitcnt lgkmcnt(0)
	v_dual_add_f32 v22, v11, v26 :: v_dual_add_f32 v9, v9, v28
	v_dual_add_f32 v16, v6, v25 :: v_dual_add_f32 v3, v3, v30
	;; [unrolled: 1-line block ×7, first 2 shown]
	v_add_f32_e32 v8, v8, v27
	v_dual_add_f32 v10, v10, v29 :: v_dual_add_f32 v39, v39, v27
	v_add_f32_e32 v4, v4, v27
	v_dual_add_f32 v6, v6, v29 :: v_dual_add_f32 v27, v43, v27
	scratch_load_b32 v43, off, off offset:28 ; 4-byte Folded Reload
	v_add_f32_e32 v49, v1, v24
	v_add_f32_e32 v53, v13, v24
	;; [unrolled: 1-line block ×3, first 2 shown]
	v_dual_add_f32 v58, v36, v24 :: v_dual_add_f32 v69, v37, v25
	v_add_f32_e32 v47, v40, v24
	v_add_f32_e32 v24, v44, v24
	v_dual_add_f32 v60, v2, v25 :: v_dual_add_f32 v1, v1, v28
	v_add_f32_e32 v13, v13, v28
	v_add_f32_e32 v32, v32, v28
	;; [unrolled: 1-line block ×5, first 2 shown]
	v_dual_add_f32 v2, v2, v29 :: v_dual_add_f32 v7, v7, v30
	v_min3_f32 v0, v0, v1, 0x7f7fffff
	v_dual_add_f32 v66, v41, v25 :: v_dual_add_f32 v15, v15, v30
	v_add_f32_e32 v37, v37, v29
	v_dual_add_f32 v41, v41, v29 :: v_dual_add_f32 v34, v34, v30
	v_dual_add_f32 v29, v45, v29 :: v_dual_add_f32 v38, v38, v30
	v_add_f32_e32 v42, v42, v30
	v_dual_add_f32 v30, v46, v30 :: v_dual_add_f32 v25, v45, v25
	s_waitcnt vmcnt(0)
	v_min3_f32 v43, v148, v43, 0x7f7fffff
	s_delay_alu instid0(VALU_DEP_1) | instskip(SKIP_3) | instid1(VALU_DEP_1)
	v_min3_f32 v150, v128, v150, v43
	scratch_load_b32 v43, off, off offset:32 ; 4-byte Folded Reload
	s_waitcnt vmcnt(0)
	v_min3_f32 v43, v146, v43, 0x7f7fffff
	v_min3_f32 v148, v78, v129, v43
	scratch_load_b32 v43, off, off offset:36 ; 4-byte Folded Reload
	s_waitcnt vmcnt(0)
	v_min3_f32 v43, v149, v43, 0x7f7fffff
	s_delay_alu instid0(VALU_DEP_1)
	v_min3_f32 v149, v80, v135, v43
	s_clause 0x1
	scratch_load_b32 v43, off, off offset:40
	scratch_load_b32 v44, off, off offset:44
	s_waitcnt vmcnt(0)
	v_min3_f32 v43, v44, v43, 0x7f7fffff
	s_delay_alu instid0(VALU_DEP_1) | instskip(SKIP_1) | instid1(VALU_DEP_1)
	v_min3_f32 v146, v82, v130, v43
	v_min3_f32 v43, v144, v147, 0x7f7fffff
	;; [unrolled: 1-line block ×3, first 2 shown]
	s_clause 0x1
	scratch_load_b32 v43, off, off offset:48
	scratch_load_b32 v44, off, off offset:52
	s_waitcnt vmcnt(0)
	v_min3_f32 v43, v44, v43, 0x7f7fffff
	s_delay_alu instid0(VALU_DEP_1) | instskip(SKIP_1) | instid1(VALU_DEP_1)
	v_min3_f32 v144, v79, v132, v43
	v_min3_f32 v43, v137, v145, 0x7f7fffff
	;; [unrolled: 1-line block ×3, first 2 shown]
	scratch_load_b32 v43, off, off offset:56 ; 4-byte Folded Reload
	s_waitcnt vmcnt(0)
	v_min3_f32 v43, v136, v43, 0x7f7fffff
	s_delay_alu instid0(VALU_DEP_1) | instskip(SKIP_1) | instid1(VALU_DEP_1)
	v_min3_f32 v137, v83, v134, v43
	v_min3_f32 v43, v85, v84, 0x7f7fffff
	;; [unrolled: 1-line block ×4, first 2 shown]
	s_delay_alu instid0(VALU_DEP_1) | instskip(SKIP_3) | instid1(VALU_DEP_3)
	v_min3_f32 v134, v103, v102, v43
	v_min3_f32 v43, v89, v88, 0x7f7fffff
	;; [unrolled: 1-line block ×6, first 2 shown]
	s_delay_alu instid0(VALU_DEP_3) | instskip(SKIP_1) | instid1(VALU_DEP_3)
	v_min3_f32 v86, v14, v15, v0
	v_min3_f32 v0, v8, v9, 0x7f7fffff
	v_min3_f32 v132, v107, v106, v43
	v_min3_f32 v43, v93, v92, 0x7f7fffff
	s_delay_alu instid0(VALU_DEP_3) | instskip(SKIP_1) | instid1(VALU_DEP_3)
	v_min3_f32 v85, v10, v11, v0
	v_min3_f32 v0, v4, v5, 0x7f7fffff
	v_min3_f32 v133, v109, v108, v43
	v_min3_f32 v43, v95, v94, 0x7f7fffff
	;; [unrolled: 5-line block ×6, first 2 shown]
	s_delay_alu instid0(VALU_DEP_3)
	v_min3_f32 v80, v29, v30, v0
	s_clause 0x1
	scratch_load_b32 v0, off, off offset:4
	scratch_load_b32 v1, off, off offset:8
	v_min3_f32 v127, v152, v127, v43
	v_min3_f32 v43, v121, v120, 0x7f7fffff
	s_delay_alu instid0(VALU_DEP_1) | instskip(SKIP_1) | instid1(VALU_DEP_1)
	v_min3_f32 v126, v154, v153, v43
	v_min3_f32 v43, v123, v122, 0x7f7fffff
	v_min3_f32 v124, v156, v155, v43
	v_min3_f32 v43, v138, v125, 0x7f7fffff
	s_delay_alu instid0(VALU_DEP_1) | instskip(SKIP_1) | instid1(VALU_DEP_1)
	v_min3_f32 v125, v158, v157, v43
	v_min3_f32 v43, v140, v139, 0x7f7fffff
	;; [unrolled: 5-line block ×19, first 2 shown]
	v_min3_f32 v87, v25, v26, v16
	s_waitcnt vmcnt(0)
	ds_store_2addr_stride64_b32 v76, v0, v1 offset0:16 offset1:20
	s_clause 0x1
	scratch_load_b32 v0, off, off offset:12
	scratch_load_b32 v1, off, off offset:16
	s_waitcnt vmcnt(0)
	ds_store_2addr_stride64_b32 v76, v0, v1 offset0:24 offset1:28
	scratch_load_b32 v0, off, off           ; 4-byte Folded Reload
	s_waitcnt vmcnt(0)
	ds_store_b32 v76, v0 offset:9216
	s_waitcnt lgkmcnt(0)
	s_waitcnt_vscnt null, 0x0
	s_barrier
	buffer_gl0_inv
	s_cbranch_scc1 .LBB68_47
; %bb.30:
	s_clause 0x2
	scratch_load_b32 v4, off, off offset:60
	scratch_load_b32 v203, off, off offset:24
	;; [unrolled: 1-line block ×3, first 2 shown]
	v_add_nc_u32_e32 v6, 12, v70
	s_lshl_b32 s4, s5, 6
	v_add_nc_u32_e32 v10, 8, v70
	v_or_b32_e32 v77, 0x2000, v76
	v_add_nc_u32_e32 v78, 0x2000, v204
	v_mad_i64_i32 v[0:1], null, v6, s8, 0
	s_delay_alu instid0(VALU_DEP_4) | instskip(SKIP_3) | instid1(VALU_DEP_4)
	v_mad_i64_i32 v[8:9], null, v10, s8, 0
	v_add_nc_u32_e32 v79, 0x2400, v76
	v_or_b32_e32 v111, 0x1000, v76
	s_add_i32 s12, s12, -8
	v_lshlrev_b64 v[64:65], 2, v[0:1]
	s_delay_alu instid0(VALU_DEP_4)
	v_lshlrev_b64 v[70:71], 2, v[8:9]
	s_waitcnt vmcnt(2)
	v_lshl_or_b32 v2, s14, 6, v4
	v_add_nc_u32_e32 v0, s25, v4
	v_mad_i64_i32 v[4:5], null, v6, s20, 0
	v_mad_i64_i32 v[6:7], null, v10, s20, 0
	s_delay_alu instid0(VALU_DEP_4) | instskip(NEXT) | instid1(VALU_DEP_4)
	v_subrev_nc_u32_e32 v2, s4, v2
	v_ashrrev_i32_e32 v1, 31, v0
	s_waitcnt vmcnt(1)
	v_lshl_add_u32 v138, v203, 4, 0x2400
	s_waitcnt vmcnt(0)
	v_lshl_add_u32 v139, v202, 4, 0x1000
	v_lshlrev_b64 v[66:67], 2, v[4:5]
	v_ashrrev_i32_e32 v3, 31, v2
	v_lshlrev_b64 v[0:1], 2, v[0:1]
	v_lshlrev_b64 v[68:69], 2, v[6:7]
	s_lshl_b64 s[4:5], s[8:9], 5
	s_lshl_b64 s[8:9], s[20:21], 5
	v_lshlrev_b64 v[2:3], 2, v[2:3]
	s_mov_b32 s14, 0
	s_delay_alu instid0(VALU_DEP_1) | instskip(NEXT) | instid1(VALU_DEP_2)
	v_add_co_u32 v140, vcc_lo, s16, v2
	v_add_co_ci_u32_e32 v141, vcc_lo, s17, v3, vcc_lo
	v_add_co_u32 v142, vcc_lo, s18, v0
	v_add_co_ci_u32_e32 v143, vcc_lo, s19, v1, vcc_lo
	s_branch .LBB68_33
.LBB68_31:                              ;   in Loop: Header=BB68_33 Depth=1
	v_add_co_u32 v0, vcc_lo, v142, v66
	v_add_co_ci_u32_e32 v1, vcc_lo, v143, v67, vcc_lo
	s_clause 0x1
	flat_load_b32 v11, v[0:1] offset:512
	flat_load_b32 v1, v[0:1] offset:768
	s_waitcnt vmcnt(0) lgkmcnt(0)
	v_dual_mul_f32 v0, s13, v11 :: v_dual_mul_f32 v1, s13, v1
.LBB68_32:                              ;   in Loop: Header=BB68_33 Depth=1
	ds_load_b128 v[93:96], v74
	ds_load_b128 v[154:157], v78
	ds_load_b128 v[158:161], v78 offset:128
	ds_load_b128 v[162:165], v78 offset:256
	;; [unrolled: 1-line block ×14, first 2 shown]
	v_add_co_u32 v140, vcc_lo, v140, s4
	v_add_co_ci_u32_e32 v141, vcc_lo, s5, v141, vcc_lo
	v_add_co_u32 v142, vcc_lo, v142, s8
	s_waitcnt lgkmcnt(14)
	v_dual_add_f32 v11, v155, v94 :: v_dual_add_f32 v14, v154, v93
	s_waitcnt lgkmcnt(13)
	v_dual_add_f32 v15, v159, v94 :: v_dual_add_f32 v18, v158, v93
	;; [unrolled: 2-line block ×3, first 2 shown]
	s_waitcnt lgkmcnt(11)
	v_add_f32_e32 v23, v167, v94
	v_min3_f32 v11, v14, v11, v28
	v_min3_f32 v14, v18, v15, v29
	v_add_f32_e32 v18, v166, v93
	v_min3_f32 v15, v22, v19, v32
	s_waitcnt lgkmcnt(10)
	v_dual_add_f32 v19, v171, v94 :: v_dual_add_f32 v22, v170, v93
	s_waitcnt lgkmcnt(9)
	v_dual_add_f32 v28, v175, v94 :: v_dual_add_f32 v29, v174, v93
	s_waitcnt lgkmcnt(8)
	v_add_f32_e32 v32, v179, v94
	s_waitcnt lgkmcnt(7)
	v_dual_add_f32 v34, v178, v93 :: v_dual_add_f32 v35, v183, v94
	s_waitcnt lgkmcnt(2)
	v_dual_add_f32 v38, v182, v93 :: v_dual_add_f32 v75, v163, v191
	v_min3_f32 v4, v18, v23, v4
	v_min3_f32 v18, v22, v19, v33
	;; [unrolled: 1-line block ×3, first 2 shown]
	s_delay_alu instid0(VALU_DEP_4)
	v_min3_f32 v23, v38, v35, v40
	v_dual_add_f32 v28, v155, v98 :: v_dual_add_f32 v33, v158, v97
	v_add_f32_e32 v29, v154, v97
	v_min3_f32 v22, v34, v32, v37
	v_dual_add_f32 v32, v159, v98 :: v_dual_add_f32 v35, v162, v97
	v_dual_add_f32 v34, v163, v98 :: v_dual_add_f32 v37, v166, v97
	v_dual_add_f32 v36, v167, v98 :: v_dual_add_f32 v39, v170, v97
	v_add_f32_e32 v38, v171, v98
	v_min3_f32 v5, v29, v28, v5
	v_min3_f32 v28, v33, v32, v41
	v_min3_f32 v29, v35, v34, v44
	v_add_f32_e32 v35, v174, v97
	v_min3_f32 v32, v37, v36, v45
	v_min3_f32 v33, v39, v38, v48
	v_dual_add_f32 v34, v175, v98 :: v_dual_add_f32 v37, v178, v97
	v_dual_add_f32 v36, v179, v98 :: v_dual_add_f32 v39, v182, v97
	v_dual_add_f32 v38, v183, v98 :: v_dual_add_f32 v41, v154, v101
	v_dual_add_f32 v40, v155, v102 :: v_dual_add_f32 v45, v158, v101
	v_add_f32_e32 v44, v159, v102
	v_min3_f32 v8, v35, v34, v8
	v_min3_f32 v34, v37, v36, v49
	v_min3_f32 v35, v39, v38, v52
	v_add_f32_e32 v39, v162, v101
	v_min3_f32 v36, v41, v40, v53
	v_min3_f32 v37, v45, v44, v56
	v_dual_add_f32 v38, v163, v102 :: v_dual_add_f32 v41, v166, v101
	;; [unrolled: 11-line block ×4, first 2 shown]
	v_dual_add_f32 v54, v175, v106 :: v_dual_add_f32 v57, v178, v105
	v_dual_add_f32 v56, v179, v106 :: v_dual_add_f32 v59, v182, v105
	v_add_f32_e32 v58, v183, v106
	v_dual_add_f32 v60, v155, v187 :: v_dual_add_f32 v61, v154, v186
	v_min3_f32 v13, v53, v52, v13
	v_min3_f32 v50, v55, v54, v50
	;; [unrolled: 1-line block ×5, first 2 shown]
	v_dual_add_f32 v54, v159, v187 :: v_dual_add_f32 v55, v158, v186
	v_dual_add_f32 v56, v163, v187 :: v_dual_add_f32 v57, v162, v186
	;; [unrolled: 1-line block ×5, first 2 shown]
	v_min3_f32 v16, v55, v54, v16
	v_min3_f32 v54, v57, v56, v81
	;; [unrolled: 1-line block ×5, first 2 shown]
	v_dual_add_f32 v58, v179, v187 :: v_dual_add_f32 v59, v178, v186
	v_dual_add_f32 v60, v183, v187 :: v_dual_add_f32 v61, v182, v186
	;; [unrolled: 1-line block ×4, first 2 shown]
	v_add_f32_e32 v80, v162, v190
	v_min3_f32 v17, v59, v58, v17
	v_min3_f32 v46, v61, v60, v46
	;; [unrolled: 1-line block ×5, first 2 shown]
	v_add_f32_e32 v75, v179, v191
	v_dual_add_f32 v60, v167, v191 :: v_dual_add_f32 v61, v166, v190
	v_dual_add_f32 v62, v171, v191 :: v_dual_add_f32 v63, v170, v190
	;; [unrolled: 1-line block ×4, first 2 shown]
	v_add_f32_e32 v82, v182, v190
	v_min3_f32 v20, v61, v60, v20
	v_min3_f32 v42, v63, v62, v42
	;; [unrolled: 1-line block ×4, first 2 shown]
	s_waitcnt lgkmcnt(1)
	v_add_f32_e32 v75, v163, v195
	v_min3_f32 v61, v82, v81, v88
	v_dual_add_f32 v62, v155, v195 :: v_dual_add_f32 v63, v154, v194
	v_dual_add_f32 v72, v159, v195 :: v_dual_add_f32 v73, v158, v194
	;; [unrolled: 1-line block ×4, first 2 shown]
	v_add_f32_e32 v84, v170, v194
	v_min3_f32 v21, v63, v62, v21
	v_min3_f32 v62, v73, v72, v89
	;; [unrolled: 1-line block ×3, first 2 shown]
	v_add_f32_e32 v75, v175, v195
	v_min3_f32 v72, v82, v81, v91
	v_min3_f32 v73, v84, v83, v92
	v_dual_add_f32 v80, v174, v194 :: v_dual_add_f32 v81, v179, v195
	v_dual_add_f32 v82, v178, v194 :: v_dual_add_f32 v83, v183, v195
	s_waitcnt lgkmcnt(0)
	v_dual_add_f32 v84, v182, v194 :: v_dual_add_f32 v85, v155, v199
	v_dual_add_f32 v86, v154, v198 :: v_dual_add_f32 v87, v159, v199
	v_add_f32_e32 v88, v158, v198
	v_min3_f32 v24, v80, v75, v24
	v_add_f32_e32 v75, v163, v199
	v_min3_f32 v26, v82, v81, v26
	v_min3_f32 v27, v84, v83, v27
	;; [unrolled: 1-line block ×4, first 2 shown]
	v_dual_add_f32 v80, v162, v198 :: v_dual_add_f32 v81, v167, v199
	v_dual_add_f32 v82, v166, v198 :: v_dual_add_f32 v83, v171, v199
	;; [unrolled: 1-line block ×4, first 2 shown]
	v_add_f32_e32 v88, v178, v198
	v_min3_f32 v25, v80, v75, v25
	v_add_f32_e32 v75, v183, v199
	v_min3_f32 v3, v82, v81, v3
	v_min3_f32 v6, v84, v83, v6
	;; [unrolled: 1-line block ×4, first 2 shown]
	v_dual_add_f32 v80, v182, v198 :: v_dual_add_f32 v83, v161, v96
	v_dual_add_f32 v81, v157, v96 :: v_dual_add_f32 v82, v156, v95
	v_dual_add_f32 v85, v165, v96 :: v_dual_add_f32 v84, v160, v95
	v_dual_add_f32 v87, v169, v96 :: v_dual_add_f32 v86, v164, v95
	v_add_f32_e32 v88, v168, v95
	v_min3_f32 v2, v80, v75, v2
	v_min3_f32 v150, v82, v81, v11
	v_add_f32_e32 v81, v185, v96
	v_min3_f32 v148, v84, v83, v14
	v_min3_f32 v146, v88, v87, v4
	v_dual_add_f32 v4, v173, v96 :: v_dual_add_f32 v11, v172, v95
	v_add_f32_e32 v14, v177, v96
	v_add_f32_e32 v75, v181, v96
	v_min3_f32 v149, v86, v85, v15
	v_add_f32_e32 v15, v176, v95
	v_dual_add_f32 v80, v180, v95 :: v_dual_add_f32 v83, v157, v100
	v_add_f32_e32 v82, v184, v95
	v_add_f32_e32 v84, v156, v99
	v_min3_f32 v147, v11, v4, v18
	v_min3_f32 v144, v15, v14, v19
	v_add_f32_e32 v15, v169, v100
	v_min3_f32 v145, v80, v75, v22
	v_min3_f32 v136, v84, v83, v5
	v_dual_add_f32 v4, v161, v100 :: v_dual_add_f32 v5, v160, v99
	v_add_f32_e32 v11, v165, v100
	v_min3_f32 v137, v82, v81, v23
	v_dual_add_f32 v14, v164, v99 :: v_dual_add_f32 v19, v173, v100
	v_dual_add_f32 v18, v168, v99 :: v_dual_add_f32 v23, v177, v100
	v_add_f32_e32 v75, v176, v99
	v_add_f32_e32 v22, v172, v99
	v_min3_f32 v134, v5, v4, v28
	v_min3_f32 v135, v14, v11, v29
	v_add_f32_e32 v4, v181, v100
	v_min3_f32 v130, v75, v23, v8
	v_dual_add_f32 v5, v180, v99 :: v_dual_add_f32 v8, v185, v100
	v_dual_add_f32 v11, v184, v99 :: v_dual_add_f32 v14, v157, v104
	v_min3_f32 v132, v18, v15, v32
	v_dual_add_f32 v15, v156, v103 :: v_dual_add_f32 v18, v161, v104
	v_add_f32_e32 v23, v164, v103
	s_delay_alu instid0(VALU_DEP_4)
	v_min3_f32 v128, v11, v8, v35
	v_add_f32_e32 v11, v177, v104
	v_min3_f32 v133, v22, v19, v33
	v_dual_add_f32 v19, v160, v103 :: v_dual_add_f32 v22, v165, v104
	v_min3_f32 v131, v5, v4, v34
	v_min3_f32 v129, v15, v14, v36
	v_add_f32_e32 v4, v169, v104
	s_delay_alu instid0(VALU_DEP_4)
	v_min3_f32 v127, v19, v18, v37
	v_min3_f32 v126, v23, v22, v9
	v_dual_add_f32 v5, v168, v103 :: v_dual_add_f32 v8, v173, v104
	v_add_f32_e32 v9, v172, v103
	v_dual_add_f32 v14, v176, v103 :: v_dual_add_f32 v15, v181, v104
	v_dual_add_f32 v18, v180, v103 :: v_dual_add_f32 v19, v185, v104
	v_add_f32_e32 v22, v184, v103
	v_min3_f32 v124, v5, v4, v38
	s_delay_alu instid0(VALU_DEP_4)
	v_min3_f32 v122, v14, v11, v40
	v_add_f32_e32 v11, v165, v108
	v_min3_f32 v123, v18, v15, v41
	v_min3_f32 v120, v22, v19, v12
	v_add_f32_e32 v4, v157, v108
	v_min3_f32 v125, v9, v8, v39
	v_dual_add_f32 v5, v156, v107 :: v_dual_add_f32 v8, v161, v108
	v_dual_add_f32 v9, v160, v107 :: v_dual_add_f32 v14, v169, v108
	v_add_f32_e32 v12, v164, v107
	v_dual_add_f32 v15, v168, v107 :: v_dual_add_f32 v18, v173, v108
	v_add_f32_e32 v19, v172, v107
	v_min3_f32 v121, v5, v4, v44
	v_add_f32_e32 v4, v177, v108
	v_min3_f32 v118, v9, v8, v45
	v_min3_f32 v119, v12, v11, v48
	v_min3_f32 v117, v15, v14, v49
	v_min3_f32 v116, v19, v18, v13
	v_dual_add_f32 v5, v176, v107 :: v_dual_add_f32 v8, v181, v108
	v_add_f32_e32 v9, v180, v107
	v_dual_add_f32 v11, v185, v108 :: v_dual_add_f32 v12, v184, v107
	v_dual_add_f32 v13, v157, v189 :: v_dual_add_f32 v14, v156, v188
	;; [unrolled: 1-line block ×3, first 2 shown]
	v_min3_f32 v114, v5, v4, v50
	s_delay_alu instid0(VALU_DEP_4)
	v_min3_f32 v112, v12, v11, v52
	v_add_f32_e32 v11, v173, v189
	v_min3_f32 v113, v14, v13, v53
	v_min3_f32 v109, v18, v15, v16
	v_add_f32_e32 v4, v165, v189
	v_min3_f32 v115, v9, v8, v51
	v_dual_add_f32 v5, v164, v188 :: v_dual_add_f32 v8, v169, v189
	v_add_f32_e32 v9, v168, v188
	v_dual_add_f32 v12, v172, v188 :: v_dual_add_f32 v13, v177, v189
	v_dual_add_f32 v14, v176, v188 :: v_dual_add_f32 v15, v181, v189
	v_add_f32_e32 v16, v180, v188
	v_min3_f32 v110, v5, v4, v54
	s_delay_alu instid0(VALU_DEP_4)
	v_min3_f32 v108, v12, v11, v56
	v_add_f32_e32 v11, v161, v193
	v_min3_f32 v106, v14, v13, v57
	v_min3_f32 v105, v16, v15, v17
	v_add_f32_e32 v4, v185, v189
	v_min3_f32 v107, v9, v8, v55
	v_dual_add_f32 v5, v184, v188 :: v_dual_add_f32 v8, v157, v193
	v_add_f32_e32 v9, v156, v192
	v_dual_add_f32 v12, v160, v192 :: v_dual_add_f32 v13, v165, v193
	v_dual_add_f32 v14, v164, v192 :: v_dual_add_f32 v15, v169, v193
	v_add_f32_e32 v16, v168, v192
	v_min3_f32 v103, v5, v4, v46
	s_delay_alu instid0(VALU_DEP_4)
	v_min3_f32 v101, v12, v11, v58
	v_add_f32_e32 v11, v181, v193
	v_min3_f32 v102, v14, v13, v59
	v_min3_f32 v99, v16, v15, v20
	v_add_f32_e32 v4, v173, v193
	v_min3_f32 v104, v9, v8, v47
	v_dual_add_f32 v5, v172, v192 :: v_dual_add_f32 v8, v177, v193
	v_add_f32_e32 v9, v176, v192
	v_dual_add_f32 v12, v180, v192 :: v_dual_add_f32 v13, v185, v193
	v_dual_add_f32 v14, v184, v192 :: v_dual_add_f32 v15, v157, v197
	v_add_f32_e32 v16, v156, v196
	v_min3_f32 v100, v5, v4, v42
	s_delay_alu instid0(VALU_DEP_4)
	v_min3_f32 v98, v12, v11, v60
	v_add_f32_e32 v11, v169, v197
	v_min3_f32 v96, v14, v13, v61
	v_min3_f32 v95, v16, v15, v21
	v_add_f32_e32 v4, v161, v197
	v_min3_f32 v97, v9, v8, v43
	v_dual_add_f32 v5, v160, v196 :: v_dual_add_f32 v8, v165, v197
	v_add_f32_e32 v9, v164, v196
	v_dual_add_f32 v12, v168, v196 :: v_dual_add_f32 v13, v173, v197
	v_dual_add_f32 v14, v172, v196 :: v_dual_add_f32 v15, v177, v197
	v_add_f32_e32 v16, v176, v196
	v_min3_f32 v93, v5, v4, v62
	s_delay_alu instid0(VALU_DEP_4)
	v_min3_f32 v91, v12, v11, v72
	v_add_f32_e32 v11, v157, v201
	v_min3_f32 v92, v14, v13, v73
	v_min3_f32 v89, v16, v15, v24
	v_add_f32_e32 v4, v181, v197
	v_min3_f32 v94, v9, v8, v63
	v_dual_add_f32 v5, v180, v196 :: v_dual_add_f32 v8, v185, v197
	v_add_f32_e32 v9, v184, v196
	v_dual_add_f32 v12, v156, v200 :: v_dual_add_f32 v13, v161, v201
	v_dual_add_f32 v14, v160, v200 :: v_dual_add_f32 v15, v165, v201
	v_add_f32_e32 v16, v164, v200
	v_min3_f32 v90, v5, v4, v26
	s_delay_alu instid0(VALU_DEP_4)
	v_min3_f32 v88, v12, v11, v30
	v_add_f32_e32 v11, v177, v201
	v_min3_f32 v86, v14, v13, v31
	v_min3_f32 v85, v16, v15, v25
	v_add_f32_e32 v4, v169, v201
	v_min3_f32 v87, v9, v8, v27
	v_dual_add_f32 v5, v168, v200 :: v_dual_add_f32 v8, v173, v201
	v_add_f32_e32 v9, v172, v200
	v_dual_add_f32 v12, v176, v200 :: v_dual_add_f32 v13, v181, v201
	v_dual_add_f32 v14, v180, v200 :: v_dual_add_f32 v15, v185, v201
	v_add_f32_e32 v16, v184, v200
	v_min3_f32 v83, v5, v4, v3
	v_min3_f32 v84, v9, v8, v6
	;; [unrolled: 1-line block ×5, first 2 shown]
	v_add_co_ci_u32_e32 v143, vcc_lo, s9, v143, vcc_lo
	s_add_i32 s14, s14, 8
	ds_store_b32 v79, v151
	ds_store_2addr_stride64_b32 v111, v152, v153 offset1:4
	ds_store_2addr_stride64_b32 v111, v0, v1 offset0:8 offset1:12
	s_cmp_ge_i32 s14, s12
	s_waitcnt lgkmcnt(0)
	s_barrier
	buffer_gl0_inv
	s_cbranch_scc1 .LBB68_48
.LBB68_33:                              ; =>This Inner Loop Header: Depth=1
	s_and_b32 vcc_lo, exec_lo, s3
	s_cbranch_vccnz .LBB68_37
; %bb.34:                               ;   in Loop: Header=BB68_33 Depth=1
	v_add_co_u32 v0, vcc_lo, v140, v70
	v_add_co_ci_u32_e32 v1, vcc_lo, v141, v71, vcc_lo
	flat_load_b32 v0, v[0:1]
	s_waitcnt vmcnt(0) lgkmcnt(0)
	v_mul_f32_e32 v151, s13, v0
	s_and_b32 vcc_lo, exec_lo, s3
	s_cbranch_vccnz .LBB68_38
.LBB68_35:                              ;   in Loop: Header=BB68_33 Depth=1
	v_add_co_u32 v0, vcc_lo, v142, v68
	v_add_co_ci_u32_e32 v1, vcc_lo, v143, v69, vcc_lo
	s_clause 0x1
	flat_load_b32 v2, v[0:1]
	flat_load_b32 v0, v[0:1] offset:256
	s_waitcnt vmcnt(0) lgkmcnt(0)
	v_dual_mul_f32 v152, s13, v2 :: v_dual_mul_f32 v153, s13, v0
	s_and_b32 vcc_lo, exec_lo, s3
	s_cbranch_vccnz .LBB68_39
.LBB68_36:                              ;   in Loop: Header=BB68_33 Depth=1
	v_add_co_u32 v0, vcc_lo, v142, v68
	v_add_co_ci_u32_e32 v1, vcc_lo, v143, v69, vcc_lo
	s_clause 0x1
	flat_load_b32 v2, v[0:1] offset:512
	flat_load_b32 v0, v[0:1] offset:768
	s_waitcnt vmcnt(0) lgkmcnt(0)
	v_dual_mul_f32 v154, s13, v2 :: v_dual_mul_f32 v155, s13, v0
	s_branch .LBB68_40
.LBB68_37:                              ;   in Loop: Header=BB68_33 Depth=1
	v_mov_b32_e32 v151, 0
	s_and_b32 vcc_lo, exec_lo, s3
	s_cbranch_vccz .LBB68_35
.LBB68_38:                              ;   in Loop: Header=BB68_33 Depth=1
	v_dual_mov_b32 v152, 0 :: v_dual_mov_b32 v153, 0
	s_and_b32 vcc_lo, exec_lo, s3
	s_cbranch_vccz .LBB68_36
.LBB68_39:                              ;   in Loop: Header=BB68_33 Depth=1
	v_dual_mov_b32 v154, 0 :: v_dual_mov_b32 v155, 0
.LBB68_40:                              ;   in Loop: Header=BB68_33 Depth=1
	ds_load_b128 v[32:35], v138
	ds_load_b128 v[28:31], v138 offset:128
	ds_load_b128 v[24:27], v138 offset:256
	ds_load_b128 v[16:19], v138 offset:384
	ds_load_b128 v[12:15], v138 offset:512
	ds_load_b128 v[8:11], v138 offset:640
	ds_load_b128 v[4:7], v138 offset:768
	ds_load_b128 v[0:3], v138 offset:896
	ds_load_b128 v[60:63], v139
	ds_load_b128 v[56:59], v139 offset:512
	ds_load_b128 v[52:55], v139 offset:1024
	;; [unrolled: 1-line block ×7, first 2 shown]
	s_and_b32 vcc_lo, exec_lo, s3
	ds_store_b32 v77, v151
	ds_store_2addr_stride64_b32 v76, v152, v153 offset1:4
	ds_store_2addr_stride64_b32 v76, v154, v155 offset0:8 offset1:12
	s_waitcnt lgkmcnt(0)
	s_barrier
	buffer_gl0_inv
	s_cbranch_vccnz .LBB68_43
; %bb.41:                               ;   in Loop: Header=BB68_33 Depth=1
	v_add_co_u32 v151, vcc_lo, v140, v64
	v_add_co_ci_u32_e32 v152, vcc_lo, v141, v65, vcc_lo
	flat_load_b32 v72, v[151:152]
	s_waitcnt vmcnt(0) lgkmcnt(0)
	v_mul_f32_e32 v151, s13, v72
	s_and_b32 vcc_lo, exec_lo, s3
	s_cbranch_vccnz .LBB68_44
.LBB68_42:                              ;   in Loop: Header=BB68_33 Depth=1
	v_add_co_u32 v152, vcc_lo, v142, v66
	v_add_co_ci_u32_e32 v153, vcc_lo, v143, v67, vcc_lo
	s_clause 0x1
	flat_load_b32 v72, v[152:153]
	flat_load_b32 v73, v[152:153] offset:256
	s_waitcnt vmcnt(0) lgkmcnt(0)
	v_dual_mul_f32 v152, s13, v72 :: v_dual_mul_f32 v153, s13, v73
	s_branch .LBB68_45
.LBB68_43:                              ;   in Loop: Header=BB68_33 Depth=1
	v_mov_b32_e32 v151, 0
	s_and_b32 vcc_lo, exec_lo, s3
	s_cbranch_vccz .LBB68_42
.LBB68_44:                              ;   in Loop: Header=BB68_33 Depth=1
	v_dual_mov_b32 v152, 0 :: v_dual_mov_b32 v153, 0
.LBB68_45:                              ;   in Loop: Header=BB68_33 Depth=1
	v_dual_add_f32 v72, v33, v61 :: v_dual_add_f32 v73, v32, v60
	v_dual_add_f32 v75, v29, v61 :: v_dual_add_f32 v154, v28, v60
	;; [unrolled: 1-line block ×3, first 2 shown]
	s_delay_alu instid0(VALU_DEP_3) | instskip(SKIP_1) | instid1(VALU_DEP_4)
	v_min3_f32 v72, v73, v72, v150
	v_add_f32_e32 v150, v13, v61
	v_min3_f32 v73, v154, v75, v148
	v_add_f32_e32 v148, v17, v61
	;; [unrolled: 2-line block ×3, first 2 shown]
	v_dual_add_f32 v154, v12, v60 :: v_dual_add_f32 v155, v9, v61
	v_dual_add_f32 v156, v8, v60 :: v_dual_add_f32 v157, v5, v61
	;; [unrolled: 1-line block ×3, first 2 shown]
	v_add_f32_e32 v60, v0, v60
	v_min3_f32 v146, v149, v148, v146
	s_delay_alu instid0(VALU_DEP_4) | instskip(SKIP_1) | instid1(VALU_DEP_4)
	v_min3_f32 v144, v156, v155, v144
	v_dual_add_f32 v148, v29, v57 :: v_dual_add_f32 v149, v28, v56
	v_min3_f32 v60, v60, v61, v137
	v_add_f32_e32 v61, v33, v57
	v_add_f32_e32 v137, v32, v56
	v_min3_f32 v147, v154, v150, v147
	v_add_f32_e32 v150, v25, v57
	v_dual_add_f32 v154, v24, v56 :: v_dual_add_f32 v155, v17, v57
	v_add_f32_e32 v156, v16, v56
	v_min3_f32 v145, v158, v157, v145
	v_dual_add_f32 v157, v13, v57 :: v_dual_add_f32 v158, v12, v56
	v_min3_f32 v61, v137, v61, v136
	v_min3_f32 v134, v149, v148, v134
	;; [unrolled: 1-line block ×3, first 2 shown]
	v_dual_add_f32 v136, v9, v57 :: v_dual_add_f32 v149, v4, v56
	v_add_f32_e32 v137, v8, v56
	v_min3_f32 v135, v154, v150, v135
	v_add_f32_e32 v148, v5, v57
	v_dual_add_f32 v57, v1, v57 :: v_dual_add_f32 v56, v0, v56
	v_add_f32_e32 v155, v29, v53
	v_add_f32_e32 v150, v33, v53
	v_add_f32_e32 v154, v32, v52
	v_add_f32_e32 v156, v28, v52
	v_min3_f32 v130, v137, v136, v130
	v_min3_f32 v56, v56, v57, v128
	v_add_f32_e32 v128, v25, v53
	v_add_f32_e32 v136, v17, v53
	v_min3_f32 v127, v156, v155, v127
	v_add_f32_e32 v137, v16, v52
	v_add_f32_e32 v155, v5, v53
	v_min3_f32 v57, v154, v150, v129
	v_add_f32_e32 v129, v24, v52
	v_min3_f32 v131, v149, v148, v131
	v_dual_add_f32 v148, v13, v53 :: v_dual_add_f32 v149, v12, v52
	v_add_f32_e32 v150, v9, v53
	v_add_f32_e32 v154, v8, v52
	v_add_f32_e32 v156, v4, v52
	v_min3_f32 v126, v129, v128, v126
	v_dual_add_f32 v53, v1, v53 :: v_dual_add_f32 v52, v0, v52
	v_dual_add_f32 v128, v33, v49 :: v_dual_add_f32 v129, v32, v48
	v_min3_f32 v124, v137, v136, v124
	v_dual_add_f32 v136, v29, v49 :: v_dual_add_f32 v137, v28, v48
	v_min3_f32 v125, v149, v148, v125
	;; [unrolled: 2-line block ×3, first 2 shown]
	v_add_f32_e32 v150, v17, v49
	v_add_f32_e32 v154, v16, v48
	v_min3_f32 v120, v52, v53, v120
	v_dual_add_f32 v52, v13, v49 :: v_dual_add_f32 v53, v12, v48
	v_min3_f32 v121, v129, v128, v121
	v_dual_add_f32 v128, v9, v49 :: v_dual_add_f32 v129, v8, v48
	;; [unrolled: 2-line block ×3, first 2 shown]
	v_dual_add_f32 v49, v1, v49 :: v_dual_add_f32 v48, v0, v48
	v_min3_f32 v119, v149, v148, v119
	v_dual_add_f32 v148, v33, v45 :: v_dual_add_f32 v149, v32, v44
	v_min3_f32 v133, v158, v157, v133
	s_delay_alu instid0(VALU_DEP_4)
	v_min3_f32 v112, v48, v49, v112
	v_dual_add_f32 v48, v29, v45 :: v_dual_add_f32 v49, v28, v44
	v_min3_f32 v116, v53, v52, v116
	v_dual_add_f32 v52, v25, v45 :: v_dual_add_f32 v53, v24, v44
	;; [unrolled: 2-line block ×7, first 2 shown]
	v_dual_add_f32 v52, v33, v41 :: v_dual_add_f32 v53, v32, v40
	v_min3_f32 v107, v129, v128, v107
	v_dual_add_f32 v128, v29, v41 :: v_dual_add_f32 v129, v28, v40
	v_min3_f32 v108, v137, v136, v108
	;; [unrolled: 2-line block ×6, first 2 shown]
	v_dual_add_f32 v128, v5, v41 :: v_dual_add_f32 v129, v4, v40
	v_dual_add_f32 v41, v1, v41 :: v_dual_add_f32 v40, v0, v40
	v_min3_f32 v123, v156, v155, v123
	v_min3_f32 v106, v149, v148, v106
	;; [unrolled: 1-line block ×3, first 2 shown]
	s_and_b32 vcc_lo, exec_lo, s3
	v_min3_f32 v96, v40, v41, v96
	v_dual_add_f32 v40, v33, v37 :: v_dual_add_f32 v41, v32, v36
	v_min3_f32 v99, v45, v44, v99
	v_dual_add_f32 v44, v29, v37 :: v_dual_add_f32 v45, v28, v36
	;; [unrolled: 2-line block ×4, first 2 shown]
	v_min3_f32 v98, v129, v128, v98
	v_add_f32_e32 v129, v12, v36
	v_min3_f32 v95, v41, v40, v95
	v_add_f32_e32 v41, v8, v36
	v_min3_f32 v93, v45, v44, v93
	v_dual_add_f32 v44, v5, v37 :: v_dual_add_f32 v45, v4, v36
	v_dual_add_f32 v36, v0, v36 :: v_dual_add_f32 v17, v17, v21
	;; [unrolled: 1-line block ×3, first 2 shown]
	v_add_f32_e32 v16, v16, v20
	v_add_f32_e32 v4, v4, v20
	;; [unrolled: 1-line block ×5, first 2 shown]
	v_dual_add_f32 v29, v29, v21 :: v_dual_add_f32 v28, v28, v20
	v_dual_add_f32 v9, v9, v21 :: v_dual_add_f32 v8, v8, v20
	v_min3_f32 v155, v4, v5, v82
	v_add_f32_e32 v1, v1, v21
	v_min3_f32 v149, v16, v17, v83
	v_add_f32_e32 v0, v0, v20
	v_dual_add_f32 v4, v35, v63 :: v_dual_add_f32 v5, v34, v62
	v_dual_add_f32 v16, v19, v63 :: v_dual_add_f32 v17, v18, v62
	v_min3_f32 v117, v154, v150, v117
	v_dual_add_f32 v33, v33, v21 :: v_dual_add_f32 v32, v32, v20
	v_add_f32_e32 v13, v13, v21
	v_min3_f32 v148, v28, v29, v86
	v_dual_add_f32 v25, v25, v21 :: v_dual_add_f32 v12, v12, v20
	v_min3_f32 v0, v0, v1, v80
	v_add_f32_e32 v1, v15, v63
	v_min3_f32 v28, v5, v4, v72
	v_min3_f32 v4, v17, v16, v146
	v_add_f32_e32 v5, v14, v62
	v_min3_f32 v154, v8, v9, v81
	v_dual_add_f32 v8, v31, v63 :: v_dual_add_f32 v21, v34, v58
	v_dual_add_f32 v9, v30, v62 :: v_dual_add_f32 v16, v3, v63
	;; [unrolled: 1-line block ×3, first 2 shown]
	v_min3_f32 v92, v129, v128, v92
	v_min3_f32 v137, v32, v33, v88
	v_min3_f32 v150, v12, v13, v84
	v_dual_add_f32 v12, v27, v63 :: v_dual_add_f32 v13, v26, v62
	v_min3_f32 v128, v41, v40, v89
	v_min3_f32 v29, v9, v8, v73
	v_dual_add_f32 v8, v11, v63 :: v_dual_add_f32 v9, v10, v62
	v_min3_f32 v33, v5, v1, v147
	v_min3_f32 v40, v17, v16, v60
	;; [unrolled: 1-line block ×3, first 2 shown]
	v_dual_add_f32 v17, v15, v59 :: v_dual_add_f32 v20, v14, v58
	v_min3_f32 v94, v49, v48, v94
	v_min3_f32 v136, v36, v37, v87
	;; [unrolled: 1-line block ×4, first 2 shown]
	v_dual_add_f32 v12, v7, v63 :: v_dual_add_f32 v13, v6, v62
	v_add_f32_e32 v1, v31, v59
	v_dual_add_f32 v21, v11, v59 :: v_dual_add_f32 v24, v10, v58
	v_min3_f32 v48, v20, v17, v133
	v_add_f32_e32 v17, v34, v54
	v_min3_f32 v36, v9, v8, v144
	v_dual_add_f32 v8, v30, v58 :: v_dual_add_f32 v9, v27, v59
	v_add_f32_e32 v16, v18, v58
	v_min3_f32 v129, v45, v44, v90
	v_dual_add_f32 v20, v31, v55 :: v_dual_add_f32 v81, v30, v46
	s_delay_alu instid0(VALU_DEP_4)
	v_min3_f32 v41, v8, v1, v134
	v_min3_f32 v8, v24, v21, v130
	v_add_f32_e32 v21, v30, v54
	v_min3_f32 v37, v13, v12, v145
	v_dual_add_f32 v12, v26, v58 :: v_dual_add_f32 v13, v19, v59
	v_add_f32_e32 v1, v7, v59
	v_add_f32_e32 v24, v27, v55
	v_min3_f32 v91, v53, v52, v91
	s_delay_alu instid0(VALU_DEP_4)
	v_min3_f32 v44, v12, v9, v135
	v_min3_f32 v45, v16, v13, v132
	v_dual_add_f32 v9, v6, v58 :: v_dual_add_f32 v12, v3, v59
	v_dual_add_f32 v13, v2, v58 :: v_dual_add_f32 v16, v35, v55
	v_add_f32_e32 v73, v34, v46
	v_add_f32_e32 v58, v26, v54
	s_delay_alu instid0(VALU_DEP_4) | instskip(NEXT) | instid1(VALU_DEP_4)
	v_min3_f32 v49, v9, v1, v131
	v_min3_f32 v52, v13, v12, v56
	;; [unrolled: 1-line block ×5, first 2 shown]
	v_dual_add_f32 v1, v19, v55 :: v_dual_add_f32 v12, v18, v54
	v_dual_add_f32 v17, v11, v55 :: v_dual_add_f32 v20, v10, v54
	;; [unrolled: 1-line block ×5, first 2 shown]
	v_min3_f32 v54, v12, v1, v124
	v_min3_f32 v57, v20, v17, v122
	;; [unrolled: 1-line block ×3, first 2 shown]
	v_dual_add_f32 v1, v35, v51 :: v_dual_add_f32 v62, v18, v50
	v_dual_add_f32 v20, v27, v51 :: v_dual_add_f32 v21, v26, v50
	v_add_f32_e32 v24, v19, v51
	v_min3_f32 v55, v16, v13, v125
	v_dual_add_f32 v13, v34, v50 :: v_dual_add_f32 v16, v31, v51
	v_add_f32_e32 v17, v30, v50
	v_dual_add_f32 v63, v15, v51 :: v_dual_add_f32 v72, v14, v50
	v_min3_f32 v61, v21, v20, v119
	v_min3_f32 v62, v62, v24, v117
	v_dual_add_f32 v21, v3, v51 :: v_dual_add_f32 v24, v2, v50
	v_min3_f32 v12, v60, v59, v120
	v_min3_f32 v59, v13, v1, v121
	;; [unrolled: 1-line block ×3, first 2 shown]
	v_dual_add_f32 v1, v11, v51 :: v_dual_add_f32 v20, v6, v50
	v_add_f32_e32 v72, v35, v47
	v_add_f32_e32 v75, v31, v47
	v_min3_f32 v63, v24, v21, v112
	v_add_f32_e32 v21, v18, v46
	v_min3_f32 v60, v17, v16, v118
	v_dual_add_f32 v16, v10, v50 :: v_dual_add_f32 v17, v7, v51
	v_min3_f32 v80, v73, v72, v113
	v_dual_add_f32 v24, v15, v47 :: v_dual_add_f32 v89, v2, v42
	s_delay_alu instid0(VALU_DEP_3) | instskip(NEXT) | instid1(VALU_DEP_4)
	v_min3_f32 v50, v16, v1, v114
	v_min3_f32 v51, v20, v17, v115
	v_dual_add_f32 v1, v27, v47 :: v_dual_add_f32 v86, v6, v46
	v_add_f32_e32 v17, v26, v46
	v_add_f32_e32 v72, v14, v46
	v_min3_f32 v16, v81, v75, v109
	v_add_f32_e32 v73, v11, v47
	v_add_f32_e32 v75, v10, v46
	v_add_f32_e32 v85, v7, v47
	v_add_f32_e32 v20, v19, v47
	v_min3_f32 v81, v17, v1, v110
	v_min3_f32 v83, v72, v24, v108
	;; [unrolled: 1-line block ×3, first 2 shown]
	v_dual_add_f32 v1, v3, v47 :: v_dual_add_f32 v24, v34, v42
	v_min3_f32 v17, v86, v85, v105
	v_dual_add_f32 v86, v26, v42 :: v_dual_add_f32 v75, v27, v43
	v_dual_add_f32 v72, v31, v43 :: v_dual_add_f32 v73, v30, v42
	;; [unrolled: 1-line block ×3, first 2 shown]
	s_delay_alu instid0(VALU_DEP_3)
	v_min3_f32 v86, v86, v75, v102
	v_add_f32_e32 v75, v6, v42
	v_min3_f32 v82, v21, v20, v107
	v_dual_add_f32 v20, v2, v46 :: v_dual_add_f32 v21, v35, v43
	v_add_f32_e32 v90, v35, v39
	v_add_f32_e32 v35, v35, v23
	s_delay_alu instid0(VALU_DEP_3) | instskip(NEXT) | instid1(VALU_DEP_4)
	v_min3_f32 v46, v20, v1, v103
	v_min3_f32 v47, v24, v21, v104
	;; [unrolled: 1-line block ×3, first 2 shown]
	v_add_f32_e32 v1, v15, v43
	v_dual_add_f32 v21, v14, v42 :: v_dual_add_f32 v24, v11, v43
	v_add_f32_e32 v99, v34, v38
	v_min3_f32 v85, v73, v72, v101
	v_dual_add_f32 v72, v10, v42 :: v_dual_add_f32 v73, v7, v43
	v_add_f32_e32 v88, v3, v43
	v_min3_f32 v42, v21, v1, v100
	v_dual_add_f32 v1, v31, v39 :: v_dual_add_f32 v34, v34, v22
	s_delay_alu instid0(VALU_DEP_4)
	v_min3_f32 v87, v75, v73, v98
	v_add_f32_e32 v73, v26, v38
	v_min3_f32 v43, v72, v24, v97
	v_add_f32_e32 v24, v30, v38
	v_add_f32_e32 v72, v27, v39
	;; [unrolled: 1-line block ×4, first 2 shown]
	v_min3_f32 v21, v99, v90, v95
	v_add_f32_e32 v95, v18, v38
	v_add_f32_e32 v18, v18, v22
	v_min3_f32 v88, v89, v88, v96
	v_add_f32_e32 v99, v10, v38
	v_min3_f32 v89, v24, v1, v93
	v_min3_f32 v90, v73, v72, v94
	v_dual_add_f32 v1, v7, v39 :: v_dual_add_f32 v14, v14, v22
	v_add_f32_e32 v72, v6, v38
	v_dual_add_f32 v96, v15, v39 :: v_dual_add_f32 v73, v30, v22
	v_dual_add_f32 v98, v11, v39 :: v_dual_add_f32 v93, v26, v22
	v_min3_f32 v91, v95, v75, v91
	v_dual_add_f32 v39, v3, v39 :: v_dual_add_f32 v10, v10, v22
	v_dual_add_f32 v38, v2, v38 :: v_dual_add_f32 v31, v31, v23
	;; [unrolled: 1-line block ×3, first 2 shown]
	v_min3_f32 v26, v72, v1, v129
	v_min3_f32 v30, v34, v35, v137
	v_add_f32_e32 v1, v19, v23
	v_add_f32_e32 v15, v15, v23
	;; [unrolled: 1-line block ×3, first 2 shown]
	v_dual_add_f32 v19, v7, v23 :: v_dual_add_f32 v34, v6, v22
	v_add_f32_e32 v23, v3, v23
	v_min3_f32 v92, v97, v96, v92
	v_min3_f32 v24, v99, v98, v128
	;; [unrolled: 1-line block ×10, first 2 shown]
	s_cbranch_vccz .LBB68_31
; %bb.46:                               ;   in Loop: Header=BB68_33 Depth=1
	v_dual_mov_b32 v0, 0 :: v_dual_mov_b32 v1, 0
	s_branch .LBB68_32
.LBB68_47:
	s_clause 0x1
	scratch_load_b32 v202, off, off offset:20
	scratch_load_b32 v203, off, off offset:24
.LBB68_48:
	s_clause 0x1
	s_load_b64 s[4:5], s[0:1], 0x70
	s_load_b32 s3, s[0:1], 0x68
	ds_load_b128 v[32:35], v204 offset:9216
	ds_load_b128 v[60:63], v74 offset:4096
	s_load_b32 s0, s[0:1], 0x50
	s_waitcnt vmcnt(1)
	v_add_nc_u32_e32 v111, s25, v202
	s_waitcnt vmcnt(0)
	v_add_nc_u32_e32 v76, s24, v203
	s_waitcnt lgkmcnt(0)
	s_mul_i32 s1, s15, s5
	s_mul_hi_u32 s5, s15, s4
	v_dual_add_f32 v7, v32, v60 :: v_dual_add_f32 v6, v33, v61
	v_mad_i64_i32 v[2:3], null, v111, s3, 0
	v_mad_i64_i32 v[4:5], null, v111, s0, 0
	s_mul_i32 s8, s23, s4
	s_add_i32 s1, s5, s1
	s_mul_i32 s4, s15, s4
	s_add_i32 s5, s1, s8
	s_delay_alu instid0(VALU_DEP_2)
	v_lshlrev_b64 v[2:3], 2, v[2:3]
	v_dual_add_f32 v9, v34, v62 :: v_dual_add_nc_u32 v0, 8, v76
	v_add_f32_e32 v8, v35, v63
	v_min3_f32 v6, v7, v6, v150
	s_lshl_b64 s[4:5], s[4:5], 2
	v_lshlrev_b64 v[4:5], 2, v[4:5]
	s_add_u32 s1, s10, s4
	v_ashrrev_i32_e32 v77, 31, v76
	s_addc_u32 s4, s11, s5
	v_min3_f32 v6, v9, v8, v6
	v_add_co_u32 v138, vcc_lo, s1, v2
	v_add_co_ci_u32_e32 v139, vcc_lo, s4, v3, vcc_lo
	v_add_co_u32 v140, vcc_lo, s6, v4
	v_lshlrev_b64 v[66:67], 2, v[76:77]
	v_ashrrev_i32_e32 v1, 31, v0
	v_add_co_ci_u32_e32 v141, vcc_lo, s7, v5, vcc_lo
	v_max_f32_e32 v2, v6, v6
	s_mov_b32 vcc_lo, s2
	s_cbranch_vccz .LBB68_50
; %bb.49:
	v_add_co_u32 v3, vcc_lo, v138, v66
	s_delay_alu instid0(VALU_DEP_2)
	v_min_f32_e32 v5, 0, v2
	v_add_co_ci_u32_e32 v4, vcc_lo, v139, v67, vcc_lo
	s_mov_b32 s5, 0
	global_store_b32 v[3:4], v5, off
	s_branch .LBB68_51
.LBB68_50:
	s_mov_b32 s5, -1
.LBB68_51:
	ds_load_b128 v[28:31], v204 offset:9344
	ds_load_b128 v[24:27], v204 offset:9472
	v_lshlrev_b64 v[64:65], 2, v[0:1]
	s_and_not1_b32 vcc_lo, exec_lo, s5
	s_cbranch_vccnz .LBB68_53
; %bb.52:
	v_add_co_u32 v0, vcc_lo, v140, v66
	v_add_co_ci_u32_e32 v1, vcc_lo, v141, v67, vcc_lo
	flat_load_b32 v0, v[0:1]
	s_waitcnt vmcnt(0) lgkmcnt(0)
	v_mul_f32_e32 v3, s22, v0
	v_add_co_u32 v0, vcc_lo, v138, v66
	v_add_co_ci_u32_e32 v1, vcc_lo, v139, v67, vcc_lo
	s_delay_alu instid0(VALU_DEP_3)
	v_min_f32_e32 v4, v3, v2
	v_add_co_u32 v2, vcc_lo, v140, v64
	v_add_co_ci_u32_e32 v3, vcc_lo, v141, v65, vcc_lo
	global_store_b32 v[0:1], v4, off
	flat_load_b32 v0, v[2:3]
	s_waitcnt vmcnt(0) lgkmcnt(0)
	v_mul_f32_e32 v69, s22, v0
	s_branch .LBB68_54
.LBB68_53:
	v_mov_b32_e32 v69, s5
.LBB68_54:
	ds_load_b128 v[16:19], v204 offset:9728
	ds_load_b128 v[12:15], v204 offset:9856
	;; [unrolled: 1-line block ×10, first 2 shown]
	s_waitcnt lgkmcnt(10)
	v_dual_add_f32 v68, v25, v61 :: v_dual_add_f32 v73, v31, v63
	v_dual_add_f32 v70, v24, v60 :: v_dual_add_f32 v71, v29, v61
	ds_load_b128 v[20:23], v204 offset:9600
	ds_load_b128 v[4:7], v74 offset:7680
	v_dual_add_f32 v72, v28, v60 :: v_dual_add_f32 v75, v27, v63
	v_add_f32_e32 v74, v30, v62
	v_min3_f32 v68, v70, v68, v149
	v_dual_add_f32 v77, v26, v62 :: v_dual_add_nc_u32 v70, 16, v76
	s_delay_alu instid0(VALU_DEP_4) | instskip(NEXT) | instid1(VALU_DEP_4)
	v_min3_f32 v72, v72, v71, v148
	v_min_f32_e32 v73, v74, v73
	s_delay_alu instid0(VALU_DEP_3) | instskip(SKIP_2) | instid1(VALU_DEP_4)
	v_min3_f32 v75, v77, v75, v68
	v_add_nc_u32_e32 v68, 24, v76
	v_ashrrev_i32_e32 v71, 31, v70
	v_min3_f32 v77, v69, v73, v72
	v_add_co_u32 v73, vcc_lo, v138, v64
	v_add_co_ci_u32_e32 v74, vcc_lo, v139, v65, vcc_lo
	s_delay_alu instid0(VALU_DEP_4)
	v_lshlrev_b64 v[70:71], 2, v[70:71]
	v_ashrrev_i32_e32 v69, 31, v68
	v_max_f32_e32 v72, v75, v75
	s_mov_b32 vcc_lo, s2
	global_store_b32 v[73:74], v77, off
	s_cbranch_vccz .LBB68_57
; %bb.55:
	v_add_co_u32 v73, vcc_lo, v138, v70
	v_min_f32_e32 v75, 0, v72
	v_add_co_ci_u32_e32 v74, vcc_lo, v139, v71, vcc_lo
	s_mov_b32 s5, 0
	global_store_b32 v[73:74], v75, off
	v_lshlrev_b64 v[68:69], 2, v[68:69]
	s_cbranch_execz .LBB68_58
; %bb.56:
	v_mov_b32_e32 v73, s5
	s_branch .LBB68_59
.LBB68_57:
	s_mov_b32 s5, -1
	v_lshlrev_b64 v[68:69], 2, v[68:69]
.LBB68_58:
	v_add_co_u32 v73, vcc_lo, v140, v70
	v_add_co_ci_u32_e32 v74, vcc_lo, v141, v71, vcc_lo
	flat_load_b32 v73, v[73:74]
	s_waitcnt vmcnt(0) lgkmcnt(0)
	v_mul_f32_e32 v75, s22, v73
	v_add_co_u32 v73, vcc_lo, v138, v70
	v_add_co_ci_u32_e32 v74, vcc_lo, v139, v71, vcc_lo
	v_add_co_u32 v77, vcc_lo, v140, v68
	s_delay_alu instid0(VALU_DEP_4)
	v_min_f32_e32 v72, v75, v72
	v_add_co_ci_u32_e32 v78, vcc_lo, v141, v69, vcc_lo
	global_store_b32 v[73:74], v72, off
	flat_load_b32 v72, v[77:78]
	s_waitcnt vmcnt(0) lgkmcnt(0)
	v_mul_f32_e32 v73, s22, v72
.LBB68_59:
	s_waitcnt lgkmcnt(1)
	v_dual_add_f32 v72, v17, v61 :: v_dual_add_f32 v77, v20, v60
	v_dual_add_f32 v74, v16, v60 :: v_dual_add_f32 v75, v21, v61
	;; [unrolled: 1-line block ×4, first 2 shown]
	s_delay_alu instid0(VALU_DEP_3) | instskip(NEXT) | instid1(VALU_DEP_4)
	v_min3_f32 v72, v74, v72, v147
	v_min3_f32 v77, v77, v75, v146
	s_delay_alu instid0(VALU_DEP_4) | instskip(NEXT) | instid1(VALU_DEP_3)
	v_min_f32_e32 v78, v79, v78
	v_min3_f32 v142, v143, v142, v72
	v_add_nc_u32_e32 v74, 32, v76
	s_delay_alu instid0(VALU_DEP_3)
	v_min3_f32 v143, v73, v78, v77
	v_add_nc_u32_e32 v72, 40, v76
	v_add_co_u32 v78, vcc_lo, v138, v68
	v_max_f32_e32 v77, v142, v142
	v_ashrrev_i32_e32 v75, 31, v74
	v_add_co_ci_u32_e32 v79, vcc_lo, v139, v69, vcc_lo
	v_ashrrev_i32_e32 v73, 31, v72
	s_mov_b32 vcc_lo, s2
	s_delay_alu instid0(VALU_DEP_3)
	v_lshlrev_b64 v[74:75], 2, v[74:75]
	global_store_b32 v[78:79], v143, off
	s_cbranch_vccz .LBB68_62
; %bb.60:
	v_add_co_u32 v78, vcc_lo, v138, v74
	v_min_f32_e32 v142, 0, v77
	v_add_co_ci_u32_e32 v79, vcc_lo, v139, v75, vcc_lo
	s_mov_b32 s5, 0
	global_store_b32 v[78:79], v142, off
	v_lshlrev_b64 v[72:73], 2, v[72:73]
	s_cbranch_execz .LBB68_63
; %bb.61:
	v_mov_b32_e32 v77, s5
	s_branch .LBB68_64
.LBB68_62:
	s_mov_b32 s5, -1
	v_lshlrev_b64 v[72:73], 2, v[72:73]
.LBB68_63:
	v_add_co_u32 v78, vcc_lo, v140, v74
	v_add_co_ci_u32_e32 v79, vcc_lo, v141, v75, vcc_lo
	flat_load_b32 v78, v[78:79]
	s_waitcnt vmcnt(0) lgkmcnt(0)
	v_mul_f32_e32 v142, s22, v78
	v_add_co_u32 v78, vcc_lo, v138, v74
	v_add_co_ci_u32_e32 v79, vcc_lo, v139, v75, vcc_lo
	s_delay_alu instid0(VALU_DEP_3)
	v_min_f32_e32 v77, v142, v77
	v_add_co_u32 v142, vcc_lo, v140, v72
	v_add_co_ci_u32_e32 v143, vcc_lo, v141, v73, vcc_lo
	global_store_b32 v[78:79], v77, off
	flat_load_b32 v77, v[142:143]
	s_waitcnt vmcnt(0) lgkmcnt(0)
	v_mul_f32_e32 v77, s22, v77
.LBB68_64:
	v_dual_add_f32 v78, v9, v61 :: v_dual_add_f32 v79, v8, v60
	v_dual_add_f32 v142, v13, v61 :: v_dual_add_f32 v143, v12, v60
	v_add_f32_e32 v146, v15, v63
	v_dual_add_f32 v147, v11, v63 :: v_dual_add_f32 v148, v10, v62
	s_delay_alu instid0(VALU_DEP_4) | instskip(SKIP_2) | instid1(VALU_DEP_2)
	v_min3_f32 v79, v79, v78, v145
	v_dual_add_f32 v145, v14, v62 :: v_dual_add_nc_u32 v78, 48, v76
	v_min3_f32 v142, v143, v142, v144
	v_dual_min_f32 v143, v145, v146 :: v_dual_add_nc_u32 v76, 56, v76
	s_delay_alu instid0(VALU_DEP_4) | instskip(NEXT) | instid1(VALU_DEP_4)
	v_min3_f32 v145, v148, v147, v79
	v_ashrrev_i32_e32 v79, 31, v78
	s_delay_alu instid0(VALU_DEP_3) | instskip(SKIP_1) | instid1(VALU_DEP_3)
	v_min3_f32 v146, v77, v143, v142
	v_add_co_u32 v143, vcc_lo, v138, v72
	v_lshlrev_b64 v[78:79], 2, v[78:79]
	v_add_co_ci_u32_e32 v144, vcc_lo, v139, v73, vcc_lo
	v_ashrrev_i32_e32 v77, 31, v76
	v_max_f32_e32 v142, v145, v145
	s_mov_b32 vcc_lo, s2
	global_store_b32 v[143:144], v146, off
	s_cbranch_vccz .LBB68_67
; %bb.65:
	v_add_co_u32 v143, vcc_lo, v138, v78
	v_min_f32_e32 v145, 0, v142
	v_add_co_ci_u32_e32 v144, vcc_lo, v139, v79, vcc_lo
	s_mov_b32 s5, 0
	global_store_b32 v[143:144], v145, off
	v_lshlrev_b64 v[76:77], 2, v[76:77]
	s_cbranch_execz .LBB68_68
; %bb.66:
	v_mov_b32_e32 v140, s5
	s_branch .LBB68_69
.LBB68_67:
	s_mov_b32 s5, -1
	v_lshlrev_b64 v[76:77], 2, v[76:77]
.LBB68_68:
	v_add_co_u32 v143, vcc_lo, v140, v78
	v_add_co_ci_u32_e32 v144, vcc_lo, v141, v79, vcc_lo
	flat_load_b32 v143, v[143:144]
	s_waitcnt vmcnt(0) lgkmcnt(0)
	v_mul_f32_e32 v145, s22, v143
	v_add_co_u32 v143, vcc_lo, v138, v78
	v_add_co_ci_u32_e32 v144, vcc_lo, v139, v79, vcc_lo
	v_add_co_u32 v140, vcc_lo, v140, v76
	s_delay_alu instid0(VALU_DEP_4)
	v_min_f32_e32 v142, v145, v142
	v_add_co_ci_u32_e32 v141, vcc_lo, v141, v77, vcc_lo
	global_store_b32 v[143:144], v142, off
	flat_load_b32 v140, v[140:141]
	s_waitcnt vmcnt(0) lgkmcnt(0)
	v_mul_f32_e32 v140, s22, v140
.LBB68_69:
	v_dual_add_f32 v141, v33, v57 :: v_dual_add_f32 v142, v32, v56
	v_dual_add_f32 v61, v1, v61 :: v_dual_add_f32 v60, v0, v60
	v_add_f32_e32 v143, v34, v58
	v_add_f32_e32 v62, v2, v62
	s_delay_alu instid0(VALU_DEP_4) | instskip(SKIP_3) | instid1(VALU_DEP_3)
	v_min3_f32 v136, v142, v141, v136
	v_add_f32_e32 v142, v35, v59
	v_add_nc_u32_e32 v141, 32, v111
	v_min3_f32 v137, v60, v61, v137
	v_min3_f32 v136, v143, v142, v136
	v_add_f32_e32 v63, v3, v63
	s_delay_alu instid0(VALU_DEP_4) | instskip(NEXT) | instid1(VALU_DEP_3)
	v_mad_i64_i32 v[60:61], null, v141, s3, 0
	v_max_f32_e32 v136, v136, v136
	s_delay_alu instid0(VALU_DEP_3) | instskip(SKIP_1) | instid1(VALU_DEP_4)
	v_min_f32_e32 v144, v62, v63
	v_mad_i64_i32 v[62:63], null, v141, s0, 0
	v_lshlrev_b64 v[60:61], 2, v[60:61]
	s_delay_alu instid0(VALU_DEP_3)
	v_min3_f32 v140, v140, v144, v137
	v_add_co_u32 v137, vcc_lo, v138, v76
	v_add_co_ci_u32_e32 v138, vcc_lo, v139, v77, vcc_lo
	v_lshlrev_b64 v[62:63], 2, v[62:63]
	v_add_co_u32 v60, vcc_lo, s1, v60
	v_add_co_ci_u32_e32 v61, vcc_lo, s4, v61, vcc_lo
	global_store_b32 v[137:138], v140, off
	v_add_co_u32 v62, vcc_lo, s6, v62
	v_add_co_ci_u32_e32 v63, vcc_lo, s7, v63, vcc_lo
	s_mov_b32 vcc_lo, s2
	s_cbranch_vccz .LBB68_72
; %bb.70:
	v_add_co_u32 v137, vcc_lo, v60, v66
	v_min_f32_e32 v139, 0, v136
	v_add_co_ci_u32_e32 v138, vcc_lo, v61, v67, vcc_lo
	s_mov_b32 s5, 0
	global_store_b32 v[137:138], v139, off
	s_cbranch_execz .LBB68_73
; %bb.71:
	v_mov_b32_e32 v136, s5
	s_branch .LBB68_74
.LBB68_72:
	s_mov_b32 s5, -1
.LBB68_73:
	v_add_co_u32 v137, vcc_lo, v62, v66
	v_add_co_ci_u32_e32 v138, vcc_lo, v63, v67, vcc_lo
	flat_load_b32 v137, v[137:138]
	s_waitcnt vmcnt(0) lgkmcnt(0)
	v_mul_f32_e32 v139, s22, v137
	v_add_co_u32 v137, vcc_lo, v60, v66
	v_add_co_ci_u32_e32 v138, vcc_lo, v61, v67, vcc_lo
	s_delay_alu instid0(VALU_DEP_3)
	v_min_f32_e32 v136, v139, v136
	v_add_co_u32 v139, vcc_lo, v62, v64
	v_add_co_ci_u32_e32 v140, vcc_lo, v63, v65, vcc_lo
	global_store_b32 v[137:138], v136, off
	flat_load_b32 v136, v[139:140]
	s_waitcnt vmcnt(0) lgkmcnt(0)
	v_mul_f32_e32 v136, s22, v136
.LBB68_74:
	v_dual_add_f32 v137, v29, v57 :: v_dual_add_f32 v138, v28, v56
	v_dual_add_f32 v139, v25, v57 :: v_dual_add_f32 v140, v24, v56
	v_dual_add_f32 v141, v31, v59 :: v_dual_add_f32 v142, v30, v58
	s_delay_alu instid0(VALU_DEP_3) | instskip(SKIP_1) | instid1(VALU_DEP_4)
	v_min3_f32 v134, v138, v137, v134
	v_dual_add_f32 v137, v27, v59 :: v_dual_add_f32 v138, v26, v58
	v_min3_f32 v135, v140, v139, v135
	s_delay_alu instid0(VALU_DEP_4) | instskip(NEXT) | instid1(VALU_DEP_2)
	v_min_f32_e32 v139, v142, v141
	v_min3_f32 v137, v138, v137, v135
	v_add_co_u32 v135, vcc_lo, v60, v64
	s_delay_alu instid0(VALU_DEP_3) | instskip(SKIP_1) | instid1(VALU_DEP_4)
	v_min3_f32 v138, v136, v139, v134
	v_add_co_ci_u32_e32 v136, vcc_lo, v61, v65, vcc_lo
	v_max_f32_e32 v134, v137, v137
	s_mov_b32 vcc_lo, s2
	global_store_b32 v[135:136], v138, off
	s_cbranch_vccz .LBB68_77
; %bb.75:
	v_add_co_u32 v135, vcc_lo, v60, v70
	v_min_f32_e32 v137, 0, v134
	v_add_co_ci_u32_e32 v136, vcc_lo, v61, v71, vcc_lo
	s_mov_b32 s5, 0
	global_store_b32 v[135:136], v137, off
	s_cbranch_execz .LBB68_78
; %bb.76:
	v_mov_b32_e32 v134, s5
	s_branch .LBB68_79
.LBB68_77:
	s_mov_b32 s5, -1
.LBB68_78:
	v_add_co_u32 v135, vcc_lo, v62, v70
	v_add_co_ci_u32_e32 v136, vcc_lo, v63, v71, vcc_lo
	flat_load_b32 v135, v[135:136]
	s_waitcnt vmcnt(0) lgkmcnt(0)
	v_mul_f32_e32 v137, s22, v135
	v_add_co_u32 v135, vcc_lo, v60, v70
	v_add_co_ci_u32_e32 v136, vcc_lo, v61, v71, vcc_lo
	s_delay_alu instid0(VALU_DEP_3)
	v_min_f32_e32 v134, v137, v134
	v_add_co_u32 v137, vcc_lo, v62, v68
	v_add_co_ci_u32_e32 v138, vcc_lo, v63, v69, vcc_lo
	global_store_b32 v[135:136], v134, off
	flat_load_b32 v134, v[137:138]
	s_waitcnt vmcnt(0) lgkmcnt(0)
	v_mul_f32_e32 v134, s22, v134
.LBB68_79:
	v_dual_add_f32 v135, v21, v57 :: v_dual_add_f32 v136, v20, v56
	v_dual_add_f32 v137, v17, v57 :: v_dual_add_f32 v138, v16, v56
	v_dual_add_f32 v139, v23, v59 :: v_dual_add_f32 v140, v22, v58
	s_delay_alu instid0(VALU_DEP_3) | instskip(SKIP_1) | instid1(VALU_DEP_4)
	v_min3_f32 v132, v136, v135, v132
	v_dual_add_f32 v135, v19, v59 :: v_dual_add_f32 v136, v18, v58
	v_min3_f32 v133, v138, v137, v133
	s_delay_alu instid0(VALU_DEP_4) | instskip(NEXT) | instid1(VALU_DEP_2)
	v_min_f32_e32 v137, v140, v139
	v_min3_f32 v135, v136, v135, v133
	v_add_co_u32 v133, vcc_lo, v60, v68
	s_delay_alu instid0(VALU_DEP_3) | instskip(SKIP_1) | instid1(VALU_DEP_4)
	v_min3_f32 v136, v134, v137, v132
	v_add_co_ci_u32_e32 v134, vcc_lo, v61, v69, vcc_lo
	v_max_f32_e32 v132, v135, v135
	s_mov_b32 vcc_lo, s2
	global_store_b32 v[133:134], v136, off
	;; [unrolled: 47-line block ×3, first 2 shown]
	s_cbranch_vccz .LBB68_87
; %bb.85:
	v_add_co_u32 v131, vcc_lo, v60, v78
	v_min_f32_e32 v133, 0, v130
	v_add_co_ci_u32_e32 v132, vcc_lo, v61, v79, vcc_lo
	s_mov_b32 s5, 0
	global_store_b32 v[131:132], v133, off
	s_cbranch_execz .LBB68_88
; %bb.86:
	v_mov_b32_e32 v62, s5
	s_branch .LBB68_89
.LBB68_87:
	s_mov_b32 s5, -1
.LBB68_88:
	v_add_co_u32 v131, vcc_lo, v62, v78
	v_add_co_ci_u32_e32 v132, vcc_lo, v63, v79, vcc_lo
	flat_load_b32 v131, v[131:132]
	s_waitcnt vmcnt(0) lgkmcnt(0)
	v_mul_f32_e32 v133, s22, v131
	v_add_co_u32 v131, vcc_lo, v60, v78
	v_add_co_ci_u32_e32 v132, vcc_lo, v61, v79, vcc_lo
	v_add_co_u32 v62, vcc_lo, v62, v76
	s_delay_alu instid0(VALU_DEP_4)
	v_min_f32_e32 v130, v133, v130
	v_add_co_ci_u32_e32 v63, vcc_lo, v63, v77, vcc_lo
	global_store_b32 v[131:132], v130, off
	flat_load_b32 v62, v[62:63]
	s_waitcnt vmcnt(0) lgkmcnt(0)
	v_mul_f32_e32 v62, s22, v62
.LBB68_89:
	v_dual_add_f32 v63, v33, v53 :: v_dual_add_f32 v130, v32, v52
	v_dual_add_f32 v57, v1, v57 :: v_dual_add_f32 v56, v0, v56
	;; [unrolled: 1-line block ×3, first 2 shown]
	s_delay_alu instid0(VALU_DEP_3) | instskip(SKIP_1) | instid1(VALU_DEP_4)
	v_min3_f32 v63, v130, v63, v129
	v_add_nc_u32_e32 v129, 64, v111
	v_min3_f32 v128, v56, v57, v128
	v_dual_add_f32 v130, v35, v55 :: v_dual_add_f32 v131, v34, v54
	v_min_f32_e32 v132, v58, v59
	s_delay_alu instid0(VALU_DEP_4) | instskip(SKIP_1) | instid1(VALU_DEP_3)
	v_mad_i64_i32 v[56:57], null, v129, s3, 0
	v_mad_i64_i32 v[58:59], null, v129, s0, 0
	v_min3_f32 v128, v62, v132, v128
	v_add_co_u32 v62, vcc_lo, v60, v76
	v_min3_f32 v129, v131, v130, v63
	v_lshlrev_b64 v[56:57], 2, v[56:57]
	v_add_co_ci_u32_e32 v63, vcc_lo, v61, v77, vcc_lo
	v_lshlrev_b64 v[58:59], 2, v[58:59]
	s_delay_alu instid0(VALU_DEP_4) | instskip(NEXT) | instid1(VALU_DEP_4)
	v_max_f32_e32 v60, v129, v129
	v_add_co_u32 v56, vcc_lo, s1, v56
	v_add_co_ci_u32_e32 v57, vcc_lo, s4, v57, vcc_lo
	s_delay_alu instid0(VALU_DEP_4)
	v_add_co_u32 v58, vcc_lo, s6, v58
	v_add_co_ci_u32_e32 v59, vcc_lo, s7, v59, vcc_lo
	s_mov_b32 vcc_lo, s2
	global_store_b32 v[62:63], v128, off
	s_cbranch_vccz .LBB68_92
; %bb.90:
	v_add_co_u32 v61, vcc_lo, v56, v66
	v_min_f32_e32 v63, 0, v60
	v_add_co_ci_u32_e32 v62, vcc_lo, v57, v67, vcc_lo
	s_mov_b32 s5, 0
	global_store_b32 v[61:62], v63, off
	s_cbranch_execz .LBB68_93
; %bb.91:
	v_mov_b32_e32 v60, s5
	s_branch .LBB68_94
.LBB68_92:
	s_mov_b32 s5, -1
.LBB68_93:
	v_add_co_u32 v61, vcc_lo, v58, v66
	v_add_co_ci_u32_e32 v62, vcc_lo, v59, v67, vcc_lo
	flat_load_b32 v61, v[61:62]
	s_waitcnt vmcnt(0) lgkmcnt(0)
	v_mul_f32_e32 v63, s22, v61
	v_add_co_u32 v61, vcc_lo, v56, v66
	v_add_co_ci_u32_e32 v62, vcc_lo, v57, v67, vcc_lo
	v_add_co_u32 v128, vcc_lo, v58, v64
	s_delay_alu instid0(VALU_DEP_4)
	v_min_f32_e32 v60, v63, v60
	v_add_co_ci_u32_e32 v129, vcc_lo, v59, v65, vcc_lo
	global_store_b32 v[61:62], v60, off
	flat_load_b32 v60, v[128:129]
	s_waitcnt vmcnt(0) lgkmcnt(0)
	v_mul_f32_e32 v60, s22, v60
.LBB68_94:
	v_dual_add_f32 v61, v29, v53 :: v_dual_add_f32 v62, v28, v52
	v_dual_add_f32 v63, v25, v53 :: v_dual_add_f32 v128, v24, v52
	;; [unrolled: 1-line block ×3, first 2 shown]
	s_delay_alu instid0(VALU_DEP_3) | instskip(NEXT) | instid1(VALU_DEP_3)
	v_min3_f32 v61, v62, v61, v127
	v_min3_f32 v62, v128, v63, v126
	v_dual_add_f32 v63, v27, v55 :: v_dual_add_f32 v126, v26, v54
	s_delay_alu instid0(VALU_DEP_1) | instskip(SKIP_1) | instid1(VALU_DEP_1)
	v_min3_f32 v63, v126, v63, v62
	v_min_f32_e32 v127, v130, v129
	v_min3_f32 v126, v60, v127, v61
	s_delay_alu instid0(VALU_DEP_3)
	v_max_f32_e32 v60, v63, v63
	v_add_co_u32 v61, vcc_lo, v56, v64
	v_add_co_ci_u32_e32 v62, vcc_lo, v57, v65, vcc_lo
	s_mov_b32 vcc_lo, s2
	global_store_b32 v[61:62], v126, off
	s_cbranch_vccz .LBB68_97
; %bb.95:
	v_add_co_u32 v61, vcc_lo, v56, v70
	v_min_f32_e32 v63, 0, v60
	v_add_co_ci_u32_e32 v62, vcc_lo, v57, v71, vcc_lo
	s_mov_b32 s5, 0
	global_store_b32 v[61:62], v63, off
	s_cbranch_execz .LBB68_98
; %bb.96:
	v_mov_b32_e32 v60, s5
	s_branch .LBB68_99
.LBB68_97:
	s_mov_b32 s5, -1
.LBB68_98:
	v_add_co_u32 v61, vcc_lo, v58, v70
	v_add_co_ci_u32_e32 v62, vcc_lo, v59, v71, vcc_lo
	flat_load_b32 v61, v[61:62]
	s_waitcnt vmcnt(0) lgkmcnt(0)
	v_mul_f32_e32 v63, s22, v61
	v_add_co_u32 v61, vcc_lo, v56, v70
	v_add_co_ci_u32_e32 v62, vcc_lo, v57, v71, vcc_lo
	v_add_co_u32 v126, vcc_lo, v58, v68
	s_delay_alu instid0(VALU_DEP_4)
	v_min_f32_e32 v60, v63, v60
	v_add_co_ci_u32_e32 v127, vcc_lo, v59, v69, vcc_lo
	global_store_b32 v[61:62], v60, off
	flat_load_b32 v60, v[126:127]
	s_waitcnt vmcnt(0) lgkmcnt(0)
	v_mul_f32_e32 v60, s22, v60
.LBB68_99:
	v_dual_add_f32 v61, v21, v53 :: v_dual_add_f32 v62, v20, v52
	v_dual_add_f32 v63, v17, v53 :: v_dual_add_f32 v126, v16, v52
	;; [unrolled: 1-line block ×3, first 2 shown]
	s_delay_alu instid0(VALU_DEP_3) | instskip(SKIP_1) | instid1(VALU_DEP_4)
	v_min3_f32 v61, v62, v61, v124
	v_add_f32_e32 v124, v18, v54
	v_min3_f32 v62, v126, v63, v125
	v_add_f32_e32 v63, v19, v55
	v_min_f32_e32 v125, v128, v127
	s_delay_alu instid0(VALU_DEP_2) | instskip(NEXT) | instid1(VALU_DEP_2)
	v_min3_f32 v63, v124, v63, v62
	v_min3_f32 v124, v60, v125, v61
	v_add_co_u32 v61, vcc_lo, v56, v68
	v_add_co_ci_u32_e32 v62, vcc_lo, v57, v69, vcc_lo
	s_delay_alu instid0(VALU_DEP_4)
	v_max_f32_e32 v60, v63, v63
	s_mov_b32 vcc_lo, s2
	global_store_b32 v[61:62], v124, off
	s_cbranch_vccz .LBB68_102
; %bb.100:
	v_add_co_u32 v61, vcc_lo, v56, v74
	v_min_f32_e32 v63, 0, v60
	v_add_co_ci_u32_e32 v62, vcc_lo, v57, v75, vcc_lo
	s_mov_b32 s5, 0
	global_store_b32 v[61:62], v63, off
	s_cbranch_execz .LBB68_103
; %bb.101:
	v_mov_b32_e32 v60, s5
	s_branch .LBB68_104
.LBB68_102:
	s_mov_b32 s5, -1
.LBB68_103:
	v_add_co_u32 v61, vcc_lo, v58, v74
	v_add_co_ci_u32_e32 v62, vcc_lo, v59, v75, vcc_lo
	flat_load_b32 v61, v[61:62]
	s_waitcnt vmcnt(0) lgkmcnt(0)
	v_mul_f32_e32 v63, s22, v61
	v_add_co_u32 v61, vcc_lo, v56, v74
	v_add_co_ci_u32_e32 v62, vcc_lo, v57, v75, vcc_lo
	v_add_co_u32 v124, vcc_lo, v58, v72
	s_delay_alu instid0(VALU_DEP_4)
	v_min_f32_e32 v60, v63, v60
	v_add_co_ci_u32_e32 v125, vcc_lo, v59, v73, vcc_lo
	global_store_b32 v[61:62], v60, off
	flat_load_b32 v60, v[124:125]
	s_waitcnt vmcnt(0) lgkmcnt(0)
	v_mul_f32_e32 v60, s22, v60
.LBB68_104:
	v_dual_add_f32 v61, v13, v53 :: v_dual_add_f32 v62, v12, v52
	v_dual_add_f32 v63, v9, v53 :: v_dual_add_f32 v124, v8, v52
	v_dual_add_f32 v125, v15, v55 :: v_dual_add_f32 v126, v14, v54
	s_delay_alu instid0(VALU_DEP_3) | instskip(SKIP_1) | instid1(VALU_DEP_4)
	v_min3_f32 v61, v62, v61, v122
	v_add_f32_e32 v122, v10, v54
	v_min3_f32 v62, v124, v63, v123
	v_add_f32_e32 v63, v11, v55
	s_delay_alu instid0(VALU_DEP_1) | instskip(SKIP_1) | instid1(VALU_DEP_1)
	v_min3_f32 v63, v122, v63, v62
	v_min_f32_e32 v123, v126, v125
	v_min3_f32 v122, v60, v123, v61
	s_delay_alu instid0(VALU_DEP_3)
	v_max_f32_e32 v60, v63, v63
	v_add_co_u32 v61, vcc_lo, v56, v72
	v_add_co_ci_u32_e32 v62, vcc_lo, v57, v73, vcc_lo
	s_mov_b32 vcc_lo, s2
	global_store_b32 v[61:62], v122, off
	s_cbranch_vccz .LBB68_107
; %bb.105:
	v_add_co_u32 v61, vcc_lo, v56, v78
	v_min_f32_e32 v63, 0, v60
	v_add_co_ci_u32_e32 v62, vcc_lo, v57, v79, vcc_lo
	s_mov_b32 s5, 0
	global_store_b32 v[61:62], v63, off
	s_cbranch_execz .LBB68_108
; %bb.106:
	v_mov_b32_e32 v58, s5
	s_branch .LBB68_109
.LBB68_107:
	s_mov_b32 s5, -1
.LBB68_108:
	v_add_co_u32 v61, vcc_lo, v58, v78
	v_add_co_ci_u32_e32 v62, vcc_lo, v59, v79, vcc_lo
	flat_load_b32 v61, v[61:62]
	s_waitcnt vmcnt(0) lgkmcnt(0)
	v_mul_f32_e32 v63, s22, v61
	v_add_co_u32 v61, vcc_lo, v56, v78
	v_add_co_ci_u32_e32 v62, vcc_lo, v57, v79, vcc_lo
	v_add_co_u32 v58, vcc_lo, v58, v76
	s_delay_alu instid0(VALU_DEP_4)
	v_min_f32_e32 v60, v63, v60
	v_add_co_ci_u32_e32 v59, vcc_lo, v59, v77, vcc_lo
	global_store_b32 v[61:62], v60, off
	flat_load_b32 v58, v[58:59]
	s_waitcnt vmcnt(0) lgkmcnt(0)
	v_mul_f32_e32 v58, s22, v58
.LBB68_109:
	v_dual_add_f32 v59, v33, v49 :: v_dual_add_f32 v60, v32, v48
	v_dual_add_f32 v53, v1, v53 :: v_dual_add_f32 v52, v0, v52
	;; [unrolled: 1-line block ×3, first 2 shown]
	s_delay_alu instid0(VALU_DEP_3) | instskip(SKIP_1) | instid1(VALU_DEP_4)
	v_min3_f32 v59, v60, v59, v121
	v_dual_add_f32 v63, v34, v50 :: v_dual_add_nc_u32 v60, 0x60, v111
	v_min3_f32 v61, v52, v53, v120
	s_delay_alu instid0(VALU_DEP_4) | instskip(SKIP_1) | instid1(VALU_DEP_4)
	v_min_f32_e32 v120, v54, v55
	v_add_f32_e32 v62, v35, v51
	v_mad_i64_i32 v[52:53], null, v60, s3, 0
	v_mad_i64_i32 v[54:55], null, v60, s0, 0
	s_delay_alu instid0(VALU_DEP_4)
	v_min3_f32 v61, v58, v120, v61
	v_add_co_u32 v58, vcc_lo, v56, v76
	v_min3_f32 v60, v63, v62, v59
	v_lshlrev_b64 v[52:53], 2, v[52:53]
	v_add_co_ci_u32_e32 v59, vcc_lo, v57, v77, vcc_lo
	v_lshlrev_b64 v[54:55], 2, v[54:55]
	s_delay_alu instid0(VALU_DEP_4) | instskip(NEXT) | instid1(VALU_DEP_4)
	v_max_f32_e32 v56, v60, v60
	v_add_co_u32 v52, vcc_lo, s1, v52
	v_add_co_ci_u32_e32 v53, vcc_lo, s4, v53, vcc_lo
	s_delay_alu instid0(VALU_DEP_4)
	v_add_co_u32 v54, vcc_lo, s6, v54
	v_add_co_ci_u32_e32 v55, vcc_lo, s7, v55, vcc_lo
	s_mov_b32 vcc_lo, s2
	global_store_b32 v[58:59], v61, off
	s_cbranch_vccz .LBB68_112
; %bb.110:
	v_add_co_u32 v57, vcc_lo, v52, v66
	v_min_f32_e32 v59, 0, v56
	v_add_co_ci_u32_e32 v58, vcc_lo, v53, v67, vcc_lo
	s_mov_b32 s5, 0
	global_store_b32 v[57:58], v59, off
	s_cbranch_execz .LBB68_113
; %bb.111:
	v_mov_b32_e32 v56, s5
	s_branch .LBB68_114
.LBB68_112:
	s_mov_b32 s5, -1
.LBB68_113:
	v_add_co_u32 v57, vcc_lo, v54, v66
	v_add_co_ci_u32_e32 v58, vcc_lo, v55, v67, vcc_lo
	flat_load_b32 v57, v[57:58]
	s_waitcnt vmcnt(0) lgkmcnt(0)
	v_mul_f32_e32 v59, s22, v57
	v_add_co_u32 v57, vcc_lo, v52, v66
	v_add_co_ci_u32_e32 v58, vcc_lo, v53, v67, vcc_lo
	s_delay_alu instid0(VALU_DEP_3)
	v_min_f32_e32 v56, v59, v56
	v_add_co_u32 v59, vcc_lo, v54, v64
	v_add_co_ci_u32_e32 v60, vcc_lo, v55, v65, vcc_lo
	global_store_b32 v[57:58], v56, off
	flat_load_b32 v56, v[59:60]
	s_waitcnt vmcnt(0) lgkmcnt(0)
	v_mul_f32_e32 v56, s22, v56
.LBB68_114:
	v_dual_add_f32 v57, v29, v49 :: v_dual_add_f32 v58, v28, v48
	v_dual_add_f32 v59, v25, v49 :: v_dual_add_f32 v60, v24, v48
	v_dual_add_f32 v61, v31, v51 :: v_dual_add_f32 v62, v30, v50
	s_delay_alu instid0(VALU_DEP_3) | instskip(NEXT) | instid1(VALU_DEP_3)
	v_min3_f32 v57, v58, v57, v118
	v_min3_f32 v58, v60, v59, v119
	v_dual_add_f32 v59, v27, v51 :: v_dual_add_f32 v60, v26, v50
	s_delay_alu instid0(VALU_DEP_1) | instskip(SKIP_1) | instid1(VALU_DEP_1)
	v_min3_f32 v59, v60, v59, v58
	v_min_f32_e32 v61, v62, v61
	v_min3_f32 v60, v56, v61, v57
	s_delay_alu instid0(VALU_DEP_3)
	v_max_f32_e32 v56, v59, v59
	v_add_co_u32 v57, vcc_lo, v52, v64
	v_add_co_ci_u32_e32 v58, vcc_lo, v53, v65, vcc_lo
	s_mov_b32 vcc_lo, s2
	global_store_b32 v[57:58], v60, off
	s_cbranch_vccz .LBB68_117
; %bb.115:
	v_add_co_u32 v57, vcc_lo, v52, v70
	v_min_f32_e32 v59, 0, v56
	v_add_co_ci_u32_e32 v58, vcc_lo, v53, v71, vcc_lo
	s_mov_b32 s5, 0
	global_store_b32 v[57:58], v59, off
	s_cbranch_execz .LBB68_118
; %bb.116:
	v_mov_b32_e32 v56, s5
	s_branch .LBB68_119
.LBB68_117:
	s_mov_b32 s5, -1
.LBB68_118:
	v_add_co_u32 v57, vcc_lo, v54, v70
	v_add_co_ci_u32_e32 v58, vcc_lo, v55, v71, vcc_lo
	flat_load_b32 v57, v[57:58]
	s_waitcnt vmcnt(0) lgkmcnt(0)
	v_mul_f32_e32 v59, s22, v57
	v_add_co_u32 v57, vcc_lo, v52, v70
	v_add_co_ci_u32_e32 v58, vcc_lo, v53, v71, vcc_lo
	s_delay_alu instid0(VALU_DEP_3)
	v_min_f32_e32 v56, v59, v56
	v_add_co_u32 v59, vcc_lo, v54, v68
	v_add_co_ci_u32_e32 v60, vcc_lo, v55, v69, vcc_lo
	global_store_b32 v[57:58], v56, off
	flat_load_b32 v56, v[59:60]
	s_waitcnt vmcnt(0) lgkmcnt(0)
	v_mul_f32_e32 v56, s22, v56
.LBB68_119:
	v_dual_add_f32 v57, v21, v49 :: v_dual_add_f32 v58, v20, v48
	v_dual_add_f32 v59, v17, v49 :: v_dual_add_f32 v60, v16, v48
	v_dual_add_f32 v61, v23, v51 :: v_dual_add_f32 v62, v22, v50
	s_delay_alu instid0(VALU_DEP_3) | instskip(NEXT) | instid1(VALU_DEP_3)
	v_min3_f32 v57, v58, v57, v117
	v_min3_f32 v58, v60, v59, v116
	v_dual_add_f32 v59, v19, v51 :: v_dual_add_f32 v60, v18, v50
	s_delay_alu instid0(VALU_DEP_1) | instskip(SKIP_1) | instid1(VALU_DEP_1)
	v_min3_f32 v59, v60, v59, v58
	v_min_f32_e32 v61, v62, v61
	v_min3_f32 v60, v56, v61, v57
	s_delay_alu instid0(VALU_DEP_3)
	v_max_f32_e32 v56, v59, v59
	v_add_co_u32 v57, vcc_lo, v52, v68
	v_add_co_ci_u32_e32 v58, vcc_lo, v53, v69, vcc_lo
	s_mov_b32 vcc_lo, s2
	global_store_b32 v[57:58], v60, off
	s_cbranch_vccz .LBB68_122
; %bb.120:
	v_add_co_u32 v57, vcc_lo, v52, v74
	v_min_f32_e32 v59, 0, v56
	v_add_co_ci_u32_e32 v58, vcc_lo, v53, v75, vcc_lo
	s_mov_b32 s5, 0
	global_store_b32 v[57:58], v59, off
	s_cbranch_execz .LBB68_123
; %bb.121:
	v_mov_b32_e32 v56, s5
	s_branch .LBB68_124
.LBB68_122:
	s_mov_b32 s5, -1
.LBB68_123:
	v_add_co_u32 v57, vcc_lo, v54, v74
	v_add_co_ci_u32_e32 v58, vcc_lo, v55, v75, vcc_lo
	flat_load_b32 v57, v[57:58]
	s_waitcnt vmcnt(0) lgkmcnt(0)
	v_mul_f32_e32 v59, s22, v57
	v_add_co_u32 v57, vcc_lo, v52, v74
	v_add_co_ci_u32_e32 v58, vcc_lo, v53, v75, vcc_lo
	s_delay_alu instid0(VALU_DEP_3)
	v_min_f32_e32 v56, v59, v56
	v_add_co_u32 v59, vcc_lo, v54, v72
	v_add_co_ci_u32_e32 v60, vcc_lo, v55, v73, vcc_lo
	global_store_b32 v[57:58], v56, off
	flat_load_b32 v56, v[59:60]
	s_waitcnt vmcnt(0) lgkmcnt(0)
	v_mul_f32_e32 v56, s22, v56
.LBB68_124:
	v_dual_add_f32 v57, v13, v49 :: v_dual_add_f32 v58, v12, v48
	v_dual_add_f32 v59, v9, v49 :: v_dual_add_f32 v60, v8, v48
	v_dual_add_f32 v61, v15, v51 :: v_dual_add_f32 v62, v14, v50
	s_delay_alu instid0(VALU_DEP_3) | instskip(NEXT) | instid1(VALU_DEP_3)
	v_min3_f32 v57, v58, v57, v114
	v_min3_f32 v58, v60, v59, v115
	v_dual_add_f32 v59, v11, v51 :: v_dual_add_f32 v60, v10, v50
	s_delay_alu instid0(VALU_DEP_1) | instskip(SKIP_1) | instid1(VALU_DEP_1)
	v_min3_f32 v59, v60, v59, v58
	v_min_f32_e32 v61, v62, v61
	v_min3_f32 v60, v56, v61, v57
	s_delay_alu instid0(VALU_DEP_3)
	v_max_f32_e32 v56, v59, v59
	v_add_co_u32 v57, vcc_lo, v52, v72
	v_add_co_ci_u32_e32 v58, vcc_lo, v53, v73, vcc_lo
	s_mov_b32 vcc_lo, s2
	global_store_b32 v[57:58], v60, off
	s_cbranch_vccz .LBB68_127
; %bb.125:
	v_add_co_u32 v57, vcc_lo, v52, v78
	v_min_f32_e32 v59, 0, v56
	v_add_co_ci_u32_e32 v58, vcc_lo, v53, v79, vcc_lo
	s_mov_b32 s5, 0
	global_store_b32 v[57:58], v59, off
	s_cbranch_execz .LBB68_128
; %bb.126:
	v_mov_b32_e32 v54, s5
	s_branch .LBB68_129
.LBB68_127:
	s_mov_b32 s5, -1
.LBB68_128:
	v_add_co_u32 v57, vcc_lo, v54, v78
	v_add_co_ci_u32_e32 v58, vcc_lo, v55, v79, vcc_lo
	flat_load_b32 v57, v[57:58]
	s_waitcnt vmcnt(0) lgkmcnt(0)
	v_mul_f32_e32 v59, s22, v57
	v_add_co_u32 v57, vcc_lo, v52, v78
	v_add_co_ci_u32_e32 v58, vcc_lo, v53, v79, vcc_lo
	v_add_co_u32 v54, vcc_lo, v54, v76
	s_delay_alu instid0(VALU_DEP_4)
	v_min_f32_e32 v56, v59, v56
	v_add_co_ci_u32_e32 v55, vcc_lo, v55, v77, vcc_lo
	global_store_b32 v[57:58], v56, off
	flat_load_b32 v54, v[54:55]
	s_waitcnt vmcnt(0) lgkmcnt(0)
	v_mul_f32_e32 v54, s22, v54
.LBB68_129:
	v_dual_add_f32 v55, v33, v45 :: v_dual_add_f32 v56, v32, v44
	v_dual_add_f32 v49, v1, v49 :: v_dual_add_f32 v48, v0, v48
	;; [unrolled: 1-line block ×3, first 2 shown]
	s_delay_alu instid0(VALU_DEP_3) | instskip(SKIP_1) | instid1(VALU_DEP_4)
	v_min3_f32 v55, v56, v55, v113
	v_dual_add_f32 v59, v34, v46 :: v_dual_add_nc_u32 v56, 0x80, v111
	v_min3_f32 v57, v48, v49, v112
	s_delay_alu instid0(VALU_DEP_4) | instskip(SKIP_1) | instid1(VALU_DEP_4)
	v_min_f32_e32 v60, v50, v51
	v_add_f32_e32 v58, v35, v47
	v_mad_i64_i32 v[48:49], null, v56, s3, 0
	v_mad_i64_i32 v[50:51], null, v56, s0, 0
	s_delay_alu instid0(VALU_DEP_4)
	v_min3_f32 v57, v54, v60, v57
	v_add_co_u32 v54, vcc_lo, v52, v76
	v_min3_f32 v56, v59, v58, v55
	v_lshlrev_b64 v[48:49], 2, v[48:49]
	v_add_co_ci_u32_e32 v55, vcc_lo, v53, v77, vcc_lo
	v_lshlrev_b64 v[50:51], 2, v[50:51]
	s_delay_alu instid0(VALU_DEP_4) | instskip(NEXT) | instid1(VALU_DEP_4)
	v_max_f32_e32 v52, v56, v56
	v_add_co_u32 v48, vcc_lo, s1, v48
	v_add_co_ci_u32_e32 v49, vcc_lo, s4, v49, vcc_lo
	s_delay_alu instid0(VALU_DEP_4)
	v_add_co_u32 v50, vcc_lo, s6, v50
	v_add_co_ci_u32_e32 v51, vcc_lo, s7, v51, vcc_lo
	s_mov_b32 vcc_lo, s2
	global_store_b32 v[54:55], v57, off
	s_cbranch_vccz .LBB68_132
; %bb.130:
	v_add_co_u32 v53, vcc_lo, v48, v66
	v_min_f32_e32 v55, 0, v52
	v_add_co_ci_u32_e32 v54, vcc_lo, v49, v67, vcc_lo
	s_mov_b32 s5, 0
	global_store_b32 v[53:54], v55, off
	s_cbranch_execz .LBB68_133
; %bb.131:
	v_mov_b32_e32 v52, s5
	s_branch .LBB68_134
.LBB68_132:
	s_mov_b32 s5, -1
.LBB68_133:
	v_add_co_u32 v53, vcc_lo, v50, v66
	v_add_co_ci_u32_e32 v54, vcc_lo, v51, v67, vcc_lo
	flat_load_b32 v53, v[53:54]
	s_waitcnt vmcnt(0) lgkmcnt(0)
	v_mul_f32_e32 v55, s22, v53
	v_add_co_u32 v53, vcc_lo, v48, v66
	v_add_co_ci_u32_e32 v54, vcc_lo, v49, v67, vcc_lo
	s_delay_alu instid0(VALU_DEP_3)
	v_min_f32_e32 v52, v55, v52
	v_add_co_u32 v55, vcc_lo, v50, v64
	v_add_co_ci_u32_e32 v56, vcc_lo, v51, v65, vcc_lo
	global_store_b32 v[53:54], v52, off
	flat_load_b32 v52, v[55:56]
	s_waitcnt vmcnt(0) lgkmcnt(0)
	v_mul_f32_e32 v52, s22, v52
.LBB68_134:
	v_dual_add_f32 v53, v29, v45 :: v_dual_add_f32 v54, v28, v44
	v_dual_add_f32 v55, v25, v45 :: v_dual_add_f32 v56, v24, v44
	v_dual_add_f32 v57, v31, v47 :: v_dual_add_f32 v58, v30, v46
	s_delay_alu instid0(VALU_DEP_3) | instskip(NEXT) | instid1(VALU_DEP_3)
	v_min3_f32 v53, v54, v53, v109
	v_min3_f32 v54, v56, v55, v110
	v_dual_add_f32 v55, v27, v47 :: v_dual_add_f32 v56, v26, v46
	s_delay_alu instid0(VALU_DEP_1) | instskip(SKIP_1) | instid1(VALU_DEP_1)
	v_min3_f32 v55, v56, v55, v54
	v_min_f32_e32 v57, v58, v57
	v_min3_f32 v56, v52, v57, v53
	s_delay_alu instid0(VALU_DEP_3)
	v_max_f32_e32 v52, v55, v55
	v_add_co_u32 v53, vcc_lo, v48, v64
	v_add_co_ci_u32_e32 v54, vcc_lo, v49, v65, vcc_lo
	s_mov_b32 vcc_lo, s2
	global_store_b32 v[53:54], v56, off
	s_cbranch_vccz .LBB68_137
; %bb.135:
	v_add_co_u32 v53, vcc_lo, v48, v70
	v_min_f32_e32 v55, 0, v52
	v_add_co_ci_u32_e32 v54, vcc_lo, v49, v71, vcc_lo
	s_mov_b32 s5, 0
	global_store_b32 v[53:54], v55, off
	s_cbranch_execz .LBB68_138
; %bb.136:
	v_mov_b32_e32 v52, s5
	s_branch .LBB68_139
.LBB68_137:
	s_mov_b32 s5, -1
.LBB68_138:
	v_add_co_u32 v53, vcc_lo, v50, v70
	v_add_co_ci_u32_e32 v54, vcc_lo, v51, v71, vcc_lo
	flat_load_b32 v53, v[53:54]
	s_waitcnt vmcnt(0) lgkmcnt(0)
	v_mul_f32_e32 v55, s22, v53
	v_add_co_u32 v53, vcc_lo, v48, v70
	v_add_co_ci_u32_e32 v54, vcc_lo, v49, v71, vcc_lo
	s_delay_alu instid0(VALU_DEP_3)
	v_min_f32_e32 v52, v55, v52
	v_add_co_u32 v55, vcc_lo, v50, v68
	v_add_co_ci_u32_e32 v56, vcc_lo, v51, v69, vcc_lo
	global_store_b32 v[53:54], v52, off
	flat_load_b32 v52, v[55:56]
	s_waitcnt vmcnt(0) lgkmcnt(0)
	v_mul_f32_e32 v52, s22, v52
.LBB68_139:
	v_dual_add_f32 v53, v21, v45 :: v_dual_add_f32 v54, v20, v44
	v_dual_add_f32 v55, v17, v45 :: v_dual_add_f32 v56, v16, v44
	v_dual_add_f32 v57, v23, v47 :: v_dual_add_f32 v58, v22, v46
	s_delay_alu instid0(VALU_DEP_3) | instskip(NEXT) | instid1(VALU_DEP_3)
	v_min3_f32 v53, v54, v53, v107
	v_min3_f32 v54, v56, v55, v108
	v_dual_add_f32 v55, v19, v47 :: v_dual_add_f32 v56, v18, v46
	s_delay_alu instid0(VALU_DEP_1) | instskip(SKIP_1) | instid1(VALU_DEP_1)
	v_min3_f32 v55, v56, v55, v54
	v_min_f32_e32 v57, v58, v57
	v_min3_f32 v56, v52, v57, v53
	s_delay_alu instid0(VALU_DEP_3)
	v_max_f32_e32 v52, v55, v55
	;; [unrolled: 47-line block ×3, first 2 shown]
	v_add_co_u32 v53, vcc_lo, v48, v72
	v_add_co_ci_u32_e32 v54, vcc_lo, v49, v73, vcc_lo
	s_mov_b32 vcc_lo, s2
	global_store_b32 v[53:54], v56, off
	s_cbranch_vccz .LBB68_147
; %bb.145:
	v_add_co_u32 v53, vcc_lo, v48, v78
	v_min_f32_e32 v55, 0, v52
	v_add_co_ci_u32_e32 v54, vcc_lo, v49, v79, vcc_lo
	s_mov_b32 s5, 0
	global_store_b32 v[53:54], v55, off
	s_cbranch_execz .LBB68_148
; %bb.146:
	v_mov_b32_e32 v50, s5
	s_branch .LBB68_149
.LBB68_147:
	s_mov_b32 s5, -1
.LBB68_148:
	v_add_co_u32 v53, vcc_lo, v50, v78
	v_add_co_ci_u32_e32 v54, vcc_lo, v51, v79, vcc_lo
	flat_load_b32 v53, v[53:54]
	s_waitcnt vmcnt(0) lgkmcnt(0)
	v_mul_f32_e32 v55, s22, v53
	v_add_co_u32 v53, vcc_lo, v48, v78
	v_add_co_ci_u32_e32 v54, vcc_lo, v49, v79, vcc_lo
	v_add_co_u32 v50, vcc_lo, v50, v76
	s_delay_alu instid0(VALU_DEP_4)
	v_min_f32_e32 v52, v55, v52
	v_add_co_ci_u32_e32 v51, vcc_lo, v51, v77, vcc_lo
	global_store_b32 v[53:54], v52, off
	flat_load_b32 v50, v[50:51]
	s_waitcnt vmcnt(0) lgkmcnt(0)
	v_mul_f32_e32 v50, s22, v50
.LBB68_149:
	v_dual_add_f32 v51, v33, v41 :: v_dual_add_f32 v52, v32, v40
	v_dual_add_f32 v45, v1, v45 :: v_dual_add_f32 v44, v0, v44
	;; [unrolled: 1-line block ×3, first 2 shown]
	s_delay_alu instid0(VALU_DEP_3) | instskip(SKIP_1) | instid1(VALU_DEP_4)
	v_min3_f32 v51, v52, v51, v104
	v_dual_add_f32 v55, v34, v42 :: v_dual_add_nc_u32 v52, 0xa0, v111
	v_min3_f32 v53, v44, v45, v103
	s_delay_alu instid0(VALU_DEP_4) | instskip(SKIP_1) | instid1(VALU_DEP_4)
	v_min_f32_e32 v56, v46, v47
	v_add_f32_e32 v54, v35, v43
	v_mad_i64_i32 v[44:45], null, v52, s3, 0
	v_mad_i64_i32 v[46:47], null, v52, s0, 0
	s_delay_alu instid0(VALU_DEP_4)
	v_min3_f32 v53, v50, v56, v53
	v_add_co_u32 v50, vcc_lo, v48, v76
	v_min3_f32 v52, v55, v54, v51
	v_lshlrev_b64 v[44:45], 2, v[44:45]
	v_add_co_ci_u32_e32 v51, vcc_lo, v49, v77, vcc_lo
	v_lshlrev_b64 v[46:47], 2, v[46:47]
	s_delay_alu instid0(VALU_DEP_4) | instskip(NEXT) | instid1(VALU_DEP_4)
	v_max_f32_e32 v48, v52, v52
	v_add_co_u32 v44, vcc_lo, s1, v44
	v_add_co_ci_u32_e32 v45, vcc_lo, s4, v45, vcc_lo
	s_delay_alu instid0(VALU_DEP_4)
	v_add_co_u32 v46, vcc_lo, s6, v46
	v_add_co_ci_u32_e32 v47, vcc_lo, s7, v47, vcc_lo
	s_mov_b32 vcc_lo, s2
	global_store_b32 v[50:51], v53, off
	s_cbranch_vccz .LBB68_152
; %bb.150:
	v_add_co_u32 v49, vcc_lo, v44, v66
	v_min_f32_e32 v51, 0, v48
	v_add_co_ci_u32_e32 v50, vcc_lo, v45, v67, vcc_lo
	s_mov_b32 s5, 0
	global_store_b32 v[49:50], v51, off
	s_cbranch_execz .LBB68_153
; %bb.151:
	v_mov_b32_e32 v48, s5
	s_branch .LBB68_154
.LBB68_152:
	s_mov_b32 s5, -1
.LBB68_153:
	v_add_co_u32 v49, vcc_lo, v46, v66
	v_add_co_ci_u32_e32 v50, vcc_lo, v47, v67, vcc_lo
	flat_load_b32 v49, v[49:50]
	s_waitcnt vmcnt(0) lgkmcnt(0)
	v_mul_f32_e32 v51, s22, v49
	v_add_co_u32 v49, vcc_lo, v44, v66
	v_add_co_ci_u32_e32 v50, vcc_lo, v45, v67, vcc_lo
	s_delay_alu instid0(VALU_DEP_3)
	v_min_f32_e32 v48, v51, v48
	v_add_co_u32 v51, vcc_lo, v46, v64
	v_add_co_ci_u32_e32 v52, vcc_lo, v47, v65, vcc_lo
	global_store_b32 v[49:50], v48, off
	flat_load_b32 v48, v[51:52]
	s_waitcnt vmcnt(0) lgkmcnt(0)
	v_mul_f32_e32 v48, s22, v48
.LBB68_154:
	v_dual_add_f32 v49, v29, v41 :: v_dual_add_f32 v50, v28, v40
	v_dual_add_f32 v51, v25, v41 :: v_dual_add_f32 v52, v24, v40
	v_dual_add_f32 v53, v31, v43 :: v_dual_add_f32 v54, v30, v42
	s_delay_alu instid0(VALU_DEP_3) | instskip(NEXT) | instid1(VALU_DEP_3)
	v_min3_f32 v49, v50, v49, v101
	v_min3_f32 v50, v52, v51, v102
	v_dual_add_f32 v51, v27, v43 :: v_dual_add_f32 v52, v26, v42
	s_delay_alu instid0(VALU_DEP_1) | instskip(SKIP_1) | instid1(VALU_DEP_1)
	v_min3_f32 v51, v52, v51, v50
	v_min_f32_e32 v53, v54, v53
	v_min3_f32 v52, v48, v53, v49
	s_delay_alu instid0(VALU_DEP_3)
	v_max_f32_e32 v48, v51, v51
	v_add_co_u32 v49, vcc_lo, v44, v64
	v_add_co_ci_u32_e32 v50, vcc_lo, v45, v65, vcc_lo
	s_mov_b32 vcc_lo, s2
	global_store_b32 v[49:50], v52, off
	s_cbranch_vccz .LBB68_157
; %bb.155:
	v_add_co_u32 v49, vcc_lo, v44, v70
	v_min_f32_e32 v51, 0, v48
	v_add_co_ci_u32_e32 v50, vcc_lo, v45, v71, vcc_lo
	s_mov_b32 s5, 0
	global_store_b32 v[49:50], v51, off
	s_cbranch_execz .LBB68_158
; %bb.156:
	v_mov_b32_e32 v48, s5
	s_branch .LBB68_159
.LBB68_157:
	s_mov_b32 s5, -1
.LBB68_158:
	v_add_co_u32 v49, vcc_lo, v46, v70
	v_add_co_ci_u32_e32 v50, vcc_lo, v47, v71, vcc_lo
	flat_load_b32 v49, v[49:50]
	s_waitcnt vmcnt(0) lgkmcnt(0)
	v_mul_f32_e32 v51, s22, v49
	v_add_co_u32 v49, vcc_lo, v44, v70
	v_add_co_ci_u32_e32 v50, vcc_lo, v45, v71, vcc_lo
	s_delay_alu instid0(VALU_DEP_3)
	v_min_f32_e32 v48, v51, v48
	v_add_co_u32 v51, vcc_lo, v46, v68
	v_add_co_ci_u32_e32 v52, vcc_lo, v47, v69, vcc_lo
	global_store_b32 v[49:50], v48, off
	flat_load_b32 v48, v[51:52]
	s_waitcnt vmcnt(0) lgkmcnt(0)
	v_mul_f32_e32 v48, s22, v48
.LBB68_159:
	v_dual_add_f32 v49, v21, v41 :: v_dual_add_f32 v50, v20, v40
	v_dual_add_f32 v51, v17, v41 :: v_dual_add_f32 v52, v16, v40
	v_dual_add_f32 v53, v23, v43 :: v_dual_add_f32 v54, v22, v42
	s_delay_alu instid0(VALU_DEP_3) | instskip(NEXT) | instid1(VALU_DEP_3)
	v_min3_f32 v49, v50, v49, v99
	v_min3_f32 v50, v52, v51, v100
	v_dual_add_f32 v51, v19, v43 :: v_dual_add_f32 v52, v18, v42
	s_delay_alu instid0(VALU_DEP_1) | instskip(SKIP_1) | instid1(VALU_DEP_1)
	v_min3_f32 v51, v52, v51, v50
	v_min_f32_e32 v53, v54, v53
	v_min3_f32 v52, v48, v53, v49
	s_delay_alu instid0(VALU_DEP_3)
	v_max_f32_e32 v48, v51, v51
	;; [unrolled: 47-line block ×3, first 2 shown]
	v_add_co_u32 v49, vcc_lo, v44, v72
	v_add_co_ci_u32_e32 v50, vcc_lo, v45, v73, vcc_lo
	s_mov_b32 vcc_lo, s2
	global_store_b32 v[49:50], v52, off
	s_cbranch_vccz .LBB68_167
; %bb.165:
	v_add_co_u32 v49, vcc_lo, v44, v78
	v_min_f32_e32 v51, 0, v48
	v_add_co_ci_u32_e32 v50, vcc_lo, v45, v79, vcc_lo
	s_mov_b32 s5, 0
	global_store_b32 v[49:50], v51, off
	s_cbranch_execz .LBB68_168
; %bb.166:
	v_mov_b32_e32 v46, s5
	s_branch .LBB68_169
.LBB68_167:
	s_mov_b32 s5, -1
.LBB68_168:
	v_add_co_u32 v49, vcc_lo, v46, v78
	v_add_co_ci_u32_e32 v50, vcc_lo, v47, v79, vcc_lo
	flat_load_b32 v49, v[49:50]
	s_waitcnt vmcnt(0) lgkmcnt(0)
	v_mul_f32_e32 v51, s22, v49
	v_add_co_u32 v49, vcc_lo, v44, v78
	v_add_co_ci_u32_e32 v50, vcc_lo, v45, v79, vcc_lo
	v_add_co_u32 v46, vcc_lo, v46, v76
	s_delay_alu instid0(VALU_DEP_4)
	v_min_f32_e32 v48, v51, v48
	v_add_co_ci_u32_e32 v47, vcc_lo, v47, v77, vcc_lo
	global_store_b32 v[49:50], v48, off
	flat_load_b32 v46, v[46:47]
	s_waitcnt vmcnt(0) lgkmcnt(0)
	v_mul_f32_e32 v46, s22, v46
.LBB68_169:
	v_dual_add_f32 v47, v33, v37 :: v_dual_add_f32 v48, v32, v36
	v_dual_add_f32 v41, v1, v41 :: v_dual_add_f32 v40, v0, v40
	;; [unrolled: 1-line block ×3, first 2 shown]
	s_delay_alu instid0(VALU_DEP_3) | instskip(SKIP_1) | instid1(VALU_DEP_4)
	v_min3_f32 v47, v48, v47, v95
	v_dual_add_f32 v51, v34, v38 :: v_dual_add_nc_u32 v48, 0xc0, v111
	v_min3_f32 v49, v40, v41, v96
	s_delay_alu instid0(VALU_DEP_4) | instskip(SKIP_1) | instid1(VALU_DEP_4)
	v_min_f32_e32 v52, v42, v43
	v_add_f32_e32 v50, v35, v39
	v_mad_i64_i32 v[40:41], null, v48, s3, 0
	v_mad_i64_i32 v[42:43], null, v48, s0, 0
	s_delay_alu instid0(VALU_DEP_4)
	v_min3_f32 v49, v46, v52, v49
	v_add_co_u32 v46, vcc_lo, v44, v76
	v_min3_f32 v48, v51, v50, v47
	v_lshlrev_b64 v[40:41], 2, v[40:41]
	v_add_co_ci_u32_e32 v47, vcc_lo, v45, v77, vcc_lo
	v_lshlrev_b64 v[42:43], 2, v[42:43]
	s_delay_alu instid0(VALU_DEP_4) | instskip(NEXT) | instid1(VALU_DEP_4)
	v_max_f32_e32 v44, v48, v48
	v_add_co_u32 v40, vcc_lo, s1, v40
	v_add_co_ci_u32_e32 v41, vcc_lo, s4, v41, vcc_lo
	s_delay_alu instid0(VALU_DEP_4)
	v_add_co_u32 v42, vcc_lo, s6, v42
	v_add_co_ci_u32_e32 v43, vcc_lo, s7, v43, vcc_lo
	s_mov_b32 vcc_lo, s2
	global_store_b32 v[46:47], v49, off
	s_cbranch_vccz .LBB68_172
; %bb.170:
	v_add_co_u32 v45, vcc_lo, v40, v66
	v_min_f32_e32 v47, 0, v44
	v_add_co_ci_u32_e32 v46, vcc_lo, v41, v67, vcc_lo
	s_mov_b32 s5, 0
	global_store_b32 v[45:46], v47, off
	s_cbranch_execz .LBB68_173
; %bb.171:
	v_mov_b32_e32 v44, s5
	s_branch .LBB68_174
.LBB68_172:
	s_mov_b32 s5, -1
.LBB68_173:
	v_add_co_u32 v45, vcc_lo, v42, v66
	v_add_co_ci_u32_e32 v46, vcc_lo, v43, v67, vcc_lo
	flat_load_b32 v45, v[45:46]
	s_waitcnt vmcnt(0) lgkmcnt(0)
	v_mul_f32_e32 v47, s22, v45
	v_add_co_u32 v45, vcc_lo, v40, v66
	v_add_co_ci_u32_e32 v46, vcc_lo, v41, v67, vcc_lo
	s_delay_alu instid0(VALU_DEP_3)
	v_min_f32_e32 v44, v47, v44
	v_add_co_u32 v47, vcc_lo, v42, v64
	v_add_co_ci_u32_e32 v48, vcc_lo, v43, v65, vcc_lo
	global_store_b32 v[45:46], v44, off
	flat_load_b32 v44, v[47:48]
	s_waitcnt vmcnt(0) lgkmcnt(0)
	v_mul_f32_e32 v44, s22, v44
.LBB68_174:
	v_dual_add_f32 v45, v29, v37 :: v_dual_add_f32 v46, v28, v36
	v_dual_add_f32 v47, v25, v37 :: v_dual_add_f32 v48, v24, v36
	v_dual_add_f32 v49, v31, v39 :: v_dual_add_f32 v50, v30, v38
	s_delay_alu instid0(VALU_DEP_3) | instskip(NEXT) | instid1(VALU_DEP_3)
	v_min3_f32 v45, v46, v45, v93
	v_min3_f32 v46, v48, v47, v94
	v_dual_add_f32 v47, v27, v39 :: v_dual_add_f32 v48, v26, v38
	s_delay_alu instid0(VALU_DEP_1) | instskip(SKIP_1) | instid1(VALU_DEP_1)
	v_min3_f32 v47, v48, v47, v46
	v_min_f32_e32 v49, v50, v49
	v_min3_f32 v48, v44, v49, v45
	s_delay_alu instid0(VALU_DEP_3)
	v_max_f32_e32 v44, v47, v47
	v_add_co_u32 v45, vcc_lo, v40, v64
	v_add_co_ci_u32_e32 v46, vcc_lo, v41, v65, vcc_lo
	s_mov_b32 vcc_lo, s2
	global_store_b32 v[45:46], v48, off
	s_cbranch_vccz .LBB68_177
; %bb.175:
	v_add_co_u32 v45, vcc_lo, v40, v70
	v_min_f32_e32 v47, 0, v44
	v_add_co_ci_u32_e32 v46, vcc_lo, v41, v71, vcc_lo
	s_mov_b32 s5, 0
	global_store_b32 v[45:46], v47, off
	s_cbranch_execz .LBB68_178
; %bb.176:
	v_mov_b32_e32 v44, s5
	s_branch .LBB68_179
.LBB68_177:
	s_mov_b32 s5, -1
.LBB68_178:
	v_add_co_u32 v45, vcc_lo, v42, v70
	v_add_co_ci_u32_e32 v46, vcc_lo, v43, v71, vcc_lo
	flat_load_b32 v45, v[45:46]
	s_waitcnt vmcnt(0) lgkmcnt(0)
	v_mul_f32_e32 v47, s22, v45
	v_add_co_u32 v45, vcc_lo, v40, v70
	v_add_co_ci_u32_e32 v46, vcc_lo, v41, v71, vcc_lo
	s_delay_alu instid0(VALU_DEP_3)
	v_min_f32_e32 v44, v47, v44
	v_add_co_u32 v47, vcc_lo, v42, v68
	v_add_co_ci_u32_e32 v48, vcc_lo, v43, v69, vcc_lo
	global_store_b32 v[45:46], v44, off
	flat_load_b32 v44, v[47:48]
	s_waitcnt vmcnt(0) lgkmcnt(0)
	v_mul_f32_e32 v44, s22, v44
.LBB68_179:
	v_dual_add_f32 v45, v21, v37 :: v_dual_add_f32 v46, v20, v36
	v_dual_add_f32 v47, v17, v37 :: v_dual_add_f32 v48, v16, v36
	v_dual_add_f32 v49, v23, v39 :: v_dual_add_f32 v50, v22, v38
	s_delay_alu instid0(VALU_DEP_3) | instskip(NEXT) | instid1(VALU_DEP_3)
	v_min3_f32 v45, v46, v45, v91
	v_min3_f32 v46, v48, v47, v92
	v_dual_add_f32 v47, v19, v39 :: v_dual_add_f32 v48, v18, v38
	s_delay_alu instid0(VALU_DEP_1) | instskip(SKIP_1) | instid1(VALU_DEP_1)
	v_min3_f32 v47, v48, v47, v46
	v_min_f32_e32 v49, v50, v49
	v_min3_f32 v48, v44, v49, v45
	s_delay_alu instid0(VALU_DEP_3)
	v_max_f32_e32 v44, v47, v47
	;; [unrolled: 47-line block ×3, first 2 shown]
	v_add_co_u32 v45, vcc_lo, v40, v72
	v_add_co_ci_u32_e32 v46, vcc_lo, v41, v73, vcc_lo
	s_mov_b32 vcc_lo, s2
	global_store_b32 v[45:46], v48, off
	s_cbranch_vccz .LBB68_187
; %bb.185:
	v_add_co_u32 v45, vcc_lo, v40, v78
	v_min_f32_e32 v47, 0, v44
	v_add_co_ci_u32_e32 v46, vcc_lo, v41, v79, vcc_lo
	s_mov_b32 s5, 0
	global_store_b32 v[45:46], v47, off
	s_cbranch_execz .LBB68_188
; %bb.186:
	v_mov_b32_e32 v42, s5
	s_branch .LBB68_189
.LBB68_187:
	s_mov_b32 s5, -1
.LBB68_188:
	v_add_co_u32 v45, vcc_lo, v42, v78
	v_add_co_ci_u32_e32 v46, vcc_lo, v43, v79, vcc_lo
	flat_load_b32 v45, v[45:46]
	s_waitcnt vmcnt(0) lgkmcnt(0)
	v_mul_f32_e32 v47, s22, v45
	v_add_co_u32 v45, vcc_lo, v40, v78
	v_add_co_ci_u32_e32 v46, vcc_lo, v41, v79, vcc_lo
	v_add_co_u32 v42, vcc_lo, v42, v76
	s_delay_alu instid0(VALU_DEP_4)
	v_min_f32_e32 v44, v47, v44
	v_add_co_ci_u32_e32 v43, vcc_lo, v43, v77, vcc_lo
	global_store_b32 v[45:46], v44, off
	flat_load_b32 v42, v[42:43]
	s_waitcnt vmcnt(0) lgkmcnt(0)
	v_mul_f32_e32 v42, s22, v42
.LBB68_189:
	v_dual_add_f32 v37, v1, v37 :: v_dual_add_f32 v36, v0, v36
	s_waitcnt lgkmcnt(0)
	v_dual_add_f32 v33, v33, v5 :: v_dual_add_f32 v32, v32, v4
	v_dual_add_f32 v38, v2, v38 :: v_dual_add_nc_u32 v43, 0xe0, v111
	s_delay_alu instid0(VALU_DEP_3) | instskip(SKIP_1) | instid1(VALU_DEP_4)
	v_min3_f32 v36, v36, v37, v87
	v_add_f32_e32 v39, v3, v39
	v_min3_f32 v37, v32, v33, v88
	s_delay_alu instid0(VALU_DEP_4) | instskip(SKIP_3) | instid1(VALU_DEP_4)
	v_mad_i64_i32 v[32:33], null, v43, s3, 0
	v_dual_add_f32 v44, v35, v7 :: v_dual_add_f32 v45, v34, v6
	v_mad_i64_i32 v[34:35], null, v43, s0, 0
	v_min_f32_e32 v38, v38, v39
	v_lshlrev_b64 v[32:33], 2, v[32:33]
	s_delay_alu instid0(VALU_DEP_4)
	v_min3_f32 v39, v45, v44, v37
	v_add_co_u32 v37, vcc_lo, v40, v76
	v_lshlrev_b64 v[34:35], 2, v[34:35]
	v_min3_f32 v42, v42, v38, v36
	v_add_co_ci_u32_e32 v38, vcc_lo, v41, v77, vcc_lo
	v_add_co_u32 v32, vcc_lo, s1, v32
	v_add_co_ci_u32_e32 v33, vcc_lo, s4, v33, vcc_lo
	v_add_co_u32 v34, vcc_lo, s6, v34
	v_add_co_ci_u32_e32 v35, vcc_lo, s7, v35, vcc_lo
	v_max_f32_e32 v36, v39, v39
	s_mov_b32 vcc_lo, s2
	global_store_b32 v[37:38], v42, off
	s_cbranch_vccz .LBB68_192
; %bb.190:
	v_add_co_u32 v37, vcc_lo, v32, v66
	v_min_f32_e32 v39, 0, v36
	v_add_co_ci_u32_e32 v38, vcc_lo, v33, v67, vcc_lo
	s_mov_b32 s0, 0
	global_store_b32 v[37:38], v39, off
	s_cbranch_execz .LBB68_193
; %bb.191:
	v_mov_b32_e32 v36, s0
	s_branch .LBB68_194
.LBB68_192:
	s_mov_b32 s0, -1
.LBB68_193:
	v_add_co_u32 v37, vcc_lo, v34, v66
	v_add_co_ci_u32_e32 v38, vcc_lo, v35, v67, vcc_lo
	flat_load_b32 v37, v[37:38]
	s_waitcnt vmcnt(0) lgkmcnt(0)
	v_mul_f32_e32 v39, s22, v37
	v_add_co_u32 v37, vcc_lo, v32, v66
	v_add_co_ci_u32_e32 v38, vcc_lo, v33, v67, vcc_lo
	s_delay_alu instid0(VALU_DEP_3)
	v_min_f32_e32 v36, v39, v36
	v_add_co_u32 v39, vcc_lo, v34, v64
	v_add_co_ci_u32_e32 v40, vcc_lo, v35, v65, vcc_lo
	global_store_b32 v[37:38], v36, off
	flat_load_b32 v36, v[39:40]
	s_waitcnt vmcnt(0) lgkmcnt(0)
	v_mul_f32_e32 v36, s22, v36
.LBB68_194:
	v_dual_add_f32 v25, v25, v5 :: v_dual_add_f32 v24, v24, v4
	v_dual_add_f32 v29, v29, v5 :: v_dual_add_f32 v28, v28, v4
	v_dual_add_f32 v31, v31, v7 :: v_dual_add_f32 v30, v30, v6
	s_delay_alu instid0(VALU_DEP_3) | instskip(SKIP_1) | instid1(VALU_DEP_4)
	v_min3_f32 v24, v24, v25, v85
	v_dual_add_f32 v25, v27, v7 :: v_dual_add_f32 v26, v26, v6
	v_min3_f32 v28, v28, v29, v86
	s_delay_alu instid0(VALU_DEP_2) | instskip(SKIP_3) | instid1(VALU_DEP_4)
	v_min3_f32 v24, v26, v25, v24
	v_min_f32_e32 v27, v30, v31
	v_add_co_u32 v25, vcc_lo, v32, v64
	v_add_co_ci_u32_e32 v26, vcc_lo, v33, v65, vcc_lo
	v_max_f32_e32 v24, v24, v24
	s_delay_alu instid0(VALU_DEP_4)
	v_min3_f32 v27, v36, v27, v28
	s_mov_b32 vcc_lo, s2
	global_store_b32 v[25:26], v27, off
	s_cbranch_vccz .LBB68_197
; %bb.195:
	v_add_co_u32 v25, vcc_lo, v32, v70
	v_min_f32_e32 v27, 0, v24
	v_add_co_ci_u32_e32 v26, vcc_lo, v33, v71, vcc_lo
	s_mov_b32 s0, 0
	global_store_b32 v[25:26], v27, off
	s_cbranch_execz .LBB68_198
; %bb.196:
	v_mov_b32_e32 v24, s0
	s_branch .LBB68_199
.LBB68_197:
	s_mov_b32 s0, -1
.LBB68_198:
	v_add_co_u32 v25, vcc_lo, v34, v70
	v_add_co_ci_u32_e32 v26, vcc_lo, v35, v71, vcc_lo
	flat_load_b32 v25, v[25:26]
	s_waitcnt vmcnt(0) lgkmcnt(0)
	v_mul_f32_e32 v27, s22, v25
	v_add_co_u32 v25, vcc_lo, v32, v70
	v_add_co_ci_u32_e32 v26, vcc_lo, v33, v71, vcc_lo
	s_delay_alu instid0(VALU_DEP_3)
	v_min_f32_e32 v24, v27, v24
	v_add_co_u32 v27, vcc_lo, v34, v68
	v_add_co_ci_u32_e32 v28, vcc_lo, v35, v69, vcc_lo
	global_store_b32 v[25:26], v24, off
	flat_load_b32 v24, v[27:28]
	s_waitcnt vmcnt(0) lgkmcnt(0)
	v_mul_f32_e32 v24, s22, v24
.LBB68_199:
	v_dual_add_f32 v17, v17, v5 :: v_dual_add_f32 v16, v16, v4
	v_dual_add_f32 v21, v21, v5 :: v_dual_add_f32 v20, v20, v4
	v_dual_add_f32 v23, v23, v7 :: v_dual_add_f32 v22, v22, v6
	s_delay_alu instid0(VALU_DEP_3) | instskip(SKIP_1) | instid1(VALU_DEP_4)
	v_min3_f32 v16, v16, v17, v84
	v_dual_add_f32 v17, v19, v7 :: v_dual_add_f32 v18, v18, v6
	v_min3_f32 v20, v20, v21, v83
	s_delay_alu instid0(VALU_DEP_2) | instskip(SKIP_3) | instid1(VALU_DEP_4)
	v_min3_f32 v16, v18, v17, v16
	v_min_f32_e32 v19, v22, v23
	v_add_co_u32 v17, vcc_lo, v32, v68
	v_add_co_ci_u32_e32 v18, vcc_lo, v33, v69, vcc_lo
	v_max_f32_e32 v16, v16, v16
	s_delay_alu instid0(VALU_DEP_4)
	v_min3_f32 v19, v24, v19, v20
	;; [unrolled: 47-line block ×3, first 2 shown]
	s_mov_b32 vcc_lo, s2
	global_store_b32 v[9:10], v11, off
	s_cbranch_vccz .LBB68_207
; %bb.205:
	v_add_co_u32 v9, vcc_lo, v32, v78
	v_min_f32_e32 v11, 0, v8
	v_add_co_ci_u32_e32 v10, vcc_lo, v33, v79, vcc_lo
	s_mov_b32 s0, 0
	global_store_b32 v[9:10], v11, off
	s_cbranch_execz .LBB68_208
; %bb.206:
	v_mov_b32_e32 v8, s0
	s_branch .LBB68_209
.LBB68_207:
	s_mov_b32 s0, -1
.LBB68_208:
	v_add_co_u32 v9, vcc_lo, v34, v78
	v_add_co_ci_u32_e32 v10, vcc_lo, v35, v79, vcc_lo
	flat_load_b32 v9, v[9:10]
	s_waitcnt vmcnt(0) lgkmcnt(0)
	v_mul_f32_e32 v11, s22, v9
	v_add_co_u32 v9, vcc_lo, v32, v78
	v_add_co_ci_u32_e32 v10, vcc_lo, v33, v79, vcc_lo
	s_delay_alu instid0(VALU_DEP_3)
	v_min_f32_e32 v8, v11, v8
	v_add_co_u32 v11, vcc_lo, v34, v76
	v_add_co_ci_u32_e32 v12, vcc_lo, v35, v77, vcc_lo
	global_store_b32 v[9:10], v8, off
	flat_load_b32 v8, v[11:12]
	s_waitcnt vmcnt(0) lgkmcnt(0)
	v_mul_f32_e32 v8, s22, v8
.LBB68_209:
	v_dual_add_f32 v3, v3, v7 :: v_dual_add_f32 v2, v2, v6
	v_dual_add_f32 v1, v1, v5 :: v_dual_add_f32 v0, v0, v4
	s_delay_alu instid0(VALU_DEP_2) | instskip(NEXT) | instid1(VALU_DEP_2)
	v_min_f32_e32 v2, v2, v3
	v_min3_f32 v0, v0, v1, v80
	s_delay_alu instid0(VALU_DEP_1)
	v_min3_f32 v2, v8, v2, v0
	v_add_co_u32 v0, vcc_lo, v32, v76
	v_add_co_ci_u32_e32 v1, vcc_lo, v33, v77, vcc_lo
	global_store_b32 v[0:1], v2, off
	s_nop 0
	s_sendmsg sendmsg(MSG_DEALLOC_VGPRS)
	s_endpgm
	.section	.rodata,"a",@progbits
	.p2align	6, 0x0
	.amdhsa_kernel _ZN12_GLOBAL__N_120geam_min_plus_kernelIf15HIP_vector_typeIfLj2EEfLi8ELi32ELi64ELi256ELi4ELi64ELi4ELi64ELi4ELc78ELc84ELb0ELb0ELb1EfKffEEviiiT16_PT17_ilS6_ilS4_S6_ilPT18_ili26rocblas_geam_ex_operation_
		.amdhsa_group_segment_fixed_size 10240
		.amdhsa_private_segment_fixed_size 68
		.amdhsa_kernarg_size 128
		.amdhsa_user_sgpr_count 14
		.amdhsa_user_sgpr_dispatch_ptr 0
		.amdhsa_user_sgpr_queue_ptr 0
		.amdhsa_user_sgpr_kernarg_segment_ptr 1
		.amdhsa_user_sgpr_dispatch_id 0
		.amdhsa_user_sgpr_private_segment_size 0
		.amdhsa_wavefront_size32 1
		.amdhsa_uses_dynamic_stack 0
		.amdhsa_enable_private_segment 1
		.amdhsa_system_sgpr_workgroup_id_x 1
		.amdhsa_system_sgpr_workgroup_id_y 0
		.amdhsa_system_sgpr_workgroup_id_z 1
		.amdhsa_system_sgpr_workgroup_info 0
		.amdhsa_system_vgpr_workitem_id 1
		.amdhsa_next_free_vgpr 256
		.amdhsa_next_free_sgpr 27
		.amdhsa_reserve_vcc 1
		.amdhsa_float_round_mode_32 0
		.amdhsa_float_round_mode_16_64 0
		.amdhsa_float_denorm_mode_32 3
		.amdhsa_float_denorm_mode_16_64 3
		.amdhsa_dx10_clamp 1
		.amdhsa_ieee_mode 1
		.amdhsa_fp16_overflow 0
		.amdhsa_workgroup_processor_mode 1
		.amdhsa_memory_ordered 1
		.amdhsa_forward_progress 0
		.amdhsa_shared_vgpr_count 0
		.amdhsa_exception_fp_ieee_invalid_op 0
		.amdhsa_exception_fp_denorm_src 0
		.amdhsa_exception_fp_ieee_div_zero 0
		.amdhsa_exception_fp_ieee_overflow 0
		.amdhsa_exception_fp_ieee_underflow 0
		.amdhsa_exception_fp_ieee_inexact 0
		.amdhsa_exception_int_div_zero 0
	.end_amdhsa_kernel
	.section	.text._ZN12_GLOBAL__N_120geam_min_plus_kernelIf15HIP_vector_typeIfLj2EEfLi8ELi32ELi64ELi256ELi4ELi64ELi4ELi64ELi4ELc78ELc84ELb0ELb0ELb1EfKffEEviiiT16_PT17_ilS6_ilS4_S6_ilPT18_ili26rocblas_geam_ex_operation_,"axG",@progbits,_ZN12_GLOBAL__N_120geam_min_plus_kernelIf15HIP_vector_typeIfLj2EEfLi8ELi32ELi64ELi256ELi4ELi64ELi4ELi64ELi4ELc78ELc84ELb0ELb0ELb1EfKffEEviiiT16_PT17_ilS6_ilS4_S6_ilPT18_ili26rocblas_geam_ex_operation_,comdat
.Lfunc_end68:
	.size	_ZN12_GLOBAL__N_120geam_min_plus_kernelIf15HIP_vector_typeIfLj2EEfLi8ELi32ELi64ELi256ELi4ELi64ELi4ELi64ELi4ELc78ELc84ELb0ELb0ELb1EfKffEEviiiT16_PT17_ilS6_ilS4_S6_ilPT18_ili26rocblas_geam_ex_operation_, .Lfunc_end68-_ZN12_GLOBAL__N_120geam_min_plus_kernelIf15HIP_vector_typeIfLj2EEfLi8ELi32ELi64ELi256ELi4ELi64ELi4ELi64ELi4ELc78ELc84ELb0ELb0ELb1EfKffEEviiiT16_PT17_ilS6_ilS4_S6_ilPT18_ili26rocblas_geam_ex_operation_
                                        ; -- End function
	.section	.AMDGPU.csdata,"",@progbits
; Kernel info:
; codeLenInByte = 18192
; NumSgprs: 29
; NumVgprs: 256
; ScratchSize: 68
; MemoryBound: 0
; FloatMode: 240
; IeeeMode: 1
; LDSByteSize: 10240 bytes/workgroup (compile time only)
; SGPRBlocks: 3
; VGPRBlocks: 31
; NumSGPRsForWavesPerEU: 29
; NumVGPRsForWavesPerEU: 256
; Occupancy: 5
; WaveLimiterHint : 1
; COMPUTE_PGM_RSRC2:SCRATCH_EN: 1
; COMPUTE_PGM_RSRC2:USER_SGPR: 14
; COMPUTE_PGM_RSRC2:TRAP_HANDLER: 0
; COMPUTE_PGM_RSRC2:TGID_X_EN: 1
; COMPUTE_PGM_RSRC2:TGID_Y_EN: 0
; COMPUTE_PGM_RSRC2:TGID_Z_EN: 1
; COMPUTE_PGM_RSRC2:TIDIG_COMP_CNT: 1
	.section	.text._ZN12_GLOBAL__N_120geam_min_plus_kernelIf15HIP_vector_typeIfLj2EEfLi8ELi32ELi64ELi256ELi4ELi64ELi4ELi64ELi4ELc78ELc84ELb0ELb1ELb1EPKfS3_fEEviiiT16_PT17_ilS7_ilS5_S7_ilPT18_ili26rocblas_geam_ex_operation_,"axG",@progbits,_ZN12_GLOBAL__N_120geam_min_plus_kernelIf15HIP_vector_typeIfLj2EEfLi8ELi32ELi64ELi256ELi4ELi64ELi4ELi64ELi4ELc78ELc84ELb0ELb1ELb1EPKfS3_fEEviiiT16_PT17_ilS7_ilS5_S7_ilPT18_ili26rocblas_geam_ex_operation_,comdat
	.globl	_ZN12_GLOBAL__N_120geam_min_plus_kernelIf15HIP_vector_typeIfLj2EEfLi8ELi32ELi64ELi256ELi4ELi64ELi4ELi64ELi4ELc78ELc84ELb0ELb1ELb1EPKfS3_fEEviiiT16_PT17_ilS7_ilS5_S7_ilPT18_ili26rocblas_geam_ex_operation_ ; -- Begin function _ZN12_GLOBAL__N_120geam_min_plus_kernelIf15HIP_vector_typeIfLj2EEfLi8ELi32ELi64ELi256ELi4ELi64ELi4ELi64ELi4ELc78ELc84ELb0ELb1ELb1EPKfS3_fEEviiiT16_PT17_ilS7_ilS5_S7_ilPT18_ili26rocblas_geam_ex_operation_
	.p2align	8
	.type	_ZN12_GLOBAL__N_120geam_min_plus_kernelIf15HIP_vector_typeIfLj2EEfLi8ELi32ELi64ELi256ELi4ELi64ELi4ELi64ELi4ELc78ELc84ELb0ELb1ELb1EPKfS3_fEEviiiT16_PT17_ilS7_ilS5_S7_ilPT18_ili26rocblas_geam_ex_operation_,@function
_ZN12_GLOBAL__N_120geam_min_plus_kernelIf15HIP_vector_typeIfLj2EEfLi8ELi32ELi64ELi256ELi4ELi64ELi4ELi64ELi4ELc78ELc84ELb0ELb1ELb1EPKfS3_fEEviiiT16_PT17_ilS7_ilS5_S7_ilPT18_ili26rocblas_geam_ex_operation_: ; @_ZN12_GLOBAL__N_120geam_min_plus_kernelIf15HIP_vector_typeIfLj2EEfLi8ELi32ELi64ELi256ELi4ELi64ELi4ELi64ELi4ELc78ELc84ELb0ELb1ELb1EPKfS3_fEEviiiT16_PT17_ilS7_ilS5_S7_ilPT18_ili26rocblas_geam_ex_operation_
; %bb.0:
	s_clause 0x1
	s_load_b128 s[16:19], s[0:1], 0x10
	s_load_b128 s[4:7], s[0:1], 0x28
	s_mov_b32 s20, s15
	s_mov_b32 s21, 0
	s_mov_b64 s[22:23], 0
	s_lshl_b64 s[12:13], s[20:21], 2
	s_mov_b64 s[24:25], 0
	s_waitcnt lgkmcnt(0)
	s_add_u32 s2, s16, s12
	s_addc_u32 s3, s17, s13
	s_load_b32 s26, s[2:3], 0x0
	s_clause 0x1
	s_load_b128 s[8:11], s[0:1], 0x40
	s_load_b64 s[2:3], s[0:1], 0x50
	s_waitcnt lgkmcnt(0)
	v_cmp_eq_f32_e64 s27, s26, 0
	s_add_u32 s10, s10, s12
	v_cmp_neq_f32_e64 s12, s26, 0
	s_addc_u32 s11, s11, s13
	s_delay_alu instid0(VALU_DEP_2)
	s_and_b32 vcc_lo, exec_lo, s27
	s_cbranch_vccnz .LBB69_2
; %bb.1:
	s_mul_i32 s5, s20, s5
	s_mul_hi_u32 s13, s20, s4
	s_mul_i32 s4, s20, s4
	s_add_i32 s5, s13, s5
	s_delay_alu instid0(SALU_CYCLE_1) | instskip(NEXT) | instid1(SALU_CYCLE_1)
	s_lshl_b64 s[4:5], s[4:5], 2
	s_add_u32 s24, s18, s4
	s_addc_u32 s25, s19, s5
.LBB69_2:
	s_load_b32 s15, s[10:11], 0x0
	s_and_not1_b32 vcc_lo, exec_lo, s12
	s_cbranch_vccnz .LBB69_4
; %bb.3:
	s_mul_i32 s4, s20, s9
	s_mul_hi_u32 s5, s20, s8
	s_delay_alu instid0(SALU_CYCLE_1) | instskip(SKIP_1) | instid1(SALU_CYCLE_1)
	s_add_i32 s5, s5, s4
	s_mul_i32 s4, s20, s8
	s_lshl_b64 s[4:5], s[4:5], 2
	s_delay_alu instid0(SALU_CYCLE_1)
	s_add_u32 s22, s6, s4
	s_addc_u32 s23, s7, s5
.LBB69_4:
	s_load_b128 s[8:11], s[0:1], 0x60
	s_waitcnt lgkmcnt(0)
	v_cmp_eq_f32_e64 s4, s15, 0
	v_cmp_neq_f32_e64 s21, s15, 0
	s_delay_alu instid0(VALU_DEP_2)
	s_and_b32 vcc_lo, exec_lo, s4
	s_cbranch_vccnz .LBB69_6
; %bb.5:
	s_mul_i32 s4, s20, s9
	s_mul_hi_u32 s5, s20, s8
	s_delay_alu instid0(SALU_CYCLE_1) | instskip(SKIP_1) | instid1(SALU_CYCLE_1)
	s_add_i32 s5, s5, s4
	s_mul_i32 s4, s20, s8
	s_lshl_b64 s[4:5], s[4:5], 2
	s_delay_alu instid0(SALU_CYCLE_1)
	s_add_u32 s12, s2, s4
	s_addc_u32 s13, s3, s5
	s_branch .LBB69_7
.LBB69_6:
	s_mov_b64 s[12:13], 0
.LBB69_7:
	s_clause 0x1
	s_load_b128 s[16:19], s[0:1], 0x0
	s_load_b32 s8, s[0:1], 0x20
	v_and_b32_e32 v70, 0x3ff, v0
	v_bfe_u32 v71, v0, 10, 10
	s_waitcnt lgkmcnt(0)
	s_add_i32 s2, s16, -1
	s_ashr_i32 s9, s8, 31
	s_ashr_i32 s3, s2, 31
	s_delay_alu instid0(SALU_CYCLE_1) | instskip(NEXT) | instid1(SALU_CYCLE_1)
	s_lshr_b32 s3, s3, 26
	s_add_i32 s3, s2, s3
	s_delay_alu instid0(SALU_CYCLE_1) | instskip(NEXT) | instid1(SALU_CYCLE_1)
	s_ashr_i32 s3, s3, 6
	s_add_i32 s4, s3, 1
	s_not_b32 s3, s3
	v_cvt_f32_u32_e32 v1, s4
	s_delay_alu instid0(VALU_DEP_1) | instskip(SKIP_2) | instid1(VALU_DEP_1)
	v_rcp_iflag_f32_e32 v1, v1
	s_waitcnt_depctr 0xfff
	v_mul_f32_e32 v1, 0x4f7ffffe, v1
	v_cvt_u32_f32_e32 v1, v1
	s_delay_alu instid0(VALU_DEP_1) | instskip(SKIP_1) | instid1(VALU_DEP_2)
	v_readfirstlane_b32 s5, v1
	v_lshl_add_u32 v1, v71, 3, v70
	s_mul_i32 s3, s3, s5
	s_delay_alu instid0(VALU_DEP_1) | instskip(SKIP_3) | instid1(SALU_CYCLE_1)
	v_and_b32_e32 v0, 63, v1
	s_mul_hi_u32 s3, s5, s3
	v_lshrrev_b32_e32 v72, 6, v1
	s_add_i32 s5, s5, s3
	s_mul_hi_u32 s3, s14, s5
	s_delay_alu instid0(SALU_CYCLE_1) | instskip(SKIP_2) | instid1(SALU_CYCLE_1)
	s_mul_i32 s5, s3, s4
	s_add_i32 s6, s3, 1
	s_sub_i32 s5, s14, s5
	s_sub_i32 s7, s5, s4
	s_cmp_ge_u32 s5, s4
	s_cselect_b32 s3, s6, s3
	s_cselect_b32 s5, s7, s5
	s_add_i32 s6, s3, 1
	s_cmp_ge_u32 s5, s4
	s_cselect_b32 s3, s6, s3
	s_add_i32 s28, s18, -1
	s_mul_i32 s4, s3, s4
	v_cmp_le_i32_e64 s6, s18, v72
	s_sub_i32 s4, s14, s4
	v_min_i32_e32 v2, s28, v72
	s_lshl_b32 s14, s4, 6
	s_delay_alu instid0(SALU_CYCLE_1) | instskip(NEXT) | instid1(VALU_DEP_2)
	v_or_b32_e32 v1, s14, v0
	v_ashrrev_i32_e32 v3, 31, v2
	s_delay_alu instid0(VALU_DEP_2) | instskip(SKIP_2) | instid1(VALU_DEP_1)
	v_cmp_le_i32_e32 vcc_lo, s16, v1
	v_min_i32_e32 v64, s2, v1
                                        ; implicit-def: $vgpr1
	s_or_b32 s4, vcc_lo, s6
	v_ashrrev_i32_e32 v65, 31, v64
	s_or_b32 s2, s27, s4
	s_delay_alu instid0(SALU_CYCLE_1) | instskip(NEXT) | instid1(SALU_CYCLE_1)
	s_xor_b32 s2, s2, -1
	s_and_saveexec_b32 s5, s2
	s_delay_alu instid0(SALU_CYCLE_1)
	s_xor_b32 s5, exec_lo, s5
	s_cbranch_execz .LBB69_9
; %bb.8:
	v_mad_i64_i32 v[4:5], null, s8, v2, 0
	v_lshlrev_b64 v[6:7], 2, v[64:65]
	s_delay_alu instid0(VALU_DEP_2) | instskip(NEXT) | instid1(VALU_DEP_1)
	v_lshlrev_b64 v[4:5], 2, v[4:5]
	v_add_co_u32 v1, s2, s24, v4
	s_delay_alu instid0(VALU_DEP_1) | instskip(NEXT) | instid1(VALU_DEP_2)
	v_add_co_ci_u32_e64 v5, s2, s25, v5, s2
	v_add_co_u32 v4, s2, v1, v6
	s_delay_alu instid0(VALU_DEP_1)
	v_add_co_ci_u32_e64 v5, s2, v5, v7, s2
	flat_load_b32 v1, v[4:5]
	s_waitcnt vmcnt(0) lgkmcnt(0)
	v_mul_f32_e32 v1, s26, v1
.LBB69_9:
	s_and_not1_saveexec_b32 s2, s5
; %bb.10:
	v_cndmask_b32_e64 v1, 0, 0x7f7fffff, s4
; %bb.11:
	s_or_b32 exec_lo, exec_lo, s2
	s_load_b32 s29, s[0:1], 0x38
	s_lshl_b32 s19, s3, 8
	s_delay_alu instid0(SALU_CYCLE_1) | instskip(NEXT) | instid1(VALU_DEP_1)
	v_or_b32_e32 v66, s19, v0
	v_cmp_le_i32_e64 s2, s17, v66
	v_ashrrev_i32_e32 v67, 31, v66
	s_delay_alu instid0(VALU_DEP_2)
	s_or_b32 s4, s2, s6
	s_waitcnt lgkmcnt(0)
	s_ashr_i32 s30, s29, 31
	v_mul_lo_u32 v5, v3, s29
	v_mad_u64_u32 v[3:4], null, v2, s29, 0
	v_mul_lo_u32 v2, v2, s30
	s_delay_alu instid0(VALU_DEP_1) | instskip(SKIP_1) | instid1(VALU_DEP_2)
	v_add3_u32 v4, v4, v2, v5
	v_cndmask_b32_e64 v2, 0, 0x7f7fffff, s4
	v_lshlrev_b64 v[3:4], 2, v[3:4]
	s_delay_alu instid0(VALU_DEP_1) | instskip(NEXT) | instid1(VALU_DEP_1)
	v_add_co_u32 v6, s3, s22, v3
	v_add_co_ci_u32_e64 v7, s3, s23, v4, s3
	s_or_b32 s3, s27, s4
	s_delay_alu instid0(SALU_CYCLE_1) | instskip(NEXT) | instid1(SALU_CYCLE_1)
	s_xor_b32 s3, s3, -1
	s_and_saveexec_b32 s4, s3
	s_cbranch_execz .LBB69_13
; %bb.12:
	v_lshlrev_b64 v[2:3], 2, v[66:67]
	s_delay_alu instid0(VALU_DEP_1) | instskip(NEXT) | instid1(VALU_DEP_1)
	v_add_co_u32 v2, s3, v6, v2
	v_add_co_ci_u32_e64 v3, s3, v7, v3, s3
	flat_load_b32 v2, v[2:3]
	s_waitcnt vmcnt(0) lgkmcnt(0)
	v_mul_f32_e32 v2, s26, v2
.LBB69_13:
	s_or_b32 exec_lo, exec_lo, s4
	v_or_b32_e32 v3, 64, v66
	s_delay_alu instid0(VALU_DEP_1) | instskip(NEXT) | instid1(VALU_DEP_1)
	v_cmp_le_i32_e64 s3, s17, v3
	s_or_b32 s4, s3, s6
	s_delay_alu instid0(SALU_CYCLE_1) | instskip(SKIP_1) | instid1(SALU_CYCLE_1)
	v_cndmask_b32_e64 v3, 0, 0x7f7fffff, s4
	s_or_b32 s4, s27, s4
	s_xor_b32 s4, s4, -1
	s_delay_alu instid0(SALU_CYCLE_1)
	s_and_saveexec_b32 s5, s4
	s_cbranch_execz .LBB69_15
; %bb.14:
	v_lshlrev_b64 v[3:4], 2, v[66:67]
	s_delay_alu instid0(VALU_DEP_1) | instskip(NEXT) | instid1(VALU_DEP_1)
	v_add_co_u32 v3, s4, v6, v3
	v_add_co_ci_u32_e64 v4, s4, v7, v4, s4
	flat_load_b32 v3, v[3:4] offset:256
	s_waitcnt vmcnt(0) lgkmcnt(0)
	v_mul_f32_e32 v3, s26, v3
.LBB69_15:
	s_or_b32 exec_lo, exec_lo, s5
	v_or_b32_e32 v4, 0x80, v66
	s_delay_alu instid0(VALU_DEP_1) | instskip(NEXT) | instid1(VALU_DEP_1)
	v_cmp_le_i32_e64 s4, s17, v4
	s_or_b32 s5, s4, s6
	s_delay_alu instid0(SALU_CYCLE_1) | instskip(SKIP_1) | instid1(SALU_CYCLE_1)
	v_cndmask_b32_e64 v4, 0, 0x7f7fffff, s5
	s_or_b32 s5, s27, s5
	s_xor_b32 s5, s5, -1
	s_delay_alu instid0(SALU_CYCLE_1)
	s_and_saveexec_b32 s7, s5
	s_cbranch_execz .LBB69_17
; %bb.16:
	v_lshlrev_b64 v[4:5], 2, v[66:67]
	s_delay_alu instid0(VALU_DEP_1) | instskip(NEXT) | instid1(VALU_DEP_1)
	v_add_co_u32 v4, s5, v6, v4
	v_add_co_ci_u32_e64 v5, s5, v7, v5, s5
	flat_load_b32 v4, v[4:5] offset:512
	s_waitcnt vmcnt(0) lgkmcnt(0)
	v_mul_f32_e32 v4, s26, v4
.LBB69_17:
	;; [unrolled: 21-line block ×3, first 2 shown]
	s_or_b32 exec_lo, exec_lo, s7
	v_add_nc_u32_e32 v6, 4, v72
                                        ; implicit-def: $vgpr68
	s_delay_alu instid0(VALU_DEP_1) | instskip(SKIP_1) | instid1(VALU_DEP_2)
	v_cmp_le_i32_e64 s6, s18, v6
	v_min_i32_e32 v6, s28, v6
	s_or_b32 s31, vcc_lo, s6
	s_delay_alu instid0(VALU_DEP_1) | instskip(SKIP_1) | instid1(SALU_CYCLE_1)
	v_ashrrev_i32_e32 v7, 31, v6
	s_or_b32 s7, s27, s31
	s_xor_b32 s7, s7, -1
	s_delay_alu instid0(SALU_CYCLE_1) | instskip(NEXT) | instid1(SALU_CYCLE_1)
	s_and_saveexec_b32 s33, s7
	s_xor_b32 s33, exec_lo, s33
	s_cbranch_execz .LBB69_21
; %bb.20:
	v_mad_i64_i32 v[8:9], null, s8, v6, 0
	v_lshlrev_b64 v[10:11], 2, v[64:65]
	s_delay_alu instid0(VALU_DEP_2) | instskip(NEXT) | instid1(VALU_DEP_1)
	v_lshlrev_b64 v[8:9], 2, v[8:9]
	v_add_co_u32 v8, s7, s24, v8
	s_delay_alu instid0(VALU_DEP_1) | instskip(NEXT) | instid1(VALU_DEP_2)
	v_add_co_ci_u32_e64 v9, s7, s25, v9, s7
	v_add_co_u32 v8, s7, v8, v10
	s_delay_alu instid0(VALU_DEP_1)
	v_add_co_ci_u32_e64 v9, s7, v9, v11, s7
	flat_load_b32 v8, v[8:9]
	s_waitcnt vmcnt(0) lgkmcnt(0)
	v_mul_f32_e32 v68, s26, v8
.LBB69_21:
	s_and_not1_saveexec_b32 s7, s33
; %bb.22:
	v_cndmask_b32_e64 v68, 0, 0x7f7fffff, s31
; %bb.23:
	s_or_b32 exec_lo, exec_lo, s7
	v_mul_lo_u32 v9, v7, s29
	v_mul_lo_u32 v10, v6, s30
	v_mad_u64_u32 v[7:8], null, v6, s29, 0
	s_delay_alu instid0(VALU_DEP_1) | instskip(NEXT) | instid1(VALU_DEP_1)
	v_add3_u32 v8, v8, v10, v9
	v_lshlrev_b64 v[6:7], 2, v[7:8]
	s_delay_alu instid0(VALU_DEP_1) | instskip(NEXT) | instid1(VALU_DEP_1)
	v_add_co_u32 v6, s7, s22, v6
	v_add_co_ci_u32_e64 v7, s7, s23, v7, s7
	s_or_b32 s7, s2, s6
	s_delay_alu instid0(SALU_CYCLE_1) | instskip(SKIP_1) | instid1(SALU_CYCLE_1)
	v_cndmask_b32_e64 v69, 0, 0x7f7fffff, s7
	s_or_b32 s7, s27, s7
	s_xor_b32 s7, s7, -1
	s_delay_alu instid0(SALU_CYCLE_1)
	s_and_saveexec_b32 s30, s7
	s_cbranch_execz .LBB69_25
; %bb.24:
	v_lshlrev_b64 v[8:9], 2, v[66:67]
	s_delay_alu instid0(VALU_DEP_1) | instskip(NEXT) | instid1(VALU_DEP_1)
	v_add_co_u32 v8, s7, v6, v8
	v_add_co_ci_u32_e64 v9, s7, v7, v9, s7
	flat_load_b32 v8, v[8:9]
	s_waitcnt vmcnt(0) lgkmcnt(0)
	v_mul_f32_e32 v69, s26, v8
.LBB69_25:
	s_or_b32 exec_lo, exec_lo, s30
	s_or_b32 s7, s3, s6
	s_delay_alu instid0(SALU_CYCLE_1) | instskip(SKIP_1) | instid1(SALU_CYCLE_1)
	v_cndmask_b32_e64 v121, 0, 0x7f7fffff, s7
	s_or_b32 s7, s27, s7
	s_xor_b32 s7, s7, -1
	s_delay_alu instid0(SALU_CYCLE_1)
	s_and_saveexec_b32 s30, s7
	s_cbranch_execz .LBB69_27
; %bb.26:
	v_lshlrev_b64 v[8:9], 2, v[66:67]
	s_delay_alu instid0(VALU_DEP_1) | instskip(NEXT) | instid1(VALU_DEP_1)
	v_add_co_u32 v8, s7, v6, v8
	v_add_co_ci_u32_e64 v9, s7, v7, v9, s7
	flat_load_b32 v8, v[8:9] offset:256
	s_waitcnt vmcnt(0) lgkmcnt(0)
	v_mul_f32_e32 v121, s26, v8
.LBB69_27:
	s_or_b32 exec_lo, exec_lo, s30
	s_or_b32 s7, s4, s6
	s_delay_alu instid0(SALU_CYCLE_1) | instskip(SKIP_1) | instid1(SALU_CYCLE_1)
	v_cndmask_b32_e64 v132, 0, 0x7f7fffff, s7
	s_or_b32 s7, s27, s7
	s_xor_b32 s7, s7, -1
	s_delay_alu instid0(SALU_CYCLE_1)
	s_and_saveexec_b32 s30, s7
	s_cbranch_execz .LBB69_29
; %bb.28:
	v_lshlrev_b64 v[8:9], 2, v[66:67]
	s_delay_alu instid0(VALU_DEP_1) | instskip(NEXT) | instid1(VALU_DEP_1)
	v_add_co_u32 v8, s7, v6, v8
	v_add_co_ci_u32_e64 v9, s7, v7, v9, s7
	flat_load_b32 v8, v[8:9] offset:512
	s_waitcnt vmcnt(0) lgkmcnt(0)
	v_mul_f32_e32 v132, s26, v8
.LBB69_29:
	;; [unrolled: 18-line block ×3, first 2 shown]
	s_or_b32 exec_lo, exec_lo, s7
	v_lshlrev_b32_e32 v6, 2, v72
	v_lshlrev_b32_e32 v73, 4, v70
	s_cmp_lt_i32 s18, 9
	s_delay_alu instid0(VALU_DEP_2)
	v_lshl_add_u32 v75, v0, 4, v6
	ds_store_b32 v75, v1 offset:8192
	ds_store_2addr_stride64_b32 v75, v2, v3 offset1:4
	ds_store_2addr_stride64_b32 v75, v4, v5 offset0:8 offset1:12
	s_waitcnt lgkmcnt(0)
	s_barrier
	buffer_gl0_inv
	ds_load_b128 v[32:35], v73 offset:8192
	ds_load_b128 v[28:31], v73 offset:8320
	;; [unrolled: 1-line block ×8, first 2 shown]
	v_lshlrev_b32_e32 v74, 4, v71
	ds_load_b128 v[60:63], v74
	ds_load_b128 v[56:59], v74 offset:512
	ds_load_b128 v[52:55], v74 offset:1024
	;; [unrolled: 1-line block ×7, first 2 shown]
	ds_store_b32 v75, v68 offset:9216
	ds_store_2addr_stride64_b32 v75, v69, v121 offset0:16 offset1:20
	ds_store_2addr_stride64_b32 v75, v132, v142 offset0:24 offset1:28
	s_waitcnt lgkmcnt(0)
	s_barrier
	buffer_gl0_inv
	v_dual_add_f32 v77, v32, v60 :: v_dual_add_f32 v76, v33, v61
	v_add_f32_e32 v78, v28, v60
	v_add_f32_e32 v80, v20, v60
	;; [unrolled: 1-line block ×4, first 2 shown]
	v_min3_f32 v76, v77, v76, 0x7f7fffff
	v_add_f32_e32 v77, v29, v61
	s_delay_alu instid0(VALU_DEP_1) | instskip(SKIP_1) | instid1(VALU_DEP_1)
	v_min3_f32 v77, v78, v77, 0x7f7fffff
	v_add_f32_e32 v78, v25, v61
	v_min3_f32 v78, v79, v78, 0x7f7fffff
	v_add_f32_e32 v79, v21, v61
	s_delay_alu instid0(VALU_DEP_1) | instskip(SKIP_1) | instid1(VALU_DEP_1)
	v_min3_f32 v80, v80, v79, 0x7f7fffff
	v_add_f32_e32 v79, v17, v61
	v_min3_f32 v117, v81, v79, 0x7f7fffff
	v_add_f32_e32 v79, v13, v61
	v_add_f32_e32 v81, v12, v60
	s_delay_alu instid0(VALU_DEP_1) | instskip(SKIP_3) | instid1(VALU_DEP_1)
	v_min3_f32 v118, v81, v79, 0x7f7fffff
	v_add_f32_e32 v79, v9, v61
	v_add_f32_e32 v81, v8, v60
	v_dual_add_f32 v61, v1, v61 :: v_dual_add_f32 v60, v0, v60
	v_min3_f32 v120, v60, v61, 0x7f7fffff
	v_dual_add_f32 v60, v33, v57 :: v_dual_add_f32 v61, v32, v56
	s_delay_alu instid0(VALU_DEP_1) | instskip(SKIP_1) | instid1(VALU_DEP_1)
	v_min3_f32 v116, v61, v60, 0x7f7fffff
	v_dual_add_f32 v60, v29, v57 :: v_dual_add_f32 v61, v28, v56
	v_min3_f32 v115, v61, v60, 0x7f7fffff
	v_dual_add_f32 v60, v25, v57 :: v_dual_add_f32 v61, v24, v56
	s_delay_alu instid0(VALU_DEP_1) | instskip(SKIP_1) | instid1(VALU_DEP_1)
	v_min3_f32 v114, v61, v60, 0x7f7fffff
	;; [unrolled: 5-line block ×3, first 2 shown]
	v_dual_add_f32 v60, v13, v57 :: v_dual_add_f32 v61, v12, v56
	v_min3_f32 v111, v61, v60, 0x7f7fffff
	v_dual_add_f32 v60, v9, v57 :: v_dual_add_f32 v61, v8, v56
	v_dual_add_f32 v57, v1, v57 :: v_dual_add_f32 v56, v0, v56
	v_min3_f32 v119, v81, v79, 0x7f7fffff
	v_add_f32_e32 v79, v8, v36
	s_delay_alu instid0(VALU_DEP_3) | instskip(SKIP_1) | instid1(VALU_DEP_1)
	v_min3_f32 v109, v56, v57, 0x7f7fffff
	v_dual_add_f32 v56, v33, v53 :: v_dual_add_f32 v57, v32, v52
	v_min3_f32 v108, v57, v56, 0x7f7fffff
	v_dual_add_f32 v56, v29, v53 :: v_dual_add_f32 v57, v28, v52
	s_delay_alu instid0(VALU_DEP_1) | instskip(SKIP_2) | instid1(VALU_DEP_2)
	v_min3_f32 v107, v57, v56, 0x7f7fffff
	v_dual_add_f32 v56, v25, v53 :: v_dual_add_f32 v57, v24, v52
	v_min3_f32 v110, v61, v60, 0x7f7fffff
	v_min3_f32 v106, v57, v56, 0x7f7fffff
	v_dual_add_f32 v56, v21, v53 :: v_dual_add_f32 v57, v20, v52
	s_delay_alu instid0(VALU_DEP_1) | instskip(SKIP_1) | instid1(VALU_DEP_1)
	v_min3_f32 v105, v57, v56, 0x7f7fffff
	v_dual_add_f32 v56, v17, v53 :: v_dual_add_f32 v57, v16, v52
	v_min3_f32 v104, v57, v56, 0x7f7fffff
	v_dual_add_f32 v56, v13, v53 :: v_dual_add_f32 v57, v12, v52
	s_delay_alu instid0(VALU_DEP_1) | instskip(SKIP_2) | instid1(VALU_DEP_1)
	v_min3_f32 v103, v57, v56, 0x7f7fffff
	v_dual_add_f32 v56, v9, v53 :: v_dual_add_f32 v57, v8, v52
	v_dual_add_f32 v53, v1, v53 :: v_dual_add_f32 v52, v0, v52
	v_min3_f32 v101, v52, v53, 0x7f7fffff
	v_dual_add_f32 v52, v33, v49 :: v_dual_add_f32 v53, v32, v48
	s_delay_alu instid0(VALU_DEP_1) | instskip(SKIP_1) | instid1(VALU_DEP_1)
	v_min3_f32 v100, v53, v52, 0x7f7fffff
	v_dual_add_f32 v52, v29, v49 :: v_dual_add_f32 v53, v28, v48
	v_min3_f32 v99, v53, v52, 0x7f7fffff
	v_dual_add_f32 v52, v25, v49 :: v_dual_add_f32 v53, v24, v48
	v_min3_f32 v102, v57, v56, 0x7f7fffff
	s_delay_alu instid0(VALU_DEP_2) | instskip(SKIP_1) | instid1(VALU_DEP_1)
	v_min3_f32 v98, v53, v52, 0x7f7fffff
	v_dual_add_f32 v52, v21, v49 :: v_dual_add_f32 v53, v20, v48
	v_min3_f32 v97, v53, v52, 0x7f7fffff
	v_dual_add_f32 v52, v17, v49 :: v_dual_add_f32 v53, v16, v48
	s_delay_alu instid0(VALU_DEP_1) | instskip(SKIP_1) | instid1(VALU_DEP_1)
	v_min3_f32 v96, v53, v52, 0x7f7fffff
	v_dual_add_f32 v52, v13, v49 :: v_dual_add_f32 v53, v12, v48
	v_min3_f32 v95, v53, v52, 0x7f7fffff
	v_dual_add_f32 v52, v9, v49 :: v_dual_add_f32 v53, v8, v48
	v_dual_add_f32 v49, v1, v49 :: v_dual_add_f32 v48, v0, v48
	s_delay_alu instid0(VALU_DEP_1) | instskip(SKIP_1) | instid1(VALU_DEP_1)
	v_min3_f32 v93, v48, v49, 0x7f7fffff
	v_dual_add_f32 v48, v33, v45 :: v_dual_add_f32 v49, v32, v44
	v_min3_f32 v92, v49, v48, 0x7f7fffff
	v_dual_add_f32 v48, v29, v45 :: v_dual_add_f32 v49, v28, v44
	s_delay_alu instid0(VALU_DEP_1) | instskip(SKIP_2) | instid1(VALU_DEP_2)
	v_min3_f32 v91, v49, v48, 0x7f7fffff
	v_dual_add_f32 v48, v25, v45 :: v_dual_add_f32 v49, v24, v44
	v_min3_f32 v94, v53, v52, 0x7f7fffff
	v_min3_f32 v90, v49, v48, 0x7f7fffff
	v_dual_add_f32 v48, v21, v45 :: v_dual_add_f32 v49, v20, v44
	s_delay_alu instid0(VALU_DEP_1) | instskip(SKIP_1) | instid1(VALU_DEP_1)
	v_min3_f32 v89, v49, v48, 0x7f7fffff
	v_dual_add_f32 v48, v17, v45 :: v_dual_add_f32 v49, v16, v44
	v_min3_f32 v88, v49, v48, 0x7f7fffff
	v_dual_add_f32 v48, v13, v45 :: v_dual_add_f32 v49, v12, v44
	s_delay_alu instid0(VALU_DEP_1) | instskip(SKIP_2) | instid1(VALU_DEP_1)
	v_min3_f32 v87, v49, v48, 0x7f7fffff
	v_dual_add_f32 v48, v9, v45 :: v_dual_add_f32 v49, v8, v44
	v_dual_add_f32 v45, v1, v45 :: v_dual_add_f32 v44, v0, v44
	v_min3_f32 v85, v44, v45, 0x7f7fffff
	v_dual_add_f32 v44, v33, v41 :: v_dual_add_f32 v45, v32, v40
	s_delay_alu instid0(VALU_DEP_1) | instskip(SKIP_1) | instid1(VALU_DEP_1)
	v_min3_f32 v84, v45, v44, 0x7f7fffff
	v_dual_add_f32 v44, v29, v41 :: v_dual_add_f32 v45, v28, v40
	v_min3_f32 v83, v45, v44, 0x7f7fffff
	v_dual_add_f32 v44, v25, v41 :: v_dual_add_f32 v45, v24, v40
	v_min3_f32 v86, v49, v48, 0x7f7fffff
	s_delay_alu instid0(VALU_DEP_2) | instskip(SKIP_1) | instid1(VALU_DEP_1)
	v_min3_f32 v82, v45, v44, 0x7f7fffff
	v_dual_add_f32 v44, v21, v41 :: v_dual_add_f32 v45, v20, v40
	v_min3_f32 v61, v45, v44, 0x7f7fffff
	v_dual_add_f32 v44, v17, v41 :: v_dual_add_f32 v45, v16, v40
	s_delay_alu instid0(VALU_DEP_1) | instskip(SKIP_1) | instid1(VALU_DEP_1)
	v_min3_f32 v60, v45, v44, 0x7f7fffff
	v_dual_add_f32 v44, v13, v41 :: v_dual_add_f32 v45, v12, v40
	v_min3_f32 v57, v45, v44, 0x7f7fffff
	v_dual_add_f32 v44, v9, v41 :: v_dual_add_f32 v45, v8, v40
	v_dual_add_f32 v41, v1, v41 :: v_dual_add_f32 v40, v0, v40
	v_add_f32_e32 v8, v8, v4
	s_delay_alu instid0(VALU_DEP_2) | instskip(SKIP_2) | instid1(VALU_DEP_2)
	v_min3_f32 v53, v40, v41, 0x7f7fffff
	v_dual_add_f32 v40, v33, v37 :: v_dual_add_f32 v41, v32, v36
	v_dual_add_f32 v33, v33, v5 :: v_dual_add_f32 v32, v32, v4
	v_min3_f32 v52, v41, v40, 0x7f7fffff
	v_dual_add_f32 v40, v29, v37 :: v_dual_add_f32 v41, v28, v36
	v_dual_add_f32 v29, v29, v5 :: v_dual_add_f32 v28, v28, v4
	s_delay_alu instid0(VALU_DEP_2) | instskip(SKIP_4) | instid1(VALU_DEP_4)
	v_min3_f32 v49, v41, v40, 0x7f7fffff
	v_dual_add_f32 v40, v25, v37 :: v_dual_add_f32 v41, v24, v36
	v_min3_f32 v56, v45, v44, 0x7f7fffff
	v_dual_add_f32 v25, v25, v5 :: v_dual_add_f32 v24, v24, v4
	v_min3_f32 v32, v32, v33, 0x7f7fffff
	v_min3_f32 v48, v41, v40, 0x7f7fffff
	v_dual_add_f32 v40, v21, v37 :: v_dual_add_f32 v41, v20, v36
	v_dual_add_f32 v21, v21, v5 :: v_dual_add_f32 v20, v20, v4
	v_min3_f32 v28, v28, v29, 0x7f7fffff
	s_delay_alu instid0(VALU_DEP_3) | instskip(SKIP_3) | instid1(VALU_DEP_3)
	v_min3_f32 v45, v41, v40, 0x7f7fffff
	v_dual_add_f32 v40, v17, v37 :: v_dual_add_f32 v41, v16, v36
	v_dual_add_f32 v17, v17, v5 :: v_dual_add_f32 v16, v16, v4
	v_min3_f32 v24, v24, v25, 0x7f7fffff
	v_min3_f32 v44, v41, v40, 0x7f7fffff
	v_dual_add_f32 v40, v13, v37 :: v_dual_add_f32 v41, v12, v36
	v_dual_add_f32 v36, v0, v36 :: v_dual_add_f32 v13, v13, v5
	v_add_f32_e32 v0, v0, v4
	v_add_f32_e32 v12, v12, v4
	s_delay_alu instid0(VALU_DEP_4)
	v_min3_f32 v41, v41, v40, 0x7f7fffff
	v_add_f32_e32 v40, v9, v37
	v_add_f32_e32 v37, v1, v37
	v_dual_add_f32 v1, v1, v5 :: v_dual_add_f32 v4, v34, v62
	v_add_f32_e32 v9, v9, v5
	v_min3_f32 v20, v20, v21, 0x7f7fffff
	s_delay_alu instid0(VALU_DEP_4) | instskip(NEXT) | instid1(VALU_DEP_4)
	v_min3_f32 v36, v36, v37, 0x7f7fffff
	v_min3_f32 v0, v0, v1, 0x7f7fffff
	v_add_f32_e32 v1, v35, v63
	v_min3_f32 v16, v16, v17, 0x7f7fffff
	v_min3_f32 v12, v12, v13, 0x7f7fffff
	s_delay_alu instid0(VALU_DEP_3) | instskip(SKIP_1) | instid1(VALU_DEP_1)
	v_min3_f32 v141, v4, v1, v76
	v_dual_add_f32 v1, v31, v63 :: v_dual_add_f32 v4, v30, v62
	v_min3_f32 v81, v4, v1, v77
	v_dual_add_f32 v1, v27, v63 :: v_dual_add_f32 v4, v26, v62
	v_min3_f32 v40, v79, v40, 0x7f7fffff
	s_delay_alu instid0(VALU_DEP_2) | instskip(SKIP_2) | instid1(VALU_DEP_2)
	v_min3_f32 v79, v4, v1, v78
	v_dual_add_f32 v1, v23, v63 :: v_dual_add_f32 v4, v22, v62
	v_min3_f32 v8, v8, v9, 0x7f7fffff
	v_min3_f32 v77, v4, v1, v80
	v_dual_add_f32 v1, v19, v63 :: v_dual_add_f32 v4, v18, v62
	s_delay_alu instid0(VALU_DEP_1) | instskip(SKIP_1) | instid1(VALU_DEP_1)
	v_min3_f32 v76, v4, v1, v117
	v_dual_add_f32 v1, v15, v63 :: v_dual_add_f32 v4, v14, v62
	v_min3_f32 v78, v4, v1, v118
	v_dual_add_f32 v1, v11, v63 :: v_dual_add_f32 v4, v10, v62
	s_delay_alu instid0(VALU_DEP_1) | instskip(SKIP_1) | instid1(VALU_DEP_1)
	v_min3_f32 v80, v4, v1, v119
	v_dual_add_f32 v1, v3, v63 :: v_dual_add_f32 v4, v2, v62
	;; [unrolled: 5-line block ×25, first 2 shown]
	v_min3_f32 v91, v4, v1, v41
	v_dual_add_f32 v1, v11, v39 :: v_dual_add_f32 v4, v10, v38
	s_delay_alu instid0(VALU_DEP_1) | instskip(SKIP_2) | instid1(VALU_DEP_2)
	v_min3_f32 v90, v4, v1, v40
	v_dual_add_f32 v1, v3, v39 :: v_dual_add_f32 v4, v2, v38
	v_add_f32_e32 v2, v2, v6
	v_min3_f32 v89, v4, v1, v36
	v_dual_add_f32 v1, v35, v7 :: v_dual_add_f32 v4, v34, v6
	s_delay_alu instid0(VALU_DEP_1) | instskip(SKIP_1) | instid1(VALU_DEP_1)
	v_min3_f32 v88, v4, v1, v32
	v_dual_add_f32 v1, v31, v7 :: v_dual_add_f32 v4, v30, v6
	v_min3_f32 v87, v4, v1, v28
	v_dual_add_f32 v1, v27, v7 :: v_dual_add_f32 v4, v26, v6
	s_delay_alu instid0(VALU_DEP_1) | instskip(SKIP_1) | instid1(VALU_DEP_1)
	v_min3_f32 v86, v4, v1, v24
	v_dual_add_f32 v1, v23, v7 :: v_dual_add_f32 v4, v22, v6
	v_min3_f32 v85, v4, v1, v20
	v_dual_add_f32 v1, v19, v7 :: v_dual_add_f32 v4, v18, v6
	s_delay_alu instid0(VALU_DEP_1) | instskip(SKIP_1) | instid1(VALU_DEP_1)
	v_min3_f32 v84, v4, v1, v16
	v_dual_add_f32 v1, v15, v7 :: v_dual_add_f32 v4, v14, v6
	v_min3_f32 v83, v4, v1, v12
	v_dual_add_f32 v1, v11, v7 :: v_dual_add_f32 v4, v10, v6
	s_delay_alu instid0(VALU_DEP_1) | instskip(SKIP_1) | instid1(VALU_DEP_1)
	v_min3_f32 v82, v4, v1, v8
	v_add_f32_e32 v1, v3, v7
	v_min3_f32 v92, v2, v1, v0
	s_cbranch_scc1 .LBB69_54
; %bb.32:
	v_add_nc_u32_e32 v4, 12, v72
	v_add_nc_u32_e32 v6, 8, v72
	v_lshlrev_b64 v[0:1], 2, v[64:65]
	v_lshlrev_b64 v[66:67], 2, v[66:67]
	v_or_b32_e32 v121, 0x2000, v75
	v_mad_i64_i32 v[2:3], null, v4, s8, 0
	v_mad_i64_i32 v[4:5], null, v6, s8, 0
	v_add_co_u32 v144, s6, s24, v0
	v_add_nc_u32_e32 v132, 0x2000, v73
	v_add_nc_u32_e32 v142, 0x2400, v75
	v_lshlrev_b64 v[64:65], 2, v[2:3]
	v_or_b32_e32 v143, 0x1000, v75
	v_lshlrev_b64 v[68:69], 2, v[4:5]
	v_add_co_ci_u32_e64 v145, s6, s25, v1, s6
	v_lshl_add_u32 v146, v70, 4, 0x2400
	v_lshl_add_u32 v147, v71, 4, 0x1000
	s_add_i32 s24, s18, -8
	s_lshl_b64 s[8:9], s[8:9], 5
	s_mov_b32 s25, 0
	s_branch .LBB69_34
.LBB69_33:                              ;   in Loop: Header=BB69_34 Depth=1
	s_or_b32 exec_lo, exec_lo, s7
	ds_load_b128 v[88:91], v74
	ds_load_b128 v[152:155], v132
	ds_load_b128 v[156:159], v132 offset:128
	ds_load_b128 v[160:163], v132 offset:256
	;; [unrolled: 1-line block ×14, first 2 shown]
	v_add_co_u32 v144, s6, v144, s8
	s_delay_alu instid0(VALU_DEP_1)
	v_add_co_ci_u32_e64 v145, s6, s9, v145, s6
	s_add_i32 s25, s25, 8
	ds_store_b32 v142, v148
	ds_store_2addr_stride64_b32 v143, v149, v150 offset1:4
	ds_store_2addr_stride64_b32 v143, v151, v0 offset0:8 offset1:12
	s_waitcnt lgkmcnt(17)
	v_dual_add_f32 v11, v153, v89 :: v_dual_add_f32 v14, v152, v88
	s_waitcnt lgkmcnt(16)
	v_dual_add_f32 v15, v157, v89 :: v_dual_add_f32 v18, v156, v88
	;; [unrolled: 2-line block ×3, first 2 shown]
	s_waitcnt lgkmcnt(14)
	v_add_f32_e32 v23, v165, v89
	v_min3_f32 v11, v14, v11, v25
	v_min3_f32 v14, v18, v15, v28
	v_add_f32_e32 v18, v164, v88
	v_min3_f32 v15, v22, v19, v29
	s_waitcnt lgkmcnt(13)
	v_dual_add_f32 v19, v169, v89 :: v_dual_add_f32 v22, v168, v88
	s_waitcnt lgkmcnt(12)
	v_dual_add_f32 v25, v173, v89 :: v_dual_add_f32 v28, v172, v88
	;; [unrolled: 2-line block ×4, first 2 shown]
	v_min3_f32 v1, v18, v23, v1
	v_min3_f32 v18, v22, v19, v32
	;; [unrolled: 1-line block ×5, first 2 shown]
	s_waitcnt lgkmcnt(9)
	v_dual_add_f32 v25, v153, v93 :: v_dual_add_f32 v28, v152, v92
	v_dual_add_f32 v29, v157, v93 :: v_dual_add_f32 v32, v156, v92
	v_dual_add_f32 v33, v161, v93 :: v_dual_add_f32 v34, v160, v92
	v_dual_add_f32 v35, v165, v93 :: v_dual_add_f32 v36, v164, v92
	v_dual_add_f32 v37, v169, v93 :: v_dual_add_f32 v38, v168, v92
	v_min3_f32 v4, v28, v25, v4
	v_min3_f32 v25, v32, v29, v40
	;; [unrolled: 1-line block ×5, first 2 shown]
	v_dual_add_f32 v33, v173, v93 :: v_dual_add_f32 v34, v172, v92
	v_dual_add_f32 v35, v177, v93 :: v_dual_add_f32 v36, v176, v92
	;; [unrolled: 1-line block ×3, first 2 shown]
	s_waitcnt lgkmcnt(8)
	v_dual_add_f32 v39, v153, v97 :: v_dual_add_f32 v40, v152, v96
	v_dual_add_f32 v41, v157, v97 :: v_dual_add_f32 v44, v156, v96
	v_min3_f32 v5, v34, v33, v5
	v_min3_f32 v33, v36, v35, v48
	;; [unrolled: 1-line block ×5, first 2 shown]
	v_dual_add_f32 v37, v161, v97 :: v_dual_add_f32 v38, v160, v96
	v_dual_add_f32 v39, v165, v97 :: v_dual_add_f32 v40, v164, v96
	;; [unrolled: 1-line block ×5, first 2 shown]
	v_min3_f32 v8, v38, v37, v8
	v_min3_f32 v37, v40, v39, v54
	;; [unrolled: 1-line block ×5, first 2 shown]
	v_dual_add_f32 v41, v181, v97 :: v_dual_add_f32 v44, v180, v96
	s_waitcnt lgkmcnt(7)
	v_dual_add_f32 v45, v153, v101 :: v_dual_add_f32 v48, v152, v100
	v_dual_add_f32 v49, v157, v101 :: v_dual_add_f32 v52, v156, v100
	;; [unrolled: 1-line block ×4, first 2 shown]
	v_min3_f32 v9, v44, v41, v9
	v_min3_f32 v41, v48, v45, v58
	;; [unrolled: 1-line block ×5, first 2 shown]
	v_dual_add_f32 v49, v169, v101 :: v_dual_add_f32 v52, v168, v100
	v_dual_add_f32 v53, v173, v101 :: v_dual_add_f32 v54, v172, v100
	;; [unrolled: 1-line block ×4, first 2 shown]
	s_waitcnt lgkmcnt(6)
	v_dual_add_f32 v59, v153, v185 :: v_dual_add_f32 v60, v152, v184
	v_min3_f32 v12, v52, v49, v12
	v_min3_f32 v49, v54, v53, v50
	;; [unrolled: 1-line block ×5, first 2 shown]
	v_dual_add_f32 v53, v157, v185 :: v_dual_add_f32 v54, v156, v184
	v_dual_add_f32 v55, v161, v185 :: v_dual_add_f32 v56, v160, v184
	;; [unrolled: 1-line block ×5, first 2 shown]
	v_min3_f32 v13, v54, v53, v13
	v_min3_f32 v53, v56, v55, v76
	;; [unrolled: 1-line block ×5, first 2 shown]
	v_dual_add_f32 v57, v177, v185 :: v_dual_add_f32 v58, v176, v184
	v_dual_add_f32 v59, v181, v185 :: v_dual_add_f32 v60, v180, v184
	s_waitcnt lgkmcnt(5)
	v_dual_add_f32 v61, v153, v189 :: v_dual_add_f32 v62, v152, v188
	v_dual_add_f32 v63, v157, v189 :: v_dual_add_f32 v76, v156, v188
	;; [unrolled: 1-line block ×3, first 2 shown]
	v_min3_f32 v16, v58, v57, v16
	v_min3_f32 v46, v60, v59, v46
	;; [unrolled: 1-line block ×5, first 2 shown]
	v_dual_add_f32 v59, v165, v189 :: v_dual_add_f32 v60, v164, v188
	v_dual_add_f32 v61, v169, v189 :: v_dual_add_f32 v62, v168, v188
	;; [unrolled: 1-line block ×5, first 2 shown]
	v_min3_f32 v17, v60, v59, v17
	v_min3_f32 v42, v62, v61, v42
	;; [unrolled: 1-line block ×5, first 2 shown]
	s_waitcnt lgkmcnt(4)
	v_dual_add_f32 v61, v153, v193 :: v_dual_add_f32 v62, v152, v192
	v_dual_add_f32 v63, v157, v193 :: v_dual_add_f32 v76, v156, v192
	;; [unrolled: 1-line block ×5, first 2 shown]
	v_min3_f32 v20, v62, v61, v20
	v_min3_f32 v61, v76, v63, v84
	;; [unrolled: 1-line block ×4, first 2 shown]
	v_dual_add_f32 v76, v173, v193 :: v_dual_add_f32 v77, v172, v192
	v_dual_add_f32 v78, v177, v193 :: v_dual_add_f32 v79, v176, v192
	s_waitcnt lgkmcnt(3)
	v_dual_add_f32 v85, v157, v197 :: v_dual_add_f32 v86, v156, v196
	v_min3_f32 v82, v82, v81, v87
	v_dual_add_f32 v80, v181, v193 :: v_dual_add_f32 v81, v180, v192
	v_dual_add_f32 v83, v153, v197 :: v_dual_add_f32 v84, v152, v196
	v_min3_f32 v21, v77, v76, v21
	v_min3_f32 v26, v79, v78, v26
	;; [unrolled: 1-line block ×3, first 2 shown]
	v_dual_add_f32 v76, v161, v197 :: v_dual_add_f32 v77, v160, v196
	v_dual_add_f32 v78, v165, v197 :: v_dual_add_f32 v79, v164, v196
	;; [unrolled: 1-line block ×3, first 2 shown]
	v_min3_f32 v27, v81, v80, v27
	v_min3_f32 v30, v84, v83, v30
	v_dual_add_f32 v80, v169, v197 :: v_dual_add_f32 v81, v168, v196
	v_dual_add_f32 v83, v173, v197 :: v_dual_add_f32 v84, v172, v196
	v_min3_f32 v24, v77, v76, v24
	v_min3_f32 v3, v79, v78, v3
	;; [unrolled: 1-line block ×3, first 2 shown]
	v_dual_add_f32 v76, v181, v197 :: v_dual_add_f32 v77, v180, v196
	v_dual_add_f32 v78, v155, v91 :: v_dual_add_f32 v79, v154, v90
	;; [unrolled: 1-line block ×3, first 2 shown]
	v_min3_f32 v6, v81, v80, v6
	v_min3_f32 v7, v84, v83, v7
	v_dual_add_f32 v80, v159, v91 :: v_dual_add_f32 v81, v158, v90
	v_dual_add_f32 v83, v163, v91 :: v_dual_add_f32 v84, v162, v90
	v_min3_f32 v2, v77, v76, v2
	v_min3_f32 v141, v79, v78, v11
	;; [unrolled: 1-line block ×3, first 2 shown]
	v_add_f32_e32 v1, v171, v91
	v_add_f32_e32 v11, v170, v90
	v_dual_add_f32 v85, v182, v90 :: v_dual_add_f32 v86, v155, v95
	v_add_f32_e32 v87, v154, v94
	v_min3_f32 v81, v81, v80, v14
	v_min3_f32 v79, v84, v83, v15
	v_dual_add_f32 v14, v175, v91 :: v_dual_add_f32 v15, v174, v90
	v_dual_add_f32 v80, v179, v91 :: v_dual_add_f32 v83, v178, v90
	v_add_f32_e32 v84, v183, v91
	v_min3_f32 v139, v87, v86, v4
	v_add_f32_e32 v4, v158, v94
	v_min3_f32 v76, v11, v1, v18
	;; [unrolled: 2-line block ×4, first 2 shown]
	v_min3_f32 v140, v85, v84, v23
	v_dual_add_f32 v11, v163, v95 :: v_dual_add_f32 v18, v166, v94
	v_dual_add_f32 v15, v167, v95 :: v_dual_add_f32 v22, v170, v94
	v_add_f32_e32 v19, v171, v95
	v_add_f32_e32 v23, v175, v95
	;; [unrolled: 1-line block ×3, first 2 shown]
	v_min3_f32 v138, v4, v1, v25
	v_dual_add_f32 v1, v179, v95 :: v_dual_add_f32 v4, v178, v94
	v_min3_f32 v137, v14, v11, v28
	v_min3_f32 v136, v18, v15, v29
	v_min3_f32 v135, v22, v19, v32
	v_dual_add_f32 v11, v182, v94 :: v_dual_add_f32 v22, v163, v99
	v_dual_add_f32 v14, v155, v99 :: v_dual_add_f32 v15, v154, v98
	;; [unrolled: 1-line block ×3, first 2 shown]
	v_min3_f32 v133, v4, v1, v33
	v_add_f32_e32 v4, v166, v98
	v_min3_f32 v134, v83, v23, v5
	v_add_f32_e32 v5, v183, v95
	v_add_f32_e32 v23, v162, v98
	v_min3_f32 v130, v15, v14, v35
	v_min3_f32 v129, v19, v18, v36
	v_dual_add_f32 v1, v167, v99 :: v_dual_add_f32 v18, v178, v98
	s_delay_alu instid0(VALU_DEP_4)
	v_min3_f32 v128, v23, v22, v8
	v_add_f32_e32 v8, v170, v98
	v_add_f32_e32 v14, v174, v98
	v_min3_f32 v131, v11, v5, v34
	v_dual_add_f32 v5, v171, v99 :: v_dual_add_f32 v22, v182, v98
	v_add_f32_e32 v11, v175, v99
	v_add_f32_e32 v15, v179, v99
	;; [unrolled: 1-line block ×3, first 2 shown]
	v_min3_f32 v127, v4, v1, v37
	v_min3_f32 v126, v8, v5, v38
	v_dual_add_f32 v1, v155, v103 :: v_dual_add_f32 v4, v154, v102
	v_min3_f32 v125, v14, v11, v39
	v_dual_add_f32 v5, v159, v103 :: v_dual_add_f32 v8, v158, v102
	;; [unrolled: 2-line block ×3, first 2 shown]
	v_dual_add_f32 v18, v171, v103 :: v_dual_add_f32 v11, v162, v102
	s_cmp_ge_i32 s25, s24
	s_waitcnt lgkmcnt(0)
	s_delay_alu instid0(VALU_DEP_2)
	v_min3_f32 v118, v15, v14, v48
	v_add_f32_e32 v14, v154, v186
	v_min3_f32 v120, v8, v5, v44
	v_dual_add_f32 v5, v179, v103 :: v_dual_add_f32 v8, v178, v102
	v_min3_f32 v123, v4, v1, v41
	v_add_f32_e32 v4, v174, v102
	v_min3_f32 v122, v22, v19, v9
	v_add_f32_e32 v19, v170, v102
	v_add_f32_e32 v9, v163, v103
	;; [unrolled: 1-line block ×4, first 2 shown]
	v_min3_f32 v115, v8, v5, v50
	v_min3_f32 v117, v19, v18, v12
	v_add_f32_e32 v12, v155, v187
	v_dual_add_f32 v18, v158, v186 :: v_dual_add_f32 v5, v167, v187
	v_add_f32_e32 v8, v166, v186
	v_min3_f32 v116, v4, v1, v49
	s_delay_alu instid0(VALU_DEP_4)
	v_min3_f32 v113, v14, v12, v52
	v_dual_add_f32 v1, v163, v187 :: v_dual_add_f32 v4, v162, v186
	v_add_f32_e32 v14, v179, v187
	v_min3_f32 v110, v8, v5, v54
	v_dual_add_f32 v5, v155, v191 :: v_dual_add_f32 v8, v154, v190
	v_min3_f32 v112, v18, v15, v13
	v_dual_add_f32 v15, v178, v186 :: v_dual_add_f32 v12, v175, v187
	v_min3_f32 v119, v11, v9, v45
	v_add_f32_e32 v9, v183, v103
	v_add_f32_e32 v11, v182, v102
	;; [unrolled: 1-line block ×3, first 2 shown]
	v_min3_f32 v111, v4, v1, v53
	v_min3_f32 v107, v15, v14, v16
	v_dual_add_f32 v1, v183, v187 :: v_dual_add_f32 v4, v182, v186
	v_dual_add_f32 v14, v167, v191 :: v_dual_add_f32 v15, v166, v190
	v_min3_f32 v105, v8, v5, v47
	v_dual_add_f32 v5, v175, v191 :: v_dual_add_f32 v8, v174, v190
	v_min3_f32 v114, v11, v9, v51
	v_add_f32_e32 v9, v171, v187
	v_add_f32_e32 v11, v170, v186
	v_min3_f32 v102, v15, v14, v17
	v_add_f32_e32 v14, v155, v195
	v_min3_f32 v108, v13, v12, v56
	v_dual_add_f32 v12, v163, v191 :: v_dual_add_f32 v13, v162, v190
	v_add_f32_e32 v15, v154, v194
	v_min3_f32 v100, v8, v5, v43
	v_add_f32_e32 v8, v162, v194
	v_min3_f32 v106, v4, v1, v46
	v_dual_add_f32 v1, v171, v191 :: v_dual_add_f32 v4, v170, v190
	v_min3_f32 v103, v13, v12, v58
	v_add_f32_e32 v12, v183, v191
	v_min3_f32 v97, v15, v14, v20
	v_add_f32_e32 v14, v175, v195
	;; [unrolled: 2-line block ×4, first 2 shown]
	v_add_f32_e32 v15, v174, v194
	v_add_f32_e32 v13, v182, v190
	;; [unrolled: 1-line block ×5, first 2 shown]
	v_min3_f32 v91, v15, v14, v21
	v_dual_add_f32 v14, v163, v199 :: v_dual_add_f32 v15, v162, v198
	s_delay_alu instid0(VALU_DEP_4)
	v_min3_f32 v95, v8, v5, v62
	v_add_f32_e32 v8, v182, v194
	v_min3_f32 v104, v11, v9, v57
	v_add_f32_e32 v9, v179, v191
	;; [unrolled: 2-line block ×3, first 2 shown]
	v_min3_f32 v98, v13, v12, v60
	v_dual_add_f32 v12, v171, v195 :: v_dual_add_f32 v13, v170, v194
	v_add_f32_e32 v11, v178, v190
	v_min3_f32 v96, v4, v1, v61
	v_dual_add_f32 v1, v179, v195 :: v_dual_add_f32 v4, v178, v194
	s_delay_alu instid0(VALU_DEP_4) | instskip(SKIP_2) | instid1(VALU_DEP_4)
	v_min3_f32 v93, v13, v12, v82
	v_dual_add_f32 v12, v159, v199 :: v_dual_add_f32 v13, v158, v198
	v_add_f32_e32 v5, v183, v195
	v_min3_f32 v90, v4, v1, v26
	v_dual_add_f32 v1, v167, v199 :: v_dual_add_f32 v4, v166, v198
	s_delay_alu instid0(VALU_DEP_4)
	v_min3_f32 v87, v13, v12, v31
	v_add_f32_e32 v12, v179, v199
	v_min3_f32 v99, v11, v9, v59
	v_add_f32_e32 v9, v167, v195
	v_add_f32_e32 v11, v166, v194
	v_min3_f32 v89, v8, v5, v27
	v_dual_add_f32 v5, v171, v199 :: v_dual_add_f32 v8, v170, v198
	v_add_f32_e32 v13, v178, v198
	s_delay_alu instid0(VALU_DEP_4)
	v_min3_f32 v94, v11, v9, v63
	v_add_f32_e32 v9, v155, v199
	v_add_f32_e32 v11, v154, v198
	;; [unrolled: 1-line block ×3, first 2 shown]
	v_min3_f32 v85, v4, v1, v3
	v_min3_f32 v84, v8, v5, v6
	;; [unrolled: 1-line block ×4, first 2 shown]
	v_add_f32_e32 v9, v175, v199
	v_add_f32_e32 v11, v174, v198
	v_min3_f32 v92, v15, v14, v2
	s_barrier
	buffer_gl0_inv
	v_min3_f32 v83, v11, v9, v7
	s_cbranch_scc1 .LBB69_54
.LBB69_34:                              ; =>This Inner Loop Header: Depth=1
	v_add_nc_u32_e32 v148, s25, v72
	s_delay_alu instid0(VALU_DEP_1) | instskip(NEXT) | instid1(VALU_DEP_1)
	v_add_nc_u32_e32 v0, 8, v148
	v_cmp_le_i32_e64 s6, s18, v0
	s_delay_alu instid0(VALU_DEP_1) | instskip(NEXT) | instid1(SALU_CYCLE_1)
	s_or_b32 s7, vcc_lo, s6
	v_cndmask_b32_e64 v149, 0, 0x7f7fffff, s7
	s_or_b32 s7, s27, s7
	s_delay_alu instid0(SALU_CYCLE_1) | instskip(NEXT) | instid1(SALU_CYCLE_1)
	s_xor_b32 s7, s7, -1
	s_and_saveexec_b32 s30, s7
	s_cbranch_execz .LBB69_36
; %bb.35:                               ;   in Loop: Header=BB69_34 Depth=1
	v_add_co_u32 v1, s7, v144, v68
	s_delay_alu instid0(VALU_DEP_1)
	v_add_co_ci_u32_e64 v2, s7, v145, v69, s7
	flat_load_b32 v1, v[1:2]
	s_waitcnt vmcnt(0) lgkmcnt(0)
	v_mul_f32_e32 v149, s26, v1
.LBB69_36:                              ;   in Loop: Header=BB69_34 Depth=1
	s_or_b32 exec_lo, exec_lo, s30
	v_min_i32_e32 v2, s28, v0
	s_delay_alu instid0(VALU_DEP_1) | instskip(NEXT) | instid1(VALU_DEP_1)
	v_mad_i64_i32 v[0:1], null, v2, s29, 0
	v_lshlrev_b64 v[0:1], 2, v[0:1]
	s_delay_alu instid0(VALU_DEP_1) | instskip(NEXT) | instid1(VALU_DEP_1)
	v_add_co_u32 v0, s7, s22, v0
	v_add_co_ci_u32_e64 v1, s7, s23, v1, s7
	s_or_b32 s7, s2, s6
	s_delay_alu instid0(SALU_CYCLE_1) | instskip(SKIP_1) | instid1(SALU_CYCLE_1)
	v_cndmask_b32_e64 v150, 0, 0x7f7fffff, s7
	s_or_b32 s7, s27, s7
	s_xor_b32 s7, s7, -1
	s_delay_alu instid0(SALU_CYCLE_1)
	s_and_saveexec_b32 s30, s7
	s_cbranch_execz .LBB69_38
; %bb.37:                               ;   in Loop: Header=BB69_34 Depth=1
	v_add_co_u32 v2, s7, v0, v66
	s_delay_alu instid0(VALU_DEP_1)
	v_add_co_ci_u32_e64 v3, s7, v1, v67, s7
	flat_load_b32 v2, v[2:3]
	s_waitcnt vmcnt(0) lgkmcnt(0)
	v_mul_f32_e32 v150, s26, v2
.LBB69_38:                              ;   in Loop: Header=BB69_34 Depth=1
	s_or_b32 exec_lo, exec_lo, s30
	s_or_b32 s7, s3, s6
	s_delay_alu instid0(SALU_CYCLE_1) | instskip(SKIP_1) | instid1(SALU_CYCLE_1)
	v_cndmask_b32_e64 v151, 0, 0x7f7fffff, s7
	s_or_b32 s7, s27, s7
	s_xor_b32 s7, s7, -1
	s_delay_alu instid0(SALU_CYCLE_1)
	s_and_saveexec_b32 s30, s7
	s_cbranch_execz .LBB69_40
; %bb.39:                               ;   in Loop: Header=BB69_34 Depth=1
	v_add_co_u32 v2, s7, v0, v66
	s_delay_alu instid0(VALU_DEP_1)
	v_add_co_ci_u32_e64 v3, s7, v1, v67, s7
	flat_load_b32 v2, v[2:3] offset:256
	s_waitcnt vmcnt(0) lgkmcnt(0)
	v_mul_f32_e32 v151, s26, v2
.LBB69_40:                              ;   in Loop: Header=BB69_34 Depth=1
	s_or_b32 exec_lo, exec_lo, s30
	s_or_b32 s7, s4, s6
	s_delay_alu instid0(SALU_CYCLE_1) | instskip(SKIP_1) | instid1(SALU_CYCLE_1)
	v_cndmask_b32_e64 v152, 0, 0x7f7fffff, s7
	s_or_b32 s7, s27, s7
	s_xor_b32 s7, s7, -1
	s_delay_alu instid0(SALU_CYCLE_1)
	s_and_saveexec_b32 s30, s7
	s_cbranch_execz .LBB69_42
; %bb.41:                               ;   in Loop: Header=BB69_34 Depth=1
	v_add_co_u32 v2, s7, v0, v66
	s_delay_alu instid0(VALU_DEP_1)
	v_add_co_ci_u32_e64 v3, s7, v1, v67, s7
	flat_load_b32 v2, v[2:3] offset:512
	s_waitcnt vmcnt(0) lgkmcnt(0)
	v_mul_f32_e32 v152, s26, v2
.LBB69_42:                              ;   in Loop: Header=BB69_34 Depth=1
	;; [unrolled: 17-line block ×3, first 2 shown]
	s_or_b32 exec_lo, exec_lo, s7
	ds_load_b128 v[32:35], v146
	ds_load_b128 v[28:31], v146 offset:128
	ds_load_b128 v[24:27], v146 offset:256
	;; [unrolled: 1-line block ×7, first 2 shown]
	ds_load_b128 v[60:63], v147
	ds_load_b128 v[56:59], v147 offset:512
	ds_load_b128 v[52:55], v147 offset:1024
	;; [unrolled: 1-line block ×7, first 2 shown]
	v_add_nc_u32_e32 v154, 12, v148
	ds_store_b32 v121, v149
	ds_store_2addr_stride64_b32 v75, v150, v151 offset1:4
	ds_store_2addr_stride64_b32 v75, v152, v153 offset0:8 offset1:12
	s_waitcnt lgkmcnt(0)
	s_barrier
	buffer_gl0_inv
	v_cmp_le_i32_e64 s6, s18, v154
	s_delay_alu instid0(VALU_DEP_1) | instskip(NEXT) | instid1(SALU_CYCLE_1)
	s_or_b32 s7, vcc_lo, s6
	v_cndmask_b32_e64 v148, 0, 0x7f7fffff, s7
	s_or_b32 s7, s27, s7
	s_delay_alu instid0(SALU_CYCLE_1) | instskip(NEXT) | instid1(SALU_CYCLE_1)
	s_xor_b32 s7, s7, -1
	s_and_saveexec_b32 s30, s7
	s_cbranch_execz .LBB69_46
; %bb.45:                               ;   in Loop: Header=BB69_34 Depth=1
	v_add_co_u32 v148, s7, v144, v64
	s_delay_alu instid0(VALU_DEP_1)
	v_add_co_ci_u32_e64 v149, s7, v145, v65, s7
	flat_load_b32 v148, v[148:149]
	s_waitcnt vmcnt(0) lgkmcnt(0)
	v_mul_f32_e32 v148, s26, v148
.LBB69_46:                              ;   in Loop: Header=BB69_34 Depth=1
	s_or_b32 exec_lo, exec_lo, s30
	v_min_i32_e32 v151, s28, v154
	s_delay_alu instid0(VALU_DEP_1) | instskip(NEXT) | instid1(VALU_DEP_1)
	v_mad_i64_i32 v[149:150], null, v151, s29, 0
	v_lshlrev_b64 v[149:150], 2, v[149:150]
	s_delay_alu instid0(VALU_DEP_1) | instskip(NEXT) | instid1(VALU_DEP_1)
	v_add_co_u32 v152, s7, s22, v149
	v_add_co_ci_u32_e64 v153, s7, s23, v150, s7
	s_or_b32 s7, s2, s6
	s_delay_alu instid0(SALU_CYCLE_1) | instskip(SKIP_1) | instid1(SALU_CYCLE_1)
	v_cndmask_b32_e64 v149, 0, 0x7f7fffff, s7
	s_or_b32 s7, s27, s7
	s_xor_b32 s7, s7, -1
	s_delay_alu instid0(SALU_CYCLE_1)
	s_and_saveexec_b32 s30, s7
	s_cbranch_execz .LBB69_48
; %bb.47:                               ;   in Loop: Header=BB69_34 Depth=1
	v_add_co_u32 v149, s7, v152, v66
	s_delay_alu instid0(VALU_DEP_1)
	v_add_co_ci_u32_e64 v150, s7, v153, v67, s7
	flat_load_b32 v149, v[149:150]
	s_waitcnt vmcnt(0) lgkmcnt(0)
	v_mul_f32_e32 v149, s26, v149
.LBB69_48:                              ;   in Loop: Header=BB69_34 Depth=1
	s_or_b32 exec_lo, exec_lo, s30
	s_or_b32 s7, s3, s6
	s_delay_alu instid0(SALU_CYCLE_1) | instskip(SKIP_1) | instid1(SALU_CYCLE_1)
	v_cndmask_b32_e64 v150, 0, 0x7f7fffff, s7
	s_or_b32 s7, s27, s7
	s_xor_b32 s7, s7, -1
	s_delay_alu instid0(SALU_CYCLE_1)
	s_and_saveexec_b32 s30, s7
	s_cbranch_execz .LBB69_50
; %bb.49:                               ;   in Loop: Header=BB69_34 Depth=1
	v_add_co_u32 v150, s7, v152, v66
	s_delay_alu instid0(VALU_DEP_1)
	v_add_co_ci_u32_e64 v151, s7, v153, v67, s7
	flat_load_b32 v150, v[150:151] offset:256
	s_waitcnt vmcnt(0) lgkmcnt(0)
	v_mul_f32_e32 v150, s26, v150
.LBB69_50:                              ;   in Loop: Header=BB69_34 Depth=1
	s_or_b32 exec_lo, exec_lo, s30
	s_or_b32 s7, s4, s6
	s_delay_alu instid0(SALU_CYCLE_1) | instskip(SKIP_1) | instid1(SALU_CYCLE_1)
	v_cndmask_b32_e64 v151, 0, 0x7f7fffff, s7
	s_or_b32 s7, s27, s7
	s_xor_b32 s7, s7, -1
	s_delay_alu instid0(SALU_CYCLE_1)
	s_and_saveexec_b32 s30, s7
	s_cbranch_execz .LBB69_52
; %bb.51:                               ;   in Loop: Header=BB69_34 Depth=1
	v_add_co_u32 v154, s7, v152, v66
	s_delay_alu instid0(VALU_DEP_1)
	v_add_co_ci_u32_e64 v155, s7, v153, v67, s7
	flat_load_b32 v151, v[154:155] offset:512
	s_waitcnt vmcnt(0) lgkmcnt(0)
	v_mul_f32_e32 v151, s26, v151
.LBB69_52:                              ;   in Loop: Header=BB69_34 Depth=1
	s_or_b32 exec_lo, exec_lo, s30
	v_dual_add_f32 v154, v33, v61 :: v_dual_add_f32 v155, v32, v60
	v_dual_add_f32 v156, v29, v61 :: v_dual_add_f32 v157, v28, v60
	;; [unrolled: 1-line block ×3, first 2 shown]
	s_delay_alu instid0(VALU_DEP_3) | instskip(SKIP_1) | instid1(VALU_DEP_4)
	v_min3_f32 v141, v155, v154, v141
	v_dual_add_f32 v154, v17, v61 :: v_dual_add_f32 v155, v16, v60
	v_min3_f32 v81, v157, v156, v81
	s_delay_alu instid0(VALU_DEP_4)
	v_min3_f32 v79, v159, v158, v79
	v_dual_add_f32 v156, v13, v61 :: v_dual_add_f32 v157, v12, v60
	v_dual_add_f32 v158, v9, v61 :: v_dual_add_f32 v159, v8, v60
	;; [unrolled: 1-line block ×4, first 2 shown]
	v_min3_f32 v77, v155, v154, v77
	v_min3_f32 v76, v157, v156, v76
	v_dual_add_f32 v154, v29, v57 :: v_dual_add_f32 v155, v28, v56
	s_delay_alu instid0(VALU_DEP_4)
	v_min3_f32 v60, v60, v61, v140
	v_dual_add_f32 v61, v33, v57 :: v_dual_add_f32 v140, v32, v56
	v_dual_add_f32 v156, v25, v57 :: v_dual_add_f32 v157, v24, v56
	v_min3_f32 v78, v159, v158, v78
	v_min3_f32 v80, v161, v160, v80
	v_dual_add_f32 v158, v17, v57 :: v_dual_add_f32 v159, v16, v56
	v_dual_add_f32 v160, v13, v57 :: v_dual_add_f32 v161, v12, v56
	v_min3_f32 v61, v140, v61, v139
	v_min3_f32 v138, v155, v154, v138
	;; [unrolled: 1-line block ×3, first 2 shown]
	v_dual_add_f32 v139, v9, v57 :: v_dual_add_f32 v140, v8, v56
	v_dual_add_f32 v154, v5, v57 :: v_dual_add_f32 v155, v4, v56
	;; [unrolled: 1-line block ×4, first 2 shown]
	v_min3_f32 v136, v159, v158, v136
	v_dual_add_f32 v158, v29, v53 :: v_dual_add_f32 v159, v28, v52
	v_min3_f32 v134, v140, v139, v134
	v_min3_f32 v56, v56, v57, v131
	;; [unrolled: 1-line block ×3, first 2 shown]
	v_dual_add_f32 v130, v25, v53 :: v_dual_add_f32 v131, v24, v52
	v_dual_add_f32 v139, v17, v53 :: v_dual_add_f32 v140, v16, v52
	v_min3_f32 v133, v155, v154, v133
	v_min3_f32 v129, v159, v158, v129
	v_dual_add_f32 v154, v13, v53 :: v_dual_add_f32 v155, v12, v52
	v_dual_add_f32 v156, v9, v53 :: v_dual_add_f32 v157, v8, v52
	v_dual_add_f32 v158, v5, v53 :: v_dual_add_f32 v159, v4, v52
	v_min3_f32 v128, v131, v130, v128
	v_min3_f32 v127, v140, v139, v127
	v_dual_add_f32 v53, v1, v53 :: v_dual_add_f32 v52, v0, v52
	;; [unrolled: 5-line block ×3, first 2 shown]
	v_dual_add_f32 v156, v17, v49 :: v_dual_add_f32 v157, v16, v48
	v_min3_f32 v122, v52, v53, v122
	v_min3_f32 v123, v131, v130, v123
	;; [unrolled: 1-line block ×3, first 2 shown]
	v_dual_add_f32 v52, v13, v49 :: v_dual_add_f32 v53, v12, v48
	v_dual_add_f32 v130, v9, v49 :: v_dual_add_f32 v131, v8, v48
	;; [unrolled: 1-line block ×4, first 2 shown]
	v_min3_f32 v119, v155, v154, v119
	v_dual_add_f32 v154, v33, v45 :: v_dual_add_f32 v155, v32, v44
	v_min3_f32 v117, v53, v52, v117
	v_min3_f32 v116, v131, v130, v116
	;; [unrolled: 1-line block ×3, first 2 shown]
	v_dual_add_f32 v48, v29, v45 :: v_dual_add_f32 v49, v28, v44
	v_dual_add_f32 v52, v25, v45 :: v_dual_add_f32 v53, v24, v44
	;; [unrolled: 1-line block ×3, first 2 shown]
	v_min3_f32 v115, v140, v139, v115
	v_min3_f32 v113, v155, v154, v113
	v_dual_add_f32 v139, v13, v45 :: v_dual_add_f32 v140, v12, v44
	v_dual_add_f32 v154, v9, v45 :: v_dual_add_f32 v155, v8, v44
	v_min3_f32 v112, v49, v48, v112
	v_min3_f32 v111, v53, v52, v111
	;; [unrolled: 1-line block ×3, first 2 shown]
	v_dual_add_f32 v48, v5, v45 :: v_dual_add_f32 v49, v4, v44
	v_dual_add_f32 v45, v1, v45 :: v_dual_add_f32 v44, v0, v44
	;; [unrolled: 1-line block ×4, first 2 shown]
	v_min3_f32 v109, v140, v139, v109
	v_dual_add_f32 v139, v25, v41 :: v_dual_add_f32 v140, v24, v40
	v_min3_f32 v107, v49, v48, v107
	v_min3_f32 v106, v44, v45, v106
	;; [unrolled: 1-line block ×4, first 2 shown]
	v_dual_add_f32 v44, v17, v41 :: v_dual_add_f32 v45, v16, v40
	v_dual_add_f32 v48, v13, v41 :: v_dual_add_f32 v49, v12, v40
	;; [unrolled: 1-line block ×5, first 2 shown]
	v_min3_f32 v102, v45, v44, v102
	v_dual_add_f32 v44, v29, v37 :: v_dual_add_f32 v45, v28, v36
	v_min3_f32 v100, v53, v52, v100
	s_delay_alu instid0(VALU_DEP_4) | instskip(SKIP_4) | instid1(VALU_DEP_4)
	v_min3_f32 v98, v40, v41, v98
	v_dual_add_f32 v40, v33, v37 :: v_dual_add_f32 v41, v32, v36
	v_min3_f32 v99, v131, v130, v99
	v_dual_add_f32 v52, v17, v37 :: v_dual_add_f32 v53, v16, v36
	v_dual_add_f32 v130, v13, v37 :: v_dual_add_f32 v131, v12, v36
	v_min3_f32 v97, v41, v40, v97
	v_min3_f32 v96, v45, v44, v96
	v_dual_add_f32 v40, v9, v37 :: v_dual_add_f32 v41, v8, v36
	v_dual_add_f32 v44, v5, v37 :: v_dual_add_f32 v45, v4, v36
	;; [unrolled: 1-line block ×6, first 2 shown]
	v_min3_f32 v108, v155, v154, v108
	v_min3_f32 v103, v140, v139, v103
	;; [unrolled: 1-line block ×3, first 2 shown]
	v_dual_add_f32 v48, v25, v37 :: v_dual_add_f32 v49, v24, v36
	v_min3_f32 v93, v131, v130, v93
	v_dual_add_f32 v37, v1, v37 :: v_dual_add_f32 v36, v0, v36
	v_dual_add_f32 v29, v29, v21 :: v_dual_add_f32 v28, v28, v20
	;; [unrolled: 1-line block ×3, first 2 shown]
	v_min3_f32 v131, v16, v17, v85
	v_min3_f32 v139, v12, v13, v84
	;; [unrolled: 1-line block ×4, first 2 shown]
	v_dual_add_f32 v1, v1, v21 :: v_dual_add_f32 v0, v0, v20
	v_dual_add_f32 v4, v35, v63 :: v_dual_add_f32 v5, v34, v62
	;; [unrolled: 1-line block ×6, first 2 shown]
	v_min3_f32 v130, v28, v29, v87
	v_min3_f32 v24, v24, v25, v86
	;; [unrolled: 1-line block ×7, first 2 shown]
	v_dual_add_f32 v4, v15, v63 :: v_dual_add_f32 v5, v14, v62
	v_dual_add_f32 v8, v11, v63 :: v_dual_add_f32 v9, v10, v62
	;; [unrolled: 1-line block ×5, first 2 shown]
	v_min3_f32 v135, v161, v160, v135
	v_min3_f32 v95, v49, v48, v95
	;; [unrolled: 1-line block ×9, first 2 shown]
	v_dual_add_f32 v5, v31, v59 :: v_dual_add_f32 v8, v30, v58
	v_dual_add_f32 v9, v27, v59 :: v_dual_add_f32 v12, v26, v58
	;; [unrolled: 1-line block ×5, first 2 shown]
	v_min3_f32 v91, v41, v40, v91
	v_min3_f32 v90, v45, v44, v90
	v_min3_f32 v40, v8, v5, v138
	v_min3_f32 v41, v12, v9, v137
	v_min3_f32 v44, v16, v13, v136
	v_min3_f32 v45, v20, v17, v135
	v_min3_f32 v5, v48, v21, v134
	v_dual_add_f32 v8, v7, v59 :: v_dual_add_f32 v9, v6, v58
	v_dual_add_f32 v12, v3, v59 :: v_dual_add_f32 v13, v2, v58
	;; [unrolled: 1-line block ×4, first 2 shown]
	v_min3_f32 v124, v159, v158, v124
	v_min3_f32 v94, v53, v52, v94
	v_dual_add_f32 v58, v27, v55 :: v_dual_add_f32 v59, v26, v54
	v_min3_f32 v48, v9, v8, v133
	v_min3_f32 v49, v13, v12, v56
	;; [unrolled: 1-line block ×4, first 2 shown]
	v_dual_add_f32 v9, v19, v55 :: v_dual_add_f32 v12, v18, v54
	v_dual_add_f32 v13, v15, v55 :: v_dual_add_f32 v16, v14, v54
	;; [unrolled: 1-line block ×4, first 2 shown]
	v_add_f32_e32 v57, v6, v54
	v_min3_f32 v118, v157, v156, v118
	v_min3_f32 v8, v59, v58, v128
	v_dual_add_f32 v58, v3, v55 :: v_dual_add_f32 v59, v2, v54
	v_min3_f32 v54, v12, v9, v127
	v_add_f32_e32 v12, v35, v51
	v_min3_f32 v55, v16, v13, v126
	v_min3_f32 v56, v20, v17, v125
	;; [unrolled: 1-line block ×3, first 2 shown]
	v_dual_add_f32 v13, v34, v50 :: v_dual_add_f32 v16, v31, v51
	v_dual_add_f32 v17, v30, v50 :: v_dual_add_f32 v20, v27, v51
	v_add_f32_e32 v21, v26, v50
	v_dual_add_f32 v61, v19, v51 :: v_dual_add_f32 v76, v14, v50
	v_add_f32_e32 v63, v15, v51
	v_min3_f32 v9, v59, v58, v122
	v_min3_f32 v58, v13, v12, v123
	;; [unrolled: 1-line block ×3, first 2 shown]
	v_add_f32_e32 v16, v10, v50
	v_min3_f32 v60, v21, v20, v119
	v_min3_f32 v61, v62, v61, v118
	;; [unrolled: 1-line block ×3, first 2 shown]
	v_dual_add_f32 v13, v11, v51 :: v_dual_add_f32 v20, v6, v50
	v_dual_add_f32 v17, v7, v51 :: v_dual_add_f32 v62, v2, v50
	;; [unrolled: 1-line block ×4, first 2 shown]
	v_add_f32_e32 v77, v31, v47
	v_min3_f32 v50, v16, v13, v116
	v_min3_f32 v51, v20, v17, v115
	;; [unrolled: 1-line block ×3, first 2 shown]
	v_add_f32_e32 v16, v27, v47
	v_min3_f32 v13, v78, v77, v112
	v_dual_add_f32 v17, v26, v46 :: v_dual_add_f32 v20, v19, v47
	v_dual_add_f32 v21, v18, v46 :: v_dual_add_f32 v78, v15, v47
	;; [unrolled: 1-line block ×4, first 2 shown]
	v_add_f32_e32 v83, v6, v46
	v_min3_f32 v63, v76, v63, v113
	v_min3_f32 v76, v17, v16, v111
	;; [unrolled: 1-line block ×5, first 2 shown]
	v_add_f32_e32 v80, v31, v43
	v_min3_f32 v16, v83, v82, v107
	v_dual_add_f32 v17, v3, v47 :: v_dual_add_f32 v20, v2, v46
	v_dual_add_f32 v47, v34, v42 :: v_dual_add_f32 v82, v27, v43
	;; [unrolled: 1-line block ×3, first 2 shown]
	v_add_f32_e32 v83, v26, v42
	v_add_f32_e32 v85, v18, v42
	;; [unrolled: 1-line block ×3, first 2 shown]
	v_min3_f32 v46, v20, v17, v106
	v_min3_f32 v80, v81, v80, v104
	v_add_f32_e32 v20, v15, v43
	v_min3_f32 v81, v83, v82, v103
	v_add_f32_e32 v82, v11, v43
	v_min3_f32 v17, v85, v84, v102
	v_dual_add_f32 v83, v10, v42 :: v_dual_add_f32 v84, v7, v43
	v_dual_add_f32 v85, v6, v42 :: v_dual_add_f32 v86, v3, v43
	;; [unrolled: 1-line block ×3, first 2 shown]
	v_add_f32_e32 v102, v34, v38
	s_delay_alu instid0(VALU_DEP_4) | instskip(NEXT) | instid1(VALU_DEP_4)
	v_min3_f32 v43, v83, v82, v100
	v_min3_f32 v82, v85, v84, v99
	v_add_f32_e32 v84, v30, v38
	v_min3_f32 v47, v47, v21, v105
	v_add_f32_e32 v21, v14, v42
	v_min3_f32 v83, v87, v86, v98
	v_dual_add_f32 v85, v27, v39 :: v_dual_add_f32 v86, v26, v38
	v_dual_add_f32 v87, v19, v39 :: v_dual_add_f32 v98, v14, v38
	s_delay_alu instid0(VALU_DEP_4) | instskip(SKIP_4) | instid1(VALU_DEP_3)
	v_min3_f32 v42, v21, v20, v101
	v_min3_f32 v20, v102, v92, v97
	v_dual_add_f32 v21, v31, v39 :: v_dual_add_f32 v92, v18, v38
	v_dual_add_f32 v97, v15, v39 :: v_dual_add_f32 v100, v10, v38
	v_add_f32_e32 v99, v11, v39
	v_min3_f32 v84, v84, v21, v96
	v_min3_f32 v85, v86, v85, v95
	;; [unrolled: 1-line block ×3, first 2 shown]
	v_add_f32_e32 v92, v6, v38
	v_min3_f32 v21, v100, v99, v91
	v_dual_add_f32 v91, v7, v39 :: v_dual_add_f32 v38, v2, v38
	v_dual_add_f32 v39, v3, v39 :: v_dual_add_f32 v34, v34, v22
	;; [unrolled: 1-line block ×3, first 2 shown]
	v_min3_f32 v87, v98, v97, v93
	v_dual_add_f32 v31, v31, v23 :: v_dual_add_f32 v14, v14, v22
	v_dual_add_f32 v93, v30, v22 :: v_dual_add_f32 v94, v27, v23
	v_add_f32_e32 v95, v26, v22
	v_min3_f32 v30, v34, v35, v88
	v_add_f32_e32 v34, v7, v23
	v_dual_add_f32 v19, v19, v23 :: v_dual_add_f32 v10, v10, v22
	v_dual_add_f32 v15, v15, v23 :: v_dual_add_f32 v2, v2, v22
	v_add_f32_e32 v11, v11, v23
	v_add_f32_e32 v35, v6, v22
	v_add_f32_e32 v23, v3, v23
	s_or_b32 s6, s5, s6
	v_min3_f32 v26, v92, v91, v90
	v_min3_f32 v27, v38, v39, v89
	;; [unrolled: 1-line block ×9, first 2 shown]
	v_cndmask_b32_e64 v0, 0, 0x7f7fffff, s6
	s_or_b32 s6, s27, s6
	s_delay_alu instid0(SALU_CYCLE_1) | instskip(NEXT) | instid1(SALU_CYCLE_1)
	s_xor_b32 s6, s6, -1
	s_and_saveexec_b32 s7, s6
	s_cbranch_execz .LBB69_33
; %bb.53:                               ;   in Loop: Header=BB69_34 Depth=1
	v_add_co_u32 v14, s6, v152, v66
	s_delay_alu instid0(VALU_DEP_1)
	v_add_co_ci_u32_e64 v15, s6, v153, v67, s6
	flat_load_b32 v0, v[14:15] offset:768
	s_waitcnt vmcnt(0) lgkmcnt(0)
	v_mul_f32_e32 v0, s26, v0
	s_branch .LBB69_33
.LBB69_54:
	s_clause 0x2
	s_load_b64 s[2:3], s[0:1], 0x78
	s_load_b32 s18, s[0:1], 0x58
	s_load_b32 s9, s[0:1], 0x70
	ds_load_b128 v[32:35], v73 offset:9216
	ds_load_b128 v[28:31], v73 offset:9344
	;; [unrolled: 1-line block ×12, first 2 shown]
	v_add_nc_u32_e32 v132, s19, v71
	ds_load_b128 v[44:47], v74 offset:6144
	ds_load_b128 v[40:43], v74 offset:6656
	ds_load_b128 v[36:39], v74 offset:7168
	ds_load_b128 v[4:7], v74 offset:7680
	v_cndmask_b32_e64 v121, 0, 1, s21
	v_cmp_gt_i32_e64 s8, s17, v132
	s_waitcnt lgkmcnt(0)
	s_mul_i32 s1, s20, s3
	v_mad_i64_i32 v[64:65], null, v132, s18, 0
	v_mad_i64_i32 v[66:67], null, v132, s9, 0
	s_mul_hi_u32 s3, s20, s2
	s_mul_i32 s0, s20, s2
	s_add_i32 s1, s3, s1
	s_delay_alu instid0(SALU_CYCLE_1) | instskip(NEXT) | instid1(VALU_DEP_2)
	s_lshl_b64 s[0:1], s[0:1], 2
	v_lshlrev_b64 v[68:69], 2, v[64:65]
	s_delay_alu instid0(VALU_DEP_2) | instskip(SKIP_3) | instid1(VALU_DEP_3)
	v_lshlrev_b64 v[65:66], 2, v[66:67]
	v_add_nc_u32_e32 v64, s14, v70
	s_add_u32 s10, s10, s0
	s_addc_u32 s11, s11, s1
	v_add_co_u32 v144, vcc_lo, s12, v68
	v_add_co_ci_u32_e32 v145, vcc_lo, s13, v69, vcc_lo
	v_add_co_u32 v142, vcc_lo, s10, v65
	v_cmp_gt_i32_e64 s0, s16, v64
	v_add_co_ci_u32_e32 v143, vcc_lo, s11, v66, vcc_lo
	v_ashrrev_i32_e32 v65, 31, v64
	s_delay_alu instid0(VALU_DEP_3) | instskip(NEXT) | instid1(SALU_CYCLE_1)
	s_and_b32 s2, s0, s8
	s_and_saveexec_b32 s1, s2
	s_cbranch_execz .LBB69_59
; %bb.55:
	s_delay_alu instid0(VALU_DEP_1)
	v_lshlrev_b64 v[66:67], 2, v[64:65]
	s_and_not1_b32 vcc_lo, exec_lo, s21
	s_cbranch_vccnz .LBB69_57
; %bb.56:
	s_delay_alu instid0(VALU_DEP_1) | instskip(NEXT) | instid1(VALU_DEP_2)
	v_add_co_u32 v68, vcc_lo, v144, v66
	v_add_co_ci_u32_e32 v69, vcc_lo, v145, v67, vcc_lo
	flat_load_b32 v68, v[68:69]
	s_waitcnt vmcnt(0) lgkmcnt(0)
	v_mul_f32_e32 v68, s15, v68
	s_branch .LBB69_58
.LBB69_57:
	v_mov_b32_e32 v68, 0
.LBB69_58:
	v_dual_add_f32 v69, v33, v61 :: v_dual_add_f32 v70, v32, v60
	v_dual_add_f32 v71, v35, v63 :: v_dual_add_f32 v72, v34, v62
	v_add_co_u32 v66, vcc_lo, v142, v66
	s_delay_alu instid0(VALU_DEP_3) | instskip(SKIP_1) | instid1(VALU_DEP_4)
	v_min3_f32 v69, v70, v69, v141
	v_add_co_ci_u32_e32 v67, vcc_lo, v143, v67, vcc_lo
	v_min_f32_e32 v70, v72, v71
	s_delay_alu instid0(VALU_DEP_1)
	v_min3_f32 v68, v68, v70, v69
	global_store_b32 v[66:67], v68, off
.LBB69_59:
	s_or_b32 exec_lo, exec_lo, s1
	v_add_nc_u32_e32 v66, 8, v64
	s_delay_alu instid0(VALU_DEP_1) | instskip(SKIP_1) | instid1(VALU_DEP_2)
	v_cmp_gt_i32_e64 s1, s16, v66
	v_ashrrev_i32_e32 v67, 31, v66
	s_and_b32 s3, s1, s8
	s_delay_alu instid0(SALU_CYCLE_1)
	s_and_saveexec_b32 s2, s3
	s_cbranch_execz .LBB69_64
; %bb.60:
	v_cmp_ne_u32_e32 vcc_lo, 1, v121
	v_lshlrev_b64 v[68:69], 2, v[66:67]
	s_cbranch_vccnz .LBB69_62
; %bb.61:
	s_delay_alu instid0(VALU_DEP_1) | instskip(NEXT) | instid1(VALU_DEP_2)
	v_add_co_u32 v70, vcc_lo, v144, v68
	v_add_co_ci_u32_e32 v71, vcc_lo, v145, v69, vcc_lo
	flat_load_b32 v70, v[70:71]
	s_waitcnt vmcnt(0) lgkmcnt(0)
	v_mul_f32_e32 v70, s15, v70
	s_branch .LBB69_63
.LBB69_62:
	v_mov_b32_e32 v70, 0
.LBB69_63:
	v_dual_add_f32 v71, v29, v61 :: v_dual_add_f32 v72, v28, v60
	v_dual_add_f32 v73, v31, v63 :: v_dual_add_f32 v74, v30, v62
	s_delay_alu instid0(VALU_DEP_4) | instskip(NEXT) | instid1(VALU_DEP_3)
	v_add_co_u32 v68, vcc_lo, v142, v68
	v_min3_f32 v71, v72, v71, v81
	v_add_co_ci_u32_e32 v69, vcc_lo, v143, v69, vcc_lo
	s_delay_alu instid0(VALU_DEP_4) | instskip(NEXT) | instid1(VALU_DEP_1)
	v_min_f32_e32 v72, v74, v73
	v_min3_f32 v70, v70, v72, v71
	global_store_b32 v[68:69], v70, off
.LBB69_64:
	s_or_b32 exec_lo, exec_lo, s2
	v_add_nc_u32_e32 v68, 16, v64
	s_delay_alu instid0(VALU_DEP_1) | instskip(SKIP_1) | instid1(VALU_DEP_2)
	v_cmp_gt_i32_e64 s2, s16, v68
	v_ashrrev_i32_e32 v69, 31, v68
	s_and_b32 s4, s2, s8
	s_delay_alu instid0(SALU_CYCLE_1)
	s_and_saveexec_b32 s3, s4
	s_cbranch_execz .LBB69_69
; %bb.65:
	v_cmp_ne_u32_e32 vcc_lo, 1, v121
	v_lshlrev_b64 v[70:71], 2, v[68:69]
	s_cbranch_vccnz .LBB69_67
; %bb.66:
	s_delay_alu instid0(VALU_DEP_1) | instskip(NEXT) | instid1(VALU_DEP_2)
	v_add_co_u32 v72, vcc_lo, v144, v70
	v_add_co_ci_u32_e32 v73, vcc_lo, v145, v71, vcc_lo
	flat_load_b32 v72, v[72:73]
	s_waitcnt vmcnt(0) lgkmcnt(0)
	v_mul_f32_e32 v72, s15, v72
	s_branch .LBB69_68
.LBB69_67:
	v_mov_b32_e32 v72, 0
.LBB69_68:
	v_dual_add_f32 v73, v25, v61 :: v_dual_add_f32 v74, v24, v60
	v_add_f32_e32 v75, v27, v63
	v_add_f32_e32 v81, v26, v62
	v_add_co_u32 v70, vcc_lo, v142, v70
	s_delay_alu instid0(VALU_DEP_4) | instskip(SKIP_1) | instid1(VALU_DEP_4)
	v_min3_f32 v73, v74, v73, v79
	v_add_co_ci_u32_e32 v71, vcc_lo, v143, v71, vcc_lo
	v_min_f32_e32 v74, v81, v75
	s_delay_alu instid0(VALU_DEP_1)
	v_min3_f32 v72, v72, v74, v73
	global_store_b32 v[70:71], v72, off
.LBB69_69:
	s_or_b32 exec_lo, exec_lo, s3
	v_add_nc_u32_e32 v70, 24, v64
	s_delay_alu instid0(VALU_DEP_1) | instskip(SKIP_1) | instid1(VALU_DEP_2)
	v_cmp_gt_i32_e64 s3, s16, v70
	v_ashrrev_i32_e32 v71, 31, v70
	s_and_b32 s5, s3, s8
	s_delay_alu instid0(SALU_CYCLE_1)
	s_and_saveexec_b32 s4, s5
	s_cbranch_execz .LBB69_74
; %bb.70:
	v_cmp_ne_u32_e32 vcc_lo, 1, v121
	v_lshlrev_b64 v[72:73], 2, v[70:71]
	s_cbranch_vccnz .LBB69_72
; %bb.71:
	s_delay_alu instid0(VALU_DEP_1) | instskip(NEXT) | instid1(VALU_DEP_2)
	v_add_co_u32 v74, vcc_lo, v144, v72
	v_add_co_ci_u32_e32 v75, vcc_lo, v145, v73, vcc_lo
	flat_load_b32 v74, v[74:75]
	s_waitcnt vmcnt(0) lgkmcnt(0)
	v_mul_f32_e32 v74, s15, v74
	s_branch .LBB69_73
.LBB69_72:
	v_mov_b32_e32 v74, 0
.LBB69_73:
	v_add_f32_e32 v75, v21, v61
	v_add_f32_e32 v79, v20, v60
	;; [unrolled: 1-line block ×4, first 2 shown]
	v_add_co_u32 v72, vcc_lo, v142, v72
	s_delay_alu instid0(VALU_DEP_4) | instskip(SKIP_1) | instid1(VALU_DEP_4)
	v_min3_f32 v75, v79, v75, v77
	v_add_co_ci_u32_e32 v73, vcc_lo, v143, v73, vcc_lo
	v_min_f32_e32 v77, v141, v81
	s_delay_alu instid0(VALU_DEP_1)
	v_min3_f32 v74, v74, v77, v75
	global_store_b32 v[72:73], v74, off
.LBB69_74:
	s_or_b32 exec_lo, exec_lo, s4
	v_add_nc_u32_e32 v72, 32, v64
	s_delay_alu instid0(VALU_DEP_1) | instskip(SKIP_1) | instid1(VALU_DEP_2)
	v_cmp_gt_i32_e64 s4, s16, v72
	v_ashrrev_i32_e32 v73, 31, v72
	s_and_b32 s6, s4, s8
	s_delay_alu instid0(SALU_CYCLE_1)
	s_and_saveexec_b32 s5, s6
	s_cbranch_execz .LBB69_79
; %bb.75:
	v_cmp_ne_u32_e32 vcc_lo, 1, v121
	v_lshlrev_b64 v[74:75], 2, v[72:73]
	s_cbranch_vccnz .LBB69_77
; %bb.76:
	s_delay_alu instid0(VALU_DEP_1) | instskip(NEXT) | instid1(VALU_DEP_2)
	v_add_co_u32 v146, vcc_lo, v144, v74
	v_add_co_ci_u32_e32 v147, vcc_lo, v145, v75, vcc_lo
	flat_load_b32 v77, v[146:147]
	s_waitcnt vmcnt(0) lgkmcnt(0)
	v_mul_f32_e32 v77, s15, v77
	s_branch .LBB69_78
.LBB69_77:
	v_mov_b32_e32 v77, 0
.LBB69_78:
	v_dual_add_f32 v79, v17, v61 :: v_dual_add_f32 v146, v18, v62
	v_add_f32_e32 v81, v16, v60
	v_add_f32_e32 v141, v19, v63
	v_add_co_u32 v74, vcc_lo, v142, v74
	v_add_co_ci_u32_e32 v75, vcc_lo, v143, v75, vcc_lo
	s_delay_alu instid0(VALU_DEP_4) | instskip(NEXT) | instid1(VALU_DEP_4)
	v_min3_f32 v76, v81, v79, v76
	v_min_f32_e32 v79, v146, v141
	s_delay_alu instid0(VALU_DEP_1)
	v_min3_f32 v76, v77, v79, v76
	global_store_b32 v[74:75], v76, off
.LBB69_79:
	s_or_b32 exec_lo, exec_lo, s5
	v_add_nc_u32_e32 v74, 40, v64
	s_delay_alu instid0(VALU_DEP_1) | instskip(SKIP_1) | instid1(VALU_DEP_2)
	v_cmp_gt_i32_e64 s5, s16, v74
	v_ashrrev_i32_e32 v75, 31, v74
	s_and_b32 s7, s5, s8
	s_delay_alu instid0(SALU_CYCLE_1)
	s_and_saveexec_b32 s6, s7
	s_cbranch_execz .LBB69_84
; %bb.80:
	v_cmp_ne_u32_e32 vcc_lo, 1, v121
	v_lshlrev_b64 v[76:77], 2, v[74:75]
	s_cbranch_vccnz .LBB69_82
; %bb.81:
	s_delay_alu instid0(VALU_DEP_1) | instskip(NEXT) | instid1(VALU_DEP_2)
	v_add_co_u32 v146, vcc_lo, v144, v76
	v_add_co_ci_u32_e32 v147, vcc_lo, v145, v77, vcc_lo
	flat_load_b32 v79, v[146:147]
	s_waitcnt vmcnt(0) lgkmcnt(0)
	v_mul_f32_e32 v79, s15, v79
	s_branch .LBB69_83
.LBB69_82:
	v_mov_b32_e32 v79, 0
.LBB69_83:
	v_dual_add_f32 v81, v13, v61 :: v_dual_add_f32 v146, v15, v63
	v_add_f32_e32 v141, v12, v60
	v_add_f32_e32 v147, v14, v62
	v_add_co_u32 v76, vcc_lo, v142, v76
	v_add_co_ci_u32_e32 v77, vcc_lo, v143, v77, vcc_lo
	s_delay_alu instid0(VALU_DEP_4) | instskip(NEXT) | instid1(VALU_DEP_4)
	v_min3_f32 v78, v141, v81, v78
	v_min_f32_e32 v81, v147, v146
	s_delay_alu instid0(VALU_DEP_1)
	v_min3_f32 v78, v79, v81, v78
	global_store_b32 v[76:77], v78, off
.LBB69_84:
	s_or_b32 exec_lo, exec_lo, s6
	v_add_nc_u32_e32 v76, 48, v64
	s_delay_alu instid0(VALU_DEP_1) | instskip(SKIP_1) | instid1(VALU_DEP_2)
	v_cmp_gt_i32_e64 s6, s16, v76
	v_ashrrev_i32_e32 v77, 31, v76
	s_and_b32 s14, s6, s8
	s_delay_alu instid0(SALU_CYCLE_1)
	s_and_saveexec_b32 s7, s14
	s_cbranch_execz .LBB69_89
; %bb.85:
	v_cmp_ne_u32_e32 vcc_lo, 1, v121
	v_lshlrev_b64 v[78:79], 2, v[76:77]
	s_cbranch_vccnz .LBB69_87
; %bb.86:
	s_delay_alu instid0(VALU_DEP_1) | instskip(NEXT) | instid1(VALU_DEP_2)
	v_add_co_u32 v146, vcc_lo, v144, v78
	v_add_co_ci_u32_e32 v147, vcc_lo, v145, v79, vcc_lo
	flat_load_b32 v81, v[146:147]
	s_waitcnt vmcnt(0) lgkmcnt(0)
	v_mul_f32_e32 v81, s15, v81
	s_branch .LBB69_88
.LBB69_87:
	v_mov_b32_e32 v81, 0
.LBB69_88:
	v_dual_add_f32 v141, v9, v61 :: v_dual_add_f32 v146, v8, v60
	v_dual_add_f32 v147, v11, v63 :: v_dual_add_f32 v148, v10, v62
	s_delay_alu instid0(VALU_DEP_4) | instskip(NEXT) | instid1(VALU_DEP_3)
	v_add_co_u32 v78, vcc_lo, v142, v78
	v_min3_f32 v80, v146, v141, v80
	v_add_co_ci_u32_e32 v79, vcc_lo, v143, v79, vcc_lo
	s_delay_alu instid0(VALU_DEP_4) | instskip(NEXT) | instid1(VALU_DEP_1)
	v_min_f32_e32 v141, v148, v147
	v_min3_f32 v80, v81, v141, v80
	global_store_b32 v[78:79], v80, off
.LBB69_89:
	s_or_b32 exec_lo, exec_lo, s7
	v_add_nc_u32_e32 v78, 56, v64
	s_delay_alu instid0(VALU_DEP_1) | instskip(SKIP_1) | instid1(VALU_DEP_2)
	v_cmp_gt_i32_e64 s7, s16, v78
	v_ashrrev_i32_e32 v79, 31, v78
	s_and_b32 s14, s7, s8
	s_delay_alu instid0(SALU_CYCLE_1)
	s_and_saveexec_b32 s8, s14
	s_cbranch_execz .LBB69_94
; %bb.90:
	v_cmp_ne_u32_e32 vcc_lo, 1, v121
	v_lshlrev_b64 v[80:81], 2, v[78:79]
	s_cbranch_vccnz .LBB69_92
; %bb.91:
	s_delay_alu instid0(VALU_DEP_1) | instskip(NEXT) | instid1(VALU_DEP_2)
	v_add_co_u32 v144, vcc_lo, v144, v80
	v_add_co_ci_u32_e32 v145, vcc_lo, v145, v81, vcc_lo
	flat_load_b32 v141, v[144:145]
	s_waitcnt vmcnt(0) lgkmcnt(0)
	v_mul_f32_e32 v141, s15, v141
	s_branch .LBB69_93
.LBB69_92:
	v_mov_b32_e32 v141, 0
.LBB69_93:
	v_dual_add_f32 v61, v1, v61 :: v_dual_add_f32 v60, v0, v60
	v_dual_add_f32 v63, v3, v63 :: v_dual_add_f32 v62, v2, v62
	s_delay_alu instid0(VALU_DEP_2) | instskip(NEXT) | instid1(VALU_DEP_2)
	v_min3_f32 v60, v60, v61, v140
	v_min_f32_e32 v61, v62, v63
	s_delay_alu instid0(VALU_DEP_1)
	v_min3_f32 v62, v141, v61, v60
	v_add_co_u32 v60, vcc_lo, v142, v80
	v_add_co_ci_u32_e32 v61, vcc_lo, v143, v81, vcc_lo
	global_store_b32 v[60:61], v62, off
.LBB69_94:
	s_or_b32 exec_lo, exec_lo, s8
	v_add_nc_u32_e32 v80, 32, v132
	s_delay_alu instid0(VALU_DEP_1) | instskip(SKIP_2) | instid1(VALU_DEP_3)
	v_mad_i64_i32 v[60:61], null, v80, s18, 0
	v_mad_i64_i32 v[62:63], null, v80, s9, 0
	v_cmp_gt_i32_e64 s8, s17, v80
	v_lshlrev_b64 v[60:61], 2, v[60:61]
	s_delay_alu instid0(VALU_DEP_2) | instskip(NEXT) | instid1(VALU_DEP_3)
	s_and_b32 s16, s0, s8
	v_lshlrev_b64 v[62:63], 2, v[62:63]
	s_delay_alu instid0(VALU_DEP_2) | instskip(NEXT) | instid1(VALU_DEP_3)
	v_add_co_u32 v80, vcc_lo, s12, v60
	v_add_co_ci_u32_e32 v81, vcc_lo, s13, v61, vcc_lo
	s_delay_alu instid0(VALU_DEP_3) | instskip(NEXT) | instid1(VALU_DEP_4)
	v_add_co_u32 v62, vcc_lo, s10, v62
	v_add_co_ci_u32_e32 v63, vcc_lo, s11, v63, vcc_lo
	s_and_saveexec_b32 s14, s16
	s_cbranch_execnz .LBB69_102
; %bb.95:
	s_or_b32 exec_lo, exec_lo, s14
	s_and_b32 s16, s1, s8
	s_delay_alu instid0(SALU_CYCLE_1)
	s_and_saveexec_b32 s14, s16
	s_cbranch_execnz .LBB69_106
.LBB69_96:
	s_or_b32 exec_lo, exec_lo, s14
	s_and_b32 s16, s2, s8
	s_delay_alu instid0(SALU_CYCLE_1)
	s_and_saveexec_b32 s14, s16
	s_cbranch_execnz .LBB69_110
.LBB69_97:
	s_or_b32 exec_lo, exec_lo, s14
	s_and_b32 s16, s3, s8
	s_delay_alu instid0(SALU_CYCLE_1)
	s_and_saveexec_b32 s14, s16
	s_cbranch_execnz .LBB69_114
.LBB69_98:
	s_or_b32 exec_lo, exec_lo, s14
	s_and_b32 s16, s4, s8
	s_delay_alu instid0(SALU_CYCLE_1)
	s_and_saveexec_b32 s14, s16
	s_cbranch_execnz .LBB69_118
.LBB69_99:
	s_or_b32 exec_lo, exec_lo, s14
	s_and_b32 s16, s5, s8
	s_delay_alu instid0(SALU_CYCLE_1)
	s_and_saveexec_b32 s14, s16
	s_cbranch_execnz .LBB69_122
.LBB69_100:
	s_or_b32 exec_lo, exec_lo, s14
	s_and_b32 s16, s6, s8
	s_delay_alu instid0(SALU_CYCLE_1)
	s_and_saveexec_b32 s14, s16
	s_cbranch_execnz .LBB69_126
.LBB69_101:
	s_or_b32 exec_lo, exec_lo, s14
	s_and_b32 s14, s7, s8
	s_delay_alu instid0(SALU_CYCLE_1)
	s_and_saveexec_b32 s8, s14
	s_cbranch_execnz .LBB69_130
	s_branch .LBB69_134
.LBB69_102:
	v_cmp_ne_u32_e32 vcc_lo, 1, v121
	v_lshlrev_b64 v[60:61], 2, v[64:65]
	s_cbranch_vccnz .LBB69_104
; %bb.103:
	s_delay_alu instid0(VALU_DEP_1) | instskip(NEXT) | instid1(VALU_DEP_2)
	v_add_co_u32 v140, vcc_lo, v80, v60
	v_add_co_ci_u32_e32 v141, vcc_lo, v81, v61, vcc_lo
	flat_load_b32 v140, v[140:141]
	s_waitcnt vmcnt(0) lgkmcnt(0)
	v_mul_f32_e32 v140, s15, v140
	s_branch .LBB69_105
.LBB69_104:
	v_mov_b32_e32 v140, 0
.LBB69_105:
	v_dual_add_f32 v141, v33, v57 :: v_dual_add_f32 v142, v32, v56
	v_dual_add_f32 v143, v35, v59 :: v_dual_add_f32 v144, v34, v58
	s_delay_alu instid0(VALU_DEP_4) | instskip(NEXT) | instid1(VALU_DEP_3)
	v_add_co_u32 v60, vcc_lo, v62, v60
	v_min3_f32 v139, v142, v141, v139
	v_add_co_ci_u32_e32 v61, vcc_lo, v63, v61, vcc_lo
	s_delay_alu instid0(VALU_DEP_4) | instskip(NEXT) | instid1(VALU_DEP_1)
	v_min_f32_e32 v141, v144, v143
	v_min3_f32 v139, v140, v141, v139
	global_store_b32 v[60:61], v139, off
	s_or_b32 exec_lo, exec_lo, s14
	s_and_b32 s16, s1, s8
	s_delay_alu instid0(SALU_CYCLE_1)
	s_and_saveexec_b32 s14, s16
	s_cbranch_execz .LBB69_96
.LBB69_106:
	v_cmp_ne_u32_e32 vcc_lo, 1, v121
	v_lshlrev_b64 v[60:61], 2, v[66:67]
	s_cbranch_vccnz .LBB69_108
; %bb.107:
	s_delay_alu instid0(VALU_DEP_1) | instskip(NEXT) | instid1(VALU_DEP_2)
	v_add_co_u32 v139, vcc_lo, v80, v60
	v_add_co_ci_u32_e32 v140, vcc_lo, v81, v61, vcc_lo
	flat_load_b32 v139, v[139:140]
	s_waitcnt vmcnt(0) lgkmcnt(0)
	v_mul_f32_e32 v139, s15, v139
	s_branch .LBB69_109
.LBB69_108:
	v_mov_b32_e32 v139, 0
.LBB69_109:
	v_dual_add_f32 v140, v29, v57 :: v_dual_add_f32 v141, v28, v56
	v_dual_add_f32 v142, v31, v59 :: v_dual_add_f32 v143, v30, v58
	s_delay_alu instid0(VALU_DEP_4) | instskip(NEXT) | instid1(VALU_DEP_3)
	v_add_co_u32 v60, vcc_lo, v62, v60
	v_min3_f32 v138, v141, v140, v138
	v_add_co_ci_u32_e32 v61, vcc_lo, v63, v61, vcc_lo
	s_delay_alu instid0(VALU_DEP_4) | instskip(NEXT) | instid1(VALU_DEP_1)
	v_min_f32_e32 v140, v143, v142
	v_min3_f32 v138, v139, v140, v138
	global_store_b32 v[60:61], v138, off
	s_or_b32 exec_lo, exec_lo, s14
	s_and_b32 s16, s2, s8
	s_delay_alu instid0(SALU_CYCLE_1)
	s_and_saveexec_b32 s14, s16
	s_cbranch_execz .LBB69_97
.LBB69_110:
	v_cmp_ne_u32_e32 vcc_lo, 1, v121
	v_lshlrev_b64 v[60:61], 2, v[68:69]
	s_cbranch_vccnz .LBB69_112
; %bb.111:
	s_delay_alu instid0(VALU_DEP_1) | instskip(NEXT) | instid1(VALU_DEP_2)
	v_add_co_u32 v138, vcc_lo, v80, v60
	v_add_co_ci_u32_e32 v139, vcc_lo, v81, v61, vcc_lo
	flat_load_b32 v138, v[138:139]
	s_waitcnt vmcnt(0) lgkmcnt(0)
	v_mul_f32_e32 v138, s15, v138
	s_branch .LBB69_113
.LBB69_112:
	v_mov_b32_e32 v138, 0
.LBB69_113:
	v_dual_add_f32 v139, v25, v57 :: v_dual_add_f32 v140, v24, v56
	v_dual_add_f32 v141, v27, v59 :: v_dual_add_f32 v142, v26, v58
	s_delay_alu instid0(VALU_DEP_4) | instskip(NEXT) | instid1(VALU_DEP_3)
	v_add_co_u32 v60, vcc_lo, v62, v60
	v_min3_f32 v137, v140, v139, v137
	v_add_co_ci_u32_e32 v61, vcc_lo, v63, v61, vcc_lo
	s_delay_alu instid0(VALU_DEP_4) | instskip(NEXT) | instid1(VALU_DEP_1)
	v_min_f32_e32 v139, v142, v141
	v_min3_f32 v137, v138, v139, v137
	global_store_b32 v[60:61], v137, off
	s_or_b32 exec_lo, exec_lo, s14
	s_and_b32 s16, s3, s8
	s_delay_alu instid0(SALU_CYCLE_1)
	s_and_saveexec_b32 s14, s16
	s_cbranch_execz .LBB69_98
.LBB69_114:
	v_cmp_ne_u32_e32 vcc_lo, 1, v121
	v_lshlrev_b64 v[60:61], 2, v[70:71]
	s_cbranch_vccnz .LBB69_116
; %bb.115:
	s_delay_alu instid0(VALU_DEP_1) | instskip(NEXT) | instid1(VALU_DEP_2)
	v_add_co_u32 v137, vcc_lo, v80, v60
	v_add_co_ci_u32_e32 v138, vcc_lo, v81, v61, vcc_lo
	flat_load_b32 v137, v[137:138]
	s_waitcnt vmcnt(0) lgkmcnt(0)
	v_mul_f32_e32 v137, s15, v137
	s_branch .LBB69_117
.LBB69_116:
	v_mov_b32_e32 v137, 0
.LBB69_117:
	v_dual_add_f32 v138, v21, v57 :: v_dual_add_f32 v139, v20, v56
	v_dual_add_f32 v140, v23, v59 :: v_dual_add_f32 v141, v22, v58
	s_delay_alu instid0(VALU_DEP_4) | instskip(NEXT) | instid1(VALU_DEP_3)
	v_add_co_u32 v60, vcc_lo, v62, v60
	v_min3_f32 v136, v139, v138, v136
	v_add_co_ci_u32_e32 v61, vcc_lo, v63, v61, vcc_lo
	s_delay_alu instid0(VALU_DEP_4) | instskip(NEXT) | instid1(VALU_DEP_1)
	v_min_f32_e32 v138, v141, v140
	v_min3_f32 v136, v137, v138, v136
	global_store_b32 v[60:61], v136, off
	s_or_b32 exec_lo, exec_lo, s14
	s_and_b32 s16, s4, s8
	s_delay_alu instid0(SALU_CYCLE_1)
	s_and_saveexec_b32 s14, s16
	s_cbranch_execz .LBB69_99
.LBB69_118:
	v_cmp_ne_u32_e32 vcc_lo, 1, v121
	v_lshlrev_b64 v[60:61], 2, v[72:73]
	s_cbranch_vccnz .LBB69_120
; %bb.119:
	s_delay_alu instid0(VALU_DEP_1) | instskip(NEXT) | instid1(VALU_DEP_2)
	v_add_co_u32 v136, vcc_lo, v80, v60
	v_add_co_ci_u32_e32 v137, vcc_lo, v81, v61, vcc_lo
	flat_load_b32 v136, v[136:137]
	s_waitcnt vmcnt(0) lgkmcnt(0)
	v_mul_f32_e32 v136, s15, v136
	s_branch .LBB69_121
.LBB69_120:
	v_mov_b32_e32 v136, 0
.LBB69_121:
	v_dual_add_f32 v137, v17, v57 :: v_dual_add_f32 v138, v16, v56
	v_dual_add_f32 v139, v19, v59 :: v_dual_add_f32 v140, v18, v58
	s_delay_alu instid0(VALU_DEP_4) | instskip(NEXT) | instid1(VALU_DEP_3)
	v_add_co_u32 v60, vcc_lo, v62, v60
	v_min3_f32 v135, v138, v137, v135
	v_add_co_ci_u32_e32 v61, vcc_lo, v63, v61, vcc_lo
	s_delay_alu instid0(VALU_DEP_4) | instskip(NEXT) | instid1(VALU_DEP_1)
	v_min_f32_e32 v137, v140, v139
	v_min3_f32 v135, v136, v137, v135
	global_store_b32 v[60:61], v135, off
	s_or_b32 exec_lo, exec_lo, s14
	s_and_b32 s16, s5, s8
	s_delay_alu instid0(SALU_CYCLE_1)
	s_and_saveexec_b32 s14, s16
	s_cbranch_execz .LBB69_100
.LBB69_122:
	v_cmp_ne_u32_e32 vcc_lo, 1, v121
	v_lshlrev_b64 v[60:61], 2, v[74:75]
	s_cbranch_vccnz .LBB69_124
; %bb.123:
	s_delay_alu instid0(VALU_DEP_1) | instskip(NEXT) | instid1(VALU_DEP_2)
	v_add_co_u32 v135, vcc_lo, v80, v60
	v_add_co_ci_u32_e32 v136, vcc_lo, v81, v61, vcc_lo
	flat_load_b32 v135, v[135:136]
	s_waitcnt vmcnt(0) lgkmcnt(0)
	v_mul_f32_e32 v135, s15, v135
	s_branch .LBB69_125
.LBB69_124:
	v_mov_b32_e32 v135, 0
.LBB69_125:
	v_dual_add_f32 v136, v13, v57 :: v_dual_add_f32 v137, v12, v56
	v_dual_add_f32 v138, v15, v59 :: v_dual_add_f32 v139, v14, v58
	s_delay_alu instid0(VALU_DEP_4) | instskip(NEXT) | instid1(VALU_DEP_3)
	v_add_co_u32 v60, vcc_lo, v62, v60
	v_min3_f32 v134, v137, v136, v134
	v_add_co_ci_u32_e32 v61, vcc_lo, v63, v61, vcc_lo
	s_delay_alu instid0(VALU_DEP_4) | instskip(NEXT) | instid1(VALU_DEP_1)
	v_min_f32_e32 v136, v139, v138
	v_min3_f32 v134, v135, v136, v134
	global_store_b32 v[60:61], v134, off
	s_or_b32 exec_lo, exec_lo, s14
	s_and_b32 s16, s6, s8
	s_delay_alu instid0(SALU_CYCLE_1)
	s_and_saveexec_b32 s14, s16
	s_cbranch_execz .LBB69_101
.LBB69_126:
	v_cmp_ne_u32_e32 vcc_lo, 1, v121
	v_lshlrev_b64 v[60:61], 2, v[76:77]
	s_cbranch_vccnz .LBB69_128
; %bb.127:
	s_delay_alu instid0(VALU_DEP_1) | instskip(NEXT) | instid1(VALU_DEP_2)
	v_add_co_u32 v134, vcc_lo, v80, v60
	v_add_co_ci_u32_e32 v135, vcc_lo, v81, v61, vcc_lo
	flat_load_b32 v134, v[134:135]
	s_waitcnt vmcnt(0) lgkmcnt(0)
	v_mul_f32_e32 v134, s15, v134
	s_branch .LBB69_129
.LBB69_128:
	v_mov_b32_e32 v134, 0
.LBB69_129:
	v_dual_add_f32 v135, v9, v57 :: v_dual_add_f32 v136, v8, v56
	v_dual_add_f32 v137, v11, v59 :: v_dual_add_f32 v138, v10, v58
	s_delay_alu instid0(VALU_DEP_4) | instskip(NEXT) | instid1(VALU_DEP_3)
	v_add_co_u32 v60, vcc_lo, v62, v60
	v_min3_f32 v133, v136, v135, v133
	v_add_co_ci_u32_e32 v61, vcc_lo, v63, v61, vcc_lo
	s_delay_alu instid0(VALU_DEP_4) | instskip(NEXT) | instid1(VALU_DEP_1)
	v_min_f32_e32 v135, v138, v137
	v_min3_f32 v133, v134, v135, v133
	global_store_b32 v[60:61], v133, off
	s_or_b32 exec_lo, exec_lo, s14
	s_and_b32 s14, s7, s8
	s_delay_alu instid0(SALU_CYCLE_1)
	s_and_saveexec_b32 s8, s14
	s_cbranch_execz .LBB69_134
.LBB69_130:
	v_cmp_ne_u32_e32 vcc_lo, 1, v121
	v_lshlrev_b64 v[60:61], 2, v[78:79]
	s_cbranch_vccnz .LBB69_132
; %bb.131:
	s_delay_alu instid0(VALU_DEP_1) | instskip(NEXT) | instid1(VALU_DEP_2)
	v_add_co_u32 v80, vcc_lo, v80, v60
	v_add_co_ci_u32_e32 v81, vcc_lo, v81, v61, vcc_lo
	flat_load_b32 v80, v[80:81]
	s_waitcnt vmcnt(0) lgkmcnt(0)
	v_mul_f32_e32 v80, s15, v80
	s_branch .LBB69_133
.LBB69_132:
	v_mov_b32_e32 v80, 0
.LBB69_133:
	v_dual_add_f32 v57, v1, v57 :: v_dual_add_f32 v56, v0, v56
	v_dual_add_f32 v59, v3, v59 :: v_dual_add_f32 v58, v2, v58
	s_delay_alu instid0(VALU_DEP_2) | instskip(NEXT) | instid1(VALU_DEP_2)
	v_min3_f32 v56, v56, v57, v131
	v_min_f32_e32 v57, v58, v59
	s_delay_alu instid0(VALU_DEP_1)
	v_min3_f32 v58, v80, v57, v56
	v_add_co_u32 v56, vcc_lo, v62, v60
	v_add_co_ci_u32_e32 v57, vcc_lo, v63, v61, vcc_lo
	global_store_b32 v[56:57], v58, off
.LBB69_134:
	s_or_b32 exec_lo, exec_lo, s8
	v_add_nc_u32_e32 v60, 64, v132
	s_delay_alu instid0(VALU_DEP_1) | instskip(SKIP_2) | instid1(VALU_DEP_3)
	v_mad_i64_i32 v[56:57], null, v60, s18, 0
	v_mad_i64_i32 v[58:59], null, v60, s9, 0
	v_cmp_gt_i32_e64 s8, s17, v60
	v_lshlrev_b64 v[56:57], 2, v[56:57]
	s_delay_alu instid0(VALU_DEP_2) | instskip(NEXT) | instid1(VALU_DEP_3)
	s_and_b32 s16, s0, s8
	v_lshlrev_b64 v[58:59], 2, v[58:59]
	s_delay_alu instid0(VALU_DEP_2) | instskip(NEXT) | instid1(VALU_DEP_3)
	v_add_co_u32 v60, vcc_lo, s12, v56
	v_add_co_ci_u32_e32 v61, vcc_lo, s13, v57, vcc_lo
	s_delay_alu instid0(VALU_DEP_3) | instskip(NEXT) | instid1(VALU_DEP_4)
	v_add_co_u32 v58, vcc_lo, s10, v58
	v_add_co_ci_u32_e32 v59, vcc_lo, s11, v59, vcc_lo
	s_and_saveexec_b32 s14, s16
	s_cbranch_execnz .LBB69_142
; %bb.135:
	s_or_b32 exec_lo, exec_lo, s14
	s_and_b32 s16, s1, s8
	s_delay_alu instid0(SALU_CYCLE_1)
	s_and_saveexec_b32 s14, s16
	s_cbranch_execnz .LBB69_146
.LBB69_136:
	s_or_b32 exec_lo, exec_lo, s14
	s_and_b32 s16, s2, s8
	s_delay_alu instid0(SALU_CYCLE_1)
	s_and_saveexec_b32 s14, s16
	s_cbranch_execnz .LBB69_150
.LBB69_137:
	s_or_b32 exec_lo, exec_lo, s14
	s_and_b32 s16, s3, s8
	s_delay_alu instid0(SALU_CYCLE_1)
	s_and_saveexec_b32 s14, s16
	s_cbranch_execnz .LBB69_154
.LBB69_138:
	s_or_b32 exec_lo, exec_lo, s14
	s_and_b32 s16, s4, s8
	s_delay_alu instid0(SALU_CYCLE_1)
	s_and_saveexec_b32 s14, s16
	s_cbranch_execnz .LBB69_158
.LBB69_139:
	s_or_b32 exec_lo, exec_lo, s14
	s_and_b32 s16, s5, s8
	s_delay_alu instid0(SALU_CYCLE_1)
	s_and_saveexec_b32 s14, s16
	s_cbranch_execnz .LBB69_162
.LBB69_140:
	s_or_b32 exec_lo, exec_lo, s14
	s_and_b32 s16, s6, s8
	s_delay_alu instid0(SALU_CYCLE_1)
	s_and_saveexec_b32 s14, s16
	s_cbranch_execnz .LBB69_166
.LBB69_141:
	s_or_b32 exec_lo, exec_lo, s14
	s_and_b32 s14, s7, s8
	s_delay_alu instid0(SALU_CYCLE_1)
	s_and_saveexec_b32 s8, s14
	s_cbranch_execnz .LBB69_170
	s_branch .LBB69_174
.LBB69_142:
	v_cmp_ne_u32_e32 vcc_lo, 1, v121
	v_lshlrev_b64 v[56:57], 2, v[64:65]
	s_cbranch_vccnz .LBB69_144
; %bb.143:
	s_delay_alu instid0(VALU_DEP_1) | instskip(NEXT) | instid1(VALU_DEP_2)
	v_add_co_u32 v62, vcc_lo, v60, v56
	v_add_co_ci_u32_e32 v63, vcc_lo, v61, v57, vcc_lo
	flat_load_b32 v62, v[62:63]
	s_waitcnt vmcnt(0) lgkmcnt(0)
	v_mul_f32_e32 v62, s15, v62
	s_branch .LBB69_145
.LBB69_144:
	v_mov_b32_e32 v62, 0
.LBB69_145:
	v_dual_add_f32 v63, v33, v53 :: v_dual_add_f32 v80, v32, v52
	v_add_f32_e32 v81, v35, v55
	v_add_f32_e32 v131, v34, v54
	v_add_co_u32 v56, vcc_lo, v58, v56
	s_delay_alu instid0(VALU_DEP_4) | instskip(SKIP_1) | instid1(VALU_DEP_4)
	v_min3_f32 v63, v80, v63, v130
	v_add_co_ci_u32_e32 v57, vcc_lo, v59, v57, vcc_lo
	v_min_f32_e32 v80, v131, v81
	s_delay_alu instid0(VALU_DEP_1) | instskip(SKIP_3) | instid1(SALU_CYCLE_1)
	v_min3_f32 v62, v62, v80, v63
	global_store_b32 v[56:57], v62, off
	s_or_b32 exec_lo, exec_lo, s14
	s_and_b32 s16, s1, s8
	s_and_saveexec_b32 s14, s16
	s_cbranch_execz .LBB69_136
.LBB69_146:
	v_cmp_ne_u32_e32 vcc_lo, 1, v121
	v_lshlrev_b64 v[56:57], 2, v[66:67]
	s_cbranch_vccnz .LBB69_148
; %bb.147:
	s_delay_alu instid0(VALU_DEP_1) | instskip(NEXT) | instid1(VALU_DEP_2)
	v_add_co_u32 v62, vcc_lo, v60, v56
	v_add_co_ci_u32_e32 v63, vcc_lo, v61, v57, vcc_lo
	flat_load_b32 v62, v[62:63]
	s_waitcnt vmcnt(0) lgkmcnt(0)
	v_mul_f32_e32 v62, s15, v62
	s_branch .LBB69_149
.LBB69_148:
	v_mov_b32_e32 v62, 0
.LBB69_149:
	v_dual_add_f32 v63, v29, v53 :: v_dual_add_f32 v80, v28, v52
	v_dual_add_f32 v81, v31, v55 :: v_dual_add_f32 v130, v30, v54
	s_delay_alu instid0(VALU_DEP_4) | instskip(NEXT) | instid1(VALU_DEP_3)
	v_add_co_u32 v56, vcc_lo, v58, v56
	v_min3_f32 v63, v80, v63, v129
	v_add_co_ci_u32_e32 v57, vcc_lo, v59, v57, vcc_lo
	s_delay_alu instid0(VALU_DEP_4) | instskip(NEXT) | instid1(VALU_DEP_1)
	v_min_f32_e32 v80, v130, v81
	v_min3_f32 v62, v62, v80, v63
	global_store_b32 v[56:57], v62, off
	s_or_b32 exec_lo, exec_lo, s14
	s_and_b32 s16, s2, s8
	s_delay_alu instid0(SALU_CYCLE_1)
	s_and_saveexec_b32 s14, s16
	s_cbranch_execz .LBB69_137
.LBB69_150:
	v_cmp_ne_u32_e32 vcc_lo, 1, v121
	v_lshlrev_b64 v[56:57], 2, v[68:69]
	s_cbranch_vccnz .LBB69_152
; %bb.151:
	s_delay_alu instid0(VALU_DEP_1) | instskip(NEXT) | instid1(VALU_DEP_2)
	v_add_co_u32 v62, vcc_lo, v60, v56
	v_add_co_ci_u32_e32 v63, vcc_lo, v61, v57, vcc_lo
	flat_load_b32 v62, v[62:63]
	s_waitcnt vmcnt(0) lgkmcnt(0)
	v_mul_f32_e32 v62, s15, v62
	s_branch .LBB69_153
.LBB69_152:
	v_mov_b32_e32 v62, 0
.LBB69_153:
	v_dual_add_f32 v63, v25, v53 :: v_dual_add_f32 v80, v24, v52
	v_add_f32_e32 v81, v27, v55
	v_add_f32_e32 v129, v26, v54
	v_add_co_u32 v56, vcc_lo, v58, v56
	s_delay_alu instid0(VALU_DEP_4) | instskip(SKIP_1) | instid1(VALU_DEP_4)
	v_min3_f32 v63, v80, v63, v128
	v_add_co_ci_u32_e32 v57, vcc_lo, v59, v57, vcc_lo
	v_min_f32_e32 v80, v129, v81
	s_delay_alu instid0(VALU_DEP_1) | instskip(SKIP_3) | instid1(SALU_CYCLE_1)
	v_min3_f32 v62, v62, v80, v63
	global_store_b32 v[56:57], v62, off
	s_or_b32 exec_lo, exec_lo, s14
	s_and_b32 s16, s3, s8
	s_and_saveexec_b32 s14, s16
	s_cbranch_execz .LBB69_138
.LBB69_154:
	v_cmp_ne_u32_e32 vcc_lo, 1, v121
	v_lshlrev_b64 v[56:57], 2, v[70:71]
	s_cbranch_vccnz .LBB69_156
; %bb.155:
	s_delay_alu instid0(VALU_DEP_1) | instskip(NEXT) | instid1(VALU_DEP_2)
	v_add_co_u32 v62, vcc_lo, v60, v56
	v_add_co_ci_u32_e32 v63, vcc_lo, v61, v57, vcc_lo
	flat_load_b32 v62, v[62:63]
	s_waitcnt vmcnt(0) lgkmcnt(0)
	v_mul_f32_e32 v62, s15, v62
	s_branch .LBB69_157
.LBB69_156:
	v_mov_b32_e32 v62, 0
.LBB69_157:
	v_dual_add_f32 v63, v21, v53 :: v_dual_add_f32 v80, v20, v52
	v_dual_add_f32 v81, v23, v55 :: v_dual_add_f32 v128, v22, v54
	s_delay_alu instid0(VALU_DEP_4) | instskip(NEXT) | instid1(VALU_DEP_3)
	v_add_co_u32 v56, vcc_lo, v58, v56
	v_min3_f32 v63, v80, v63, v127
	v_add_co_ci_u32_e32 v57, vcc_lo, v59, v57, vcc_lo
	s_delay_alu instid0(VALU_DEP_4) | instskip(NEXT) | instid1(VALU_DEP_1)
	v_min_f32_e32 v80, v128, v81
	v_min3_f32 v62, v62, v80, v63
	global_store_b32 v[56:57], v62, off
	s_or_b32 exec_lo, exec_lo, s14
	s_and_b32 s16, s4, s8
	s_delay_alu instid0(SALU_CYCLE_1)
	s_and_saveexec_b32 s14, s16
	s_cbranch_execz .LBB69_139
.LBB69_158:
	v_cmp_ne_u32_e32 vcc_lo, 1, v121
	v_lshlrev_b64 v[56:57], 2, v[72:73]
	s_cbranch_vccnz .LBB69_160
; %bb.159:
	s_delay_alu instid0(VALU_DEP_1) | instskip(NEXT) | instid1(VALU_DEP_2)
	v_add_co_u32 v62, vcc_lo, v60, v56
	v_add_co_ci_u32_e32 v63, vcc_lo, v61, v57, vcc_lo
	flat_load_b32 v62, v[62:63]
	s_waitcnt vmcnt(0) lgkmcnt(0)
	v_mul_f32_e32 v62, s15, v62
	s_branch .LBB69_161
.LBB69_160:
	v_mov_b32_e32 v62, 0
.LBB69_161:
	v_dual_add_f32 v63, v17, v53 :: v_dual_add_f32 v80, v16, v52
	v_add_f32_e32 v81, v19, v55
	v_add_f32_e32 v127, v18, v54
	v_add_co_u32 v56, vcc_lo, v58, v56
	s_delay_alu instid0(VALU_DEP_4) | instskip(SKIP_1) | instid1(VALU_DEP_4)
	v_min3_f32 v63, v80, v63, v126
	v_add_co_ci_u32_e32 v57, vcc_lo, v59, v57, vcc_lo
	v_min_f32_e32 v80, v127, v81
	s_delay_alu instid0(VALU_DEP_1) | instskip(SKIP_3) | instid1(SALU_CYCLE_1)
	v_min3_f32 v62, v62, v80, v63
	global_store_b32 v[56:57], v62, off
	s_or_b32 exec_lo, exec_lo, s14
	s_and_b32 s16, s5, s8
	s_and_saveexec_b32 s14, s16
	s_cbranch_execz .LBB69_140
.LBB69_162:
	v_cmp_ne_u32_e32 vcc_lo, 1, v121
	v_lshlrev_b64 v[56:57], 2, v[74:75]
	s_cbranch_vccnz .LBB69_164
; %bb.163:
	s_delay_alu instid0(VALU_DEP_1) | instskip(NEXT) | instid1(VALU_DEP_2)
	v_add_co_u32 v62, vcc_lo, v60, v56
	v_add_co_ci_u32_e32 v63, vcc_lo, v61, v57, vcc_lo
	flat_load_b32 v62, v[62:63]
	s_waitcnt vmcnt(0) lgkmcnt(0)
	v_mul_f32_e32 v62, s15, v62
	s_branch .LBB69_165
.LBB69_164:
	v_mov_b32_e32 v62, 0
.LBB69_165:
	v_dual_add_f32 v63, v13, v53 :: v_dual_add_f32 v80, v12, v52
	v_dual_add_f32 v81, v15, v55 :: v_dual_add_f32 v126, v14, v54
	s_delay_alu instid0(VALU_DEP_4) | instskip(NEXT) | instid1(VALU_DEP_3)
	v_add_co_u32 v56, vcc_lo, v58, v56
	v_min3_f32 v63, v80, v63, v125
	v_add_co_ci_u32_e32 v57, vcc_lo, v59, v57, vcc_lo
	s_delay_alu instid0(VALU_DEP_4) | instskip(NEXT) | instid1(VALU_DEP_1)
	v_min_f32_e32 v80, v126, v81
	v_min3_f32 v62, v62, v80, v63
	global_store_b32 v[56:57], v62, off
	s_or_b32 exec_lo, exec_lo, s14
	s_and_b32 s16, s6, s8
	s_delay_alu instid0(SALU_CYCLE_1)
	s_and_saveexec_b32 s14, s16
	s_cbranch_execz .LBB69_141
.LBB69_166:
	v_cmp_ne_u32_e32 vcc_lo, 1, v121
	v_lshlrev_b64 v[56:57], 2, v[76:77]
	s_cbranch_vccnz .LBB69_168
; %bb.167:
	s_delay_alu instid0(VALU_DEP_1) | instskip(NEXT) | instid1(VALU_DEP_2)
	v_add_co_u32 v62, vcc_lo, v60, v56
	v_add_co_ci_u32_e32 v63, vcc_lo, v61, v57, vcc_lo
	flat_load_b32 v62, v[62:63]
	s_waitcnt vmcnt(0) lgkmcnt(0)
	v_mul_f32_e32 v62, s15, v62
	s_branch .LBB69_169
.LBB69_168:
	v_mov_b32_e32 v62, 0
.LBB69_169:
	v_dual_add_f32 v63, v9, v53 :: v_dual_add_f32 v80, v8, v52
	v_add_f32_e32 v81, v11, v55
	v_add_f32_e32 v125, v10, v54
	v_add_co_u32 v56, vcc_lo, v58, v56
	s_delay_alu instid0(VALU_DEP_4) | instskip(SKIP_1) | instid1(VALU_DEP_4)
	v_min3_f32 v63, v80, v63, v124
	v_add_co_ci_u32_e32 v57, vcc_lo, v59, v57, vcc_lo
	v_min_f32_e32 v80, v125, v81
	s_delay_alu instid0(VALU_DEP_1) | instskip(SKIP_3) | instid1(SALU_CYCLE_1)
	v_min3_f32 v62, v62, v80, v63
	global_store_b32 v[56:57], v62, off
	s_or_b32 exec_lo, exec_lo, s14
	s_and_b32 s14, s7, s8
	s_and_saveexec_b32 s8, s14
	s_cbranch_execz .LBB69_174
.LBB69_170:
	v_cmp_ne_u32_e32 vcc_lo, 1, v121
	v_lshlrev_b64 v[56:57], 2, v[78:79]
	s_cbranch_vccnz .LBB69_172
; %bb.171:
	s_delay_alu instid0(VALU_DEP_1) | instskip(NEXT) | instid1(VALU_DEP_2)
	v_add_co_u32 v60, vcc_lo, v60, v56
	v_add_co_ci_u32_e32 v61, vcc_lo, v61, v57, vcc_lo
	flat_load_b32 v60, v[60:61]
	s_waitcnt vmcnt(0) lgkmcnt(0)
	v_mul_f32_e32 v60, s15, v60
	s_branch .LBB69_173
.LBB69_172:
	v_mov_b32_e32 v60, 0
.LBB69_173:
	v_dual_add_f32 v53, v1, v53 :: v_dual_add_f32 v52, v0, v52
	v_dual_add_f32 v55, v3, v55 :: v_dual_add_f32 v54, v2, v54
	s_delay_alu instid0(VALU_DEP_2) | instskip(NEXT) | instid1(VALU_DEP_2)
	v_min3_f32 v52, v52, v53, v122
	v_min_f32_e32 v53, v54, v55
	s_delay_alu instid0(VALU_DEP_1)
	v_min3_f32 v54, v60, v53, v52
	v_add_co_u32 v52, vcc_lo, v58, v56
	v_add_co_ci_u32_e32 v53, vcc_lo, v59, v57, vcc_lo
	global_store_b32 v[52:53], v54, off
.LBB69_174:
	s_or_b32 exec_lo, exec_lo, s8
	v_add_nc_u32_e32 v56, 0x60, v132
	s_delay_alu instid0(VALU_DEP_1) | instskip(SKIP_2) | instid1(VALU_DEP_3)
	v_mad_i64_i32 v[52:53], null, v56, s18, 0
	v_mad_i64_i32 v[54:55], null, v56, s9, 0
	v_cmp_gt_i32_e64 s8, s17, v56
	v_lshlrev_b64 v[52:53], 2, v[52:53]
	s_delay_alu instid0(VALU_DEP_2) | instskip(NEXT) | instid1(VALU_DEP_3)
	s_and_b32 s16, s0, s8
	v_lshlrev_b64 v[54:55], 2, v[54:55]
	s_delay_alu instid0(VALU_DEP_2) | instskip(NEXT) | instid1(VALU_DEP_3)
	v_add_co_u32 v56, vcc_lo, s12, v52
	v_add_co_ci_u32_e32 v57, vcc_lo, s13, v53, vcc_lo
	s_delay_alu instid0(VALU_DEP_3) | instskip(NEXT) | instid1(VALU_DEP_4)
	v_add_co_u32 v54, vcc_lo, s10, v54
	v_add_co_ci_u32_e32 v55, vcc_lo, s11, v55, vcc_lo
	s_and_saveexec_b32 s14, s16
	s_cbranch_execnz .LBB69_182
; %bb.175:
	s_or_b32 exec_lo, exec_lo, s14
	s_and_b32 s16, s1, s8
	s_delay_alu instid0(SALU_CYCLE_1)
	s_and_saveexec_b32 s14, s16
	s_cbranch_execnz .LBB69_186
.LBB69_176:
	s_or_b32 exec_lo, exec_lo, s14
	s_and_b32 s16, s2, s8
	s_delay_alu instid0(SALU_CYCLE_1)
	s_and_saveexec_b32 s14, s16
	s_cbranch_execnz .LBB69_190
.LBB69_177:
	s_or_b32 exec_lo, exec_lo, s14
	s_and_b32 s16, s3, s8
	s_delay_alu instid0(SALU_CYCLE_1)
	s_and_saveexec_b32 s14, s16
	s_cbranch_execnz .LBB69_194
.LBB69_178:
	s_or_b32 exec_lo, exec_lo, s14
	s_and_b32 s16, s4, s8
	s_delay_alu instid0(SALU_CYCLE_1)
	s_and_saveexec_b32 s14, s16
	s_cbranch_execnz .LBB69_198
.LBB69_179:
	s_or_b32 exec_lo, exec_lo, s14
	s_and_b32 s16, s5, s8
	s_delay_alu instid0(SALU_CYCLE_1)
	s_and_saveexec_b32 s14, s16
	s_cbranch_execnz .LBB69_202
.LBB69_180:
	s_or_b32 exec_lo, exec_lo, s14
	s_and_b32 s16, s6, s8
	s_delay_alu instid0(SALU_CYCLE_1)
	s_and_saveexec_b32 s14, s16
	s_cbranch_execnz .LBB69_206
.LBB69_181:
	s_or_b32 exec_lo, exec_lo, s14
	s_and_b32 s14, s7, s8
	s_delay_alu instid0(SALU_CYCLE_1)
	s_and_saveexec_b32 s8, s14
	s_cbranch_execnz .LBB69_210
	s_branch .LBB69_214
.LBB69_182:
	v_cmp_ne_u32_e32 vcc_lo, 1, v121
	v_lshlrev_b64 v[52:53], 2, v[64:65]
	s_cbranch_vccnz .LBB69_184
; %bb.183:
	s_delay_alu instid0(VALU_DEP_1) | instskip(NEXT) | instid1(VALU_DEP_2)
	v_add_co_u32 v58, vcc_lo, v56, v52
	v_add_co_ci_u32_e32 v59, vcc_lo, v57, v53, vcc_lo
	flat_load_b32 v58, v[58:59]
	s_waitcnt vmcnt(0) lgkmcnt(0)
	v_mul_f32_e32 v58, s15, v58
	s_branch .LBB69_185
.LBB69_184:
	v_mov_b32_e32 v58, 0
.LBB69_185:
	v_dual_add_f32 v59, v33, v49 :: v_dual_add_f32 v60, v32, v48
	v_dual_add_f32 v61, v35, v51 :: v_dual_add_f32 v62, v34, v50
	s_delay_alu instid0(VALU_DEP_4) | instskip(NEXT) | instid1(VALU_DEP_3)
	v_add_co_u32 v52, vcc_lo, v54, v52
	v_min3_f32 v59, v60, v59, v123
	v_add_co_ci_u32_e32 v53, vcc_lo, v55, v53, vcc_lo
	s_delay_alu instid0(VALU_DEP_4) | instskip(NEXT) | instid1(VALU_DEP_1)
	v_min_f32_e32 v60, v62, v61
	v_min3_f32 v58, v58, v60, v59
	global_store_b32 v[52:53], v58, off
	s_or_b32 exec_lo, exec_lo, s14
	s_and_b32 s16, s1, s8
	s_delay_alu instid0(SALU_CYCLE_1)
	s_and_saveexec_b32 s14, s16
	s_cbranch_execz .LBB69_176
.LBB69_186:
	v_cmp_ne_u32_e32 vcc_lo, 1, v121
	v_lshlrev_b64 v[52:53], 2, v[66:67]
	s_cbranch_vccnz .LBB69_188
; %bb.187:
	s_delay_alu instid0(VALU_DEP_1) | instskip(NEXT) | instid1(VALU_DEP_2)
	v_add_co_u32 v58, vcc_lo, v56, v52
	v_add_co_ci_u32_e32 v59, vcc_lo, v57, v53, vcc_lo
	flat_load_b32 v58, v[58:59]
	s_waitcnt vmcnt(0) lgkmcnt(0)
	v_mul_f32_e32 v58, s15, v58
	s_branch .LBB69_189
.LBB69_188:
	v_mov_b32_e32 v58, 0
.LBB69_189:
	v_dual_add_f32 v59, v29, v49 :: v_dual_add_f32 v60, v28, v48
	v_dual_add_f32 v61, v31, v51 :: v_dual_add_f32 v62, v30, v50
	s_delay_alu instid0(VALU_DEP_4) | instskip(NEXT) | instid1(VALU_DEP_3)
	v_add_co_u32 v52, vcc_lo, v54, v52
	v_min3_f32 v59, v60, v59, v120
	v_add_co_ci_u32_e32 v53, vcc_lo, v55, v53, vcc_lo
	s_delay_alu instid0(VALU_DEP_4) | instskip(NEXT) | instid1(VALU_DEP_1)
	v_min_f32_e32 v60, v62, v61
	v_min3_f32 v58, v58, v60, v59
	global_store_b32 v[52:53], v58, off
	s_or_b32 exec_lo, exec_lo, s14
	s_and_b32 s16, s2, s8
	s_delay_alu instid0(SALU_CYCLE_1)
	s_and_saveexec_b32 s14, s16
	s_cbranch_execz .LBB69_177
.LBB69_190:
	v_cmp_ne_u32_e32 vcc_lo, 1, v121
	v_lshlrev_b64 v[52:53], 2, v[68:69]
	s_cbranch_vccnz .LBB69_192
; %bb.191:
	s_delay_alu instid0(VALU_DEP_1) | instskip(NEXT) | instid1(VALU_DEP_2)
	v_add_co_u32 v58, vcc_lo, v56, v52
	v_add_co_ci_u32_e32 v59, vcc_lo, v57, v53, vcc_lo
	flat_load_b32 v58, v[58:59]
	s_waitcnt vmcnt(0) lgkmcnt(0)
	v_mul_f32_e32 v58, s15, v58
	s_branch .LBB69_193
.LBB69_192:
	v_mov_b32_e32 v58, 0
.LBB69_193:
	v_dual_add_f32 v59, v25, v49 :: v_dual_add_f32 v60, v24, v48
	v_dual_add_f32 v61, v27, v51 :: v_dual_add_f32 v62, v26, v50
	s_delay_alu instid0(VALU_DEP_4) | instskip(NEXT) | instid1(VALU_DEP_3)
	v_add_co_u32 v52, vcc_lo, v54, v52
	v_min3_f32 v59, v60, v59, v119
	v_add_co_ci_u32_e32 v53, vcc_lo, v55, v53, vcc_lo
	s_delay_alu instid0(VALU_DEP_4) | instskip(NEXT) | instid1(VALU_DEP_1)
	v_min_f32_e32 v60, v62, v61
	v_min3_f32 v58, v58, v60, v59
	global_store_b32 v[52:53], v58, off
	s_or_b32 exec_lo, exec_lo, s14
	s_and_b32 s16, s3, s8
	s_delay_alu instid0(SALU_CYCLE_1)
	s_and_saveexec_b32 s14, s16
	s_cbranch_execz .LBB69_178
.LBB69_194:
	v_cmp_ne_u32_e32 vcc_lo, 1, v121
	v_lshlrev_b64 v[52:53], 2, v[70:71]
	s_cbranch_vccnz .LBB69_196
; %bb.195:
	s_delay_alu instid0(VALU_DEP_1) | instskip(NEXT) | instid1(VALU_DEP_2)
	v_add_co_u32 v58, vcc_lo, v56, v52
	v_add_co_ci_u32_e32 v59, vcc_lo, v57, v53, vcc_lo
	flat_load_b32 v58, v[58:59]
	s_waitcnt vmcnt(0) lgkmcnt(0)
	v_mul_f32_e32 v58, s15, v58
	s_branch .LBB69_197
.LBB69_196:
	v_mov_b32_e32 v58, 0
.LBB69_197:
	v_dual_add_f32 v59, v21, v49 :: v_dual_add_f32 v60, v20, v48
	v_dual_add_f32 v61, v23, v51 :: v_dual_add_f32 v62, v22, v50
	s_delay_alu instid0(VALU_DEP_4) | instskip(NEXT) | instid1(VALU_DEP_3)
	v_add_co_u32 v52, vcc_lo, v54, v52
	v_min3_f32 v59, v60, v59, v118
	v_add_co_ci_u32_e32 v53, vcc_lo, v55, v53, vcc_lo
	s_delay_alu instid0(VALU_DEP_4) | instskip(NEXT) | instid1(VALU_DEP_1)
	v_min_f32_e32 v60, v62, v61
	v_min3_f32 v58, v58, v60, v59
	global_store_b32 v[52:53], v58, off
	s_or_b32 exec_lo, exec_lo, s14
	s_and_b32 s16, s4, s8
	s_delay_alu instid0(SALU_CYCLE_1)
	s_and_saveexec_b32 s14, s16
	s_cbranch_execz .LBB69_179
.LBB69_198:
	v_cmp_ne_u32_e32 vcc_lo, 1, v121
	v_lshlrev_b64 v[52:53], 2, v[72:73]
	s_cbranch_vccnz .LBB69_200
; %bb.199:
	s_delay_alu instid0(VALU_DEP_1) | instskip(NEXT) | instid1(VALU_DEP_2)
	v_add_co_u32 v58, vcc_lo, v56, v52
	v_add_co_ci_u32_e32 v59, vcc_lo, v57, v53, vcc_lo
	flat_load_b32 v58, v[58:59]
	s_waitcnt vmcnt(0) lgkmcnt(0)
	v_mul_f32_e32 v58, s15, v58
	s_branch .LBB69_201
.LBB69_200:
	v_mov_b32_e32 v58, 0
.LBB69_201:
	v_dual_add_f32 v59, v17, v49 :: v_dual_add_f32 v60, v16, v48
	v_dual_add_f32 v61, v19, v51 :: v_dual_add_f32 v62, v18, v50
	s_delay_alu instid0(VALU_DEP_4) | instskip(NEXT) | instid1(VALU_DEP_3)
	v_add_co_u32 v52, vcc_lo, v54, v52
	v_min3_f32 v59, v60, v59, v117
	v_add_co_ci_u32_e32 v53, vcc_lo, v55, v53, vcc_lo
	s_delay_alu instid0(VALU_DEP_4) | instskip(NEXT) | instid1(VALU_DEP_1)
	v_min_f32_e32 v60, v62, v61
	v_min3_f32 v58, v58, v60, v59
	global_store_b32 v[52:53], v58, off
	s_or_b32 exec_lo, exec_lo, s14
	s_and_b32 s16, s5, s8
	s_delay_alu instid0(SALU_CYCLE_1)
	s_and_saveexec_b32 s14, s16
	s_cbranch_execz .LBB69_180
.LBB69_202:
	v_cmp_ne_u32_e32 vcc_lo, 1, v121
	v_lshlrev_b64 v[52:53], 2, v[74:75]
	s_cbranch_vccnz .LBB69_204
; %bb.203:
	s_delay_alu instid0(VALU_DEP_1) | instskip(NEXT) | instid1(VALU_DEP_2)
	v_add_co_u32 v58, vcc_lo, v56, v52
	v_add_co_ci_u32_e32 v59, vcc_lo, v57, v53, vcc_lo
	flat_load_b32 v58, v[58:59]
	s_waitcnt vmcnt(0) lgkmcnt(0)
	v_mul_f32_e32 v58, s15, v58
	s_branch .LBB69_205
.LBB69_204:
	v_mov_b32_e32 v58, 0
.LBB69_205:
	v_dual_add_f32 v59, v13, v49 :: v_dual_add_f32 v60, v12, v48
	v_dual_add_f32 v61, v15, v51 :: v_dual_add_f32 v62, v14, v50
	s_delay_alu instid0(VALU_DEP_4) | instskip(NEXT) | instid1(VALU_DEP_3)
	v_add_co_u32 v52, vcc_lo, v54, v52
	v_min3_f32 v59, v60, v59, v116
	v_add_co_ci_u32_e32 v53, vcc_lo, v55, v53, vcc_lo
	s_delay_alu instid0(VALU_DEP_4) | instskip(NEXT) | instid1(VALU_DEP_1)
	v_min_f32_e32 v60, v62, v61
	v_min3_f32 v58, v58, v60, v59
	global_store_b32 v[52:53], v58, off
	s_or_b32 exec_lo, exec_lo, s14
	s_and_b32 s16, s6, s8
	s_delay_alu instid0(SALU_CYCLE_1)
	s_and_saveexec_b32 s14, s16
	s_cbranch_execz .LBB69_181
.LBB69_206:
	v_cmp_ne_u32_e32 vcc_lo, 1, v121
	v_lshlrev_b64 v[52:53], 2, v[76:77]
	s_cbranch_vccnz .LBB69_208
; %bb.207:
	s_delay_alu instid0(VALU_DEP_1) | instskip(NEXT) | instid1(VALU_DEP_2)
	v_add_co_u32 v58, vcc_lo, v56, v52
	v_add_co_ci_u32_e32 v59, vcc_lo, v57, v53, vcc_lo
	flat_load_b32 v58, v[58:59]
	s_waitcnt vmcnt(0) lgkmcnt(0)
	v_mul_f32_e32 v58, s15, v58
	s_branch .LBB69_209
.LBB69_208:
	v_mov_b32_e32 v58, 0
.LBB69_209:
	v_dual_add_f32 v59, v9, v49 :: v_dual_add_f32 v60, v8, v48
	v_dual_add_f32 v61, v11, v51 :: v_dual_add_f32 v62, v10, v50
	s_delay_alu instid0(VALU_DEP_4) | instskip(NEXT) | instid1(VALU_DEP_3)
	v_add_co_u32 v52, vcc_lo, v54, v52
	v_min3_f32 v59, v60, v59, v115
	v_add_co_ci_u32_e32 v53, vcc_lo, v55, v53, vcc_lo
	s_delay_alu instid0(VALU_DEP_4) | instskip(NEXT) | instid1(VALU_DEP_1)
	v_min_f32_e32 v60, v62, v61
	v_min3_f32 v58, v58, v60, v59
	global_store_b32 v[52:53], v58, off
	s_or_b32 exec_lo, exec_lo, s14
	s_and_b32 s14, s7, s8
	s_delay_alu instid0(SALU_CYCLE_1)
	s_and_saveexec_b32 s8, s14
	s_cbranch_execz .LBB69_214
.LBB69_210:
	v_cmp_ne_u32_e32 vcc_lo, 1, v121
	v_lshlrev_b64 v[52:53], 2, v[78:79]
	s_cbranch_vccnz .LBB69_212
; %bb.211:
	s_delay_alu instid0(VALU_DEP_1) | instskip(NEXT) | instid1(VALU_DEP_2)
	v_add_co_u32 v56, vcc_lo, v56, v52
	v_add_co_ci_u32_e32 v57, vcc_lo, v57, v53, vcc_lo
	flat_load_b32 v56, v[56:57]
	s_waitcnt vmcnt(0) lgkmcnt(0)
	v_mul_f32_e32 v56, s15, v56
	s_branch .LBB69_213
.LBB69_212:
	v_mov_b32_e32 v56, 0
.LBB69_213:
	v_dual_add_f32 v49, v1, v49 :: v_dual_add_f32 v48, v0, v48
	v_dual_add_f32 v51, v3, v51 :: v_dual_add_f32 v50, v2, v50
	s_delay_alu instid0(VALU_DEP_2) | instskip(NEXT) | instid1(VALU_DEP_2)
	v_min3_f32 v48, v48, v49, v114
	v_min_f32_e32 v49, v50, v51
	s_delay_alu instid0(VALU_DEP_1)
	v_min3_f32 v50, v56, v49, v48
	v_add_co_u32 v48, vcc_lo, v54, v52
	v_add_co_ci_u32_e32 v49, vcc_lo, v55, v53, vcc_lo
	global_store_b32 v[48:49], v50, off
.LBB69_214:
	s_or_b32 exec_lo, exec_lo, s8
	v_add_nc_u32_e32 v52, 0x80, v132
	s_delay_alu instid0(VALU_DEP_1) | instskip(SKIP_2) | instid1(VALU_DEP_3)
	v_mad_i64_i32 v[48:49], null, v52, s18, 0
	v_mad_i64_i32 v[50:51], null, v52, s9, 0
	v_cmp_gt_i32_e64 s8, s17, v52
	v_lshlrev_b64 v[48:49], 2, v[48:49]
	s_delay_alu instid0(VALU_DEP_2) | instskip(NEXT) | instid1(VALU_DEP_3)
	s_and_b32 s16, s0, s8
	v_lshlrev_b64 v[50:51], 2, v[50:51]
	s_delay_alu instid0(VALU_DEP_2) | instskip(NEXT) | instid1(VALU_DEP_3)
	v_add_co_u32 v52, vcc_lo, s12, v48
	v_add_co_ci_u32_e32 v53, vcc_lo, s13, v49, vcc_lo
	s_delay_alu instid0(VALU_DEP_3) | instskip(NEXT) | instid1(VALU_DEP_4)
	v_add_co_u32 v50, vcc_lo, s10, v50
	v_add_co_ci_u32_e32 v51, vcc_lo, s11, v51, vcc_lo
	s_and_saveexec_b32 s14, s16
	s_cbranch_execnz .LBB69_222
; %bb.215:
	s_or_b32 exec_lo, exec_lo, s14
	s_and_b32 s16, s1, s8
	s_delay_alu instid0(SALU_CYCLE_1)
	s_and_saveexec_b32 s14, s16
	s_cbranch_execnz .LBB69_226
.LBB69_216:
	s_or_b32 exec_lo, exec_lo, s14
	s_and_b32 s16, s2, s8
	s_delay_alu instid0(SALU_CYCLE_1)
	s_and_saveexec_b32 s14, s16
	s_cbranch_execnz .LBB69_230
.LBB69_217:
	s_or_b32 exec_lo, exec_lo, s14
	s_and_b32 s16, s3, s8
	s_delay_alu instid0(SALU_CYCLE_1)
	s_and_saveexec_b32 s14, s16
	s_cbranch_execnz .LBB69_234
.LBB69_218:
	s_or_b32 exec_lo, exec_lo, s14
	s_and_b32 s16, s4, s8
	s_delay_alu instid0(SALU_CYCLE_1)
	s_and_saveexec_b32 s14, s16
	s_cbranch_execnz .LBB69_238
.LBB69_219:
	s_or_b32 exec_lo, exec_lo, s14
	s_and_b32 s16, s5, s8
	s_delay_alu instid0(SALU_CYCLE_1)
	s_and_saveexec_b32 s14, s16
	s_cbranch_execnz .LBB69_242
.LBB69_220:
	s_or_b32 exec_lo, exec_lo, s14
	s_and_b32 s16, s6, s8
	s_delay_alu instid0(SALU_CYCLE_1)
	s_and_saveexec_b32 s14, s16
	s_cbranch_execnz .LBB69_246
.LBB69_221:
	s_or_b32 exec_lo, exec_lo, s14
	s_and_b32 s14, s7, s8
	s_delay_alu instid0(SALU_CYCLE_1)
	s_and_saveexec_b32 s8, s14
	s_cbranch_execnz .LBB69_250
	s_branch .LBB69_254
.LBB69_222:
	v_cmp_ne_u32_e32 vcc_lo, 1, v121
	v_lshlrev_b64 v[48:49], 2, v[64:65]
	s_cbranch_vccnz .LBB69_224
; %bb.223:
	s_delay_alu instid0(VALU_DEP_1) | instskip(NEXT) | instid1(VALU_DEP_2)
	v_add_co_u32 v54, vcc_lo, v52, v48
	v_add_co_ci_u32_e32 v55, vcc_lo, v53, v49, vcc_lo
	flat_load_b32 v54, v[54:55]
	s_waitcnt vmcnt(0) lgkmcnt(0)
	v_mul_f32_e32 v54, s15, v54
	s_branch .LBB69_225
.LBB69_224:
	v_mov_b32_e32 v54, 0
.LBB69_225:
	v_dual_add_f32 v55, v33, v45 :: v_dual_add_f32 v56, v32, v44
	v_dual_add_f32 v57, v35, v47 :: v_dual_add_f32 v58, v34, v46
	s_delay_alu instid0(VALU_DEP_4) | instskip(NEXT) | instid1(VALU_DEP_3)
	v_add_co_u32 v48, vcc_lo, v50, v48
	v_min3_f32 v55, v56, v55, v113
	v_add_co_ci_u32_e32 v49, vcc_lo, v51, v49, vcc_lo
	s_delay_alu instid0(VALU_DEP_4) | instskip(NEXT) | instid1(VALU_DEP_1)
	v_min_f32_e32 v56, v58, v57
	v_min3_f32 v54, v54, v56, v55
	global_store_b32 v[48:49], v54, off
	s_or_b32 exec_lo, exec_lo, s14
	s_and_b32 s16, s1, s8
	s_delay_alu instid0(SALU_CYCLE_1)
	s_and_saveexec_b32 s14, s16
	s_cbranch_execz .LBB69_216
.LBB69_226:
	v_cmp_ne_u32_e32 vcc_lo, 1, v121
	v_lshlrev_b64 v[48:49], 2, v[66:67]
	s_cbranch_vccnz .LBB69_228
; %bb.227:
	s_delay_alu instid0(VALU_DEP_1) | instskip(NEXT) | instid1(VALU_DEP_2)
	v_add_co_u32 v54, vcc_lo, v52, v48
	v_add_co_ci_u32_e32 v55, vcc_lo, v53, v49, vcc_lo
	flat_load_b32 v54, v[54:55]
	s_waitcnt vmcnt(0) lgkmcnt(0)
	v_mul_f32_e32 v54, s15, v54
	s_branch .LBB69_229
.LBB69_228:
	v_mov_b32_e32 v54, 0
.LBB69_229:
	v_dual_add_f32 v55, v29, v45 :: v_dual_add_f32 v56, v28, v44
	v_dual_add_f32 v57, v31, v47 :: v_dual_add_f32 v58, v30, v46
	s_delay_alu instid0(VALU_DEP_4) | instskip(NEXT) | instid1(VALU_DEP_3)
	v_add_co_u32 v48, vcc_lo, v50, v48
	v_min3_f32 v55, v56, v55, v112
	v_add_co_ci_u32_e32 v49, vcc_lo, v51, v49, vcc_lo
	s_delay_alu instid0(VALU_DEP_4) | instskip(NEXT) | instid1(VALU_DEP_1)
	v_min_f32_e32 v56, v58, v57
	v_min3_f32 v54, v54, v56, v55
	global_store_b32 v[48:49], v54, off
	s_or_b32 exec_lo, exec_lo, s14
	s_and_b32 s16, s2, s8
	s_delay_alu instid0(SALU_CYCLE_1)
	s_and_saveexec_b32 s14, s16
	s_cbranch_execz .LBB69_217
.LBB69_230:
	v_cmp_ne_u32_e32 vcc_lo, 1, v121
	v_lshlrev_b64 v[48:49], 2, v[68:69]
	s_cbranch_vccnz .LBB69_232
; %bb.231:
	s_delay_alu instid0(VALU_DEP_1) | instskip(NEXT) | instid1(VALU_DEP_2)
	v_add_co_u32 v54, vcc_lo, v52, v48
	v_add_co_ci_u32_e32 v55, vcc_lo, v53, v49, vcc_lo
	flat_load_b32 v54, v[54:55]
	s_waitcnt vmcnt(0) lgkmcnt(0)
	v_mul_f32_e32 v54, s15, v54
	s_branch .LBB69_233
.LBB69_232:
	v_mov_b32_e32 v54, 0
.LBB69_233:
	v_dual_add_f32 v55, v25, v45 :: v_dual_add_f32 v56, v24, v44
	v_dual_add_f32 v57, v27, v47 :: v_dual_add_f32 v58, v26, v46
	s_delay_alu instid0(VALU_DEP_4) | instskip(NEXT) | instid1(VALU_DEP_3)
	v_add_co_u32 v48, vcc_lo, v50, v48
	v_min3_f32 v55, v56, v55, v111
	v_add_co_ci_u32_e32 v49, vcc_lo, v51, v49, vcc_lo
	s_delay_alu instid0(VALU_DEP_4) | instskip(NEXT) | instid1(VALU_DEP_1)
	v_min_f32_e32 v56, v58, v57
	v_min3_f32 v54, v54, v56, v55
	global_store_b32 v[48:49], v54, off
	s_or_b32 exec_lo, exec_lo, s14
	s_and_b32 s16, s3, s8
	s_delay_alu instid0(SALU_CYCLE_1)
	s_and_saveexec_b32 s14, s16
	s_cbranch_execz .LBB69_218
.LBB69_234:
	v_cmp_ne_u32_e32 vcc_lo, 1, v121
	v_lshlrev_b64 v[48:49], 2, v[70:71]
	s_cbranch_vccnz .LBB69_236
; %bb.235:
	s_delay_alu instid0(VALU_DEP_1) | instskip(NEXT) | instid1(VALU_DEP_2)
	v_add_co_u32 v54, vcc_lo, v52, v48
	v_add_co_ci_u32_e32 v55, vcc_lo, v53, v49, vcc_lo
	flat_load_b32 v54, v[54:55]
	s_waitcnt vmcnt(0) lgkmcnt(0)
	v_mul_f32_e32 v54, s15, v54
	s_branch .LBB69_237
.LBB69_236:
	v_mov_b32_e32 v54, 0
.LBB69_237:
	v_dual_add_f32 v55, v21, v45 :: v_dual_add_f32 v56, v20, v44
	v_dual_add_f32 v57, v23, v47 :: v_dual_add_f32 v58, v22, v46
	s_delay_alu instid0(VALU_DEP_4) | instskip(NEXT) | instid1(VALU_DEP_3)
	v_add_co_u32 v48, vcc_lo, v50, v48
	v_min3_f32 v55, v56, v55, v110
	v_add_co_ci_u32_e32 v49, vcc_lo, v51, v49, vcc_lo
	s_delay_alu instid0(VALU_DEP_4) | instskip(NEXT) | instid1(VALU_DEP_1)
	v_min_f32_e32 v56, v58, v57
	v_min3_f32 v54, v54, v56, v55
	global_store_b32 v[48:49], v54, off
	s_or_b32 exec_lo, exec_lo, s14
	s_and_b32 s16, s4, s8
	s_delay_alu instid0(SALU_CYCLE_1)
	s_and_saveexec_b32 s14, s16
	s_cbranch_execz .LBB69_219
.LBB69_238:
	v_cmp_ne_u32_e32 vcc_lo, 1, v121
	v_lshlrev_b64 v[48:49], 2, v[72:73]
	s_cbranch_vccnz .LBB69_240
; %bb.239:
	s_delay_alu instid0(VALU_DEP_1) | instskip(NEXT) | instid1(VALU_DEP_2)
	v_add_co_u32 v54, vcc_lo, v52, v48
	v_add_co_ci_u32_e32 v55, vcc_lo, v53, v49, vcc_lo
	flat_load_b32 v54, v[54:55]
	s_waitcnt vmcnt(0) lgkmcnt(0)
	v_mul_f32_e32 v54, s15, v54
	s_branch .LBB69_241
.LBB69_240:
	v_mov_b32_e32 v54, 0
.LBB69_241:
	v_dual_add_f32 v55, v17, v45 :: v_dual_add_f32 v56, v16, v44
	v_dual_add_f32 v57, v19, v47 :: v_dual_add_f32 v58, v18, v46
	s_delay_alu instid0(VALU_DEP_4) | instskip(NEXT) | instid1(VALU_DEP_3)
	v_add_co_u32 v48, vcc_lo, v50, v48
	v_min3_f32 v55, v56, v55, v109
	v_add_co_ci_u32_e32 v49, vcc_lo, v51, v49, vcc_lo
	s_delay_alu instid0(VALU_DEP_4) | instskip(NEXT) | instid1(VALU_DEP_1)
	v_min_f32_e32 v56, v58, v57
	v_min3_f32 v54, v54, v56, v55
	global_store_b32 v[48:49], v54, off
	s_or_b32 exec_lo, exec_lo, s14
	s_and_b32 s16, s5, s8
	s_delay_alu instid0(SALU_CYCLE_1)
	s_and_saveexec_b32 s14, s16
	s_cbranch_execz .LBB69_220
.LBB69_242:
	v_cmp_ne_u32_e32 vcc_lo, 1, v121
	v_lshlrev_b64 v[48:49], 2, v[74:75]
	s_cbranch_vccnz .LBB69_244
; %bb.243:
	s_delay_alu instid0(VALU_DEP_1) | instskip(NEXT) | instid1(VALU_DEP_2)
	v_add_co_u32 v54, vcc_lo, v52, v48
	v_add_co_ci_u32_e32 v55, vcc_lo, v53, v49, vcc_lo
	flat_load_b32 v54, v[54:55]
	s_waitcnt vmcnt(0) lgkmcnt(0)
	v_mul_f32_e32 v54, s15, v54
	s_branch .LBB69_245
.LBB69_244:
	v_mov_b32_e32 v54, 0
.LBB69_245:
	v_dual_add_f32 v55, v13, v45 :: v_dual_add_f32 v56, v12, v44
	v_dual_add_f32 v57, v15, v47 :: v_dual_add_f32 v58, v14, v46
	s_delay_alu instid0(VALU_DEP_4) | instskip(NEXT) | instid1(VALU_DEP_3)
	v_add_co_u32 v48, vcc_lo, v50, v48
	v_min3_f32 v55, v56, v55, v108
	v_add_co_ci_u32_e32 v49, vcc_lo, v51, v49, vcc_lo
	s_delay_alu instid0(VALU_DEP_4) | instskip(NEXT) | instid1(VALU_DEP_1)
	v_min_f32_e32 v56, v58, v57
	v_min3_f32 v54, v54, v56, v55
	global_store_b32 v[48:49], v54, off
	s_or_b32 exec_lo, exec_lo, s14
	s_and_b32 s16, s6, s8
	s_delay_alu instid0(SALU_CYCLE_1)
	s_and_saveexec_b32 s14, s16
	s_cbranch_execz .LBB69_221
.LBB69_246:
	v_cmp_ne_u32_e32 vcc_lo, 1, v121
	v_lshlrev_b64 v[48:49], 2, v[76:77]
	s_cbranch_vccnz .LBB69_248
; %bb.247:
	s_delay_alu instid0(VALU_DEP_1) | instskip(NEXT) | instid1(VALU_DEP_2)
	v_add_co_u32 v54, vcc_lo, v52, v48
	v_add_co_ci_u32_e32 v55, vcc_lo, v53, v49, vcc_lo
	flat_load_b32 v54, v[54:55]
	s_waitcnt vmcnt(0) lgkmcnt(0)
	v_mul_f32_e32 v54, s15, v54
	s_branch .LBB69_249
.LBB69_248:
	v_mov_b32_e32 v54, 0
.LBB69_249:
	v_dual_add_f32 v55, v9, v45 :: v_dual_add_f32 v56, v8, v44
	v_dual_add_f32 v57, v11, v47 :: v_dual_add_f32 v58, v10, v46
	s_delay_alu instid0(VALU_DEP_4) | instskip(NEXT) | instid1(VALU_DEP_3)
	v_add_co_u32 v48, vcc_lo, v50, v48
	v_min3_f32 v55, v56, v55, v107
	v_add_co_ci_u32_e32 v49, vcc_lo, v51, v49, vcc_lo
	s_delay_alu instid0(VALU_DEP_4) | instskip(NEXT) | instid1(VALU_DEP_1)
	v_min_f32_e32 v56, v58, v57
	v_min3_f32 v54, v54, v56, v55
	global_store_b32 v[48:49], v54, off
	s_or_b32 exec_lo, exec_lo, s14
	s_and_b32 s14, s7, s8
	s_delay_alu instid0(SALU_CYCLE_1)
	s_and_saveexec_b32 s8, s14
	s_cbranch_execz .LBB69_254
.LBB69_250:
	v_cmp_ne_u32_e32 vcc_lo, 1, v121
	v_lshlrev_b64 v[48:49], 2, v[78:79]
	s_cbranch_vccnz .LBB69_252
; %bb.251:
	s_delay_alu instid0(VALU_DEP_1) | instskip(NEXT) | instid1(VALU_DEP_2)
	v_add_co_u32 v52, vcc_lo, v52, v48
	v_add_co_ci_u32_e32 v53, vcc_lo, v53, v49, vcc_lo
	flat_load_b32 v52, v[52:53]
	s_waitcnt vmcnt(0) lgkmcnt(0)
	v_mul_f32_e32 v52, s15, v52
	s_branch .LBB69_253
.LBB69_252:
	v_mov_b32_e32 v52, 0
.LBB69_253:
	v_dual_add_f32 v45, v1, v45 :: v_dual_add_f32 v44, v0, v44
	v_dual_add_f32 v47, v3, v47 :: v_dual_add_f32 v46, v2, v46
	s_delay_alu instid0(VALU_DEP_2) | instskip(NEXT) | instid1(VALU_DEP_2)
	v_min3_f32 v44, v44, v45, v106
	v_min_f32_e32 v45, v46, v47
	s_delay_alu instid0(VALU_DEP_1)
	v_min3_f32 v46, v52, v45, v44
	v_add_co_u32 v44, vcc_lo, v50, v48
	v_add_co_ci_u32_e32 v45, vcc_lo, v51, v49, vcc_lo
	global_store_b32 v[44:45], v46, off
.LBB69_254:
	s_or_b32 exec_lo, exec_lo, s8
	v_add_nc_u32_e32 v48, 0xa0, v132
	s_delay_alu instid0(VALU_DEP_1) | instskip(SKIP_2) | instid1(VALU_DEP_3)
	v_mad_i64_i32 v[44:45], null, v48, s18, 0
	v_mad_i64_i32 v[46:47], null, v48, s9, 0
	v_cmp_gt_i32_e64 s8, s17, v48
	v_lshlrev_b64 v[44:45], 2, v[44:45]
	s_delay_alu instid0(VALU_DEP_2) | instskip(NEXT) | instid1(VALU_DEP_3)
	s_and_b32 s16, s0, s8
	v_lshlrev_b64 v[46:47], 2, v[46:47]
	s_delay_alu instid0(VALU_DEP_2) | instskip(NEXT) | instid1(VALU_DEP_3)
	v_add_co_u32 v48, vcc_lo, s12, v44
	v_add_co_ci_u32_e32 v49, vcc_lo, s13, v45, vcc_lo
	s_delay_alu instid0(VALU_DEP_3) | instskip(NEXT) | instid1(VALU_DEP_4)
	v_add_co_u32 v46, vcc_lo, s10, v46
	v_add_co_ci_u32_e32 v47, vcc_lo, s11, v47, vcc_lo
	s_and_saveexec_b32 s14, s16
	s_cbranch_execnz .LBB69_262
; %bb.255:
	s_or_b32 exec_lo, exec_lo, s14
	s_and_b32 s16, s1, s8
	s_delay_alu instid0(SALU_CYCLE_1)
	s_and_saveexec_b32 s14, s16
	s_cbranch_execnz .LBB69_266
.LBB69_256:
	s_or_b32 exec_lo, exec_lo, s14
	s_and_b32 s16, s2, s8
	s_delay_alu instid0(SALU_CYCLE_1)
	s_and_saveexec_b32 s14, s16
	s_cbranch_execnz .LBB69_270
.LBB69_257:
	s_or_b32 exec_lo, exec_lo, s14
	s_and_b32 s16, s3, s8
	s_delay_alu instid0(SALU_CYCLE_1)
	s_and_saveexec_b32 s14, s16
	s_cbranch_execnz .LBB69_274
.LBB69_258:
	s_or_b32 exec_lo, exec_lo, s14
	s_and_b32 s16, s4, s8
	s_delay_alu instid0(SALU_CYCLE_1)
	s_and_saveexec_b32 s14, s16
	s_cbranch_execnz .LBB69_278
.LBB69_259:
	s_or_b32 exec_lo, exec_lo, s14
	s_and_b32 s16, s5, s8
	s_delay_alu instid0(SALU_CYCLE_1)
	s_and_saveexec_b32 s14, s16
	s_cbranch_execnz .LBB69_282
.LBB69_260:
	s_or_b32 exec_lo, exec_lo, s14
	s_and_b32 s16, s6, s8
	s_delay_alu instid0(SALU_CYCLE_1)
	s_and_saveexec_b32 s14, s16
	s_cbranch_execnz .LBB69_286
.LBB69_261:
	s_or_b32 exec_lo, exec_lo, s14
	s_and_b32 s14, s7, s8
	s_delay_alu instid0(SALU_CYCLE_1)
	s_and_saveexec_b32 s8, s14
	s_cbranch_execnz .LBB69_290
	s_branch .LBB69_294
.LBB69_262:
	v_cmp_ne_u32_e32 vcc_lo, 1, v121
	v_lshlrev_b64 v[44:45], 2, v[64:65]
	s_cbranch_vccnz .LBB69_264
; %bb.263:
	s_delay_alu instid0(VALU_DEP_1) | instskip(NEXT) | instid1(VALU_DEP_2)
	v_add_co_u32 v50, vcc_lo, v48, v44
	v_add_co_ci_u32_e32 v51, vcc_lo, v49, v45, vcc_lo
	flat_load_b32 v50, v[50:51]
	s_waitcnt vmcnt(0) lgkmcnt(0)
	v_mul_f32_e32 v50, s15, v50
	s_branch .LBB69_265
.LBB69_264:
	v_mov_b32_e32 v50, 0
.LBB69_265:
	v_dual_add_f32 v51, v33, v41 :: v_dual_add_f32 v52, v32, v40
	v_dual_add_f32 v53, v35, v43 :: v_dual_add_f32 v54, v34, v42
	s_delay_alu instid0(VALU_DEP_4) | instskip(NEXT) | instid1(VALU_DEP_3)
	v_add_co_u32 v44, vcc_lo, v46, v44
	v_min3_f32 v51, v52, v51, v105
	v_add_co_ci_u32_e32 v45, vcc_lo, v47, v45, vcc_lo
	s_delay_alu instid0(VALU_DEP_4) | instskip(NEXT) | instid1(VALU_DEP_1)
	v_min_f32_e32 v52, v54, v53
	v_min3_f32 v50, v50, v52, v51
	global_store_b32 v[44:45], v50, off
	s_or_b32 exec_lo, exec_lo, s14
	s_and_b32 s16, s1, s8
	s_delay_alu instid0(SALU_CYCLE_1)
	s_and_saveexec_b32 s14, s16
	s_cbranch_execz .LBB69_256
.LBB69_266:
	v_cmp_ne_u32_e32 vcc_lo, 1, v121
	v_lshlrev_b64 v[44:45], 2, v[66:67]
	s_cbranch_vccnz .LBB69_268
; %bb.267:
	s_delay_alu instid0(VALU_DEP_1) | instskip(NEXT) | instid1(VALU_DEP_2)
	v_add_co_u32 v50, vcc_lo, v48, v44
	v_add_co_ci_u32_e32 v51, vcc_lo, v49, v45, vcc_lo
	flat_load_b32 v50, v[50:51]
	s_waitcnt vmcnt(0) lgkmcnt(0)
	v_mul_f32_e32 v50, s15, v50
	s_branch .LBB69_269
.LBB69_268:
	v_mov_b32_e32 v50, 0
.LBB69_269:
	v_dual_add_f32 v51, v29, v41 :: v_dual_add_f32 v52, v28, v40
	v_dual_add_f32 v53, v31, v43 :: v_dual_add_f32 v54, v30, v42
	s_delay_alu instid0(VALU_DEP_4) | instskip(NEXT) | instid1(VALU_DEP_3)
	v_add_co_u32 v44, vcc_lo, v46, v44
	v_min3_f32 v51, v52, v51, v104
	v_add_co_ci_u32_e32 v45, vcc_lo, v47, v45, vcc_lo
	s_delay_alu instid0(VALU_DEP_4) | instskip(NEXT) | instid1(VALU_DEP_1)
	v_min_f32_e32 v52, v54, v53
	v_min3_f32 v50, v50, v52, v51
	global_store_b32 v[44:45], v50, off
	s_or_b32 exec_lo, exec_lo, s14
	s_and_b32 s16, s2, s8
	s_delay_alu instid0(SALU_CYCLE_1)
	s_and_saveexec_b32 s14, s16
	s_cbranch_execz .LBB69_257
.LBB69_270:
	v_cmp_ne_u32_e32 vcc_lo, 1, v121
	v_lshlrev_b64 v[44:45], 2, v[68:69]
	s_cbranch_vccnz .LBB69_272
; %bb.271:
	s_delay_alu instid0(VALU_DEP_1) | instskip(NEXT) | instid1(VALU_DEP_2)
	v_add_co_u32 v50, vcc_lo, v48, v44
	v_add_co_ci_u32_e32 v51, vcc_lo, v49, v45, vcc_lo
	flat_load_b32 v50, v[50:51]
	s_waitcnt vmcnt(0) lgkmcnt(0)
	v_mul_f32_e32 v50, s15, v50
	s_branch .LBB69_273
.LBB69_272:
	v_mov_b32_e32 v50, 0
.LBB69_273:
	v_dual_add_f32 v51, v25, v41 :: v_dual_add_f32 v52, v24, v40
	v_dual_add_f32 v53, v27, v43 :: v_dual_add_f32 v54, v26, v42
	s_delay_alu instid0(VALU_DEP_4) | instskip(NEXT) | instid1(VALU_DEP_3)
	v_add_co_u32 v44, vcc_lo, v46, v44
	v_min3_f32 v51, v52, v51, v103
	v_add_co_ci_u32_e32 v45, vcc_lo, v47, v45, vcc_lo
	s_delay_alu instid0(VALU_DEP_4) | instskip(NEXT) | instid1(VALU_DEP_1)
	v_min_f32_e32 v52, v54, v53
	v_min3_f32 v50, v50, v52, v51
	global_store_b32 v[44:45], v50, off
	s_or_b32 exec_lo, exec_lo, s14
	s_and_b32 s16, s3, s8
	s_delay_alu instid0(SALU_CYCLE_1)
	s_and_saveexec_b32 s14, s16
	s_cbranch_execz .LBB69_258
.LBB69_274:
	v_cmp_ne_u32_e32 vcc_lo, 1, v121
	v_lshlrev_b64 v[44:45], 2, v[70:71]
	s_cbranch_vccnz .LBB69_276
; %bb.275:
	s_delay_alu instid0(VALU_DEP_1) | instskip(NEXT) | instid1(VALU_DEP_2)
	v_add_co_u32 v50, vcc_lo, v48, v44
	v_add_co_ci_u32_e32 v51, vcc_lo, v49, v45, vcc_lo
	flat_load_b32 v50, v[50:51]
	s_waitcnt vmcnt(0) lgkmcnt(0)
	v_mul_f32_e32 v50, s15, v50
	s_branch .LBB69_277
.LBB69_276:
	v_mov_b32_e32 v50, 0
.LBB69_277:
	v_dual_add_f32 v51, v21, v41 :: v_dual_add_f32 v52, v20, v40
	v_dual_add_f32 v53, v23, v43 :: v_dual_add_f32 v54, v22, v42
	s_delay_alu instid0(VALU_DEP_4) | instskip(NEXT) | instid1(VALU_DEP_3)
	v_add_co_u32 v44, vcc_lo, v46, v44
	v_min3_f32 v51, v52, v51, v102
	v_add_co_ci_u32_e32 v45, vcc_lo, v47, v45, vcc_lo
	s_delay_alu instid0(VALU_DEP_4) | instskip(NEXT) | instid1(VALU_DEP_1)
	v_min_f32_e32 v52, v54, v53
	v_min3_f32 v50, v50, v52, v51
	global_store_b32 v[44:45], v50, off
	s_or_b32 exec_lo, exec_lo, s14
	s_and_b32 s16, s4, s8
	s_delay_alu instid0(SALU_CYCLE_1)
	s_and_saveexec_b32 s14, s16
	s_cbranch_execz .LBB69_259
.LBB69_278:
	v_cmp_ne_u32_e32 vcc_lo, 1, v121
	v_lshlrev_b64 v[44:45], 2, v[72:73]
	s_cbranch_vccnz .LBB69_280
; %bb.279:
	s_delay_alu instid0(VALU_DEP_1) | instskip(NEXT) | instid1(VALU_DEP_2)
	v_add_co_u32 v50, vcc_lo, v48, v44
	v_add_co_ci_u32_e32 v51, vcc_lo, v49, v45, vcc_lo
	flat_load_b32 v50, v[50:51]
	s_waitcnt vmcnt(0) lgkmcnt(0)
	v_mul_f32_e32 v50, s15, v50
	s_branch .LBB69_281
.LBB69_280:
	v_mov_b32_e32 v50, 0
.LBB69_281:
	v_dual_add_f32 v51, v17, v41 :: v_dual_add_f32 v52, v16, v40
	v_dual_add_f32 v53, v19, v43 :: v_dual_add_f32 v54, v18, v42
	s_delay_alu instid0(VALU_DEP_4) | instskip(NEXT) | instid1(VALU_DEP_3)
	v_add_co_u32 v44, vcc_lo, v46, v44
	v_min3_f32 v51, v52, v51, v101
	v_add_co_ci_u32_e32 v45, vcc_lo, v47, v45, vcc_lo
	s_delay_alu instid0(VALU_DEP_4) | instskip(NEXT) | instid1(VALU_DEP_1)
	v_min_f32_e32 v52, v54, v53
	v_min3_f32 v50, v50, v52, v51
	global_store_b32 v[44:45], v50, off
	s_or_b32 exec_lo, exec_lo, s14
	s_and_b32 s16, s5, s8
	s_delay_alu instid0(SALU_CYCLE_1)
	s_and_saveexec_b32 s14, s16
	s_cbranch_execz .LBB69_260
.LBB69_282:
	v_cmp_ne_u32_e32 vcc_lo, 1, v121
	v_lshlrev_b64 v[44:45], 2, v[74:75]
	s_cbranch_vccnz .LBB69_284
; %bb.283:
	s_delay_alu instid0(VALU_DEP_1) | instskip(NEXT) | instid1(VALU_DEP_2)
	v_add_co_u32 v50, vcc_lo, v48, v44
	v_add_co_ci_u32_e32 v51, vcc_lo, v49, v45, vcc_lo
	flat_load_b32 v50, v[50:51]
	s_waitcnt vmcnt(0) lgkmcnt(0)
	v_mul_f32_e32 v50, s15, v50
	s_branch .LBB69_285
.LBB69_284:
	v_mov_b32_e32 v50, 0
.LBB69_285:
	v_dual_add_f32 v51, v13, v41 :: v_dual_add_f32 v52, v12, v40
	v_dual_add_f32 v53, v15, v43 :: v_dual_add_f32 v54, v14, v42
	s_delay_alu instid0(VALU_DEP_4) | instskip(NEXT) | instid1(VALU_DEP_3)
	v_add_co_u32 v44, vcc_lo, v46, v44
	v_min3_f32 v51, v52, v51, v100
	v_add_co_ci_u32_e32 v45, vcc_lo, v47, v45, vcc_lo
	s_delay_alu instid0(VALU_DEP_4) | instskip(NEXT) | instid1(VALU_DEP_1)
	v_min_f32_e32 v52, v54, v53
	v_min3_f32 v50, v50, v52, v51
	global_store_b32 v[44:45], v50, off
	s_or_b32 exec_lo, exec_lo, s14
	s_and_b32 s16, s6, s8
	s_delay_alu instid0(SALU_CYCLE_1)
	s_and_saveexec_b32 s14, s16
	s_cbranch_execz .LBB69_261
.LBB69_286:
	v_cmp_ne_u32_e32 vcc_lo, 1, v121
	v_lshlrev_b64 v[44:45], 2, v[76:77]
	s_cbranch_vccnz .LBB69_288
; %bb.287:
	s_delay_alu instid0(VALU_DEP_1) | instskip(NEXT) | instid1(VALU_DEP_2)
	v_add_co_u32 v50, vcc_lo, v48, v44
	v_add_co_ci_u32_e32 v51, vcc_lo, v49, v45, vcc_lo
	flat_load_b32 v50, v[50:51]
	s_waitcnt vmcnt(0) lgkmcnt(0)
	v_mul_f32_e32 v50, s15, v50
	s_branch .LBB69_289
.LBB69_288:
	v_mov_b32_e32 v50, 0
.LBB69_289:
	v_dual_add_f32 v51, v9, v41 :: v_dual_add_f32 v52, v8, v40
	v_dual_add_f32 v53, v11, v43 :: v_dual_add_f32 v54, v10, v42
	s_delay_alu instid0(VALU_DEP_4) | instskip(NEXT) | instid1(VALU_DEP_3)
	v_add_co_u32 v44, vcc_lo, v46, v44
	v_min3_f32 v51, v52, v51, v99
	v_add_co_ci_u32_e32 v45, vcc_lo, v47, v45, vcc_lo
	s_delay_alu instid0(VALU_DEP_4) | instskip(NEXT) | instid1(VALU_DEP_1)
	v_min_f32_e32 v52, v54, v53
	v_min3_f32 v50, v50, v52, v51
	global_store_b32 v[44:45], v50, off
	s_or_b32 exec_lo, exec_lo, s14
	s_and_b32 s14, s7, s8
	s_delay_alu instid0(SALU_CYCLE_1)
	s_and_saveexec_b32 s8, s14
	s_cbranch_execz .LBB69_294
.LBB69_290:
	v_cmp_ne_u32_e32 vcc_lo, 1, v121
	v_lshlrev_b64 v[44:45], 2, v[78:79]
	s_cbranch_vccnz .LBB69_292
; %bb.291:
	s_delay_alu instid0(VALU_DEP_1) | instskip(NEXT) | instid1(VALU_DEP_2)
	v_add_co_u32 v48, vcc_lo, v48, v44
	v_add_co_ci_u32_e32 v49, vcc_lo, v49, v45, vcc_lo
	flat_load_b32 v48, v[48:49]
	s_waitcnt vmcnt(0) lgkmcnt(0)
	v_mul_f32_e32 v48, s15, v48
	s_branch .LBB69_293
.LBB69_292:
	v_mov_b32_e32 v48, 0
.LBB69_293:
	v_dual_add_f32 v41, v1, v41 :: v_dual_add_f32 v40, v0, v40
	v_dual_add_f32 v43, v3, v43 :: v_dual_add_f32 v42, v2, v42
	s_delay_alu instid0(VALU_DEP_2) | instskip(NEXT) | instid1(VALU_DEP_2)
	v_min3_f32 v40, v40, v41, v98
	v_min_f32_e32 v41, v42, v43
	s_delay_alu instid0(VALU_DEP_1)
	v_min3_f32 v42, v48, v41, v40
	v_add_co_u32 v40, vcc_lo, v46, v44
	v_add_co_ci_u32_e32 v41, vcc_lo, v47, v45, vcc_lo
	global_store_b32 v[40:41], v42, off
.LBB69_294:
	s_or_b32 exec_lo, exec_lo, s8
	v_add_nc_u32_e32 v44, 0xc0, v132
	s_delay_alu instid0(VALU_DEP_1) | instskip(SKIP_2) | instid1(VALU_DEP_3)
	v_mad_i64_i32 v[40:41], null, v44, s18, 0
	v_mad_i64_i32 v[42:43], null, v44, s9, 0
	v_cmp_gt_i32_e64 s8, s17, v44
	v_lshlrev_b64 v[40:41], 2, v[40:41]
	s_delay_alu instid0(VALU_DEP_2) | instskip(NEXT) | instid1(VALU_DEP_3)
	s_and_b32 s16, s0, s8
	v_lshlrev_b64 v[42:43], 2, v[42:43]
	s_delay_alu instid0(VALU_DEP_2) | instskip(NEXT) | instid1(VALU_DEP_3)
	v_add_co_u32 v44, vcc_lo, s12, v40
	v_add_co_ci_u32_e32 v45, vcc_lo, s13, v41, vcc_lo
	s_delay_alu instid0(VALU_DEP_3) | instskip(NEXT) | instid1(VALU_DEP_4)
	v_add_co_u32 v42, vcc_lo, s10, v42
	v_add_co_ci_u32_e32 v43, vcc_lo, s11, v43, vcc_lo
	s_and_saveexec_b32 s14, s16
	s_cbranch_execnz .LBB69_302
; %bb.295:
	s_or_b32 exec_lo, exec_lo, s14
	s_and_b32 s16, s1, s8
	s_delay_alu instid0(SALU_CYCLE_1)
	s_and_saveexec_b32 s14, s16
	s_cbranch_execnz .LBB69_306
.LBB69_296:
	s_or_b32 exec_lo, exec_lo, s14
	s_and_b32 s16, s2, s8
	s_delay_alu instid0(SALU_CYCLE_1)
	s_and_saveexec_b32 s14, s16
	s_cbranch_execnz .LBB69_310
.LBB69_297:
	s_or_b32 exec_lo, exec_lo, s14
	s_and_b32 s16, s3, s8
	s_delay_alu instid0(SALU_CYCLE_1)
	s_and_saveexec_b32 s14, s16
	s_cbranch_execnz .LBB69_314
.LBB69_298:
	s_or_b32 exec_lo, exec_lo, s14
	s_and_b32 s16, s4, s8
	s_delay_alu instid0(SALU_CYCLE_1)
	s_and_saveexec_b32 s14, s16
	s_cbranch_execnz .LBB69_318
.LBB69_299:
	s_or_b32 exec_lo, exec_lo, s14
	s_and_b32 s16, s5, s8
	s_delay_alu instid0(SALU_CYCLE_1)
	s_and_saveexec_b32 s14, s16
	s_cbranch_execnz .LBB69_322
.LBB69_300:
	s_or_b32 exec_lo, exec_lo, s14
	s_and_b32 s16, s6, s8
	s_delay_alu instid0(SALU_CYCLE_1)
	s_and_saveexec_b32 s14, s16
	s_cbranch_execnz .LBB69_326
.LBB69_301:
	s_or_b32 exec_lo, exec_lo, s14
	s_and_b32 s14, s7, s8
	s_delay_alu instid0(SALU_CYCLE_1)
	s_and_saveexec_b32 s8, s14
	s_cbranch_execnz .LBB69_330
	s_branch .LBB69_334
.LBB69_302:
	v_cmp_ne_u32_e32 vcc_lo, 1, v121
	v_lshlrev_b64 v[40:41], 2, v[64:65]
	s_cbranch_vccnz .LBB69_304
; %bb.303:
	s_delay_alu instid0(VALU_DEP_1) | instskip(NEXT) | instid1(VALU_DEP_2)
	v_add_co_u32 v46, vcc_lo, v44, v40
	v_add_co_ci_u32_e32 v47, vcc_lo, v45, v41, vcc_lo
	flat_load_b32 v46, v[46:47]
	s_waitcnt vmcnt(0) lgkmcnt(0)
	v_mul_f32_e32 v46, s15, v46
	s_branch .LBB69_305
.LBB69_304:
	v_mov_b32_e32 v46, 0
.LBB69_305:
	v_dual_add_f32 v47, v33, v37 :: v_dual_add_f32 v48, v32, v36
	v_dual_add_f32 v49, v35, v39 :: v_dual_add_f32 v50, v34, v38
	s_delay_alu instid0(VALU_DEP_4) | instskip(NEXT) | instid1(VALU_DEP_3)
	v_add_co_u32 v40, vcc_lo, v42, v40
	v_min3_f32 v47, v48, v47, v97
	v_add_co_ci_u32_e32 v41, vcc_lo, v43, v41, vcc_lo
	s_delay_alu instid0(VALU_DEP_4) | instskip(NEXT) | instid1(VALU_DEP_1)
	v_min_f32_e32 v48, v50, v49
	v_min3_f32 v46, v46, v48, v47
	global_store_b32 v[40:41], v46, off
	s_or_b32 exec_lo, exec_lo, s14
	s_and_b32 s16, s1, s8
	s_delay_alu instid0(SALU_CYCLE_1)
	s_and_saveexec_b32 s14, s16
	s_cbranch_execz .LBB69_296
.LBB69_306:
	v_cmp_ne_u32_e32 vcc_lo, 1, v121
	v_lshlrev_b64 v[40:41], 2, v[66:67]
	s_cbranch_vccnz .LBB69_308
; %bb.307:
	s_delay_alu instid0(VALU_DEP_1) | instskip(NEXT) | instid1(VALU_DEP_2)
	v_add_co_u32 v46, vcc_lo, v44, v40
	v_add_co_ci_u32_e32 v47, vcc_lo, v45, v41, vcc_lo
	flat_load_b32 v46, v[46:47]
	s_waitcnt vmcnt(0) lgkmcnt(0)
	v_mul_f32_e32 v46, s15, v46
	s_branch .LBB69_309
.LBB69_308:
	v_mov_b32_e32 v46, 0
.LBB69_309:
	v_dual_add_f32 v47, v29, v37 :: v_dual_add_f32 v48, v28, v36
	v_dual_add_f32 v49, v31, v39 :: v_dual_add_f32 v50, v30, v38
	s_delay_alu instid0(VALU_DEP_4) | instskip(NEXT) | instid1(VALU_DEP_3)
	v_add_co_u32 v40, vcc_lo, v42, v40
	v_min3_f32 v47, v48, v47, v96
	v_add_co_ci_u32_e32 v41, vcc_lo, v43, v41, vcc_lo
	s_delay_alu instid0(VALU_DEP_4) | instskip(NEXT) | instid1(VALU_DEP_1)
	v_min_f32_e32 v48, v50, v49
	v_min3_f32 v46, v46, v48, v47
	global_store_b32 v[40:41], v46, off
	s_or_b32 exec_lo, exec_lo, s14
	s_and_b32 s16, s2, s8
	s_delay_alu instid0(SALU_CYCLE_1)
	s_and_saveexec_b32 s14, s16
	s_cbranch_execz .LBB69_297
.LBB69_310:
	v_cmp_ne_u32_e32 vcc_lo, 1, v121
	v_lshlrev_b64 v[40:41], 2, v[68:69]
	s_cbranch_vccnz .LBB69_312
; %bb.311:
	s_delay_alu instid0(VALU_DEP_1) | instskip(NEXT) | instid1(VALU_DEP_2)
	v_add_co_u32 v46, vcc_lo, v44, v40
	v_add_co_ci_u32_e32 v47, vcc_lo, v45, v41, vcc_lo
	flat_load_b32 v46, v[46:47]
	s_waitcnt vmcnt(0) lgkmcnt(0)
	v_mul_f32_e32 v46, s15, v46
	s_branch .LBB69_313
.LBB69_312:
	v_mov_b32_e32 v46, 0
.LBB69_313:
	v_dual_add_f32 v47, v25, v37 :: v_dual_add_f32 v48, v24, v36
	v_dual_add_f32 v49, v27, v39 :: v_dual_add_f32 v50, v26, v38
	s_delay_alu instid0(VALU_DEP_4) | instskip(NEXT) | instid1(VALU_DEP_3)
	v_add_co_u32 v40, vcc_lo, v42, v40
	v_min3_f32 v47, v48, v47, v95
	v_add_co_ci_u32_e32 v41, vcc_lo, v43, v41, vcc_lo
	s_delay_alu instid0(VALU_DEP_4) | instskip(NEXT) | instid1(VALU_DEP_1)
	v_min_f32_e32 v48, v50, v49
	v_min3_f32 v46, v46, v48, v47
	global_store_b32 v[40:41], v46, off
	s_or_b32 exec_lo, exec_lo, s14
	s_and_b32 s16, s3, s8
	s_delay_alu instid0(SALU_CYCLE_1)
	s_and_saveexec_b32 s14, s16
	s_cbranch_execz .LBB69_298
.LBB69_314:
	v_cmp_ne_u32_e32 vcc_lo, 1, v121
	v_lshlrev_b64 v[40:41], 2, v[70:71]
	s_cbranch_vccnz .LBB69_316
; %bb.315:
	s_delay_alu instid0(VALU_DEP_1) | instskip(NEXT) | instid1(VALU_DEP_2)
	v_add_co_u32 v46, vcc_lo, v44, v40
	v_add_co_ci_u32_e32 v47, vcc_lo, v45, v41, vcc_lo
	flat_load_b32 v46, v[46:47]
	s_waitcnt vmcnt(0) lgkmcnt(0)
	v_mul_f32_e32 v46, s15, v46
	s_branch .LBB69_317
.LBB69_316:
	v_mov_b32_e32 v46, 0
.LBB69_317:
	v_dual_add_f32 v47, v21, v37 :: v_dual_add_f32 v48, v20, v36
	v_dual_add_f32 v49, v23, v39 :: v_dual_add_f32 v50, v22, v38
	s_delay_alu instid0(VALU_DEP_4) | instskip(NEXT) | instid1(VALU_DEP_3)
	v_add_co_u32 v40, vcc_lo, v42, v40
	v_min3_f32 v47, v48, v47, v94
	v_add_co_ci_u32_e32 v41, vcc_lo, v43, v41, vcc_lo
	s_delay_alu instid0(VALU_DEP_4) | instskip(NEXT) | instid1(VALU_DEP_1)
	v_min_f32_e32 v48, v50, v49
	v_min3_f32 v46, v46, v48, v47
	global_store_b32 v[40:41], v46, off
	s_or_b32 exec_lo, exec_lo, s14
	s_and_b32 s16, s4, s8
	s_delay_alu instid0(SALU_CYCLE_1)
	s_and_saveexec_b32 s14, s16
	s_cbranch_execz .LBB69_299
.LBB69_318:
	v_cmp_ne_u32_e32 vcc_lo, 1, v121
	v_lshlrev_b64 v[40:41], 2, v[72:73]
	s_cbranch_vccnz .LBB69_320
; %bb.319:
	s_delay_alu instid0(VALU_DEP_1) | instskip(NEXT) | instid1(VALU_DEP_2)
	v_add_co_u32 v46, vcc_lo, v44, v40
	v_add_co_ci_u32_e32 v47, vcc_lo, v45, v41, vcc_lo
	flat_load_b32 v46, v[46:47]
	s_waitcnt vmcnt(0) lgkmcnt(0)
	v_mul_f32_e32 v46, s15, v46
	s_branch .LBB69_321
.LBB69_320:
	v_mov_b32_e32 v46, 0
.LBB69_321:
	v_dual_add_f32 v47, v17, v37 :: v_dual_add_f32 v48, v16, v36
	v_dual_add_f32 v49, v19, v39 :: v_dual_add_f32 v50, v18, v38
	s_delay_alu instid0(VALU_DEP_4) | instskip(NEXT) | instid1(VALU_DEP_3)
	v_add_co_u32 v40, vcc_lo, v42, v40
	v_min3_f32 v47, v48, v47, v93
	v_add_co_ci_u32_e32 v41, vcc_lo, v43, v41, vcc_lo
	s_delay_alu instid0(VALU_DEP_4) | instskip(NEXT) | instid1(VALU_DEP_1)
	v_min_f32_e32 v48, v50, v49
	v_min3_f32 v46, v46, v48, v47
	global_store_b32 v[40:41], v46, off
	s_or_b32 exec_lo, exec_lo, s14
	s_and_b32 s16, s5, s8
	s_delay_alu instid0(SALU_CYCLE_1)
	s_and_saveexec_b32 s14, s16
	s_cbranch_execz .LBB69_300
.LBB69_322:
	v_cmp_ne_u32_e32 vcc_lo, 1, v121
	v_lshlrev_b64 v[40:41], 2, v[74:75]
	s_cbranch_vccnz .LBB69_324
; %bb.323:
	s_delay_alu instid0(VALU_DEP_1) | instskip(NEXT) | instid1(VALU_DEP_2)
	v_add_co_u32 v46, vcc_lo, v44, v40
	v_add_co_ci_u32_e32 v47, vcc_lo, v45, v41, vcc_lo
	flat_load_b32 v46, v[46:47]
	s_waitcnt vmcnt(0) lgkmcnt(0)
	v_mul_f32_e32 v46, s15, v46
	s_branch .LBB69_325
.LBB69_324:
	v_mov_b32_e32 v46, 0
.LBB69_325:
	v_dual_add_f32 v47, v13, v37 :: v_dual_add_f32 v48, v12, v36
	v_dual_add_f32 v49, v15, v39 :: v_dual_add_f32 v50, v14, v38
	s_delay_alu instid0(VALU_DEP_4) | instskip(NEXT) | instid1(VALU_DEP_3)
	v_add_co_u32 v40, vcc_lo, v42, v40
	v_min3_f32 v47, v48, v47, v91
	v_add_co_ci_u32_e32 v41, vcc_lo, v43, v41, vcc_lo
	s_delay_alu instid0(VALU_DEP_4) | instskip(NEXT) | instid1(VALU_DEP_1)
	v_min_f32_e32 v48, v50, v49
	v_min3_f32 v46, v46, v48, v47
	global_store_b32 v[40:41], v46, off
	s_or_b32 exec_lo, exec_lo, s14
	s_and_b32 s16, s6, s8
	s_delay_alu instid0(SALU_CYCLE_1)
	s_and_saveexec_b32 s14, s16
	s_cbranch_execz .LBB69_301
.LBB69_326:
	v_cmp_ne_u32_e32 vcc_lo, 1, v121
	v_lshlrev_b64 v[40:41], 2, v[76:77]
	s_cbranch_vccnz .LBB69_328
; %bb.327:
	s_delay_alu instid0(VALU_DEP_1) | instskip(NEXT) | instid1(VALU_DEP_2)
	v_add_co_u32 v46, vcc_lo, v44, v40
	v_add_co_ci_u32_e32 v47, vcc_lo, v45, v41, vcc_lo
	flat_load_b32 v46, v[46:47]
	s_waitcnt vmcnt(0) lgkmcnt(0)
	v_mul_f32_e32 v46, s15, v46
	s_branch .LBB69_329
.LBB69_328:
	v_mov_b32_e32 v46, 0
.LBB69_329:
	v_dual_add_f32 v47, v9, v37 :: v_dual_add_f32 v48, v8, v36
	v_dual_add_f32 v49, v11, v39 :: v_dual_add_f32 v50, v10, v38
	s_delay_alu instid0(VALU_DEP_4) | instskip(NEXT) | instid1(VALU_DEP_3)
	v_add_co_u32 v40, vcc_lo, v42, v40
	v_min3_f32 v47, v48, v47, v90
	v_add_co_ci_u32_e32 v41, vcc_lo, v43, v41, vcc_lo
	s_delay_alu instid0(VALU_DEP_4) | instskip(NEXT) | instid1(VALU_DEP_1)
	v_min_f32_e32 v48, v50, v49
	v_min3_f32 v46, v46, v48, v47
	global_store_b32 v[40:41], v46, off
	s_or_b32 exec_lo, exec_lo, s14
	s_and_b32 s14, s7, s8
	s_delay_alu instid0(SALU_CYCLE_1)
	s_and_saveexec_b32 s8, s14
	s_cbranch_execz .LBB69_334
.LBB69_330:
	v_cmp_ne_u32_e32 vcc_lo, 1, v121
	v_lshlrev_b64 v[40:41], 2, v[78:79]
	s_cbranch_vccnz .LBB69_332
; %bb.331:
	s_delay_alu instid0(VALU_DEP_1) | instskip(NEXT) | instid1(VALU_DEP_2)
	v_add_co_u32 v44, vcc_lo, v44, v40
	v_add_co_ci_u32_e32 v45, vcc_lo, v45, v41, vcc_lo
	flat_load_b32 v44, v[44:45]
	s_waitcnt vmcnt(0) lgkmcnt(0)
	v_mul_f32_e32 v44, s15, v44
	s_branch .LBB69_333
.LBB69_332:
	v_mov_b32_e32 v44, 0
.LBB69_333:
	v_dual_add_f32 v37, v1, v37 :: v_dual_add_f32 v36, v0, v36
	v_dual_add_f32 v39, v3, v39 :: v_dual_add_f32 v38, v2, v38
	s_delay_alu instid0(VALU_DEP_2) | instskip(NEXT) | instid1(VALU_DEP_2)
	v_min3_f32 v36, v36, v37, v89
	v_min_f32_e32 v37, v38, v39
	s_delay_alu instid0(VALU_DEP_1)
	v_min3_f32 v38, v44, v37, v36
	v_add_co_u32 v36, vcc_lo, v42, v40
	v_add_co_ci_u32_e32 v37, vcc_lo, v43, v41, vcc_lo
	global_store_b32 v[36:37], v38, off
.LBB69_334:
	s_or_b32 exec_lo, exec_lo, s8
	v_add_nc_u32_e32 v40, 0xe0, v132
	s_delay_alu instid0(VALU_DEP_1) | instskip(SKIP_2) | instid1(VALU_DEP_3)
	v_mad_i64_i32 v[36:37], null, v40, s18, 0
	v_mad_i64_i32 v[38:39], null, v40, s9, 0
	v_cmp_gt_i32_e64 s8, s17, v40
	v_lshlrev_b64 v[36:37], 2, v[36:37]
	s_delay_alu instid0(VALU_DEP_2) | instskip(NEXT) | instid1(VALU_DEP_3)
	s_and_b32 s9, s0, s8
	v_lshlrev_b64 v[38:39], 2, v[38:39]
	s_delay_alu instid0(VALU_DEP_2) | instskip(NEXT) | instid1(VALU_DEP_3)
	v_add_co_u32 v40, vcc_lo, s12, v36
	v_add_co_ci_u32_e32 v41, vcc_lo, s13, v37, vcc_lo
	s_delay_alu instid0(VALU_DEP_3) | instskip(NEXT) | instid1(VALU_DEP_4)
	v_add_co_u32 v38, vcc_lo, s10, v38
	v_add_co_ci_u32_e32 v39, vcc_lo, s11, v39, vcc_lo
	s_and_saveexec_b32 s0, s9
	s_cbranch_execnz .LBB69_343
; %bb.335:
	s_or_b32 exec_lo, exec_lo, s0
	s_and_b32 s1, s1, s8
	s_delay_alu instid0(SALU_CYCLE_1)
	s_and_saveexec_b32 s0, s1
	s_cbranch_execnz .LBB69_347
.LBB69_336:
	s_or_b32 exec_lo, exec_lo, s0
	s_and_b32 s1, s2, s8
	s_delay_alu instid0(SALU_CYCLE_1)
	s_and_saveexec_b32 s0, s1
	s_cbranch_execnz .LBB69_351
.LBB69_337:
	s_or_b32 exec_lo, exec_lo, s0
	s_and_b32 s1, s3, s8
	s_delay_alu instid0(SALU_CYCLE_1)
	s_and_saveexec_b32 s0, s1
	s_cbranch_execnz .LBB69_355
.LBB69_338:
	s_or_b32 exec_lo, exec_lo, s0
	s_and_b32 s1, s4, s8
	s_delay_alu instid0(SALU_CYCLE_1)
	s_and_saveexec_b32 s0, s1
	s_cbranch_execnz .LBB69_359
.LBB69_339:
	s_or_b32 exec_lo, exec_lo, s0
	s_and_b32 s1, s5, s8
	s_delay_alu instid0(SALU_CYCLE_1)
	s_and_saveexec_b32 s0, s1
	s_cbranch_execnz .LBB69_363
.LBB69_340:
	s_or_b32 exec_lo, exec_lo, s0
	s_and_b32 s1, s6, s8
	s_delay_alu instid0(SALU_CYCLE_1)
	s_and_saveexec_b32 s0, s1
	s_cbranch_execnz .LBB69_367
.LBB69_341:
	s_or_b32 exec_lo, exec_lo, s0
	s_and_b32 s0, s7, s8
	s_delay_alu instid0(SALU_CYCLE_1)
	s_and_saveexec_b32 s1, s0
	s_cbranch_execnz .LBB69_371
.LBB69_342:
	s_nop 0
	s_sendmsg sendmsg(MSG_DEALLOC_VGPRS)
	s_endpgm
.LBB69_343:
	v_cmp_ne_u32_e32 vcc_lo, 1, v121
	v_lshlrev_b64 v[36:37], 2, v[64:65]
	s_cbranch_vccnz .LBB69_345
; %bb.344:
	s_delay_alu instid0(VALU_DEP_1) | instskip(NEXT) | instid1(VALU_DEP_2)
	v_add_co_u32 v42, vcc_lo, v40, v36
	v_add_co_ci_u32_e32 v43, vcc_lo, v41, v37, vcc_lo
	flat_load_b32 v42, v[42:43]
	s_waitcnt vmcnt(0) lgkmcnt(0)
	v_mul_f32_e32 v42, s15, v42
	s_branch .LBB69_346
.LBB69_345:
	v_mov_b32_e32 v42, 0
.LBB69_346:
	v_dual_add_f32 v33, v33, v5 :: v_dual_add_f32 v32, v32, v4
	v_dual_add_f32 v35, v35, v7 :: v_dual_add_f32 v34, v34, v6
	s_delay_alu instid0(VALU_DEP_2) | instskip(NEXT) | instid1(VALU_DEP_2)
	v_min3_f32 v32, v32, v33, v88
	v_min_f32_e32 v33, v34, v35
	s_delay_alu instid0(VALU_DEP_1)
	v_min3_f32 v34, v42, v33, v32
	v_add_co_u32 v32, vcc_lo, v38, v36
	v_add_co_ci_u32_e32 v33, vcc_lo, v39, v37, vcc_lo
	global_store_b32 v[32:33], v34, off
	s_or_b32 exec_lo, exec_lo, s0
	s_and_b32 s1, s1, s8
	s_delay_alu instid0(SALU_CYCLE_1)
	s_and_saveexec_b32 s0, s1
	s_cbranch_execz .LBB69_336
.LBB69_347:
	v_cmp_ne_u32_e32 vcc_lo, 1, v121
	v_lshlrev_b64 v[32:33], 2, v[66:67]
	s_cbranch_vccnz .LBB69_349
; %bb.348:
	s_delay_alu instid0(VALU_DEP_1) | instskip(NEXT) | instid1(VALU_DEP_2)
	v_add_co_u32 v34, vcc_lo, v40, v32
	v_add_co_ci_u32_e32 v35, vcc_lo, v41, v33, vcc_lo
	flat_load_b32 v34, v[34:35]
	s_waitcnt vmcnt(0) lgkmcnt(0)
	v_mul_f32_e32 v34, s15, v34
	s_branch .LBB69_350
.LBB69_349:
	v_mov_b32_e32 v34, 0
.LBB69_350:
	v_dual_add_f32 v29, v29, v5 :: v_dual_add_f32 v28, v28, v4
	v_dual_add_f32 v31, v31, v7 :: v_dual_add_f32 v30, v30, v6
	s_delay_alu instid0(VALU_DEP_2) | instskip(NEXT) | instid1(VALU_DEP_2)
	v_min3_f32 v28, v28, v29, v87
	v_min_f32_e32 v29, v30, v31
	s_delay_alu instid0(VALU_DEP_1)
	v_min3_f32 v30, v34, v29, v28
	v_add_co_u32 v28, vcc_lo, v38, v32
	v_add_co_ci_u32_e32 v29, vcc_lo, v39, v33, vcc_lo
	global_store_b32 v[28:29], v30, off
	s_or_b32 exec_lo, exec_lo, s0
	s_and_b32 s1, s2, s8
	s_delay_alu instid0(SALU_CYCLE_1)
	s_and_saveexec_b32 s0, s1
	s_cbranch_execz .LBB69_337
.LBB69_351:
	v_cmp_ne_u32_e32 vcc_lo, 1, v121
	v_lshlrev_b64 v[28:29], 2, v[68:69]
	s_cbranch_vccnz .LBB69_353
; %bb.352:
	s_delay_alu instid0(VALU_DEP_1) | instskip(NEXT) | instid1(VALU_DEP_2)
	v_add_co_u32 v30, vcc_lo, v40, v28
	v_add_co_ci_u32_e32 v31, vcc_lo, v41, v29, vcc_lo
	flat_load_b32 v30, v[30:31]
	s_waitcnt vmcnt(0) lgkmcnt(0)
	v_mul_f32_e32 v30, s15, v30
	s_branch .LBB69_354
.LBB69_353:
	v_mov_b32_e32 v30, 0
.LBB69_354:
	v_dual_add_f32 v25, v25, v5 :: v_dual_add_f32 v24, v24, v4
	v_dual_add_f32 v27, v27, v7 :: v_dual_add_f32 v26, v26, v6
	s_delay_alu instid0(VALU_DEP_2) | instskip(NEXT) | instid1(VALU_DEP_2)
	v_min3_f32 v24, v24, v25, v86
	v_min_f32_e32 v25, v26, v27
	s_delay_alu instid0(VALU_DEP_1)
	v_min3_f32 v26, v30, v25, v24
	v_add_co_u32 v24, vcc_lo, v38, v28
	v_add_co_ci_u32_e32 v25, vcc_lo, v39, v29, vcc_lo
	global_store_b32 v[24:25], v26, off
	s_or_b32 exec_lo, exec_lo, s0
	s_and_b32 s1, s3, s8
	s_delay_alu instid0(SALU_CYCLE_1)
	s_and_saveexec_b32 s0, s1
	s_cbranch_execz .LBB69_338
.LBB69_355:
	v_cmp_ne_u32_e32 vcc_lo, 1, v121
	v_lshlrev_b64 v[24:25], 2, v[70:71]
	s_cbranch_vccnz .LBB69_357
; %bb.356:
	s_delay_alu instid0(VALU_DEP_1) | instskip(NEXT) | instid1(VALU_DEP_2)
	v_add_co_u32 v26, vcc_lo, v40, v24
	v_add_co_ci_u32_e32 v27, vcc_lo, v41, v25, vcc_lo
	flat_load_b32 v26, v[26:27]
	s_waitcnt vmcnt(0) lgkmcnt(0)
	v_mul_f32_e32 v26, s15, v26
	s_branch .LBB69_358
.LBB69_357:
	v_mov_b32_e32 v26, 0
.LBB69_358:
	v_dual_add_f32 v21, v21, v5 :: v_dual_add_f32 v20, v20, v4
	v_dual_add_f32 v23, v23, v7 :: v_dual_add_f32 v22, v22, v6
	s_delay_alu instid0(VALU_DEP_2) | instskip(NEXT) | instid1(VALU_DEP_2)
	v_min3_f32 v20, v20, v21, v85
	v_min_f32_e32 v21, v22, v23
	s_delay_alu instid0(VALU_DEP_1)
	v_min3_f32 v22, v26, v21, v20
	v_add_co_u32 v20, vcc_lo, v38, v24
	v_add_co_ci_u32_e32 v21, vcc_lo, v39, v25, vcc_lo
	global_store_b32 v[20:21], v22, off
	s_or_b32 exec_lo, exec_lo, s0
	s_and_b32 s1, s4, s8
	s_delay_alu instid0(SALU_CYCLE_1)
	s_and_saveexec_b32 s0, s1
	s_cbranch_execz .LBB69_339
.LBB69_359:
	v_cmp_ne_u32_e32 vcc_lo, 1, v121
	v_lshlrev_b64 v[20:21], 2, v[72:73]
	s_cbranch_vccnz .LBB69_361
; %bb.360:
	s_delay_alu instid0(VALU_DEP_1) | instskip(NEXT) | instid1(VALU_DEP_2)
	v_add_co_u32 v22, vcc_lo, v40, v20
	v_add_co_ci_u32_e32 v23, vcc_lo, v41, v21, vcc_lo
	flat_load_b32 v22, v[22:23]
	s_waitcnt vmcnt(0) lgkmcnt(0)
	v_mul_f32_e32 v22, s15, v22
	s_branch .LBB69_362
.LBB69_361:
	v_mov_b32_e32 v22, 0
.LBB69_362:
	v_dual_add_f32 v17, v17, v5 :: v_dual_add_f32 v16, v16, v4
	v_dual_add_f32 v19, v19, v7 :: v_dual_add_f32 v18, v18, v6
	s_delay_alu instid0(VALU_DEP_2) | instskip(NEXT) | instid1(VALU_DEP_2)
	v_min3_f32 v16, v16, v17, v84
	v_min_f32_e32 v17, v18, v19
	s_delay_alu instid0(VALU_DEP_1)
	v_min3_f32 v18, v22, v17, v16
	v_add_co_u32 v16, vcc_lo, v38, v20
	v_add_co_ci_u32_e32 v17, vcc_lo, v39, v21, vcc_lo
	global_store_b32 v[16:17], v18, off
	s_or_b32 exec_lo, exec_lo, s0
	s_and_b32 s1, s5, s8
	s_delay_alu instid0(SALU_CYCLE_1)
	s_and_saveexec_b32 s0, s1
	s_cbranch_execz .LBB69_340
.LBB69_363:
	v_cmp_ne_u32_e32 vcc_lo, 1, v121
	v_lshlrev_b64 v[16:17], 2, v[74:75]
	s_cbranch_vccnz .LBB69_365
; %bb.364:
	s_delay_alu instid0(VALU_DEP_1) | instskip(NEXT) | instid1(VALU_DEP_2)
	v_add_co_u32 v18, vcc_lo, v40, v16
	v_add_co_ci_u32_e32 v19, vcc_lo, v41, v17, vcc_lo
	flat_load_b32 v18, v[18:19]
	s_waitcnt vmcnt(0) lgkmcnt(0)
	v_mul_f32_e32 v18, s15, v18
	s_branch .LBB69_366
.LBB69_365:
	v_mov_b32_e32 v18, 0
.LBB69_366:
	v_dual_add_f32 v13, v13, v5 :: v_dual_add_f32 v12, v12, v4
	v_dual_add_f32 v15, v15, v7 :: v_dual_add_f32 v14, v14, v6
	s_delay_alu instid0(VALU_DEP_2) | instskip(NEXT) | instid1(VALU_DEP_2)
	v_min3_f32 v12, v12, v13, v83
	v_min_f32_e32 v13, v14, v15
	s_delay_alu instid0(VALU_DEP_1)
	v_min3_f32 v14, v18, v13, v12
	v_add_co_u32 v12, vcc_lo, v38, v16
	v_add_co_ci_u32_e32 v13, vcc_lo, v39, v17, vcc_lo
	global_store_b32 v[12:13], v14, off
	s_or_b32 exec_lo, exec_lo, s0
	s_and_b32 s1, s6, s8
	s_delay_alu instid0(SALU_CYCLE_1)
	s_and_saveexec_b32 s0, s1
	s_cbranch_execz .LBB69_341
.LBB69_367:
	v_cmp_ne_u32_e32 vcc_lo, 1, v121
	v_lshlrev_b64 v[12:13], 2, v[76:77]
	s_cbranch_vccnz .LBB69_369
; %bb.368:
	s_delay_alu instid0(VALU_DEP_1) | instskip(NEXT) | instid1(VALU_DEP_2)
	v_add_co_u32 v14, vcc_lo, v40, v12
	v_add_co_ci_u32_e32 v15, vcc_lo, v41, v13, vcc_lo
	flat_load_b32 v14, v[14:15]
	s_waitcnt vmcnt(0) lgkmcnt(0)
	v_mul_f32_e32 v14, s15, v14
	s_branch .LBB69_370
.LBB69_369:
	v_mov_b32_e32 v14, 0
.LBB69_370:
	v_dual_add_f32 v9, v9, v5 :: v_dual_add_f32 v8, v8, v4
	v_dual_add_f32 v11, v11, v7 :: v_dual_add_f32 v10, v10, v6
	s_delay_alu instid0(VALU_DEP_2) | instskip(NEXT) | instid1(VALU_DEP_2)
	v_min3_f32 v8, v8, v9, v82
	v_min_f32_e32 v9, v10, v11
	s_delay_alu instid0(VALU_DEP_1)
	v_min3_f32 v10, v14, v9, v8
	v_add_co_u32 v8, vcc_lo, v38, v12
	v_add_co_ci_u32_e32 v9, vcc_lo, v39, v13, vcc_lo
	global_store_b32 v[8:9], v10, off
	s_or_b32 exec_lo, exec_lo, s0
	s_and_b32 s0, s7, s8
	s_delay_alu instid0(SALU_CYCLE_1)
	s_and_saveexec_b32 s1, s0
	s_cbranch_execz .LBB69_342
.LBB69_371:
	v_cmp_ne_u32_e32 vcc_lo, 1, v121
	v_lshlrev_b64 v[8:9], 2, v[78:79]
	s_cbranch_vccnz .LBB69_373
; %bb.372:
	s_delay_alu instid0(VALU_DEP_1) | instskip(NEXT) | instid1(VALU_DEP_2)
	v_add_co_u32 v10, vcc_lo, v40, v8
	v_add_co_ci_u32_e32 v11, vcc_lo, v41, v9, vcc_lo
	flat_load_b32 v10, v[10:11]
	s_waitcnt vmcnt(0) lgkmcnt(0)
	v_mul_f32_e32 v10, s15, v10
	s_branch .LBB69_374
.LBB69_373:
	v_mov_b32_e32 v10, 0
.LBB69_374:
	v_dual_add_f32 v1, v1, v5 :: v_dual_add_f32 v0, v0, v4
	v_dual_add_f32 v3, v3, v7 :: v_dual_add_f32 v2, v2, v6
	s_delay_alu instid0(VALU_DEP_2) | instskip(NEXT) | instid1(VALU_DEP_2)
	v_min3_f32 v0, v0, v1, v92
	v_min_f32_e32 v1, v2, v3
	s_delay_alu instid0(VALU_DEP_1)
	v_min3_f32 v2, v10, v1, v0
	v_add_co_u32 v0, vcc_lo, v38, v8
	v_add_co_ci_u32_e32 v1, vcc_lo, v39, v9, vcc_lo
	global_store_b32 v[0:1], v2, off
	s_nop 0
	s_sendmsg sendmsg(MSG_DEALLOC_VGPRS)
	s_endpgm
	.section	.rodata,"a",@progbits
	.p2align	6, 0x0
	.amdhsa_kernel _ZN12_GLOBAL__N_120geam_min_plus_kernelIf15HIP_vector_typeIfLj2EEfLi8ELi32ELi64ELi256ELi4ELi64ELi4ELi64ELi4ELc78ELc84ELb0ELb1ELb1EPKfS3_fEEviiiT16_PT17_ilS7_ilS5_S7_ilPT18_ili26rocblas_geam_ex_operation_
		.amdhsa_group_segment_fixed_size 10240
		.amdhsa_private_segment_fixed_size 0
		.amdhsa_kernarg_size 136
		.amdhsa_user_sgpr_count 14
		.amdhsa_user_sgpr_dispatch_ptr 0
		.amdhsa_user_sgpr_queue_ptr 0
		.amdhsa_user_sgpr_kernarg_segment_ptr 1
		.amdhsa_user_sgpr_dispatch_id 0
		.amdhsa_user_sgpr_private_segment_size 0
		.amdhsa_wavefront_size32 1
		.amdhsa_uses_dynamic_stack 0
		.amdhsa_enable_private_segment 0
		.amdhsa_system_sgpr_workgroup_id_x 1
		.amdhsa_system_sgpr_workgroup_id_y 0
		.amdhsa_system_sgpr_workgroup_id_z 1
		.amdhsa_system_sgpr_workgroup_info 0
		.amdhsa_system_vgpr_workitem_id 1
		.amdhsa_next_free_vgpr 200
		.amdhsa_next_free_sgpr 34
		.amdhsa_reserve_vcc 1
		.amdhsa_float_round_mode_32 0
		.amdhsa_float_round_mode_16_64 0
		.amdhsa_float_denorm_mode_32 3
		.amdhsa_float_denorm_mode_16_64 3
		.amdhsa_dx10_clamp 1
		.amdhsa_ieee_mode 1
		.amdhsa_fp16_overflow 0
		.amdhsa_workgroup_processor_mode 1
		.amdhsa_memory_ordered 1
		.amdhsa_forward_progress 0
		.amdhsa_shared_vgpr_count 0
		.amdhsa_exception_fp_ieee_invalid_op 0
		.amdhsa_exception_fp_denorm_src 0
		.amdhsa_exception_fp_ieee_div_zero 0
		.amdhsa_exception_fp_ieee_overflow 0
		.amdhsa_exception_fp_ieee_underflow 0
		.amdhsa_exception_fp_ieee_inexact 0
		.amdhsa_exception_int_div_zero 0
	.end_amdhsa_kernel
	.section	.text._ZN12_GLOBAL__N_120geam_min_plus_kernelIf15HIP_vector_typeIfLj2EEfLi8ELi32ELi64ELi256ELi4ELi64ELi4ELi64ELi4ELc78ELc84ELb0ELb1ELb1EPKfS3_fEEviiiT16_PT17_ilS7_ilS5_S7_ilPT18_ili26rocblas_geam_ex_operation_,"axG",@progbits,_ZN12_GLOBAL__N_120geam_min_plus_kernelIf15HIP_vector_typeIfLj2EEfLi8ELi32ELi64ELi256ELi4ELi64ELi4ELi64ELi4ELc78ELc84ELb0ELb1ELb1EPKfS3_fEEviiiT16_PT17_ilS7_ilS5_S7_ilPT18_ili26rocblas_geam_ex_operation_,comdat
.Lfunc_end69:
	.size	_ZN12_GLOBAL__N_120geam_min_plus_kernelIf15HIP_vector_typeIfLj2EEfLi8ELi32ELi64ELi256ELi4ELi64ELi4ELi64ELi4ELc78ELc84ELb0ELb1ELb1EPKfS3_fEEviiiT16_PT17_ilS7_ilS5_S7_ilPT18_ili26rocblas_geam_ex_operation_, .Lfunc_end69-_ZN12_GLOBAL__N_120geam_min_plus_kernelIf15HIP_vector_typeIfLj2EEfLi8ELi32ELi64ELi256ELi4ELi64ELi4ELi64ELi4ELc78ELc84ELb0ELb1ELb1EPKfS3_fEEviiiT16_PT17_ilS7_ilS5_S7_ilPT18_ili26rocblas_geam_ex_operation_
                                        ; -- End function
	.section	.AMDGPU.csdata,"",@progbits
; Kernel info:
; codeLenInByte = 21156
; NumSgprs: 36
; NumVgprs: 200
; ScratchSize: 0
; MemoryBound: 0
; FloatMode: 240
; IeeeMode: 1
; LDSByteSize: 10240 bytes/workgroup (compile time only)
; SGPRBlocks: 4
; VGPRBlocks: 24
; NumSGPRsForWavesPerEU: 36
; NumVGPRsForWavesPerEU: 200
; Occupancy: 7
; WaveLimiterHint : 0
; COMPUTE_PGM_RSRC2:SCRATCH_EN: 0
; COMPUTE_PGM_RSRC2:USER_SGPR: 14
; COMPUTE_PGM_RSRC2:TRAP_HANDLER: 0
; COMPUTE_PGM_RSRC2:TGID_X_EN: 1
; COMPUTE_PGM_RSRC2:TGID_Y_EN: 0
; COMPUTE_PGM_RSRC2:TGID_Z_EN: 1
; COMPUTE_PGM_RSRC2:TIDIG_COMP_CNT: 1
	.section	.text._ZN12_GLOBAL__N_120geam_min_plus_kernelIf15HIP_vector_typeIfLj2EEfLi8ELi32ELi64ELi256ELi4ELi64ELi4ELi64ELi4ELc78ELc84ELb1ELb1ELb1EfKffEEviiiT16_PT17_ilS6_ilS4_S6_ilPT18_ili26rocblas_geam_ex_operation_,"axG",@progbits,_ZN12_GLOBAL__N_120geam_min_plus_kernelIf15HIP_vector_typeIfLj2EEfLi8ELi32ELi64ELi256ELi4ELi64ELi4ELi64ELi4ELc78ELc84ELb1ELb1ELb1EfKffEEviiiT16_PT17_ilS6_ilS4_S6_ilPT18_ili26rocblas_geam_ex_operation_,comdat
	.globl	_ZN12_GLOBAL__N_120geam_min_plus_kernelIf15HIP_vector_typeIfLj2EEfLi8ELi32ELi64ELi256ELi4ELi64ELi4ELi64ELi4ELc78ELc84ELb1ELb1ELb1EfKffEEviiiT16_PT17_ilS6_ilS4_S6_ilPT18_ili26rocblas_geam_ex_operation_ ; -- Begin function _ZN12_GLOBAL__N_120geam_min_plus_kernelIf15HIP_vector_typeIfLj2EEfLi8ELi32ELi64ELi256ELi4ELi64ELi4ELi64ELi4ELc78ELc84ELb1ELb1ELb1EfKffEEviiiT16_PT17_ilS6_ilS4_S6_ilPT18_ili26rocblas_geam_ex_operation_
	.p2align	8
	.type	_ZN12_GLOBAL__N_120geam_min_plus_kernelIf15HIP_vector_typeIfLj2EEfLi8ELi32ELi64ELi256ELi4ELi64ELi4ELi64ELi4ELc78ELc84ELb1ELb1ELb1EfKffEEviiiT16_PT17_ilS6_ilS4_S6_ilPT18_ili26rocblas_geam_ex_operation_,@function
_ZN12_GLOBAL__N_120geam_min_plus_kernelIf15HIP_vector_typeIfLj2EEfLi8ELi32ELi64ELi256ELi4ELi64ELi4ELi64ELi4ELc78ELc84ELb1ELb1ELb1EfKffEEviiiT16_PT17_ilS6_ilS4_S6_ilPT18_ili26rocblas_geam_ex_operation_: ; @_ZN12_GLOBAL__N_120geam_min_plus_kernelIf15HIP_vector_typeIfLj2EEfLi8ELi32ELi64ELi256ELi4ELi64ELi4ELi64ELi4ELc78ELc84ELb1ELb1ELb1EfKffEEviiiT16_PT17_ilS6_ilS4_S6_ilPT18_ili26rocblas_geam_ex_operation_
; %bb.0:
	s_clause 0x1
	s_load_b128 s[16:19], s[0:1], 0x0
	s_load_b128 s[4:7], s[0:1], 0x20
	s_waitcnt lgkmcnt(0)
	v_cmp_eq_f32_e64 s2, s19, 0
	s_delay_alu instid0(VALU_DEP_1)
	s_and_b32 vcc_lo, exec_lo, s2
	s_cbranch_vccnz .LBB70_3
; %bb.1:
	s_load_b64 s[8:9], s[0:1], 0x10
	s_mul_i32 s3, s15, s5
	s_mul_hi_u32 s5, s15, s4
	s_mul_i32 s4, s15, s4
	s_add_i32 s5, s5, s3
	s_delay_alu instid0(SALU_CYCLE_1)
	s_lshl_b64 s[4:5], s[4:5], 2
	s_waitcnt lgkmcnt(0)
	s_add_u32 s20, s8, s4
	s_addc_u32 s21, s9, s5
	s_and_not1_b32 vcc_lo, exec_lo, s2
	s_cbranch_vccnz .LBB70_4
.LBB70_2:
	s_mov_b32 s27, 0
	s_mov_b64 s[22:23], 0
	s_cbranch_execz .LBB70_5
	s_branch .LBB70_6
.LBB70_3:
	s_mov_b64 s[20:21], 0
	s_and_not1_b32 vcc_lo, exec_lo, s2
	s_cbranch_vccz .LBB70_2
.LBB70_4:
	s_mov_b32 s27, -1
                                        ; implicit-def: $sgpr22_sgpr23
.LBB70_5:
	s_load_b64 s[2:3], s[0:1], 0x38
	s_mov_b32 s27, 0
	s_waitcnt lgkmcnt(0)
	s_mul_i32 s3, s15, s3
	s_mul_hi_u32 s4, s15, s2
	s_mul_i32 s2, s15, s2
	s_add_i32 s3, s4, s3
	s_delay_alu instid0(SALU_CYCLE_1) | instskip(NEXT) | instid1(SALU_CYCLE_1)
	s_lshl_b64 s[2:3], s[2:3], 2
	s_add_u32 s22, s6, s2
	s_addc_u32 s23, s7, s3
.LBB70_6:
	s_clause 0x1
	s_load_b32 s19, s[0:1], 0x40
	s_load_b128 s[8:11], s[0:1], 0x58
	s_waitcnt lgkmcnt(0)
	v_cmp_eq_f32_e64 s2, s19, 0
	v_cmp_neq_f32_e64 s26, s19, 0
	s_delay_alu instid0(VALU_DEP_2)
	s_and_b32 vcc_lo, exec_lo, s2
	s_cbranch_vccnz .LBB70_8
; %bb.7:
	s_load_b64 s[2:3], s[0:1], 0x48
	s_mul_i32 s4, s15, s9
	s_mul_hi_u32 s5, s15, s8
	s_delay_alu instid0(SALU_CYCLE_1) | instskip(SKIP_1) | instid1(SALU_CYCLE_1)
	s_add_i32 s4, s5, s4
	s_mul_i32 s5, s27, s8
	s_add_i32 s5, s4, s5
	s_mul_i32 s4, s15, s8
	s_delay_alu instid0(SALU_CYCLE_1)
	s_lshl_b64 s[4:5], s[4:5], 2
	s_waitcnt lgkmcnt(0)
	s_add_u32 s12, s2, s4
	s_addc_u32 s13, s3, s5
	s_branch .LBB70_9
.LBB70_8:
	s_mov_b64 s[12:13], 0
.LBB70_9:
	s_add_i32 s2, s16, -1
	s_load_b32 s8, s[0:1], 0x18
	s_ashr_i32 s3, s2, 31
	v_and_b32_e32 v72, 0x3ff, v0
	s_lshr_b32 s3, s3, 26
	v_bfe_u32 v73, v0, 10, 10
	s_add_i32 s2, s2, s3
	v_mov_b32_e32 v2, 0x7f7fffff
	s_ashr_i32 s2, s2, 6
	s_delay_alu instid0(SALU_CYCLE_1) | instskip(SKIP_2) | instid1(VALU_DEP_1)
	s_add_i32 s4, s2, 1
	s_not_b32 s2, s2
	v_cvt_f32_u32_e32 v1, s4
	v_rcp_iflag_f32_e32 v1, v1
	s_waitcnt lgkmcnt(0)
	s_ashr_i32 s9, s8, 31
	s_waitcnt_depctr 0xfff
	v_mul_f32_e32 v1, 0x4f7ffffe, v1
	s_delay_alu instid0(VALU_DEP_1) | instskip(NEXT) | instid1(VALU_DEP_1)
	v_cvt_u32_f32_e32 v1, v1
	v_readfirstlane_b32 s3, v1
	v_lshl_add_u32 v1, v73, 3, v72
	s_delay_alu instid0(VALU_DEP_2) | instskip(NEXT) | instid1(VALU_DEP_1)
	s_mul_i32 s2, s2, s3
	v_and_b32_e32 v0, 63, v1
	s_mul_hi_u32 s2, s3, s2
	v_lshrrev_b32_e32 v74, 6, v1
	v_mov_b32_e32 v1, 0x7f7fffff
	s_add_i32 s3, s3, s2
	s_delay_alu instid0(SALU_CYCLE_1) | instskip(NEXT) | instid1(SALU_CYCLE_1)
	s_mul_hi_u32 s2, s14, s3
	s_mul_i32 s3, s2, s4
	s_add_i32 s5, s2, 1
	s_sub_i32 s3, s14, s3
	s_delay_alu instid0(SALU_CYCLE_1)
	s_sub_i32 s6, s3, s4
	s_cmp_ge_u32 s3, s4
	s_cselect_b32 s2, s5, s2
	s_cselect_b32 s3, s6, s3
	s_add_i32 s5, s2, 1
	s_cmp_ge_u32 s3, s4
	v_cmp_le_i32_e64 s6, s18, v74
	s_cselect_b32 s3, s5, s2
	s_delay_alu instid0(SALU_CYCLE_1) | instskip(NEXT) | instid1(SALU_CYCLE_1)
	s_mul_i32 s2, s3, s4
	s_sub_i32 s2, s14, s2
	s_delay_alu instid0(SALU_CYCLE_1) | instskip(NEXT) | instid1(SALU_CYCLE_1)
	s_lshl_b32 s14, s2, 6
	v_or_b32_e32 v64, s14, v0
	s_delay_alu instid0(VALU_DEP_1) | instskip(SKIP_2) | instid1(SALU_CYCLE_1)
	v_cmp_le_i32_e32 vcc_lo, s16, v64
	v_ashrrev_i32_e32 v65, 31, v64
	s_or_b32 s2, vcc_lo, s6
	s_xor_b32 s2, s2, -1
	s_delay_alu instid0(SALU_CYCLE_1)
	s_and_saveexec_b32 s4, s2
	s_cbranch_execz .LBB70_11
; %bb.10:
	v_mad_i64_i32 v[2:3], null, s8, v74, 0
	v_lshlrev_b64 v[4:5], 2, v[64:65]
	s_delay_alu instid0(VALU_DEP_2) | instskip(NEXT) | instid1(VALU_DEP_1)
	v_lshlrev_b64 v[2:3], 2, v[2:3]
	v_add_co_u32 v2, s2, s20, v2
	s_delay_alu instid0(VALU_DEP_1) | instskip(NEXT) | instid1(VALU_DEP_2)
	v_add_co_ci_u32_e64 v3, s2, s21, v3, s2
	v_add_co_u32 v2, s2, v2, v4
	s_delay_alu instid0(VALU_DEP_1)
	v_add_co_ci_u32_e64 v3, s2, v3, v5, s2
	flat_load_b32 v2, v[2:3]
.LBB70_11:
	s_or_b32 exec_lo, exec_lo, s4
	s_load_b32 s24, s[0:1], 0x30
	s_lshl_b32 s28, s3, 8
	s_delay_alu instid0(SALU_CYCLE_1) | instskip(NEXT) | instid1(VALU_DEP_1)
	v_or_b32_e32 v66, s28, v0
	v_cmp_le_i32_e64 s2, s17, v66
	v_ashrrev_i32_e32 v67, 31, v66
	s_waitcnt lgkmcnt(0)
	v_mad_i64_i32 v[3:4], null, v74, s24, 0
	s_delay_alu instid0(VALU_DEP_1) | instskip(NEXT) | instid1(VALU_DEP_1)
	v_lshlrev_b64 v[3:4], 2, v[3:4]
	v_add_co_u32 v6, s3, s22, v3
	s_delay_alu instid0(VALU_DEP_1) | instskip(SKIP_1) | instid1(SALU_CYCLE_1)
	v_add_co_ci_u32_e64 v7, s3, s23, v4, s3
	s_or_b32 s3, s2, s6
	s_xor_b32 s3, s3, -1
	s_delay_alu instid0(SALU_CYCLE_1)
	s_and_saveexec_b32 s4, s3
	s_cbranch_execz .LBB70_13
; %bb.12:
	v_lshlrev_b64 v[3:4], 2, v[66:67]
	s_delay_alu instid0(VALU_DEP_1) | instskip(NEXT) | instid1(VALU_DEP_1)
	v_add_co_u32 v3, s3, v6, v3
	v_add_co_ci_u32_e64 v4, s3, v7, v4, s3
	flat_load_b32 v1, v[3:4]
.LBB70_13:
	s_or_b32 exec_lo, exec_lo, s4
	v_or_b32_e32 v3, 64, v66
	v_mov_b32_e32 v4, 0x7f7fffff
	s_delay_alu instid0(VALU_DEP_2) | instskip(SKIP_1) | instid1(VALU_DEP_2)
	v_cmp_le_i32_e64 s3, s17, v3
	v_mov_b32_e32 v3, 0x7f7fffff
	s_or_b32 s4, s3, s6
	s_delay_alu instid0(SALU_CYCLE_1) | instskip(NEXT) | instid1(SALU_CYCLE_1)
	s_xor_b32 s4, s4, -1
	s_and_saveexec_b32 s5, s4
	s_cbranch_execz .LBB70_15
; %bb.14:
	v_lshlrev_b64 v[4:5], 2, v[66:67]
	s_delay_alu instid0(VALU_DEP_1) | instskip(NEXT) | instid1(VALU_DEP_1)
	v_add_co_u32 v4, s4, v6, v4
	v_add_co_ci_u32_e64 v5, s4, v7, v5, s4
	flat_load_b32 v4, v[4:5] offset:256
.LBB70_15:
	s_or_b32 exec_lo, exec_lo, s5
	v_or_b32_e32 v5, 0x80, v66
	s_ashr_i32 s25, s24, 31
	s_delay_alu instid0(VALU_DEP_1) | instskip(NEXT) | instid1(VALU_DEP_1)
	v_cmp_le_i32_e64 s4, s17, v5
	s_or_b32 s5, s4, s6
	s_delay_alu instid0(SALU_CYCLE_1) | instskip(NEXT) | instid1(SALU_CYCLE_1)
	s_xor_b32 s5, s5, -1
	s_and_saveexec_b32 s7, s5
	s_cbranch_execz .LBB70_17
; %bb.16:
	v_lshlrev_b64 v[8:9], 2, v[66:67]
	s_delay_alu instid0(VALU_DEP_1) | instskip(NEXT) | instid1(VALU_DEP_1)
	v_add_co_u32 v8, s5, v6, v8
	v_add_co_ci_u32_e64 v9, s5, v7, v9, s5
	flat_load_b32 v3, v[8:9] offset:512
.LBB70_17:
	s_or_b32 exec_lo, exec_lo, s7
	v_or_b32_e32 v5, 0xc0, v66
	v_mov_b32_e32 v68, 0x7f7fffff
	s_delay_alu instid0(VALU_DEP_2) | instskip(SKIP_1) | instid1(VALU_DEP_2)
	v_cmp_le_i32_e64 s5, s17, v5
	v_mov_b32_e32 v5, 0x7f7fffff
	s_or_b32 s6, s5, s6
	s_delay_alu instid0(SALU_CYCLE_1) | instskip(NEXT) | instid1(SALU_CYCLE_1)
	s_xor_b32 s6, s6, -1
	s_and_saveexec_b32 s7, s6
	s_cbranch_execz .LBB70_19
; %bb.18:
	v_lshlrev_b64 v[8:9], 2, v[66:67]
	s_delay_alu instid0(VALU_DEP_1) | instskip(NEXT) | instid1(VALU_DEP_1)
	v_add_co_u32 v5, s6, v6, v8
	v_add_co_ci_u32_e64 v6, s6, v7, v9, s6
	flat_load_b32 v5, v[5:6] offset:768
.LBB70_19:
	s_or_b32 exec_lo, exec_lo, s7
	v_add_nc_u32_e32 v6, 4, v74
	s_delay_alu instid0(VALU_DEP_1) | instskip(NEXT) | instid1(VALU_DEP_1)
	v_cmp_le_i32_e64 s6, s18, v6
	s_or_b32 s7, vcc_lo, s6
	s_delay_alu instid0(SALU_CYCLE_1) | instskip(NEXT) | instid1(SALU_CYCLE_1)
	s_xor_b32 s7, s7, -1
	s_and_saveexec_b32 s29, s7
	s_cbranch_execz .LBB70_21
; %bb.20:
	v_mad_i64_i32 v[7:8], null, s8, v6, 0
	v_lshlrev_b64 v[9:10], 2, v[64:65]
	s_delay_alu instid0(VALU_DEP_2) | instskip(NEXT) | instid1(VALU_DEP_1)
	v_lshlrev_b64 v[7:8], 2, v[7:8]
	v_add_co_u32 v7, s7, s20, v7
	s_delay_alu instid0(VALU_DEP_1) | instskip(NEXT) | instid1(VALU_DEP_2)
	v_add_co_ci_u32_e64 v8, s7, s21, v8, s7
	v_add_co_u32 v7, s7, v7, v9
	s_delay_alu instid0(VALU_DEP_1)
	v_add_co_ci_u32_e64 v8, s7, v8, v10, s7
	flat_load_b32 v68, v[7:8]
.LBB70_21:
	s_or_b32 exec_lo, exec_lo, s29
	v_mad_i64_i32 v[7:8], null, v6, s24, 0
	v_dual_mov_b32 v69, 0x7f7fffff :: v_dual_mov_b32 v70, 0x7f7fffff
	s_delay_alu instid0(VALU_DEP_2) | instskip(NEXT) | instid1(VALU_DEP_1)
	v_lshlrev_b64 v[6:7], 2, v[7:8]
	v_add_co_u32 v6, s7, s22, v6
	s_delay_alu instid0(VALU_DEP_1) | instskip(SKIP_1) | instid1(SALU_CYCLE_1)
	v_add_co_ci_u32_e64 v7, s7, s23, v7, s7
	s_or_b32 s7, s2, s6
	s_xor_b32 s7, s7, -1
	s_delay_alu instid0(SALU_CYCLE_1)
	s_and_saveexec_b32 s29, s7
	s_cbranch_execz .LBB70_23
; %bb.22:
	v_lshlrev_b64 v[8:9], 2, v[66:67]
	s_delay_alu instid0(VALU_DEP_1) | instskip(NEXT) | instid1(VALU_DEP_1)
	v_add_co_u32 v8, s7, v6, v8
	v_add_co_ci_u32_e64 v9, s7, v7, v9, s7
	flat_load_b32 v70, v[8:9]
.LBB70_23:
	s_or_b32 exec_lo, exec_lo, s29
	s_or_b32 s7, s3, s6
	s_delay_alu instid0(SALU_CYCLE_1) | instskip(NEXT) | instid1(SALU_CYCLE_1)
	s_xor_b32 s7, s7, -1
	s_and_saveexec_b32 s29, s7
	s_cbranch_execz .LBB70_25
; %bb.24:
	v_lshlrev_b64 v[8:9], 2, v[66:67]
	s_delay_alu instid0(VALU_DEP_1) | instskip(NEXT) | instid1(VALU_DEP_1)
	v_add_co_u32 v8, s7, v6, v8
	v_add_co_ci_u32_e64 v9, s7, v7, v9, s7
	flat_load_b32 v69, v[8:9] offset:256
.LBB70_25:
	s_or_b32 exec_lo, exec_lo, s29
	v_mov_b32_e32 v71, 0x7f7fffff
	v_mov_b32_e32 v121, 0x7f7fffff
	s_or_b32 s7, s4, s6
	s_delay_alu instid0(SALU_CYCLE_1) | instskip(NEXT) | instid1(SALU_CYCLE_1)
	s_xor_b32 s7, s7, -1
	s_and_saveexec_b32 s29, s7
	s_cbranch_execz .LBB70_27
; %bb.26:
	v_lshlrev_b64 v[8:9], 2, v[66:67]
	s_delay_alu instid0(VALU_DEP_1) | instskip(NEXT) | instid1(VALU_DEP_1)
	v_add_co_u32 v8, s7, v6, v8
	v_add_co_ci_u32_e64 v9, s7, v7, v9, s7
	flat_load_b32 v121, v[8:9] offset:512
.LBB70_27:
	s_or_b32 exec_lo, exec_lo, s29
	s_or_b32 s6, s5, s6
	s_delay_alu instid0(SALU_CYCLE_1) | instskip(NEXT) | instid1(SALU_CYCLE_1)
	s_xor_b32 s6, s6, -1
	s_and_saveexec_b32 s7, s6
	s_cbranch_execz .LBB70_29
; %bb.28:
	v_lshlrev_b64 v[8:9], 2, v[66:67]
	s_delay_alu instid0(VALU_DEP_1) | instskip(NEXT) | instid1(VALU_DEP_1)
	v_add_co_u32 v6, s6, v6, v8
	v_add_co_ci_u32_e64 v7, s6, v7, v9, s6
	flat_load_b32 v71, v[6:7] offset:768
.LBB70_29:
	s_or_b32 exec_lo, exec_lo, s7
	v_lshlrev_b32_e32 v6, 2, v74
	v_lshlrev_b32_e32 v75, 4, v72
	s_cmp_lt_i32 s18, 9
	s_delay_alu instid0(VALU_DEP_2)
	v_lshl_add_u32 v77, v0, 4, v6
	s_waitcnt vmcnt(0)
	ds_store_b32 v77, v2 offset:8192
	s_waitcnt lgkmcnt(1)
	ds_store_2addr_stride64_b32 v77, v1, v4 offset1:4
	ds_store_2addr_stride64_b32 v77, v3, v5 offset0:8 offset1:12
	s_waitcnt lgkmcnt(0)
	s_barrier
	buffer_gl0_inv
	ds_load_b128 v[32:35], v75 offset:8192
	ds_load_b128 v[28:31], v75 offset:8320
	;; [unrolled: 1-line block ×8, first 2 shown]
	v_lshlrev_b32_e32 v76, 4, v73
	ds_load_b128 v[60:63], v76
	ds_load_b128 v[56:59], v76 offset:512
	ds_load_b128 v[52:55], v76 offset:1024
	;; [unrolled: 1-line block ×7, first 2 shown]
	ds_store_b32 v77, v68 offset:9216
	ds_store_2addr_stride64_b32 v77, v70, v69 offset0:16 offset1:20
	ds_store_2addr_stride64_b32 v77, v121, v71 offset0:24 offset1:28
	s_waitcnt lgkmcnt(0)
	s_barrier
	buffer_gl0_inv
	v_dual_add_f32 v81, v24, v60 :: v_dual_add_f32 v78, v33, v61
	v_add_f32_e32 v79, v32, v60
	v_add_f32_e32 v80, v28, v60
	;; [unrolled: 1-line block ×5, first 2 shown]
	v_min3_f32 v78, v79, v78, 0x7f7fffff
	v_add_f32_e32 v79, v29, v61
	s_delay_alu instid0(VALU_DEP_1) | instskip(SKIP_1) | instid1(VALU_DEP_1)
	v_min3_f32 v79, v80, v79, 0x7f7fffff
	v_add_f32_e32 v80, v25, v61
	v_min3_f32 v80, v81, v80, 0x7f7fffff
	v_add_f32_e32 v81, v21, v61
	s_delay_alu instid0(VALU_DEP_1) | instskip(SKIP_1) | instid1(VALU_DEP_1)
	v_min3_f32 v81, v82, v81, 0x7f7fffff
	v_add_f32_e32 v82, v17, v61
	v_min3_f32 v117, v83, v82, 0x7f7fffff
	v_dual_add_f32 v83, v12, v60 :: v_dual_add_f32 v82, v13, v61
	s_delay_alu instid0(VALU_DEP_1) | instskip(SKIP_2) | instid1(VALU_DEP_1)
	v_min3_f32 v118, v83, v82, 0x7f7fffff
	v_dual_add_f32 v83, v8, v60 :: v_dual_add_f32 v82, v9, v61
	v_dual_add_f32 v61, v1, v61 :: v_dual_add_f32 v60, v0, v60
	v_min3_f32 v120, v60, v61, 0x7f7fffff
	v_dual_add_f32 v60, v33, v57 :: v_dual_add_f32 v61, v32, v56
	s_delay_alu instid0(VALU_DEP_4) | instskip(NEXT) | instid1(VALU_DEP_2)
	v_min3_f32 v119, v83, v82, 0x7f7fffff
	v_min3_f32 v116, v61, v60, 0x7f7fffff
	v_dual_add_f32 v61, v28, v56 :: v_dual_add_f32 v60, v29, v57
	s_delay_alu instid0(VALU_DEP_1) | instskip(SKIP_1) | instid1(VALU_DEP_1)
	v_min3_f32 v115, v61, v60, 0x7f7fffff
	v_dual_add_f32 v61, v24, v56 :: v_dual_add_f32 v60, v25, v57
	v_min3_f32 v114, v61, v60, 0x7f7fffff
	v_dual_add_f32 v61, v20, v56 :: v_dual_add_f32 v60, v21, v57
	s_delay_alu instid0(VALU_DEP_1) | instskip(SKIP_1) | instid1(VALU_DEP_1)
	v_min3_f32 v113, v61, v60, 0x7f7fffff
	v_dual_add_f32 v61, v16, v56 :: v_dual_add_f32 v60, v17, v57
	v_min3_f32 v112, v61, v60, 0x7f7fffff
	v_dual_add_f32 v61, v12, v56 :: v_dual_add_f32 v60, v13, v57
	s_delay_alu instid0(VALU_DEP_1) | instskip(SKIP_2) | instid1(VALU_DEP_1)
	v_min3_f32 v111, v61, v60, 0x7f7fffff
	v_dual_add_f32 v61, v8, v56 :: v_dual_add_f32 v60, v9, v57
	v_dual_add_f32 v57, v1, v57 :: v_dual_add_f32 v56, v0, v56
	v_min3_f32 v109, v56, v57, 0x7f7fffff
	v_dual_add_f32 v56, v33, v53 :: v_dual_add_f32 v57, v32, v52
	s_delay_alu instid0(VALU_DEP_4) | instskip(NEXT) | instid1(VALU_DEP_2)
	v_min3_f32 v110, v61, v60, 0x7f7fffff
	v_min3_f32 v108, v57, v56, 0x7f7fffff
	v_dual_add_f32 v57, v28, v52 :: v_dual_add_f32 v56, v29, v53
	s_delay_alu instid0(VALU_DEP_1) | instskip(SKIP_1) | instid1(VALU_DEP_1)
	v_min3_f32 v107, v57, v56, 0x7f7fffff
	v_dual_add_f32 v57, v24, v52 :: v_dual_add_f32 v56, v25, v53
	v_min3_f32 v106, v57, v56, 0x7f7fffff
	v_dual_add_f32 v57, v20, v52 :: v_dual_add_f32 v56, v21, v53
	s_delay_alu instid0(VALU_DEP_1) | instskip(SKIP_1) | instid1(VALU_DEP_1)
	v_min3_f32 v105, v57, v56, 0x7f7fffff
	v_dual_add_f32 v57, v16, v52 :: v_dual_add_f32 v56, v17, v53
	;; [unrolled: 20-line block ×5, first 2 shown]
	v_min3_f32 v60, v45, v44, 0x7f7fffff
	v_dual_add_f32 v45, v12, v40 :: v_dual_add_f32 v44, v13, v41
	s_delay_alu instid0(VALU_DEP_1) | instskip(SKIP_3) | instid1(VALU_DEP_2)
	v_min3_f32 v57, v45, v44, 0x7f7fffff
	v_dual_add_f32 v45, v8, v40 :: v_dual_add_f32 v44, v9, v41
	v_dual_add_f32 v41, v1, v41 :: v_dual_add_f32 v40, v0, v40
	v_add_f32_e32 v8, v8, v4
	v_min3_f32 v53, v40, v41, 0x7f7fffff
	v_dual_add_f32 v40, v33, v37 :: v_dual_add_f32 v41, v32, v36
	v_min3_f32 v56, v45, v44, 0x7f7fffff
	v_dual_add_f32 v32, v32, v4 :: v_dual_add_f32 v33, v33, v5
	s_delay_alu instid0(VALU_DEP_3) | instskip(SKIP_2) | instid1(VALU_DEP_4)
	v_min3_f32 v52, v41, v40, 0x7f7fffff
	v_dual_add_f32 v40, v29, v37 :: v_dual_add_f32 v41, v28, v36
	v_dual_add_f32 v28, v28, v4 :: v_dual_add_f32 v29, v29, v5
	v_min3_f32 v32, v32, v33, 0x7f7fffff
	s_delay_alu instid0(VALU_DEP_3) | instskip(SKIP_3) | instid1(VALU_DEP_3)
	v_min3_f32 v49, v41, v40, 0x7f7fffff
	v_dual_add_f32 v40, v25, v37 :: v_dual_add_f32 v41, v24, v36
	v_dual_add_f32 v24, v24, v4 :: v_dual_add_f32 v25, v25, v5
	v_min3_f32 v28, v28, v29, 0x7f7fffff
	v_min3_f32 v48, v41, v40, 0x7f7fffff
	v_dual_add_f32 v40, v21, v37 :: v_dual_add_f32 v41, v20, v36
	v_dual_add_f32 v20, v20, v4 :: v_dual_add_f32 v21, v21, v5
	v_min3_f32 v24, v24, v25, 0x7f7fffff
	s_delay_alu instid0(VALU_DEP_3) | instskip(SKIP_3) | instid1(VALU_DEP_3)
	v_min3_f32 v45, v41, v40, 0x7f7fffff
	v_dual_add_f32 v40, v17, v37 :: v_dual_add_f32 v41, v16, v36
	v_dual_add_f32 v16, v16, v4 :: v_dual_add_f32 v17, v17, v5
	v_min3_f32 v20, v20, v21, 0x7f7fffff
	v_min3_f32 v44, v41, v40, 0x7f7fffff
	v_dual_add_f32 v40, v13, v37 :: v_dual_add_f32 v41, v12, v36
	v_add_f32_e32 v36, v0, v36
	v_add_f32_e32 v0, v0, v4
	;; [unrolled: 1-line block ×4, first 2 shown]
	v_min3_f32 v41, v41, v40, 0x7f7fffff
	v_add_f32_e32 v40, v9, v37
	v_add_f32_e32 v37, v1, v37
	;; [unrolled: 1-line block ×4, first 2 shown]
	v_min3_f32 v16, v16, v17, 0x7f7fffff
	v_add_f32_e32 v9, v9, v5
	v_min3_f32 v36, v36, v37, 0x7f7fffff
	v_min3_f32 v0, v0, v1, 0x7f7fffff
	v_add_f32_e32 v1, v35, v63
	v_min3_f32 v12, v12, v13, 0x7f7fffff
	v_min3_f32 v8, v8, v9, 0x7f7fffff
	s_delay_alu instid0(VALU_DEP_3) | instskip(SKIP_2) | instid1(VALU_DEP_2)
	v_min3_f32 v143, v4, v1, v78
	v_dual_add_f32 v1, v31, v63 :: v_dual_add_f32 v4, v30, v62
	v_min3_f32 v40, v122, v40, 0x7f7fffff
	v_min3_f32 v142, v4, v1, v79
	v_dual_add_f32 v1, v27, v63 :: v_dual_add_f32 v4, v26, v62
	s_delay_alu instid0(VALU_DEP_1) | instskip(SKIP_1) | instid1(VALU_DEP_1)
	v_min3_f32 v141, v4, v1, v80
	v_dual_add_f32 v1, v23, v63 :: v_dual_add_f32 v4, v22, v62
	v_min3_f32 v81, v4, v1, v81
	v_dual_add_f32 v1, v19, v63 :: v_dual_add_f32 v4, v18, v62
	s_delay_alu instid0(VALU_DEP_1) | instskip(SKIP_1) | instid1(VALU_DEP_1)
	v_min3_f32 v79, v4, v1, v117
	v_dual_add_f32 v1, v15, v63 :: v_dual_add_f32 v4, v14, v62
	;; [unrolled: 5-line block ×26, first 2 shown]
	v_min3_f32 v91, v4, v1, v41
	v_dual_add_f32 v1, v11, v39 :: v_dual_add_f32 v4, v10, v38
	s_delay_alu instid0(VALU_DEP_1) | instskip(SKIP_2) | instid1(VALU_DEP_2)
	v_min3_f32 v90, v4, v1, v40
	v_dual_add_f32 v1, v3, v39 :: v_dual_add_f32 v4, v2, v38
	v_add_f32_e32 v2, v2, v6
	v_min3_f32 v89, v4, v1, v36
	v_dual_add_f32 v1, v35, v7 :: v_dual_add_f32 v4, v34, v6
	s_delay_alu instid0(VALU_DEP_1) | instskip(SKIP_1) | instid1(VALU_DEP_1)
	v_min3_f32 v88, v4, v1, v32
	v_dual_add_f32 v1, v31, v7 :: v_dual_add_f32 v4, v30, v6
	v_min3_f32 v87, v4, v1, v28
	v_dual_add_f32 v1, v27, v7 :: v_dual_add_f32 v4, v26, v6
	s_delay_alu instid0(VALU_DEP_1) | instskip(SKIP_1) | instid1(VALU_DEP_1)
	v_min3_f32 v86, v4, v1, v24
	v_dual_add_f32 v1, v23, v7 :: v_dual_add_f32 v4, v22, v6
	;; [unrolled: 5-line block ×3, first 2 shown]
	v_min3_f32 v83, v4, v1, v12
	v_dual_add_f32 v1, v11, v7 :: v_dual_add_f32 v4, v10, v6
	s_delay_alu instid0(VALU_DEP_1) | instskip(SKIP_1) | instid1(VALU_DEP_1)
	v_min3_f32 v82, v4, v1, v8
	v_add_f32_e32 v1, v3, v7
	v_min3_f32 v92, v2, v1, v0
	s_cbranch_scc1 .LBB70_52
; %bb.30:
	v_lshlrev_b64 v[0:1], 2, v[64:65]
	v_add_nc_u32_e32 v6, 8, v74
	v_add_nc_u32_e32 v10, 12, v74
	v_or_b32_e32 v121, 0x2000, v77
	v_add_nc_u32_e32 v130, 0x2000, v75
	v_add_nc_u32_e32 v144, 0x2400, v77
	v_add_co_u32 v146, s6, s20, v0
	v_mad_i64_i32 v[2:3], null, v6, s8, 0
	v_mad_i64_i32 v[4:5], null, v6, s24, 0
	;; [unrolled: 1-line block ×4, first 2 shown]
	v_add_co_ci_u32_e64 v147, s6, s21, v1, s6
	v_lshlrev_b64 v[0:1], 2, v[66:67]
	v_lshlrev_b64 v[64:65], 2, v[2:3]
	;; [unrolled: 1-line block ×5, first 2 shown]
	v_or_b32_e32 v145, 0x1000, v77
	v_add_co_u32 v150, s6, s22, v0
	v_lshl_add_u32 v148, v72, 4, 0x2400
	v_lshl_add_u32 v149, v73, 4, 0x1000
	v_add_co_ci_u32_e64 v151, s6, s23, v1, s6
	s_add_i32 s29, s18, -8
	s_lshl_b64 s[8:9], s[8:9], 5
	s_lshl_b64 s[20:21], s[24:25], 5
	s_mov_b32 s22, 0
	s_branch .LBB70_32
.LBB70_31:                              ;   in Loop: Header=BB70_32 Depth=1
	s_or_b32 exec_lo, exec_lo, s7
	ds_load_b128 v[89:92], v76
	ds_load_b128 v[157:160], v130
	ds_load_b128 v[161:164], v130 offset:128
	ds_load_b128 v[165:168], v130 offset:256
	;; [unrolled: 1-line block ×14, first 2 shown]
	v_add_co_u32 v146, s6, v146, s8
	s_delay_alu instid0(VALU_DEP_1)
	v_add_co_ci_u32_e64 v147, s6, s9, v147, s6
	v_add_co_u32 v150, s6, v150, s20
	s_waitcnt lgkmcnt(14)
	v_dual_add_f32 v11, v158, v90 :: v_dual_add_f32 v14, v157, v89
	s_waitcnt lgkmcnt(13)
	v_dual_add_f32 v15, v162, v90 :: v_dual_add_f32 v18, v161, v89
	;; [unrolled: 2-line block ×3, first 2 shown]
	s_waitcnt lgkmcnt(11)
	v_add_f32_e32 v23, v170, v90
	v_min3_f32 v11, v14, v11, v24
	v_min3_f32 v14, v18, v15, v25
	v_add_f32_e32 v18, v169, v89
	v_min3_f32 v15, v22, v19, v28
	s_waitcnt lgkmcnt(10)
	v_dual_add_f32 v19, v174, v90 :: v_dual_add_f32 v22, v173, v89
	s_waitcnt lgkmcnt(9)
	v_dual_add_f32 v24, v178, v90 :: v_dual_add_f32 v25, v177, v89
	s_waitcnt lgkmcnt(8)
	v_add_f32_e32 v28, v182, v90
	s_waitcnt lgkmcnt(7)
	v_dual_add_f32 v34, v181, v89 :: v_dual_add_f32 v35, v186, v90
	v_add_f32_e32 v38, v185, v89
	v_min3_f32 v0, v18, v23, v0
	v_min3_f32 v18, v22, v19, v29
	;; [unrolled: 1-line block ×3, first 2 shown]
	s_waitcnt lgkmcnt(6)
	v_dual_add_f32 v24, v158, v94 :: v_dual_add_f32 v29, v161, v93
	v_min3_f32 v23, v38, v35, v36
	v_add_f32_e32 v25, v157, v93
	v_min3_f32 v22, v34, v28, v33
	v_dual_add_f32 v28, v162, v94 :: v_dual_add_f32 v33, v165, v93
	v_dual_add_f32 v32, v166, v94 :: v_dual_add_f32 v35, v169, v93
	v_add_f32_e32 v34, v170, v94
	v_add_f32_e32 v36, v174, v94
	;; [unrolled: 1-line block ×3, first 2 shown]
	v_min3_f32 v1, v25, v24, v1
	v_min3_f32 v24, v29, v28, v37
	;; [unrolled: 1-line block ×3, first 2 shown]
	v_dual_add_f32 v32, v178, v94 :: v_dual_add_f32 v37, v185, v93
	v_add_f32_e32 v33, v177, v93
	v_min3_f32 v28, v35, v34, v41
	s_waitcnt lgkmcnt(5)
	v_dual_add_f32 v34, v182, v94 :: v_dual_add_f32 v39, v157, v97
	v_add_f32_e32 v35, v181, v93
	v_min3_f32 v29, v38, v36, v44
	v_dual_add_f32 v36, v186, v94 :: v_dual_add_f32 v41, v161, v97
	v_add_f32_e32 v38, v158, v98
	v_add_f32_e32 v40, v162, v98
	v_min3_f32 v4, v33, v32, v4
	v_min3_f32 v32, v35, v34, v45
	;; [unrolled: 1-line block ×3, first 2 shown]
	v_dual_add_f32 v36, v166, v98 :: v_dual_add_f32 v37, v165, v97
	v_min3_f32 v34, v39, v38, v49
	v_dual_add_f32 v38, v170, v98 :: v_dual_add_f32 v45, v177, v97
	v_add_f32_e32 v39, v169, v97
	v_min3_f32 v35, v41, v40, v52
	v_dual_add_f32 v40, v174, v98 :: v_dual_add_f32 v49, v181, v97
	v_dual_add_f32 v41, v173, v97 :: v_dual_add_f32 v44, v178, v98
	v_add_f32_e32 v48, v182, v98
	v_min3_f32 v5, v37, v36, v5
	v_min3_f32 v36, v39, v38, v53
	s_delay_alu instid0(VALU_DEP_4)
	v_min3_f32 v37, v41, v40, v54
	v_dual_add_f32 v40, v186, v98 :: v_dual_add_f32 v41, v185, v97
	v_min3_f32 v38, v45, v44, v55
	s_waitcnt lgkmcnt(4)
	v_dual_add_f32 v44, v158, v102 :: v_dual_add_f32 v53, v165, v101
	v_add_f32_e32 v45, v157, v101
	v_min3_f32 v39, v49, v48, v56
	v_dual_add_f32 v48, v162, v102 :: v_dual_add_f32 v55, v169, v101
	v_dual_add_f32 v49, v161, v101 :: v_dual_add_f32 v52, v166, v102
	v_add_f32_e32 v54, v170, v102
	v_min3_f32 v8, v41, v40, v8
	v_min3_f32 v40, v45, v44, v57
	s_delay_alu instid0(VALU_DEP_4)
	v_min3_f32 v41, v49, v48, v58
	v_dual_add_f32 v48, v174, v102 :: v_dual_add_f32 v49, v173, v101
	v_min3_f32 v44, v53, v52, v59
	v_dual_add_f32 v52, v178, v102 :: v_dual_add_f32 v57, v185, v101
	v_add_f32_e32 v53, v177, v101
	v_min3_f32 v45, v55, v54, v60
	s_waitcnt lgkmcnt(3)
	v_dual_add_f32 v54, v182, v102 :: v_dual_add_f32 v59, v157, v189
	v_dual_add_f32 v55, v181, v101 :: v_dual_add_f32 v56, v186, v102
	v_add_f32_e32 v58, v158, v190
	v_min3_f32 v9, v49, v48, v9
	v_min3_f32 v48, v53, v52, v50
	s_delay_alu instid0(VALU_DEP_4)
	v_min3_f32 v49, v55, v54, v51
	v_add_f32_e32 v55, v165, v189
	v_min3_f32 v51, v59, v58, v62
	v_dual_add_f32 v52, v162, v190 :: v_dual_add_f32 v53, v161, v189
	v_min3_f32 v50, v57, v56, v61
	v_dual_add_f32 v57, v169, v189 :: v_dual_add_f32 v54, v166, v190
	v_dual_add_f32 v59, v173, v189 :: v_dual_add_f32 v56, v170, v190
	;; [unrolled: 1-line block ×3, first 2 shown]
	v_add_f32_e32 v60, v178, v190
	v_min3_f32 v12, v53, v52, v12
	v_min3_f32 v52, v55, v54, v63
	;; [unrolled: 1-line block ×3, first 2 shown]
	v_dual_add_f32 v56, v182, v190 :: v_dual_add_f32 v57, v181, v189
	v_min3_f32 v54, v59, v58, v79
	s_waitcnt lgkmcnt(2)
	v_dual_add_f32 v58, v186, v190 :: v_dual_add_f32 v63, v161, v193
	v_add_f32_e32 v59, v185, v189
	v_min3_f32 v55, v61, v60, v80
	v_dual_add_f32 v60, v158, v194 :: v_dual_add_f32 v79, v165, v193
	v_dual_add_f32 v61, v157, v193 :: v_dual_add_f32 v62, v162, v194
	v_add_f32_e32 v78, v166, v194
	v_min3_f32 v13, v57, v56, v13
	v_min3_f32 v46, v59, v58, v46
	s_delay_alu instid0(VALU_DEP_4)
	v_min3_f32 v47, v61, v60, v47
	v_add_f32_e32 v61, v173, v193
	v_min3_f32 v57, v79, v78, v82
	v_dual_add_f32 v58, v170, v194 :: v_dual_add_f32 v59, v169, v193
	v_min3_f32 v56, v63, v62, v81
	v_dual_add_f32 v63, v177, v193 :: v_dual_add_f32 v60, v174, v194
	v_dual_add_f32 v79, v181, v193 :: v_dual_add_f32 v62, v178, v194
	;; [unrolled: 1-line block ×3, first 2 shown]
	v_add_f32_e32 v80, v186, v194
	v_min3_f32 v16, v59, v58, v16
	v_min3_f32 v42, v61, v60, v42
	;; [unrolled: 1-line block ×3, first 2 shown]
	s_waitcnt lgkmcnt(1)
	v_add_f32_e32 v63, v161, v197
	v_min3_f32 v59, v81, v80, v84
	v_dual_add_f32 v60, v158, v198 :: v_dual_add_f32 v61, v157, v197
	v_min3_f32 v58, v79, v78, v83
	v_dual_add_f32 v79, v165, v197 :: v_dual_add_f32 v62, v162, v198
	v_dual_add_f32 v81, v169, v197 :: v_dual_add_f32 v78, v166, v198
	;; [unrolled: 1-line block ×3, first 2 shown]
	v_add_f32_e32 v82, v174, v198
	v_min3_f32 v17, v61, v60, v17
	v_min3_f32 v60, v63, v62, v85
	;; [unrolled: 1-line block ×3, first 2 shown]
	v_dual_add_f32 v78, v178, v198 :: v_dual_add_f32 v79, v177, v197
	v_min3_f32 v62, v81, v80, v87
	s_waitcnt lgkmcnt(0)
	v_dual_add_f32 v80, v182, v198 :: v_dual_add_f32 v85, v157, v201
	v_add_f32_e32 v81, v181, v197
	v_min3_f32 v63, v83, v82, v88
	v_dual_add_f32 v82, v186, v198 :: v_dual_add_f32 v87, v161, v201
	v_dual_add_f32 v83, v185, v197 :: v_dual_add_f32 v84, v158, v202
	v_add_f32_e32 v86, v162, v202
	v_min3_f32 v20, v79, v78, v20
	v_min3_f32 v26, v81, v80, v26
	v_add_f32_e32 v81, v169, v201
	v_min3_f32 v27, v83, v82, v27
	v_min3_f32 v31, v87, v86, v31
	v_dual_add_f32 v78, v166, v202 :: v_dual_add_f32 v83, v173, v201
	v_add_f32_e32 v79, v165, v201
	v_min3_f32 v30, v85, v84, v30
	v_dual_add_f32 v80, v170, v202 :: v_dual_add_f32 v85, v177, v201
	v_dual_add_f32 v82, v174, v202 :: v_dual_add_f32 v87, v181, v201
	v_add_f32_e32 v84, v178, v202
	v_add_f32_e32 v86, v182, v202
	v_min3_f32 v21, v79, v78, v21
	v_min3_f32 v3, v81, v80, v3
	;; [unrolled: 1-line block ×3, first 2 shown]
	v_dual_add_f32 v78, v186, v202 :: v_dual_add_f32 v79, v185, v201
	v_min3_f32 v7, v85, v84, v7
	v_dual_add_f32 v80, v160, v92 :: v_dual_add_f32 v81, v159, v91
	v_dual_add_f32 v82, v164, v92 :: v_dual_add_f32 v83, v163, v91
	;; [unrolled: 1-line block ×3, first 2 shown]
	v_min3_f32 v10, v87, v86, v10
	v_dual_add_f32 v86, v172, v92 :: v_dual_add_f32 v87, v171, v91
	v_min3_f32 v143, v81, v80, v11
	s_delay_alu instid0(VALU_DEP_4)
	v_min3_f32 v141, v85, v84, v15
	v_add_f32_e32 v11, v175, v91
	v_add_f32_e32 v15, v179, v91
	v_min3_f32 v142, v83, v82, v14
	v_min3_f32 v81, v87, v86, v0
	v_add_f32_e32 v0, v176, v92
	v_add_f32_e32 v14, v180, v92
	;; [unrolled: 1-line block ×3, first 2 shown]
	v_dual_add_f32 v82, v183, v91 :: v_dual_add_f32 v83, v188, v92
	v_dual_add_f32 v84, v187, v91 :: v_dual_add_f32 v85, v160, v96
	v_add_f32_e32 v86, v159, v95
	v_min3_f32 v2, v79, v78, v2
	v_min3_f32 v79, v11, v0, v18
	v_add_f32_e32 v11, v168, v96
	v_min3_f32 v78, v15, v14, v19
	v_min3_f32 v80, v82, v80, v22
	;; [unrolled: 1-line block ×4, first 2 shown]
	v_dual_add_f32 v0, v164, v96 :: v_dual_add_f32 v1, v163, v95
	v_dual_add_f32 v14, v167, v95 :: v_dual_add_f32 v15, v172, v96
	v_dual_add_f32 v18, v171, v95 :: v_dual_add_f32 v19, v176, v96
	v_dual_add_f32 v22, v175, v95 :: v_dual_add_f32 v23, v180, v96
	v_add_f32_e32 v82, v179, v95
	s_delay_alu instid0(VALU_DEP_4) | instskip(SKIP_1) | instid1(VALU_DEP_4)
	v_min3_f32 v137, v14, v11, v25
	v_add_f32_e32 v11, v187, v95
	v_min3_f32 v135, v22, v19, v29
	v_add_f32_e32 v22, v168, v100
	v_min3_f32 v134, v82, v23, v4
	v_dual_add_f32 v4, v188, v96 :: v_dual_add_f32 v23, v167, v99
	v_min3_f32 v138, v1, v0, v24
	v_dual_add_f32 v0, v184, v96 :: v_dual_add_f32 v1, v183, v95
	;; [unrolled: 2-line block ×3, first 2 shown]
	v_dual_add_f32 v18, v164, v100 :: v_dual_add_f32 v19, v163, v99
	s_delay_alu instid0(VALU_DEP_4)
	v_min3_f32 v133, v1, v0, v32
	v_min3_f32 v128, v23, v22, v5
	v_dual_add_f32 v0, v172, v100 :: v_dual_add_f32 v1, v171, v99
	v_add_f32_e32 v5, v175, v99
	v_min3_f32 v132, v11, v4, v33
	v_add_f32_e32 v4, v176, v100
	v_dual_add_f32 v11, v180, v100 :: v_dual_add_f32 v22, v187, v99
	v_min3_f32 v127, v1, v0, v36
	v_add_f32_e32 v1, v159, v103
	v_min3_f32 v131, v15, v14, v34
	v_dual_add_f32 v14, v179, v99 :: v_dual_add_f32 v15, v184, v100
	v_min3_f32 v126, v5, v4, v37
	v_dual_add_f32 v4, v164, v104 :: v_dual_add_f32 v5, v163, v103
	;; [unrolled: 2-line block ×4, first 2 shown]
	s_delay_alu instid0(VALU_DEP_3) | instskip(NEXT) | instid1(VALU_DEP_4)
	v_min3_f32 v124, v18, v15, v39
	v_min3_f32 v122, v22, v19, v8
	v_add_f32_e32 v8, v168, v104
	v_dual_add_f32 v18, v176, v104 :: v_dual_add_f32 v19, v175, v103
	v_min3_f32 v120, v5, v4, v41
	v_dual_add_f32 v4, v184, v104 :: v_dual_add_f32 v5, v183, v103
	v_min3_f32 v123, v1, v0, v40
	v_dual_add_f32 v0, v180, v104 :: v_dual_add_f32 v1, v179, v103
	v_add_f32_e32 v14, v172, v104
	s_delay_alu instid0(VALU_DEP_4)
	v_min3_f32 v115, v5, v4, v49
	v_add_f32_e32 v5, v171, v191
	v_min3_f32 v117, v19, v18, v9
	v_add_f32_e32 v9, v187, v103
	v_min3_f32 v119, v11, v8, v44
	v_dual_add_f32 v8, v188, v104 :: v_dual_add_f32 v15, v171, v103
	v_add_f32_e32 v4, v172, v192
	v_dual_add_f32 v11, v160, v192 :: v_dual_add_f32 v18, v163, v191
	s_delay_alu instid0(VALU_DEP_3)
	v_min3_f32 v114, v9, v8, v50
	v_dual_add_f32 v8, v176, v192 :: v_dual_add_f32 v9, v175, v191
	v_min3_f32 v116, v1, v0, v48
	v_dual_add_f32 v0, v168, v192 :: v_dual_add_f32 v1, v167, v191
	;; [unrolled: 2-line block ×4, first 2 shown]
	v_min3_f32 v110, v5, v4, v53
	v_add_f32_e32 v5, v159, v195
	v_min3_f32 v111, v1, v0, v52
	v_dual_add_f32 v0, v188, v192 :: v_dual_add_f32 v1, v187, v191
	v_min3_f32 v113, v14, v11, v51
	v_add_f32_e32 v11, v180, v192
	v_min3_f32 v112, v18, v15, v12
	v_add_f32_e32 v12, v179, v191
	v_dual_add_f32 v14, v184, v192 :: v_dual_add_f32 v15, v183, v191
	v_add_f32_e32 v4, v160, v196
	v_min3_f32 v104, v9, v8, v56
	v_dual_add_f32 v8, v184, v196 :: v_dual_add_f32 v9, v183, v195
	v_min3_f32 v106, v1, v0, v46
	v_dual_add_f32 v0, v176, v196 :: v_dual_add_f32 v1, v175, v195
	;; [unrolled: 2-line block ×3, first 2 shown]
	v_min3_f32 v99, v9, v8, v58
	v_add_f32_e32 v9, v171, v199
	v_min3_f32 v101, v1, v0, v42
	v_add_f32_e32 v1, v163, v199
	;; [unrolled: 2-line block ×3, first 2 shown]
	v_min3_f32 v107, v15, v14, v13
	v_dual_add_f32 v13, v172, v196 :: v_dual_add_f32 v14, v171, v195
	v_min3_f32 v103, v12, v11, v57
	v_add_f32_e32 v11, v188, v196
	v_add_f32_e32 v4, v180, v196
	;; [unrolled: 1-line block ×3, first 2 shown]
	v_min3_f32 v102, v14, v13, v16
	v_dual_add_f32 v13, v160, v200 :: v_dual_add_f32 v14, v159, v199
	v_add_f32_e32 v0, v164, v200
	v_add_f32_e32 v8, v172, v200
	v_min3_f32 v98, v12, v11, v59
	v_add_f32_e32 v11, v176, v200
	v_min3_f32 v97, v14, v13, v17
	v_dual_add_f32 v12, v175, v199 :: v_dual_add_f32 v13, v180, v200
	v_add_f32_e32 v14, v179, v199
	v_min3_f32 v94, v9, v8, v62
	v_dual_add_f32 v8, v160, v204 :: v_dual_add_f32 v9, v159, v203
	v_min3_f32 v96, v1, v0, v60
	v_dual_add_f32 v0, v184, v200 :: v_dual_add_f32 v1, v183, v199
	v_min3_f32 v100, v5, v4, v43
	v_dual_add_f32 v4, v168, v200 :: v_dual_add_f32 v5, v167, v199
	v_min3_f32 v93, v12, v11, v63
	v_add_f32_e32 v11, v164, v204
	v_min3_f32 v91, v14, v13, v20
	v_dual_add_f32 v12, v163, v203 :: v_dual_add_f32 v13, v168, v204
	v_add_f32_e32 v14, v167, v203
	v_min3_f32 v88, v9, v8, v30
	v_add_f32_e32 v9, v179, v203
	v_min3_f32 v90, v1, v0, v26
	;; [unrolled: 2-line block ×3, first 2 shown]
	v_dual_add_f32 v4, v188, v200 :: v_dual_add_f32 v5, v187, v199
	v_min3_f32 v87, v12, v11, v31
	v_add_f32_e32 v11, v184, v204
	v_min3_f32 v86, v14, v13, v21
	v_add_f32_e32 v0, v172, v204
	v_min3_f32 v89, v5, v4, v27
	v_dual_add_f32 v4, v176, v204 :: v_dual_add_f32 v5, v175, v203
	v_add_f32_e32 v8, v180, v204
	v_dual_add_f32 v12, v183, v203 :: v_dual_add_f32 v13, v188, v204
	v_add_f32_e32 v14, v187, v203
	v_min3_f32 v85, v1, v0, v3
	v_min3_f32 v84, v5, v4, v6
	;; [unrolled: 1-line block ×5, first 2 shown]
	v_add_co_ci_u32_e64 v151, s6, s21, v151, s6
	s_add_i32 s22, s22, 8
	s_waitcnt vmcnt(0)
	ds_store_b32 v144, v152
	ds_store_2addr_stride64_b32 v145, v154, v153 offset1:4
	ds_store_2addr_stride64_b32 v145, v156, v155 offset0:8 offset1:12
	s_cmp_ge_i32 s22, s29
	s_waitcnt lgkmcnt(0)
	s_barrier
	buffer_gl0_inv
	s_cbranch_scc1 .LBB70_52
.LBB70_32:                              ; =>This Inner Loop Header: Depth=1
	v_dual_mov_b32 v154, 0x7f7fffff :: v_dual_add_nc_u32 v153, s22, v74
	s_delay_alu instid0(VALU_DEP_1) | instskip(NEXT) | instid1(VALU_DEP_1)
	v_dual_mov_b32 v155, 0x7f7fffff :: v_dual_add_nc_u32 v0, 8, v153
	v_cmp_le_i32_e64 s6, s18, v0
	s_delay_alu instid0(VALU_DEP_1) | instskip(NEXT) | instid1(SALU_CYCLE_1)
	s_or_b32 s7, vcc_lo, s6
	s_xor_b32 s7, s7, -1
	s_delay_alu instid0(SALU_CYCLE_1)
	s_and_saveexec_b32 s23, s7
	s_cbranch_execz .LBB70_34
; %bb.33:                               ;   in Loop: Header=BB70_32 Depth=1
	v_add_co_u32 v0, s7, v146, v64
	s_delay_alu instid0(VALU_DEP_1)
	v_add_co_ci_u32_e64 v1, s7, v147, v65, s7
	flat_load_b32 v155, v[0:1]
.LBB70_34:                              ;   in Loop: Header=BB70_32 Depth=1
	s_or_b32 exec_lo, exec_lo, s23
	s_or_b32 s7, s2, s6
	s_delay_alu instid0(SALU_CYCLE_1) | instskip(NEXT) | instid1(SALU_CYCLE_1)
	s_xor_b32 s7, s7, -1
	s_and_saveexec_b32 s23, s7
	s_cbranch_execz .LBB70_36
; %bb.35:                               ;   in Loop: Header=BB70_32 Depth=1
	v_add_co_u32 v0, s7, v150, v66
	s_delay_alu instid0(VALU_DEP_1)
	v_add_co_ci_u32_e64 v1, s7, v151, v67, s7
	flat_load_b32 v154, v[0:1]
.LBB70_36:                              ;   in Loop: Header=BB70_32 Depth=1
	s_or_b32 exec_lo, exec_lo, s23
	v_dual_mov_b32 v156, 0x7f7fffff :: v_dual_mov_b32 v157, 0x7f7fffff
	s_or_b32 s7, s3, s6
	s_delay_alu instid0(SALU_CYCLE_1) | instskip(NEXT) | instid1(SALU_CYCLE_1)
	s_xor_b32 s7, s7, -1
	s_and_saveexec_b32 s23, s7
	s_cbranch_execz .LBB70_38
; %bb.37:                               ;   in Loop: Header=BB70_32 Depth=1
	v_add_co_u32 v0, s7, v150, v66
	s_delay_alu instid0(VALU_DEP_1)
	v_add_co_ci_u32_e64 v1, s7, v151, v67, s7
	flat_load_b32 v157, v[0:1] offset:256
.LBB70_38:                              ;   in Loop: Header=BB70_32 Depth=1
	s_or_b32 exec_lo, exec_lo, s23
	s_or_b32 s7, s4, s6
	s_delay_alu instid0(SALU_CYCLE_1) | instskip(NEXT) | instid1(SALU_CYCLE_1)
	s_xor_b32 s7, s7, -1
	s_and_saveexec_b32 s23, s7
	s_cbranch_execz .LBB70_40
; %bb.39:                               ;   in Loop: Header=BB70_32 Depth=1
	v_add_co_u32 v0, s7, v150, v66
	s_delay_alu instid0(VALU_DEP_1)
	v_add_co_ci_u32_e64 v1, s7, v151, v67, s7
	flat_load_b32 v156, v[0:1] offset:512
.LBB70_40:                              ;   in Loop: Header=BB70_32 Depth=1
	s_or_b32 exec_lo, exec_lo, s23
	v_mov_b32_e32 v152, 0x7f7fffff
	v_mov_b32_e32 v158, 0x7f7fffff
	s_or_b32 s6, s5, s6
	s_delay_alu instid0(SALU_CYCLE_1) | instskip(NEXT) | instid1(SALU_CYCLE_1)
	s_xor_b32 s6, s6, -1
	s_and_saveexec_b32 s7, s6
	s_cbranch_execz .LBB70_42
; %bb.41:                               ;   in Loop: Header=BB70_32 Depth=1
	v_add_co_u32 v0, s6, v150, v66
	s_delay_alu instid0(VALU_DEP_1)
	v_add_co_ci_u32_e64 v1, s6, v151, v67, s6
	flat_load_b32 v158, v[0:1] offset:768
.LBB70_42:                              ;   in Loop: Header=BB70_32 Depth=1
	s_or_b32 exec_lo, exec_lo, s7
	ds_load_b128 v[32:35], v148
	ds_load_b128 v[28:31], v148 offset:128
	ds_load_b128 v[24:27], v148 offset:256
	;; [unrolled: 1-line block ×7, first 2 shown]
	ds_load_b128 v[60:63], v149
	ds_load_b128 v[56:59], v149 offset:512
	ds_load_b128 v[52:55], v149 offset:1024
	;; [unrolled: 1-line block ×7, first 2 shown]
	v_add_nc_u32_e32 v153, 12, v153
	s_waitcnt vmcnt(0) lgkmcnt(16)
	ds_store_b32 v121, v155
	ds_store_2addr_stride64_b32 v77, v154, v157 offset1:4
	ds_store_2addr_stride64_b32 v77, v156, v158 offset0:8 offset1:12
	s_waitcnt lgkmcnt(0)
	s_barrier
	buffer_gl0_inv
	v_cmp_le_i32_e64 s6, s18, v153
	s_delay_alu instid0(VALU_DEP_1) | instskip(NEXT) | instid1(SALU_CYCLE_1)
	s_or_b32 s7, vcc_lo, s6
	s_xor_b32 s7, s7, -1
	s_delay_alu instid0(SALU_CYCLE_1)
	s_and_saveexec_b32 s23, s7
	s_cbranch_execz .LBB70_44
; %bb.43:                               ;   in Loop: Header=BB70_32 Depth=1
	v_add_co_u32 v152, s7, v146, v70
	s_delay_alu instid0(VALU_DEP_1)
	v_add_co_ci_u32_e64 v153, s7, v147, v71, s7
	flat_load_b32 v152, v[152:153]
.LBB70_44:                              ;   in Loop: Header=BB70_32 Depth=1
	s_or_b32 exec_lo, exec_lo, s23
	v_dual_mov_b32 v153, 0x7f7fffff :: v_dual_mov_b32 v154, 0x7f7fffff
	s_or_b32 s7, s2, s6
	s_delay_alu instid0(SALU_CYCLE_1) | instskip(NEXT) | instid1(SALU_CYCLE_1)
	s_xor_b32 s7, s7, -1
	s_and_saveexec_b32 s23, s7
	s_cbranch_execz .LBB70_46
; %bb.45:                               ;   in Loop: Header=BB70_32 Depth=1
	v_add_co_u32 v154, s7, v150, v68
	s_delay_alu instid0(VALU_DEP_1)
	v_add_co_ci_u32_e64 v155, s7, v151, v69, s7
	flat_load_b32 v154, v[154:155]
.LBB70_46:                              ;   in Loop: Header=BB70_32 Depth=1
	s_or_b32 exec_lo, exec_lo, s23
	s_or_b32 s7, s3, s6
	s_delay_alu instid0(SALU_CYCLE_1) | instskip(NEXT) | instid1(SALU_CYCLE_1)
	s_xor_b32 s7, s7, -1
	s_and_saveexec_b32 s23, s7
	s_cbranch_execz .LBB70_48
; %bb.47:                               ;   in Loop: Header=BB70_32 Depth=1
	v_add_co_u32 v155, s7, v150, v68
	s_delay_alu instid0(VALU_DEP_1)
	v_add_co_ci_u32_e64 v156, s7, v151, v69, s7
	flat_load_b32 v153, v[155:156] offset:256
.LBB70_48:                              ;   in Loop: Header=BB70_32 Depth=1
	s_or_b32 exec_lo, exec_lo, s23
	v_dual_mov_b32 v155, 0x7f7fffff :: v_dual_mov_b32 v156, 0x7f7fffff
	s_or_b32 s7, s4, s6
	s_delay_alu instid0(SALU_CYCLE_1) | instskip(NEXT) | instid1(SALU_CYCLE_1)
	s_xor_b32 s7, s7, -1
	s_and_saveexec_b32 s23, s7
	s_cbranch_execz .LBB70_50
; %bb.49:                               ;   in Loop: Header=BB70_32 Depth=1
	v_add_co_u32 v156, s7, v150, v68
	s_delay_alu instid0(VALU_DEP_1)
	v_add_co_ci_u32_e64 v157, s7, v151, v69, s7
	flat_load_b32 v156, v[156:157] offset:512
.LBB70_50:                              ;   in Loop: Header=BB70_32 Depth=1
	s_or_b32 exec_lo, exec_lo, s23
	v_dual_add_f32 v157, v33, v61 :: v_dual_add_f32 v158, v32, v60
	v_dual_add_f32 v159, v29, v61 :: v_dual_add_f32 v160, v28, v60
	;; [unrolled: 1-line block ×3, first 2 shown]
	s_delay_alu instid0(VALU_DEP_3) | instskip(SKIP_1) | instid1(VALU_DEP_4)
	v_min3_f32 v143, v158, v157, v143
	v_dual_add_f32 v157, v17, v61 :: v_dual_add_f32 v158, v16, v60
	v_min3_f32 v142, v160, v159, v142
	s_delay_alu instid0(VALU_DEP_4)
	v_min3_f32 v141, v162, v161, v141
	v_dual_add_f32 v159, v13, v61 :: v_dual_add_f32 v160, v12, v60
	v_dual_add_f32 v161, v9, v61 :: v_dual_add_f32 v162, v8, v60
	;; [unrolled: 1-line block ×4, first 2 shown]
	v_min3_f32 v81, v158, v157, v81
	v_min3_f32 v79, v160, v159, v79
	v_dual_add_f32 v157, v29, v57 :: v_dual_add_f32 v158, v28, v56
	s_delay_alu instid0(VALU_DEP_4)
	v_min3_f32 v60, v60, v61, v140
	v_dual_add_f32 v61, v33, v57 :: v_dual_add_f32 v140, v32, v56
	v_dual_add_f32 v159, v25, v57 :: v_dual_add_f32 v160, v24, v56
	v_min3_f32 v78, v162, v161, v78
	v_min3_f32 v80, v164, v163, v80
	v_dual_add_f32 v161, v17, v57 :: v_dual_add_f32 v162, v16, v56
	v_dual_add_f32 v163, v13, v57 :: v_dual_add_f32 v164, v12, v56
	v_min3_f32 v61, v140, v61, v139
	v_min3_f32 v138, v158, v157, v138
	;; [unrolled: 1-line block ×3, first 2 shown]
	v_dual_add_f32 v139, v9, v57 :: v_dual_add_f32 v140, v8, v56
	v_dual_add_f32 v157, v5, v57 :: v_dual_add_f32 v158, v4, v56
	;; [unrolled: 1-line block ×4, first 2 shown]
	v_min3_f32 v136, v162, v161, v136
	v_dual_add_f32 v161, v29, v53 :: v_dual_add_f32 v162, v28, v52
	v_min3_f32 v134, v140, v139, v134
	v_min3_f32 v56, v56, v57, v132
	;; [unrolled: 1-line block ×3, first 2 shown]
	v_dual_add_f32 v131, v25, v53 :: v_dual_add_f32 v132, v24, v52
	v_dual_add_f32 v139, v17, v53 :: v_dual_add_f32 v140, v16, v52
	v_min3_f32 v133, v158, v157, v133
	v_min3_f32 v129, v162, v161, v129
	v_dual_add_f32 v157, v13, v53 :: v_dual_add_f32 v158, v12, v52
	v_dual_add_f32 v159, v9, v53 :: v_dual_add_f32 v160, v8, v52
	v_dual_add_f32 v161, v5, v53 :: v_dual_add_f32 v162, v4, v52
	v_min3_f32 v128, v132, v131, v128
	v_min3_f32 v127, v140, v139, v127
	v_dual_add_f32 v53, v1, v53 :: v_dual_add_f32 v52, v0, v52
	;; [unrolled: 5-line block ×3, first 2 shown]
	v_dual_add_f32 v159, v17, v49 :: v_dual_add_f32 v160, v16, v48
	v_min3_f32 v122, v52, v53, v122
	v_min3_f32 v123, v132, v131, v123
	;; [unrolled: 1-line block ×3, first 2 shown]
	v_dual_add_f32 v52, v13, v49 :: v_dual_add_f32 v53, v12, v48
	v_dual_add_f32 v131, v9, v49 :: v_dual_add_f32 v132, v8, v48
	;; [unrolled: 1-line block ×4, first 2 shown]
	v_min3_f32 v119, v158, v157, v119
	v_dual_add_f32 v157, v33, v45 :: v_dual_add_f32 v158, v32, v44
	v_min3_f32 v117, v53, v52, v117
	v_min3_f32 v116, v132, v131, v116
	v_min3_f32 v114, v48, v49, v114
	v_dual_add_f32 v48, v29, v45 :: v_dual_add_f32 v49, v28, v44
	v_dual_add_f32 v52, v25, v45 :: v_dual_add_f32 v53, v24, v44
	;; [unrolled: 1-line block ×3, first 2 shown]
	v_min3_f32 v115, v140, v139, v115
	v_min3_f32 v113, v158, v157, v113
	v_dual_add_f32 v139, v13, v45 :: v_dual_add_f32 v140, v12, v44
	v_dual_add_f32 v157, v9, v45 :: v_dual_add_f32 v158, v8, v44
	v_min3_f32 v112, v49, v48, v112
	v_min3_f32 v111, v53, v52, v111
	;; [unrolled: 1-line block ×3, first 2 shown]
	v_dual_add_f32 v48, v5, v45 :: v_dual_add_f32 v49, v4, v44
	v_dual_add_f32 v45, v1, v45 :: v_dual_add_f32 v44, v0, v44
	;; [unrolled: 1-line block ×4, first 2 shown]
	v_min3_f32 v109, v140, v139, v109
	v_dual_add_f32 v139, v25, v41 :: v_dual_add_f32 v140, v24, v40
	v_min3_f32 v107, v49, v48, v107
	v_min3_f32 v106, v44, v45, v106
	;; [unrolled: 1-line block ×4, first 2 shown]
	v_dual_add_f32 v44, v17, v41 :: v_dual_add_f32 v45, v16, v40
	v_dual_add_f32 v48, v13, v41 :: v_dual_add_f32 v49, v12, v40
	;; [unrolled: 1-line block ×5, first 2 shown]
	v_min3_f32 v102, v45, v44, v102
	v_dual_add_f32 v44, v29, v37 :: v_dual_add_f32 v45, v28, v36
	v_min3_f32 v100, v53, v52, v100
	s_delay_alu instid0(VALU_DEP_4) | instskip(SKIP_4) | instid1(VALU_DEP_4)
	v_min3_f32 v98, v40, v41, v98
	v_dual_add_f32 v40, v33, v37 :: v_dual_add_f32 v41, v32, v36
	v_min3_f32 v99, v132, v131, v99
	v_dual_add_f32 v52, v17, v37 :: v_dual_add_f32 v53, v16, v36
	v_dual_add_f32 v131, v13, v37 :: v_dual_add_f32 v132, v12, v36
	v_min3_f32 v97, v41, v40, v97
	v_min3_f32 v96, v45, v44, v96
	v_dual_add_f32 v40, v9, v37 :: v_dual_add_f32 v41, v8, v36
	v_dual_add_f32 v44, v5, v37 :: v_dual_add_f32 v45, v4, v36
	;; [unrolled: 1-line block ×6, first 2 shown]
	v_min3_f32 v118, v160, v159, v118
	v_min3_f32 v108, v158, v157, v108
	;; [unrolled: 1-line block ×4, first 2 shown]
	v_dual_add_f32 v48, v25, v37 :: v_dual_add_f32 v49, v24, v36
	v_dual_add_f32 v37, v1, v37 :: v_dual_add_f32 v36, v0, v36
	;; [unrolled: 1-line block ×4, first 2 shown]
	v_min3_f32 v140, v16, v17, v85
	v_min3_f32 v157, v12, v13, v84
	;; [unrolled: 1-line block ×4, first 2 shown]
	v_dual_add_f32 v1, v1, v21 :: v_dual_add_f32 v0, v0, v20
	v_dual_add_f32 v4, v35, v63 :: v_dual_add_f32 v5, v34, v62
	;; [unrolled: 1-line block ×5, first 2 shown]
	v_min3_f32 v93, v132, v131, v93
	v_dual_add_f32 v33, v33, v21 :: v_dual_add_f32 v32, v32, v20
	v_min3_f32 v132, v28, v29, v87
	v_min3_f32 v139, v24, v25, v86
	;; [unrolled: 1-line block ×7, first 2 shown]
	v_dual_add_f32 v1, v15, v63 :: v_dual_add_f32 v4, v14, v62
	v_dual_add_f32 v5, v11, v63 :: v_dual_add_f32 v8, v10, v62
	;; [unrolled: 1-line block ×5, first 2 shown]
	v_min3_f32 v135, v164, v163, v135
	v_min3_f32 v89, v36, v37, v89
	;; [unrolled: 1-line block ×8, first 2 shown]
	v_dual_add_f32 v4, v31, v59 :: v_dual_add_f32 v5, v30, v58
	v_dual_add_f32 v8, v27, v59 :: v_dual_add_f32 v9, v26, v58
	;; [unrolled: 1-line block ×4, first 2 shown]
	v_min3_f32 v91, v41, v40, v91
	v_min3_f32 v90, v45, v44, v90
	v_dual_add_f32 v20, v11, v59 :: v_dual_add_f32 v21, v10, v58
	v_min3_f32 v37, v5, v4, v138
	v_min3_f32 v40, v9, v8, v137
	;; [unrolled: 1-line block ×4, first 2 shown]
	v_dual_add_f32 v5, v7, v59 :: v_dual_add_f32 v8, v6, v58
	v_dual_add_f32 v9, v3, v59 :: v_dual_add_f32 v12, v2, v58
	;; [unrolled: 1-line block ×3, first 2 shown]
	v_min3_f32 v95, v49, v48, v95
	v_min3_f32 v94, v53, v52, v94
	;; [unrolled: 1-line block ×3, first 2 shown]
	v_dual_add_f32 v17, v31, v55 :: v_dual_add_f32 v20, v30, v54
	v_dual_add_f32 v21, v27, v55 :: v_dual_add_f32 v58, v2, v54
	v_add_f32_e32 v53, v26, v54
	v_min3_f32 v45, v8, v5, v133
	v_add_f32_e32 v8, v19, v55
	v_min3_f32 v48, v12, v9, v56
	v_min3_f32 v49, v16, v13, v57
	v_dual_add_f32 v9, v18, v54 :: v_dual_add_f32 v12, v15, v55
	v_dual_add_f32 v13, v14, v54 :: v_dual_add_f32 v16, v11, v55
	v_min3_f32 v124, v162, v161, v124
	v_min3_f32 v52, v20, v17, v129
	;; [unrolled: 1-line block ×3, first 2 shown]
	v_dual_add_f32 v17, v10, v54 :: v_dual_add_f32 v20, v7, v55
	v_add_f32_e32 v21, v6, v54
	v_add_f32_e32 v57, v3, v55
	v_min3_f32 v53, v9, v8, v127
	v_min3_f32 v54, v13, v12, v126
	v_dual_add_f32 v12, v34, v50 :: v_dual_add_f32 v9, v35, v51
	v_min3_f32 v55, v17, v16, v125
	v_add_f32_e32 v16, v30, v50
	v_min3_f32 v8, v58, v57, v122
	v_add_f32_e32 v13, v31, v51
	v_dual_add_f32 v17, v27, v51 :: v_dual_add_f32 v60, v18, v50
	v_min3_f32 v57, v12, v9, v123
	v_add_f32_e32 v12, v11, v51
	v_min3_f32 v56, v21, v20, v124
	v_dual_add_f32 v20, v26, v50 :: v_dual_add_f32 v21, v19, v51
	v_dual_add_f32 v62, v14, v50 :: v_dual_add_f32 v61, v15, v51
	v_min3_f32 v58, v16, v13, v120
	s_delay_alu instid0(VALU_DEP_3) | instskip(NEXT) | instid1(VALU_DEP_4)
	v_min3_f32 v59, v20, v17, v119
	v_min3_f32 v60, v60, v21, v118
	v_dual_add_f32 v13, v10, v50 :: v_dual_add_f32 v16, v7, v51
	v_dual_add_f32 v17, v6, v50 :: v_dual_add_f32 v20, v3, v51
	v_add_f32_e32 v21, v2, v50
	v_dual_add_f32 v63, v34, v46 :: v_dual_add_f32 v78, v31, v47
	v_dual_add_f32 v79, v30, v46 :: v_dual_add_f32 v80, v11, v47
	v_min3_f32 v50, v13, v12, v116
	v_min3_f32 v51, v17, v16, v115
	v_add_f32_e32 v13, v27, v47
	s_delay_alu instid0(VALU_DEP_4)
	v_min3_f32 v12, v79, v78, v112
	v_add_f32_e32 v16, v26, v46
	v_min3_f32 v9, v62, v61, v117
	v_add_f32_e32 v62, v35, v47
	v_min3_f32 v61, v21, v20, v114
	v_dual_add_f32 v20, v18, v46 :: v_dual_add_f32 v17, v19, v47
	v_dual_add_f32 v21, v15, v47 :: v_dual_add_f32 v84, v26, v42
	;; [unrolled: 1-line block ×3, first 2 shown]
	v_add_f32_e32 v81, v10, v46
	v_add_f32_e32 v83, v6, v46
	v_min3_f32 v62, v63, v62, v113
	v_min3_f32 v63, v16, v13, v111
	;; [unrolled: 1-line block ×3, first 2 shown]
	v_add_f32_e32 v16, v3, v47
	v_min3_f32 v80, v81, v80, v108
	v_min3_f32 v13, v83, v82, v107
	v_add_f32_e32 v21, v34, v42
	v_dual_add_f32 v81, v31, v43 :: v_dual_add_f32 v86, v18, v42
	v_add_f32_e32 v82, v30, v42
	v_min3_f32 v78, v20, v17, v110
	v_dual_add_f32 v17, v2, v46 :: v_dual_add_f32 v20, v35, v43
	v_add_f32_e32 v83, v27, v43
	v_add_f32_e32 v85, v19, v43
	v_min3_f32 v81, v82, v81, v104
	v_dual_add_f32 v87, v2, v42 :: v_dual_add_f32 v88, v35, v39
	s_delay_alu instid0(VALU_DEP_4)
	v_min3_f32 v82, v84, v83, v103
	v_dual_add_f32 v83, v10, v42 :: v_dual_add_f32 v84, v7, v43
	v_min3_f32 v46, v17, v16, v106
	v_min3_f32 v16, v86, v85, v102
	v_add_f32_e32 v17, v15, v43
	v_dual_add_f32 v85, v6, v42 :: v_dual_add_f32 v86, v3, v43
	v_min3_f32 v47, v21, v20, v105
	v_dual_add_f32 v20, v14, v42 :: v_dual_add_f32 v21, v11, v43
	v_add_f32_e32 v102, v34, v38
	v_dual_add_f32 v34, v34, v22 :: v_dual_add_f32 v35, v35, v23
	s_delay_alu instid0(VALU_DEP_3) | instskip(NEXT) | instid1(VALU_DEP_4)
	v_min3_f32 v42, v20, v17, v101
	v_min3_f32 v43, v83, v21, v100
	s_delay_alu instid0(VALU_DEP_4)
	v_min3_f32 v17, v102, v88, v97
	v_add_f32_e32 v20, v31, v39
	v_min3_f32 v83, v85, v84, v99
	v_min3_f32 v84, v87, v86, v98
	v_dual_add_f32 v21, v30, v38 :: v_dual_add_f32 v88, v19, v39
	v_dual_add_f32 v86, v27, v39 :: v_dual_add_f32 v87, v26, v38
	;; [unrolled: 1-line block ×4, first 2 shown]
	v_add_f32_e32 v101, v10, v38
	v_min3_f32 v85, v21, v20, v96
	v_min3_f32 v86, v87, v86, v95
	;; [unrolled: 1-line block ×3, first 2 shown]
	v_dual_add_f32 v21, v7, v39 :: v_dual_add_f32 v18, v18, v22
	v_dual_add_f32 v39, v3, v39 :: v_dual_add_f32 v14, v14, v22
	v_add_f32_e32 v31, v31, v23
	v_add_f32_e32 v94, v27, v23
	v_min3_f32 v88, v99, v98, v93
	v_add_f32_e32 v93, v30, v22
	v_add_f32_e32 v95, v26, v22
	;; [unrolled: 1-line block ×4, first 2 shown]
	v_dual_add_f32 v11, v11, v23 :: v_dual_add_f32 v10, v10, v22
	v_min3_f32 v30, v34, v35, v131
	v_add_f32_e32 v34, v7, v23
	v_min3_f32 v20, v101, v100, v91
	v_add_f32_e32 v91, v6, v38
	v_add_f32_e32 v38, v2, v38
	;; [unrolled: 1-line block ×5, first 2 shown]
	v_min3_f32 v26, v91, v21, v90
	v_min3_f32 v27, v38, v39, v89
	;; [unrolled: 1-line block ×9, first 2 shown]
	s_or_b32 s6, s5, s6
	s_delay_alu instid0(SALU_CYCLE_1) | instskip(NEXT) | instid1(SALU_CYCLE_1)
	s_xor_b32 s6, s6, -1
	s_and_saveexec_b32 s7, s6
	s_cbranch_execz .LBB70_31
; %bb.51:                               ;   in Loop: Header=BB70_32 Depth=1
	v_add_co_u32 v14, s6, v150, v68
	s_delay_alu instid0(VALU_DEP_1)
	v_add_co_ci_u32_e64 v15, s6, v151, v69, s6
	flat_load_b32 v155, v[14:15] offset:768
	s_branch .LBB70_31
.LBB70_52:
	s_clause 0x2
	s_load_b64 s[2:3], s[0:1], 0x70
	s_load_b32 s18, s[0:1], 0x50
	s_load_b32 s9, s[0:1], 0x68
	ds_load_b128 v[32:35], v75 offset:9216
	ds_load_b128 v[28:31], v75 offset:9344
	;; [unrolled: 1-line block ×12, first 2 shown]
	v_add_nc_u32_e32 v130, s28, v73
	ds_load_b128 v[44:47], v76 offset:6144
	ds_load_b128 v[40:43], v76 offset:6656
	;; [unrolled: 1-line block ×4, first 2 shown]
	v_cndmask_b32_e64 v121, 0, 1, s26
	v_cmp_gt_i32_e64 s8, s17, v130
	s_waitcnt lgkmcnt(0)
	s_mul_i32 s0, s15, s3
	v_mad_i64_i32 v[64:65], null, v130, s18, 0
	v_mad_i64_i32 v[66:67], null, v130, s9, 0
	s_mul_hi_u32 s1, s15, s2
	s_mul_i32 s3, s27, s2
	s_add_i32 s1, s1, s0
	s_mul_i32 s0, s15, s2
	s_delay_alu instid0(VALU_DEP_2) | instskip(SKIP_1) | instid1(VALU_DEP_2)
	v_lshlrev_b64 v[68:69], 2, v[64:65]
	s_add_i32 s1, s1, s3
	v_lshlrev_b64 v[65:66], 2, v[66:67]
	v_add_nc_u32_e32 v64, s14, v72
	s_lshl_b64 s[0:1], s[0:1], 2
	s_delay_alu instid0(SALU_CYCLE_1)
	s_add_u32 s10, s10, s0
	v_add_co_u32 v146, vcc_lo, s12, v68
	v_add_co_ci_u32_e32 v147, vcc_lo, s13, v69, vcc_lo
	s_addc_u32 s11, s11, s1
	v_add_co_u32 v144, vcc_lo, s10, v65
	v_cmp_gt_i32_e64 s0, s16, v64
	v_add_co_ci_u32_e32 v145, vcc_lo, s11, v66, vcc_lo
	v_ashrrev_i32_e32 v65, 31, v64
	s_delay_alu instid0(VALU_DEP_3) | instskip(NEXT) | instid1(SALU_CYCLE_1)
	s_and_b32 s2, s0, s8
	s_and_saveexec_b32 s1, s2
	s_cbranch_execz .LBB70_57
; %bb.53:
	s_delay_alu instid0(VALU_DEP_1)
	v_lshlrev_b64 v[66:67], 2, v[64:65]
	s_and_not1_b32 vcc_lo, exec_lo, s26
	s_cbranch_vccnz .LBB70_55
; %bb.54:
	s_delay_alu instid0(VALU_DEP_1) | instskip(NEXT) | instid1(VALU_DEP_2)
	v_add_co_u32 v68, vcc_lo, v146, v66
	v_add_co_ci_u32_e32 v69, vcc_lo, v147, v67, vcc_lo
	flat_load_b32 v68, v[68:69]
	s_waitcnt vmcnt(0) lgkmcnt(0)
	v_mul_f32_e32 v68, s19, v68
	s_branch .LBB70_56
.LBB70_55:
	v_mov_b32_e32 v68, 0
.LBB70_56:
	v_dual_add_f32 v69, v33, v61 :: v_dual_add_f32 v70, v32, v60
	v_dual_add_f32 v71, v35, v63 :: v_dual_add_f32 v72, v34, v62
	v_add_co_u32 v66, vcc_lo, v144, v66
	s_delay_alu instid0(VALU_DEP_3) | instskip(SKIP_1) | instid1(VALU_DEP_4)
	v_min3_f32 v69, v70, v69, v143
	v_add_co_ci_u32_e32 v67, vcc_lo, v145, v67, vcc_lo
	v_min_f32_e32 v70, v72, v71
	s_delay_alu instid0(VALU_DEP_1)
	v_min3_f32 v68, v68, v70, v69
	global_store_b32 v[66:67], v68, off
.LBB70_57:
	s_or_b32 exec_lo, exec_lo, s1
	v_add_nc_u32_e32 v66, 8, v64
	s_delay_alu instid0(VALU_DEP_1) | instskip(SKIP_1) | instid1(VALU_DEP_2)
	v_cmp_gt_i32_e64 s1, s16, v66
	v_ashrrev_i32_e32 v67, 31, v66
	s_and_b32 s3, s1, s8
	s_delay_alu instid0(SALU_CYCLE_1)
	s_and_saveexec_b32 s2, s3
	s_cbranch_execz .LBB70_62
; %bb.58:
	v_cmp_ne_u32_e32 vcc_lo, 1, v121
	v_lshlrev_b64 v[68:69], 2, v[66:67]
	s_cbranch_vccnz .LBB70_60
; %bb.59:
	s_delay_alu instid0(VALU_DEP_1) | instskip(NEXT) | instid1(VALU_DEP_2)
	v_add_co_u32 v70, vcc_lo, v146, v68
	v_add_co_ci_u32_e32 v71, vcc_lo, v147, v69, vcc_lo
	flat_load_b32 v70, v[70:71]
	s_waitcnt vmcnt(0) lgkmcnt(0)
	v_mul_f32_e32 v70, s19, v70
	s_branch .LBB70_61
.LBB70_60:
	v_mov_b32_e32 v70, 0
.LBB70_61:
	v_dual_add_f32 v71, v29, v61 :: v_dual_add_f32 v72, v28, v60
	v_dual_add_f32 v73, v31, v63 :: v_dual_add_f32 v74, v30, v62
	s_delay_alu instid0(VALU_DEP_4) | instskip(NEXT) | instid1(VALU_DEP_3)
	v_add_co_u32 v68, vcc_lo, v144, v68
	v_min3_f32 v71, v72, v71, v142
	v_add_co_ci_u32_e32 v69, vcc_lo, v145, v69, vcc_lo
	s_delay_alu instid0(VALU_DEP_4) | instskip(NEXT) | instid1(VALU_DEP_1)
	v_min_f32_e32 v72, v74, v73
	v_min3_f32 v70, v70, v72, v71
	global_store_b32 v[68:69], v70, off
.LBB70_62:
	s_or_b32 exec_lo, exec_lo, s2
	v_add_nc_u32_e32 v68, 16, v64
	s_delay_alu instid0(VALU_DEP_1) | instskip(SKIP_1) | instid1(VALU_DEP_2)
	v_cmp_gt_i32_e64 s2, s16, v68
	v_ashrrev_i32_e32 v69, 31, v68
	s_and_b32 s4, s2, s8
	s_delay_alu instid0(SALU_CYCLE_1)
	s_and_saveexec_b32 s3, s4
	s_cbranch_execz .LBB70_67
; %bb.63:
	v_cmp_ne_u32_e32 vcc_lo, 1, v121
	v_lshlrev_b64 v[70:71], 2, v[68:69]
	s_cbranch_vccnz .LBB70_65
; %bb.64:
	s_delay_alu instid0(VALU_DEP_1) | instskip(NEXT) | instid1(VALU_DEP_2)
	v_add_co_u32 v72, vcc_lo, v146, v70
	v_add_co_ci_u32_e32 v73, vcc_lo, v147, v71, vcc_lo
	flat_load_b32 v72, v[72:73]
	s_waitcnt vmcnt(0) lgkmcnt(0)
	v_mul_f32_e32 v72, s19, v72
	s_branch .LBB70_66
.LBB70_65:
	v_mov_b32_e32 v72, 0
.LBB70_66:
	v_dual_add_f32 v73, v25, v61 :: v_dual_add_f32 v74, v24, v60
	v_dual_add_f32 v75, v27, v63 :: v_dual_add_f32 v76, v26, v62
	s_delay_alu instid0(VALU_DEP_4) | instskip(NEXT) | instid1(VALU_DEP_3)
	v_add_co_u32 v70, vcc_lo, v144, v70
	v_min3_f32 v73, v74, v73, v141
	v_add_co_ci_u32_e32 v71, vcc_lo, v145, v71, vcc_lo
	s_delay_alu instid0(VALU_DEP_4) | instskip(NEXT) | instid1(VALU_DEP_1)
	v_min_f32_e32 v74, v76, v75
	v_min3_f32 v72, v72, v74, v73
	global_store_b32 v[70:71], v72, off
.LBB70_67:
	s_or_b32 exec_lo, exec_lo, s3
	v_add_nc_u32_e32 v70, 24, v64
	s_delay_alu instid0(VALU_DEP_1) | instskip(SKIP_1) | instid1(VALU_DEP_2)
	v_cmp_gt_i32_e64 s3, s16, v70
	v_ashrrev_i32_e32 v71, 31, v70
	s_and_b32 s5, s3, s8
	s_delay_alu instid0(SALU_CYCLE_1)
	s_and_saveexec_b32 s4, s5
	s_cbranch_execz .LBB70_72
; %bb.68:
	v_cmp_ne_u32_e32 vcc_lo, 1, v121
	v_lshlrev_b64 v[72:73], 2, v[70:71]
	s_cbranch_vccnz .LBB70_70
; %bb.69:
	s_delay_alu instid0(VALU_DEP_1) | instskip(NEXT) | instid1(VALU_DEP_2)
	v_add_co_u32 v74, vcc_lo, v146, v72
	v_add_co_ci_u32_e32 v75, vcc_lo, v147, v73, vcc_lo
	flat_load_b32 v74, v[74:75]
	s_waitcnt vmcnt(0) lgkmcnt(0)
	v_mul_f32_e32 v74, s19, v74
	s_branch .LBB70_71
.LBB70_70:
	v_mov_b32_e32 v74, 0
.LBB70_71:
	v_dual_add_f32 v75, v21, v61 :: v_dual_add_f32 v76, v20, v60
	v_add_f32_e32 v77, v23, v63
	v_add_f32_e32 v141, v22, v62
	v_add_co_u32 v72, vcc_lo, v144, v72
	s_delay_alu instid0(VALU_DEP_4) | instskip(SKIP_1) | instid1(VALU_DEP_4)
	v_min3_f32 v75, v76, v75, v81
	v_add_co_ci_u32_e32 v73, vcc_lo, v145, v73, vcc_lo
	v_min_f32_e32 v76, v141, v77
	s_delay_alu instid0(VALU_DEP_1)
	v_min3_f32 v74, v74, v76, v75
	global_store_b32 v[72:73], v74, off
.LBB70_72:
	s_or_b32 exec_lo, exec_lo, s4
	v_add_nc_u32_e32 v72, 32, v64
	s_delay_alu instid0(VALU_DEP_1) | instskip(SKIP_1) | instid1(VALU_DEP_2)
	v_cmp_gt_i32_e64 s4, s16, v72
	v_ashrrev_i32_e32 v73, 31, v72
	s_and_b32 s6, s4, s8
	s_delay_alu instid0(SALU_CYCLE_1)
	s_and_saveexec_b32 s5, s6
	s_cbranch_execz .LBB70_77
; %bb.73:
	v_cmp_ne_u32_e32 vcc_lo, 1, v121
	v_lshlrev_b64 v[74:75], 2, v[72:73]
	s_cbranch_vccnz .LBB70_75
; %bb.74:
	s_delay_alu instid0(VALU_DEP_1) | instskip(NEXT) | instid1(VALU_DEP_2)
	v_add_co_u32 v76, vcc_lo, v146, v74
	v_add_co_ci_u32_e32 v77, vcc_lo, v147, v75, vcc_lo
	flat_load_b32 v76, v[76:77]
	s_waitcnt vmcnt(0) lgkmcnt(0)
	v_mul_f32_e32 v76, s19, v76
	s_branch .LBB70_76
.LBB70_75:
	v_mov_b32_e32 v76, 0
.LBB70_76:
	v_dual_add_f32 v77, v17, v61 :: v_dual_add_f32 v142, v18, v62
	v_add_f32_e32 v81, v16, v60
	v_add_f32_e32 v141, v19, v63
	v_add_co_u32 v74, vcc_lo, v144, v74
	v_add_co_ci_u32_e32 v75, vcc_lo, v145, v75, vcc_lo
	s_delay_alu instid0(VALU_DEP_4) | instskip(NEXT) | instid1(VALU_DEP_4)
	v_min3_f32 v77, v81, v77, v79
	v_min_f32_e32 v79, v142, v141
	s_delay_alu instid0(VALU_DEP_1)
	v_min3_f32 v76, v76, v79, v77
	global_store_b32 v[74:75], v76, off
.LBB70_77:
	s_or_b32 exec_lo, exec_lo, s5
	v_add_nc_u32_e32 v74, 40, v64
	s_delay_alu instid0(VALU_DEP_1) | instskip(SKIP_1) | instid1(VALU_DEP_2)
	v_cmp_gt_i32_e64 s5, s16, v74
	v_ashrrev_i32_e32 v75, 31, v74
	s_and_b32 s7, s5, s8
	s_delay_alu instid0(SALU_CYCLE_1)
	s_and_saveexec_b32 s6, s7
	s_cbranch_execz .LBB70_82
; %bb.78:
	v_cmp_ne_u32_e32 vcc_lo, 1, v121
	v_lshlrev_b64 v[76:77], 2, v[74:75]
	s_cbranch_vccnz .LBB70_80
; %bb.79:
	s_delay_alu instid0(VALU_DEP_1) | instskip(NEXT) | instid1(VALU_DEP_2)
	v_add_co_u32 v141, vcc_lo, v146, v76
	v_add_co_ci_u32_e32 v142, vcc_lo, v147, v77, vcc_lo
	flat_load_b32 v79, v[141:142]
	s_waitcnt vmcnt(0) lgkmcnt(0)
	v_mul_f32_e32 v79, s19, v79
	s_branch .LBB70_81
.LBB70_80:
	v_mov_b32_e32 v79, 0
.LBB70_81:
	v_dual_add_f32 v81, v13, v61 :: v_dual_add_f32 v142, v15, v63
	v_add_f32_e32 v141, v12, v60
	v_add_f32_e32 v143, v14, v62
	v_add_co_u32 v76, vcc_lo, v144, v76
	v_add_co_ci_u32_e32 v77, vcc_lo, v145, v77, vcc_lo
	s_delay_alu instid0(VALU_DEP_4) | instskip(NEXT) | instid1(VALU_DEP_4)
	v_min3_f32 v78, v141, v81, v78
	v_min_f32_e32 v81, v143, v142
	s_delay_alu instid0(VALU_DEP_1)
	v_min3_f32 v78, v79, v81, v78
	global_store_b32 v[76:77], v78, off
.LBB70_82:
	s_or_b32 exec_lo, exec_lo, s6
	v_add_nc_u32_e32 v76, 48, v64
	s_delay_alu instid0(VALU_DEP_1) | instskip(SKIP_1) | instid1(VALU_DEP_2)
	v_cmp_gt_i32_e64 s6, s16, v76
	v_ashrrev_i32_e32 v77, 31, v76
	s_and_b32 s14, s6, s8
	s_delay_alu instid0(SALU_CYCLE_1)
	s_and_saveexec_b32 s7, s14
	s_cbranch_execz .LBB70_87
; %bb.83:
	v_cmp_ne_u32_e32 vcc_lo, 1, v121
	v_lshlrev_b64 v[78:79], 2, v[76:77]
	s_cbranch_vccnz .LBB70_85
; %bb.84:
	s_delay_alu instid0(VALU_DEP_1) | instskip(NEXT) | instid1(VALU_DEP_2)
	v_add_co_u32 v141, vcc_lo, v146, v78
	v_add_co_ci_u32_e32 v142, vcc_lo, v147, v79, vcc_lo
	flat_load_b32 v81, v[141:142]
	s_waitcnt vmcnt(0) lgkmcnt(0)
	v_mul_f32_e32 v81, s19, v81
	s_branch .LBB70_86
.LBB70_85:
	v_mov_b32_e32 v81, 0
.LBB70_86:
	v_dual_add_f32 v141, v9, v61 :: v_dual_add_f32 v142, v8, v60
	v_dual_add_f32 v143, v11, v63 :: v_dual_add_f32 v148, v10, v62
	s_delay_alu instid0(VALU_DEP_4) | instskip(NEXT) | instid1(VALU_DEP_3)
	v_add_co_u32 v78, vcc_lo, v144, v78
	v_min3_f32 v80, v142, v141, v80
	v_add_co_ci_u32_e32 v79, vcc_lo, v145, v79, vcc_lo
	s_delay_alu instid0(VALU_DEP_4) | instskip(NEXT) | instid1(VALU_DEP_1)
	v_min_f32_e32 v141, v148, v143
	v_min3_f32 v80, v81, v141, v80
	global_store_b32 v[78:79], v80, off
.LBB70_87:
	s_or_b32 exec_lo, exec_lo, s7
	v_add_nc_u32_e32 v78, 56, v64
	s_delay_alu instid0(VALU_DEP_1) | instskip(SKIP_1) | instid1(VALU_DEP_2)
	v_cmp_gt_i32_e64 s7, s16, v78
	v_ashrrev_i32_e32 v79, 31, v78
	s_and_b32 s14, s7, s8
	s_delay_alu instid0(SALU_CYCLE_1)
	s_and_saveexec_b32 s8, s14
	s_cbranch_execz .LBB70_92
; %bb.88:
	v_cmp_ne_u32_e32 vcc_lo, 1, v121
	v_lshlrev_b64 v[80:81], 2, v[78:79]
	s_cbranch_vccnz .LBB70_90
; %bb.89:
	s_delay_alu instid0(VALU_DEP_1) | instskip(NEXT) | instid1(VALU_DEP_2)
	v_add_co_u32 v141, vcc_lo, v146, v80
	v_add_co_ci_u32_e32 v142, vcc_lo, v147, v81, vcc_lo
	flat_load_b32 v141, v[141:142]
	s_waitcnt vmcnt(0) lgkmcnt(0)
	v_mul_f32_e32 v141, s19, v141
	s_branch .LBB70_91
.LBB70_90:
	v_mov_b32_e32 v141, 0
.LBB70_91:
	v_dual_add_f32 v61, v1, v61 :: v_dual_add_f32 v60, v0, v60
	v_dual_add_f32 v63, v3, v63 :: v_dual_add_f32 v62, v2, v62
	s_delay_alu instid0(VALU_DEP_2) | instskip(NEXT) | instid1(VALU_DEP_2)
	v_min3_f32 v60, v60, v61, v140
	v_min_f32_e32 v61, v62, v63
	s_delay_alu instid0(VALU_DEP_1)
	v_min3_f32 v62, v141, v61, v60
	v_add_co_u32 v60, vcc_lo, v144, v80
	v_add_co_ci_u32_e32 v61, vcc_lo, v145, v81, vcc_lo
	global_store_b32 v[60:61], v62, off
.LBB70_92:
	s_or_b32 exec_lo, exec_lo, s8
	v_add_nc_u32_e32 v80, 32, v130
	s_delay_alu instid0(VALU_DEP_1) | instskip(SKIP_2) | instid1(VALU_DEP_3)
	v_mad_i64_i32 v[60:61], null, v80, s18, 0
	v_mad_i64_i32 v[62:63], null, v80, s9, 0
	v_cmp_gt_i32_e64 s8, s17, v80
	v_lshlrev_b64 v[60:61], 2, v[60:61]
	s_delay_alu instid0(VALU_DEP_2) | instskip(NEXT) | instid1(VALU_DEP_3)
	s_and_b32 s15, s0, s8
	v_lshlrev_b64 v[62:63], 2, v[62:63]
	s_delay_alu instid0(VALU_DEP_2) | instskip(NEXT) | instid1(VALU_DEP_3)
	v_add_co_u32 v80, vcc_lo, s12, v60
	v_add_co_ci_u32_e32 v81, vcc_lo, s13, v61, vcc_lo
	s_delay_alu instid0(VALU_DEP_3) | instskip(NEXT) | instid1(VALU_DEP_4)
	v_add_co_u32 v62, vcc_lo, s10, v62
	v_add_co_ci_u32_e32 v63, vcc_lo, s11, v63, vcc_lo
	s_and_saveexec_b32 s14, s15
	s_cbranch_execnz .LBB70_100
; %bb.93:
	s_or_b32 exec_lo, exec_lo, s14
	s_and_b32 s15, s1, s8
	s_delay_alu instid0(SALU_CYCLE_1)
	s_and_saveexec_b32 s14, s15
	s_cbranch_execnz .LBB70_104
.LBB70_94:
	s_or_b32 exec_lo, exec_lo, s14
	s_and_b32 s15, s2, s8
	s_delay_alu instid0(SALU_CYCLE_1)
	s_and_saveexec_b32 s14, s15
	s_cbranch_execnz .LBB70_108
.LBB70_95:
	s_or_b32 exec_lo, exec_lo, s14
	s_and_b32 s15, s3, s8
	s_delay_alu instid0(SALU_CYCLE_1)
	s_and_saveexec_b32 s14, s15
	s_cbranch_execnz .LBB70_112
.LBB70_96:
	s_or_b32 exec_lo, exec_lo, s14
	s_and_b32 s15, s4, s8
	s_delay_alu instid0(SALU_CYCLE_1)
	s_and_saveexec_b32 s14, s15
	s_cbranch_execnz .LBB70_116
.LBB70_97:
	s_or_b32 exec_lo, exec_lo, s14
	s_and_b32 s15, s5, s8
	s_delay_alu instid0(SALU_CYCLE_1)
	s_and_saveexec_b32 s14, s15
	s_cbranch_execnz .LBB70_120
.LBB70_98:
	s_or_b32 exec_lo, exec_lo, s14
	s_and_b32 s15, s6, s8
	s_delay_alu instid0(SALU_CYCLE_1)
	s_and_saveexec_b32 s14, s15
	s_cbranch_execnz .LBB70_124
.LBB70_99:
	s_or_b32 exec_lo, exec_lo, s14
	s_and_b32 s14, s7, s8
	s_delay_alu instid0(SALU_CYCLE_1)
	s_and_saveexec_b32 s8, s14
	s_cbranch_execnz .LBB70_128
	s_branch .LBB70_132
.LBB70_100:
	v_cmp_ne_u32_e32 vcc_lo, 1, v121
	v_lshlrev_b64 v[60:61], 2, v[64:65]
	s_cbranch_vccnz .LBB70_102
; %bb.101:
	s_delay_alu instid0(VALU_DEP_1) | instskip(NEXT) | instid1(VALU_DEP_2)
	v_add_co_u32 v140, vcc_lo, v80, v60
	v_add_co_ci_u32_e32 v141, vcc_lo, v81, v61, vcc_lo
	flat_load_b32 v140, v[140:141]
	s_waitcnt vmcnt(0) lgkmcnt(0)
	v_mul_f32_e32 v140, s19, v140
	s_branch .LBB70_103
.LBB70_102:
	v_mov_b32_e32 v140, 0
.LBB70_103:
	v_dual_add_f32 v141, v33, v57 :: v_dual_add_f32 v142, v32, v56
	v_dual_add_f32 v143, v35, v59 :: v_dual_add_f32 v144, v34, v58
	s_delay_alu instid0(VALU_DEP_4) | instskip(NEXT) | instid1(VALU_DEP_3)
	v_add_co_u32 v60, vcc_lo, v62, v60
	v_min3_f32 v139, v142, v141, v139
	v_add_co_ci_u32_e32 v61, vcc_lo, v63, v61, vcc_lo
	s_delay_alu instid0(VALU_DEP_4) | instskip(NEXT) | instid1(VALU_DEP_1)
	v_min_f32_e32 v141, v144, v143
	v_min3_f32 v139, v140, v141, v139
	global_store_b32 v[60:61], v139, off
	s_or_b32 exec_lo, exec_lo, s14
	s_and_b32 s15, s1, s8
	s_delay_alu instid0(SALU_CYCLE_1)
	s_and_saveexec_b32 s14, s15
	s_cbranch_execz .LBB70_94
.LBB70_104:
	v_cmp_ne_u32_e32 vcc_lo, 1, v121
	v_lshlrev_b64 v[60:61], 2, v[66:67]
	s_cbranch_vccnz .LBB70_106
; %bb.105:
	s_delay_alu instid0(VALU_DEP_1) | instskip(NEXT) | instid1(VALU_DEP_2)
	v_add_co_u32 v139, vcc_lo, v80, v60
	v_add_co_ci_u32_e32 v140, vcc_lo, v81, v61, vcc_lo
	flat_load_b32 v139, v[139:140]
	s_waitcnt vmcnt(0) lgkmcnt(0)
	v_mul_f32_e32 v139, s19, v139
	s_branch .LBB70_107
.LBB70_106:
	v_mov_b32_e32 v139, 0
.LBB70_107:
	v_dual_add_f32 v140, v29, v57 :: v_dual_add_f32 v141, v28, v56
	v_dual_add_f32 v142, v31, v59 :: v_dual_add_f32 v143, v30, v58
	s_delay_alu instid0(VALU_DEP_4) | instskip(NEXT) | instid1(VALU_DEP_3)
	v_add_co_u32 v60, vcc_lo, v62, v60
	v_min3_f32 v138, v141, v140, v138
	v_add_co_ci_u32_e32 v61, vcc_lo, v63, v61, vcc_lo
	s_delay_alu instid0(VALU_DEP_4) | instskip(NEXT) | instid1(VALU_DEP_1)
	v_min_f32_e32 v140, v143, v142
	v_min3_f32 v138, v139, v140, v138
	global_store_b32 v[60:61], v138, off
	s_or_b32 exec_lo, exec_lo, s14
	s_and_b32 s15, s2, s8
	s_delay_alu instid0(SALU_CYCLE_1)
	s_and_saveexec_b32 s14, s15
	s_cbranch_execz .LBB70_95
.LBB70_108:
	v_cmp_ne_u32_e32 vcc_lo, 1, v121
	v_lshlrev_b64 v[60:61], 2, v[68:69]
	s_cbranch_vccnz .LBB70_110
; %bb.109:
	s_delay_alu instid0(VALU_DEP_1) | instskip(NEXT) | instid1(VALU_DEP_2)
	v_add_co_u32 v138, vcc_lo, v80, v60
	v_add_co_ci_u32_e32 v139, vcc_lo, v81, v61, vcc_lo
	flat_load_b32 v138, v[138:139]
	s_waitcnt vmcnt(0) lgkmcnt(0)
	v_mul_f32_e32 v138, s19, v138
	s_branch .LBB70_111
.LBB70_110:
	v_mov_b32_e32 v138, 0
.LBB70_111:
	v_dual_add_f32 v139, v25, v57 :: v_dual_add_f32 v140, v24, v56
	v_dual_add_f32 v141, v27, v59 :: v_dual_add_f32 v142, v26, v58
	s_delay_alu instid0(VALU_DEP_4) | instskip(NEXT) | instid1(VALU_DEP_3)
	v_add_co_u32 v60, vcc_lo, v62, v60
	v_min3_f32 v137, v140, v139, v137
	v_add_co_ci_u32_e32 v61, vcc_lo, v63, v61, vcc_lo
	s_delay_alu instid0(VALU_DEP_4) | instskip(NEXT) | instid1(VALU_DEP_1)
	v_min_f32_e32 v139, v142, v141
	v_min3_f32 v137, v138, v139, v137
	global_store_b32 v[60:61], v137, off
	s_or_b32 exec_lo, exec_lo, s14
	s_and_b32 s15, s3, s8
	s_delay_alu instid0(SALU_CYCLE_1)
	s_and_saveexec_b32 s14, s15
	s_cbranch_execz .LBB70_96
.LBB70_112:
	v_cmp_ne_u32_e32 vcc_lo, 1, v121
	v_lshlrev_b64 v[60:61], 2, v[70:71]
	s_cbranch_vccnz .LBB70_114
; %bb.113:
	s_delay_alu instid0(VALU_DEP_1) | instskip(NEXT) | instid1(VALU_DEP_2)
	v_add_co_u32 v137, vcc_lo, v80, v60
	v_add_co_ci_u32_e32 v138, vcc_lo, v81, v61, vcc_lo
	flat_load_b32 v137, v[137:138]
	s_waitcnt vmcnt(0) lgkmcnt(0)
	v_mul_f32_e32 v137, s19, v137
	s_branch .LBB70_115
.LBB70_114:
	v_mov_b32_e32 v137, 0
.LBB70_115:
	v_dual_add_f32 v138, v21, v57 :: v_dual_add_f32 v139, v20, v56
	v_dual_add_f32 v140, v23, v59 :: v_dual_add_f32 v141, v22, v58
	s_delay_alu instid0(VALU_DEP_4) | instskip(NEXT) | instid1(VALU_DEP_3)
	v_add_co_u32 v60, vcc_lo, v62, v60
	v_min3_f32 v136, v139, v138, v136
	v_add_co_ci_u32_e32 v61, vcc_lo, v63, v61, vcc_lo
	s_delay_alu instid0(VALU_DEP_4) | instskip(NEXT) | instid1(VALU_DEP_1)
	v_min_f32_e32 v138, v141, v140
	v_min3_f32 v136, v137, v138, v136
	global_store_b32 v[60:61], v136, off
	s_or_b32 exec_lo, exec_lo, s14
	s_and_b32 s15, s4, s8
	s_delay_alu instid0(SALU_CYCLE_1)
	s_and_saveexec_b32 s14, s15
	s_cbranch_execz .LBB70_97
.LBB70_116:
	v_cmp_ne_u32_e32 vcc_lo, 1, v121
	v_lshlrev_b64 v[60:61], 2, v[72:73]
	s_cbranch_vccnz .LBB70_118
; %bb.117:
	s_delay_alu instid0(VALU_DEP_1) | instskip(NEXT) | instid1(VALU_DEP_2)
	v_add_co_u32 v136, vcc_lo, v80, v60
	v_add_co_ci_u32_e32 v137, vcc_lo, v81, v61, vcc_lo
	flat_load_b32 v136, v[136:137]
	s_waitcnt vmcnt(0) lgkmcnt(0)
	v_mul_f32_e32 v136, s19, v136
	s_branch .LBB70_119
.LBB70_118:
	v_mov_b32_e32 v136, 0
.LBB70_119:
	v_dual_add_f32 v137, v17, v57 :: v_dual_add_f32 v138, v16, v56
	v_dual_add_f32 v139, v19, v59 :: v_dual_add_f32 v140, v18, v58
	s_delay_alu instid0(VALU_DEP_4) | instskip(NEXT) | instid1(VALU_DEP_3)
	v_add_co_u32 v60, vcc_lo, v62, v60
	v_min3_f32 v135, v138, v137, v135
	v_add_co_ci_u32_e32 v61, vcc_lo, v63, v61, vcc_lo
	s_delay_alu instid0(VALU_DEP_4) | instskip(NEXT) | instid1(VALU_DEP_1)
	v_min_f32_e32 v137, v140, v139
	v_min3_f32 v135, v136, v137, v135
	global_store_b32 v[60:61], v135, off
	s_or_b32 exec_lo, exec_lo, s14
	s_and_b32 s15, s5, s8
	s_delay_alu instid0(SALU_CYCLE_1)
	s_and_saveexec_b32 s14, s15
	s_cbranch_execz .LBB70_98
.LBB70_120:
	v_cmp_ne_u32_e32 vcc_lo, 1, v121
	v_lshlrev_b64 v[60:61], 2, v[74:75]
	s_cbranch_vccnz .LBB70_122
; %bb.121:
	s_delay_alu instid0(VALU_DEP_1) | instskip(NEXT) | instid1(VALU_DEP_2)
	v_add_co_u32 v135, vcc_lo, v80, v60
	v_add_co_ci_u32_e32 v136, vcc_lo, v81, v61, vcc_lo
	flat_load_b32 v135, v[135:136]
	s_waitcnt vmcnt(0) lgkmcnt(0)
	v_mul_f32_e32 v135, s19, v135
	s_branch .LBB70_123
.LBB70_122:
	v_mov_b32_e32 v135, 0
.LBB70_123:
	v_dual_add_f32 v136, v13, v57 :: v_dual_add_f32 v137, v12, v56
	v_dual_add_f32 v138, v15, v59 :: v_dual_add_f32 v139, v14, v58
	s_delay_alu instid0(VALU_DEP_4) | instskip(NEXT) | instid1(VALU_DEP_3)
	v_add_co_u32 v60, vcc_lo, v62, v60
	v_min3_f32 v134, v137, v136, v134
	v_add_co_ci_u32_e32 v61, vcc_lo, v63, v61, vcc_lo
	s_delay_alu instid0(VALU_DEP_4) | instskip(NEXT) | instid1(VALU_DEP_1)
	v_min_f32_e32 v136, v139, v138
	v_min3_f32 v134, v135, v136, v134
	global_store_b32 v[60:61], v134, off
	s_or_b32 exec_lo, exec_lo, s14
	s_and_b32 s15, s6, s8
	s_delay_alu instid0(SALU_CYCLE_1)
	s_and_saveexec_b32 s14, s15
	s_cbranch_execz .LBB70_99
.LBB70_124:
	v_cmp_ne_u32_e32 vcc_lo, 1, v121
	v_lshlrev_b64 v[60:61], 2, v[76:77]
	s_cbranch_vccnz .LBB70_126
; %bb.125:
	s_delay_alu instid0(VALU_DEP_1) | instskip(NEXT) | instid1(VALU_DEP_2)
	v_add_co_u32 v134, vcc_lo, v80, v60
	v_add_co_ci_u32_e32 v135, vcc_lo, v81, v61, vcc_lo
	flat_load_b32 v134, v[134:135]
	s_waitcnt vmcnt(0) lgkmcnt(0)
	v_mul_f32_e32 v134, s19, v134
	s_branch .LBB70_127
.LBB70_126:
	v_mov_b32_e32 v134, 0
.LBB70_127:
	v_dual_add_f32 v135, v9, v57 :: v_dual_add_f32 v136, v8, v56
	v_dual_add_f32 v137, v11, v59 :: v_dual_add_f32 v138, v10, v58
	s_delay_alu instid0(VALU_DEP_4) | instskip(NEXT) | instid1(VALU_DEP_3)
	v_add_co_u32 v60, vcc_lo, v62, v60
	v_min3_f32 v133, v136, v135, v133
	v_add_co_ci_u32_e32 v61, vcc_lo, v63, v61, vcc_lo
	s_delay_alu instid0(VALU_DEP_4) | instskip(NEXT) | instid1(VALU_DEP_1)
	v_min_f32_e32 v135, v138, v137
	v_min3_f32 v133, v134, v135, v133
	global_store_b32 v[60:61], v133, off
	s_or_b32 exec_lo, exec_lo, s14
	s_and_b32 s14, s7, s8
	s_delay_alu instid0(SALU_CYCLE_1)
	s_and_saveexec_b32 s8, s14
	s_cbranch_execz .LBB70_132
.LBB70_128:
	v_cmp_ne_u32_e32 vcc_lo, 1, v121
	v_lshlrev_b64 v[60:61], 2, v[78:79]
	s_cbranch_vccnz .LBB70_130
; %bb.129:
	s_delay_alu instid0(VALU_DEP_1) | instskip(NEXT) | instid1(VALU_DEP_2)
	v_add_co_u32 v80, vcc_lo, v80, v60
	v_add_co_ci_u32_e32 v81, vcc_lo, v81, v61, vcc_lo
	flat_load_b32 v80, v[80:81]
	s_waitcnt vmcnt(0) lgkmcnt(0)
	v_mul_f32_e32 v80, s19, v80
	s_branch .LBB70_131
.LBB70_130:
	v_mov_b32_e32 v80, 0
.LBB70_131:
	v_dual_add_f32 v57, v1, v57 :: v_dual_add_f32 v56, v0, v56
	v_dual_add_f32 v59, v3, v59 :: v_dual_add_f32 v58, v2, v58
	s_delay_alu instid0(VALU_DEP_2) | instskip(NEXT) | instid1(VALU_DEP_2)
	v_min3_f32 v56, v56, v57, v132
	v_min_f32_e32 v57, v58, v59
	s_delay_alu instid0(VALU_DEP_1)
	v_min3_f32 v58, v80, v57, v56
	v_add_co_u32 v56, vcc_lo, v62, v60
	v_add_co_ci_u32_e32 v57, vcc_lo, v63, v61, vcc_lo
	global_store_b32 v[56:57], v58, off
.LBB70_132:
	s_or_b32 exec_lo, exec_lo, s8
	v_add_nc_u32_e32 v60, 64, v130
	s_delay_alu instid0(VALU_DEP_1) | instskip(SKIP_2) | instid1(VALU_DEP_3)
	v_mad_i64_i32 v[56:57], null, v60, s18, 0
	v_mad_i64_i32 v[58:59], null, v60, s9, 0
	v_cmp_gt_i32_e64 s8, s17, v60
	v_lshlrev_b64 v[56:57], 2, v[56:57]
	s_delay_alu instid0(VALU_DEP_2) | instskip(NEXT) | instid1(VALU_DEP_3)
	s_and_b32 s15, s0, s8
	v_lshlrev_b64 v[58:59], 2, v[58:59]
	s_delay_alu instid0(VALU_DEP_2) | instskip(NEXT) | instid1(VALU_DEP_3)
	v_add_co_u32 v60, vcc_lo, s12, v56
	v_add_co_ci_u32_e32 v61, vcc_lo, s13, v57, vcc_lo
	s_delay_alu instid0(VALU_DEP_3) | instskip(NEXT) | instid1(VALU_DEP_4)
	v_add_co_u32 v58, vcc_lo, s10, v58
	v_add_co_ci_u32_e32 v59, vcc_lo, s11, v59, vcc_lo
	s_and_saveexec_b32 s14, s15
	s_cbranch_execnz .LBB70_140
; %bb.133:
	s_or_b32 exec_lo, exec_lo, s14
	s_and_b32 s15, s1, s8
	s_delay_alu instid0(SALU_CYCLE_1)
	s_and_saveexec_b32 s14, s15
	s_cbranch_execnz .LBB70_144
.LBB70_134:
	s_or_b32 exec_lo, exec_lo, s14
	s_and_b32 s15, s2, s8
	s_delay_alu instid0(SALU_CYCLE_1)
	s_and_saveexec_b32 s14, s15
	s_cbranch_execnz .LBB70_148
.LBB70_135:
	s_or_b32 exec_lo, exec_lo, s14
	s_and_b32 s15, s3, s8
	s_delay_alu instid0(SALU_CYCLE_1)
	s_and_saveexec_b32 s14, s15
	s_cbranch_execnz .LBB70_152
.LBB70_136:
	s_or_b32 exec_lo, exec_lo, s14
	s_and_b32 s15, s4, s8
	s_delay_alu instid0(SALU_CYCLE_1)
	s_and_saveexec_b32 s14, s15
	s_cbranch_execnz .LBB70_156
.LBB70_137:
	s_or_b32 exec_lo, exec_lo, s14
	s_and_b32 s15, s5, s8
	s_delay_alu instid0(SALU_CYCLE_1)
	s_and_saveexec_b32 s14, s15
	s_cbranch_execnz .LBB70_160
.LBB70_138:
	s_or_b32 exec_lo, exec_lo, s14
	s_and_b32 s15, s6, s8
	s_delay_alu instid0(SALU_CYCLE_1)
	s_and_saveexec_b32 s14, s15
	s_cbranch_execnz .LBB70_164
.LBB70_139:
	s_or_b32 exec_lo, exec_lo, s14
	s_and_b32 s14, s7, s8
	s_delay_alu instid0(SALU_CYCLE_1)
	s_and_saveexec_b32 s8, s14
	s_cbranch_execnz .LBB70_168
	s_branch .LBB70_172
.LBB70_140:
	v_cmp_ne_u32_e32 vcc_lo, 1, v121
	v_lshlrev_b64 v[56:57], 2, v[64:65]
	s_cbranch_vccnz .LBB70_142
; %bb.141:
	s_delay_alu instid0(VALU_DEP_1) | instskip(NEXT) | instid1(VALU_DEP_2)
	v_add_co_u32 v62, vcc_lo, v60, v56
	v_add_co_ci_u32_e32 v63, vcc_lo, v61, v57, vcc_lo
	flat_load_b32 v62, v[62:63]
	s_waitcnt vmcnt(0) lgkmcnt(0)
	v_mul_f32_e32 v62, s19, v62
	s_branch .LBB70_143
.LBB70_142:
	v_mov_b32_e32 v62, 0
.LBB70_143:
	v_dual_add_f32 v63, v33, v53 :: v_dual_add_f32 v80, v32, v52
	v_dual_add_f32 v81, v35, v55 :: v_dual_add_f32 v132, v34, v54
	s_delay_alu instid0(VALU_DEP_4) | instskip(NEXT) | instid1(VALU_DEP_3)
	v_add_co_u32 v56, vcc_lo, v58, v56
	v_min3_f32 v63, v80, v63, v131
	v_add_co_ci_u32_e32 v57, vcc_lo, v59, v57, vcc_lo
	s_delay_alu instid0(VALU_DEP_4) | instskip(NEXT) | instid1(VALU_DEP_1)
	v_min_f32_e32 v80, v132, v81
	v_min3_f32 v62, v62, v80, v63
	global_store_b32 v[56:57], v62, off
	s_or_b32 exec_lo, exec_lo, s14
	s_and_b32 s15, s1, s8
	s_delay_alu instid0(SALU_CYCLE_1)
	s_and_saveexec_b32 s14, s15
	s_cbranch_execz .LBB70_134
.LBB70_144:
	v_cmp_ne_u32_e32 vcc_lo, 1, v121
	v_lshlrev_b64 v[56:57], 2, v[66:67]
	s_cbranch_vccnz .LBB70_146
; %bb.145:
	s_delay_alu instid0(VALU_DEP_1) | instskip(NEXT) | instid1(VALU_DEP_2)
	v_add_co_u32 v62, vcc_lo, v60, v56
	v_add_co_ci_u32_e32 v63, vcc_lo, v61, v57, vcc_lo
	flat_load_b32 v62, v[62:63]
	s_waitcnt vmcnt(0) lgkmcnt(0)
	v_mul_f32_e32 v62, s19, v62
	s_branch .LBB70_147
.LBB70_146:
	v_mov_b32_e32 v62, 0
.LBB70_147:
	v_dual_add_f32 v63, v29, v53 :: v_dual_add_f32 v80, v28, v52
	v_add_f32_e32 v81, v31, v55
	v_add_f32_e32 v131, v30, v54
	v_add_co_u32 v56, vcc_lo, v58, v56
	s_delay_alu instid0(VALU_DEP_4) | instskip(SKIP_1) | instid1(VALU_DEP_4)
	v_min3_f32 v63, v80, v63, v129
	v_add_co_ci_u32_e32 v57, vcc_lo, v59, v57, vcc_lo
	v_min_f32_e32 v80, v131, v81
	s_delay_alu instid0(VALU_DEP_1) | instskip(SKIP_3) | instid1(SALU_CYCLE_1)
	v_min3_f32 v62, v62, v80, v63
	global_store_b32 v[56:57], v62, off
	s_or_b32 exec_lo, exec_lo, s14
	s_and_b32 s15, s2, s8
	s_and_saveexec_b32 s14, s15
	s_cbranch_execz .LBB70_135
.LBB70_148:
	v_cmp_ne_u32_e32 vcc_lo, 1, v121
	v_lshlrev_b64 v[56:57], 2, v[68:69]
	s_cbranch_vccnz .LBB70_150
; %bb.149:
	s_delay_alu instid0(VALU_DEP_1) | instskip(NEXT) | instid1(VALU_DEP_2)
	v_add_co_u32 v62, vcc_lo, v60, v56
	v_add_co_ci_u32_e32 v63, vcc_lo, v61, v57, vcc_lo
	flat_load_b32 v62, v[62:63]
	s_waitcnt vmcnt(0) lgkmcnt(0)
	v_mul_f32_e32 v62, s19, v62
	s_branch .LBB70_151
.LBB70_150:
	v_mov_b32_e32 v62, 0
.LBB70_151:
	v_dual_add_f32 v63, v25, v53 :: v_dual_add_f32 v80, v24, v52
	v_add_f32_e32 v81, v27, v55
	v_add_f32_e32 v129, v26, v54
	v_add_co_u32 v56, vcc_lo, v58, v56
	s_delay_alu instid0(VALU_DEP_4) | instskip(SKIP_1) | instid1(VALU_DEP_4)
	v_min3_f32 v63, v80, v63, v128
	v_add_co_ci_u32_e32 v57, vcc_lo, v59, v57, vcc_lo
	v_min_f32_e32 v80, v129, v81
	s_delay_alu instid0(VALU_DEP_1) | instskip(SKIP_3) | instid1(SALU_CYCLE_1)
	v_min3_f32 v62, v62, v80, v63
	global_store_b32 v[56:57], v62, off
	s_or_b32 exec_lo, exec_lo, s14
	s_and_b32 s15, s3, s8
	s_and_saveexec_b32 s14, s15
	s_cbranch_execz .LBB70_136
.LBB70_152:
	v_cmp_ne_u32_e32 vcc_lo, 1, v121
	v_lshlrev_b64 v[56:57], 2, v[70:71]
	s_cbranch_vccnz .LBB70_154
; %bb.153:
	s_delay_alu instid0(VALU_DEP_1) | instskip(NEXT) | instid1(VALU_DEP_2)
	v_add_co_u32 v62, vcc_lo, v60, v56
	v_add_co_ci_u32_e32 v63, vcc_lo, v61, v57, vcc_lo
	flat_load_b32 v62, v[62:63]
	s_waitcnt vmcnt(0) lgkmcnt(0)
	v_mul_f32_e32 v62, s19, v62
	s_branch .LBB70_155
.LBB70_154:
	v_mov_b32_e32 v62, 0
.LBB70_155:
	v_dual_add_f32 v63, v21, v53 :: v_dual_add_f32 v80, v20, v52
	v_dual_add_f32 v81, v23, v55 :: v_dual_add_f32 v128, v22, v54
	s_delay_alu instid0(VALU_DEP_4) | instskip(NEXT) | instid1(VALU_DEP_3)
	v_add_co_u32 v56, vcc_lo, v58, v56
	v_min3_f32 v63, v80, v63, v127
	v_add_co_ci_u32_e32 v57, vcc_lo, v59, v57, vcc_lo
	s_delay_alu instid0(VALU_DEP_4) | instskip(NEXT) | instid1(VALU_DEP_1)
	v_min_f32_e32 v80, v128, v81
	v_min3_f32 v62, v62, v80, v63
	global_store_b32 v[56:57], v62, off
	s_or_b32 exec_lo, exec_lo, s14
	s_and_b32 s15, s4, s8
	s_delay_alu instid0(SALU_CYCLE_1)
	s_and_saveexec_b32 s14, s15
	s_cbranch_execz .LBB70_137
.LBB70_156:
	v_cmp_ne_u32_e32 vcc_lo, 1, v121
	v_lshlrev_b64 v[56:57], 2, v[72:73]
	s_cbranch_vccnz .LBB70_158
; %bb.157:
	s_delay_alu instid0(VALU_DEP_1) | instskip(NEXT) | instid1(VALU_DEP_2)
	v_add_co_u32 v62, vcc_lo, v60, v56
	v_add_co_ci_u32_e32 v63, vcc_lo, v61, v57, vcc_lo
	flat_load_b32 v62, v[62:63]
	s_waitcnt vmcnt(0) lgkmcnt(0)
	v_mul_f32_e32 v62, s19, v62
	s_branch .LBB70_159
.LBB70_158:
	v_mov_b32_e32 v62, 0
.LBB70_159:
	v_dual_add_f32 v63, v17, v53 :: v_dual_add_f32 v80, v16, v52
	v_add_f32_e32 v81, v19, v55
	v_add_f32_e32 v127, v18, v54
	v_add_co_u32 v56, vcc_lo, v58, v56
	s_delay_alu instid0(VALU_DEP_4) | instskip(SKIP_1) | instid1(VALU_DEP_4)
	v_min3_f32 v63, v80, v63, v126
	v_add_co_ci_u32_e32 v57, vcc_lo, v59, v57, vcc_lo
	v_min_f32_e32 v80, v127, v81
	s_delay_alu instid0(VALU_DEP_1) | instskip(SKIP_3) | instid1(SALU_CYCLE_1)
	v_min3_f32 v62, v62, v80, v63
	global_store_b32 v[56:57], v62, off
	s_or_b32 exec_lo, exec_lo, s14
	s_and_b32 s15, s5, s8
	s_and_saveexec_b32 s14, s15
	s_cbranch_execz .LBB70_138
.LBB70_160:
	v_cmp_ne_u32_e32 vcc_lo, 1, v121
	v_lshlrev_b64 v[56:57], 2, v[74:75]
	s_cbranch_vccnz .LBB70_162
; %bb.161:
	s_delay_alu instid0(VALU_DEP_1) | instskip(NEXT) | instid1(VALU_DEP_2)
	v_add_co_u32 v62, vcc_lo, v60, v56
	v_add_co_ci_u32_e32 v63, vcc_lo, v61, v57, vcc_lo
	flat_load_b32 v62, v[62:63]
	s_waitcnt vmcnt(0) lgkmcnt(0)
	v_mul_f32_e32 v62, s19, v62
	s_branch .LBB70_163
.LBB70_162:
	v_mov_b32_e32 v62, 0
.LBB70_163:
	v_dual_add_f32 v63, v13, v53 :: v_dual_add_f32 v80, v12, v52
	v_dual_add_f32 v81, v15, v55 :: v_dual_add_f32 v126, v14, v54
	s_delay_alu instid0(VALU_DEP_4) | instskip(NEXT) | instid1(VALU_DEP_3)
	v_add_co_u32 v56, vcc_lo, v58, v56
	v_min3_f32 v63, v80, v63, v125
	v_add_co_ci_u32_e32 v57, vcc_lo, v59, v57, vcc_lo
	s_delay_alu instid0(VALU_DEP_4) | instskip(NEXT) | instid1(VALU_DEP_1)
	v_min_f32_e32 v80, v126, v81
	v_min3_f32 v62, v62, v80, v63
	global_store_b32 v[56:57], v62, off
	s_or_b32 exec_lo, exec_lo, s14
	s_and_b32 s15, s6, s8
	s_delay_alu instid0(SALU_CYCLE_1)
	s_and_saveexec_b32 s14, s15
	s_cbranch_execz .LBB70_139
.LBB70_164:
	v_cmp_ne_u32_e32 vcc_lo, 1, v121
	v_lshlrev_b64 v[56:57], 2, v[76:77]
	s_cbranch_vccnz .LBB70_166
; %bb.165:
	s_delay_alu instid0(VALU_DEP_1) | instskip(NEXT) | instid1(VALU_DEP_2)
	v_add_co_u32 v62, vcc_lo, v60, v56
	v_add_co_ci_u32_e32 v63, vcc_lo, v61, v57, vcc_lo
	flat_load_b32 v62, v[62:63]
	s_waitcnt vmcnt(0) lgkmcnt(0)
	v_mul_f32_e32 v62, s19, v62
	s_branch .LBB70_167
.LBB70_166:
	v_mov_b32_e32 v62, 0
.LBB70_167:
	v_dual_add_f32 v63, v9, v53 :: v_dual_add_f32 v80, v8, v52
	v_add_f32_e32 v81, v11, v55
	v_add_f32_e32 v125, v10, v54
	v_add_co_u32 v56, vcc_lo, v58, v56
	s_delay_alu instid0(VALU_DEP_4) | instskip(SKIP_1) | instid1(VALU_DEP_4)
	v_min3_f32 v63, v80, v63, v124
	v_add_co_ci_u32_e32 v57, vcc_lo, v59, v57, vcc_lo
	v_min_f32_e32 v80, v125, v81
	s_delay_alu instid0(VALU_DEP_1) | instskip(SKIP_3) | instid1(SALU_CYCLE_1)
	v_min3_f32 v62, v62, v80, v63
	global_store_b32 v[56:57], v62, off
	s_or_b32 exec_lo, exec_lo, s14
	s_and_b32 s14, s7, s8
	s_and_saveexec_b32 s8, s14
	s_cbranch_execz .LBB70_172
.LBB70_168:
	v_cmp_ne_u32_e32 vcc_lo, 1, v121
	v_lshlrev_b64 v[56:57], 2, v[78:79]
	s_cbranch_vccnz .LBB70_170
; %bb.169:
	s_delay_alu instid0(VALU_DEP_1) | instskip(NEXT) | instid1(VALU_DEP_2)
	v_add_co_u32 v60, vcc_lo, v60, v56
	v_add_co_ci_u32_e32 v61, vcc_lo, v61, v57, vcc_lo
	flat_load_b32 v60, v[60:61]
	s_waitcnt vmcnt(0) lgkmcnt(0)
	v_mul_f32_e32 v60, s19, v60
	s_branch .LBB70_171
.LBB70_170:
	v_mov_b32_e32 v60, 0
.LBB70_171:
	v_dual_add_f32 v53, v1, v53 :: v_dual_add_f32 v52, v0, v52
	v_dual_add_f32 v55, v3, v55 :: v_dual_add_f32 v54, v2, v54
	s_delay_alu instid0(VALU_DEP_2) | instskip(NEXT) | instid1(VALU_DEP_2)
	v_min3_f32 v52, v52, v53, v122
	v_min_f32_e32 v53, v54, v55
	s_delay_alu instid0(VALU_DEP_1)
	v_min3_f32 v54, v60, v53, v52
	v_add_co_u32 v52, vcc_lo, v58, v56
	v_add_co_ci_u32_e32 v53, vcc_lo, v59, v57, vcc_lo
	global_store_b32 v[52:53], v54, off
.LBB70_172:
	s_or_b32 exec_lo, exec_lo, s8
	v_add_nc_u32_e32 v56, 0x60, v130
	s_delay_alu instid0(VALU_DEP_1) | instskip(SKIP_2) | instid1(VALU_DEP_3)
	v_mad_i64_i32 v[52:53], null, v56, s18, 0
	v_mad_i64_i32 v[54:55], null, v56, s9, 0
	v_cmp_gt_i32_e64 s8, s17, v56
	v_lshlrev_b64 v[52:53], 2, v[52:53]
	s_delay_alu instid0(VALU_DEP_2) | instskip(NEXT) | instid1(VALU_DEP_3)
	s_and_b32 s15, s0, s8
	v_lshlrev_b64 v[54:55], 2, v[54:55]
	s_delay_alu instid0(VALU_DEP_2) | instskip(NEXT) | instid1(VALU_DEP_3)
	v_add_co_u32 v56, vcc_lo, s12, v52
	v_add_co_ci_u32_e32 v57, vcc_lo, s13, v53, vcc_lo
	s_delay_alu instid0(VALU_DEP_3) | instskip(NEXT) | instid1(VALU_DEP_4)
	v_add_co_u32 v54, vcc_lo, s10, v54
	v_add_co_ci_u32_e32 v55, vcc_lo, s11, v55, vcc_lo
	s_and_saveexec_b32 s14, s15
	s_cbranch_execnz .LBB70_180
; %bb.173:
	s_or_b32 exec_lo, exec_lo, s14
	s_and_b32 s15, s1, s8
	s_delay_alu instid0(SALU_CYCLE_1)
	s_and_saveexec_b32 s14, s15
	s_cbranch_execnz .LBB70_184
.LBB70_174:
	s_or_b32 exec_lo, exec_lo, s14
	s_and_b32 s15, s2, s8
	s_delay_alu instid0(SALU_CYCLE_1)
	s_and_saveexec_b32 s14, s15
	s_cbranch_execnz .LBB70_188
.LBB70_175:
	s_or_b32 exec_lo, exec_lo, s14
	s_and_b32 s15, s3, s8
	s_delay_alu instid0(SALU_CYCLE_1)
	s_and_saveexec_b32 s14, s15
	s_cbranch_execnz .LBB70_192
.LBB70_176:
	s_or_b32 exec_lo, exec_lo, s14
	s_and_b32 s15, s4, s8
	s_delay_alu instid0(SALU_CYCLE_1)
	s_and_saveexec_b32 s14, s15
	s_cbranch_execnz .LBB70_196
.LBB70_177:
	s_or_b32 exec_lo, exec_lo, s14
	s_and_b32 s15, s5, s8
	s_delay_alu instid0(SALU_CYCLE_1)
	s_and_saveexec_b32 s14, s15
	s_cbranch_execnz .LBB70_200
.LBB70_178:
	s_or_b32 exec_lo, exec_lo, s14
	s_and_b32 s15, s6, s8
	s_delay_alu instid0(SALU_CYCLE_1)
	s_and_saveexec_b32 s14, s15
	s_cbranch_execnz .LBB70_204
.LBB70_179:
	s_or_b32 exec_lo, exec_lo, s14
	s_and_b32 s14, s7, s8
	s_delay_alu instid0(SALU_CYCLE_1)
	s_and_saveexec_b32 s8, s14
	s_cbranch_execnz .LBB70_208
	s_branch .LBB70_212
.LBB70_180:
	v_cmp_ne_u32_e32 vcc_lo, 1, v121
	v_lshlrev_b64 v[52:53], 2, v[64:65]
	s_cbranch_vccnz .LBB70_182
; %bb.181:
	s_delay_alu instid0(VALU_DEP_1) | instskip(NEXT) | instid1(VALU_DEP_2)
	v_add_co_u32 v58, vcc_lo, v56, v52
	v_add_co_ci_u32_e32 v59, vcc_lo, v57, v53, vcc_lo
	flat_load_b32 v58, v[58:59]
	s_waitcnt vmcnt(0) lgkmcnt(0)
	v_mul_f32_e32 v58, s19, v58
	s_branch .LBB70_183
.LBB70_182:
	v_mov_b32_e32 v58, 0
.LBB70_183:
	v_dual_add_f32 v59, v33, v49 :: v_dual_add_f32 v60, v32, v48
	v_dual_add_f32 v61, v35, v51 :: v_dual_add_f32 v62, v34, v50
	s_delay_alu instid0(VALU_DEP_4) | instskip(NEXT) | instid1(VALU_DEP_3)
	v_add_co_u32 v52, vcc_lo, v54, v52
	v_min3_f32 v59, v60, v59, v123
	v_add_co_ci_u32_e32 v53, vcc_lo, v55, v53, vcc_lo
	s_delay_alu instid0(VALU_DEP_4) | instskip(NEXT) | instid1(VALU_DEP_1)
	v_min_f32_e32 v60, v62, v61
	v_min3_f32 v58, v58, v60, v59
	global_store_b32 v[52:53], v58, off
	s_or_b32 exec_lo, exec_lo, s14
	s_and_b32 s15, s1, s8
	s_delay_alu instid0(SALU_CYCLE_1)
	s_and_saveexec_b32 s14, s15
	s_cbranch_execz .LBB70_174
.LBB70_184:
	v_cmp_ne_u32_e32 vcc_lo, 1, v121
	v_lshlrev_b64 v[52:53], 2, v[66:67]
	s_cbranch_vccnz .LBB70_186
; %bb.185:
	s_delay_alu instid0(VALU_DEP_1) | instskip(NEXT) | instid1(VALU_DEP_2)
	v_add_co_u32 v58, vcc_lo, v56, v52
	v_add_co_ci_u32_e32 v59, vcc_lo, v57, v53, vcc_lo
	flat_load_b32 v58, v[58:59]
	s_waitcnt vmcnt(0) lgkmcnt(0)
	v_mul_f32_e32 v58, s19, v58
	s_branch .LBB70_187
.LBB70_186:
	v_mov_b32_e32 v58, 0
.LBB70_187:
	v_dual_add_f32 v59, v29, v49 :: v_dual_add_f32 v60, v28, v48
	v_dual_add_f32 v61, v31, v51 :: v_dual_add_f32 v62, v30, v50
	s_delay_alu instid0(VALU_DEP_4) | instskip(NEXT) | instid1(VALU_DEP_3)
	v_add_co_u32 v52, vcc_lo, v54, v52
	v_min3_f32 v59, v60, v59, v120
	v_add_co_ci_u32_e32 v53, vcc_lo, v55, v53, vcc_lo
	s_delay_alu instid0(VALU_DEP_4) | instskip(NEXT) | instid1(VALU_DEP_1)
	v_min_f32_e32 v60, v62, v61
	v_min3_f32 v58, v58, v60, v59
	global_store_b32 v[52:53], v58, off
	s_or_b32 exec_lo, exec_lo, s14
	s_and_b32 s15, s2, s8
	s_delay_alu instid0(SALU_CYCLE_1)
	s_and_saveexec_b32 s14, s15
	s_cbranch_execz .LBB70_175
.LBB70_188:
	v_cmp_ne_u32_e32 vcc_lo, 1, v121
	v_lshlrev_b64 v[52:53], 2, v[68:69]
	s_cbranch_vccnz .LBB70_190
; %bb.189:
	s_delay_alu instid0(VALU_DEP_1) | instskip(NEXT) | instid1(VALU_DEP_2)
	v_add_co_u32 v58, vcc_lo, v56, v52
	v_add_co_ci_u32_e32 v59, vcc_lo, v57, v53, vcc_lo
	flat_load_b32 v58, v[58:59]
	s_waitcnt vmcnt(0) lgkmcnt(0)
	v_mul_f32_e32 v58, s19, v58
	s_branch .LBB70_191
.LBB70_190:
	v_mov_b32_e32 v58, 0
.LBB70_191:
	v_dual_add_f32 v59, v25, v49 :: v_dual_add_f32 v60, v24, v48
	v_dual_add_f32 v61, v27, v51 :: v_dual_add_f32 v62, v26, v50
	s_delay_alu instid0(VALU_DEP_4) | instskip(NEXT) | instid1(VALU_DEP_3)
	v_add_co_u32 v52, vcc_lo, v54, v52
	v_min3_f32 v59, v60, v59, v119
	v_add_co_ci_u32_e32 v53, vcc_lo, v55, v53, vcc_lo
	s_delay_alu instid0(VALU_DEP_4) | instskip(NEXT) | instid1(VALU_DEP_1)
	v_min_f32_e32 v60, v62, v61
	v_min3_f32 v58, v58, v60, v59
	global_store_b32 v[52:53], v58, off
	s_or_b32 exec_lo, exec_lo, s14
	s_and_b32 s15, s3, s8
	s_delay_alu instid0(SALU_CYCLE_1)
	s_and_saveexec_b32 s14, s15
	s_cbranch_execz .LBB70_176
.LBB70_192:
	v_cmp_ne_u32_e32 vcc_lo, 1, v121
	v_lshlrev_b64 v[52:53], 2, v[70:71]
	s_cbranch_vccnz .LBB70_194
; %bb.193:
	s_delay_alu instid0(VALU_DEP_1) | instskip(NEXT) | instid1(VALU_DEP_2)
	v_add_co_u32 v58, vcc_lo, v56, v52
	v_add_co_ci_u32_e32 v59, vcc_lo, v57, v53, vcc_lo
	flat_load_b32 v58, v[58:59]
	s_waitcnt vmcnt(0) lgkmcnt(0)
	v_mul_f32_e32 v58, s19, v58
	s_branch .LBB70_195
.LBB70_194:
	v_mov_b32_e32 v58, 0
.LBB70_195:
	v_dual_add_f32 v59, v21, v49 :: v_dual_add_f32 v60, v20, v48
	v_dual_add_f32 v61, v23, v51 :: v_dual_add_f32 v62, v22, v50
	s_delay_alu instid0(VALU_DEP_4) | instskip(NEXT) | instid1(VALU_DEP_3)
	v_add_co_u32 v52, vcc_lo, v54, v52
	v_min3_f32 v59, v60, v59, v118
	v_add_co_ci_u32_e32 v53, vcc_lo, v55, v53, vcc_lo
	s_delay_alu instid0(VALU_DEP_4) | instskip(NEXT) | instid1(VALU_DEP_1)
	v_min_f32_e32 v60, v62, v61
	v_min3_f32 v58, v58, v60, v59
	global_store_b32 v[52:53], v58, off
	s_or_b32 exec_lo, exec_lo, s14
	s_and_b32 s15, s4, s8
	s_delay_alu instid0(SALU_CYCLE_1)
	s_and_saveexec_b32 s14, s15
	s_cbranch_execz .LBB70_177
.LBB70_196:
	v_cmp_ne_u32_e32 vcc_lo, 1, v121
	v_lshlrev_b64 v[52:53], 2, v[72:73]
	s_cbranch_vccnz .LBB70_198
; %bb.197:
	s_delay_alu instid0(VALU_DEP_1) | instskip(NEXT) | instid1(VALU_DEP_2)
	v_add_co_u32 v58, vcc_lo, v56, v52
	v_add_co_ci_u32_e32 v59, vcc_lo, v57, v53, vcc_lo
	flat_load_b32 v58, v[58:59]
	s_waitcnt vmcnt(0) lgkmcnt(0)
	v_mul_f32_e32 v58, s19, v58
	s_branch .LBB70_199
.LBB70_198:
	v_mov_b32_e32 v58, 0
.LBB70_199:
	v_dual_add_f32 v59, v17, v49 :: v_dual_add_f32 v60, v16, v48
	v_dual_add_f32 v61, v19, v51 :: v_dual_add_f32 v62, v18, v50
	s_delay_alu instid0(VALU_DEP_4) | instskip(NEXT) | instid1(VALU_DEP_3)
	v_add_co_u32 v52, vcc_lo, v54, v52
	v_min3_f32 v59, v60, v59, v117
	v_add_co_ci_u32_e32 v53, vcc_lo, v55, v53, vcc_lo
	s_delay_alu instid0(VALU_DEP_4) | instskip(NEXT) | instid1(VALU_DEP_1)
	v_min_f32_e32 v60, v62, v61
	v_min3_f32 v58, v58, v60, v59
	global_store_b32 v[52:53], v58, off
	s_or_b32 exec_lo, exec_lo, s14
	s_and_b32 s15, s5, s8
	s_delay_alu instid0(SALU_CYCLE_1)
	s_and_saveexec_b32 s14, s15
	s_cbranch_execz .LBB70_178
.LBB70_200:
	v_cmp_ne_u32_e32 vcc_lo, 1, v121
	v_lshlrev_b64 v[52:53], 2, v[74:75]
	s_cbranch_vccnz .LBB70_202
; %bb.201:
	s_delay_alu instid0(VALU_DEP_1) | instskip(NEXT) | instid1(VALU_DEP_2)
	v_add_co_u32 v58, vcc_lo, v56, v52
	v_add_co_ci_u32_e32 v59, vcc_lo, v57, v53, vcc_lo
	flat_load_b32 v58, v[58:59]
	s_waitcnt vmcnt(0) lgkmcnt(0)
	v_mul_f32_e32 v58, s19, v58
	s_branch .LBB70_203
.LBB70_202:
	v_mov_b32_e32 v58, 0
.LBB70_203:
	v_dual_add_f32 v59, v13, v49 :: v_dual_add_f32 v60, v12, v48
	v_dual_add_f32 v61, v15, v51 :: v_dual_add_f32 v62, v14, v50
	s_delay_alu instid0(VALU_DEP_4) | instskip(NEXT) | instid1(VALU_DEP_3)
	v_add_co_u32 v52, vcc_lo, v54, v52
	v_min3_f32 v59, v60, v59, v116
	v_add_co_ci_u32_e32 v53, vcc_lo, v55, v53, vcc_lo
	s_delay_alu instid0(VALU_DEP_4) | instskip(NEXT) | instid1(VALU_DEP_1)
	v_min_f32_e32 v60, v62, v61
	v_min3_f32 v58, v58, v60, v59
	global_store_b32 v[52:53], v58, off
	s_or_b32 exec_lo, exec_lo, s14
	s_and_b32 s15, s6, s8
	s_delay_alu instid0(SALU_CYCLE_1)
	s_and_saveexec_b32 s14, s15
	s_cbranch_execz .LBB70_179
.LBB70_204:
	v_cmp_ne_u32_e32 vcc_lo, 1, v121
	v_lshlrev_b64 v[52:53], 2, v[76:77]
	s_cbranch_vccnz .LBB70_206
; %bb.205:
	s_delay_alu instid0(VALU_DEP_1) | instskip(NEXT) | instid1(VALU_DEP_2)
	v_add_co_u32 v58, vcc_lo, v56, v52
	v_add_co_ci_u32_e32 v59, vcc_lo, v57, v53, vcc_lo
	flat_load_b32 v58, v[58:59]
	s_waitcnt vmcnt(0) lgkmcnt(0)
	v_mul_f32_e32 v58, s19, v58
	s_branch .LBB70_207
.LBB70_206:
	v_mov_b32_e32 v58, 0
.LBB70_207:
	v_dual_add_f32 v59, v9, v49 :: v_dual_add_f32 v60, v8, v48
	v_dual_add_f32 v61, v11, v51 :: v_dual_add_f32 v62, v10, v50
	s_delay_alu instid0(VALU_DEP_4) | instskip(NEXT) | instid1(VALU_DEP_3)
	v_add_co_u32 v52, vcc_lo, v54, v52
	v_min3_f32 v59, v60, v59, v115
	v_add_co_ci_u32_e32 v53, vcc_lo, v55, v53, vcc_lo
	s_delay_alu instid0(VALU_DEP_4) | instskip(NEXT) | instid1(VALU_DEP_1)
	v_min_f32_e32 v60, v62, v61
	v_min3_f32 v58, v58, v60, v59
	global_store_b32 v[52:53], v58, off
	s_or_b32 exec_lo, exec_lo, s14
	s_and_b32 s14, s7, s8
	s_delay_alu instid0(SALU_CYCLE_1)
	s_and_saveexec_b32 s8, s14
	s_cbranch_execz .LBB70_212
.LBB70_208:
	v_cmp_ne_u32_e32 vcc_lo, 1, v121
	v_lshlrev_b64 v[52:53], 2, v[78:79]
	s_cbranch_vccnz .LBB70_210
; %bb.209:
	s_delay_alu instid0(VALU_DEP_1) | instskip(NEXT) | instid1(VALU_DEP_2)
	v_add_co_u32 v56, vcc_lo, v56, v52
	v_add_co_ci_u32_e32 v57, vcc_lo, v57, v53, vcc_lo
	flat_load_b32 v56, v[56:57]
	s_waitcnt vmcnt(0) lgkmcnt(0)
	v_mul_f32_e32 v56, s19, v56
	s_branch .LBB70_211
.LBB70_210:
	v_mov_b32_e32 v56, 0
.LBB70_211:
	v_dual_add_f32 v49, v1, v49 :: v_dual_add_f32 v48, v0, v48
	v_dual_add_f32 v51, v3, v51 :: v_dual_add_f32 v50, v2, v50
	s_delay_alu instid0(VALU_DEP_2) | instskip(NEXT) | instid1(VALU_DEP_2)
	v_min3_f32 v48, v48, v49, v114
	v_min_f32_e32 v49, v50, v51
	s_delay_alu instid0(VALU_DEP_1)
	v_min3_f32 v50, v56, v49, v48
	v_add_co_u32 v48, vcc_lo, v54, v52
	v_add_co_ci_u32_e32 v49, vcc_lo, v55, v53, vcc_lo
	global_store_b32 v[48:49], v50, off
.LBB70_212:
	s_or_b32 exec_lo, exec_lo, s8
	v_add_nc_u32_e32 v52, 0x80, v130
	s_delay_alu instid0(VALU_DEP_1) | instskip(SKIP_2) | instid1(VALU_DEP_3)
	v_mad_i64_i32 v[48:49], null, v52, s18, 0
	v_mad_i64_i32 v[50:51], null, v52, s9, 0
	v_cmp_gt_i32_e64 s8, s17, v52
	v_lshlrev_b64 v[48:49], 2, v[48:49]
	s_delay_alu instid0(VALU_DEP_2) | instskip(NEXT) | instid1(VALU_DEP_3)
	s_and_b32 s15, s0, s8
	v_lshlrev_b64 v[50:51], 2, v[50:51]
	s_delay_alu instid0(VALU_DEP_2) | instskip(NEXT) | instid1(VALU_DEP_3)
	v_add_co_u32 v52, vcc_lo, s12, v48
	v_add_co_ci_u32_e32 v53, vcc_lo, s13, v49, vcc_lo
	s_delay_alu instid0(VALU_DEP_3) | instskip(NEXT) | instid1(VALU_DEP_4)
	v_add_co_u32 v50, vcc_lo, s10, v50
	v_add_co_ci_u32_e32 v51, vcc_lo, s11, v51, vcc_lo
	s_and_saveexec_b32 s14, s15
	s_cbranch_execnz .LBB70_220
; %bb.213:
	s_or_b32 exec_lo, exec_lo, s14
	s_and_b32 s15, s1, s8
	s_delay_alu instid0(SALU_CYCLE_1)
	s_and_saveexec_b32 s14, s15
	s_cbranch_execnz .LBB70_224
.LBB70_214:
	s_or_b32 exec_lo, exec_lo, s14
	s_and_b32 s15, s2, s8
	s_delay_alu instid0(SALU_CYCLE_1)
	s_and_saveexec_b32 s14, s15
	s_cbranch_execnz .LBB70_228
.LBB70_215:
	s_or_b32 exec_lo, exec_lo, s14
	s_and_b32 s15, s3, s8
	s_delay_alu instid0(SALU_CYCLE_1)
	s_and_saveexec_b32 s14, s15
	s_cbranch_execnz .LBB70_232
.LBB70_216:
	s_or_b32 exec_lo, exec_lo, s14
	s_and_b32 s15, s4, s8
	s_delay_alu instid0(SALU_CYCLE_1)
	s_and_saveexec_b32 s14, s15
	s_cbranch_execnz .LBB70_236
.LBB70_217:
	s_or_b32 exec_lo, exec_lo, s14
	s_and_b32 s15, s5, s8
	s_delay_alu instid0(SALU_CYCLE_1)
	s_and_saveexec_b32 s14, s15
	s_cbranch_execnz .LBB70_240
.LBB70_218:
	s_or_b32 exec_lo, exec_lo, s14
	s_and_b32 s15, s6, s8
	s_delay_alu instid0(SALU_CYCLE_1)
	s_and_saveexec_b32 s14, s15
	s_cbranch_execnz .LBB70_244
.LBB70_219:
	s_or_b32 exec_lo, exec_lo, s14
	s_and_b32 s14, s7, s8
	s_delay_alu instid0(SALU_CYCLE_1)
	s_and_saveexec_b32 s8, s14
	s_cbranch_execnz .LBB70_248
	s_branch .LBB70_252
.LBB70_220:
	v_cmp_ne_u32_e32 vcc_lo, 1, v121
	v_lshlrev_b64 v[48:49], 2, v[64:65]
	s_cbranch_vccnz .LBB70_222
; %bb.221:
	s_delay_alu instid0(VALU_DEP_1) | instskip(NEXT) | instid1(VALU_DEP_2)
	v_add_co_u32 v54, vcc_lo, v52, v48
	v_add_co_ci_u32_e32 v55, vcc_lo, v53, v49, vcc_lo
	flat_load_b32 v54, v[54:55]
	s_waitcnt vmcnt(0) lgkmcnt(0)
	v_mul_f32_e32 v54, s19, v54
	s_branch .LBB70_223
.LBB70_222:
	v_mov_b32_e32 v54, 0
.LBB70_223:
	v_dual_add_f32 v55, v33, v45 :: v_dual_add_f32 v56, v32, v44
	v_dual_add_f32 v57, v35, v47 :: v_dual_add_f32 v58, v34, v46
	s_delay_alu instid0(VALU_DEP_4) | instskip(NEXT) | instid1(VALU_DEP_3)
	v_add_co_u32 v48, vcc_lo, v50, v48
	v_min3_f32 v55, v56, v55, v113
	v_add_co_ci_u32_e32 v49, vcc_lo, v51, v49, vcc_lo
	s_delay_alu instid0(VALU_DEP_4) | instskip(NEXT) | instid1(VALU_DEP_1)
	v_min_f32_e32 v56, v58, v57
	v_min3_f32 v54, v54, v56, v55
	global_store_b32 v[48:49], v54, off
	s_or_b32 exec_lo, exec_lo, s14
	s_and_b32 s15, s1, s8
	s_delay_alu instid0(SALU_CYCLE_1)
	s_and_saveexec_b32 s14, s15
	s_cbranch_execz .LBB70_214
.LBB70_224:
	v_cmp_ne_u32_e32 vcc_lo, 1, v121
	v_lshlrev_b64 v[48:49], 2, v[66:67]
	s_cbranch_vccnz .LBB70_226
; %bb.225:
	s_delay_alu instid0(VALU_DEP_1) | instskip(NEXT) | instid1(VALU_DEP_2)
	v_add_co_u32 v54, vcc_lo, v52, v48
	v_add_co_ci_u32_e32 v55, vcc_lo, v53, v49, vcc_lo
	flat_load_b32 v54, v[54:55]
	s_waitcnt vmcnt(0) lgkmcnt(0)
	v_mul_f32_e32 v54, s19, v54
	s_branch .LBB70_227
.LBB70_226:
	v_mov_b32_e32 v54, 0
.LBB70_227:
	v_dual_add_f32 v55, v29, v45 :: v_dual_add_f32 v56, v28, v44
	v_dual_add_f32 v57, v31, v47 :: v_dual_add_f32 v58, v30, v46
	s_delay_alu instid0(VALU_DEP_4) | instskip(NEXT) | instid1(VALU_DEP_3)
	v_add_co_u32 v48, vcc_lo, v50, v48
	v_min3_f32 v55, v56, v55, v112
	v_add_co_ci_u32_e32 v49, vcc_lo, v51, v49, vcc_lo
	s_delay_alu instid0(VALU_DEP_4) | instskip(NEXT) | instid1(VALU_DEP_1)
	v_min_f32_e32 v56, v58, v57
	v_min3_f32 v54, v54, v56, v55
	global_store_b32 v[48:49], v54, off
	s_or_b32 exec_lo, exec_lo, s14
	s_and_b32 s15, s2, s8
	s_delay_alu instid0(SALU_CYCLE_1)
	s_and_saveexec_b32 s14, s15
	s_cbranch_execz .LBB70_215
.LBB70_228:
	v_cmp_ne_u32_e32 vcc_lo, 1, v121
	v_lshlrev_b64 v[48:49], 2, v[68:69]
	s_cbranch_vccnz .LBB70_230
; %bb.229:
	s_delay_alu instid0(VALU_DEP_1) | instskip(NEXT) | instid1(VALU_DEP_2)
	v_add_co_u32 v54, vcc_lo, v52, v48
	v_add_co_ci_u32_e32 v55, vcc_lo, v53, v49, vcc_lo
	flat_load_b32 v54, v[54:55]
	s_waitcnt vmcnt(0) lgkmcnt(0)
	v_mul_f32_e32 v54, s19, v54
	s_branch .LBB70_231
.LBB70_230:
	v_mov_b32_e32 v54, 0
.LBB70_231:
	v_dual_add_f32 v55, v25, v45 :: v_dual_add_f32 v56, v24, v44
	v_dual_add_f32 v57, v27, v47 :: v_dual_add_f32 v58, v26, v46
	s_delay_alu instid0(VALU_DEP_4) | instskip(NEXT) | instid1(VALU_DEP_3)
	v_add_co_u32 v48, vcc_lo, v50, v48
	v_min3_f32 v55, v56, v55, v111
	v_add_co_ci_u32_e32 v49, vcc_lo, v51, v49, vcc_lo
	s_delay_alu instid0(VALU_DEP_4) | instskip(NEXT) | instid1(VALU_DEP_1)
	v_min_f32_e32 v56, v58, v57
	v_min3_f32 v54, v54, v56, v55
	global_store_b32 v[48:49], v54, off
	s_or_b32 exec_lo, exec_lo, s14
	s_and_b32 s15, s3, s8
	s_delay_alu instid0(SALU_CYCLE_1)
	s_and_saveexec_b32 s14, s15
	s_cbranch_execz .LBB70_216
.LBB70_232:
	v_cmp_ne_u32_e32 vcc_lo, 1, v121
	v_lshlrev_b64 v[48:49], 2, v[70:71]
	s_cbranch_vccnz .LBB70_234
; %bb.233:
	s_delay_alu instid0(VALU_DEP_1) | instskip(NEXT) | instid1(VALU_DEP_2)
	v_add_co_u32 v54, vcc_lo, v52, v48
	v_add_co_ci_u32_e32 v55, vcc_lo, v53, v49, vcc_lo
	flat_load_b32 v54, v[54:55]
	s_waitcnt vmcnt(0) lgkmcnt(0)
	v_mul_f32_e32 v54, s19, v54
	s_branch .LBB70_235
.LBB70_234:
	v_mov_b32_e32 v54, 0
.LBB70_235:
	v_dual_add_f32 v55, v21, v45 :: v_dual_add_f32 v56, v20, v44
	v_dual_add_f32 v57, v23, v47 :: v_dual_add_f32 v58, v22, v46
	s_delay_alu instid0(VALU_DEP_4) | instskip(NEXT) | instid1(VALU_DEP_3)
	v_add_co_u32 v48, vcc_lo, v50, v48
	v_min3_f32 v55, v56, v55, v110
	v_add_co_ci_u32_e32 v49, vcc_lo, v51, v49, vcc_lo
	s_delay_alu instid0(VALU_DEP_4) | instskip(NEXT) | instid1(VALU_DEP_1)
	v_min_f32_e32 v56, v58, v57
	v_min3_f32 v54, v54, v56, v55
	global_store_b32 v[48:49], v54, off
	s_or_b32 exec_lo, exec_lo, s14
	s_and_b32 s15, s4, s8
	s_delay_alu instid0(SALU_CYCLE_1)
	s_and_saveexec_b32 s14, s15
	s_cbranch_execz .LBB70_217
.LBB70_236:
	v_cmp_ne_u32_e32 vcc_lo, 1, v121
	v_lshlrev_b64 v[48:49], 2, v[72:73]
	s_cbranch_vccnz .LBB70_238
; %bb.237:
	s_delay_alu instid0(VALU_DEP_1) | instskip(NEXT) | instid1(VALU_DEP_2)
	v_add_co_u32 v54, vcc_lo, v52, v48
	v_add_co_ci_u32_e32 v55, vcc_lo, v53, v49, vcc_lo
	flat_load_b32 v54, v[54:55]
	s_waitcnt vmcnt(0) lgkmcnt(0)
	v_mul_f32_e32 v54, s19, v54
	s_branch .LBB70_239
.LBB70_238:
	v_mov_b32_e32 v54, 0
.LBB70_239:
	v_dual_add_f32 v55, v17, v45 :: v_dual_add_f32 v56, v16, v44
	v_dual_add_f32 v57, v19, v47 :: v_dual_add_f32 v58, v18, v46
	s_delay_alu instid0(VALU_DEP_4) | instskip(NEXT) | instid1(VALU_DEP_3)
	v_add_co_u32 v48, vcc_lo, v50, v48
	v_min3_f32 v55, v56, v55, v109
	v_add_co_ci_u32_e32 v49, vcc_lo, v51, v49, vcc_lo
	s_delay_alu instid0(VALU_DEP_4) | instskip(NEXT) | instid1(VALU_DEP_1)
	v_min_f32_e32 v56, v58, v57
	v_min3_f32 v54, v54, v56, v55
	global_store_b32 v[48:49], v54, off
	s_or_b32 exec_lo, exec_lo, s14
	s_and_b32 s15, s5, s8
	s_delay_alu instid0(SALU_CYCLE_1)
	s_and_saveexec_b32 s14, s15
	s_cbranch_execz .LBB70_218
.LBB70_240:
	v_cmp_ne_u32_e32 vcc_lo, 1, v121
	v_lshlrev_b64 v[48:49], 2, v[74:75]
	s_cbranch_vccnz .LBB70_242
; %bb.241:
	s_delay_alu instid0(VALU_DEP_1) | instskip(NEXT) | instid1(VALU_DEP_2)
	v_add_co_u32 v54, vcc_lo, v52, v48
	v_add_co_ci_u32_e32 v55, vcc_lo, v53, v49, vcc_lo
	flat_load_b32 v54, v[54:55]
	s_waitcnt vmcnt(0) lgkmcnt(0)
	v_mul_f32_e32 v54, s19, v54
	s_branch .LBB70_243
.LBB70_242:
	v_mov_b32_e32 v54, 0
.LBB70_243:
	v_dual_add_f32 v55, v13, v45 :: v_dual_add_f32 v56, v12, v44
	v_dual_add_f32 v57, v15, v47 :: v_dual_add_f32 v58, v14, v46
	s_delay_alu instid0(VALU_DEP_4) | instskip(NEXT) | instid1(VALU_DEP_3)
	v_add_co_u32 v48, vcc_lo, v50, v48
	v_min3_f32 v55, v56, v55, v108
	v_add_co_ci_u32_e32 v49, vcc_lo, v51, v49, vcc_lo
	s_delay_alu instid0(VALU_DEP_4) | instskip(NEXT) | instid1(VALU_DEP_1)
	v_min_f32_e32 v56, v58, v57
	v_min3_f32 v54, v54, v56, v55
	global_store_b32 v[48:49], v54, off
	s_or_b32 exec_lo, exec_lo, s14
	s_and_b32 s15, s6, s8
	s_delay_alu instid0(SALU_CYCLE_1)
	s_and_saveexec_b32 s14, s15
	s_cbranch_execz .LBB70_219
.LBB70_244:
	v_cmp_ne_u32_e32 vcc_lo, 1, v121
	v_lshlrev_b64 v[48:49], 2, v[76:77]
	s_cbranch_vccnz .LBB70_246
; %bb.245:
	s_delay_alu instid0(VALU_DEP_1) | instskip(NEXT) | instid1(VALU_DEP_2)
	v_add_co_u32 v54, vcc_lo, v52, v48
	v_add_co_ci_u32_e32 v55, vcc_lo, v53, v49, vcc_lo
	flat_load_b32 v54, v[54:55]
	s_waitcnt vmcnt(0) lgkmcnt(0)
	v_mul_f32_e32 v54, s19, v54
	s_branch .LBB70_247
.LBB70_246:
	v_mov_b32_e32 v54, 0
.LBB70_247:
	v_dual_add_f32 v55, v9, v45 :: v_dual_add_f32 v56, v8, v44
	v_dual_add_f32 v57, v11, v47 :: v_dual_add_f32 v58, v10, v46
	s_delay_alu instid0(VALU_DEP_4) | instskip(NEXT) | instid1(VALU_DEP_3)
	v_add_co_u32 v48, vcc_lo, v50, v48
	v_min3_f32 v55, v56, v55, v107
	v_add_co_ci_u32_e32 v49, vcc_lo, v51, v49, vcc_lo
	s_delay_alu instid0(VALU_DEP_4) | instskip(NEXT) | instid1(VALU_DEP_1)
	v_min_f32_e32 v56, v58, v57
	v_min3_f32 v54, v54, v56, v55
	global_store_b32 v[48:49], v54, off
	s_or_b32 exec_lo, exec_lo, s14
	s_and_b32 s14, s7, s8
	s_delay_alu instid0(SALU_CYCLE_1)
	s_and_saveexec_b32 s8, s14
	s_cbranch_execz .LBB70_252
.LBB70_248:
	v_cmp_ne_u32_e32 vcc_lo, 1, v121
	v_lshlrev_b64 v[48:49], 2, v[78:79]
	s_cbranch_vccnz .LBB70_250
; %bb.249:
	s_delay_alu instid0(VALU_DEP_1) | instskip(NEXT) | instid1(VALU_DEP_2)
	v_add_co_u32 v52, vcc_lo, v52, v48
	v_add_co_ci_u32_e32 v53, vcc_lo, v53, v49, vcc_lo
	flat_load_b32 v52, v[52:53]
	s_waitcnt vmcnt(0) lgkmcnt(0)
	v_mul_f32_e32 v52, s19, v52
	s_branch .LBB70_251
.LBB70_250:
	v_mov_b32_e32 v52, 0
.LBB70_251:
	v_dual_add_f32 v45, v1, v45 :: v_dual_add_f32 v44, v0, v44
	v_dual_add_f32 v47, v3, v47 :: v_dual_add_f32 v46, v2, v46
	s_delay_alu instid0(VALU_DEP_2) | instskip(NEXT) | instid1(VALU_DEP_2)
	v_min3_f32 v44, v44, v45, v106
	v_min_f32_e32 v45, v46, v47
	s_delay_alu instid0(VALU_DEP_1)
	v_min3_f32 v46, v52, v45, v44
	v_add_co_u32 v44, vcc_lo, v50, v48
	v_add_co_ci_u32_e32 v45, vcc_lo, v51, v49, vcc_lo
	global_store_b32 v[44:45], v46, off
.LBB70_252:
	s_or_b32 exec_lo, exec_lo, s8
	v_add_nc_u32_e32 v48, 0xa0, v130
	s_delay_alu instid0(VALU_DEP_1) | instskip(SKIP_2) | instid1(VALU_DEP_3)
	v_mad_i64_i32 v[44:45], null, v48, s18, 0
	v_mad_i64_i32 v[46:47], null, v48, s9, 0
	v_cmp_gt_i32_e64 s8, s17, v48
	v_lshlrev_b64 v[44:45], 2, v[44:45]
	s_delay_alu instid0(VALU_DEP_2) | instskip(NEXT) | instid1(VALU_DEP_3)
	s_and_b32 s15, s0, s8
	v_lshlrev_b64 v[46:47], 2, v[46:47]
	s_delay_alu instid0(VALU_DEP_2) | instskip(NEXT) | instid1(VALU_DEP_3)
	v_add_co_u32 v48, vcc_lo, s12, v44
	v_add_co_ci_u32_e32 v49, vcc_lo, s13, v45, vcc_lo
	s_delay_alu instid0(VALU_DEP_3) | instskip(NEXT) | instid1(VALU_DEP_4)
	v_add_co_u32 v46, vcc_lo, s10, v46
	v_add_co_ci_u32_e32 v47, vcc_lo, s11, v47, vcc_lo
	s_and_saveexec_b32 s14, s15
	s_cbranch_execnz .LBB70_260
; %bb.253:
	s_or_b32 exec_lo, exec_lo, s14
	s_and_b32 s15, s1, s8
	s_delay_alu instid0(SALU_CYCLE_1)
	s_and_saveexec_b32 s14, s15
	s_cbranch_execnz .LBB70_264
.LBB70_254:
	s_or_b32 exec_lo, exec_lo, s14
	s_and_b32 s15, s2, s8
	s_delay_alu instid0(SALU_CYCLE_1)
	s_and_saveexec_b32 s14, s15
	s_cbranch_execnz .LBB70_268
.LBB70_255:
	s_or_b32 exec_lo, exec_lo, s14
	s_and_b32 s15, s3, s8
	s_delay_alu instid0(SALU_CYCLE_1)
	s_and_saveexec_b32 s14, s15
	s_cbranch_execnz .LBB70_272
.LBB70_256:
	s_or_b32 exec_lo, exec_lo, s14
	s_and_b32 s15, s4, s8
	s_delay_alu instid0(SALU_CYCLE_1)
	s_and_saveexec_b32 s14, s15
	s_cbranch_execnz .LBB70_276
.LBB70_257:
	s_or_b32 exec_lo, exec_lo, s14
	s_and_b32 s15, s5, s8
	s_delay_alu instid0(SALU_CYCLE_1)
	s_and_saveexec_b32 s14, s15
	s_cbranch_execnz .LBB70_280
.LBB70_258:
	s_or_b32 exec_lo, exec_lo, s14
	s_and_b32 s15, s6, s8
	s_delay_alu instid0(SALU_CYCLE_1)
	s_and_saveexec_b32 s14, s15
	s_cbranch_execnz .LBB70_284
.LBB70_259:
	s_or_b32 exec_lo, exec_lo, s14
	s_and_b32 s14, s7, s8
	s_delay_alu instid0(SALU_CYCLE_1)
	s_and_saveexec_b32 s8, s14
	s_cbranch_execnz .LBB70_288
	s_branch .LBB70_292
.LBB70_260:
	v_cmp_ne_u32_e32 vcc_lo, 1, v121
	v_lshlrev_b64 v[44:45], 2, v[64:65]
	s_cbranch_vccnz .LBB70_262
; %bb.261:
	s_delay_alu instid0(VALU_DEP_1) | instskip(NEXT) | instid1(VALU_DEP_2)
	v_add_co_u32 v50, vcc_lo, v48, v44
	v_add_co_ci_u32_e32 v51, vcc_lo, v49, v45, vcc_lo
	flat_load_b32 v50, v[50:51]
	s_waitcnt vmcnt(0) lgkmcnt(0)
	v_mul_f32_e32 v50, s19, v50
	s_branch .LBB70_263
.LBB70_262:
	v_mov_b32_e32 v50, 0
.LBB70_263:
	v_dual_add_f32 v51, v33, v41 :: v_dual_add_f32 v52, v32, v40
	v_dual_add_f32 v53, v35, v43 :: v_dual_add_f32 v54, v34, v42
	s_delay_alu instid0(VALU_DEP_4) | instskip(NEXT) | instid1(VALU_DEP_3)
	v_add_co_u32 v44, vcc_lo, v46, v44
	v_min3_f32 v51, v52, v51, v105
	v_add_co_ci_u32_e32 v45, vcc_lo, v47, v45, vcc_lo
	s_delay_alu instid0(VALU_DEP_4) | instskip(NEXT) | instid1(VALU_DEP_1)
	v_min_f32_e32 v52, v54, v53
	v_min3_f32 v50, v50, v52, v51
	global_store_b32 v[44:45], v50, off
	s_or_b32 exec_lo, exec_lo, s14
	s_and_b32 s15, s1, s8
	s_delay_alu instid0(SALU_CYCLE_1)
	s_and_saveexec_b32 s14, s15
	s_cbranch_execz .LBB70_254
.LBB70_264:
	v_cmp_ne_u32_e32 vcc_lo, 1, v121
	v_lshlrev_b64 v[44:45], 2, v[66:67]
	s_cbranch_vccnz .LBB70_266
; %bb.265:
	s_delay_alu instid0(VALU_DEP_1) | instskip(NEXT) | instid1(VALU_DEP_2)
	v_add_co_u32 v50, vcc_lo, v48, v44
	v_add_co_ci_u32_e32 v51, vcc_lo, v49, v45, vcc_lo
	flat_load_b32 v50, v[50:51]
	s_waitcnt vmcnt(0) lgkmcnt(0)
	v_mul_f32_e32 v50, s19, v50
	s_branch .LBB70_267
.LBB70_266:
	v_mov_b32_e32 v50, 0
.LBB70_267:
	v_dual_add_f32 v51, v29, v41 :: v_dual_add_f32 v52, v28, v40
	v_dual_add_f32 v53, v31, v43 :: v_dual_add_f32 v54, v30, v42
	s_delay_alu instid0(VALU_DEP_4) | instskip(NEXT) | instid1(VALU_DEP_3)
	v_add_co_u32 v44, vcc_lo, v46, v44
	v_min3_f32 v51, v52, v51, v104
	v_add_co_ci_u32_e32 v45, vcc_lo, v47, v45, vcc_lo
	s_delay_alu instid0(VALU_DEP_4) | instskip(NEXT) | instid1(VALU_DEP_1)
	v_min_f32_e32 v52, v54, v53
	v_min3_f32 v50, v50, v52, v51
	global_store_b32 v[44:45], v50, off
	s_or_b32 exec_lo, exec_lo, s14
	s_and_b32 s15, s2, s8
	s_delay_alu instid0(SALU_CYCLE_1)
	s_and_saveexec_b32 s14, s15
	s_cbranch_execz .LBB70_255
.LBB70_268:
	v_cmp_ne_u32_e32 vcc_lo, 1, v121
	v_lshlrev_b64 v[44:45], 2, v[68:69]
	s_cbranch_vccnz .LBB70_270
; %bb.269:
	s_delay_alu instid0(VALU_DEP_1) | instskip(NEXT) | instid1(VALU_DEP_2)
	v_add_co_u32 v50, vcc_lo, v48, v44
	v_add_co_ci_u32_e32 v51, vcc_lo, v49, v45, vcc_lo
	flat_load_b32 v50, v[50:51]
	s_waitcnt vmcnt(0) lgkmcnt(0)
	v_mul_f32_e32 v50, s19, v50
	s_branch .LBB70_271
.LBB70_270:
	v_mov_b32_e32 v50, 0
.LBB70_271:
	v_dual_add_f32 v51, v25, v41 :: v_dual_add_f32 v52, v24, v40
	v_dual_add_f32 v53, v27, v43 :: v_dual_add_f32 v54, v26, v42
	s_delay_alu instid0(VALU_DEP_4) | instskip(NEXT) | instid1(VALU_DEP_3)
	v_add_co_u32 v44, vcc_lo, v46, v44
	v_min3_f32 v51, v52, v51, v103
	v_add_co_ci_u32_e32 v45, vcc_lo, v47, v45, vcc_lo
	s_delay_alu instid0(VALU_DEP_4) | instskip(NEXT) | instid1(VALU_DEP_1)
	v_min_f32_e32 v52, v54, v53
	v_min3_f32 v50, v50, v52, v51
	global_store_b32 v[44:45], v50, off
	s_or_b32 exec_lo, exec_lo, s14
	s_and_b32 s15, s3, s8
	s_delay_alu instid0(SALU_CYCLE_1)
	s_and_saveexec_b32 s14, s15
	s_cbranch_execz .LBB70_256
.LBB70_272:
	v_cmp_ne_u32_e32 vcc_lo, 1, v121
	v_lshlrev_b64 v[44:45], 2, v[70:71]
	s_cbranch_vccnz .LBB70_274
; %bb.273:
	s_delay_alu instid0(VALU_DEP_1) | instskip(NEXT) | instid1(VALU_DEP_2)
	v_add_co_u32 v50, vcc_lo, v48, v44
	v_add_co_ci_u32_e32 v51, vcc_lo, v49, v45, vcc_lo
	flat_load_b32 v50, v[50:51]
	s_waitcnt vmcnt(0) lgkmcnt(0)
	v_mul_f32_e32 v50, s19, v50
	s_branch .LBB70_275
.LBB70_274:
	v_mov_b32_e32 v50, 0
.LBB70_275:
	v_dual_add_f32 v51, v21, v41 :: v_dual_add_f32 v52, v20, v40
	v_dual_add_f32 v53, v23, v43 :: v_dual_add_f32 v54, v22, v42
	s_delay_alu instid0(VALU_DEP_4) | instskip(NEXT) | instid1(VALU_DEP_3)
	v_add_co_u32 v44, vcc_lo, v46, v44
	v_min3_f32 v51, v52, v51, v102
	v_add_co_ci_u32_e32 v45, vcc_lo, v47, v45, vcc_lo
	s_delay_alu instid0(VALU_DEP_4) | instskip(NEXT) | instid1(VALU_DEP_1)
	v_min_f32_e32 v52, v54, v53
	v_min3_f32 v50, v50, v52, v51
	global_store_b32 v[44:45], v50, off
	s_or_b32 exec_lo, exec_lo, s14
	s_and_b32 s15, s4, s8
	s_delay_alu instid0(SALU_CYCLE_1)
	s_and_saveexec_b32 s14, s15
	s_cbranch_execz .LBB70_257
.LBB70_276:
	v_cmp_ne_u32_e32 vcc_lo, 1, v121
	v_lshlrev_b64 v[44:45], 2, v[72:73]
	s_cbranch_vccnz .LBB70_278
; %bb.277:
	s_delay_alu instid0(VALU_DEP_1) | instskip(NEXT) | instid1(VALU_DEP_2)
	v_add_co_u32 v50, vcc_lo, v48, v44
	v_add_co_ci_u32_e32 v51, vcc_lo, v49, v45, vcc_lo
	flat_load_b32 v50, v[50:51]
	s_waitcnt vmcnt(0) lgkmcnt(0)
	v_mul_f32_e32 v50, s19, v50
	s_branch .LBB70_279
.LBB70_278:
	v_mov_b32_e32 v50, 0
.LBB70_279:
	v_dual_add_f32 v51, v17, v41 :: v_dual_add_f32 v52, v16, v40
	v_dual_add_f32 v53, v19, v43 :: v_dual_add_f32 v54, v18, v42
	s_delay_alu instid0(VALU_DEP_4) | instskip(NEXT) | instid1(VALU_DEP_3)
	v_add_co_u32 v44, vcc_lo, v46, v44
	v_min3_f32 v51, v52, v51, v101
	v_add_co_ci_u32_e32 v45, vcc_lo, v47, v45, vcc_lo
	s_delay_alu instid0(VALU_DEP_4) | instskip(NEXT) | instid1(VALU_DEP_1)
	v_min_f32_e32 v52, v54, v53
	v_min3_f32 v50, v50, v52, v51
	global_store_b32 v[44:45], v50, off
	s_or_b32 exec_lo, exec_lo, s14
	s_and_b32 s15, s5, s8
	s_delay_alu instid0(SALU_CYCLE_1)
	s_and_saveexec_b32 s14, s15
	s_cbranch_execz .LBB70_258
.LBB70_280:
	v_cmp_ne_u32_e32 vcc_lo, 1, v121
	v_lshlrev_b64 v[44:45], 2, v[74:75]
	s_cbranch_vccnz .LBB70_282
; %bb.281:
	s_delay_alu instid0(VALU_DEP_1) | instskip(NEXT) | instid1(VALU_DEP_2)
	v_add_co_u32 v50, vcc_lo, v48, v44
	v_add_co_ci_u32_e32 v51, vcc_lo, v49, v45, vcc_lo
	flat_load_b32 v50, v[50:51]
	s_waitcnt vmcnt(0) lgkmcnt(0)
	v_mul_f32_e32 v50, s19, v50
	s_branch .LBB70_283
.LBB70_282:
	v_mov_b32_e32 v50, 0
.LBB70_283:
	v_dual_add_f32 v51, v13, v41 :: v_dual_add_f32 v52, v12, v40
	v_dual_add_f32 v53, v15, v43 :: v_dual_add_f32 v54, v14, v42
	s_delay_alu instid0(VALU_DEP_4) | instskip(NEXT) | instid1(VALU_DEP_3)
	v_add_co_u32 v44, vcc_lo, v46, v44
	v_min3_f32 v51, v52, v51, v100
	v_add_co_ci_u32_e32 v45, vcc_lo, v47, v45, vcc_lo
	s_delay_alu instid0(VALU_DEP_4) | instskip(NEXT) | instid1(VALU_DEP_1)
	v_min_f32_e32 v52, v54, v53
	v_min3_f32 v50, v50, v52, v51
	global_store_b32 v[44:45], v50, off
	s_or_b32 exec_lo, exec_lo, s14
	s_and_b32 s15, s6, s8
	s_delay_alu instid0(SALU_CYCLE_1)
	s_and_saveexec_b32 s14, s15
	s_cbranch_execz .LBB70_259
.LBB70_284:
	v_cmp_ne_u32_e32 vcc_lo, 1, v121
	v_lshlrev_b64 v[44:45], 2, v[76:77]
	s_cbranch_vccnz .LBB70_286
; %bb.285:
	s_delay_alu instid0(VALU_DEP_1) | instskip(NEXT) | instid1(VALU_DEP_2)
	v_add_co_u32 v50, vcc_lo, v48, v44
	v_add_co_ci_u32_e32 v51, vcc_lo, v49, v45, vcc_lo
	flat_load_b32 v50, v[50:51]
	s_waitcnt vmcnt(0) lgkmcnt(0)
	v_mul_f32_e32 v50, s19, v50
	s_branch .LBB70_287
.LBB70_286:
	v_mov_b32_e32 v50, 0
.LBB70_287:
	v_dual_add_f32 v51, v9, v41 :: v_dual_add_f32 v52, v8, v40
	v_dual_add_f32 v53, v11, v43 :: v_dual_add_f32 v54, v10, v42
	s_delay_alu instid0(VALU_DEP_4) | instskip(NEXT) | instid1(VALU_DEP_3)
	v_add_co_u32 v44, vcc_lo, v46, v44
	v_min3_f32 v51, v52, v51, v99
	v_add_co_ci_u32_e32 v45, vcc_lo, v47, v45, vcc_lo
	s_delay_alu instid0(VALU_DEP_4) | instskip(NEXT) | instid1(VALU_DEP_1)
	v_min_f32_e32 v52, v54, v53
	v_min3_f32 v50, v50, v52, v51
	global_store_b32 v[44:45], v50, off
	s_or_b32 exec_lo, exec_lo, s14
	s_and_b32 s14, s7, s8
	s_delay_alu instid0(SALU_CYCLE_1)
	s_and_saveexec_b32 s8, s14
	s_cbranch_execz .LBB70_292
.LBB70_288:
	v_cmp_ne_u32_e32 vcc_lo, 1, v121
	v_lshlrev_b64 v[44:45], 2, v[78:79]
	s_cbranch_vccnz .LBB70_290
; %bb.289:
	s_delay_alu instid0(VALU_DEP_1) | instskip(NEXT) | instid1(VALU_DEP_2)
	v_add_co_u32 v48, vcc_lo, v48, v44
	v_add_co_ci_u32_e32 v49, vcc_lo, v49, v45, vcc_lo
	flat_load_b32 v48, v[48:49]
	s_waitcnt vmcnt(0) lgkmcnt(0)
	v_mul_f32_e32 v48, s19, v48
	s_branch .LBB70_291
.LBB70_290:
	v_mov_b32_e32 v48, 0
.LBB70_291:
	v_dual_add_f32 v41, v1, v41 :: v_dual_add_f32 v40, v0, v40
	v_dual_add_f32 v43, v3, v43 :: v_dual_add_f32 v42, v2, v42
	s_delay_alu instid0(VALU_DEP_2) | instskip(NEXT) | instid1(VALU_DEP_2)
	v_min3_f32 v40, v40, v41, v98
	v_min_f32_e32 v41, v42, v43
	s_delay_alu instid0(VALU_DEP_1)
	v_min3_f32 v42, v48, v41, v40
	v_add_co_u32 v40, vcc_lo, v46, v44
	v_add_co_ci_u32_e32 v41, vcc_lo, v47, v45, vcc_lo
	global_store_b32 v[40:41], v42, off
.LBB70_292:
	s_or_b32 exec_lo, exec_lo, s8
	v_add_nc_u32_e32 v44, 0xc0, v130
	s_delay_alu instid0(VALU_DEP_1) | instskip(SKIP_2) | instid1(VALU_DEP_3)
	v_mad_i64_i32 v[40:41], null, v44, s18, 0
	v_mad_i64_i32 v[42:43], null, v44, s9, 0
	v_cmp_gt_i32_e64 s8, s17, v44
	v_lshlrev_b64 v[40:41], 2, v[40:41]
	s_delay_alu instid0(VALU_DEP_2) | instskip(NEXT) | instid1(VALU_DEP_3)
	s_and_b32 s15, s0, s8
	v_lshlrev_b64 v[42:43], 2, v[42:43]
	s_delay_alu instid0(VALU_DEP_2) | instskip(NEXT) | instid1(VALU_DEP_3)
	v_add_co_u32 v44, vcc_lo, s12, v40
	v_add_co_ci_u32_e32 v45, vcc_lo, s13, v41, vcc_lo
	s_delay_alu instid0(VALU_DEP_3) | instskip(NEXT) | instid1(VALU_DEP_4)
	v_add_co_u32 v42, vcc_lo, s10, v42
	v_add_co_ci_u32_e32 v43, vcc_lo, s11, v43, vcc_lo
	s_and_saveexec_b32 s14, s15
	s_cbranch_execnz .LBB70_300
; %bb.293:
	s_or_b32 exec_lo, exec_lo, s14
	s_and_b32 s15, s1, s8
	s_delay_alu instid0(SALU_CYCLE_1)
	s_and_saveexec_b32 s14, s15
	s_cbranch_execnz .LBB70_304
.LBB70_294:
	s_or_b32 exec_lo, exec_lo, s14
	s_and_b32 s15, s2, s8
	s_delay_alu instid0(SALU_CYCLE_1)
	s_and_saveexec_b32 s14, s15
	s_cbranch_execnz .LBB70_308
.LBB70_295:
	s_or_b32 exec_lo, exec_lo, s14
	s_and_b32 s15, s3, s8
	s_delay_alu instid0(SALU_CYCLE_1)
	s_and_saveexec_b32 s14, s15
	s_cbranch_execnz .LBB70_312
.LBB70_296:
	s_or_b32 exec_lo, exec_lo, s14
	s_and_b32 s15, s4, s8
	s_delay_alu instid0(SALU_CYCLE_1)
	s_and_saveexec_b32 s14, s15
	s_cbranch_execnz .LBB70_316
.LBB70_297:
	s_or_b32 exec_lo, exec_lo, s14
	s_and_b32 s15, s5, s8
	s_delay_alu instid0(SALU_CYCLE_1)
	s_and_saveexec_b32 s14, s15
	s_cbranch_execnz .LBB70_320
.LBB70_298:
	s_or_b32 exec_lo, exec_lo, s14
	s_and_b32 s15, s6, s8
	s_delay_alu instid0(SALU_CYCLE_1)
	s_and_saveexec_b32 s14, s15
	s_cbranch_execnz .LBB70_324
.LBB70_299:
	s_or_b32 exec_lo, exec_lo, s14
	s_and_b32 s14, s7, s8
	s_delay_alu instid0(SALU_CYCLE_1)
	s_and_saveexec_b32 s8, s14
	s_cbranch_execnz .LBB70_328
	s_branch .LBB70_332
.LBB70_300:
	v_cmp_ne_u32_e32 vcc_lo, 1, v121
	v_lshlrev_b64 v[40:41], 2, v[64:65]
	s_cbranch_vccnz .LBB70_302
; %bb.301:
	s_delay_alu instid0(VALU_DEP_1) | instskip(NEXT) | instid1(VALU_DEP_2)
	v_add_co_u32 v46, vcc_lo, v44, v40
	v_add_co_ci_u32_e32 v47, vcc_lo, v45, v41, vcc_lo
	flat_load_b32 v46, v[46:47]
	s_waitcnt vmcnt(0) lgkmcnt(0)
	v_mul_f32_e32 v46, s19, v46
	s_branch .LBB70_303
.LBB70_302:
	v_mov_b32_e32 v46, 0
.LBB70_303:
	v_dual_add_f32 v47, v33, v37 :: v_dual_add_f32 v48, v32, v36
	v_dual_add_f32 v49, v35, v39 :: v_dual_add_f32 v50, v34, v38
	s_delay_alu instid0(VALU_DEP_4) | instskip(NEXT) | instid1(VALU_DEP_3)
	v_add_co_u32 v40, vcc_lo, v42, v40
	v_min3_f32 v47, v48, v47, v97
	v_add_co_ci_u32_e32 v41, vcc_lo, v43, v41, vcc_lo
	s_delay_alu instid0(VALU_DEP_4) | instskip(NEXT) | instid1(VALU_DEP_1)
	v_min_f32_e32 v48, v50, v49
	v_min3_f32 v46, v46, v48, v47
	global_store_b32 v[40:41], v46, off
	s_or_b32 exec_lo, exec_lo, s14
	s_and_b32 s15, s1, s8
	s_delay_alu instid0(SALU_CYCLE_1)
	s_and_saveexec_b32 s14, s15
	s_cbranch_execz .LBB70_294
.LBB70_304:
	v_cmp_ne_u32_e32 vcc_lo, 1, v121
	v_lshlrev_b64 v[40:41], 2, v[66:67]
	s_cbranch_vccnz .LBB70_306
; %bb.305:
	s_delay_alu instid0(VALU_DEP_1) | instskip(NEXT) | instid1(VALU_DEP_2)
	v_add_co_u32 v46, vcc_lo, v44, v40
	v_add_co_ci_u32_e32 v47, vcc_lo, v45, v41, vcc_lo
	flat_load_b32 v46, v[46:47]
	s_waitcnt vmcnt(0) lgkmcnt(0)
	v_mul_f32_e32 v46, s19, v46
	s_branch .LBB70_307
.LBB70_306:
	v_mov_b32_e32 v46, 0
.LBB70_307:
	v_dual_add_f32 v47, v29, v37 :: v_dual_add_f32 v48, v28, v36
	v_dual_add_f32 v49, v31, v39 :: v_dual_add_f32 v50, v30, v38
	s_delay_alu instid0(VALU_DEP_4) | instskip(NEXT) | instid1(VALU_DEP_3)
	v_add_co_u32 v40, vcc_lo, v42, v40
	v_min3_f32 v47, v48, v47, v96
	v_add_co_ci_u32_e32 v41, vcc_lo, v43, v41, vcc_lo
	s_delay_alu instid0(VALU_DEP_4) | instskip(NEXT) | instid1(VALU_DEP_1)
	v_min_f32_e32 v48, v50, v49
	v_min3_f32 v46, v46, v48, v47
	global_store_b32 v[40:41], v46, off
	s_or_b32 exec_lo, exec_lo, s14
	s_and_b32 s15, s2, s8
	s_delay_alu instid0(SALU_CYCLE_1)
	s_and_saveexec_b32 s14, s15
	s_cbranch_execz .LBB70_295
.LBB70_308:
	v_cmp_ne_u32_e32 vcc_lo, 1, v121
	v_lshlrev_b64 v[40:41], 2, v[68:69]
	s_cbranch_vccnz .LBB70_310
; %bb.309:
	s_delay_alu instid0(VALU_DEP_1) | instskip(NEXT) | instid1(VALU_DEP_2)
	v_add_co_u32 v46, vcc_lo, v44, v40
	v_add_co_ci_u32_e32 v47, vcc_lo, v45, v41, vcc_lo
	flat_load_b32 v46, v[46:47]
	s_waitcnt vmcnt(0) lgkmcnt(0)
	v_mul_f32_e32 v46, s19, v46
	s_branch .LBB70_311
.LBB70_310:
	v_mov_b32_e32 v46, 0
.LBB70_311:
	v_dual_add_f32 v47, v25, v37 :: v_dual_add_f32 v48, v24, v36
	v_dual_add_f32 v49, v27, v39 :: v_dual_add_f32 v50, v26, v38
	s_delay_alu instid0(VALU_DEP_4) | instskip(NEXT) | instid1(VALU_DEP_3)
	v_add_co_u32 v40, vcc_lo, v42, v40
	v_min3_f32 v47, v48, v47, v95
	v_add_co_ci_u32_e32 v41, vcc_lo, v43, v41, vcc_lo
	s_delay_alu instid0(VALU_DEP_4) | instskip(NEXT) | instid1(VALU_DEP_1)
	v_min_f32_e32 v48, v50, v49
	v_min3_f32 v46, v46, v48, v47
	global_store_b32 v[40:41], v46, off
	s_or_b32 exec_lo, exec_lo, s14
	s_and_b32 s15, s3, s8
	s_delay_alu instid0(SALU_CYCLE_1)
	s_and_saveexec_b32 s14, s15
	s_cbranch_execz .LBB70_296
.LBB70_312:
	v_cmp_ne_u32_e32 vcc_lo, 1, v121
	v_lshlrev_b64 v[40:41], 2, v[70:71]
	s_cbranch_vccnz .LBB70_314
; %bb.313:
	s_delay_alu instid0(VALU_DEP_1) | instskip(NEXT) | instid1(VALU_DEP_2)
	v_add_co_u32 v46, vcc_lo, v44, v40
	v_add_co_ci_u32_e32 v47, vcc_lo, v45, v41, vcc_lo
	flat_load_b32 v46, v[46:47]
	s_waitcnt vmcnt(0) lgkmcnt(0)
	v_mul_f32_e32 v46, s19, v46
	s_branch .LBB70_315
.LBB70_314:
	v_mov_b32_e32 v46, 0
.LBB70_315:
	v_dual_add_f32 v47, v21, v37 :: v_dual_add_f32 v48, v20, v36
	v_dual_add_f32 v49, v23, v39 :: v_dual_add_f32 v50, v22, v38
	s_delay_alu instid0(VALU_DEP_4) | instskip(NEXT) | instid1(VALU_DEP_3)
	v_add_co_u32 v40, vcc_lo, v42, v40
	v_min3_f32 v47, v48, v47, v94
	v_add_co_ci_u32_e32 v41, vcc_lo, v43, v41, vcc_lo
	s_delay_alu instid0(VALU_DEP_4) | instskip(NEXT) | instid1(VALU_DEP_1)
	v_min_f32_e32 v48, v50, v49
	v_min3_f32 v46, v46, v48, v47
	global_store_b32 v[40:41], v46, off
	s_or_b32 exec_lo, exec_lo, s14
	s_and_b32 s15, s4, s8
	s_delay_alu instid0(SALU_CYCLE_1)
	s_and_saveexec_b32 s14, s15
	s_cbranch_execz .LBB70_297
.LBB70_316:
	v_cmp_ne_u32_e32 vcc_lo, 1, v121
	v_lshlrev_b64 v[40:41], 2, v[72:73]
	s_cbranch_vccnz .LBB70_318
; %bb.317:
	s_delay_alu instid0(VALU_DEP_1) | instskip(NEXT) | instid1(VALU_DEP_2)
	v_add_co_u32 v46, vcc_lo, v44, v40
	v_add_co_ci_u32_e32 v47, vcc_lo, v45, v41, vcc_lo
	flat_load_b32 v46, v[46:47]
	s_waitcnt vmcnt(0) lgkmcnt(0)
	v_mul_f32_e32 v46, s19, v46
	s_branch .LBB70_319
.LBB70_318:
	v_mov_b32_e32 v46, 0
.LBB70_319:
	v_dual_add_f32 v47, v17, v37 :: v_dual_add_f32 v48, v16, v36
	v_dual_add_f32 v49, v19, v39 :: v_dual_add_f32 v50, v18, v38
	s_delay_alu instid0(VALU_DEP_4) | instskip(NEXT) | instid1(VALU_DEP_3)
	v_add_co_u32 v40, vcc_lo, v42, v40
	v_min3_f32 v47, v48, v47, v93
	v_add_co_ci_u32_e32 v41, vcc_lo, v43, v41, vcc_lo
	s_delay_alu instid0(VALU_DEP_4) | instskip(NEXT) | instid1(VALU_DEP_1)
	v_min_f32_e32 v48, v50, v49
	v_min3_f32 v46, v46, v48, v47
	global_store_b32 v[40:41], v46, off
	s_or_b32 exec_lo, exec_lo, s14
	s_and_b32 s15, s5, s8
	s_delay_alu instid0(SALU_CYCLE_1)
	s_and_saveexec_b32 s14, s15
	s_cbranch_execz .LBB70_298
.LBB70_320:
	v_cmp_ne_u32_e32 vcc_lo, 1, v121
	v_lshlrev_b64 v[40:41], 2, v[74:75]
	s_cbranch_vccnz .LBB70_322
; %bb.321:
	s_delay_alu instid0(VALU_DEP_1) | instskip(NEXT) | instid1(VALU_DEP_2)
	v_add_co_u32 v46, vcc_lo, v44, v40
	v_add_co_ci_u32_e32 v47, vcc_lo, v45, v41, vcc_lo
	flat_load_b32 v46, v[46:47]
	s_waitcnt vmcnt(0) lgkmcnt(0)
	v_mul_f32_e32 v46, s19, v46
	s_branch .LBB70_323
.LBB70_322:
	v_mov_b32_e32 v46, 0
.LBB70_323:
	v_dual_add_f32 v47, v13, v37 :: v_dual_add_f32 v48, v12, v36
	v_dual_add_f32 v49, v15, v39 :: v_dual_add_f32 v50, v14, v38
	s_delay_alu instid0(VALU_DEP_4) | instskip(NEXT) | instid1(VALU_DEP_3)
	v_add_co_u32 v40, vcc_lo, v42, v40
	v_min3_f32 v47, v48, v47, v91
	v_add_co_ci_u32_e32 v41, vcc_lo, v43, v41, vcc_lo
	s_delay_alu instid0(VALU_DEP_4) | instskip(NEXT) | instid1(VALU_DEP_1)
	v_min_f32_e32 v48, v50, v49
	v_min3_f32 v46, v46, v48, v47
	global_store_b32 v[40:41], v46, off
	s_or_b32 exec_lo, exec_lo, s14
	s_and_b32 s15, s6, s8
	s_delay_alu instid0(SALU_CYCLE_1)
	s_and_saveexec_b32 s14, s15
	s_cbranch_execz .LBB70_299
.LBB70_324:
	v_cmp_ne_u32_e32 vcc_lo, 1, v121
	v_lshlrev_b64 v[40:41], 2, v[76:77]
	s_cbranch_vccnz .LBB70_326
; %bb.325:
	s_delay_alu instid0(VALU_DEP_1) | instskip(NEXT) | instid1(VALU_DEP_2)
	v_add_co_u32 v46, vcc_lo, v44, v40
	v_add_co_ci_u32_e32 v47, vcc_lo, v45, v41, vcc_lo
	flat_load_b32 v46, v[46:47]
	s_waitcnt vmcnt(0) lgkmcnt(0)
	v_mul_f32_e32 v46, s19, v46
	s_branch .LBB70_327
.LBB70_326:
	v_mov_b32_e32 v46, 0
.LBB70_327:
	v_dual_add_f32 v47, v9, v37 :: v_dual_add_f32 v48, v8, v36
	v_dual_add_f32 v49, v11, v39 :: v_dual_add_f32 v50, v10, v38
	s_delay_alu instid0(VALU_DEP_4) | instskip(NEXT) | instid1(VALU_DEP_3)
	v_add_co_u32 v40, vcc_lo, v42, v40
	v_min3_f32 v47, v48, v47, v90
	v_add_co_ci_u32_e32 v41, vcc_lo, v43, v41, vcc_lo
	s_delay_alu instid0(VALU_DEP_4) | instskip(NEXT) | instid1(VALU_DEP_1)
	v_min_f32_e32 v48, v50, v49
	v_min3_f32 v46, v46, v48, v47
	global_store_b32 v[40:41], v46, off
	s_or_b32 exec_lo, exec_lo, s14
	s_and_b32 s14, s7, s8
	s_delay_alu instid0(SALU_CYCLE_1)
	s_and_saveexec_b32 s8, s14
	s_cbranch_execz .LBB70_332
.LBB70_328:
	v_cmp_ne_u32_e32 vcc_lo, 1, v121
	v_lshlrev_b64 v[40:41], 2, v[78:79]
	s_cbranch_vccnz .LBB70_330
; %bb.329:
	s_delay_alu instid0(VALU_DEP_1) | instskip(NEXT) | instid1(VALU_DEP_2)
	v_add_co_u32 v44, vcc_lo, v44, v40
	v_add_co_ci_u32_e32 v45, vcc_lo, v45, v41, vcc_lo
	flat_load_b32 v44, v[44:45]
	s_waitcnt vmcnt(0) lgkmcnt(0)
	v_mul_f32_e32 v44, s19, v44
	s_branch .LBB70_331
.LBB70_330:
	v_mov_b32_e32 v44, 0
.LBB70_331:
	v_dual_add_f32 v37, v1, v37 :: v_dual_add_f32 v36, v0, v36
	v_dual_add_f32 v39, v3, v39 :: v_dual_add_f32 v38, v2, v38
	s_delay_alu instid0(VALU_DEP_2) | instskip(NEXT) | instid1(VALU_DEP_2)
	v_min3_f32 v36, v36, v37, v89
	v_min_f32_e32 v37, v38, v39
	s_delay_alu instid0(VALU_DEP_1)
	v_min3_f32 v38, v44, v37, v36
	v_add_co_u32 v36, vcc_lo, v42, v40
	v_add_co_ci_u32_e32 v37, vcc_lo, v43, v41, vcc_lo
	global_store_b32 v[36:37], v38, off
.LBB70_332:
	s_or_b32 exec_lo, exec_lo, s8
	v_add_nc_u32_e32 v40, 0xe0, v130
	s_delay_alu instid0(VALU_DEP_1) | instskip(SKIP_2) | instid1(VALU_DEP_3)
	v_mad_i64_i32 v[36:37], null, v40, s18, 0
	v_mad_i64_i32 v[38:39], null, v40, s9, 0
	v_cmp_gt_i32_e64 s8, s17, v40
	v_lshlrev_b64 v[36:37], 2, v[36:37]
	s_delay_alu instid0(VALU_DEP_2) | instskip(NEXT) | instid1(VALU_DEP_3)
	s_and_b32 s9, s0, s8
	v_lshlrev_b64 v[38:39], 2, v[38:39]
	s_delay_alu instid0(VALU_DEP_2) | instskip(NEXT) | instid1(VALU_DEP_3)
	v_add_co_u32 v40, vcc_lo, s12, v36
	v_add_co_ci_u32_e32 v41, vcc_lo, s13, v37, vcc_lo
	s_delay_alu instid0(VALU_DEP_3) | instskip(NEXT) | instid1(VALU_DEP_4)
	v_add_co_u32 v38, vcc_lo, s10, v38
	v_add_co_ci_u32_e32 v39, vcc_lo, s11, v39, vcc_lo
	s_and_saveexec_b32 s0, s9
	s_cbranch_execnz .LBB70_341
; %bb.333:
	s_or_b32 exec_lo, exec_lo, s0
	s_and_b32 s1, s1, s8
	s_delay_alu instid0(SALU_CYCLE_1)
	s_and_saveexec_b32 s0, s1
	s_cbranch_execnz .LBB70_345
.LBB70_334:
	s_or_b32 exec_lo, exec_lo, s0
	s_and_b32 s1, s2, s8
	s_delay_alu instid0(SALU_CYCLE_1)
	s_and_saveexec_b32 s0, s1
	s_cbranch_execnz .LBB70_349
.LBB70_335:
	s_or_b32 exec_lo, exec_lo, s0
	s_and_b32 s1, s3, s8
	s_delay_alu instid0(SALU_CYCLE_1)
	s_and_saveexec_b32 s0, s1
	s_cbranch_execnz .LBB70_353
.LBB70_336:
	s_or_b32 exec_lo, exec_lo, s0
	s_and_b32 s1, s4, s8
	s_delay_alu instid0(SALU_CYCLE_1)
	s_and_saveexec_b32 s0, s1
	s_cbranch_execnz .LBB70_357
.LBB70_337:
	s_or_b32 exec_lo, exec_lo, s0
	s_and_b32 s1, s5, s8
	s_delay_alu instid0(SALU_CYCLE_1)
	s_and_saveexec_b32 s0, s1
	s_cbranch_execnz .LBB70_361
.LBB70_338:
	s_or_b32 exec_lo, exec_lo, s0
	s_and_b32 s1, s6, s8
	s_delay_alu instid0(SALU_CYCLE_1)
	s_and_saveexec_b32 s0, s1
	s_cbranch_execnz .LBB70_365
.LBB70_339:
	s_or_b32 exec_lo, exec_lo, s0
	s_and_b32 s0, s7, s8
	s_delay_alu instid0(SALU_CYCLE_1)
	s_and_saveexec_b32 s1, s0
	s_cbranch_execnz .LBB70_369
.LBB70_340:
	s_nop 0
	s_sendmsg sendmsg(MSG_DEALLOC_VGPRS)
	s_endpgm
.LBB70_341:
	v_cmp_ne_u32_e32 vcc_lo, 1, v121
	v_lshlrev_b64 v[36:37], 2, v[64:65]
	s_cbranch_vccnz .LBB70_343
; %bb.342:
	s_delay_alu instid0(VALU_DEP_1) | instskip(NEXT) | instid1(VALU_DEP_2)
	v_add_co_u32 v42, vcc_lo, v40, v36
	v_add_co_ci_u32_e32 v43, vcc_lo, v41, v37, vcc_lo
	flat_load_b32 v42, v[42:43]
	s_waitcnt vmcnt(0) lgkmcnt(0)
	v_mul_f32_e32 v42, s19, v42
	s_branch .LBB70_344
.LBB70_343:
	v_mov_b32_e32 v42, 0
.LBB70_344:
	v_dual_add_f32 v33, v33, v5 :: v_dual_add_f32 v32, v32, v4
	v_dual_add_f32 v35, v35, v7 :: v_dual_add_f32 v34, v34, v6
	s_delay_alu instid0(VALU_DEP_2) | instskip(NEXT) | instid1(VALU_DEP_2)
	v_min3_f32 v32, v32, v33, v88
	v_min_f32_e32 v33, v34, v35
	s_delay_alu instid0(VALU_DEP_1)
	v_min3_f32 v34, v42, v33, v32
	v_add_co_u32 v32, vcc_lo, v38, v36
	v_add_co_ci_u32_e32 v33, vcc_lo, v39, v37, vcc_lo
	global_store_b32 v[32:33], v34, off
	s_or_b32 exec_lo, exec_lo, s0
	s_and_b32 s1, s1, s8
	s_delay_alu instid0(SALU_CYCLE_1)
	s_and_saveexec_b32 s0, s1
	s_cbranch_execz .LBB70_334
.LBB70_345:
	v_cmp_ne_u32_e32 vcc_lo, 1, v121
	v_lshlrev_b64 v[32:33], 2, v[66:67]
	s_cbranch_vccnz .LBB70_347
; %bb.346:
	s_delay_alu instid0(VALU_DEP_1) | instskip(NEXT) | instid1(VALU_DEP_2)
	v_add_co_u32 v34, vcc_lo, v40, v32
	v_add_co_ci_u32_e32 v35, vcc_lo, v41, v33, vcc_lo
	flat_load_b32 v34, v[34:35]
	s_waitcnt vmcnt(0) lgkmcnt(0)
	v_mul_f32_e32 v34, s19, v34
	s_branch .LBB70_348
.LBB70_347:
	v_mov_b32_e32 v34, 0
.LBB70_348:
	v_dual_add_f32 v29, v29, v5 :: v_dual_add_f32 v28, v28, v4
	v_dual_add_f32 v31, v31, v7 :: v_dual_add_f32 v30, v30, v6
	s_delay_alu instid0(VALU_DEP_2) | instskip(NEXT) | instid1(VALU_DEP_2)
	v_min3_f32 v28, v28, v29, v87
	v_min_f32_e32 v29, v30, v31
	s_delay_alu instid0(VALU_DEP_1)
	v_min3_f32 v30, v34, v29, v28
	v_add_co_u32 v28, vcc_lo, v38, v32
	v_add_co_ci_u32_e32 v29, vcc_lo, v39, v33, vcc_lo
	global_store_b32 v[28:29], v30, off
	s_or_b32 exec_lo, exec_lo, s0
	s_and_b32 s1, s2, s8
	s_delay_alu instid0(SALU_CYCLE_1)
	s_and_saveexec_b32 s0, s1
	s_cbranch_execz .LBB70_335
.LBB70_349:
	v_cmp_ne_u32_e32 vcc_lo, 1, v121
	v_lshlrev_b64 v[28:29], 2, v[68:69]
	s_cbranch_vccnz .LBB70_351
; %bb.350:
	s_delay_alu instid0(VALU_DEP_1) | instskip(NEXT) | instid1(VALU_DEP_2)
	v_add_co_u32 v30, vcc_lo, v40, v28
	v_add_co_ci_u32_e32 v31, vcc_lo, v41, v29, vcc_lo
	flat_load_b32 v30, v[30:31]
	s_waitcnt vmcnt(0) lgkmcnt(0)
	v_mul_f32_e32 v30, s19, v30
	s_branch .LBB70_352
.LBB70_351:
	v_mov_b32_e32 v30, 0
.LBB70_352:
	v_dual_add_f32 v25, v25, v5 :: v_dual_add_f32 v24, v24, v4
	v_dual_add_f32 v27, v27, v7 :: v_dual_add_f32 v26, v26, v6
	s_delay_alu instid0(VALU_DEP_2) | instskip(NEXT) | instid1(VALU_DEP_2)
	v_min3_f32 v24, v24, v25, v86
	v_min_f32_e32 v25, v26, v27
	s_delay_alu instid0(VALU_DEP_1)
	v_min3_f32 v26, v30, v25, v24
	v_add_co_u32 v24, vcc_lo, v38, v28
	v_add_co_ci_u32_e32 v25, vcc_lo, v39, v29, vcc_lo
	global_store_b32 v[24:25], v26, off
	s_or_b32 exec_lo, exec_lo, s0
	s_and_b32 s1, s3, s8
	s_delay_alu instid0(SALU_CYCLE_1)
	s_and_saveexec_b32 s0, s1
	s_cbranch_execz .LBB70_336
.LBB70_353:
	v_cmp_ne_u32_e32 vcc_lo, 1, v121
	v_lshlrev_b64 v[24:25], 2, v[70:71]
	s_cbranch_vccnz .LBB70_355
; %bb.354:
	s_delay_alu instid0(VALU_DEP_1) | instskip(NEXT) | instid1(VALU_DEP_2)
	v_add_co_u32 v26, vcc_lo, v40, v24
	v_add_co_ci_u32_e32 v27, vcc_lo, v41, v25, vcc_lo
	flat_load_b32 v26, v[26:27]
	s_waitcnt vmcnt(0) lgkmcnt(0)
	v_mul_f32_e32 v26, s19, v26
	s_branch .LBB70_356
.LBB70_355:
	v_mov_b32_e32 v26, 0
.LBB70_356:
	v_dual_add_f32 v21, v21, v5 :: v_dual_add_f32 v20, v20, v4
	v_dual_add_f32 v23, v23, v7 :: v_dual_add_f32 v22, v22, v6
	s_delay_alu instid0(VALU_DEP_2) | instskip(NEXT) | instid1(VALU_DEP_2)
	v_min3_f32 v20, v20, v21, v85
	v_min_f32_e32 v21, v22, v23
	s_delay_alu instid0(VALU_DEP_1)
	v_min3_f32 v22, v26, v21, v20
	v_add_co_u32 v20, vcc_lo, v38, v24
	v_add_co_ci_u32_e32 v21, vcc_lo, v39, v25, vcc_lo
	global_store_b32 v[20:21], v22, off
	s_or_b32 exec_lo, exec_lo, s0
	s_and_b32 s1, s4, s8
	s_delay_alu instid0(SALU_CYCLE_1)
	s_and_saveexec_b32 s0, s1
	s_cbranch_execz .LBB70_337
.LBB70_357:
	v_cmp_ne_u32_e32 vcc_lo, 1, v121
	v_lshlrev_b64 v[20:21], 2, v[72:73]
	s_cbranch_vccnz .LBB70_359
; %bb.358:
	s_delay_alu instid0(VALU_DEP_1) | instskip(NEXT) | instid1(VALU_DEP_2)
	v_add_co_u32 v22, vcc_lo, v40, v20
	v_add_co_ci_u32_e32 v23, vcc_lo, v41, v21, vcc_lo
	flat_load_b32 v22, v[22:23]
	s_waitcnt vmcnt(0) lgkmcnt(0)
	v_mul_f32_e32 v22, s19, v22
	s_branch .LBB70_360
.LBB70_359:
	v_mov_b32_e32 v22, 0
.LBB70_360:
	v_dual_add_f32 v17, v17, v5 :: v_dual_add_f32 v16, v16, v4
	v_dual_add_f32 v19, v19, v7 :: v_dual_add_f32 v18, v18, v6
	s_delay_alu instid0(VALU_DEP_2) | instskip(NEXT) | instid1(VALU_DEP_2)
	v_min3_f32 v16, v16, v17, v84
	v_min_f32_e32 v17, v18, v19
	s_delay_alu instid0(VALU_DEP_1)
	v_min3_f32 v18, v22, v17, v16
	v_add_co_u32 v16, vcc_lo, v38, v20
	v_add_co_ci_u32_e32 v17, vcc_lo, v39, v21, vcc_lo
	global_store_b32 v[16:17], v18, off
	s_or_b32 exec_lo, exec_lo, s0
	s_and_b32 s1, s5, s8
	s_delay_alu instid0(SALU_CYCLE_1)
	s_and_saveexec_b32 s0, s1
	s_cbranch_execz .LBB70_338
.LBB70_361:
	v_cmp_ne_u32_e32 vcc_lo, 1, v121
	v_lshlrev_b64 v[16:17], 2, v[74:75]
	s_cbranch_vccnz .LBB70_363
; %bb.362:
	s_delay_alu instid0(VALU_DEP_1) | instskip(NEXT) | instid1(VALU_DEP_2)
	v_add_co_u32 v18, vcc_lo, v40, v16
	v_add_co_ci_u32_e32 v19, vcc_lo, v41, v17, vcc_lo
	flat_load_b32 v18, v[18:19]
	s_waitcnt vmcnt(0) lgkmcnt(0)
	v_mul_f32_e32 v18, s19, v18
	s_branch .LBB70_364
.LBB70_363:
	v_mov_b32_e32 v18, 0
.LBB70_364:
	v_dual_add_f32 v13, v13, v5 :: v_dual_add_f32 v12, v12, v4
	v_dual_add_f32 v15, v15, v7 :: v_dual_add_f32 v14, v14, v6
	s_delay_alu instid0(VALU_DEP_2) | instskip(NEXT) | instid1(VALU_DEP_2)
	v_min3_f32 v12, v12, v13, v83
	v_min_f32_e32 v13, v14, v15
	s_delay_alu instid0(VALU_DEP_1)
	v_min3_f32 v14, v18, v13, v12
	v_add_co_u32 v12, vcc_lo, v38, v16
	v_add_co_ci_u32_e32 v13, vcc_lo, v39, v17, vcc_lo
	global_store_b32 v[12:13], v14, off
	s_or_b32 exec_lo, exec_lo, s0
	s_and_b32 s1, s6, s8
	s_delay_alu instid0(SALU_CYCLE_1)
	s_and_saveexec_b32 s0, s1
	s_cbranch_execz .LBB70_339
.LBB70_365:
	v_cmp_ne_u32_e32 vcc_lo, 1, v121
	v_lshlrev_b64 v[12:13], 2, v[76:77]
	s_cbranch_vccnz .LBB70_367
; %bb.366:
	s_delay_alu instid0(VALU_DEP_1) | instskip(NEXT) | instid1(VALU_DEP_2)
	v_add_co_u32 v14, vcc_lo, v40, v12
	v_add_co_ci_u32_e32 v15, vcc_lo, v41, v13, vcc_lo
	flat_load_b32 v14, v[14:15]
	s_waitcnt vmcnt(0) lgkmcnt(0)
	v_mul_f32_e32 v14, s19, v14
	s_branch .LBB70_368
.LBB70_367:
	v_mov_b32_e32 v14, 0
.LBB70_368:
	v_dual_add_f32 v9, v9, v5 :: v_dual_add_f32 v8, v8, v4
	v_dual_add_f32 v11, v11, v7 :: v_dual_add_f32 v10, v10, v6
	s_delay_alu instid0(VALU_DEP_2) | instskip(NEXT) | instid1(VALU_DEP_2)
	v_min3_f32 v8, v8, v9, v82
	v_min_f32_e32 v9, v10, v11
	s_delay_alu instid0(VALU_DEP_1)
	v_min3_f32 v10, v14, v9, v8
	v_add_co_u32 v8, vcc_lo, v38, v12
	v_add_co_ci_u32_e32 v9, vcc_lo, v39, v13, vcc_lo
	global_store_b32 v[8:9], v10, off
	s_or_b32 exec_lo, exec_lo, s0
	s_and_b32 s0, s7, s8
	s_delay_alu instid0(SALU_CYCLE_1)
	s_and_saveexec_b32 s1, s0
	s_cbranch_execz .LBB70_340
.LBB70_369:
	v_cmp_ne_u32_e32 vcc_lo, 1, v121
	v_lshlrev_b64 v[8:9], 2, v[78:79]
	s_cbranch_vccnz .LBB70_371
; %bb.370:
	s_delay_alu instid0(VALU_DEP_1) | instskip(NEXT) | instid1(VALU_DEP_2)
	v_add_co_u32 v10, vcc_lo, v40, v8
	v_add_co_ci_u32_e32 v11, vcc_lo, v41, v9, vcc_lo
	flat_load_b32 v10, v[10:11]
	s_waitcnt vmcnt(0) lgkmcnt(0)
	v_mul_f32_e32 v10, s19, v10
	s_branch .LBB70_372
.LBB70_371:
	v_mov_b32_e32 v10, 0
.LBB70_372:
	v_dual_add_f32 v1, v1, v5 :: v_dual_add_f32 v0, v0, v4
	v_dual_add_f32 v3, v3, v7 :: v_dual_add_f32 v2, v2, v6
	s_delay_alu instid0(VALU_DEP_2) | instskip(NEXT) | instid1(VALU_DEP_2)
	v_min3_f32 v0, v0, v1, v92
	v_min_f32_e32 v1, v2, v3
	s_delay_alu instid0(VALU_DEP_1)
	v_min3_f32 v2, v10, v1, v0
	v_add_co_u32 v0, vcc_lo, v38, v8
	v_add_co_ci_u32_e32 v1, vcc_lo, v39, v9, vcc_lo
	global_store_b32 v[0:1], v2, off
	s_nop 0
	s_sendmsg sendmsg(MSG_DEALLOC_VGPRS)
	s_endpgm
	.section	.rodata,"a",@progbits
	.p2align	6, 0x0
	.amdhsa_kernel _ZN12_GLOBAL__N_120geam_min_plus_kernelIf15HIP_vector_typeIfLj2EEfLi8ELi32ELi64ELi256ELi4ELi64ELi4ELi64ELi4ELc78ELc84ELb1ELb1ELb1EfKffEEviiiT16_PT17_ilS6_ilS4_S6_ilPT18_ili26rocblas_geam_ex_operation_
		.amdhsa_group_segment_fixed_size 10240
		.amdhsa_private_segment_fixed_size 0
		.amdhsa_kernarg_size 128
		.amdhsa_user_sgpr_count 14
		.amdhsa_user_sgpr_dispatch_ptr 0
		.amdhsa_user_sgpr_queue_ptr 0
		.amdhsa_user_sgpr_kernarg_segment_ptr 1
		.amdhsa_user_sgpr_dispatch_id 0
		.amdhsa_user_sgpr_private_segment_size 0
		.amdhsa_wavefront_size32 1
		.amdhsa_uses_dynamic_stack 0
		.amdhsa_enable_private_segment 0
		.amdhsa_system_sgpr_workgroup_id_x 1
		.amdhsa_system_sgpr_workgroup_id_y 0
		.amdhsa_system_sgpr_workgroup_id_z 1
		.amdhsa_system_sgpr_workgroup_info 0
		.amdhsa_system_vgpr_workitem_id 1
		.amdhsa_next_free_vgpr 205
		.amdhsa_next_free_sgpr 30
		.amdhsa_reserve_vcc 1
		.amdhsa_float_round_mode_32 0
		.amdhsa_float_round_mode_16_64 0
		.amdhsa_float_denorm_mode_32 3
		.amdhsa_float_denorm_mode_16_64 3
		.amdhsa_dx10_clamp 1
		.amdhsa_ieee_mode 1
		.amdhsa_fp16_overflow 0
		.amdhsa_workgroup_processor_mode 1
		.amdhsa_memory_ordered 1
		.amdhsa_forward_progress 0
		.amdhsa_shared_vgpr_count 0
		.amdhsa_exception_fp_ieee_invalid_op 0
		.amdhsa_exception_fp_denorm_src 0
		.amdhsa_exception_fp_ieee_div_zero 0
		.amdhsa_exception_fp_ieee_overflow 0
		.amdhsa_exception_fp_ieee_underflow 0
		.amdhsa_exception_fp_ieee_inexact 0
		.amdhsa_exception_int_div_zero 0
	.end_amdhsa_kernel
	.section	.text._ZN12_GLOBAL__N_120geam_min_plus_kernelIf15HIP_vector_typeIfLj2EEfLi8ELi32ELi64ELi256ELi4ELi64ELi4ELi64ELi4ELc78ELc84ELb1ELb1ELb1EfKffEEviiiT16_PT17_ilS6_ilS4_S6_ilPT18_ili26rocblas_geam_ex_operation_,"axG",@progbits,_ZN12_GLOBAL__N_120geam_min_plus_kernelIf15HIP_vector_typeIfLj2EEfLi8ELi32ELi64ELi256ELi4ELi64ELi4ELi64ELi4ELc78ELc84ELb1ELb1ELb1EfKffEEviiiT16_PT17_ilS6_ilS4_S6_ilPT18_ili26rocblas_geam_ex_operation_,comdat
.Lfunc_end70:
	.size	_ZN12_GLOBAL__N_120geam_min_plus_kernelIf15HIP_vector_typeIfLj2EEfLi8ELi32ELi64ELi256ELi4ELi64ELi4ELi64ELi4ELc78ELc84ELb1ELb1ELb1EfKffEEviiiT16_PT17_ilS6_ilS4_S6_ilPT18_ili26rocblas_geam_ex_operation_, .Lfunc_end70-_ZN12_GLOBAL__N_120geam_min_plus_kernelIf15HIP_vector_typeIfLj2EEfLi8ELi32ELi64ELi256ELi4ELi64ELi4ELi64ELi4ELc78ELc84ELb1ELb1ELb1EfKffEEviiiT16_PT17_ilS6_ilS4_S6_ilPT18_ili26rocblas_geam_ex_operation_
                                        ; -- End function
	.section	.AMDGPU.csdata,"",@progbits
; Kernel info:
; codeLenInByte = 20688
; NumSgprs: 32
; NumVgprs: 205
; ScratchSize: 0
; MemoryBound: 0
; FloatMode: 240
; IeeeMode: 1
; LDSByteSize: 10240 bytes/workgroup (compile time only)
; SGPRBlocks: 3
; VGPRBlocks: 25
; NumSGPRsForWavesPerEU: 32
; NumVGPRsForWavesPerEU: 205
; Occupancy: 7
; WaveLimiterHint : 0
; COMPUTE_PGM_RSRC2:SCRATCH_EN: 0
; COMPUTE_PGM_RSRC2:USER_SGPR: 14
; COMPUTE_PGM_RSRC2:TRAP_HANDLER: 0
; COMPUTE_PGM_RSRC2:TGID_X_EN: 1
; COMPUTE_PGM_RSRC2:TGID_Y_EN: 0
; COMPUTE_PGM_RSRC2:TGID_Z_EN: 1
; COMPUTE_PGM_RSRC2:TIDIG_COMP_CNT: 1
	.section	.text._ZN12_GLOBAL__N_120geam_min_plus_kernelIf15HIP_vector_typeIfLj2EEfLi8ELi32ELi64ELi256ELi4ELi64ELi4ELi64ELi4ELc78ELc84ELb0ELb1ELb1EfKffEEviiiT16_PT17_ilS6_ilS4_S6_ilPT18_ili26rocblas_geam_ex_operation_,"axG",@progbits,_ZN12_GLOBAL__N_120geam_min_plus_kernelIf15HIP_vector_typeIfLj2EEfLi8ELi32ELi64ELi256ELi4ELi64ELi4ELi64ELi4ELc78ELc84ELb0ELb1ELb1EfKffEEviiiT16_PT17_ilS6_ilS4_S6_ilPT18_ili26rocblas_geam_ex_operation_,comdat
	.globl	_ZN12_GLOBAL__N_120geam_min_plus_kernelIf15HIP_vector_typeIfLj2EEfLi8ELi32ELi64ELi256ELi4ELi64ELi4ELi64ELi4ELc78ELc84ELb0ELb1ELb1EfKffEEviiiT16_PT17_ilS6_ilS4_S6_ilPT18_ili26rocblas_geam_ex_operation_ ; -- Begin function _ZN12_GLOBAL__N_120geam_min_plus_kernelIf15HIP_vector_typeIfLj2EEfLi8ELi32ELi64ELi256ELi4ELi64ELi4ELi64ELi4ELc78ELc84ELb0ELb1ELb1EfKffEEviiiT16_PT17_ilS6_ilS4_S6_ilPT18_ili26rocblas_geam_ex_operation_
	.p2align	8
	.type	_ZN12_GLOBAL__N_120geam_min_plus_kernelIf15HIP_vector_typeIfLj2EEfLi8ELi32ELi64ELi256ELi4ELi64ELi4ELi64ELi4ELc78ELc84ELb0ELb1ELb1EfKffEEviiiT16_PT17_ilS6_ilS4_S6_ilPT18_ili26rocblas_geam_ex_operation_,@function
_ZN12_GLOBAL__N_120geam_min_plus_kernelIf15HIP_vector_typeIfLj2EEfLi8ELi32ELi64ELi256ELi4ELi64ELi4ELi64ELi4ELc78ELc84ELb0ELb1ELb1EfKffEEviiiT16_PT17_ilS6_ilS4_S6_ilPT18_ili26rocblas_geam_ex_operation_: ; @_ZN12_GLOBAL__N_120geam_min_plus_kernelIf15HIP_vector_typeIfLj2EEfLi8ELi32ELi64ELi256ELi4ELi64ELi4ELi64ELi4ELc78ELc84ELb0ELb1ELb1EfKffEEviiiT16_PT17_ilS6_ilS4_S6_ilPT18_ili26rocblas_geam_ex_operation_
; %bb.0:
	s_clause 0x1
	s_load_b128 s[16:19], s[0:1], 0x0
	s_load_b128 s[4:7], s[0:1], 0x20
	s_mov_b64 s[22:23], 0
	s_waitcnt lgkmcnt(0)
	v_cmp_eq_f32_e64 s27, s19, 0
	v_cmp_neq_f32_e64 s2, s19, 0
	s_delay_alu instid0(VALU_DEP_2)
	s_and_b32 vcc_lo, exec_lo, s27
	s_cbranch_vccnz .LBB71_2
; %bb.1:
	s_load_b64 s[8:9], s[0:1], 0x10
	s_mul_i32 s3, s15, s5
	s_mul_hi_u32 s5, s15, s4
	s_mul_i32 s4, s15, s4
	s_add_i32 s5, s5, s3
	s_delay_alu instid0(SALU_CYCLE_1)
	s_lshl_b64 s[4:5], s[4:5], 2
	s_waitcnt lgkmcnt(0)
	s_add_u32 s22, s8, s4
	s_addc_u32 s23, s9, s5
.LBB71_2:
	s_delay_alu instid0(VALU_DEP_1)
	s_and_b32 vcc_lo, exec_lo, s2
	s_cbranch_vccz .LBB71_4
; %bb.3:
	s_load_b64 s[2:3], s[0:1], 0x38
	s_mov_b32 s26, 0
	s_waitcnt lgkmcnt(0)
	s_mul_i32 s3, s15, s3
	s_mul_hi_u32 s4, s15, s2
	s_mul_i32 s2, s15, s2
	s_add_i32 s3, s4, s3
	s_delay_alu instid0(SALU_CYCLE_1) | instskip(NEXT) | instid1(SALU_CYCLE_1)
	s_lshl_b64 s[2:3], s[2:3], 2
	s_add_u32 s20, s6, s2
	s_addc_u32 s21, s7, s3
	s_cbranch_execz .LBB71_5
	s_branch .LBB71_6
.LBB71_4:
	s_mov_b32 s26, -1
                                        ; implicit-def: $sgpr20_sgpr21
.LBB71_5:
	s_mov_b32 s26, 0
	s_mov_b64 s[20:21], 0
.LBB71_6:
	s_clause 0x1
	s_load_b32 s24, s[0:1], 0x40
	s_load_b128 s[8:11], s[0:1], 0x58
	s_waitcnt lgkmcnt(0)
	v_cmp_eq_f32_e64 s2, s24, 0
	v_cmp_neq_f32_e64 s25, s24, 0
	s_delay_alu instid0(VALU_DEP_2)
	s_and_b32 vcc_lo, exec_lo, s2
	s_cbranch_vccnz .LBB71_8
; %bb.7:
	s_load_b64 s[2:3], s[0:1], 0x48
	s_mul_i32 s4, s15, s9
	s_mul_hi_u32 s5, s15, s8
	s_delay_alu instid0(SALU_CYCLE_1) | instskip(SKIP_1) | instid1(SALU_CYCLE_1)
	s_add_i32 s4, s5, s4
	s_mul_i32 s5, s26, s8
	s_add_i32 s5, s4, s5
	s_mul_i32 s4, s15, s8
	s_delay_alu instid0(SALU_CYCLE_1)
	s_lshl_b64 s[4:5], s[4:5], 2
	s_waitcnt lgkmcnt(0)
	s_add_u32 s12, s2, s4
	s_addc_u32 s13, s3, s5
	s_branch .LBB71_9
.LBB71_8:
	s_mov_b64 s[12:13], 0
.LBB71_9:
	s_add_i32 s2, s16, -1
	s_load_b32 s8, s[0:1], 0x18
	s_ashr_i32 s3, s2, 31
	v_and_b32_e32 v70, 0x3ff, v0
	s_lshr_b32 s3, s3, 26
	v_bfe_u32 v71, v0, 10, 10
	s_add_i32 s3, s2, s3
	s_delay_alu instid0(SALU_CYCLE_1) | instskip(NEXT) | instid1(SALU_CYCLE_1)
	s_ashr_i32 s3, s3, 6
	s_add_i32 s4, s3, 1
	s_not_b32 s3, s3
	v_cvt_f32_u32_e32 v1, s4
	s_delay_alu instid0(VALU_DEP_1) | instskip(SKIP_4) | instid1(VALU_DEP_1)
	v_rcp_iflag_f32_e32 v1, v1
	s_waitcnt lgkmcnt(0)
	s_ashr_i32 s9, s8, 31
	s_waitcnt_depctr 0xfff
	v_mul_f32_e32 v1, 0x4f7ffffe, v1
	v_cvt_u32_f32_e32 v1, v1
	s_delay_alu instid0(VALU_DEP_1) | instskip(SKIP_1) | instid1(VALU_DEP_2)
	v_readfirstlane_b32 s5, v1
	v_lshl_add_u32 v1, v71, 3, v70
	s_mul_i32 s3, s3, s5
	s_delay_alu instid0(VALU_DEP_1) | instskip(SKIP_3) | instid1(SALU_CYCLE_1)
	v_and_b32_e32 v0, 63, v1
	s_mul_hi_u32 s3, s5, s3
	v_lshrrev_b32_e32 v72, 6, v1
	s_add_i32 s5, s5, s3
	s_mul_hi_u32 s3, s14, s5
	s_delay_alu instid0(SALU_CYCLE_1) | instskip(SKIP_2) | instid1(SALU_CYCLE_1)
	s_mul_i32 s5, s3, s4
	s_add_i32 s6, s3, 1
	s_sub_i32 s5, s14, s5
	s_sub_i32 s7, s5, s4
	s_cmp_ge_u32 s5, s4
	s_cselect_b32 s3, s6, s3
	s_cselect_b32 s5, s7, s5
	s_add_i32 s6, s3, 1
	s_cmp_ge_u32 s5, s4
	s_cselect_b32 s3, s6, s3
	s_add_i32 s29, s18, -1
	s_mul_i32 s4, s3, s4
	v_cmp_le_i32_e64 s6, s18, v72
	s_sub_i32 s4, s14, s4
	v_min_i32_e32 v2, s29, v72
	s_lshl_b32 s14, s4, 6
	s_delay_alu instid0(SALU_CYCLE_1) | instskip(NEXT) | instid1(VALU_DEP_2)
	v_or_b32_e32 v1, s14, v0
	v_ashrrev_i32_e32 v3, 31, v2
	s_delay_alu instid0(VALU_DEP_2) | instskip(SKIP_2) | instid1(VALU_DEP_1)
	v_cmp_le_i32_e32 vcc_lo, s16, v1
	v_min_i32_e32 v64, s2, v1
                                        ; implicit-def: $vgpr1
	s_or_b32 s4, vcc_lo, s6
	v_ashrrev_i32_e32 v65, 31, v64
	s_or_b32 s2, s27, s4
	s_delay_alu instid0(SALU_CYCLE_1) | instskip(NEXT) | instid1(SALU_CYCLE_1)
	s_xor_b32 s2, s2, -1
	s_and_saveexec_b32 s5, s2
	s_delay_alu instid0(SALU_CYCLE_1)
	s_xor_b32 s5, exec_lo, s5
	s_cbranch_execz .LBB71_11
; %bb.10:
	v_mad_i64_i32 v[4:5], null, s8, v2, 0
	v_lshlrev_b64 v[6:7], 2, v[64:65]
	s_delay_alu instid0(VALU_DEP_2) | instskip(NEXT) | instid1(VALU_DEP_1)
	v_lshlrev_b64 v[4:5], 2, v[4:5]
	v_add_co_u32 v1, s2, s22, v4
	s_delay_alu instid0(VALU_DEP_1) | instskip(NEXT) | instid1(VALU_DEP_2)
	v_add_co_ci_u32_e64 v5, s2, s23, v5, s2
	v_add_co_u32 v4, s2, v1, v6
	s_delay_alu instid0(VALU_DEP_1)
	v_add_co_ci_u32_e64 v5, s2, v5, v7, s2
	flat_load_b32 v1, v[4:5]
	s_waitcnt vmcnt(0) lgkmcnt(0)
	v_mul_f32_e32 v1, s19, v1
.LBB71_11:
	s_and_not1_saveexec_b32 s2, s5
; %bb.12:
	v_cndmask_b32_e64 v1, 0, 0x7f7fffff, s4
; %bb.13:
	s_or_b32 exec_lo, exec_lo, s2
	s_load_b32 s30, s[0:1], 0x30
	s_lshl_b32 s28, s3, 8
	s_delay_alu instid0(SALU_CYCLE_1) | instskip(NEXT) | instid1(VALU_DEP_1)
	v_or_b32_e32 v66, s28, v0
	v_cmp_le_i32_e64 s2, s17, v66
	v_ashrrev_i32_e32 v67, 31, v66
	s_delay_alu instid0(VALU_DEP_2)
	s_or_b32 s4, s2, s6
	s_waitcnt lgkmcnt(0)
	s_ashr_i32 s31, s30, 31
	v_mul_lo_u32 v5, v3, s30
	v_mad_u64_u32 v[3:4], null, v2, s30, 0
	v_mul_lo_u32 v2, v2, s31
	s_delay_alu instid0(VALU_DEP_1) | instskip(SKIP_1) | instid1(VALU_DEP_2)
	v_add3_u32 v4, v4, v2, v5
	v_cndmask_b32_e64 v2, 0, 0x7f7fffff, s4
	v_lshlrev_b64 v[3:4], 2, v[3:4]
	s_delay_alu instid0(VALU_DEP_1) | instskip(NEXT) | instid1(VALU_DEP_1)
	v_add_co_u32 v6, s3, s20, v3
	v_add_co_ci_u32_e64 v7, s3, s21, v4, s3
	s_or_b32 s3, s27, s4
	s_delay_alu instid0(SALU_CYCLE_1) | instskip(NEXT) | instid1(SALU_CYCLE_1)
	s_xor_b32 s3, s3, -1
	s_and_saveexec_b32 s4, s3
	s_cbranch_execz .LBB71_15
; %bb.14:
	v_lshlrev_b64 v[2:3], 2, v[66:67]
	s_delay_alu instid0(VALU_DEP_1) | instskip(NEXT) | instid1(VALU_DEP_1)
	v_add_co_u32 v2, s3, v6, v2
	v_add_co_ci_u32_e64 v3, s3, v7, v3, s3
	flat_load_b32 v2, v[2:3]
	s_waitcnt vmcnt(0) lgkmcnt(0)
	v_mul_f32_e32 v2, s19, v2
.LBB71_15:
	s_or_b32 exec_lo, exec_lo, s4
	v_or_b32_e32 v3, 64, v66
	s_delay_alu instid0(VALU_DEP_1) | instskip(NEXT) | instid1(VALU_DEP_1)
	v_cmp_le_i32_e64 s3, s17, v3
	s_or_b32 s4, s3, s6
	s_delay_alu instid0(SALU_CYCLE_1) | instskip(SKIP_1) | instid1(SALU_CYCLE_1)
	v_cndmask_b32_e64 v3, 0, 0x7f7fffff, s4
	s_or_b32 s4, s27, s4
	s_xor_b32 s4, s4, -1
	s_delay_alu instid0(SALU_CYCLE_1)
	s_and_saveexec_b32 s5, s4
	s_cbranch_execz .LBB71_17
; %bb.16:
	v_lshlrev_b64 v[3:4], 2, v[66:67]
	s_delay_alu instid0(VALU_DEP_1) | instskip(NEXT) | instid1(VALU_DEP_1)
	v_add_co_u32 v3, s4, v6, v3
	v_add_co_ci_u32_e64 v4, s4, v7, v4, s4
	flat_load_b32 v3, v[3:4] offset:256
	s_waitcnt vmcnt(0) lgkmcnt(0)
	v_mul_f32_e32 v3, s19, v3
.LBB71_17:
	s_or_b32 exec_lo, exec_lo, s5
	v_or_b32_e32 v4, 0x80, v66
	s_delay_alu instid0(VALU_DEP_1) | instskip(NEXT) | instid1(VALU_DEP_1)
	v_cmp_le_i32_e64 s4, s17, v4
	s_or_b32 s5, s4, s6
	s_delay_alu instid0(SALU_CYCLE_1) | instskip(SKIP_1) | instid1(SALU_CYCLE_1)
	v_cndmask_b32_e64 v4, 0, 0x7f7fffff, s5
	s_or_b32 s5, s27, s5
	s_xor_b32 s5, s5, -1
	s_delay_alu instid0(SALU_CYCLE_1)
	s_and_saveexec_b32 s7, s5
	s_cbranch_execz .LBB71_19
; %bb.18:
	v_lshlrev_b64 v[4:5], 2, v[66:67]
	s_delay_alu instid0(VALU_DEP_1) | instskip(NEXT) | instid1(VALU_DEP_1)
	v_add_co_u32 v4, s5, v6, v4
	v_add_co_ci_u32_e64 v5, s5, v7, v5, s5
	flat_load_b32 v4, v[4:5] offset:512
	s_waitcnt vmcnt(0) lgkmcnt(0)
	v_mul_f32_e32 v4, s19, v4
.LBB71_19:
	;; [unrolled: 21-line block ×3, first 2 shown]
	s_or_b32 exec_lo, exec_lo, s7
	v_add_nc_u32_e32 v6, 4, v72
                                        ; implicit-def: $vgpr68
	s_delay_alu instid0(VALU_DEP_1) | instskip(SKIP_1) | instid1(VALU_DEP_2)
	v_cmp_le_i32_e64 s6, s18, v6
	v_min_i32_e32 v6, s29, v6
	s_or_b32 s33, vcc_lo, s6
	s_delay_alu instid0(VALU_DEP_1) | instskip(SKIP_1) | instid1(SALU_CYCLE_1)
	v_ashrrev_i32_e32 v7, 31, v6
	s_or_b32 s7, s27, s33
	s_xor_b32 s7, s7, -1
	s_delay_alu instid0(SALU_CYCLE_1) | instskip(NEXT) | instid1(SALU_CYCLE_1)
	s_and_saveexec_b32 s34, s7
	s_xor_b32 s34, exec_lo, s34
	s_cbranch_execz .LBB71_23
; %bb.22:
	v_mad_i64_i32 v[8:9], null, s8, v6, 0
	v_lshlrev_b64 v[10:11], 2, v[64:65]
	s_delay_alu instid0(VALU_DEP_2) | instskip(NEXT) | instid1(VALU_DEP_1)
	v_lshlrev_b64 v[8:9], 2, v[8:9]
	v_add_co_u32 v8, s7, s22, v8
	s_delay_alu instid0(VALU_DEP_1) | instskip(NEXT) | instid1(VALU_DEP_2)
	v_add_co_ci_u32_e64 v9, s7, s23, v9, s7
	v_add_co_u32 v8, s7, v8, v10
	s_delay_alu instid0(VALU_DEP_1)
	v_add_co_ci_u32_e64 v9, s7, v9, v11, s7
	flat_load_b32 v8, v[8:9]
	s_waitcnt vmcnt(0) lgkmcnt(0)
	v_mul_f32_e32 v68, s19, v8
.LBB71_23:
	s_and_not1_saveexec_b32 s7, s34
; %bb.24:
	v_cndmask_b32_e64 v68, 0, 0x7f7fffff, s33
; %bb.25:
	s_or_b32 exec_lo, exec_lo, s7
	v_mul_lo_u32 v9, v7, s30
	v_mul_lo_u32 v10, v6, s31
	v_mad_u64_u32 v[7:8], null, v6, s30, 0
	s_delay_alu instid0(VALU_DEP_1) | instskip(NEXT) | instid1(VALU_DEP_1)
	v_add3_u32 v8, v8, v10, v9
	v_lshlrev_b64 v[6:7], 2, v[7:8]
	s_delay_alu instid0(VALU_DEP_1) | instskip(NEXT) | instid1(VALU_DEP_1)
	v_add_co_u32 v6, s7, s20, v6
	v_add_co_ci_u32_e64 v7, s7, s21, v7, s7
	s_or_b32 s7, s2, s6
	s_delay_alu instid0(SALU_CYCLE_1) | instskip(SKIP_1) | instid1(SALU_CYCLE_1)
	v_cndmask_b32_e64 v69, 0, 0x7f7fffff, s7
	s_or_b32 s7, s27, s7
	s_xor_b32 s7, s7, -1
	s_delay_alu instid0(SALU_CYCLE_1)
	s_and_saveexec_b32 s31, s7
	s_cbranch_execz .LBB71_27
; %bb.26:
	v_lshlrev_b64 v[8:9], 2, v[66:67]
	s_delay_alu instid0(VALU_DEP_1) | instskip(NEXT) | instid1(VALU_DEP_1)
	v_add_co_u32 v8, s7, v6, v8
	v_add_co_ci_u32_e64 v9, s7, v7, v9, s7
	flat_load_b32 v8, v[8:9]
	s_waitcnt vmcnt(0) lgkmcnt(0)
	v_mul_f32_e32 v69, s19, v8
.LBB71_27:
	s_or_b32 exec_lo, exec_lo, s31
	s_or_b32 s7, s3, s6
	s_delay_alu instid0(SALU_CYCLE_1) | instskip(SKIP_1) | instid1(SALU_CYCLE_1)
	v_cndmask_b32_e64 v121, 0, 0x7f7fffff, s7
	s_or_b32 s7, s27, s7
	s_xor_b32 s7, s7, -1
	s_delay_alu instid0(SALU_CYCLE_1)
	s_and_saveexec_b32 s31, s7
	s_cbranch_execz .LBB71_29
; %bb.28:
	v_lshlrev_b64 v[8:9], 2, v[66:67]
	s_delay_alu instid0(VALU_DEP_1) | instskip(NEXT) | instid1(VALU_DEP_1)
	v_add_co_u32 v8, s7, v6, v8
	v_add_co_ci_u32_e64 v9, s7, v7, v9, s7
	flat_load_b32 v8, v[8:9] offset:256
	s_waitcnt vmcnt(0) lgkmcnt(0)
	v_mul_f32_e32 v121, s19, v8
.LBB71_29:
	s_or_b32 exec_lo, exec_lo, s31
	s_or_b32 s7, s4, s6
	s_delay_alu instid0(SALU_CYCLE_1) | instskip(SKIP_1) | instid1(SALU_CYCLE_1)
	v_cndmask_b32_e64 v132, 0, 0x7f7fffff, s7
	s_or_b32 s7, s27, s7
	s_xor_b32 s7, s7, -1
	s_delay_alu instid0(SALU_CYCLE_1)
	s_and_saveexec_b32 s31, s7
	s_cbranch_execz .LBB71_31
; %bb.30:
	v_lshlrev_b64 v[8:9], 2, v[66:67]
	s_delay_alu instid0(VALU_DEP_1) | instskip(NEXT) | instid1(VALU_DEP_1)
	v_add_co_u32 v8, s7, v6, v8
	v_add_co_ci_u32_e64 v9, s7, v7, v9, s7
	flat_load_b32 v8, v[8:9] offset:512
	s_waitcnt vmcnt(0) lgkmcnt(0)
	v_mul_f32_e32 v132, s19, v8
.LBB71_31:
	;; [unrolled: 18-line block ×3, first 2 shown]
	s_or_b32 exec_lo, exec_lo, s7
	v_lshlrev_b32_e32 v6, 2, v72
	v_lshlrev_b32_e32 v73, 4, v70
	s_cmp_lt_i32 s18, 9
	s_delay_alu instid0(VALU_DEP_2)
	v_lshl_add_u32 v75, v0, 4, v6
	ds_store_b32 v75, v1 offset:8192
	ds_store_2addr_stride64_b32 v75, v2, v3 offset1:4
	ds_store_2addr_stride64_b32 v75, v4, v5 offset0:8 offset1:12
	s_waitcnt lgkmcnt(0)
	s_barrier
	buffer_gl0_inv
	ds_load_b128 v[32:35], v73 offset:8192
	ds_load_b128 v[28:31], v73 offset:8320
	ds_load_b128 v[24:27], v73 offset:8448
	ds_load_b128 v[20:23], v73 offset:8576
	ds_load_b128 v[16:19], v73 offset:8704
	ds_load_b128 v[12:15], v73 offset:8832
	ds_load_b128 v[8:11], v73 offset:8960
	ds_load_b128 v[0:3], v73 offset:9088
	v_lshlrev_b32_e32 v74, 4, v71
	ds_load_b128 v[60:63], v74
	ds_load_b128 v[56:59], v74 offset:512
	ds_load_b128 v[52:55], v74 offset:1024
	;; [unrolled: 1-line block ×7, first 2 shown]
	ds_store_b32 v75, v68 offset:9216
	ds_store_2addr_stride64_b32 v75, v69, v121 offset0:16 offset1:20
	ds_store_2addr_stride64_b32 v75, v132, v142 offset0:24 offset1:28
	s_waitcnt lgkmcnt(0)
	s_barrier
	buffer_gl0_inv
	v_dual_add_f32 v77, v32, v60 :: v_dual_add_f32 v76, v33, v61
	v_add_f32_e32 v78, v28, v60
	v_add_f32_e32 v80, v20, v60
	;; [unrolled: 1-line block ×4, first 2 shown]
	v_min3_f32 v76, v77, v76, 0x7f7fffff
	v_add_f32_e32 v77, v29, v61
	s_delay_alu instid0(VALU_DEP_1) | instskip(SKIP_1) | instid1(VALU_DEP_1)
	v_min3_f32 v77, v78, v77, 0x7f7fffff
	v_add_f32_e32 v78, v25, v61
	v_min3_f32 v78, v79, v78, 0x7f7fffff
	v_add_f32_e32 v79, v21, v61
	s_delay_alu instid0(VALU_DEP_1) | instskip(SKIP_1) | instid1(VALU_DEP_1)
	v_min3_f32 v80, v80, v79, 0x7f7fffff
	v_add_f32_e32 v79, v17, v61
	v_min3_f32 v117, v81, v79, 0x7f7fffff
	v_add_f32_e32 v79, v13, v61
	v_add_f32_e32 v81, v12, v60
	s_delay_alu instid0(VALU_DEP_1) | instskip(SKIP_3) | instid1(VALU_DEP_1)
	v_min3_f32 v118, v81, v79, 0x7f7fffff
	v_add_f32_e32 v79, v9, v61
	v_add_f32_e32 v81, v8, v60
	v_dual_add_f32 v61, v1, v61 :: v_dual_add_f32 v60, v0, v60
	v_min3_f32 v120, v60, v61, 0x7f7fffff
	v_dual_add_f32 v60, v33, v57 :: v_dual_add_f32 v61, v32, v56
	s_delay_alu instid0(VALU_DEP_1) | instskip(SKIP_1) | instid1(VALU_DEP_1)
	v_min3_f32 v116, v61, v60, 0x7f7fffff
	v_dual_add_f32 v60, v29, v57 :: v_dual_add_f32 v61, v28, v56
	v_min3_f32 v115, v61, v60, 0x7f7fffff
	v_dual_add_f32 v60, v25, v57 :: v_dual_add_f32 v61, v24, v56
	s_delay_alu instid0(VALU_DEP_1) | instskip(SKIP_1) | instid1(VALU_DEP_1)
	v_min3_f32 v114, v61, v60, 0x7f7fffff
	;; [unrolled: 5-line block ×3, first 2 shown]
	v_dual_add_f32 v60, v13, v57 :: v_dual_add_f32 v61, v12, v56
	v_min3_f32 v111, v61, v60, 0x7f7fffff
	v_dual_add_f32 v60, v9, v57 :: v_dual_add_f32 v61, v8, v56
	v_dual_add_f32 v57, v1, v57 :: v_dual_add_f32 v56, v0, v56
	v_min3_f32 v119, v81, v79, 0x7f7fffff
	v_add_f32_e32 v79, v8, v36
	s_delay_alu instid0(VALU_DEP_3) | instskip(SKIP_1) | instid1(VALU_DEP_1)
	v_min3_f32 v109, v56, v57, 0x7f7fffff
	v_dual_add_f32 v56, v33, v53 :: v_dual_add_f32 v57, v32, v52
	v_min3_f32 v108, v57, v56, 0x7f7fffff
	v_dual_add_f32 v56, v29, v53 :: v_dual_add_f32 v57, v28, v52
	s_delay_alu instid0(VALU_DEP_1) | instskip(SKIP_2) | instid1(VALU_DEP_2)
	v_min3_f32 v107, v57, v56, 0x7f7fffff
	v_dual_add_f32 v56, v25, v53 :: v_dual_add_f32 v57, v24, v52
	v_min3_f32 v110, v61, v60, 0x7f7fffff
	v_min3_f32 v106, v57, v56, 0x7f7fffff
	v_dual_add_f32 v56, v21, v53 :: v_dual_add_f32 v57, v20, v52
	s_delay_alu instid0(VALU_DEP_1) | instskip(SKIP_1) | instid1(VALU_DEP_1)
	v_min3_f32 v105, v57, v56, 0x7f7fffff
	v_dual_add_f32 v56, v17, v53 :: v_dual_add_f32 v57, v16, v52
	v_min3_f32 v104, v57, v56, 0x7f7fffff
	v_dual_add_f32 v56, v13, v53 :: v_dual_add_f32 v57, v12, v52
	s_delay_alu instid0(VALU_DEP_1) | instskip(SKIP_2) | instid1(VALU_DEP_1)
	v_min3_f32 v103, v57, v56, 0x7f7fffff
	v_dual_add_f32 v56, v9, v53 :: v_dual_add_f32 v57, v8, v52
	v_dual_add_f32 v53, v1, v53 :: v_dual_add_f32 v52, v0, v52
	v_min3_f32 v101, v52, v53, 0x7f7fffff
	v_dual_add_f32 v52, v33, v49 :: v_dual_add_f32 v53, v32, v48
	s_delay_alu instid0(VALU_DEP_1) | instskip(SKIP_1) | instid1(VALU_DEP_1)
	v_min3_f32 v100, v53, v52, 0x7f7fffff
	v_dual_add_f32 v52, v29, v49 :: v_dual_add_f32 v53, v28, v48
	v_min3_f32 v99, v53, v52, 0x7f7fffff
	v_dual_add_f32 v52, v25, v49 :: v_dual_add_f32 v53, v24, v48
	v_min3_f32 v102, v57, v56, 0x7f7fffff
	s_delay_alu instid0(VALU_DEP_2) | instskip(SKIP_1) | instid1(VALU_DEP_1)
	v_min3_f32 v98, v53, v52, 0x7f7fffff
	v_dual_add_f32 v52, v21, v49 :: v_dual_add_f32 v53, v20, v48
	v_min3_f32 v97, v53, v52, 0x7f7fffff
	v_dual_add_f32 v52, v17, v49 :: v_dual_add_f32 v53, v16, v48
	s_delay_alu instid0(VALU_DEP_1) | instskip(SKIP_1) | instid1(VALU_DEP_1)
	v_min3_f32 v96, v53, v52, 0x7f7fffff
	v_dual_add_f32 v52, v13, v49 :: v_dual_add_f32 v53, v12, v48
	v_min3_f32 v95, v53, v52, 0x7f7fffff
	v_dual_add_f32 v52, v9, v49 :: v_dual_add_f32 v53, v8, v48
	v_dual_add_f32 v49, v1, v49 :: v_dual_add_f32 v48, v0, v48
	s_delay_alu instid0(VALU_DEP_1) | instskip(SKIP_1) | instid1(VALU_DEP_1)
	v_min3_f32 v93, v48, v49, 0x7f7fffff
	v_dual_add_f32 v48, v33, v45 :: v_dual_add_f32 v49, v32, v44
	v_min3_f32 v92, v49, v48, 0x7f7fffff
	v_dual_add_f32 v48, v29, v45 :: v_dual_add_f32 v49, v28, v44
	s_delay_alu instid0(VALU_DEP_1) | instskip(SKIP_2) | instid1(VALU_DEP_2)
	v_min3_f32 v91, v49, v48, 0x7f7fffff
	v_dual_add_f32 v48, v25, v45 :: v_dual_add_f32 v49, v24, v44
	v_min3_f32 v94, v53, v52, 0x7f7fffff
	v_min3_f32 v90, v49, v48, 0x7f7fffff
	v_dual_add_f32 v48, v21, v45 :: v_dual_add_f32 v49, v20, v44
	s_delay_alu instid0(VALU_DEP_1) | instskip(SKIP_1) | instid1(VALU_DEP_1)
	v_min3_f32 v89, v49, v48, 0x7f7fffff
	v_dual_add_f32 v48, v17, v45 :: v_dual_add_f32 v49, v16, v44
	v_min3_f32 v88, v49, v48, 0x7f7fffff
	v_dual_add_f32 v48, v13, v45 :: v_dual_add_f32 v49, v12, v44
	s_delay_alu instid0(VALU_DEP_1) | instskip(SKIP_2) | instid1(VALU_DEP_1)
	v_min3_f32 v87, v49, v48, 0x7f7fffff
	v_dual_add_f32 v48, v9, v45 :: v_dual_add_f32 v49, v8, v44
	v_dual_add_f32 v45, v1, v45 :: v_dual_add_f32 v44, v0, v44
	v_min3_f32 v85, v44, v45, 0x7f7fffff
	v_dual_add_f32 v44, v33, v41 :: v_dual_add_f32 v45, v32, v40
	s_delay_alu instid0(VALU_DEP_1) | instskip(SKIP_1) | instid1(VALU_DEP_1)
	v_min3_f32 v84, v45, v44, 0x7f7fffff
	v_dual_add_f32 v44, v29, v41 :: v_dual_add_f32 v45, v28, v40
	v_min3_f32 v83, v45, v44, 0x7f7fffff
	v_dual_add_f32 v44, v25, v41 :: v_dual_add_f32 v45, v24, v40
	v_min3_f32 v86, v49, v48, 0x7f7fffff
	s_delay_alu instid0(VALU_DEP_2) | instskip(SKIP_1) | instid1(VALU_DEP_1)
	v_min3_f32 v82, v45, v44, 0x7f7fffff
	v_dual_add_f32 v44, v21, v41 :: v_dual_add_f32 v45, v20, v40
	v_min3_f32 v61, v45, v44, 0x7f7fffff
	v_dual_add_f32 v44, v17, v41 :: v_dual_add_f32 v45, v16, v40
	s_delay_alu instid0(VALU_DEP_1) | instskip(SKIP_1) | instid1(VALU_DEP_1)
	v_min3_f32 v60, v45, v44, 0x7f7fffff
	v_dual_add_f32 v44, v13, v41 :: v_dual_add_f32 v45, v12, v40
	v_min3_f32 v57, v45, v44, 0x7f7fffff
	v_dual_add_f32 v44, v9, v41 :: v_dual_add_f32 v45, v8, v40
	v_dual_add_f32 v41, v1, v41 :: v_dual_add_f32 v40, v0, v40
	v_add_f32_e32 v8, v8, v4
	s_delay_alu instid0(VALU_DEP_2) | instskip(SKIP_2) | instid1(VALU_DEP_2)
	v_min3_f32 v53, v40, v41, 0x7f7fffff
	v_dual_add_f32 v40, v33, v37 :: v_dual_add_f32 v41, v32, v36
	v_dual_add_f32 v33, v33, v5 :: v_dual_add_f32 v32, v32, v4
	v_min3_f32 v52, v41, v40, 0x7f7fffff
	v_dual_add_f32 v40, v29, v37 :: v_dual_add_f32 v41, v28, v36
	v_dual_add_f32 v29, v29, v5 :: v_dual_add_f32 v28, v28, v4
	s_delay_alu instid0(VALU_DEP_2) | instskip(SKIP_4) | instid1(VALU_DEP_4)
	v_min3_f32 v49, v41, v40, 0x7f7fffff
	v_dual_add_f32 v40, v25, v37 :: v_dual_add_f32 v41, v24, v36
	v_min3_f32 v56, v45, v44, 0x7f7fffff
	v_dual_add_f32 v25, v25, v5 :: v_dual_add_f32 v24, v24, v4
	v_min3_f32 v32, v32, v33, 0x7f7fffff
	v_min3_f32 v48, v41, v40, 0x7f7fffff
	v_dual_add_f32 v40, v21, v37 :: v_dual_add_f32 v41, v20, v36
	v_dual_add_f32 v21, v21, v5 :: v_dual_add_f32 v20, v20, v4
	v_min3_f32 v28, v28, v29, 0x7f7fffff
	s_delay_alu instid0(VALU_DEP_3) | instskip(SKIP_3) | instid1(VALU_DEP_3)
	v_min3_f32 v45, v41, v40, 0x7f7fffff
	v_dual_add_f32 v40, v17, v37 :: v_dual_add_f32 v41, v16, v36
	v_dual_add_f32 v17, v17, v5 :: v_dual_add_f32 v16, v16, v4
	v_min3_f32 v24, v24, v25, 0x7f7fffff
	v_min3_f32 v44, v41, v40, 0x7f7fffff
	v_dual_add_f32 v40, v13, v37 :: v_dual_add_f32 v41, v12, v36
	v_dual_add_f32 v36, v0, v36 :: v_dual_add_f32 v13, v13, v5
	v_add_f32_e32 v0, v0, v4
	v_add_f32_e32 v12, v12, v4
	s_delay_alu instid0(VALU_DEP_4)
	v_min3_f32 v41, v41, v40, 0x7f7fffff
	v_add_f32_e32 v40, v9, v37
	v_add_f32_e32 v37, v1, v37
	v_dual_add_f32 v1, v1, v5 :: v_dual_add_f32 v4, v34, v62
	v_add_f32_e32 v9, v9, v5
	v_min3_f32 v20, v20, v21, 0x7f7fffff
	s_delay_alu instid0(VALU_DEP_4) | instskip(NEXT) | instid1(VALU_DEP_4)
	v_min3_f32 v36, v36, v37, 0x7f7fffff
	v_min3_f32 v0, v0, v1, 0x7f7fffff
	v_add_f32_e32 v1, v35, v63
	v_min3_f32 v16, v16, v17, 0x7f7fffff
	v_min3_f32 v12, v12, v13, 0x7f7fffff
	s_delay_alu instid0(VALU_DEP_3) | instskip(SKIP_1) | instid1(VALU_DEP_1)
	v_min3_f32 v141, v4, v1, v76
	v_dual_add_f32 v1, v31, v63 :: v_dual_add_f32 v4, v30, v62
	v_min3_f32 v81, v4, v1, v77
	v_dual_add_f32 v1, v27, v63 :: v_dual_add_f32 v4, v26, v62
	v_min3_f32 v40, v79, v40, 0x7f7fffff
	s_delay_alu instid0(VALU_DEP_2) | instskip(SKIP_2) | instid1(VALU_DEP_2)
	v_min3_f32 v79, v4, v1, v78
	v_dual_add_f32 v1, v23, v63 :: v_dual_add_f32 v4, v22, v62
	v_min3_f32 v8, v8, v9, 0x7f7fffff
	v_min3_f32 v77, v4, v1, v80
	v_dual_add_f32 v1, v19, v63 :: v_dual_add_f32 v4, v18, v62
	s_delay_alu instid0(VALU_DEP_1) | instskip(SKIP_1) | instid1(VALU_DEP_1)
	v_min3_f32 v76, v4, v1, v117
	v_dual_add_f32 v1, v15, v63 :: v_dual_add_f32 v4, v14, v62
	v_min3_f32 v78, v4, v1, v118
	v_dual_add_f32 v1, v11, v63 :: v_dual_add_f32 v4, v10, v62
	s_delay_alu instid0(VALU_DEP_1) | instskip(SKIP_1) | instid1(VALU_DEP_1)
	v_min3_f32 v80, v4, v1, v119
	v_dual_add_f32 v1, v3, v63 :: v_dual_add_f32 v4, v2, v62
	;; [unrolled: 5-line block ×25, first 2 shown]
	v_min3_f32 v91, v4, v1, v41
	v_dual_add_f32 v1, v11, v39 :: v_dual_add_f32 v4, v10, v38
	s_delay_alu instid0(VALU_DEP_1) | instskip(SKIP_2) | instid1(VALU_DEP_2)
	v_min3_f32 v90, v4, v1, v40
	v_dual_add_f32 v1, v3, v39 :: v_dual_add_f32 v4, v2, v38
	v_add_f32_e32 v2, v2, v6
	v_min3_f32 v89, v4, v1, v36
	v_dual_add_f32 v1, v35, v7 :: v_dual_add_f32 v4, v34, v6
	s_delay_alu instid0(VALU_DEP_1) | instskip(SKIP_1) | instid1(VALU_DEP_1)
	v_min3_f32 v88, v4, v1, v32
	v_dual_add_f32 v1, v31, v7 :: v_dual_add_f32 v4, v30, v6
	v_min3_f32 v87, v4, v1, v28
	v_dual_add_f32 v1, v27, v7 :: v_dual_add_f32 v4, v26, v6
	s_delay_alu instid0(VALU_DEP_1) | instskip(SKIP_1) | instid1(VALU_DEP_1)
	v_min3_f32 v86, v4, v1, v24
	v_dual_add_f32 v1, v23, v7 :: v_dual_add_f32 v4, v22, v6
	;; [unrolled: 5-line block ×3, first 2 shown]
	v_min3_f32 v83, v4, v1, v12
	v_dual_add_f32 v1, v11, v7 :: v_dual_add_f32 v4, v10, v6
	s_delay_alu instid0(VALU_DEP_1) | instskip(SKIP_1) | instid1(VALU_DEP_1)
	v_min3_f32 v82, v4, v1, v8
	v_add_f32_e32 v1, v3, v7
	v_min3_f32 v92, v2, v1, v0
	s_cbranch_scc1 .LBB71_56
; %bb.34:
	v_add_nc_u32_e32 v4, 12, v72
	v_add_nc_u32_e32 v6, 8, v72
	v_lshlrev_b64 v[0:1], 2, v[64:65]
	v_lshlrev_b64 v[66:67], 2, v[66:67]
	v_or_b32_e32 v121, 0x2000, v75
	v_mad_i64_i32 v[2:3], null, v4, s8, 0
	v_mad_i64_i32 v[4:5], null, v6, s8, 0
	v_add_co_u32 v144, s6, s22, v0
	v_add_nc_u32_e32 v132, 0x2000, v73
	v_add_nc_u32_e32 v142, 0x2400, v75
	v_lshlrev_b64 v[64:65], 2, v[2:3]
	v_or_b32_e32 v143, 0x1000, v75
	v_lshlrev_b64 v[68:69], 2, v[4:5]
	v_add_co_ci_u32_e64 v145, s6, s23, v1, s6
	v_lshl_add_u32 v146, v70, 4, 0x2400
	v_lshl_add_u32 v147, v71, 4, 0x1000
	s_add_i32 s22, s18, -8
	s_lshl_b64 s[8:9], s[8:9], 5
	s_mov_b32 s23, 0
	s_branch .LBB71_36
.LBB71_35:                              ;   in Loop: Header=BB71_36 Depth=1
	s_or_b32 exec_lo, exec_lo, s7
	ds_load_b128 v[88:91], v74
	ds_load_b128 v[152:155], v132
	ds_load_b128 v[156:159], v132 offset:128
	ds_load_b128 v[160:163], v132 offset:256
	;; [unrolled: 1-line block ×14, first 2 shown]
	v_add_co_u32 v144, s6, v144, s8
	s_delay_alu instid0(VALU_DEP_1)
	v_add_co_ci_u32_e64 v145, s6, s9, v145, s6
	s_add_i32 s23, s23, 8
	ds_store_b32 v142, v148
	ds_store_2addr_stride64_b32 v143, v149, v150 offset1:4
	ds_store_2addr_stride64_b32 v143, v151, v0 offset0:8 offset1:12
	s_waitcnt lgkmcnt(17)
	v_dual_add_f32 v11, v153, v89 :: v_dual_add_f32 v14, v152, v88
	s_waitcnt lgkmcnt(16)
	v_dual_add_f32 v15, v157, v89 :: v_dual_add_f32 v18, v156, v88
	;; [unrolled: 2-line block ×3, first 2 shown]
	s_waitcnt lgkmcnt(14)
	v_add_f32_e32 v23, v165, v89
	v_min3_f32 v11, v14, v11, v25
	v_min3_f32 v14, v18, v15, v28
	v_add_f32_e32 v18, v164, v88
	v_min3_f32 v15, v22, v19, v29
	s_waitcnt lgkmcnt(13)
	v_dual_add_f32 v19, v169, v89 :: v_dual_add_f32 v22, v168, v88
	s_waitcnt lgkmcnt(12)
	v_dual_add_f32 v25, v173, v89 :: v_dual_add_f32 v28, v172, v88
	;; [unrolled: 2-line block ×4, first 2 shown]
	v_min3_f32 v1, v18, v23, v1
	v_min3_f32 v18, v22, v19, v32
	;; [unrolled: 1-line block ×5, first 2 shown]
	s_waitcnt lgkmcnt(9)
	v_dual_add_f32 v25, v153, v93 :: v_dual_add_f32 v28, v152, v92
	v_dual_add_f32 v29, v157, v93 :: v_dual_add_f32 v32, v156, v92
	;; [unrolled: 1-line block ×5, first 2 shown]
	v_min3_f32 v4, v28, v25, v4
	v_min3_f32 v25, v32, v29, v40
	;; [unrolled: 1-line block ×5, first 2 shown]
	v_dual_add_f32 v33, v173, v93 :: v_dual_add_f32 v34, v172, v92
	v_dual_add_f32 v35, v177, v93 :: v_dual_add_f32 v36, v176, v92
	;; [unrolled: 1-line block ×3, first 2 shown]
	s_waitcnt lgkmcnt(8)
	v_dual_add_f32 v39, v153, v97 :: v_dual_add_f32 v40, v152, v96
	v_dual_add_f32 v41, v157, v97 :: v_dual_add_f32 v44, v156, v96
	v_min3_f32 v5, v34, v33, v5
	v_min3_f32 v33, v36, v35, v48
	;; [unrolled: 1-line block ×5, first 2 shown]
	v_dual_add_f32 v37, v161, v97 :: v_dual_add_f32 v38, v160, v96
	v_dual_add_f32 v39, v165, v97 :: v_dual_add_f32 v40, v164, v96
	;; [unrolled: 1-line block ×5, first 2 shown]
	v_min3_f32 v8, v38, v37, v8
	v_min3_f32 v37, v40, v39, v54
	;; [unrolled: 1-line block ×5, first 2 shown]
	v_dual_add_f32 v41, v181, v97 :: v_dual_add_f32 v44, v180, v96
	s_waitcnt lgkmcnt(7)
	v_dual_add_f32 v45, v153, v101 :: v_dual_add_f32 v48, v152, v100
	v_dual_add_f32 v49, v157, v101 :: v_dual_add_f32 v52, v156, v100
	;; [unrolled: 1-line block ×4, first 2 shown]
	v_min3_f32 v9, v44, v41, v9
	v_min3_f32 v41, v48, v45, v58
	;; [unrolled: 1-line block ×5, first 2 shown]
	v_dual_add_f32 v49, v169, v101 :: v_dual_add_f32 v52, v168, v100
	v_dual_add_f32 v53, v173, v101 :: v_dual_add_f32 v54, v172, v100
	;; [unrolled: 1-line block ×4, first 2 shown]
	s_waitcnt lgkmcnt(6)
	v_dual_add_f32 v59, v153, v185 :: v_dual_add_f32 v60, v152, v184
	v_min3_f32 v12, v52, v49, v12
	v_min3_f32 v49, v54, v53, v50
	;; [unrolled: 1-line block ×5, first 2 shown]
	v_dual_add_f32 v53, v157, v185 :: v_dual_add_f32 v54, v156, v184
	v_dual_add_f32 v55, v161, v185 :: v_dual_add_f32 v56, v160, v184
	v_dual_add_f32 v57, v165, v185 :: v_dual_add_f32 v58, v164, v184
	v_dual_add_f32 v59, v169, v185 :: v_dual_add_f32 v60, v168, v184
	v_dual_add_f32 v61, v173, v185 :: v_dual_add_f32 v62, v172, v184
	v_min3_f32 v13, v54, v53, v13
	v_min3_f32 v53, v56, v55, v76
	;; [unrolled: 1-line block ×5, first 2 shown]
	v_dual_add_f32 v57, v177, v185 :: v_dual_add_f32 v58, v176, v184
	v_dual_add_f32 v59, v181, v185 :: v_dual_add_f32 v60, v180, v184
	s_waitcnt lgkmcnt(5)
	v_dual_add_f32 v61, v153, v189 :: v_dual_add_f32 v62, v152, v188
	v_dual_add_f32 v63, v157, v189 :: v_dual_add_f32 v76, v156, v188
	;; [unrolled: 1-line block ×3, first 2 shown]
	v_min3_f32 v16, v58, v57, v16
	v_min3_f32 v46, v60, v59, v46
	;; [unrolled: 1-line block ×5, first 2 shown]
	v_dual_add_f32 v59, v165, v189 :: v_dual_add_f32 v60, v164, v188
	v_dual_add_f32 v61, v169, v189 :: v_dual_add_f32 v62, v168, v188
	v_dual_add_f32 v63, v173, v189 :: v_dual_add_f32 v76, v172, v188
	v_dual_add_f32 v77, v177, v189 :: v_dual_add_f32 v78, v176, v188
	v_dual_add_f32 v79, v181, v189 :: v_dual_add_f32 v80, v180, v188
	v_min3_f32 v17, v60, v59, v17
	v_min3_f32 v42, v62, v61, v42
	v_min3_f32 v43, v76, v63, v43
	v_min3_f32 v59, v78, v77, v82
	v_min3_f32 v60, v80, v79, v83
	s_waitcnt lgkmcnt(4)
	v_dual_add_f32 v61, v153, v193 :: v_dual_add_f32 v62, v152, v192
	v_dual_add_f32 v63, v157, v193 :: v_dual_add_f32 v76, v156, v192
	;; [unrolled: 1-line block ×5, first 2 shown]
	v_min3_f32 v20, v62, v61, v20
	v_min3_f32 v61, v76, v63, v84
	;; [unrolled: 1-line block ×4, first 2 shown]
	v_dual_add_f32 v76, v173, v193 :: v_dual_add_f32 v77, v172, v192
	v_dual_add_f32 v78, v177, v193 :: v_dual_add_f32 v79, v176, v192
	s_waitcnt lgkmcnt(3)
	v_dual_add_f32 v85, v157, v197 :: v_dual_add_f32 v86, v156, v196
	v_min3_f32 v82, v82, v81, v87
	v_dual_add_f32 v80, v181, v193 :: v_dual_add_f32 v81, v180, v192
	v_dual_add_f32 v83, v153, v197 :: v_dual_add_f32 v84, v152, v196
	v_min3_f32 v21, v77, v76, v21
	v_min3_f32 v26, v79, v78, v26
	;; [unrolled: 1-line block ×3, first 2 shown]
	v_dual_add_f32 v76, v161, v197 :: v_dual_add_f32 v77, v160, v196
	v_dual_add_f32 v78, v165, v197 :: v_dual_add_f32 v79, v164, v196
	;; [unrolled: 1-line block ×3, first 2 shown]
	v_min3_f32 v27, v81, v80, v27
	v_min3_f32 v30, v84, v83, v30
	v_dual_add_f32 v80, v169, v197 :: v_dual_add_f32 v81, v168, v196
	v_dual_add_f32 v83, v173, v197 :: v_dual_add_f32 v84, v172, v196
	v_min3_f32 v24, v77, v76, v24
	v_min3_f32 v3, v79, v78, v3
	v_min3_f32 v10, v86, v85, v10
	v_dual_add_f32 v76, v181, v197 :: v_dual_add_f32 v77, v180, v196
	v_dual_add_f32 v78, v155, v91 :: v_dual_add_f32 v79, v154, v90
	;; [unrolled: 1-line block ×3, first 2 shown]
	v_min3_f32 v6, v81, v80, v6
	v_min3_f32 v7, v84, v83, v7
	v_dual_add_f32 v80, v159, v91 :: v_dual_add_f32 v81, v158, v90
	v_dual_add_f32 v83, v163, v91 :: v_dual_add_f32 v84, v162, v90
	v_min3_f32 v2, v77, v76, v2
	v_min3_f32 v141, v79, v78, v11
	;; [unrolled: 1-line block ×3, first 2 shown]
	v_add_f32_e32 v1, v171, v91
	v_add_f32_e32 v11, v170, v90
	v_dual_add_f32 v85, v182, v90 :: v_dual_add_f32 v86, v155, v95
	v_add_f32_e32 v87, v154, v94
	v_min3_f32 v81, v81, v80, v14
	v_min3_f32 v79, v84, v83, v15
	v_dual_add_f32 v14, v175, v91 :: v_dual_add_f32 v15, v174, v90
	v_dual_add_f32 v80, v179, v91 :: v_dual_add_f32 v83, v178, v90
	v_add_f32_e32 v84, v183, v91
	v_min3_f32 v139, v87, v86, v4
	v_add_f32_e32 v4, v158, v94
	v_min3_f32 v76, v11, v1, v18
	;; [unrolled: 2-line block ×4, first 2 shown]
	v_min3_f32 v140, v85, v84, v23
	v_dual_add_f32 v11, v163, v95 :: v_dual_add_f32 v18, v166, v94
	v_dual_add_f32 v15, v167, v95 :: v_dual_add_f32 v22, v170, v94
	v_add_f32_e32 v19, v171, v95
	v_add_f32_e32 v23, v175, v95
	;; [unrolled: 1-line block ×3, first 2 shown]
	v_min3_f32 v138, v4, v1, v25
	v_dual_add_f32 v1, v179, v95 :: v_dual_add_f32 v4, v178, v94
	v_min3_f32 v137, v14, v11, v28
	v_min3_f32 v136, v18, v15, v29
	;; [unrolled: 1-line block ×3, first 2 shown]
	v_dual_add_f32 v11, v182, v94 :: v_dual_add_f32 v22, v163, v99
	v_dual_add_f32 v14, v155, v99 :: v_dual_add_f32 v15, v154, v98
	;; [unrolled: 1-line block ×3, first 2 shown]
	v_min3_f32 v133, v4, v1, v33
	v_add_f32_e32 v4, v166, v98
	v_min3_f32 v134, v83, v23, v5
	v_add_f32_e32 v5, v183, v95
	v_add_f32_e32 v23, v162, v98
	v_min3_f32 v130, v15, v14, v35
	v_min3_f32 v129, v19, v18, v36
	v_dual_add_f32 v1, v167, v99 :: v_dual_add_f32 v18, v178, v98
	s_delay_alu instid0(VALU_DEP_4)
	v_min3_f32 v128, v23, v22, v8
	v_add_f32_e32 v8, v170, v98
	v_add_f32_e32 v14, v174, v98
	v_min3_f32 v131, v11, v5, v34
	v_dual_add_f32 v5, v171, v99 :: v_dual_add_f32 v22, v182, v98
	v_add_f32_e32 v11, v175, v99
	v_add_f32_e32 v15, v179, v99
	;; [unrolled: 1-line block ×3, first 2 shown]
	v_min3_f32 v127, v4, v1, v37
	v_min3_f32 v126, v8, v5, v38
	v_dual_add_f32 v1, v155, v103 :: v_dual_add_f32 v4, v154, v102
	v_min3_f32 v125, v14, v11, v39
	v_dual_add_f32 v5, v159, v103 :: v_dual_add_f32 v8, v158, v102
	;; [unrolled: 2-line block ×3, first 2 shown]
	v_dual_add_f32 v18, v171, v103 :: v_dual_add_f32 v11, v162, v102
	s_cmp_ge_i32 s23, s22
	s_waitcnt lgkmcnt(0)
	s_delay_alu instid0(VALU_DEP_2)
	v_min3_f32 v118, v15, v14, v48
	v_add_f32_e32 v14, v154, v186
	v_min3_f32 v120, v8, v5, v44
	v_dual_add_f32 v5, v179, v103 :: v_dual_add_f32 v8, v178, v102
	v_min3_f32 v123, v4, v1, v41
	v_add_f32_e32 v4, v174, v102
	v_min3_f32 v122, v22, v19, v9
	v_add_f32_e32 v19, v170, v102
	v_add_f32_e32 v9, v163, v103
	;; [unrolled: 1-line block ×4, first 2 shown]
	v_min3_f32 v115, v8, v5, v50
	v_min3_f32 v117, v19, v18, v12
	v_add_f32_e32 v12, v155, v187
	v_dual_add_f32 v18, v158, v186 :: v_dual_add_f32 v5, v167, v187
	v_add_f32_e32 v8, v166, v186
	v_min3_f32 v116, v4, v1, v49
	s_delay_alu instid0(VALU_DEP_4)
	v_min3_f32 v113, v14, v12, v52
	v_dual_add_f32 v1, v163, v187 :: v_dual_add_f32 v4, v162, v186
	v_add_f32_e32 v14, v179, v187
	v_min3_f32 v110, v8, v5, v54
	v_dual_add_f32 v5, v155, v191 :: v_dual_add_f32 v8, v154, v190
	v_min3_f32 v112, v18, v15, v13
	v_dual_add_f32 v15, v178, v186 :: v_dual_add_f32 v12, v175, v187
	v_min3_f32 v119, v11, v9, v45
	v_add_f32_e32 v9, v183, v103
	v_add_f32_e32 v11, v182, v102
	v_add_f32_e32 v13, v174, v186
	v_min3_f32 v111, v4, v1, v53
	v_min3_f32 v107, v15, v14, v16
	v_dual_add_f32 v1, v183, v187 :: v_dual_add_f32 v4, v182, v186
	v_dual_add_f32 v14, v167, v191 :: v_dual_add_f32 v15, v166, v190
	v_min3_f32 v105, v8, v5, v47
	v_dual_add_f32 v5, v175, v191 :: v_dual_add_f32 v8, v174, v190
	v_min3_f32 v114, v11, v9, v51
	v_add_f32_e32 v9, v171, v187
	v_add_f32_e32 v11, v170, v186
	v_min3_f32 v102, v15, v14, v17
	v_add_f32_e32 v14, v155, v195
	v_min3_f32 v108, v13, v12, v56
	v_dual_add_f32 v12, v163, v191 :: v_dual_add_f32 v13, v162, v190
	v_add_f32_e32 v15, v154, v194
	v_min3_f32 v100, v8, v5, v43
	v_add_f32_e32 v8, v162, v194
	v_min3_f32 v106, v4, v1, v46
	v_dual_add_f32 v1, v171, v191 :: v_dual_add_f32 v4, v170, v190
	v_min3_f32 v103, v13, v12, v58
	v_add_f32_e32 v12, v183, v191
	v_min3_f32 v97, v15, v14, v20
	v_add_f32_e32 v14, v175, v195
	;; [unrolled: 2-line block ×4, first 2 shown]
	v_add_f32_e32 v15, v174, v194
	v_add_f32_e32 v13, v182, v190
	;; [unrolled: 1-line block ×5, first 2 shown]
	v_min3_f32 v91, v15, v14, v21
	v_dual_add_f32 v14, v163, v199 :: v_dual_add_f32 v15, v162, v198
	s_delay_alu instid0(VALU_DEP_4)
	v_min3_f32 v95, v8, v5, v62
	v_add_f32_e32 v8, v182, v194
	v_min3_f32 v104, v11, v9, v57
	v_add_f32_e32 v9, v179, v191
	;; [unrolled: 2-line block ×3, first 2 shown]
	v_min3_f32 v98, v13, v12, v60
	v_dual_add_f32 v12, v171, v195 :: v_dual_add_f32 v13, v170, v194
	v_add_f32_e32 v11, v178, v190
	v_min3_f32 v96, v4, v1, v61
	v_dual_add_f32 v1, v179, v195 :: v_dual_add_f32 v4, v178, v194
	s_delay_alu instid0(VALU_DEP_4) | instskip(SKIP_2) | instid1(VALU_DEP_4)
	v_min3_f32 v93, v13, v12, v82
	v_dual_add_f32 v12, v159, v199 :: v_dual_add_f32 v13, v158, v198
	v_add_f32_e32 v5, v183, v195
	v_min3_f32 v90, v4, v1, v26
	v_dual_add_f32 v1, v167, v199 :: v_dual_add_f32 v4, v166, v198
	s_delay_alu instid0(VALU_DEP_4)
	v_min3_f32 v87, v13, v12, v31
	v_add_f32_e32 v12, v179, v199
	v_min3_f32 v99, v11, v9, v59
	v_add_f32_e32 v9, v167, v195
	v_add_f32_e32 v11, v166, v194
	v_min3_f32 v89, v8, v5, v27
	v_dual_add_f32 v5, v171, v199 :: v_dual_add_f32 v8, v170, v198
	v_add_f32_e32 v13, v178, v198
	s_delay_alu instid0(VALU_DEP_4)
	v_min3_f32 v94, v11, v9, v63
	v_add_f32_e32 v9, v155, v199
	v_add_f32_e32 v11, v154, v198
	;; [unrolled: 1-line block ×3, first 2 shown]
	v_min3_f32 v85, v4, v1, v3
	v_min3_f32 v84, v8, v5, v6
	;; [unrolled: 1-line block ×4, first 2 shown]
	v_add_f32_e32 v9, v175, v199
	v_add_f32_e32 v11, v174, v198
	v_min3_f32 v92, v15, v14, v2
	s_barrier
	buffer_gl0_inv
	v_min3_f32 v83, v11, v9, v7
	s_cbranch_scc1 .LBB71_56
.LBB71_36:                              ; =>This Inner Loop Header: Depth=1
	v_add_nc_u32_e32 v148, s23, v72
	s_delay_alu instid0(VALU_DEP_1) | instskip(NEXT) | instid1(VALU_DEP_1)
	v_add_nc_u32_e32 v0, 8, v148
	v_cmp_le_i32_e64 s6, s18, v0
	s_delay_alu instid0(VALU_DEP_1) | instskip(NEXT) | instid1(SALU_CYCLE_1)
	s_or_b32 s7, vcc_lo, s6
	v_cndmask_b32_e64 v149, 0, 0x7f7fffff, s7
	s_or_b32 s7, s27, s7
	s_delay_alu instid0(SALU_CYCLE_1) | instskip(NEXT) | instid1(SALU_CYCLE_1)
	s_xor_b32 s7, s7, -1
	s_and_saveexec_b32 s31, s7
	s_cbranch_execz .LBB71_38
; %bb.37:                               ;   in Loop: Header=BB71_36 Depth=1
	v_add_co_u32 v1, s7, v144, v68
	s_delay_alu instid0(VALU_DEP_1)
	v_add_co_ci_u32_e64 v2, s7, v145, v69, s7
	flat_load_b32 v1, v[1:2]
	s_waitcnt vmcnt(0) lgkmcnt(0)
	v_mul_f32_e32 v149, s19, v1
.LBB71_38:                              ;   in Loop: Header=BB71_36 Depth=1
	s_or_b32 exec_lo, exec_lo, s31
	v_min_i32_e32 v2, s29, v0
	s_delay_alu instid0(VALU_DEP_1) | instskip(NEXT) | instid1(VALU_DEP_1)
	v_mad_i64_i32 v[0:1], null, v2, s30, 0
	v_lshlrev_b64 v[0:1], 2, v[0:1]
	s_delay_alu instid0(VALU_DEP_1) | instskip(NEXT) | instid1(VALU_DEP_1)
	v_add_co_u32 v0, s7, s20, v0
	v_add_co_ci_u32_e64 v1, s7, s21, v1, s7
	s_or_b32 s7, s2, s6
	s_delay_alu instid0(SALU_CYCLE_1) | instskip(SKIP_1) | instid1(SALU_CYCLE_1)
	v_cndmask_b32_e64 v150, 0, 0x7f7fffff, s7
	s_or_b32 s7, s27, s7
	s_xor_b32 s7, s7, -1
	s_delay_alu instid0(SALU_CYCLE_1)
	s_and_saveexec_b32 s31, s7
	s_cbranch_execz .LBB71_40
; %bb.39:                               ;   in Loop: Header=BB71_36 Depth=1
	v_add_co_u32 v2, s7, v0, v66
	s_delay_alu instid0(VALU_DEP_1)
	v_add_co_ci_u32_e64 v3, s7, v1, v67, s7
	flat_load_b32 v2, v[2:3]
	s_waitcnt vmcnt(0) lgkmcnt(0)
	v_mul_f32_e32 v150, s19, v2
.LBB71_40:                              ;   in Loop: Header=BB71_36 Depth=1
	s_or_b32 exec_lo, exec_lo, s31
	s_or_b32 s7, s3, s6
	s_delay_alu instid0(SALU_CYCLE_1) | instskip(SKIP_1) | instid1(SALU_CYCLE_1)
	v_cndmask_b32_e64 v151, 0, 0x7f7fffff, s7
	s_or_b32 s7, s27, s7
	s_xor_b32 s7, s7, -1
	s_delay_alu instid0(SALU_CYCLE_1)
	s_and_saveexec_b32 s31, s7
	s_cbranch_execz .LBB71_42
; %bb.41:                               ;   in Loop: Header=BB71_36 Depth=1
	v_add_co_u32 v2, s7, v0, v66
	s_delay_alu instid0(VALU_DEP_1)
	v_add_co_ci_u32_e64 v3, s7, v1, v67, s7
	flat_load_b32 v2, v[2:3] offset:256
	s_waitcnt vmcnt(0) lgkmcnt(0)
	v_mul_f32_e32 v151, s19, v2
.LBB71_42:                              ;   in Loop: Header=BB71_36 Depth=1
	s_or_b32 exec_lo, exec_lo, s31
	s_or_b32 s7, s4, s6
	s_delay_alu instid0(SALU_CYCLE_1) | instskip(SKIP_1) | instid1(SALU_CYCLE_1)
	v_cndmask_b32_e64 v152, 0, 0x7f7fffff, s7
	s_or_b32 s7, s27, s7
	s_xor_b32 s7, s7, -1
	s_delay_alu instid0(SALU_CYCLE_1)
	s_and_saveexec_b32 s31, s7
	s_cbranch_execz .LBB71_44
; %bb.43:                               ;   in Loop: Header=BB71_36 Depth=1
	v_add_co_u32 v2, s7, v0, v66
	s_delay_alu instid0(VALU_DEP_1)
	v_add_co_ci_u32_e64 v3, s7, v1, v67, s7
	flat_load_b32 v2, v[2:3] offset:512
	s_waitcnt vmcnt(0) lgkmcnt(0)
	v_mul_f32_e32 v152, s19, v2
.LBB71_44:                              ;   in Loop: Header=BB71_36 Depth=1
	;; [unrolled: 17-line block ×3, first 2 shown]
	s_or_b32 exec_lo, exec_lo, s7
	ds_load_b128 v[32:35], v146
	ds_load_b128 v[28:31], v146 offset:128
	ds_load_b128 v[24:27], v146 offset:256
	;; [unrolled: 1-line block ×7, first 2 shown]
	ds_load_b128 v[60:63], v147
	ds_load_b128 v[56:59], v147 offset:512
	ds_load_b128 v[52:55], v147 offset:1024
	;; [unrolled: 1-line block ×7, first 2 shown]
	v_add_nc_u32_e32 v154, 12, v148
	ds_store_b32 v121, v149
	ds_store_2addr_stride64_b32 v75, v150, v151 offset1:4
	ds_store_2addr_stride64_b32 v75, v152, v153 offset0:8 offset1:12
	s_waitcnt lgkmcnt(0)
	s_barrier
	buffer_gl0_inv
	v_cmp_le_i32_e64 s6, s18, v154
	s_delay_alu instid0(VALU_DEP_1) | instskip(NEXT) | instid1(SALU_CYCLE_1)
	s_or_b32 s7, vcc_lo, s6
	v_cndmask_b32_e64 v148, 0, 0x7f7fffff, s7
	s_or_b32 s7, s27, s7
	s_delay_alu instid0(SALU_CYCLE_1) | instskip(NEXT) | instid1(SALU_CYCLE_1)
	s_xor_b32 s7, s7, -1
	s_and_saveexec_b32 s31, s7
	s_cbranch_execz .LBB71_48
; %bb.47:                               ;   in Loop: Header=BB71_36 Depth=1
	v_add_co_u32 v148, s7, v144, v64
	s_delay_alu instid0(VALU_DEP_1)
	v_add_co_ci_u32_e64 v149, s7, v145, v65, s7
	flat_load_b32 v148, v[148:149]
	s_waitcnt vmcnt(0) lgkmcnt(0)
	v_mul_f32_e32 v148, s19, v148
.LBB71_48:                              ;   in Loop: Header=BB71_36 Depth=1
	s_or_b32 exec_lo, exec_lo, s31
	v_min_i32_e32 v151, s29, v154
	s_delay_alu instid0(VALU_DEP_1) | instskip(NEXT) | instid1(VALU_DEP_1)
	v_mad_i64_i32 v[149:150], null, v151, s30, 0
	v_lshlrev_b64 v[149:150], 2, v[149:150]
	s_delay_alu instid0(VALU_DEP_1) | instskip(NEXT) | instid1(VALU_DEP_1)
	v_add_co_u32 v152, s7, s20, v149
	v_add_co_ci_u32_e64 v153, s7, s21, v150, s7
	s_or_b32 s7, s2, s6
	s_delay_alu instid0(SALU_CYCLE_1) | instskip(SKIP_1) | instid1(SALU_CYCLE_1)
	v_cndmask_b32_e64 v149, 0, 0x7f7fffff, s7
	s_or_b32 s7, s27, s7
	s_xor_b32 s7, s7, -1
	s_delay_alu instid0(SALU_CYCLE_1)
	s_and_saveexec_b32 s31, s7
	s_cbranch_execz .LBB71_50
; %bb.49:                               ;   in Loop: Header=BB71_36 Depth=1
	v_add_co_u32 v149, s7, v152, v66
	s_delay_alu instid0(VALU_DEP_1)
	v_add_co_ci_u32_e64 v150, s7, v153, v67, s7
	flat_load_b32 v149, v[149:150]
	s_waitcnt vmcnt(0) lgkmcnt(0)
	v_mul_f32_e32 v149, s19, v149
.LBB71_50:                              ;   in Loop: Header=BB71_36 Depth=1
	s_or_b32 exec_lo, exec_lo, s31
	s_or_b32 s7, s3, s6
	s_delay_alu instid0(SALU_CYCLE_1) | instskip(SKIP_1) | instid1(SALU_CYCLE_1)
	v_cndmask_b32_e64 v150, 0, 0x7f7fffff, s7
	s_or_b32 s7, s27, s7
	s_xor_b32 s7, s7, -1
	s_delay_alu instid0(SALU_CYCLE_1)
	s_and_saveexec_b32 s31, s7
	s_cbranch_execz .LBB71_52
; %bb.51:                               ;   in Loop: Header=BB71_36 Depth=1
	v_add_co_u32 v150, s7, v152, v66
	s_delay_alu instid0(VALU_DEP_1)
	v_add_co_ci_u32_e64 v151, s7, v153, v67, s7
	flat_load_b32 v150, v[150:151] offset:256
	s_waitcnt vmcnt(0) lgkmcnt(0)
	v_mul_f32_e32 v150, s19, v150
.LBB71_52:                              ;   in Loop: Header=BB71_36 Depth=1
	s_or_b32 exec_lo, exec_lo, s31
	s_or_b32 s7, s4, s6
	s_delay_alu instid0(SALU_CYCLE_1) | instskip(SKIP_1) | instid1(SALU_CYCLE_1)
	v_cndmask_b32_e64 v151, 0, 0x7f7fffff, s7
	s_or_b32 s7, s27, s7
	s_xor_b32 s7, s7, -1
	s_delay_alu instid0(SALU_CYCLE_1)
	s_and_saveexec_b32 s31, s7
	s_cbranch_execz .LBB71_54
; %bb.53:                               ;   in Loop: Header=BB71_36 Depth=1
	v_add_co_u32 v154, s7, v152, v66
	s_delay_alu instid0(VALU_DEP_1)
	v_add_co_ci_u32_e64 v155, s7, v153, v67, s7
	flat_load_b32 v151, v[154:155] offset:512
	s_waitcnt vmcnt(0) lgkmcnt(0)
	v_mul_f32_e32 v151, s19, v151
.LBB71_54:                              ;   in Loop: Header=BB71_36 Depth=1
	s_or_b32 exec_lo, exec_lo, s31
	v_dual_add_f32 v154, v33, v61 :: v_dual_add_f32 v155, v32, v60
	v_dual_add_f32 v156, v29, v61 :: v_dual_add_f32 v157, v28, v60
	;; [unrolled: 1-line block ×3, first 2 shown]
	s_delay_alu instid0(VALU_DEP_3) | instskip(SKIP_1) | instid1(VALU_DEP_4)
	v_min3_f32 v141, v155, v154, v141
	v_dual_add_f32 v154, v17, v61 :: v_dual_add_f32 v155, v16, v60
	v_min3_f32 v81, v157, v156, v81
	s_delay_alu instid0(VALU_DEP_4)
	v_min3_f32 v79, v159, v158, v79
	v_dual_add_f32 v156, v13, v61 :: v_dual_add_f32 v157, v12, v60
	v_dual_add_f32 v158, v9, v61 :: v_dual_add_f32 v159, v8, v60
	;; [unrolled: 1-line block ×4, first 2 shown]
	v_min3_f32 v77, v155, v154, v77
	v_min3_f32 v76, v157, v156, v76
	v_dual_add_f32 v154, v29, v57 :: v_dual_add_f32 v155, v28, v56
	s_delay_alu instid0(VALU_DEP_4)
	v_min3_f32 v60, v60, v61, v140
	v_dual_add_f32 v61, v33, v57 :: v_dual_add_f32 v140, v32, v56
	v_dual_add_f32 v156, v25, v57 :: v_dual_add_f32 v157, v24, v56
	v_min3_f32 v78, v159, v158, v78
	v_min3_f32 v80, v161, v160, v80
	v_dual_add_f32 v158, v17, v57 :: v_dual_add_f32 v159, v16, v56
	v_dual_add_f32 v160, v13, v57 :: v_dual_add_f32 v161, v12, v56
	v_min3_f32 v61, v140, v61, v139
	v_min3_f32 v138, v155, v154, v138
	;; [unrolled: 1-line block ×3, first 2 shown]
	v_dual_add_f32 v139, v9, v57 :: v_dual_add_f32 v140, v8, v56
	v_dual_add_f32 v154, v5, v57 :: v_dual_add_f32 v155, v4, v56
	;; [unrolled: 1-line block ×4, first 2 shown]
	v_min3_f32 v136, v159, v158, v136
	v_dual_add_f32 v158, v29, v53 :: v_dual_add_f32 v159, v28, v52
	v_min3_f32 v134, v140, v139, v134
	v_min3_f32 v56, v56, v57, v131
	v_min3_f32 v57, v157, v156, v130
	v_dual_add_f32 v130, v25, v53 :: v_dual_add_f32 v131, v24, v52
	v_dual_add_f32 v139, v17, v53 :: v_dual_add_f32 v140, v16, v52
	v_min3_f32 v133, v155, v154, v133
	v_min3_f32 v129, v159, v158, v129
	v_dual_add_f32 v154, v13, v53 :: v_dual_add_f32 v155, v12, v52
	v_dual_add_f32 v156, v9, v53 :: v_dual_add_f32 v157, v8, v52
	v_dual_add_f32 v158, v5, v53 :: v_dual_add_f32 v159, v4, v52
	v_min3_f32 v128, v131, v130, v128
	v_min3_f32 v127, v140, v139, v127
	v_dual_add_f32 v53, v1, v53 :: v_dual_add_f32 v52, v0, v52
	;; [unrolled: 5-line block ×3, first 2 shown]
	v_dual_add_f32 v156, v17, v49 :: v_dual_add_f32 v157, v16, v48
	v_min3_f32 v122, v52, v53, v122
	v_min3_f32 v123, v131, v130, v123
	;; [unrolled: 1-line block ×3, first 2 shown]
	v_dual_add_f32 v52, v13, v49 :: v_dual_add_f32 v53, v12, v48
	v_dual_add_f32 v130, v9, v49 :: v_dual_add_f32 v131, v8, v48
	;; [unrolled: 1-line block ×4, first 2 shown]
	v_min3_f32 v119, v155, v154, v119
	v_dual_add_f32 v154, v33, v45 :: v_dual_add_f32 v155, v32, v44
	v_min3_f32 v117, v53, v52, v117
	v_min3_f32 v116, v131, v130, v116
	;; [unrolled: 1-line block ×3, first 2 shown]
	v_dual_add_f32 v48, v29, v45 :: v_dual_add_f32 v49, v28, v44
	v_dual_add_f32 v52, v25, v45 :: v_dual_add_f32 v53, v24, v44
	;; [unrolled: 1-line block ×3, first 2 shown]
	v_min3_f32 v115, v140, v139, v115
	v_min3_f32 v113, v155, v154, v113
	v_dual_add_f32 v139, v13, v45 :: v_dual_add_f32 v140, v12, v44
	v_dual_add_f32 v154, v9, v45 :: v_dual_add_f32 v155, v8, v44
	v_min3_f32 v112, v49, v48, v112
	v_min3_f32 v111, v53, v52, v111
	;; [unrolled: 1-line block ×3, first 2 shown]
	v_dual_add_f32 v48, v5, v45 :: v_dual_add_f32 v49, v4, v44
	v_dual_add_f32 v45, v1, v45 :: v_dual_add_f32 v44, v0, v44
	;; [unrolled: 1-line block ×4, first 2 shown]
	v_min3_f32 v109, v140, v139, v109
	v_dual_add_f32 v139, v25, v41 :: v_dual_add_f32 v140, v24, v40
	v_min3_f32 v107, v49, v48, v107
	v_min3_f32 v106, v44, v45, v106
	;; [unrolled: 1-line block ×4, first 2 shown]
	v_dual_add_f32 v44, v17, v41 :: v_dual_add_f32 v45, v16, v40
	v_dual_add_f32 v48, v13, v41 :: v_dual_add_f32 v49, v12, v40
	;; [unrolled: 1-line block ×5, first 2 shown]
	v_min3_f32 v102, v45, v44, v102
	v_dual_add_f32 v44, v29, v37 :: v_dual_add_f32 v45, v28, v36
	v_min3_f32 v100, v53, v52, v100
	s_delay_alu instid0(VALU_DEP_4) | instskip(SKIP_4) | instid1(VALU_DEP_4)
	v_min3_f32 v98, v40, v41, v98
	v_dual_add_f32 v40, v33, v37 :: v_dual_add_f32 v41, v32, v36
	v_min3_f32 v99, v131, v130, v99
	v_dual_add_f32 v52, v17, v37 :: v_dual_add_f32 v53, v16, v36
	v_dual_add_f32 v130, v13, v37 :: v_dual_add_f32 v131, v12, v36
	v_min3_f32 v97, v41, v40, v97
	v_min3_f32 v96, v45, v44, v96
	v_dual_add_f32 v40, v9, v37 :: v_dual_add_f32 v41, v8, v36
	v_dual_add_f32 v44, v5, v37 :: v_dual_add_f32 v45, v4, v36
	;; [unrolled: 1-line block ×6, first 2 shown]
	v_min3_f32 v108, v155, v154, v108
	v_min3_f32 v103, v140, v139, v103
	;; [unrolled: 1-line block ×3, first 2 shown]
	v_dual_add_f32 v48, v25, v37 :: v_dual_add_f32 v49, v24, v36
	v_min3_f32 v93, v131, v130, v93
	v_dual_add_f32 v37, v1, v37 :: v_dual_add_f32 v36, v0, v36
	v_dual_add_f32 v29, v29, v21 :: v_dual_add_f32 v28, v28, v20
	;; [unrolled: 1-line block ×3, first 2 shown]
	v_min3_f32 v131, v16, v17, v85
	v_min3_f32 v139, v12, v13, v84
	;; [unrolled: 1-line block ×4, first 2 shown]
	v_dual_add_f32 v1, v1, v21 :: v_dual_add_f32 v0, v0, v20
	v_dual_add_f32 v4, v35, v63 :: v_dual_add_f32 v5, v34, v62
	;; [unrolled: 1-line block ×6, first 2 shown]
	v_min3_f32 v130, v28, v29, v87
	v_min3_f32 v24, v24, v25, v86
	;; [unrolled: 1-line block ×7, first 2 shown]
	v_dual_add_f32 v4, v15, v63 :: v_dual_add_f32 v5, v14, v62
	v_dual_add_f32 v8, v11, v63 :: v_dual_add_f32 v9, v10, v62
	;; [unrolled: 1-line block ×5, first 2 shown]
	v_min3_f32 v135, v161, v160, v135
	v_min3_f32 v95, v49, v48, v95
	;; [unrolled: 1-line block ×9, first 2 shown]
	v_dual_add_f32 v5, v31, v59 :: v_dual_add_f32 v8, v30, v58
	v_dual_add_f32 v9, v27, v59 :: v_dual_add_f32 v12, v26, v58
	v_dual_add_f32 v13, v19, v59 :: v_dual_add_f32 v16, v18, v58
	v_dual_add_f32 v17, v15, v59 :: v_dual_add_f32 v20, v14, v58
	v_dual_add_f32 v21, v11, v59 :: v_dual_add_f32 v48, v10, v58
	v_min3_f32 v91, v41, v40, v91
	v_min3_f32 v90, v45, v44, v90
	v_min3_f32 v40, v8, v5, v138
	v_min3_f32 v41, v12, v9, v137
	v_min3_f32 v44, v16, v13, v136
	v_min3_f32 v45, v20, v17, v135
	v_min3_f32 v5, v48, v21, v134
	v_dual_add_f32 v8, v7, v59 :: v_dual_add_f32 v9, v6, v58
	v_dual_add_f32 v12, v3, v59 :: v_dual_add_f32 v13, v2, v58
	;; [unrolled: 1-line block ×4, first 2 shown]
	v_min3_f32 v124, v159, v158, v124
	v_min3_f32 v94, v53, v52, v94
	v_dual_add_f32 v58, v27, v55 :: v_dual_add_f32 v59, v26, v54
	v_min3_f32 v48, v9, v8, v133
	v_min3_f32 v49, v13, v12, v56
	;; [unrolled: 1-line block ×4, first 2 shown]
	v_dual_add_f32 v9, v19, v55 :: v_dual_add_f32 v12, v18, v54
	v_dual_add_f32 v13, v15, v55 :: v_dual_add_f32 v16, v14, v54
	;; [unrolled: 1-line block ×4, first 2 shown]
	v_add_f32_e32 v57, v6, v54
	v_min3_f32 v118, v157, v156, v118
	v_min3_f32 v8, v59, v58, v128
	v_dual_add_f32 v58, v3, v55 :: v_dual_add_f32 v59, v2, v54
	v_min3_f32 v54, v12, v9, v127
	v_add_f32_e32 v12, v35, v51
	v_min3_f32 v55, v16, v13, v126
	v_min3_f32 v56, v20, v17, v125
	;; [unrolled: 1-line block ×3, first 2 shown]
	v_dual_add_f32 v13, v34, v50 :: v_dual_add_f32 v16, v31, v51
	v_dual_add_f32 v17, v30, v50 :: v_dual_add_f32 v20, v27, v51
	v_add_f32_e32 v21, v26, v50
	v_dual_add_f32 v61, v19, v51 :: v_dual_add_f32 v76, v14, v50
	v_add_f32_e32 v63, v15, v51
	v_min3_f32 v9, v59, v58, v122
	v_min3_f32 v58, v13, v12, v123
	v_min3_f32 v59, v17, v16, v120
	v_add_f32_e32 v16, v10, v50
	v_min3_f32 v60, v21, v20, v119
	v_min3_f32 v61, v62, v61, v118
	;; [unrolled: 1-line block ×3, first 2 shown]
	v_dual_add_f32 v13, v11, v51 :: v_dual_add_f32 v20, v6, v50
	v_dual_add_f32 v17, v7, v51 :: v_dual_add_f32 v62, v2, v50
	;; [unrolled: 1-line block ×4, first 2 shown]
	v_add_f32_e32 v77, v31, v47
	v_min3_f32 v50, v16, v13, v116
	v_min3_f32 v51, v20, v17, v115
	;; [unrolled: 1-line block ×3, first 2 shown]
	v_add_f32_e32 v16, v27, v47
	v_min3_f32 v13, v78, v77, v112
	v_dual_add_f32 v17, v26, v46 :: v_dual_add_f32 v20, v19, v47
	v_dual_add_f32 v21, v18, v46 :: v_dual_add_f32 v78, v15, v47
	;; [unrolled: 1-line block ×4, first 2 shown]
	v_add_f32_e32 v83, v6, v46
	v_min3_f32 v63, v76, v63, v113
	v_min3_f32 v76, v17, v16, v111
	;; [unrolled: 1-line block ×5, first 2 shown]
	v_add_f32_e32 v80, v31, v43
	v_min3_f32 v16, v83, v82, v107
	v_dual_add_f32 v17, v3, v47 :: v_dual_add_f32 v20, v2, v46
	v_dual_add_f32 v47, v34, v42 :: v_dual_add_f32 v82, v27, v43
	;; [unrolled: 1-line block ×3, first 2 shown]
	v_add_f32_e32 v83, v26, v42
	v_add_f32_e32 v85, v18, v42
	;; [unrolled: 1-line block ×3, first 2 shown]
	v_min3_f32 v46, v20, v17, v106
	v_min3_f32 v80, v81, v80, v104
	v_add_f32_e32 v20, v15, v43
	v_min3_f32 v81, v83, v82, v103
	v_add_f32_e32 v82, v11, v43
	v_min3_f32 v17, v85, v84, v102
	v_dual_add_f32 v83, v10, v42 :: v_dual_add_f32 v84, v7, v43
	v_dual_add_f32 v85, v6, v42 :: v_dual_add_f32 v86, v3, v43
	;; [unrolled: 1-line block ×3, first 2 shown]
	v_add_f32_e32 v102, v34, v38
	s_delay_alu instid0(VALU_DEP_4) | instskip(NEXT) | instid1(VALU_DEP_4)
	v_min3_f32 v43, v83, v82, v100
	v_min3_f32 v82, v85, v84, v99
	v_add_f32_e32 v84, v30, v38
	v_min3_f32 v47, v47, v21, v105
	v_add_f32_e32 v21, v14, v42
	v_min3_f32 v83, v87, v86, v98
	v_dual_add_f32 v85, v27, v39 :: v_dual_add_f32 v86, v26, v38
	v_dual_add_f32 v87, v19, v39 :: v_dual_add_f32 v98, v14, v38
	s_delay_alu instid0(VALU_DEP_4) | instskip(SKIP_4) | instid1(VALU_DEP_3)
	v_min3_f32 v42, v21, v20, v101
	v_min3_f32 v20, v102, v92, v97
	v_dual_add_f32 v21, v31, v39 :: v_dual_add_f32 v92, v18, v38
	v_dual_add_f32 v97, v15, v39 :: v_dual_add_f32 v100, v10, v38
	v_add_f32_e32 v99, v11, v39
	v_min3_f32 v84, v84, v21, v96
	v_min3_f32 v85, v86, v85, v95
	;; [unrolled: 1-line block ×3, first 2 shown]
	v_add_f32_e32 v92, v6, v38
	v_min3_f32 v21, v100, v99, v91
	v_dual_add_f32 v91, v7, v39 :: v_dual_add_f32 v38, v2, v38
	v_dual_add_f32 v39, v3, v39 :: v_dual_add_f32 v34, v34, v22
	;; [unrolled: 1-line block ×3, first 2 shown]
	v_min3_f32 v87, v98, v97, v93
	v_dual_add_f32 v31, v31, v23 :: v_dual_add_f32 v14, v14, v22
	v_dual_add_f32 v93, v30, v22 :: v_dual_add_f32 v94, v27, v23
	v_add_f32_e32 v95, v26, v22
	v_min3_f32 v30, v34, v35, v88
	v_add_f32_e32 v34, v7, v23
	v_dual_add_f32 v19, v19, v23 :: v_dual_add_f32 v10, v10, v22
	v_dual_add_f32 v15, v15, v23 :: v_dual_add_f32 v2, v2, v22
	v_add_f32_e32 v11, v11, v23
	v_add_f32_e32 v35, v6, v22
	;; [unrolled: 1-line block ×3, first 2 shown]
	s_or_b32 s6, s5, s6
	v_min3_f32 v26, v92, v91, v90
	v_min3_f32 v27, v38, v39, v89
	;; [unrolled: 1-line block ×9, first 2 shown]
	v_cndmask_b32_e64 v0, 0, 0x7f7fffff, s6
	s_or_b32 s6, s27, s6
	s_delay_alu instid0(SALU_CYCLE_1) | instskip(NEXT) | instid1(SALU_CYCLE_1)
	s_xor_b32 s6, s6, -1
	s_and_saveexec_b32 s7, s6
	s_cbranch_execz .LBB71_35
; %bb.55:                               ;   in Loop: Header=BB71_36 Depth=1
	v_add_co_u32 v14, s6, v152, v66
	s_delay_alu instid0(VALU_DEP_1)
	v_add_co_ci_u32_e64 v15, s6, v153, v67, s6
	flat_load_b32 v0, v[14:15] offset:768
	s_waitcnt vmcnt(0) lgkmcnt(0)
	v_mul_f32_e32 v0, s19, v0
	s_branch .LBB71_35
.LBB71_56:
	s_clause 0x2
	s_load_b64 s[2:3], s[0:1], 0x70
	s_load_b32 s18, s[0:1], 0x50
	s_load_b32 s9, s[0:1], 0x68
	ds_load_b128 v[32:35], v73 offset:9216
	ds_load_b128 v[28:31], v73 offset:9344
	;; [unrolled: 1-line block ×12, first 2 shown]
	v_add_nc_u32_e32 v132, s28, v71
	ds_load_b128 v[44:47], v74 offset:6144
	ds_load_b128 v[40:43], v74 offset:6656
	;; [unrolled: 1-line block ×4, first 2 shown]
	v_cndmask_b32_e64 v121, 0, 1, s25
	v_cmp_gt_i32_e64 s8, s17, v132
	s_waitcnt lgkmcnt(0)
	s_mul_i32 s0, s15, s3
	v_mad_i64_i32 v[64:65], null, v132, s18, 0
	v_mad_i64_i32 v[66:67], null, v132, s9, 0
	s_mul_hi_u32 s1, s15, s2
	s_mul_i32 s3, s26, s2
	s_add_i32 s1, s1, s0
	s_mul_i32 s0, s15, s2
	s_delay_alu instid0(VALU_DEP_2) | instskip(SKIP_1) | instid1(VALU_DEP_2)
	v_lshlrev_b64 v[68:69], 2, v[64:65]
	s_add_i32 s1, s1, s3
	v_lshlrev_b64 v[65:66], 2, v[66:67]
	v_add_nc_u32_e32 v64, s14, v70
	s_lshl_b64 s[0:1], s[0:1], 2
	s_delay_alu instid0(SALU_CYCLE_1)
	s_add_u32 s10, s10, s0
	v_add_co_u32 v144, vcc_lo, s12, v68
	v_add_co_ci_u32_e32 v145, vcc_lo, s13, v69, vcc_lo
	s_addc_u32 s11, s11, s1
	v_add_co_u32 v142, vcc_lo, s10, v65
	v_cmp_gt_i32_e64 s0, s16, v64
	v_add_co_ci_u32_e32 v143, vcc_lo, s11, v66, vcc_lo
	v_ashrrev_i32_e32 v65, 31, v64
	s_delay_alu instid0(VALU_DEP_3) | instskip(NEXT) | instid1(SALU_CYCLE_1)
	s_and_b32 s2, s0, s8
	s_and_saveexec_b32 s1, s2
	s_cbranch_execz .LBB71_61
; %bb.57:
	s_delay_alu instid0(VALU_DEP_1)
	v_lshlrev_b64 v[66:67], 2, v[64:65]
	s_and_not1_b32 vcc_lo, exec_lo, s25
	s_cbranch_vccnz .LBB71_59
; %bb.58:
	s_delay_alu instid0(VALU_DEP_1) | instskip(NEXT) | instid1(VALU_DEP_2)
	v_add_co_u32 v68, vcc_lo, v144, v66
	v_add_co_ci_u32_e32 v69, vcc_lo, v145, v67, vcc_lo
	flat_load_b32 v68, v[68:69]
	s_waitcnt vmcnt(0) lgkmcnt(0)
	v_mul_f32_e32 v68, s24, v68
	s_branch .LBB71_60
.LBB71_59:
	v_mov_b32_e32 v68, 0
.LBB71_60:
	v_dual_add_f32 v69, v33, v61 :: v_dual_add_f32 v70, v32, v60
	v_dual_add_f32 v71, v35, v63 :: v_dual_add_f32 v72, v34, v62
	v_add_co_u32 v66, vcc_lo, v142, v66
	s_delay_alu instid0(VALU_DEP_3) | instskip(SKIP_1) | instid1(VALU_DEP_4)
	v_min3_f32 v69, v70, v69, v141
	v_add_co_ci_u32_e32 v67, vcc_lo, v143, v67, vcc_lo
	v_min_f32_e32 v70, v72, v71
	s_delay_alu instid0(VALU_DEP_1)
	v_min3_f32 v68, v68, v70, v69
	global_store_b32 v[66:67], v68, off
.LBB71_61:
	s_or_b32 exec_lo, exec_lo, s1
	v_add_nc_u32_e32 v66, 8, v64
	s_delay_alu instid0(VALU_DEP_1) | instskip(SKIP_1) | instid1(VALU_DEP_2)
	v_cmp_gt_i32_e64 s1, s16, v66
	v_ashrrev_i32_e32 v67, 31, v66
	s_and_b32 s3, s1, s8
	s_delay_alu instid0(SALU_CYCLE_1)
	s_and_saveexec_b32 s2, s3
	s_cbranch_execz .LBB71_66
; %bb.62:
	v_cmp_ne_u32_e32 vcc_lo, 1, v121
	v_lshlrev_b64 v[68:69], 2, v[66:67]
	s_cbranch_vccnz .LBB71_64
; %bb.63:
	s_delay_alu instid0(VALU_DEP_1) | instskip(NEXT) | instid1(VALU_DEP_2)
	v_add_co_u32 v70, vcc_lo, v144, v68
	v_add_co_ci_u32_e32 v71, vcc_lo, v145, v69, vcc_lo
	flat_load_b32 v70, v[70:71]
	s_waitcnt vmcnt(0) lgkmcnt(0)
	v_mul_f32_e32 v70, s24, v70
	s_branch .LBB71_65
.LBB71_64:
	v_mov_b32_e32 v70, 0
.LBB71_65:
	v_dual_add_f32 v71, v29, v61 :: v_dual_add_f32 v72, v28, v60
	v_dual_add_f32 v73, v31, v63 :: v_dual_add_f32 v74, v30, v62
	s_delay_alu instid0(VALU_DEP_4) | instskip(NEXT) | instid1(VALU_DEP_3)
	v_add_co_u32 v68, vcc_lo, v142, v68
	v_min3_f32 v71, v72, v71, v81
	v_add_co_ci_u32_e32 v69, vcc_lo, v143, v69, vcc_lo
	s_delay_alu instid0(VALU_DEP_4) | instskip(NEXT) | instid1(VALU_DEP_1)
	v_min_f32_e32 v72, v74, v73
	v_min3_f32 v70, v70, v72, v71
	global_store_b32 v[68:69], v70, off
.LBB71_66:
	s_or_b32 exec_lo, exec_lo, s2
	v_add_nc_u32_e32 v68, 16, v64
	s_delay_alu instid0(VALU_DEP_1) | instskip(SKIP_1) | instid1(VALU_DEP_2)
	v_cmp_gt_i32_e64 s2, s16, v68
	v_ashrrev_i32_e32 v69, 31, v68
	s_and_b32 s4, s2, s8
	s_delay_alu instid0(SALU_CYCLE_1)
	s_and_saveexec_b32 s3, s4
	s_cbranch_execz .LBB71_71
; %bb.67:
	v_cmp_ne_u32_e32 vcc_lo, 1, v121
	v_lshlrev_b64 v[70:71], 2, v[68:69]
	s_cbranch_vccnz .LBB71_69
; %bb.68:
	s_delay_alu instid0(VALU_DEP_1) | instskip(NEXT) | instid1(VALU_DEP_2)
	v_add_co_u32 v72, vcc_lo, v144, v70
	v_add_co_ci_u32_e32 v73, vcc_lo, v145, v71, vcc_lo
	flat_load_b32 v72, v[72:73]
	s_waitcnt vmcnt(0) lgkmcnt(0)
	v_mul_f32_e32 v72, s24, v72
	s_branch .LBB71_70
.LBB71_69:
	v_mov_b32_e32 v72, 0
.LBB71_70:
	v_dual_add_f32 v73, v25, v61 :: v_dual_add_f32 v74, v24, v60
	v_add_f32_e32 v75, v27, v63
	v_add_f32_e32 v81, v26, v62
	v_add_co_u32 v70, vcc_lo, v142, v70
	s_delay_alu instid0(VALU_DEP_4) | instskip(SKIP_1) | instid1(VALU_DEP_4)
	v_min3_f32 v73, v74, v73, v79
	v_add_co_ci_u32_e32 v71, vcc_lo, v143, v71, vcc_lo
	v_min_f32_e32 v74, v81, v75
	s_delay_alu instid0(VALU_DEP_1)
	v_min3_f32 v72, v72, v74, v73
	global_store_b32 v[70:71], v72, off
.LBB71_71:
	s_or_b32 exec_lo, exec_lo, s3
	v_add_nc_u32_e32 v70, 24, v64
	s_delay_alu instid0(VALU_DEP_1) | instskip(SKIP_1) | instid1(VALU_DEP_2)
	v_cmp_gt_i32_e64 s3, s16, v70
	v_ashrrev_i32_e32 v71, 31, v70
	s_and_b32 s5, s3, s8
	s_delay_alu instid0(SALU_CYCLE_1)
	s_and_saveexec_b32 s4, s5
	s_cbranch_execz .LBB71_76
; %bb.72:
	v_cmp_ne_u32_e32 vcc_lo, 1, v121
	v_lshlrev_b64 v[72:73], 2, v[70:71]
	s_cbranch_vccnz .LBB71_74
; %bb.73:
	s_delay_alu instid0(VALU_DEP_1) | instskip(NEXT) | instid1(VALU_DEP_2)
	v_add_co_u32 v74, vcc_lo, v144, v72
	v_add_co_ci_u32_e32 v75, vcc_lo, v145, v73, vcc_lo
	flat_load_b32 v74, v[74:75]
	s_waitcnt vmcnt(0) lgkmcnt(0)
	v_mul_f32_e32 v74, s24, v74
	s_branch .LBB71_75
.LBB71_74:
	v_mov_b32_e32 v74, 0
.LBB71_75:
	v_add_f32_e32 v75, v21, v61
	v_add_f32_e32 v79, v20, v60
	;; [unrolled: 1-line block ×4, first 2 shown]
	v_add_co_u32 v72, vcc_lo, v142, v72
	s_delay_alu instid0(VALU_DEP_4) | instskip(SKIP_1) | instid1(VALU_DEP_4)
	v_min3_f32 v75, v79, v75, v77
	v_add_co_ci_u32_e32 v73, vcc_lo, v143, v73, vcc_lo
	v_min_f32_e32 v77, v141, v81
	s_delay_alu instid0(VALU_DEP_1)
	v_min3_f32 v74, v74, v77, v75
	global_store_b32 v[72:73], v74, off
.LBB71_76:
	s_or_b32 exec_lo, exec_lo, s4
	v_add_nc_u32_e32 v72, 32, v64
	s_delay_alu instid0(VALU_DEP_1) | instskip(SKIP_1) | instid1(VALU_DEP_2)
	v_cmp_gt_i32_e64 s4, s16, v72
	v_ashrrev_i32_e32 v73, 31, v72
	s_and_b32 s6, s4, s8
	s_delay_alu instid0(SALU_CYCLE_1)
	s_and_saveexec_b32 s5, s6
	s_cbranch_execz .LBB71_81
; %bb.77:
	v_cmp_ne_u32_e32 vcc_lo, 1, v121
	v_lshlrev_b64 v[74:75], 2, v[72:73]
	s_cbranch_vccnz .LBB71_79
; %bb.78:
	s_delay_alu instid0(VALU_DEP_1) | instskip(NEXT) | instid1(VALU_DEP_2)
	v_add_co_u32 v146, vcc_lo, v144, v74
	v_add_co_ci_u32_e32 v147, vcc_lo, v145, v75, vcc_lo
	flat_load_b32 v77, v[146:147]
	s_waitcnt vmcnt(0) lgkmcnt(0)
	v_mul_f32_e32 v77, s24, v77
	s_branch .LBB71_80
.LBB71_79:
	v_mov_b32_e32 v77, 0
.LBB71_80:
	v_dual_add_f32 v79, v17, v61 :: v_dual_add_f32 v146, v18, v62
	v_add_f32_e32 v81, v16, v60
	v_add_f32_e32 v141, v19, v63
	v_add_co_u32 v74, vcc_lo, v142, v74
	v_add_co_ci_u32_e32 v75, vcc_lo, v143, v75, vcc_lo
	s_delay_alu instid0(VALU_DEP_4) | instskip(NEXT) | instid1(VALU_DEP_4)
	v_min3_f32 v76, v81, v79, v76
	v_min_f32_e32 v79, v146, v141
	s_delay_alu instid0(VALU_DEP_1)
	v_min3_f32 v76, v77, v79, v76
	global_store_b32 v[74:75], v76, off
.LBB71_81:
	s_or_b32 exec_lo, exec_lo, s5
	v_add_nc_u32_e32 v74, 40, v64
	s_delay_alu instid0(VALU_DEP_1) | instskip(SKIP_1) | instid1(VALU_DEP_2)
	v_cmp_gt_i32_e64 s5, s16, v74
	v_ashrrev_i32_e32 v75, 31, v74
	s_and_b32 s7, s5, s8
	s_delay_alu instid0(SALU_CYCLE_1)
	s_and_saveexec_b32 s6, s7
	s_cbranch_execz .LBB71_86
; %bb.82:
	v_cmp_ne_u32_e32 vcc_lo, 1, v121
	v_lshlrev_b64 v[76:77], 2, v[74:75]
	s_cbranch_vccnz .LBB71_84
; %bb.83:
	s_delay_alu instid0(VALU_DEP_1) | instskip(NEXT) | instid1(VALU_DEP_2)
	v_add_co_u32 v146, vcc_lo, v144, v76
	v_add_co_ci_u32_e32 v147, vcc_lo, v145, v77, vcc_lo
	flat_load_b32 v79, v[146:147]
	s_waitcnt vmcnt(0) lgkmcnt(0)
	v_mul_f32_e32 v79, s24, v79
	s_branch .LBB71_85
.LBB71_84:
	v_mov_b32_e32 v79, 0
.LBB71_85:
	v_dual_add_f32 v81, v13, v61 :: v_dual_add_f32 v146, v15, v63
	v_add_f32_e32 v141, v12, v60
	v_add_f32_e32 v147, v14, v62
	v_add_co_u32 v76, vcc_lo, v142, v76
	v_add_co_ci_u32_e32 v77, vcc_lo, v143, v77, vcc_lo
	s_delay_alu instid0(VALU_DEP_4) | instskip(NEXT) | instid1(VALU_DEP_4)
	v_min3_f32 v78, v141, v81, v78
	v_min_f32_e32 v81, v147, v146
	s_delay_alu instid0(VALU_DEP_1)
	v_min3_f32 v78, v79, v81, v78
	global_store_b32 v[76:77], v78, off
.LBB71_86:
	s_or_b32 exec_lo, exec_lo, s6
	v_add_nc_u32_e32 v76, 48, v64
	s_delay_alu instid0(VALU_DEP_1) | instskip(SKIP_1) | instid1(VALU_DEP_2)
	v_cmp_gt_i32_e64 s6, s16, v76
	v_ashrrev_i32_e32 v77, 31, v76
	s_and_b32 s14, s6, s8
	s_delay_alu instid0(SALU_CYCLE_1)
	s_and_saveexec_b32 s7, s14
	s_cbranch_execz .LBB71_91
; %bb.87:
	v_cmp_ne_u32_e32 vcc_lo, 1, v121
	v_lshlrev_b64 v[78:79], 2, v[76:77]
	s_cbranch_vccnz .LBB71_89
; %bb.88:
	s_delay_alu instid0(VALU_DEP_1) | instskip(NEXT) | instid1(VALU_DEP_2)
	v_add_co_u32 v146, vcc_lo, v144, v78
	v_add_co_ci_u32_e32 v147, vcc_lo, v145, v79, vcc_lo
	flat_load_b32 v81, v[146:147]
	s_waitcnt vmcnt(0) lgkmcnt(0)
	v_mul_f32_e32 v81, s24, v81
	s_branch .LBB71_90
.LBB71_89:
	v_mov_b32_e32 v81, 0
.LBB71_90:
	v_dual_add_f32 v141, v9, v61 :: v_dual_add_f32 v146, v8, v60
	v_dual_add_f32 v147, v11, v63 :: v_dual_add_f32 v148, v10, v62
	s_delay_alu instid0(VALU_DEP_4) | instskip(NEXT) | instid1(VALU_DEP_3)
	v_add_co_u32 v78, vcc_lo, v142, v78
	v_min3_f32 v80, v146, v141, v80
	v_add_co_ci_u32_e32 v79, vcc_lo, v143, v79, vcc_lo
	s_delay_alu instid0(VALU_DEP_4) | instskip(NEXT) | instid1(VALU_DEP_1)
	v_min_f32_e32 v141, v148, v147
	v_min3_f32 v80, v81, v141, v80
	global_store_b32 v[78:79], v80, off
.LBB71_91:
	s_or_b32 exec_lo, exec_lo, s7
	v_add_nc_u32_e32 v78, 56, v64
	s_delay_alu instid0(VALU_DEP_1) | instskip(SKIP_1) | instid1(VALU_DEP_2)
	v_cmp_gt_i32_e64 s7, s16, v78
	v_ashrrev_i32_e32 v79, 31, v78
	s_and_b32 s14, s7, s8
	s_delay_alu instid0(SALU_CYCLE_1)
	s_and_saveexec_b32 s8, s14
	s_cbranch_execz .LBB71_96
; %bb.92:
	v_cmp_ne_u32_e32 vcc_lo, 1, v121
	v_lshlrev_b64 v[80:81], 2, v[78:79]
	s_cbranch_vccnz .LBB71_94
; %bb.93:
	s_delay_alu instid0(VALU_DEP_1) | instskip(NEXT) | instid1(VALU_DEP_2)
	v_add_co_u32 v144, vcc_lo, v144, v80
	v_add_co_ci_u32_e32 v145, vcc_lo, v145, v81, vcc_lo
	flat_load_b32 v141, v[144:145]
	s_waitcnt vmcnt(0) lgkmcnt(0)
	v_mul_f32_e32 v141, s24, v141
	s_branch .LBB71_95
.LBB71_94:
	v_mov_b32_e32 v141, 0
.LBB71_95:
	v_dual_add_f32 v61, v1, v61 :: v_dual_add_f32 v60, v0, v60
	v_dual_add_f32 v63, v3, v63 :: v_dual_add_f32 v62, v2, v62
	s_delay_alu instid0(VALU_DEP_2) | instskip(NEXT) | instid1(VALU_DEP_2)
	v_min3_f32 v60, v60, v61, v140
	v_min_f32_e32 v61, v62, v63
	s_delay_alu instid0(VALU_DEP_1)
	v_min3_f32 v62, v141, v61, v60
	v_add_co_u32 v60, vcc_lo, v142, v80
	v_add_co_ci_u32_e32 v61, vcc_lo, v143, v81, vcc_lo
	global_store_b32 v[60:61], v62, off
.LBB71_96:
	s_or_b32 exec_lo, exec_lo, s8
	v_add_nc_u32_e32 v80, 32, v132
	s_delay_alu instid0(VALU_DEP_1) | instskip(SKIP_2) | instid1(VALU_DEP_3)
	v_mad_i64_i32 v[60:61], null, v80, s18, 0
	v_mad_i64_i32 v[62:63], null, v80, s9, 0
	v_cmp_gt_i32_e64 s8, s17, v80
	v_lshlrev_b64 v[60:61], 2, v[60:61]
	s_delay_alu instid0(VALU_DEP_2) | instskip(NEXT) | instid1(VALU_DEP_3)
	s_and_b32 s15, s0, s8
	v_lshlrev_b64 v[62:63], 2, v[62:63]
	s_delay_alu instid0(VALU_DEP_2) | instskip(NEXT) | instid1(VALU_DEP_3)
	v_add_co_u32 v80, vcc_lo, s12, v60
	v_add_co_ci_u32_e32 v81, vcc_lo, s13, v61, vcc_lo
	s_delay_alu instid0(VALU_DEP_3) | instskip(NEXT) | instid1(VALU_DEP_4)
	v_add_co_u32 v62, vcc_lo, s10, v62
	v_add_co_ci_u32_e32 v63, vcc_lo, s11, v63, vcc_lo
	s_and_saveexec_b32 s14, s15
	s_cbranch_execnz .LBB71_104
; %bb.97:
	s_or_b32 exec_lo, exec_lo, s14
	s_and_b32 s15, s1, s8
	s_delay_alu instid0(SALU_CYCLE_1)
	s_and_saveexec_b32 s14, s15
	s_cbranch_execnz .LBB71_108
.LBB71_98:
	s_or_b32 exec_lo, exec_lo, s14
	s_and_b32 s15, s2, s8
	s_delay_alu instid0(SALU_CYCLE_1)
	s_and_saveexec_b32 s14, s15
	s_cbranch_execnz .LBB71_112
.LBB71_99:
	s_or_b32 exec_lo, exec_lo, s14
	s_and_b32 s15, s3, s8
	s_delay_alu instid0(SALU_CYCLE_1)
	s_and_saveexec_b32 s14, s15
	s_cbranch_execnz .LBB71_116
.LBB71_100:
	s_or_b32 exec_lo, exec_lo, s14
	s_and_b32 s15, s4, s8
	s_delay_alu instid0(SALU_CYCLE_1)
	s_and_saveexec_b32 s14, s15
	s_cbranch_execnz .LBB71_120
.LBB71_101:
	s_or_b32 exec_lo, exec_lo, s14
	s_and_b32 s15, s5, s8
	s_delay_alu instid0(SALU_CYCLE_1)
	s_and_saveexec_b32 s14, s15
	s_cbranch_execnz .LBB71_124
.LBB71_102:
	s_or_b32 exec_lo, exec_lo, s14
	s_and_b32 s15, s6, s8
	s_delay_alu instid0(SALU_CYCLE_1)
	s_and_saveexec_b32 s14, s15
	s_cbranch_execnz .LBB71_128
.LBB71_103:
	s_or_b32 exec_lo, exec_lo, s14
	s_and_b32 s14, s7, s8
	s_delay_alu instid0(SALU_CYCLE_1)
	s_and_saveexec_b32 s8, s14
	s_cbranch_execnz .LBB71_132
	s_branch .LBB71_136
.LBB71_104:
	v_cmp_ne_u32_e32 vcc_lo, 1, v121
	v_lshlrev_b64 v[60:61], 2, v[64:65]
	s_cbranch_vccnz .LBB71_106
; %bb.105:
	s_delay_alu instid0(VALU_DEP_1) | instskip(NEXT) | instid1(VALU_DEP_2)
	v_add_co_u32 v140, vcc_lo, v80, v60
	v_add_co_ci_u32_e32 v141, vcc_lo, v81, v61, vcc_lo
	flat_load_b32 v140, v[140:141]
	s_waitcnt vmcnt(0) lgkmcnt(0)
	v_mul_f32_e32 v140, s24, v140
	s_branch .LBB71_107
.LBB71_106:
	v_mov_b32_e32 v140, 0
.LBB71_107:
	v_dual_add_f32 v141, v33, v57 :: v_dual_add_f32 v142, v32, v56
	v_dual_add_f32 v143, v35, v59 :: v_dual_add_f32 v144, v34, v58
	s_delay_alu instid0(VALU_DEP_4) | instskip(NEXT) | instid1(VALU_DEP_3)
	v_add_co_u32 v60, vcc_lo, v62, v60
	v_min3_f32 v139, v142, v141, v139
	v_add_co_ci_u32_e32 v61, vcc_lo, v63, v61, vcc_lo
	s_delay_alu instid0(VALU_DEP_4) | instskip(NEXT) | instid1(VALU_DEP_1)
	v_min_f32_e32 v141, v144, v143
	v_min3_f32 v139, v140, v141, v139
	global_store_b32 v[60:61], v139, off
	s_or_b32 exec_lo, exec_lo, s14
	s_and_b32 s15, s1, s8
	s_delay_alu instid0(SALU_CYCLE_1)
	s_and_saveexec_b32 s14, s15
	s_cbranch_execz .LBB71_98
.LBB71_108:
	v_cmp_ne_u32_e32 vcc_lo, 1, v121
	v_lshlrev_b64 v[60:61], 2, v[66:67]
	s_cbranch_vccnz .LBB71_110
; %bb.109:
	s_delay_alu instid0(VALU_DEP_1) | instskip(NEXT) | instid1(VALU_DEP_2)
	v_add_co_u32 v139, vcc_lo, v80, v60
	v_add_co_ci_u32_e32 v140, vcc_lo, v81, v61, vcc_lo
	flat_load_b32 v139, v[139:140]
	s_waitcnt vmcnt(0) lgkmcnt(0)
	v_mul_f32_e32 v139, s24, v139
	s_branch .LBB71_111
.LBB71_110:
	v_mov_b32_e32 v139, 0
.LBB71_111:
	v_dual_add_f32 v140, v29, v57 :: v_dual_add_f32 v141, v28, v56
	v_dual_add_f32 v142, v31, v59 :: v_dual_add_f32 v143, v30, v58
	s_delay_alu instid0(VALU_DEP_4) | instskip(NEXT) | instid1(VALU_DEP_3)
	v_add_co_u32 v60, vcc_lo, v62, v60
	v_min3_f32 v138, v141, v140, v138
	v_add_co_ci_u32_e32 v61, vcc_lo, v63, v61, vcc_lo
	s_delay_alu instid0(VALU_DEP_4) | instskip(NEXT) | instid1(VALU_DEP_1)
	v_min_f32_e32 v140, v143, v142
	v_min3_f32 v138, v139, v140, v138
	global_store_b32 v[60:61], v138, off
	s_or_b32 exec_lo, exec_lo, s14
	s_and_b32 s15, s2, s8
	s_delay_alu instid0(SALU_CYCLE_1)
	s_and_saveexec_b32 s14, s15
	s_cbranch_execz .LBB71_99
.LBB71_112:
	v_cmp_ne_u32_e32 vcc_lo, 1, v121
	v_lshlrev_b64 v[60:61], 2, v[68:69]
	s_cbranch_vccnz .LBB71_114
; %bb.113:
	s_delay_alu instid0(VALU_DEP_1) | instskip(NEXT) | instid1(VALU_DEP_2)
	v_add_co_u32 v138, vcc_lo, v80, v60
	v_add_co_ci_u32_e32 v139, vcc_lo, v81, v61, vcc_lo
	flat_load_b32 v138, v[138:139]
	s_waitcnt vmcnt(0) lgkmcnt(0)
	v_mul_f32_e32 v138, s24, v138
	s_branch .LBB71_115
.LBB71_114:
	v_mov_b32_e32 v138, 0
.LBB71_115:
	v_dual_add_f32 v139, v25, v57 :: v_dual_add_f32 v140, v24, v56
	v_dual_add_f32 v141, v27, v59 :: v_dual_add_f32 v142, v26, v58
	s_delay_alu instid0(VALU_DEP_4) | instskip(NEXT) | instid1(VALU_DEP_3)
	v_add_co_u32 v60, vcc_lo, v62, v60
	v_min3_f32 v137, v140, v139, v137
	v_add_co_ci_u32_e32 v61, vcc_lo, v63, v61, vcc_lo
	s_delay_alu instid0(VALU_DEP_4) | instskip(NEXT) | instid1(VALU_DEP_1)
	v_min_f32_e32 v139, v142, v141
	v_min3_f32 v137, v138, v139, v137
	global_store_b32 v[60:61], v137, off
	s_or_b32 exec_lo, exec_lo, s14
	s_and_b32 s15, s3, s8
	s_delay_alu instid0(SALU_CYCLE_1)
	s_and_saveexec_b32 s14, s15
	s_cbranch_execz .LBB71_100
.LBB71_116:
	v_cmp_ne_u32_e32 vcc_lo, 1, v121
	v_lshlrev_b64 v[60:61], 2, v[70:71]
	s_cbranch_vccnz .LBB71_118
; %bb.117:
	s_delay_alu instid0(VALU_DEP_1) | instskip(NEXT) | instid1(VALU_DEP_2)
	v_add_co_u32 v137, vcc_lo, v80, v60
	v_add_co_ci_u32_e32 v138, vcc_lo, v81, v61, vcc_lo
	flat_load_b32 v137, v[137:138]
	s_waitcnt vmcnt(0) lgkmcnt(0)
	v_mul_f32_e32 v137, s24, v137
	s_branch .LBB71_119
.LBB71_118:
	v_mov_b32_e32 v137, 0
.LBB71_119:
	v_dual_add_f32 v138, v21, v57 :: v_dual_add_f32 v139, v20, v56
	v_dual_add_f32 v140, v23, v59 :: v_dual_add_f32 v141, v22, v58
	s_delay_alu instid0(VALU_DEP_4) | instskip(NEXT) | instid1(VALU_DEP_3)
	v_add_co_u32 v60, vcc_lo, v62, v60
	v_min3_f32 v136, v139, v138, v136
	v_add_co_ci_u32_e32 v61, vcc_lo, v63, v61, vcc_lo
	s_delay_alu instid0(VALU_DEP_4) | instskip(NEXT) | instid1(VALU_DEP_1)
	v_min_f32_e32 v138, v141, v140
	v_min3_f32 v136, v137, v138, v136
	global_store_b32 v[60:61], v136, off
	s_or_b32 exec_lo, exec_lo, s14
	s_and_b32 s15, s4, s8
	s_delay_alu instid0(SALU_CYCLE_1)
	s_and_saveexec_b32 s14, s15
	s_cbranch_execz .LBB71_101
.LBB71_120:
	v_cmp_ne_u32_e32 vcc_lo, 1, v121
	v_lshlrev_b64 v[60:61], 2, v[72:73]
	s_cbranch_vccnz .LBB71_122
; %bb.121:
	s_delay_alu instid0(VALU_DEP_1) | instskip(NEXT) | instid1(VALU_DEP_2)
	v_add_co_u32 v136, vcc_lo, v80, v60
	v_add_co_ci_u32_e32 v137, vcc_lo, v81, v61, vcc_lo
	flat_load_b32 v136, v[136:137]
	s_waitcnt vmcnt(0) lgkmcnt(0)
	v_mul_f32_e32 v136, s24, v136
	s_branch .LBB71_123
.LBB71_122:
	v_mov_b32_e32 v136, 0
.LBB71_123:
	v_dual_add_f32 v137, v17, v57 :: v_dual_add_f32 v138, v16, v56
	v_dual_add_f32 v139, v19, v59 :: v_dual_add_f32 v140, v18, v58
	s_delay_alu instid0(VALU_DEP_4) | instskip(NEXT) | instid1(VALU_DEP_3)
	v_add_co_u32 v60, vcc_lo, v62, v60
	v_min3_f32 v135, v138, v137, v135
	v_add_co_ci_u32_e32 v61, vcc_lo, v63, v61, vcc_lo
	s_delay_alu instid0(VALU_DEP_4) | instskip(NEXT) | instid1(VALU_DEP_1)
	v_min_f32_e32 v137, v140, v139
	v_min3_f32 v135, v136, v137, v135
	global_store_b32 v[60:61], v135, off
	s_or_b32 exec_lo, exec_lo, s14
	s_and_b32 s15, s5, s8
	s_delay_alu instid0(SALU_CYCLE_1)
	s_and_saveexec_b32 s14, s15
	s_cbranch_execz .LBB71_102
.LBB71_124:
	v_cmp_ne_u32_e32 vcc_lo, 1, v121
	v_lshlrev_b64 v[60:61], 2, v[74:75]
	s_cbranch_vccnz .LBB71_126
; %bb.125:
	s_delay_alu instid0(VALU_DEP_1) | instskip(NEXT) | instid1(VALU_DEP_2)
	v_add_co_u32 v135, vcc_lo, v80, v60
	v_add_co_ci_u32_e32 v136, vcc_lo, v81, v61, vcc_lo
	flat_load_b32 v135, v[135:136]
	s_waitcnt vmcnt(0) lgkmcnt(0)
	v_mul_f32_e32 v135, s24, v135
	s_branch .LBB71_127
.LBB71_126:
	v_mov_b32_e32 v135, 0
.LBB71_127:
	v_dual_add_f32 v136, v13, v57 :: v_dual_add_f32 v137, v12, v56
	v_dual_add_f32 v138, v15, v59 :: v_dual_add_f32 v139, v14, v58
	s_delay_alu instid0(VALU_DEP_4) | instskip(NEXT) | instid1(VALU_DEP_3)
	v_add_co_u32 v60, vcc_lo, v62, v60
	v_min3_f32 v134, v137, v136, v134
	v_add_co_ci_u32_e32 v61, vcc_lo, v63, v61, vcc_lo
	s_delay_alu instid0(VALU_DEP_4) | instskip(NEXT) | instid1(VALU_DEP_1)
	v_min_f32_e32 v136, v139, v138
	v_min3_f32 v134, v135, v136, v134
	global_store_b32 v[60:61], v134, off
	s_or_b32 exec_lo, exec_lo, s14
	s_and_b32 s15, s6, s8
	s_delay_alu instid0(SALU_CYCLE_1)
	s_and_saveexec_b32 s14, s15
	s_cbranch_execz .LBB71_103
.LBB71_128:
	v_cmp_ne_u32_e32 vcc_lo, 1, v121
	v_lshlrev_b64 v[60:61], 2, v[76:77]
	s_cbranch_vccnz .LBB71_130
; %bb.129:
	s_delay_alu instid0(VALU_DEP_1) | instskip(NEXT) | instid1(VALU_DEP_2)
	v_add_co_u32 v134, vcc_lo, v80, v60
	v_add_co_ci_u32_e32 v135, vcc_lo, v81, v61, vcc_lo
	flat_load_b32 v134, v[134:135]
	s_waitcnt vmcnt(0) lgkmcnt(0)
	v_mul_f32_e32 v134, s24, v134
	s_branch .LBB71_131
.LBB71_130:
	v_mov_b32_e32 v134, 0
.LBB71_131:
	v_dual_add_f32 v135, v9, v57 :: v_dual_add_f32 v136, v8, v56
	v_dual_add_f32 v137, v11, v59 :: v_dual_add_f32 v138, v10, v58
	s_delay_alu instid0(VALU_DEP_4) | instskip(NEXT) | instid1(VALU_DEP_3)
	v_add_co_u32 v60, vcc_lo, v62, v60
	v_min3_f32 v133, v136, v135, v133
	v_add_co_ci_u32_e32 v61, vcc_lo, v63, v61, vcc_lo
	s_delay_alu instid0(VALU_DEP_4) | instskip(NEXT) | instid1(VALU_DEP_1)
	v_min_f32_e32 v135, v138, v137
	v_min3_f32 v133, v134, v135, v133
	global_store_b32 v[60:61], v133, off
	s_or_b32 exec_lo, exec_lo, s14
	s_and_b32 s14, s7, s8
	s_delay_alu instid0(SALU_CYCLE_1)
	s_and_saveexec_b32 s8, s14
	s_cbranch_execz .LBB71_136
.LBB71_132:
	v_cmp_ne_u32_e32 vcc_lo, 1, v121
	v_lshlrev_b64 v[60:61], 2, v[78:79]
	s_cbranch_vccnz .LBB71_134
; %bb.133:
	s_delay_alu instid0(VALU_DEP_1) | instskip(NEXT) | instid1(VALU_DEP_2)
	v_add_co_u32 v80, vcc_lo, v80, v60
	v_add_co_ci_u32_e32 v81, vcc_lo, v81, v61, vcc_lo
	flat_load_b32 v80, v[80:81]
	s_waitcnt vmcnt(0) lgkmcnt(0)
	v_mul_f32_e32 v80, s24, v80
	s_branch .LBB71_135
.LBB71_134:
	v_mov_b32_e32 v80, 0
.LBB71_135:
	v_dual_add_f32 v57, v1, v57 :: v_dual_add_f32 v56, v0, v56
	v_dual_add_f32 v59, v3, v59 :: v_dual_add_f32 v58, v2, v58
	s_delay_alu instid0(VALU_DEP_2) | instskip(NEXT) | instid1(VALU_DEP_2)
	v_min3_f32 v56, v56, v57, v131
	v_min_f32_e32 v57, v58, v59
	s_delay_alu instid0(VALU_DEP_1)
	v_min3_f32 v58, v80, v57, v56
	v_add_co_u32 v56, vcc_lo, v62, v60
	v_add_co_ci_u32_e32 v57, vcc_lo, v63, v61, vcc_lo
	global_store_b32 v[56:57], v58, off
.LBB71_136:
	s_or_b32 exec_lo, exec_lo, s8
	v_add_nc_u32_e32 v60, 64, v132
	s_delay_alu instid0(VALU_DEP_1) | instskip(SKIP_2) | instid1(VALU_DEP_3)
	v_mad_i64_i32 v[56:57], null, v60, s18, 0
	v_mad_i64_i32 v[58:59], null, v60, s9, 0
	v_cmp_gt_i32_e64 s8, s17, v60
	v_lshlrev_b64 v[56:57], 2, v[56:57]
	s_delay_alu instid0(VALU_DEP_2) | instskip(NEXT) | instid1(VALU_DEP_3)
	s_and_b32 s15, s0, s8
	v_lshlrev_b64 v[58:59], 2, v[58:59]
	s_delay_alu instid0(VALU_DEP_2) | instskip(NEXT) | instid1(VALU_DEP_3)
	v_add_co_u32 v60, vcc_lo, s12, v56
	v_add_co_ci_u32_e32 v61, vcc_lo, s13, v57, vcc_lo
	s_delay_alu instid0(VALU_DEP_3) | instskip(NEXT) | instid1(VALU_DEP_4)
	v_add_co_u32 v58, vcc_lo, s10, v58
	v_add_co_ci_u32_e32 v59, vcc_lo, s11, v59, vcc_lo
	s_and_saveexec_b32 s14, s15
	s_cbranch_execnz .LBB71_144
; %bb.137:
	s_or_b32 exec_lo, exec_lo, s14
	s_and_b32 s15, s1, s8
	s_delay_alu instid0(SALU_CYCLE_1)
	s_and_saveexec_b32 s14, s15
	s_cbranch_execnz .LBB71_148
.LBB71_138:
	s_or_b32 exec_lo, exec_lo, s14
	s_and_b32 s15, s2, s8
	s_delay_alu instid0(SALU_CYCLE_1)
	s_and_saveexec_b32 s14, s15
	s_cbranch_execnz .LBB71_152
.LBB71_139:
	s_or_b32 exec_lo, exec_lo, s14
	s_and_b32 s15, s3, s8
	s_delay_alu instid0(SALU_CYCLE_1)
	s_and_saveexec_b32 s14, s15
	s_cbranch_execnz .LBB71_156
.LBB71_140:
	s_or_b32 exec_lo, exec_lo, s14
	s_and_b32 s15, s4, s8
	s_delay_alu instid0(SALU_CYCLE_1)
	s_and_saveexec_b32 s14, s15
	s_cbranch_execnz .LBB71_160
.LBB71_141:
	s_or_b32 exec_lo, exec_lo, s14
	s_and_b32 s15, s5, s8
	s_delay_alu instid0(SALU_CYCLE_1)
	s_and_saveexec_b32 s14, s15
	s_cbranch_execnz .LBB71_164
.LBB71_142:
	s_or_b32 exec_lo, exec_lo, s14
	s_and_b32 s15, s6, s8
	s_delay_alu instid0(SALU_CYCLE_1)
	s_and_saveexec_b32 s14, s15
	s_cbranch_execnz .LBB71_168
.LBB71_143:
	s_or_b32 exec_lo, exec_lo, s14
	s_and_b32 s14, s7, s8
	s_delay_alu instid0(SALU_CYCLE_1)
	s_and_saveexec_b32 s8, s14
	s_cbranch_execnz .LBB71_172
	s_branch .LBB71_176
.LBB71_144:
	v_cmp_ne_u32_e32 vcc_lo, 1, v121
	v_lshlrev_b64 v[56:57], 2, v[64:65]
	s_cbranch_vccnz .LBB71_146
; %bb.145:
	s_delay_alu instid0(VALU_DEP_1) | instskip(NEXT) | instid1(VALU_DEP_2)
	v_add_co_u32 v62, vcc_lo, v60, v56
	v_add_co_ci_u32_e32 v63, vcc_lo, v61, v57, vcc_lo
	flat_load_b32 v62, v[62:63]
	s_waitcnt vmcnt(0) lgkmcnt(0)
	v_mul_f32_e32 v62, s24, v62
	s_branch .LBB71_147
.LBB71_146:
	v_mov_b32_e32 v62, 0
.LBB71_147:
	v_dual_add_f32 v63, v33, v53 :: v_dual_add_f32 v80, v32, v52
	v_add_f32_e32 v81, v35, v55
	v_add_f32_e32 v131, v34, v54
	v_add_co_u32 v56, vcc_lo, v58, v56
	s_delay_alu instid0(VALU_DEP_4) | instskip(SKIP_1) | instid1(VALU_DEP_4)
	v_min3_f32 v63, v80, v63, v130
	v_add_co_ci_u32_e32 v57, vcc_lo, v59, v57, vcc_lo
	v_min_f32_e32 v80, v131, v81
	s_delay_alu instid0(VALU_DEP_1) | instskip(SKIP_3) | instid1(SALU_CYCLE_1)
	v_min3_f32 v62, v62, v80, v63
	global_store_b32 v[56:57], v62, off
	s_or_b32 exec_lo, exec_lo, s14
	s_and_b32 s15, s1, s8
	s_and_saveexec_b32 s14, s15
	s_cbranch_execz .LBB71_138
.LBB71_148:
	v_cmp_ne_u32_e32 vcc_lo, 1, v121
	v_lshlrev_b64 v[56:57], 2, v[66:67]
	s_cbranch_vccnz .LBB71_150
; %bb.149:
	s_delay_alu instid0(VALU_DEP_1) | instskip(NEXT) | instid1(VALU_DEP_2)
	v_add_co_u32 v62, vcc_lo, v60, v56
	v_add_co_ci_u32_e32 v63, vcc_lo, v61, v57, vcc_lo
	flat_load_b32 v62, v[62:63]
	s_waitcnt vmcnt(0) lgkmcnt(0)
	v_mul_f32_e32 v62, s24, v62
	s_branch .LBB71_151
.LBB71_150:
	v_mov_b32_e32 v62, 0
.LBB71_151:
	v_dual_add_f32 v63, v29, v53 :: v_dual_add_f32 v80, v28, v52
	v_dual_add_f32 v81, v31, v55 :: v_dual_add_f32 v130, v30, v54
	s_delay_alu instid0(VALU_DEP_4) | instskip(NEXT) | instid1(VALU_DEP_3)
	v_add_co_u32 v56, vcc_lo, v58, v56
	v_min3_f32 v63, v80, v63, v129
	v_add_co_ci_u32_e32 v57, vcc_lo, v59, v57, vcc_lo
	s_delay_alu instid0(VALU_DEP_4) | instskip(NEXT) | instid1(VALU_DEP_1)
	v_min_f32_e32 v80, v130, v81
	v_min3_f32 v62, v62, v80, v63
	global_store_b32 v[56:57], v62, off
	s_or_b32 exec_lo, exec_lo, s14
	s_and_b32 s15, s2, s8
	s_delay_alu instid0(SALU_CYCLE_1)
	s_and_saveexec_b32 s14, s15
	s_cbranch_execz .LBB71_139
.LBB71_152:
	v_cmp_ne_u32_e32 vcc_lo, 1, v121
	v_lshlrev_b64 v[56:57], 2, v[68:69]
	s_cbranch_vccnz .LBB71_154
; %bb.153:
	s_delay_alu instid0(VALU_DEP_1) | instskip(NEXT) | instid1(VALU_DEP_2)
	v_add_co_u32 v62, vcc_lo, v60, v56
	v_add_co_ci_u32_e32 v63, vcc_lo, v61, v57, vcc_lo
	flat_load_b32 v62, v[62:63]
	s_waitcnt vmcnt(0) lgkmcnt(0)
	v_mul_f32_e32 v62, s24, v62
	s_branch .LBB71_155
.LBB71_154:
	v_mov_b32_e32 v62, 0
.LBB71_155:
	v_dual_add_f32 v63, v25, v53 :: v_dual_add_f32 v80, v24, v52
	v_add_f32_e32 v81, v27, v55
	v_add_f32_e32 v129, v26, v54
	v_add_co_u32 v56, vcc_lo, v58, v56
	s_delay_alu instid0(VALU_DEP_4) | instskip(SKIP_1) | instid1(VALU_DEP_4)
	v_min3_f32 v63, v80, v63, v128
	v_add_co_ci_u32_e32 v57, vcc_lo, v59, v57, vcc_lo
	v_min_f32_e32 v80, v129, v81
	s_delay_alu instid0(VALU_DEP_1) | instskip(SKIP_3) | instid1(SALU_CYCLE_1)
	v_min3_f32 v62, v62, v80, v63
	global_store_b32 v[56:57], v62, off
	s_or_b32 exec_lo, exec_lo, s14
	s_and_b32 s15, s3, s8
	s_and_saveexec_b32 s14, s15
	s_cbranch_execz .LBB71_140
.LBB71_156:
	v_cmp_ne_u32_e32 vcc_lo, 1, v121
	v_lshlrev_b64 v[56:57], 2, v[70:71]
	s_cbranch_vccnz .LBB71_158
; %bb.157:
	s_delay_alu instid0(VALU_DEP_1) | instskip(NEXT) | instid1(VALU_DEP_2)
	v_add_co_u32 v62, vcc_lo, v60, v56
	v_add_co_ci_u32_e32 v63, vcc_lo, v61, v57, vcc_lo
	flat_load_b32 v62, v[62:63]
	s_waitcnt vmcnt(0) lgkmcnt(0)
	v_mul_f32_e32 v62, s24, v62
	s_branch .LBB71_159
.LBB71_158:
	v_mov_b32_e32 v62, 0
.LBB71_159:
	v_dual_add_f32 v63, v21, v53 :: v_dual_add_f32 v80, v20, v52
	v_dual_add_f32 v81, v23, v55 :: v_dual_add_f32 v128, v22, v54
	s_delay_alu instid0(VALU_DEP_4) | instskip(NEXT) | instid1(VALU_DEP_3)
	v_add_co_u32 v56, vcc_lo, v58, v56
	v_min3_f32 v63, v80, v63, v127
	v_add_co_ci_u32_e32 v57, vcc_lo, v59, v57, vcc_lo
	s_delay_alu instid0(VALU_DEP_4) | instskip(NEXT) | instid1(VALU_DEP_1)
	v_min_f32_e32 v80, v128, v81
	v_min3_f32 v62, v62, v80, v63
	global_store_b32 v[56:57], v62, off
	s_or_b32 exec_lo, exec_lo, s14
	s_and_b32 s15, s4, s8
	s_delay_alu instid0(SALU_CYCLE_1)
	s_and_saveexec_b32 s14, s15
	s_cbranch_execz .LBB71_141
.LBB71_160:
	v_cmp_ne_u32_e32 vcc_lo, 1, v121
	v_lshlrev_b64 v[56:57], 2, v[72:73]
	s_cbranch_vccnz .LBB71_162
; %bb.161:
	s_delay_alu instid0(VALU_DEP_1) | instskip(NEXT) | instid1(VALU_DEP_2)
	v_add_co_u32 v62, vcc_lo, v60, v56
	v_add_co_ci_u32_e32 v63, vcc_lo, v61, v57, vcc_lo
	flat_load_b32 v62, v[62:63]
	s_waitcnt vmcnt(0) lgkmcnt(0)
	v_mul_f32_e32 v62, s24, v62
	s_branch .LBB71_163
.LBB71_162:
	v_mov_b32_e32 v62, 0
.LBB71_163:
	v_dual_add_f32 v63, v17, v53 :: v_dual_add_f32 v80, v16, v52
	v_add_f32_e32 v81, v19, v55
	v_add_f32_e32 v127, v18, v54
	v_add_co_u32 v56, vcc_lo, v58, v56
	s_delay_alu instid0(VALU_DEP_4) | instskip(SKIP_1) | instid1(VALU_DEP_4)
	v_min3_f32 v63, v80, v63, v126
	v_add_co_ci_u32_e32 v57, vcc_lo, v59, v57, vcc_lo
	v_min_f32_e32 v80, v127, v81
	s_delay_alu instid0(VALU_DEP_1) | instskip(SKIP_3) | instid1(SALU_CYCLE_1)
	v_min3_f32 v62, v62, v80, v63
	global_store_b32 v[56:57], v62, off
	s_or_b32 exec_lo, exec_lo, s14
	s_and_b32 s15, s5, s8
	s_and_saveexec_b32 s14, s15
	s_cbranch_execz .LBB71_142
.LBB71_164:
	v_cmp_ne_u32_e32 vcc_lo, 1, v121
	v_lshlrev_b64 v[56:57], 2, v[74:75]
	s_cbranch_vccnz .LBB71_166
; %bb.165:
	s_delay_alu instid0(VALU_DEP_1) | instskip(NEXT) | instid1(VALU_DEP_2)
	v_add_co_u32 v62, vcc_lo, v60, v56
	v_add_co_ci_u32_e32 v63, vcc_lo, v61, v57, vcc_lo
	flat_load_b32 v62, v[62:63]
	s_waitcnt vmcnt(0) lgkmcnt(0)
	v_mul_f32_e32 v62, s24, v62
	s_branch .LBB71_167
.LBB71_166:
	v_mov_b32_e32 v62, 0
.LBB71_167:
	v_dual_add_f32 v63, v13, v53 :: v_dual_add_f32 v80, v12, v52
	v_dual_add_f32 v81, v15, v55 :: v_dual_add_f32 v126, v14, v54
	s_delay_alu instid0(VALU_DEP_4) | instskip(NEXT) | instid1(VALU_DEP_3)
	v_add_co_u32 v56, vcc_lo, v58, v56
	v_min3_f32 v63, v80, v63, v125
	v_add_co_ci_u32_e32 v57, vcc_lo, v59, v57, vcc_lo
	s_delay_alu instid0(VALU_DEP_4) | instskip(NEXT) | instid1(VALU_DEP_1)
	v_min_f32_e32 v80, v126, v81
	v_min3_f32 v62, v62, v80, v63
	global_store_b32 v[56:57], v62, off
	s_or_b32 exec_lo, exec_lo, s14
	s_and_b32 s15, s6, s8
	s_delay_alu instid0(SALU_CYCLE_1)
	s_and_saveexec_b32 s14, s15
	s_cbranch_execz .LBB71_143
.LBB71_168:
	v_cmp_ne_u32_e32 vcc_lo, 1, v121
	v_lshlrev_b64 v[56:57], 2, v[76:77]
	s_cbranch_vccnz .LBB71_170
; %bb.169:
	s_delay_alu instid0(VALU_DEP_1) | instskip(NEXT) | instid1(VALU_DEP_2)
	v_add_co_u32 v62, vcc_lo, v60, v56
	v_add_co_ci_u32_e32 v63, vcc_lo, v61, v57, vcc_lo
	flat_load_b32 v62, v[62:63]
	s_waitcnt vmcnt(0) lgkmcnt(0)
	v_mul_f32_e32 v62, s24, v62
	s_branch .LBB71_171
.LBB71_170:
	v_mov_b32_e32 v62, 0
.LBB71_171:
	v_dual_add_f32 v63, v9, v53 :: v_dual_add_f32 v80, v8, v52
	v_add_f32_e32 v81, v11, v55
	v_add_f32_e32 v125, v10, v54
	v_add_co_u32 v56, vcc_lo, v58, v56
	s_delay_alu instid0(VALU_DEP_4) | instskip(SKIP_1) | instid1(VALU_DEP_4)
	v_min3_f32 v63, v80, v63, v124
	v_add_co_ci_u32_e32 v57, vcc_lo, v59, v57, vcc_lo
	v_min_f32_e32 v80, v125, v81
	s_delay_alu instid0(VALU_DEP_1) | instskip(SKIP_3) | instid1(SALU_CYCLE_1)
	v_min3_f32 v62, v62, v80, v63
	global_store_b32 v[56:57], v62, off
	s_or_b32 exec_lo, exec_lo, s14
	s_and_b32 s14, s7, s8
	s_and_saveexec_b32 s8, s14
	s_cbranch_execz .LBB71_176
.LBB71_172:
	v_cmp_ne_u32_e32 vcc_lo, 1, v121
	v_lshlrev_b64 v[56:57], 2, v[78:79]
	s_cbranch_vccnz .LBB71_174
; %bb.173:
	s_delay_alu instid0(VALU_DEP_1) | instskip(NEXT) | instid1(VALU_DEP_2)
	v_add_co_u32 v60, vcc_lo, v60, v56
	v_add_co_ci_u32_e32 v61, vcc_lo, v61, v57, vcc_lo
	flat_load_b32 v60, v[60:61]
	s_waitcnt vmcnt(0) lgkmcnt(0)
	v_mul_f32_e32 v60, s24, v60
	s_branch .LBB71_175
.LBB71_174:
	v_mov_b32_e32 v60, 0
.LBB71_175:
	v_dual_add_f32 v53, v1, v53 :: v_dual_add_f32 v52, v0, v52
	v_dual_add_f32 v55, v3, v55 :: v_dual_add_f32 v54, v2, v54
	s_delay_alu instid0(VALU_DEP_2) | instskip(NEXT) | instid1(VALU_DEP_2)
	v_min3_f32 v52, v52, v53, v122
	v_min_f32_e32 v53, v54, v55
	s_delay_alu instid0(VALU_DEP_1)
	v_min3_f32 v54, v60, v53, v52
	v_add_co_u32 v52, vcc_lo, v58, v56
	v_add_co_ci_u32_e32 v53, vcc_lo, v59, v57, vcc_lo
	global_store_b32 v[52:53], v54, off
.LBB71_176:
	s_or_b32 exec_lo, exec_lo, s8
	v_add_nc_u32_e32 v56, 0x60, v132
	s_delay_alu instid0(VALU_DEP_1) | instskip(SKIP_2) | instid1(VALU_DEP_3)
	v_mad_i64_i32 v[52:53], null, v56, s18, 0
	v_mad_i64_i32 v[54:55], null, v56, s9, 0
	v_cmp_gt_i32_e64 s8, s17, v56
	v_lshlrev_b64 v[52:53], 2, v[52:53]
	s_delay_alu instid0(VALU_DEP_2) | instskip(NEXT) | instid1(VALU_DEP_3)
	s_and_b32 s15, s0, s8
	v_lshlrev_b64 v[54:55], 2, v[54:55]
	s_delay_alu instid0(VALU_DEP_2) | instskip(NEXT) | instid1(VALU_DEP_3)
	v_add_co_u32 v56, vcc_lo, s12, v52
	v_add_co_ci_u32_e32 v57, vcc_lo, s13, v53, vcc_lo
	s_delay_alu instid0(VALU_DEP_3) | instskip(NEXT) | instid1(VALU_DEP_4)
	v_add_co_u32 v54, vcc_lo, s10, v54
	v_add_co_ci_u32_e32 v55, vcc_lo, s11, v55, vcc_lo
	s_and_saveexec_b32 s14, s15
	s_cbranch_execnz .LBB71_184
; %bb.177:
	s_or_b32 exec_lo, exec_lo, s14
	s_and_b32 s15, s1, s8
	s_delay_alu instid0(SALU_CYCLE_1)
	s_and_saveexec_b32 s14, s15
	s_cbranch_execnz .LBB71_188
.LBB71_178:
	s_or_b32 exec_lo, exec_lo, s14
	s_and_b32 s15, s2, s8
	s_delay_alu instid0(SALU_CYCLE_1)
	s_and_saveexec_b32 s14, s15
	s_cbranch_execnz .LBB71_192
.LBB71_179:
	s_or_b32 exec_lo, exec_lo, s14
	s_and_b32 s15, s3, s8
	s_delay_alu instid0(SALU_CYCLE_1)
	s_and_saveexec_b32 s14, s15
	s_cbranch_execnz .LBB71_196
.LBB71_180:
	s_or_b32 exec_lo, exec_lo, s14
	s_and_b32 s15, s4, s8
	s_delay_alu instid0(SALU_CYCLE_1)
	s_and_saveexec_b32 s14, s15
	s_cbranch_execnz .LBB71_200
.LBB71_181:
	s_or_b32 exec_lo, exec_lo, s14
	s_and_b32 s15, s5, s8
	s_delay_alu instid0(SALU_CYCLE_1)
	s_and_saveexec_b32 s14, s15
	s_cbranch_execnz .LBB71_204
.LBB71_182:
	s_or_b32 exec_lo, exec_lo, s14
	s_and_b32 s15, s6, s8
	s_delay_alu instid0(SALU_CYCLE_1)
	s_and_saveexec_b32 s14, s15
	s_cbranch_execnz .LBB71_208
.LBB71_183:
	s_or_b32 exec_lo, exec_lo, s14
	s_and_b32 s14, s7, s8
	s_delay_alu instid0(SALU_CYCLE_1)
	s_and_saveexec_b32 s8, s14
	s_cbranch_execnz .LBB71_212
	s_branch .LBB71_216
.LBB71_184:
	v_cmp_ne_u32_e32 vcc_lo, 1, v121
	v_lshlrev_b64 v[52:53], 2, v[64:65]
	s_cbranch_vccnz .LBB71_186
; %bb.185:
	s_delay_alu instid0(VALU_DEP_1) | instskip(NEXT) | instid1(VALU_DEP_2)
	v_add_co_u32 v58, vcc_lo, v56, v52
	v_add_co_ci_u32_e32 v59, vcc_lo, v57, v53, vcc_lo
	flat_load_b32 v58, v[58:59]
	s_waitcnt vmcnt(0) lgkmcnt(0)
	v_mul_f32_e32 v58, s24, v58
	s_branch .LBB71_187
.LBB71_186:
	v_mov_b32_e32 v58, 0
.LBB71_187:
	v_dual_add_f32 v59, v33, v49 :: v_dual_add_f32 v60, v32, v48
	v_dual_add_f32 v61, v35, v51 :: v_dual_add_f32 v62, v34, v50
	s_delay_alu instid0(VALU_DEP_4) | instskip(NEXT) | instid1(VALU_DEP_3)
	v_add_co_u32 v52, vcc_lo, v54, v52
	v_min3_f32 v59, v60, v59, v123
	v_add_co_ci_u32_e32 v53, vcc_lo, v55, v53, vcc_lo
	s_delay_alu instid0(VALU_DEP_4) | instskip(NEXT) | instid1(VALU_DEP_1)
	v_min_f32_e32 v60, v62, v61
	v_min3_f32 v58, v58, v60, v59
	global_store_b32 v[52:53], v58, off
	s_or_b32 exec_lo, exec_lo, s14
	s_and_b32 s15, s1, s8
	s_delay_alu instid0(SALU_CYCLE_1)
	s_and_saveexec_b32 s14, s15
	s_cbranch_execz .LBB71_178
.LBB71_188:
	v_cmp_ne_u32_e32 vcc_lo, 1, v121
	v_lshlrev_b64 v[52:53], 2, v[66:67]
	s_cbranch_vccnz .LBB71_190
; %bb.189:
	s_delay_alu instid0(VALU_DEP_1) | instskip(NEXT) | instid1(VALU_DEP_2)
	v_add_co_u32 v58, vcc_lo, v56, v52
	v_add_co_ci_u32_e32 v59, vcc_lo, v57, v53, vcc_lo
	flat_load_b32 v58, v[58:59]
	s_waitcnt vmcnt(0) lgkmcnt(0)
	v_mul_f32_e32 v58, s24, v58
	s_branch .LBB71_191
.LBB71_190:
	v_mov_b32_e32 v58, 0
.LBB71_191:
	v_dual_add_f32 v59, v29, v49 :: v_dual_add_f32 v60, v28, v48
	v_dual_add_f32 v61, v31, v51 :: v_dual_add_f32 v62, v30, v50
	s_delay_alu instid0(VALU_DEP_4) | instskip(NEXT) | instid1(VALU_DEP_3)
	v_add_co_u32 v52, vcc_lo, v54, v52
	v_min3_f32 v59, v60, v59, v120
	v_add_co_ci_u32_e32 v53, vcc_lo, v55, v53, vcc_lo
	s_delay_alu instid0(VALU_DEP_4) | instskip(NEXT) | instid1(VALU_DEP_1)
	v_min_f32_e32 v60, v62, v61
	v_min3_f32 v58, v58, v60, v59
	global_store_b32 v[52:53], v58, off
	s_or_b32 exec_lo, exec_lo, s14
	s_and_b32 s15, s2, s8
	s_delay_alu instid0(SALU_CYCLE_1)
	s_and_saveexec_b32 s14, s15
	s_cbranch_execz .LBB71_179
.LBB71_192:
	v_cmp_ne_u32_e32 vcc_lo, 1, v121
	v_lshlrev_b64 v[52:53], 2, v[68:69]
	s_cbranch_vccnz .LBB71_194
; %bb.193:
	s_delay_alu instid0(VALU_DEP_1) | instskip(NEXT) | instid1(VALU_DEP_2)
	v_add_co_u32 v58, vcc_lo, v56, v52
	v_add_co_ci_u32_e32 v59, vcc_lo, v57, v53, vcc_lo
	flat_load_b32 v58, v[58:59]
	s_waitcnt vmcnt(0) lgkmcnt(0)
	v_mul_f32_e32 v58, s24, v58
	s_branch .LBB71_195
.LBB71_194:
	v_mov_b32_e32 v58, 0
.LBB71_195:
	v_dual_add_f32 v59, v25, v49 :: v_dual_add_f32 v60, v24, v48
	v_dual_add_f32 v61, v27, v51 :: v_dual_add_f32 v62, v26, v50
	s_delay_alu instid0(VALU_DEP_4) | instskip(NEXT) | instid1(VALU_DEP_3)
	v_add_co_u32 v52, vcc_lo, v54, v52
	v_min3_f32 v59, v60, v59, v119
	v_add_co_ci_u32_e32 v53, vcc_lo, v55, v53, vcc_lo
	s_delay_alu instid0(VALU_DEP_4) | instskip(NEXT) | instid1(VALU_DEP_1)
	v_min_f32_e32 v60, v62, v61
	v_min3_f32 v58, v58, v60, v59
	global_store_b32 v[52:53], v58, off
	s_or_b32 exec_lo, exec_lo, s14
	s_and_b32 s15, s3, s8
	s_delay_alu instid0(SALU_CYCLE_1)
	s_and_saveexec_b32 s14, s15
	s_cbranch_execz .LBB71_180
.LBB71_196:
	v_cmp_ne_u32_e32 vcc_lo, 1, v121
	v_lshlrev_b64 v[52:53], 2, v[70:71]
	s_cbranch_vccnz .LBB71_198
; %bb.197:
	s_delay_alu instid0(VALU_DEP_1) | instskip(NEXT) | instid1(VALU_DEP_2)
	v_add_co_u32 v58, vcc_lo, v56, v52
	v_add_co_ci_u32_e32 v59, vcc_lo, v57, v53, vcc_lo
	flat_load_b32 v58, v[58:59]
	s_waitcnt vmcnt(0) lgkmcnt(0)
	v_mul_f32_e32 v58, s24, v58
	s_branch .LBB71_199
.LBB71_198:
	v_mov_b32_e32 v58, 0
.LBB71_199:
	v_dual_add_f32 v59, v21, v49 :: v_dual_add_f32 v60, v20, v48
	v_dual_add_f32 v61, v23, v51 :: v_dual_add_f32 v62, v22, v50
	s_delay_alu instid0(VALU_DEP_4) | instskip(NEXT) | instid1(VALU_DEP_3)
	v_add_co_u32 v52, vcc_lo, v54, v52
	v_min3_f32 v59, v60, v59, v118
	v_add_co_ci_u32_e32 v53, vcc_lo, v55, v53, vcc_lo
	s_delay_alu instid0(VALU_DEP_4) | instskip(NEXT) | instid1(VALU_DEP_1)
	v_min_f32_e32 v60, v62, v61
	v_min3_f32 v58, v58, v60, v59
	global_store_b32 v[52:53], v58, off
	s_or_b32 exec_lo, exec_lo, s14
	s_and_b32 s15, s4, s8
	s_delay_alu instid0(SALU_CYCLE_1)
	s_and_saveexec_b32 s14, s15
	s_cbranch_execz .LBB71_181
.LBB71_200:
	v_cmp_ne_u32_e32 vcc_lo, 1, v121
	v_lshlrev_b64 v[52:53], 2, v[72:73]
	s_cbranch_vccnz .LBB71_202
; %bb.201:
	s_delay_alu instid0(VALU_DEP_1) | instskip(NEXT) | instid1(VALU_DEP_2)
	v_add_co_u32 v58, vcc_lo, v56, v52
	v_add_co_ci_u32_e32 v59, vcc_lo, v57, v53, vcc_lo
	flat_load_b32 v58, v[58:59]
	s_waitcnt vmcnt(0) lgkmcnt(0)
	v_mul_f32_e32 v58, s24, v58
	s_branch .LBB71_203
.LBB71_202:
	v_mov_b32_e32 v58, 0
.LBB71_203:
	v_dual_add_f32 v59, v17, v49 :: v_dual_add_f32 v60, v16, v48
	v_dual_add_f32 v61, v19, v51 :: v_dual_add_f32 v62, v18, v50
	s_delay_alu instid0(VALU_DEP_4) | instskip(NEXT) | instid1(VALU_DEP_3)
	v_add_co_u32 v52, vcc_lo, v54, v52
	v_min3_f32 v59, v60, v59, v117
	v_add_co_ci_u32_e32 v53, vcc_lo, v55, v53, vcc_lo
	s_delay_alu instid0(VALU_DEP_4) | instskip(NEXT) | instid1(VALU_DEP_1)
	v_min_f32_e32 v60, v62, v61
	v_min3_f32 v58, v58, v60, v59
	global_store_b32 v[52:53], v58, off
	s_or_b32 exec_lo, exec_lo, s14
	s_and_b32 s15, s5, s8
	s_delay_alu instid0(SALU_CYCLE_1)
	s_and_saveexec_b32 s14, s15
	s_cbranch_execz .LBB71_182
.LBB71_204:
	v_cmp_ne_u32_e32 vcc_lo, 1, v121
	v_lshlrev_b64 v[52:53], 2, v[74:75]
	s_cbranch_vccnz .LBB71_206
; %bb.205:
	s_delay_alu instid0(VALU_DEP_1) | instskip(NEXT) | instid1(VALU_DEP_2)
	v_add_co_u32 v58, vcc_lo, v56, v52
	v_add_co_ci_u32_e32 v59, vcc_lo, v57, v53, vcc_lo
	flat_load_b32 v58, v[58:59]
	s_waitcnt vmcnt(0) lgkmcnt(0)
	v_mul_f32_e32 v58, s24, v58
	s_branch .LBB71_207
.LBB71_206:
	v_mov_b32_e32 v58, 0
.LBB71_207:
	v_dual_add_f32 v59, v13, v49 :: v_dual_add_f32 v60, v12, v48
	v_dual_add_f32 v61, v15, v51 :: v_dual_add_f32 v62, v14, v50
	s_delay_alu instid0(VALU_DEP_4) | instskip(NEXT) | instid1(VALU_DEP_3)
	v_add_co_u32 v52, vcc_lo, v54, v52
	v_min3_f32 v59, v60, v59, v116
	v_add_co_ci_u32_e32 v53, vcc_lo, v55, v53, vcc_lo
	s_delay_alu instid0(VALU_DEP_4) | instskip(NEXT) | instid1(VALU_DEP_1)
	v_min_f32_e32 v60, v62, v61
	v_min3_f32 v58, v58, v60, v59
	global_store_b32 v[52:53], v58, off
	s_or_b32 exec_lo, exec_lo, s14
	s_and_b32 s15, s6, s8
	s_delay_alu instid0(SALU_CYCLE_1)
	s_and_saveexec_b32 s14, s15
	s_cbranch_execz .LBB71_183
.LBB71_208:
	v_cmp_ne_u32_e32 vcc_lo, 1, v121
	v_lshlrev_b64 v[52:53], 2, v[76:77]
	s_cbranch_vccnz .LBB71_210
; %bb.209:
	s_delay_alu instid0(VALU_DEP_1) | instskip(NEXT) | instid1(VALU_DEP_2)
	v_add_co_u32 v58, vcc_lo, v56, v52
	v_add_co_ci_u32_e32 v59, vcc_lo, v57, v53, vcc_lo
	flat_load_b32 v58, v[58:59]
	s_waitcnt vmcnt(0) lgkmcnt(0)
	v_mul_f32_e32 v58, s24, v58
	s_branch .LBB71_211
.LBB71_210:
	v_mov_b32_e32 v58, 0
.LBB71_211:
	v_dual_add_f32 v59, v9, v49 :: v_dual_add_f32 v60, v8, v48
	v_dual_add_f32 v61, v11, v51 :: v_dual_add_f32 v62, v10, v50
	s_delay_alu instid0(VALU_DEP_4) | instskip(NEXT) | instid1(VALU_DEP_3)
	v_add_co_u32 v52, vcc_lo, v54, v52
	v_min3_f32 v59, v60, v59, v115
	v_add_co_ci_u32_e32 v53, vcc_lo, v55, v53, vcc_lo
	s_delay_alu instid0(VALU_DEP_4) | instskip(NEXT) | instid1(VALU_DEP_1)
	v_min_f32_e32 v60, v62, v61
	v_min3_f32 v58, v58, v60, v59
	global_store_b32 v[52:53], v58, off
	s_or_b32 exec_lo, exec_lo, s14
	s_and_b32 s14, s7, s8
	s_delay_alu instid0(SALU_CYCLE_1)
	s_and_saveexec_b32 s8, s14
	s_cbranch_execz .LBB71_216
.LBB71_212:
	v_cmp_ne_u32_e32 vcc_lo, 1, v121
	v_lshlrev_b64 v[52:53], 2, v[78:79]
	s_cbranch_vccnz .LBB71_214
; %bb.213:
	s_delay_alu instid0(VALU_DEP_1) | instskip(NEXT) | instid1(VALU_DEP_2)
	v_add_co_u32 v56, vcc_lo, v56, v52
	v_add_co_ci_u32_e32 v57, vcc_lo, v57, v53, vcc_lo
	flat_load_b32 v56, v[56:57]
	s_waitcnt vmcnt(0) lgkmcnt(0)
	v_mul_f32_e32 v56, s24, v56
	s_branch .LBB71_215
.LBB71_214:
	v_mov_b32_e32 v56, 0
.LBB71_215:
	v_dual_add_f32 v49, v1, v49 :: v_dual_add_f32 v48, v0, v48
	v_dual_add_f32 v51, v3, v51 :: v_dual_add_f32 v50, v2, v50
	s_delay_alu instid0(VALU_DEP_2) | instskip(NEXT) | instid1(VALU_DEP_2)
	v_min3_f32 v48, v48, v49, v114
	v_min_f32_e32 v49, v50, v51
	s_delay_alu instid0(VALU_DEP_1)
	v_min3_f32 v50, v56, v49, v48
	v_add_co_u32 v48, vcc_lo, v54, v52
	v_add_co_ci_u32_e32 v49, vcc_lo, v55, v53, vcc_lo
	global_store_b32 v[48:49], v50, off
.LBB71_216:
	s_or_b32 exec_lo, exec_lo, s8
	v_add_nc_u32_e32 v52, 0x80, v132
	s_delay_alu instid0(VALU_DEP_1) | instskip(SKIP_2) | instid1(VALU_DEP_3)
	v_mad_i64_i32 v[48:49], null, v52, s18, 0
	v_mad_i64_i32 v[50:51], null, v52, s9, 0
	v_cmp_gt_i32_e64 s8, s17, v52
	v_lshlrev_b64 v[48:49], 2, v[48:49]
	s_delay_alu instid0(VALU_DEP_2) | instskip(NEXT) | instid1(VALU_DEP_3)
	s_and_b32 s15, s0, s8
	v_lshlrev_b64 v[50:51], 2, v[50:51]
	s_delay_alu instid0(VALU_DEP_2) | instskip(NEXT) | instid1(VALU_DEP_3)
	v_add_co_u32 v52, vcc_lo, s12, v48
	v_add_co_ci_u32_e32 v53, vcc_lo, s13, v49, vcc_lo
	s_delay_alu instid0(VALU_DEP_3) | instskip(NEXT) | instid1(VALU_DEP_4)
	v_add_co_u32 v50, vcc_lo, s10, v50
	v_add_co_ci_u32_e32 v51, vcc_lo, s11, v51, vcc_lo
	s_and_saveexec_b32 s14, s15
	s_cbranch_execnz .LBB71_224
; %bb.217:
	s_or_b32 exec_lo, exec_lo, s14
	s_and_b32 s15, s1, s8
	s_delay_alu instid0(SALU_CYCLE_1)
	s_and_saveexec_b32 s14, s15
	s_cbranch_execnz .LBB71_228
.LBB71_218:
	s_or_b32 exec_lo, exec_lo, s14
	s_and_b32 s15, s2, s8
	s_delay_alu instid0(SALU_CYCLE_1)
	s_and_saveexec_b32 s14, s15
	s_cbranch_execnz .LBB71_232
.LBB71_219:
	s_or_b32 exec_lo, exec_lo, s14
	s_and_b32 s15, s3, s8
	s_delay_alu instid0(SALU_CYCLE_1)
	s_and_saveexec_b32 s14, s15
	s_cbranch_execnz .LBB71_236
.LBB71_220:
	s_or_b32 exec_lo, exec_lo, s14
	s_and_b32 s15, s4, s8
	s_delay_alu instid0(SALU_CYCLE_1)
	s_and_saveexec_b32 s14, s15
	s_cbranch_execnz .LBB71_240
.LBB71_221:
	s_or_b32 exec_lo, exec_lo, s14
	s_and_b32 s15, s5, s8
	s_delay_alu instid0(SALU_CYCLE_1)
	s_and_saveexec_b32 s14, s15
	s_cbranch_execnz .LBB71_244
.LBB71_222:
	s_or_b32 exec_lo, exec_lo, s14
	s_and_b32 s15, s6, s8
	s_delay_alu instid0(SALU_CYCLE_1)
	s_and_saveexec_b32 s14, s15
	s_cbranch_execnz .LBB71_248
.LBB71_223:
	s_or_b32 exec_lo, exec_lo, s14
	s_and_b32 s14, s7, s8
	s_delay_alu instid0(SALU_CYCLE_1)
	s_and_saveexec_b32 s8, s14
	s_cbranch_execnz .LBB71_252
	s_branch .LBB71_256
.LBB71_224:
	v_cmp_ne_u32_e32 vcc_lo, 1, v121
	v_lshlrev_b64 v[48:49], 2, v[64:65]
	s_cbranch_vccnz .LBB71_226
; %bb.225:
	s_delay_alu instid0(VALU_DEP_1) | instskip(NEXT) | instid1(VALU_DEP_2)
	v_add_co_u32 v54, vcc_lo, v52, v48
	v_add_co_ci_u32_e32 v55, vcc_lo, v53, v49, vcc_lo
	flat_load_b32 v54, v[54:55]
	s_waitcnt vmcnt(0) lgkmcnt(0)
	v_mul_f32_e32 v54, s24, v54
	s_branch .LBB71_227
.LBB71_226:
	v_mov_b32_e32 v54, 0
.LBB71_227:
	v_dual_add_f32 v55, v33, v45 :: v_dual_add_f32 v56, v32, v44
	v_dual_add_f32 v57, v35, v47 :: v_dual_add_f32 v58, v34, v46
	s_delay_alu instid0(VALU_DEP_4) | instskip(NEXT) | instid1(VALU_DEP_3)
	v_add_co_u32 v48, vcc_lo, v50, v48
	v_min3_f32 v55, v56, v55, v113
	v_add_co_ci_u32_e32 v49, vcc_lo, v51, v49, vcc_lo
	s_delay_alu instid0(VALU_DEP_4) | instskip(NEXT) | instid1(VALU_DEP_1)
	v_min_f32_e32 v56, v58, v57
	v_min3_f32 v54, v54, v56, v55
	global_store_b32 v[48:49], v54, off
	s_or_b32 exec_lo, exec_lo, s14
	s_and_b32 s15, s1, s8
	s_delay_alu instid0(SALU_CYCLE_1)
	s_and_saveexec_b32 s14, s15
	s_cbranch_execz .LBB71_218
.LBB71_228:
	v_cmp_ne_u32_e32 vcc_lo, 1, v121
	v_lshlrev_b64 v[48:49], 2, v[66:67]
	s_cbranch_vccnz .LBB71_230
; %bb.229:
	s_delay_alu instid0(VALU_DEP_1) | instskip(NEXT) | instid1(VALU_DEP_2)
	v_add_co_u32 v54, vcc_lo, v52, v48
	v_add_co_ci_u32_e32 v55, vcc_lo, v53, v49, vcc_lo
	flat_load_b32 v54, v[54:55]
	s_waitcnt vmcnt(0) lgkmcnt(0)
	v_mul_f32_e32 v54, s24, v54
	s_branch .LBB71_231
.LBB71_230:
	v_mov_b32_e32 v54, 0
.LBB71_231:
	v_dual_add_f32 v55, v29, v45 :: v_dual_add_f32 v56, v28, v44
	v_dual_add_f32 v57, v31, v47 :: v_dual_add_f32 v58, v30, v46
	s_delay_alu instid0(VALU_DEP_4) | instskip(NEXT) | instid1(VALU_DEP_3)
	v_add_co_u32 v48, vcc_lo, v50, v48
	v_min3_f32 v55, v56, v55, v112
	v_add_co_ci_u32_e32 v49, vcc_lo, v51, v49, vcc_lo
	s_delay_alu instid0(VALU_DEP_4) | instskip(NEXT) | instid1(VALU_DEP_1)
	v_min_f32_e32 v56, v58, v57
	v_min3_f32 v54, v54, v56, v55
	global_store_b32 v[48:49], v54, off
	s_or_b32 exec_lo, exec_lo, s14
	s_and_b32 s15, s2, s8
	s_delay_alu instid0(SALU_CYCLE_1)
	s_and_saveexec_b32 s14, s15
	s_cbranch_execz .LBB71_219
.LBB71_232:
	v_cmp_ne_u32_e32 vcc_lo, 1, v121
	v_lshlrev_b64 v[48:49], 2, v[68:69]
	s_cbranch_vccnz .LBB71_234
; %bb.233:
	s_delay_alu instid0(VALU_DEP_1) | instskip(NEXT) | instid1(VALU_DEP_2)
	v_add_co_u32 v54, vcc_lo, v52, v48
	v_add_co_ci_u32_e32 v55, vcc_lo, v53, v49, vcc_lo
	flat_load_b32 v54, v[54:55]
	s_waitcnt vmcnt(0) lgkmcnt(0)
	v_mul_f32_e32 v54, s24, v54
	s_branch .LBB71_235
.LBB71_234:
	v_mov_b32_e32 v54, 0
.LBB71_235:
	v_dual_add_f32 v55, v25, v45 :: v_dual_add_f32 v56, v24, v44
	v_dual_add_f32 v57, v27, v47 :: v_dual_add_f32 v58, v26, v46
	s_delay_alu instid0(VALU_DEP_4) | instskip(NEXT) | instid1(VALU_DEP_3)
	v_add_co_u32 v48, vcc_lo, v50, v48
	v_min3_f32 v55, v56, v55, v111
	v_add_co_ci_u32_e32 v49, vcc_lo, v51, v49, vcc_lo
	s_delay_alu instid0(VALU_DEP_4) | instskip(NEXT) | instid1(VALU_DEP_1)
	v_min_f32_e32 v56, v58, v57
	v_min3_f32 v54, v54, v56, v55
	global_store_b32 v[48:49], v54, off
	s_or_b32 exec_lo, exec_lo, s14
	s_and_b32 s15, s3, s8
	s_delay_alu instid0(SALU_CYCLE_1)
	s_and_saveexec_b32 s14, s15
	s_cbranch_execz .LBB71_220
.LBB71_236:
	v_cmp_ne_u32_e32 vcc_lo, 1, v121
	v_lshlrev_b64 v[48:49], 2, v[70:71]
	s_cbranch_vccnz .LBB71_238
; %bb.237:
	s_delay_alu instid0(VALU_DEP_1) | instskip(NEXT) | instid1(VALU_DEP_2)
	v_add_co_u32 v54, vcc_lo, v52, v48
	v_add_co_ci_u32_e32 v55, vcc_lo, v53, v49, vcc_lo
	flat_load_b32 v54, v[54:55]
	s_waitcnt vmcnt(0) lgkmcnt(0)
	v_mul_f32_e32 v54, s24, v54
	s_branch .LBB71_239
.LBB71_238:
	v_mov_b32_e32 v54, 0
.LBB71_239:
	v_dual_add_f32 v55, v21, v45 :: v_dual_add_f32 v56, v20, v44
	v_dual_add_f32 v57, v23, v47 :: v_dual_add_f32 v58, v22, v46
	s_delay_alu instid0(VALU_DEP_4) | instskip(NEXT) | instid1(VALU_DEP_3)
	v_add_co_u32 v48, vcc_lo, v50, v48
	v_min3_f32 v55, v56, v55, v110
	v_add_co_ci_u32_e32 v49, vcc_lo, v51, v49, vcc_lo
	s_delay_alu instid0(VALU_DEP_4) | instskip(NEXT) | instid1(VALU_DEP_1)
	v_min_f32_e32 v56, v58, v57
	v_min3_f32 v54, v54, v56, v55
	global_store_b32 v[48:49], v54, off
	s_or_b32 exec_lo, exec_lo, s14
	s_and_b32 s15, s4, s8
	s_delay_alu instid0(SALU_CYCLE_1)
	s_and_saveexec_b32 s14, s15
	s_cbranch_execz .LBB71_221
.LBB71_240:
	v_cmp_ne_u32_e32 vcc_lo, 1, v121
	v_lshlrev_b64 v[48:49], 2, v[72:73]
	s_cbranch_vccnz .LBB71_242
; %bb.241:
	s_delay_alu instid0(VALU_DEP_1) | instskip(NEXT) | instid1(VALU_DEP_2)
	v_add_co_u32 v54, vcc_lo, v52, v48
	v_add_co_ci_u32_e32 v55, vcc_lo, v53, v49, vcc_lo
	flat_load_b32 v54, v[54:55]
	s_waitcnt vmcnt(0) lgkmcnt(0)
	v_mul_f32_e32 v54, s24, v54
	s_branch .LBB71_243
.LBB71_242:
	v_mov_b32_e32 v54, 0
.LBB71_243:
	v_dual_add_f32 v55, v17, v45 :: v_dual_add_f32 v56, v16, v44
	v_dual_add_f32 v57, v19, v47 :: v_dual_add_f32 v58, v18, v46
	s_delay_alu instid0(VALU_DEP_4) | instskip(NEXT) | instid1(VALU_DEP_3)
	v_add_co_u32 v48, vcc_lo, v50, v48
	v_min3_f32 v55, v56, v55, v109
	v_add_co_ci_u32_e32 v49, vcc_lo, v51, v49, vcc_lo
	s_delay_alu instid0(VALU_DEP_4) | instskip(NEXT) | instid1(VALU_DEP_1)
	v_min_f32_e32 v56, v58, v57
	v_min3_f32 v54, v54, v56, v55
	global_store_b32 v[48:49], v54, off
	s_or_b32 exec_lo, exec_lo, s14
	s_and_b32 s15, s5, s8
	s_delay_alu instid0(SALU_CYCLE_1)
	s_and_saveexec_b32 s14, s15
	s_cbranch_execz .LBB71_222
.LBB71_244:
	v_cmp_ne_u32_e32 vcc_lo, 1, v121
	v_lshlrev_b64 v[48:49], 2, v[74:75]
	s_cbranch_vccnz .LBB71_246
; %bb.245:
	s_delay_alu instid0(VALU_DEP_1) | instskip(NEXT) | instid1(VALU_DEP_2)
	v_add_co_u32 v54, vcc_lo, v52, v48
	v_add_co_ci_u32_e32 v55, vcc_lo, v53, v49, vcc_lo
	flat_load_b32 v54, v[54:55]
	s_waitcnt vmcnt(0) lgkmcnt(0)
	v_mul_f32_e32 v54, s24, v54
	s_branch .LBB71_247
.LBB71_246:
	v_mov_b32_e32 v54, 0
.LBB71_247:
	v_dual_add_f32 v55, v13, v45 :: v_dual_add_f32 v56, v12, v44
	v_dual_add_f32 v57, v15, v47 :: v_dual_add_f32 v58, v14, v46
	s_delay_alu instid0(VALU_DEP_4) | instskip(NEXT) | instid1(VALU_DEP_3)
	v_add_co_u32 v48, vcc_lo, v50, v48
	v_min3_f32 v55, v56, v55, v108
	v_add_co_ci_u32_e32 v49, vcc_lo, v51, v49, vcc_lo
	s_delay_alu instid0(VALU_DEP_4) | instskip(NEXT) | instid1(VALU_DEP_1)
	v_min_f32_e32 v56, v58, v57
	v_min3_f32 v54, v54, v56, v55
	global_store_b32 v[48:49], v54, off
	s_or_b32 exec_lo, exec_lo, s14
	s_and_b32 s15, s6, s8
	s_delay_alu instid0(SALU_CYCLE_1)
	s_and_saveexec_b32 s14, s15
	s_cbranch_execz .LBB71_223
.LBB71_248:
	v_cmp_ne_u32_e32 vcc_lo, 1, v121
	v_lshlrev_b64 v[48:49], 2, v[76:77]
	s_cbranch_vccnz .LBB71_250
; %bb.249:
	s_delay_alu instid0(VALU_DEP_1) | instskip(NEXT) | instid1(VALU_DEP_2)
	v_add_co_u32 v54, vcc_lo, v52, v48
	v_add_co_ci_u32_e32 v55, vcc_lo, v53, v49, vcc_lo
	flat_load_b32 v54, v[54:55]
	s_waitcnt vmcnt(0) lgkmcnt(0)
	v_mul_f32_e32 v54, s24, v54
	s_branch .LBB71_251
.LBB71_250:
	v_mov_b32_e32 v54, 0
.LBB71_251:
	v_dual_add_f32 v55, v9, v45 :: v_dual_add_f32 v56, v8, v44
	v_dual_add_f32 v57, v11, v47 :: v_dual_add_f32 v58, v10, v46
	s_delay_alu instid0(VALU_DEP_4) | instskip(NEXT) | instid1(VALU_DEP_3)
	v_add_co_u32 v48, vcc_lo, v50, v48
	v_min3_f32 v55, v56, v55, v107
	v_add_co_ci_u32_e32 v49, vcc_lo, v51, v49, vcc_lo
	s_delay_alu instid0(VALU_DEP_4) | instskip(NEXT) | instid1(VALU_DEP_1)
	v_min_f32_e32 v56, v58, v57
	v_min3_f32 v54, v54, v56, v55
	global_store_b32 v[48:49], v54, off
	s_or_b32 exec_lo, exec_lo, s14
	s_and_b32 s14, s7, s8
	s_delay_alu instid0(SALU_CYCLE_1)
	s_and_saveexec_b32 s8, s14
	s_cbranch_execz .LBB71_256
.LBB71_252:
	v_cmp_ne_u32_e32 vcc_lo, 1, v121
	v_lshlrev_b64 v[48:49], 2, v[78:79]
	s_cbranch_vccnz .LBB71_254
; %bb.253:
	s_delay_alu instid0(VALU_DEP_1) | instskip(NEXT) | instid1(VALU_DEP_2)
	v_add_co_u32 v52, vcc_lo, v52, v48
	v_add_co_ci_u32_e32 v53, vcc_lo, v53, v49, vcc_lo
	flat_load_b32 v52, v[52:53]
	s_waitcnt vmcnt(0) lgkmcnt(0)
	v_mul_f32_e32 v52, s24, v52
	s_branch .LBB71_255
.LBB71_254:
	v_mov_b32_e32 v52, 0
.LBB71_255:
	v_dual_add_f32 v45, v1, v45 :: v_dual_add_f32 v44, v0, v44
	v_dual_add_f32 v47, v3, v47 :: v_dual_add_f32 v46, v2, v46
	s_delay_alu instid0(VALU_DEP_2) | instskip(NEXT) | instid1(VALU_DEP_2)
	v_min3_f32 v44, v44, v45, v106
	v_min_f32_e32 v45, v46, v47
	s_delay_alu instid0(VALU_DEP_1)
	v_min3_f32 v46, v52, v45, v44
	v_add_co_u32 v44, vcc_lo, v50, v48
	v_add_co_ci_u32_e32 v45, vcc_lo, v51, v49, vcc_lo
	global_store_b32 v[44:45], v46, off
.LBB71_256:
	s_or_b32 exec_lo, exec_lo, s8
	v_add_nc_u32_e32 v48, 0xa0, v132
	s_delay_alu instid0(VALU_DEP_1) | instskip(SKIP_2) | instid1(VALU_DEP_3)
	v_mad_i64_i32 v[44:45], null, v48, s18, 0
	v_mad_i64_i32 v[46:47], null, v48, s9, 0
	v_cmp_gt_i32_e64 s8, s17, v48
	v_lshlrev_b64 v[44:45], 2, v[44:45]
	s_delay_alu instid0(VALU_DEP_2) | instskip(NEXT) | instid1(VALU_DEP_3)
	s_and_b32 s15, s0, s8
	v_lshlrev_b64 v[46:47], 2, v[46:47]
	s_delay_alu instid0(VALU_DEP_2) | instskip(NEXT) | instid1(VALU_DEP_3)
	v_add_co_u32 v48, vcc_lo, s12, v44
	v_add_co_ci_u32_e32 v49, vcc_lo, s13, v45, vcc_lo
	s_delay_alu instid0(VALU_DEP_3) | instskip(NEXT) | instid1(VALU_DEP_4)
	v_add_co_u32 v46, vcc_lo, s10, v46
	v_add_co_ci_u32_e32 v47, vcc_lo, s11, v47, vcc_lo
	s_and_saveexec_b32 s14, s15
	s_cbranch_execnz .LBB71_264
; %bb.257:
	s_or_b32 exec_lo, exec_lo, s14
	s_and_b32 s15, s1, s8
	s_delay_alu instid0(SALU_CYCLE_1)
	s_and_saveexec_b32 s14, s15
	s_cbranch_execnz .LBB71_268
.LBB71_258:
	s_or_b32 exec_lo, exec_lo, s14
	s_and_b32 s15, s2, s8
	s_delay_alu instid0(SALU_CYCLE_1)
	s_and_saveexec_b32 s14, s15
	s_cbranch_execnz .LBB71_272
.LBB71_259:
	s_or_b32 exec_lo, exec_lo, s14
	s_and_b32 s15, s3, s8
	s_delay_alu instid0(SALU_CYCLE_1)
	s_and_saveexec_b32 s14, s15
	s_cbranch_execnz .LBB71_276
.LBB71_260:
	s_or_b32 exec_lo, exec_lo, s14
	s_and_b32 s15, s4, s8
	s_delay_alu instid0(SALU_CYCLE_1)
	s_and_saveexec_b32 s14, s15
	s_cbranch_execnz .LBB71_280
.LBB71_261:
	s_or_b32 exec_lo, exec_lo, s14
	s_and_b32 s15, s5, s8
	s_delay_alu instid0(SALU_CYCLE_1)
	s_and_saveexec_b32 s14, s15
	s_cbranch_execnz .LBB71_284
.LBB71_262:
	s_or_b32 exec_lo, exec_lo, s14
	s_and_b32 s15, s6, s8
	s_delay_alu instid0(SALU_CYCLE_1)
	s_and_saveexec_b32 s14, s15
	s_cbranch_execnz .LBB71_288
.LBB71_263:
	s_or_b32 exec_lo, exec_lo, s14
	s_and_b32 s14, s7, s8
	s_delay_alu instid0(SALU_CYCLE_1)
	s_and_saveexec_b32 s8, s14
	s_cbranch_execnz .LBB71_292
	s_branch .LBB71_296
.LBB71_264:
	v_cmp_ne_u32_e32 vcc_lo, 1, v121
	v_lshlrev_b64 v[44:45], 2, v[64:65]
	s_cbranch_vccnz .LBB71_266
; %bb.265:
	s_delay_alu instid0(VALU_DEP_1) | instskip(NEXT) | instid1(VALU_DEP_2)
	v_add_co_u32 v50, vcc_lo, v48, v44
	v_add_co_ci_u32_e32 v51, vcc_lo, v49, v45, vcc_lo
	flat_load_b32 v50, v[50:51]
	s_waitcnt vmcnt(0) lgkmcnt(0)
	v_mul_f32_e32 v50, s24, v50
	s_branch .LBB71_267
.LBB71_266:
	v_mov_b32_e32 v50, 0
.LBB71_267:
	v_dual_add_f32 v51, v33, v41 :: v_dual_add_f32 v52, v32, v40
	v_dual_add_f32 v53, v35, v43 :: v_dual_add_f32 v54, v34, v42
	s_delay_alu instid0(VALU_DEP_4) | instskip(NEXT) | instid1(VALU_DEP_3)
	v_add_co_u32 v44, vcc_lo, v46, v44
	v_min3_f32 v51, v52, v51, v105
	v_add_co_ci_u32_e32 v45, vcc_lo, v47, v45, vcc_lo
	s_delay_alu instid0(VALU_DEP_4) | instskip(NEXT) | instid1(VALU_DEP_1)
	v_min_f32_e32 v52, v54, v53
	v_min3_f32 v50, v50, v52, v51
	global_store_b32 v[44:45], v50, off
	s_or_b32 exec_lo, exec_lo, s14
	s_and_b32 s15, s1, s8
	s_delay_alu instid0(SALU_CYCLE_1)
	s_and_saveexec_b32 s14, s15
	s_cbranch_execz .LBB71_258
.LBB71_268:
	v_cmp_ne_u32_e32 vcc_lo, 1, v121
	v_lshlrev_b64 v[44:45], 2, v[66:67]
	s_cbranch_vccnz .LBB71_270
; %bb.269:
	s_delay_alu instid0(VALU_DEP_1) | instskip(NEXT) | instid1(VALU_DEP_2)
	v_add_co_u32 v50, vcc_lo, v48, v44
	v_add_co_ci_u32_e32 v51, vcc_lo, v49, v45, vcc_lo
	flat_load_b32 v50, v[50:51]
	s_waitcnt vmcnt(0) lgkmcnt(0)
	v_mul_f32_e32 v50, s24, v50
	s_branch .LBB71_271
.LBB71_270:
	v_mov_b32_e32 v50, 0
.LBB71_271:
	v_dual_add_f32 v51, v29, v41 :: v_dual_add_f32 v52, v28, v40
	v_dual_add_f32 v53, v31, v43 :: v_dual_add_f32 v54, v30, v42
	s_delay_alu instid0(VALU_DEP_4) | instskip(NEXT) | instid1(VALU_DEP_3)
	v_add_co_u32 v44, vcc_lo, v46, v44
	v_min3_f32 v51, v52, v51, v104
	v_add_co_ci_u32_e32 v45, vcc_lo, v47, v45, vcc_lo
	s_delay_alu instid0(VALU_DEP_4) | instskip(NEXT) | instid1(VALU_DEP_1)
	v_min_f32_e32 v52, v54, v53
	v_min3_f32 v50, v50, v52, v51
	global_store_b32 v[44:45], v50, off
	s_or_b32 exec_lo, exec_lo, s14
	s_and_b32 s15, s2, s8
	s_delay_alu instid0(SALU_CYCLE_1)
	s_and_saveexec_b32 s14, s15
	s_cbranch_execz .LBB71_259
.LBB71_272:
	v_cmp_ne_u32_e32 vcc_lo, 1, v121
	v_lshlrev_b64 v[44:45], 2, v[68:69]
	s_cbranch_vccnz .LBB71_274
; %bb.273:
	s_delay_alu instid0(VALU_DEP_1) | instskip(NEXT) | instid1(VALU_DEP_2)
	v_add_co_u32 v50, vcc_lo, v48, v44
	v_add_co_ci_u32_e32 v51, vcc_lo, v49, v45, vcc_lo
	flat_load_b32 v50, v[50:51]
	s_waitcnt vmcnt(0) lgkmcnt(0)
	v_mul_f32_e32 v50, s24, v50
	s_branch .LBB71_275
.LBB71_274:
	v_mov_b32_e32 v50, 0
.LBB71_275:
	v_dual_add_f32 v51, v25, v41 :: v_dual_add_f32 v52, v24, v40
	v_dual_add_f32 v53, v27, v43 :: v_dual_add_f32 v54, v26, v42
	s_delay_alu instid0(VALU_DEP_4) | instskip(NEXT) | instid1(VALU_DEP_3)
	v_add_co_u32 v44, vcc_lo, v46, v44
	v_min3_f32 v51, v52, v51, v103
	v_add_co_ci_u32_e32 v45, vcc_lo, v47, v45, vcc_lo
	s_delay_alu instid0(VALU_DEP_4) | instskip(NEXT) | instid1(VALU_DEP_1)
	v_min_f32_e32 v52, v54, v53
	v_min3_f32 v50, v50, v52, v51
	global_store_b32 v[44:45], v50, off
	s_or_b32 exec_lo, exec_lo, s14
	s_and_b32 s15, s3, s8
	s_delay_alu instid0(SALU_CYCLE_1)
	s_and_saveexec_b32 s14, s15
	s_cbranch_execz .LBB71_260
.LBB71_276:
	v_cmp_ne_u32_e32 vcc_lo, 1, v121
	v_lshlrev_b64 v[44:45], 2, v[70:71]
	s_cbranch_vccnz .LBB71_278
; %bb.277:
	s_delay_alu instid0(VALU_DEP_1) | instskip(NEXT) | instid1(VALU_DEP_2)
	v_add_co_u32 v50, vcc_lo, v48, v44
	v_add_co_ci_u32_e32 v51, vcc_lo, v49, v45, vcc_lo
	flat_load_b32 v50, v[50:51]
	s_waitcnt vmcnt(0) lgkmcnt(0)
	v_mul_f32_e32 v50, s24, v50
	s_branch .LBB71_279
.LBB71_278:
	v_mov_b32_e32 v50, 0
.LBB71_279:
	v_dual_add_f32 v51, v21, v41 :: v_dual_add_f32 v52, v20, v40
	v_dual_add_f32 v53, v23, v43 :: v_dual_add_f32 v54, v22, v42
	s_delay_alu instid0(VALU_DEP_4) | instskip(NEXT) | instid1(VALU_DEP_3)
	v_add_co_u32 v44, vcc_lo, v46, v44
	v_min3_f32 v51, v52, v51, v102
	v_add_co_ci_u32_e32 v45, vcc_lo, v47, v45, vcc_lo
	s_delay_alu instid0(VALU_DEP_4) | instskip(NEXT) | instid1(VALU_DEP_1)
	v_min_f32_e32 v52, v54, v53
	v_min3_f32 v50, v50, v52, v51
	global_store_b32 v[44:45], v50, off
	s_or_b32 exec_lo, exec_lo, s14
	s_and_b32 s15, s4, s8
	s_delay_alu instid0(SALU_CYCLE_1)
	s_and_saveexec_b32 s14, s15
	s_cbranch_execz .LBB71_261
.LBB71_280:
	v_cmp_ne_u32_e32 vcc_lo, 1, v121
	v_lshlrev_b64 v[44:45], 2, v[72:73]
	s_cbranch_vccnz .LBB71_282
; %bb.281:
	s_delay_alu instid0(VALU_DEP_1) | instskip(NEXT) | instid1(VALU_DEP_2)
	v_add_co_u32 v50, vcc_lo, v48, v44
	v_add_co_ci_u32_e32 v51, vcc_lo, v49, v45, vcc_lo
	flat_load_b32 v50, v[50:51]
	s_waitcnt vmcnt(0) lgkmcnt(0)
	v_mul_f32_e32 v50, s24, v50
	s_branch .LBB71_283
.LBB71_282:
	v_mov_b32_e32 v50, 0
.LBB71_283:
	v_dual_add_f32 v51, v17, v41 :: v_dual_add_f32 v52, v16, v40
	v_dual_add_f32 v53, v19, v43 :: v_dual_add_f32 v54, v18, v42
	s_delay_alu instid0(VALU_DEP_4) | instskip(NEXT) | instid1(VALU_DEP_3)
	v_add_co_u32 v44, vcc_lo, v46, v44
	v_min3_f32 v51, v52, v51, v101
	v_add_co_ci_u32_e32 v45, vcc_lo, v47, v45, vcc_lo
	s_delay_alu instid0(VALU_DEP_4) | instskip(NEXT) | instid1(VALU_DEP_1)
	v_min_f32_e32 v52, v54, v53
	v_min3_f32 v50, v50, v52, v51
	global_store_b32 v[44:45], v50, off
	s_or_b32 exec_lo, exec_lo, s14
	s_and_b32 s15, s5, s8
	s_delay_alu instid0(SALU_CYCLE_1)
	s_and_saveexec_b32 s14, s15
	s_cbranch_execz .LBB71_262
.LBB71_284:
	v_cmp_ne_u32_e32 vcc_lo, 1, v121
	v_lshlrev_b64 v[44:45], 2, v[74:75]
	s_cbranch_vccnz .LBB71_286
; %bb.285:
	s_delay_alu instid0(VALU_DEP_1) | instskip(NEXT) | instid1(VALU_DEP_2)
	v_add_co_u32 v50, vcc_lo, v48, v44
	v_add_co_ci_u32_e32 v51, vcc_lo, v49, v45, vcc_lo
	flat_load_b32 v50, v[50:51]
	s_waitcnt vmcnt(0) lgkmcnt(0)
	v_mul_f32_e32 v50, s24, v50
	s_branch .LBB71_287
.LBB71_286:
	v_mov_b32_e32 v50, 0
.LBB71_287:
	v_dual_add_f32 v51, v13, v41 :: v_dual_add_f32 v52, v12, v40
	v_dual_add_f32 v53, v15, v43 :: v_dual_add_f32 v54, v14, v42
	s_delay_alu instid0(VALU_DEP_4) | instskip(NEXT) | instid1(VALU_DEP_3)
	v_add_co_u32 v44, vcc_lo, v46, v44
	v_min3_f32 v51, v52, v51, v100
	v_add_co_ci_u32_e32 v45, vcc_lo, v47, v45, vcc_lo
	s_delay_alu instid0(VALU_DEP_4) | instskip(NEXT) | instid1(VALU_DEP_1)
	v_min_f32_e32 v52, v54, v53
	v_min3_f32 v50, v50, v52, v51
	global_store_b32 v[44:45], v50, off
	s_or_b32 exec_lo, exec_lo, s14
	s_and_b32 s15, s6, s8
	s_delay_alu instid0(SALU_CYCLE_1)
	s_and_saveexec_b32 s14, s15
	s_cbranch_execz .LBB71_263
.LBB71_288:
	v_cmp_ne_u32_e32 vcc_lo, 1, v121
	v_lshlrev_b64 v[44:45], 2, v[76:77]
	s_cbranch_vccnz .LBB71_290
; %bb.289:
	s_delay_alu instid0(VALU_DEP_1) | instskip(NEXT) | instid1(VALU_DEP_2)
	v_add_co_u32 v50, vcc_lo, v48, v44
	v_add_co_ci_u32_e32 v51, vcc_lo, v49, v45, vcc_lo
	flat_load_b32 v50, v[50:51]
	s_waitcnt vmcnt(0) lgkmcnt(0)
	v_mul_f32_e32 v50, s24, v50
	s_branch .LBB71_291
.LBB71_290:
	v_mov_b32_e32 v50, 0
.LBB71_291:
	v_dual_add_f32 v51, v9, v41 :: v_dual_add_f32 v52, v8, v40
	v_dual_add_f32 v53, v11, v43 :: v_dual_add_f32 v54, v10, v42
	s_delay_alu instid0(VALU_DEP_4) | instskip(NEXT) | instid1(VALU_DEP_3)
	v_add_co_u32 v44, vcc_lo, v46, v44
	v_min3_f32 v51, v52, v51, v99
	v_add_co_ci_u32_e32 v45, vcc_lo, v47, v45, vcc_lo
	s_delay_alu instid0(VALU_DEP_4) | instskip(NEXT) | instid1(VALU_DEP_1)
	v_min_f32_e32 v52, v54, v53
	v_min3_f32 v50, v50, v52, v51
	global_store_b32 v[44:45], v50, off
	s_or_b32 exec_lo, exec_lo, s14
	s_and_b32 s14, s7, s8
	s_delay_alu instid0(SALU_CYCLE_1)
	s_and_saveexec_b32 s8, s14
	s_cbranch_execz .LBB71_296
.LBB71_292:
	v_cmp_ne_u32_e32 vcc_lo, 1, v121
	v_lshlrev_b64 v[44:45], 2, v[78:79]
	s_cbranch_vccnz .LBB71_294
; %bb.293:
	s_delay_alu instid0(VALU_DEP_1) | instskip(NEXT) | instid1(VALU_DEP_2)
	v_add_co_u32 v48, vcc_lo, v48, v44
	v_add_co_ci_u32_e32 v49, vcc_lo, v49, v45, vcc_lo
	flat_load_b32 v48, v[48:49]
	s_waitcnt vmcnt(0) lgkmcnt(0)
	v_mul_f32_e32 v48, s24, v48
	s_branch .LBB71_295
.LBB71_294:
	v_mov_b32_e32 v48, 0
.LBB71_295:
	v_dual_add_f32 v41, v1, v41 :: v_dual_add_f32 v40, v0, v40
	v_dual_add_f32 v43, v3, v43 :: v_dual_add_f32 v42, v2, v42
	s_delay_alu instid0(VALU_DEP_2) | instskip(NEXT) | instid1(VALU_DEP_2)
	v_min3_f32 v40, v40, v41, v98
	v_min_f32_e32 v41, v42, v43
	s_delay_alu instid0(VALU_DEP_1)
	v_min3_f32 v42, v48, v41, v40
	v_add_co_u32 v40, vcc_lo, v46, v44
	v_add_co_ci_u32_e32 v41, vcc_lo, v47, v45, vcc_lo
	global_store_b32 v[40:41], v42, off
.LBB71_296:
	s_or_b32 exec_lo, exec_lo, s8
	v_add_nc_u32_e32 v44, 0xc0, v132
	s_delay_alu instid0(VALU_DEP_1) | instskip(SKIP_2) | instid1(VALU_DEP_3)
	v_mad_i64_i32 v[40:41], null, v44, s18, 0
	v_mad_i64_i32 v[42:43], null, v44, s9, 0
	v_cmp_gt_i32_e64 s8, s17, v44
	v_lshlrev_b64 v[40:41], 2, v[40:41]
	s_delay_alu instid0(VALU_DEP_2) | instskip(NEXT) | instid1(VALU_DEP_3)
	s_and_b32 s15, s0, s8
	v_lshlrev_b64 v[42:43], 2, v[42:43]
	s_delay_alu instid0(VALU_DEP_2) | instskip(NEXT) | instid1(VALU_DEP_3)
	v_add_co_u32 v44, vcc_lo, s12, v40
	v_add_co_ci_u32_e32 v45, vcc_lo, s13, v41, vcc_lo
	s_delay_alu instid0(VALU_DEP_3) | instskip(NEXT) | instid1(VALU_DEP_4)
	v_add_co_u32 v42, vcc_lo, s10, v42
	v_add_co_ci_u32_e32 v43, vcc_lo, s11, v43, vcc_lo
	s_and_saveexec_b32 s14, s15
	s_cbranch_execnz .LBB71_304
; %bb.297:
	s_or_b32 exec_lo, exec_lo, s14
	s_and_b32 s15, s1, s8
	s_delay_alu instid0(SALU_CYCLE_1)
	s_and_saveexec_b32 s14, s15
	s_cbranch_execnz .LBB71_308
.LBB71_298:
	s_or_b32 exec_lo, exec_lo, s14
	s_and_b32 s15, s2, s8
	s_delay_alu instid0(SALU_CYCLE_1)
	s_and_saveexec_b32 s14, s15
	s_cbranch_execnz .LBB71_312
.LBB71_299:
	s_or_b32 exec_lo, exec_lo, s14
	s_and_b32 s15, s3, s8
	s_delay_alu instid0(SALU_CYCLE_1)
	s_and_saveexec_b32 s14, s15
	s_cbranch_execnz .LBB71_316
.LBB71_300:
	s_or_b32 exec_lo, exec_lo, s14
	s_and_b32 s15, s4, s8
	s_delay_alu instid0(SALU_CYCLE_1)
	s_and_saveexec_b32 s14, s15
	s_cbranch_execnz .LBB71_320
.LBB71_301:
	s_or_b32 exec_lo, exec_lo, s14
	s_and_b32 s15, s5, s8
	s_delay_alu instid0(SALU_CYCLE_1)
	s_and_saveexec_b32 s14, s15
	s_cbranch_execnz .LBB71_324
.LBB71_302:
	s_or_b32 exec_lo, exec_lo, s14
	s_and_b32 s15, s6, s8
	s_delay_alu instid0(SALU_CYCLE_1)
	s_and_saveexec_b32 s14, s15
	s_cbranch_execnz .LBB71_328
.LBB71_303:
	s_or_b32 exec_lo, exec_lo, s14
	s_and_b32 s14, s7, s8
	s_delay_alu instid0(SALU_CYCLE_1)
	s_and_saveexec_b32 s8, s14
	s_cbranch_execnz .LBB71_332
	s_branch .LBB71_336
.LBB71_304:
	v_cmp_ne_u32_e32 vcc_lo, 1, v121
	v_lshlrev_b64 v[40:41], 2, v[64:65]
	s_cbranch_vccnz .LBB71_306
; %bb.305:
	s_delay_alu instid0(VALU_DEP_1) | instskip(NEXT) | instid1(VALU_DEP_2)
	v_add_co_u32 v46, vcc_lo, v44, v40
	v_add_co_ci_u32_e32 v47, vcc_lo, v45, v41, vcc_lo
	flat_load_b32 v46, v[46:47]
	s_waitcnt vmcnt(0) lgkmcnt(0)
	v_mul_f32_e32 v46, s24, v46
	s_branch .LBB71_307
.LBB71_306:
	v_mov_b32_e32 v46, 0
.LBB71_307:
	v_dual_add_f32 v47, v33, v37 :: v_dual_add_f32 v48, v32, v36
	v_dual_add_f32 v49, v35, v39 :: v_dual_add_f32 v50, v34, v38
	s_delay_alu instid0(VALU_DEP_4) | instskip(NEXT) | instid1(VALU_DEP_3)
	v_add_co_u32 v40, vcc_lo, v42, v40
	v_min3_f32 v47, v48, v47, v97
	v_add_co_ci_u32_e32 v41, vcc_lo, v43, v41, vcc_lo
	s_delay_alu instid0(VALU_DEP_4) | instskip(NEXT) | instid1(VALU_DEP_1)
	v_min_f32_e32 v48, v50, v49
	v_min3_f32 v46, v46, v48, v47
	global_store_b32 v[40:41], v46, off
	s_or_b32 exec_lo, exec_lo, s14
	s_and_b32 s15, s1, s8
	s_delay_alu instid0(SALU_CYCLE_1)
	s_and_saveexec_b32 s14, s15
	s_cbranch_execz .LBB71_298
.LBB71_308:
	v_cmp_ne_u32_e32 vcc_lo, 1, v121
	v_lshlrev_b64 v[40:41], 2, v[66:67]
	s_cbranch_vccnz .LBB71_310
; %bb.309:
	s_delay_alu instid0(VALU_DEP_1) | instskip(NEXT) | instid1(VALU_DEP_2)
	v_add_co_u32 v46, vcc_lo, v44, v40
	v_add_co_ci_u32_e32 v47, vcc_lo, v45, v41, vcc_lo
	flat_load_b32 v46, v[46:47]
	s_waitcnt vmcnt(0) lgkmcnt(0)
	v_mul_f32_e32 v46, s24, v46
	s_branch .LBB71_311
.LBB71_310:
	v_mov_b32_e32 v46, 0
.LBB71_311:
	v_dual_add_f32 v47, v29, v37 :: v_dual_add_f32 v48, v28, v36
	v_dual_add_f32 v49, v31, v39 :: v_dual_add_f32 v50, v30, v38
	s_delay_alu instid0(VALU_DEP_4) | instskip(NEXT) | instid1(VALU_DEP_3)
	v_add_co_u32 v40, vcc_lo, v42, v40
	v_min3_f32 v47, v48, v47, v96
	v_add_co_ci_u32_e32 v41, vcc_lo, v43, v41, vcc_lo
	s_delay_alu instid0(VALU_DEP_4) | instskip(NEXT) | instid1(VALU_DEP_1)
	v_min_f32_e32 v48, v50, v49
	v_min3_f32 v46, v46, v48, v47
	global_store_b32 v[40:41], v46, off
	s_or_b32 exec_lo, exec_lo, s14
	s_and_b32 s15, s2, s8
	s_delay_alu instid0(SALU_CYCLE_1)
	s_and_saveexec_b32 s14, s15
	s_cbranch_execz .LBB71_299
.LBB71_312:
	v_cmp_ne_u32_e32 vcc_lo, 1, v121
	v_lshlrev_b64 v[40:41], 2, v[68:69]
	s_cbranch_vccnz .LBB71_314
; %bb.313:
	s_delay_alu instid0(VALU_DEP_1) | instskip(NEXT) | instid1(VALU_DEP_2)
	v_add_co_u32 v46, vcc_lo, v44, v40
	v_add_co_ci_u32_e32 v47, vcc_lo, v45, v41, vcc_lo
	flat_load_b32 v46, v[46:47]
	s_waitcnt vmcnt(0) lgkmcnt(0)
	v_mul_f32_e32 v46, s24, v46
	s_branch .LBB71_315
.LBB71_314:
	v_mov_b32_e32 v46, 0
.LBB71_315:
	v_dual_add_f32 v47, v25, v37 :: v_dual_add_f32 v48, v24, v36
	v_dual_add_f32 v49, v27, v39 :: v_dual_add_f32 v50, v26, v38
	s_delay_alu instid0(VALU_DEP_4) | instskip(NEXT) | instid1(VALU_DEP_3)
	v_add_co_u32 v40, vcc_lo, v42, v40
	v_min3_f32 v47, v48, v47, v95
	v_add_co_ci_u32_e32 v41, vcc_lo, v43, v41, vcc_lo
	s_delay_alu instid0(VALU_DEP_4) | instskip(NEXT) | instid1(VALU_DEP_1)
	v_min_f32_e32 v48, v50, v49
	v_min3_f32 v46, v46, v48, v47
	global_store_b32 v[40:41], v46, off
	s_or_b32 exec_lo, exec_lo, s14
	s_and_b32 s15, s3, s8
	s_delay_alu instid0(SALU_CYCLE_1)
	s_and_saveexec_b32 s14, s15
	s_cbranch_execz .LBB71_300
.LBB71_316:
	v_cmp_ne_u32_e32 vcc_lo, 1, v121
	v_lshlrev_b64 v[40:41], 2, v[70:71]
	s_cbranch_vccnz .LBB71_318
; %bb.317:
	s_delay_alu instid0(VALU_DEP_1) | instskip(NEXT) | instid1(VALU_DEP_2)
	v_add_co_u32 v46, vcc_lo, v44, v40
	v_add_co_ci_u32_e32 v47, vcc_lo, v45, v41, vcc_lo
	flat_load_b32 v46, v[46:47]
	s_waitcnt vmcnt(0) lgkmcnt(0)
	v_mul_f32_e32 v46, s24, v46
	s_branch .LBB71_319
.LBB71_318:
	v_mov_b32_e32 v46, 0
.LBB71_319:
	v_dual_add_f32 v47, v21, v37 :: v_dual_add_f32 v48, v20, v36
	v_dual_add_f32 v49, v23, v39 :: v_dual_add_f32 v50, v22, v38
	s_delay_alu instid0(VALU_DEP_4) | instskip(NEXT) | instid1(VALU_DEP_3)
	v_add_co_u32 v40, vcc_lo, v42, v40
	v_min3_f32 v47, v48, v47, v94
	v_add_co_ci_u32_e32 v41, vcc_lo, v43, v41, vcc_lo
	s_delay_alu instid0(VALU_DEP_4) | instskip(NEXT) | instid1(VALU_DEP_1)
	v_min_f32_e32 v48, v50, v49
	v_min3_f32 v46, v46, v48, v47
	global_store_b32 v[40:41], v46, off
	s_or_b32 exec_lo, exec_lo, s14
	s_and_b32 s15, s4, s8
	s_delay_alu instid0(SALU_CYCLE_1)
	s_and_saveexec_b32 s14, s15
	s_cbranch_execz .LBB71_301
.LBB71_320:
	v_cmp_ne_u32_e32 vcc_lo, 1, v121
	v_lshlrev_b64 v[40:41], 2, v[72:73]
	s_cbranch_vccnz .LBB71_322
; %bb.321:
	s_delay_alu instid0(VALU_DEP_1) | instskip(NEXT) | instid1(VALU_DEP_2)
	v_add_co_u32 v46, vcc_lo, v44, v40
	v_add_co_ci_u32_e32 v47, vcc_lo, v45, v41, vcc_lo
	flat_load_b32 v46, v[46:47]
	s_waitcnt vmcnt(0) lgkmcnt(0)
	v_mul_f32_e32 v46, s24, v46
	s_branch .LBB71_323
.LBB71_322:
	v_mov_b32_e32 v46, 0
.LBB71_323:
	v_dual_add_f32 v47, v17, v37 :: v_dual_add_f32 v48, v16, v36
	v_dual_add_f32 v49, v19, v39 :: v_dual_add_f32 v50, v18, v38
	s_delay_alu instid0(VALU_DEP_4) | instskip(NEXT) | instid1(VALU_DEP_3)
	v_add_co_u32 v40, vcc_lo, v42, v40
	v_min3_f32 v47, v48, v47, v93
	v_add_co_ci_u32_e32 v41, vcc_lo, v43, v41, vcc_lo
	s_delay_alu instid0(VALU_DEP_4) | instskip(NEXT) | instid1(VALU_DEP_1)
	v_min_f32_e32 v48, v50, v49
	v_min3_f32 v46, v46, v48, v47
	global_store_b32 v[40:41], v46, off
	s_or_b32 exec_lo, exec_lo, s14
	s_and_b32 s15, s5, s8
	s_delay_alu instid0(SALU_CYCLE_1)
	s_and_saveexec_b32 s14, s15
	s_cbranch_execz .LBB71_302
.LBB71_324:
	v_cmp_ne_u32_e32 vcc_lo, 1, v121
	v_lshlrev_b64 v[40:41], 2, v[74:75]
	s_cbranch_vccnz .LBB71_326
; %bb.325:
	s_delay_alu instid0(VALU_DEP_1) | instskip(NEXT) | instid1(VALU_DEP_2)
	v_add_co_u32 v46, vcc_lo, v44, v40
	v_add_co_ci_u32_e32 v47, vcc_lo, v45, v41, vcc_lo
	flat_load_b32 v46, v[46:47]
	s_waitcnt vmcnt(0) lgkmcnt(0)
	v_mul_f32_e32 v46, s24, v46
	s_branch .LBB71_327
.LBB71_326:
	v_mov_b32_e32 v46, 0
.LBB71_327:
	v_dual_add_f32 v47, v13, v37 :: v_dual_add_f32 v48, v12, v36
	v_dual_add_f32 v49, v15, v39 :: v_dual_add_f32 v50, v14, v38
	s_delay_alu instid0(VALU_DEP_4) | instskip(NEXT) | instid1(VALU_DEP_3)
	v_add_co_u32 v40, vcc_lo, v42, v40
	v_min3_f32 v47, v48, v47, v91
	v_add_co_ci_u32_e32 v41, vcc_lo, v43, v41, vcc_lo
	s_delay_alu instid0(VALU_DEP_4) | instskip(NEXT) | instid1(VALU_DEP_1)
	v_min_f32_e32 v48, v50, v49
	v_min3_f32 v46, v46, v48, v47
	global_store_b32 v[40:41], v46, off
	s_or_b32 exec_lo, exec_lo, s14
	s_and_b32 s15, s6, s8
	s_delay_alu instid0(SALU_CYCLE_1)
	s_and_saveexec_b32 s14, s15
	s_cbranch_execz .LBB71_303
.LBB71_328:
	v_cmp_ne_u32_e32 vcc_lo, 1, v121
	v_lshlrev_b64 v[40:41], 2, v[76:77]
	s_cbranch_vccnz .LBB71_330
; %bb.329:
	s_delay_alu instid0(VALU_DEP_1) | instskip(NEXT) | instid1(VALU_DEP_2)
	v_add_co_u32 v46, vcc_lo, v44, v40
	v_add_co_ci_u32_e32 v47, vcc_lo, v45, v41, vcc_lo
	flat_load_b32 v46, v[46:47]
	s_waitcnt vmcnt(0) lgkmcnt(0)
	v_mul_f32_e32 v46, s24, v46
	s_branch .LBB71_331
.LBB71_330:
	v_mov_b32_e32 v46, 0
.LBB71_331:
	v_dual_add_f32 v47, v9, v37 :: v_dual_add_f32 v48, v8, v36
	v_dual_add_f32 v49, v11, v39 :: v_dual_add_f32 v50, v10, v38
	s_delay_alu instid0(VALU_DEP_4) | instskip(NEXT) | instid1(VALU_DEP_3)
	v_add_co_u32 v40, vcc_lo, v42, v40
	v_min3_f32 v47, v48, v47, v90
	v_add_co_ci_u32_e32 v41, vcc_lo, v43, v41, vcc_lo
	s_delay_alu instid0(VALU_DEP_4) | instskip(NEXT) | instid1(VALU_DEP_1)
	v_min_f32_e32 v48, v50, v49
	v_min3_f32 v46, v46, v48, v47
	global_store_b32 v[40:41], v46, off
	s_or_b32 exec_lo, exec_lo, s14
	s_and_b32 s14, s7, s8
	s_delay_alu instid0(SALU_CYCLE_1)
	s_and_saveexec_b32 s8, s14
	s_cbranch_execz .LBB71_336
.LBB71_332:
	v_cmp_ne_u32_e32 vcc_lo, 1, v121
	v_lshlrev_b64 v[40:41], 2, v[78:79]
	s_cbranch_vccnz .LBB71_334
; %bb.333:
	s_delay_alu instid0(VALU_DEP_1) | instskip(NEXT) | instid1(VALU_DEP_2)
	v_add_co_u32 v44, vcc_lo, v44, v40
	v_add_co_ci_u32_e32 v45, vcc_lo, v45, v41, vcc_lo
	flat_load_b32 v44, v[44:45]
	s_waitcnt vmcnt(0) lgkmcnt(0)
	v_mul_f32_e32 v44, s24, v44
	s_branch .LBB71_335
.LBB71_334:
	v_mov_b32_e32 v44, 0
.LBB71_335:
	v_dual_add_f32 v37, v1, v37 :: v_dual_add_f32 v36, v0, v36
	v_dual_add_f32 v39, v3, v39 :: v_dual_add_f32 v38, v2, v38
	s_delay_alu instid0(VALU_DEP_2) | instskip(NEXT) | instid1(VALU_DEP_2)
	v_min3_f32 v36, v36, v37, v89
	v_min_f32_e32 v37, v38, v39
	s_delay_alu instid0(VALU_DEP_1)
	v_min3_f32 v38, v44, v37, v36
	v_add_co_u32 v36, vcc_lo, v42, v40
	v_add_co_ci_u32_e32 v37, vcc_lo, v43, v41, vcc_lo
	global_store_b32 v[36:37], v38, off
.LBB71_336:
	s_or_b32 exec_lo, exec_lo, s8
	v_add_nc_u32_e32 v40, 0xe0, v132
	s_delay_alu instid0(VALU_DEP_1) | instskip(SKIP_2) | instid1(VALU_DEP_3)
	v_mad_i64_i32 v[36:37], null, v40, s18, 0
	v_mad_i64_i32 v[38:39], null, v40, s9, 0
	v_cmp_gt_i32_e64 s8, s17, v40
	v_lshlrev_b64 v[36:37], 2, v[36:37]
	s_delay_alu instid0(VALU_DEP_2) | instskip(NEXT) | instid1(VALU_DEP_3)
	s_and_b32 s9, s0, s8
	v_lshlrev_b64 v[38:39], 2, v[38:39]
	s_delay_alu instid0(VALU_DEP_2) | instskip(NEXT) | instid1(VALU_DEP_3)
	v_add_co_u32 v40, vcc_lo, s12, v36
	v_add_co_ci_u32_e32 v41, vcc_lo, s13, v37, vcc_lo
	s_delay_alu instid0(VALU_DEP_3) | instskip(NEXT) | instid1(VALU_DEP_4)
	v_add_co_u32 v38, vcc_lo, s10, v38
	v_add_co_ci_u32_e32 v39, vcc_lo, s11, v39, vcc_lo
	s_and_saveexec_b32 s0, s9
	s_cbranch_execnz .LBB71_345
; %bb.337:
	s_or_b32 exec_lo, exec_lo, s0
	s_and_b32 s1, s1, s8
	s_delay_alu instid0(SALU_CYCLE_1)
	s_and_saveexec_b32 s0, s1
	s_cbranch_execnz .LBB71_349
.LBB71_338:
	s_or_b32 exec_lo, exec_lo, s0
	s_and_b32 s1, s2, s8
	s_delay_alu instid0(SALU_CYCLE_1)
	s_and_saveexec_b32 s0, s1
	s_cbranch_execnz .LBB71_353
.LBB71_339:
	s_or_b32 exec_lo, exec_lo, s0
	s_and_b32 s1, s3, s8
	s_delay_alu instid0(SALU_CYCLE_1)
	s_and_saveexec_b32 s0, s1
	s_cbranch_execnz .LBB71_357
.LBB71_340:
	s_or_b32 exec_lo, exec_lo, s0
	s_and_b32 s1, s4, s8
	s_delay_alu instid0(SALU_CYCLE_1)
	s_and_saveexec_b32 s0, s1
	s_cbranch_execnz .LBB71_361
.LBB71_341:
	s_or_b32 exec_lo, exec_lo, s0
	s_and_b32 s1, s5, s8
	s_delay_alu instid0(SALU_CYCLE_1)
	s_and_saveexec_b32 s0, s1
	s_cbranch_execnz .LBB71_365
.LBB71_342:
	s_or_b32 exec_lo, exec_lo, s0
	s_and_b32 s1, s6, s8
	s_delay_alu instid0(SALU_CYCLE_1)
	s_and_saveexec_b32 s0, s1
	s_cbranch_execnz .LBB71_369
.LBB71_343:
	s_or_b32 exec_lo, exec_lo, s0
	s_and_b32 s0, s7, s8
	s_delay_alu instid0(SALU_CYCLE_1)
	s_and_saveexec_b32 s1, s0
	s_cbranch_execnz .LBB71_373
.LBB71_344:
	s_nop 0
	s_sendmsg sendmsg(MSG_DEALLOC_VGPRS)
	s_endpgm
.LBB71_345:
	v_cmp_ne_u32_e32 vcc_lo, 1, v121
	v_lshlrev_b64 v[36:37], 2, v[64:65]
	s_cbranch_vccnz .LBB71_347
; %bb.346:
	s_delay_alu instid0(VALU_DEP_1) | instskip(NEXT) | instid1(VALU_DEP_2)
	v_add_co_u32 v42, vcc_lo, v40, v36
	v_add_co_ci_u32_e32 v43, vcc_lo, v41, v37, vcc_lo
	flat_load_b32 v42, v[42:43]
	s_waitcnt vmcnt(0) lgkmcnt(0)
	v_mul_f32_e32 v42, s24, v42
	s_branch .LBB71_348
.LBB71_347:
	v_mov_b32_e32 v42, 0
.LBB71_348:
	v_dual_add_f32 v33, v33, v5 :: v_dual_add_f32 v32, v32, v4
	v_dual_add_f32 v35, v35, v7 :: v_dual_add_f32 v34, v34, v6
	s_delay_alu instid0(VALU_DEP_2) | instskip(NEXT) | instid1(VALU_DEP_2)
	v_min3_f32 v32, v32, v33, v88
	v_min_f32_e32 v33, v34, v35
	s_delay_alu instid0(VALU_DEP_1)
	v_min3_f32 v34, v42, v33, v32
	v_add_co_u32 v32, vcc_lo, v38, v36
	v_add_co_ci_u32_e32 v33, vcc_lo, v39, v37, vcc_lo
	global_store_b32 v[32:33], v34, off
	s_or_b32 exec_lo, exec_lo, s0
	s_and_b32 s1, s1, s8
	s_delay_alu instid0(SALU_CYCLE_1)
	s_and_saveexec_b32 s0, s1
	s_cbranch_execz .LBB71_338
.LBB71_349:
	v_cmp_ne_u32_e32 vcc_lo, 1, v121
	v_lshlrev_b64 v[32:33], 2, v[66:67]
	s_cbranch_vccnz .LBB71_351
; %bb.350:
	s_delay_alu instid0(VALU_DEP_1) | instskip(NEXT) | instid1(VALU_DEP_2)
	v_add_co_u32 v34, vcc_lo, v40, v32
	v_add_co_ci_u32_e32 v35, vcc_lo, v41, v33, vcc_lo
	flat_load_b32 v34, v[34:35]
	s_waitcnt vmcnt(0) lgkmcnt(0)
	v_mul_f32_e32 v34, s24, v34
	s_branch .LBB71_352
.LBB71_351:
	v_mov_b32_e32 v34, 0
.LBB71_352:
	v_dual_add_f32 v29, v29, v5 :: v_dual_add_f32 v28, v28, v4
	v_dual_add_f32 v31, v31, v7 :: v_dual_add_f32 v30, v30, v6
	s_delay_alu instid0(VALU_DEP_2) | instskip(NEXT) | instid1(VALU_DEP_2)
	v_min3_f32 v28, v28, v29, v87
	v_min_f32_e32 v29, v30, v31
	s_delay_alu instid0(VALU_DEP_1)
	v_min3_f32 v30, v34, v29, v28
	v_add_co_u32 v28, vcc_lo, v38, v32
	v_add_co_ci_u32_e32 v29, vcc_lo, v39, v33, vcc_lo
	global_store_b32 v[28:29], v30, off
	s_or_b32 exec_lo, exec_lo, s0
	s_and_b32 s1, s2, s8
	s_delay_alu instid0(SALU_CYCLE_1)
	s_and_saveexec_b32 s0, s1
	s_cbranch_execz .LBB71_339
.LBB71_353:
	v_cmp_ne_u32_e32 vcc_lo, 1, v121
	v_lshlrev_b64 v[28:29], 2, v[68:69]
	s_cbranch_vccnz .LBB71_355
; %bb.354:
	s_delay_alu instid0(VALU_DEP_1) | instskip(NEXT) | instid1(VALU_DEP_2)
	v_add_co_u32 v30, vcc_lo, v40, v28
	v_add_co_ci_u32_e32 v31, vcc_lo, v41, v29, vcc_lo
	flat_load_b32 v30, v[30:31]
	s_waitcnt vmcnt(0) lgkmcnt(0)
	v_mul_f32_e32 v30, s24, v30
	s_branch .LBB71_356
.LBB71_355:
	v_mov_b32_e32 v30, 0
.LBB71_356:
	v_dual_add_f32 v25, v25, v5 :: v_dual_add_f32 v24, v24, v4
	v_dual_add_f32 v27, v27, v7 :: v_dual_add_f32 v26, v26, v6
	s_delay_alu instid0(VALU_DEP_2) | instskip(NEXT) | instid1(VALU_DEP_2)
	v_min3_f32 v24, v24, v25, v86
	v_min_f32_e32 v25, v26, v27
	s_delay_alu instid0(VALU_DEP_1)
	v_min3_f32 v26, v30, v25, v24
	v_add_co_u32 v24, vcc_lo, v38, v28
	v_add_co_ci_u32_e32 v25, vcc_lo, v39, v29, vcc_lo
	global_store_b32 v[24:25], v26, off
	s_or_b32 exec_lo, exec_lo, s0
	s_and_b32 s1, s3, s8
	s_delay_alu instid0(SALU_CYCLE_1)
	s_and_saveexec_b32 s0, s1
	s_cbranch_execz .LBB71_340
.LBB71_357:
	v_cmp_ne_u32_e32 vcc_lo, 1, v121
	v_lshlrev_b64 v[24:25], 2, v[70:71]
	s_cbranch_vccnz .LBB71_359
; %bb.358:
	s_delay_alu instid0(VALU_DEP_1) | instskip(NEXT) | instid1(VALU_DEP_2)
	v_add_co_u32 v26, vcc_lo, v40, v24
	v_add_co_ci_u32_e32 v27, vcc_lo, v41, v25, vcc_lo
	flat_load_b32 v26, v[26:27]
	s_waitcnt vmcnt(0) lgkmcnt(0)
	v_mul_f32_e32 v26, s24, v26
	s_branch .LBB71_360
.LBB71_359:
	v_mov_b32_e32 v26, 0
.LBB71_360:
	v_dual_add_f32 v21, v21, v5 :: v_dual_add_f32 v20, v20, v4
	v_dual_add_f32 v23, v23, v7 :: v_dual_add_f32 v22, v22, v6
	s_delay_alu instid0(VALU_DEP_2) | instskip(NEXT) | instid1(VALU_DEP_2)
	v_min3_f32 v20, v20, v21, v85
	v_min_f32_e32 v21, v22, v23
	s_delay_alu instid0(VALU_DEP_1)
	v_min3_f32 v22, v26, v21, v20
	v_add_co_u32 v20, vcc_lo, v38, v24
	v_add_co_ci_u32_e32 v21, vcc_lo, v39, v25, vcc_lo
	global_store_b32 v[20:21], v22, off
	s_or_b32 exec_lo, exec_lo, s0
	s_and_b32 s1, s4, s8
	s_delay_alu instid0(SALU_CYCLE_1)
	s_and_saveexec_b32 s0, s1
	s_cbranch_execz .LBB71_341
.LBB71_361:
	v_cmp_ne_u32_e32 vcc_lo, 1, v121
	v_lshlrev_b64 v[20:21], 2, v[72:73]
	s_cbranch_vccnz .LBB71_363
; %bb.362:
	s_delay_alu instid0(VALU_DEP_1) | instskip(NEXT) | instid1(VALU_DEP_2)
	v_add_co_u32 v22, vcc_lo, v40, v20
	v_add_co_ci_u32_e32 v23, vcc_lo, v41, v21, vcc_lo
	flat_load_b32 v22, v[22:23]
	s_waitcnt vmcnt(0) lgkmcnt(0)
	v_mul_f32_e32 v22, s24, v22
	s_branch .LBB71_364
.LBB71_363:
	v_mov_b32_e32 v22, 0
.LBB71_364:
	v_dual_add_f32 v17, v17, v5 :: v_dual_add_f32 v16, v16, v4
	v_dual_add_f32 v19, v19, v7 :: v_dual_add_f32 v18, v18, v6
	s_delay_alu instid0(VALU_DEP_2) | instskip(NEXT) | instid1(VALU_DEP_2)
	v_min3_f32 v16, v16, v17, v84
	v_min_f32_e32 v17, v18, v19
	s_delay_alu instid0(VALU_DEP_1)
	v_min3_f32 v18, v22, v17, v16
	v_add_co_u32 v16, vcc_lo, v38, v20
	v_add_co_ci_u32_e32 v17, vcc_lo, v39, v21, vcc_lo
	global_store_b32 v[16:17], v18, off
	s_or_b32 exec_lo, exec_lo, s0
	s_and_b32 s1, s5, s8
	s_delay_alu instid0(SALU_CYCLE_1)
	s_and_saveexec_b32 s0, s1
	s_cbranch_execz .LBB71_342
.LBB71_365:
	v_cmp_ne_u32_e32 vcc_lo, 1, v121
	v_lshlrev_b64 v[16:17], 2, v[74:75]
	s_cbranch_vccnz .LBB71_367
; %bb.366:
	s_delay_alu instid0(VALU_DEP_1) | instskip(NEXT) | instid1(VALU_DEP_2)
	v_add_co_u32 v18, vcc_lo, v40, v16
	v_add_co_ci_u32_e32 v19, vcc_lo, v41, v17, vcc_lo
	flat_load_b32 v18, v[18:19]
	s_waitcnt vmcnt(0) lgkmcnt(0)
	v_mul_f32_e32 v18, s24, v18
	s_branch .LBB71_368
.LBB71_367:
	v_mov_b32_e32 v18, 0
.LBB71_368:
	v_dual_add_f32 v13, v13, v5 :: v_dual_add_f32 v12, v12, v4
	v_dual_add_f32 v15, v15, v7 :: v_dual_add_f32 v14, v14, v6
	s_delay_alu instid0(VALU_DEP_2) | instskip(NEXT) | instid1(VALU_DEP_2)
	v_min3_f32 v12, v12, v13, v83
	v_min_f32_e32 v13, v14, v15
	s_delay_alu instid0(VALU_DEP_1)
	v_min3_f32 v14, v18, v13, v12
	v_add_co_u32 v12, vcc_lo, v38, v16
	v_add_co_ci_u32_e32 v13, vcc_lo, v39, v17, vcc_lo
	global_store_b32 v[12:13], v14, off
	s_or_b32 exec_lo, exec_lo, s0
	s_and_b32 s1, s6, s8
	s_delay_alu instid0(SALU_CYCLE_1)
	s_and_saveexec_b32 s0, s1
	s_cbranch_execz .LBB71_343
.LBB71_369:
	v_cmp_ne_u32_e32 vcc_lo, 1, v121
	v_lshlrev_b64 v[12:13], 2, v[76:77]
	s_cbranch_vccnz .LBB71_371
; %bb.370:
	s_delay_alu instid0(VALU_DEP_1) | instskip(NEXT) | instid1(VALU_DEP_2)
	v_add_co_u32 v14, vcc_lo, v40, v12
	v_add_co_ci_u32_e32 v15, vcc_lo, v41, v13, vcc_lo
	flat_load_b32 v14, v[14:15]
	s_waitcnt vmcnt(0) lgkmcnt(0)
	v_mul_f32_e32 v14, s24, v14
	s_branch .LBB71_372
.LBB71_371:
	v_mov_b32_e32 v14, 0
.LBB71_372:
	v_dual_add_f32 v9, v9, v5 :: v_dual_add_f32 v8, v8, v4
	v_dual_add_f32 v11, v11, v7 :: v_dual_add_f32 v10, v10, v6
	s_delay_alu instid0(VALU_DEP_2) | instskip(NEXT) | instid1(VALU_DEP_2)
	v_min3_f32 v8, v8, v9, v82
	v_min_f32_e32 v9, v10, v11
	s_delay_alu instid0(VALU_DEP_1)
	v_min3_f32 v10, v14, v9, v8
	v_add_co_u32 v8, vcc_lo, v38, v12
	v_add_co_ci_u32_e32 v9, vcc_lo, v39, v13, vcc_lo
	global_store_b32 v[8:9], v10, off
	s_or_b32 exec_lo, exec_lo, s0
	s_and_b32 s0, s7, s8
	s_delay_alu instid0(SALU_CYCLE_1)
	s_and_saveexec_b32 s1, s0
	s_cbranch_execz .LBB71_344
.LBB71_373:
	v_cmp_ne_u32_e32 vcc_lo, 1, v121
	v_lshlrev_b64 v[8:9], 2, v[78:79]
	s_cbranch_vccnz .LBB71_375
; %bb.374:
	s_delay_alu instid0(VALU_DEP_1) | instskip(NEXT) | instid1(VALU_DEP_2)
	v_add_co_u32 v10, vcc_lo, v40, v8
	v_add_co_ci_u32_e32 v11, vcc_lo, v41, v9, vcc_lo
	flat_load_b32 v10, v[10:11]
	s_waitcnt vmcnt(0) lgkmcnt(0)
	v_mul_f32_e32 v10, s24, v10
	s_branch .LBB71_376
.LBB71_375:
	v_mov_b32_e32 v10, 0
.LBB71_376:
	v_dual_add_f32 v1, v1, v5 :: v_dual_add_f32 v0, v0, v4
	v_dual_add_f32 v3, v3, v7 :: v_dual_add_f32 v2, v2, v6
	s_delay_alu instid0(VALU_DEP_2) | instskip(NEXT) | instid1(VALU_DEP_2)
	v_min3_f32 v0, v0, v1, v92
	v_min_f32_e32 v1, v2, v3
	s_delay_alu instid0(VALU_DEP_1)
	v_min3_f32 v2, v10, v1, v0
	v_add_co_u32 v0, vcc_lo, v38, v8
	v_add_co_ci_u32_e32 v1, vcc_lo, v39, v9, vcc_lo
	global_store_b32 v[0:1], v2, off
	s_nop 0
	s_sendmsg sendmsg(MSG_DEALLOC_VGPRS)
	s_endpgm
	.section	.rodata,"a",@progbits
	.p2align	6, 0x0
	.amdhsa_kernel _ZN12_GLOBAL__N_120geam_min_plus_kernelIf15HIP_vector_typeIfLj2EEfLi8ELi32ELi64ELi256ELi4ELi64ELi4ELi64ELi4ELc78ELc84ELb0ELb1ELb1EfKffEEviiiT16_PT17_ilS6_ilS4_S6_ilPT18_ili26rocblas_geam_ex_operation_
		.amdhsa_group_segment_fixed_size 10240
		.amdhsa_private_segment_fixed_size 0
		.amdhsa_kernarg_size 128
		.amdhsa_user_sgpr_count 14
		.amdhsa_user_sgpr_dispatch_ptr 0
		.amdhsa_user_sgpr_queue_ptr 0
		.amdhsa_user_sgpr_kernarg_segment_ptr 1
		.amdhsa_user_sgpr_dispatch_id 0
		.amdhsa_user_sgpr_private_segment_size 0
		.amdhsa_wavefront_size32 1
		.amdhsa_uses_dynamic_stack 0
		.amdhsa_enable_private_segment 0
		.amdhsa_system_sgpr_workgroup_id_x 1
		.amdhsa_system_sgpr_workgroup_id_y 0
		.amdhsa_system_sgpr_workgroup_id_z 1
		.amdhsa_system_sgpr_workgroup_info 0
		.amdhsa_system_vgpr_workitem_id 1
		.amdhsa_next_free_vgpr 200
		.amdhsa_next_free_sgpr 35
		.amdhsa_reserve_vcc 1
		.amdhsa_float_round_mode_32 0
		.amdhsa_float_round_mode_16_64 0
		.amdhsa_float_denorm_mode_32 3
		.amdhsa_float_denorm_mode_16_64 3
		.amdhsa_dx10_clamp 1
		.amdhsa_ieee_mode 1
		.amdhsa_fp16_overflow 0
		.amdhsa_workgroup_processor_mode 1
		.amdhsa_memory_ordered 1
		.amdhsa_forward_progress 0
		.amdhsa_shared_vgpr_count 0
		.amdhsa_exception_fp_ieee_invalid_op 0
		.amdhsa_exception_fp_denorm_src 0
		.amdhsa_exception_fp_ieee_div_zero 0
		.amdhsa_exception_fp_ieee_overflow 0
		.amdhsa_exception_fp_ieee_underflow 0
		.amdhsa_exception_fp_ieee_inexact 0
		.amdhsa_exception_int_div_zero 0
	.end_amdhsa_kernel
	.section	.text._ZN12_GLOBAL__N_120geam_min_plus_kernelIf15HIP_vector_typeIfLj2EEfLi8ELi32ELi64ELi256ELi4ELi64ELi4ELi64ELi4ELc78ELc84ELb0ELb1ELb1EfKffEEviiiT16_PT17_ilS6_ilS4_S6_ilPT18_ili26rocblas_geam_ex_operation_,"axG",@progbits,_ZN12_GLOBAL__N_120geam_min_plus_kernelIf15HIP_vector_typeIfLj2EEfLi8ELi32ELi64ELi256ELi4ELi64ELi4ELi64ELi4ELc78ELc84ELb0ELb1ELb1EfKffEEviiiT16_PT17_ilS6_ilS4_S6_ilPT18_ili26rocblas_geam_ex_operation_,comdat
.Lfunc_end71:
	.size	_ZN12_GLOBAL__N_120geam_min_plus_kernelIf15HIP_vector_typeIfLj2EEfLi8ELi32ELi64ELi256ELi4ELi64ELi4ELi64ELi4ELc78ELc84ELb0ELb1ELb1EfKffEEviiiT16_PT17_ilS6_ilS4_S6_ilPT18_ili26rocblas_geam_ex_operation_, .Lfunc_end71-_ZN12_GLOBAL__N_120geam_min_plus_kernelIf15HIP_vector_typeIfLj2EEfLi8ELi32ELi64ELi256ELi4ELi64ELi4ELi64ELi4ELc78ELc84ELb0ELb1ELb1EfKffEEviiiT16_PT17_ilS6_ilS4_S6_ilPT18_ili26rocblas_geam_ex_operation_
                                        ; -- End function
	.section	.AMDGPU.csdata,"",@progbits
; Kernel info:
; codeLenInByte = 21156
; NumSgprs: 37
; NumVgprs: 200
; ScratchSize: 0
; MemoryBound: 0
; FloatMode: 240
; IeeeMode: 1
; LDSByteSize: 10240 bytes/workgroup (compile time only)
; SGPRBlocks: 4
; VGPRBlocks: 24
; NumSGPRsForWavesPerEU: 37
; NumVGPRsForWavesPerEU: 200
; Occupancy: 7
; WaveLimiterHint : 0
; COMPUTE_PGM_RSRC2:SCRATCH_EN: 0
; COMPUTE_PGM_RSRC2:USER_SGPR: 14
; COMPUTE_PGM_RSRC2:TRAP_HANDLER: 0
; COMPUTE_PGM_RSRC2:TGID_X_EN: 1
; COMPUTE_PGM_RSRC2:TGID_Y_EN: 0
; COMPUTE_PGM_RSRC2:TGID_Z_EN: 1
; COMPUTE_PGM_RSRC2:TIDIG_COMP_CNT: 1
	.section	.text._ZN12_GLOBAL__N_120geam_min_plus_kernelIf15HIP_vector_typeIfLj2EEfLi8ELi32ELi64ELi256ELi4ELi4ELi64ELi64ELi4ELc84ELc84ELb0ELb0ELb1EPKfS3_fEEviiiT16_PT17_ilS7_ilS5_S7_ilPT18_ili26rocblas_geam_ex_operation_,"axG",@progbits,_ZN12_GLOBAL__N_120geam_min_plus_kernelIf15HIP_vector_typeIfLj2EEfLi8ELi32ELi64ELi256ELi4ELi4ELi64ELi64ELi4ELc84ELc84ELb0ELb0ELb1EPKfS3_fEEviiiT16_PT17_ilS7_ilS5_S7_ilPT18_ili26rocblas_geam_ex_operation_,comdat
	.globl	_ZN12_GLOBAL__N_120geam_min_plus_kernelIf15HIP_vector_typeIfLj2EEfLi8ELi32ELi64ELi256ELi4ELi4ELi64ELi64ELi4ELc84ELc84ELb0ELb0ELb1EPKfS3_fEEviiiT16_PT17_ilS7_ilS5_S7_ilPT18_ili26rocblas_geam_ex_operation_ ; -- Begin function _ZN12_GLOBAL__N_120geam_min_plus_kernelIf15HIP_vector_typeIfLj2EEfLi8ELi32ELi64ELi256ELi4ELi4ELi64ELi64ELi4ELc84ELc84ELb0ELb0ELb1EPKfS3_fEEviiiT16_PT17_ilS7_ilS5_S7_ilPT18_ili26rocblas_geam_ex_operation_
	.p2align	8
	.type	_ZN12_GLOBAL__N_120geam_min_plus_kernelIf15HIP_vector_typeIfLj2EEfLi8ELi32ELi64ELi256ELi4ELi4ELi64ELi64ELi4ELc84ELc84ELb0ELb0ELb1EPKfS3_fEEviiiT16_PT17_ilS7_ilS5_S7_ilPT18_ili26rocblas_geam_ex_operation_,@function
_ZN12_GLOBAL__N_120geam_min_plus_kernelIf15HIP_vector_typeIfLj2EEfLi8ELi32ELi64ELi256ELi4ELi4ELi64ELi64ELi4ELc84ELc84ELb0ELb0ELb1EPKfS3_fEEviiiT16_PT17_ilS7_ilS5_S7_ilPT18_ili26rocblas_geam_ex_operation_: ; @_ZN12_GLOBAL__N_120geam_min_plus_kernelIf15HIP_vector_typeIfLj2EEfLi8ELi32ELi64ELi256ELi4ELi4ELi64ELi64ELi4ELc84ELc84ELb0ELb0ELb1EPKfS3_fEEviiiT16_PT17_ilS7_ilS5_S7_ilPT18_ili26rocblas_geam_ex_operation_
; %bb.0:
	s_clause 0x1
	s_load_b128 s[16:19], s[0:1], 0x10
	s_load_b128 s[4:7], s[0:1], 0x28
	s_mov_b32 s12, s15
	s_mov_b32 s13, 0
	s_delay_alu instid0(SALU_CYCLE_1)
	s_lshl_b64 s[2:3], s[12:13], 2
	s_waitcnt lgkmcnt(0)
	s_add_u32 s8, s16, s2
	s_addc_u32 s9, s17, s3
	s_mov_b64 s[16:17], 0
	s_load_b32 s22, s[8:9], 0x0
	s_clause 0x1
	s_load_b128 s[8:11], s[0:1], 0x40
	s_load_b64 s[20:21], s[0:1], 0x50
	s_waitcnt lgkmcnt(0)
	v_cmp_eq_f32_e64 s13, s22, 0
	v_cmp_neq_f32_e64 s15, s22, 0
	s_add_u32 s2, s10, s2
	s_addc_u32 s3, s11, s3
	s_mov_b64 s[10:11], 0
	s_and_b32 vcc_lo, exec_lo, s13
	s_cbranch_vccnz .LBB72_2
; %bb.1:
	s_mul_i32 s5, s12, s5
	s_mul_hi_u32 s13, s12, s4
	s_mul_i32 s4, s12, s4
	s_add_i32 s5, s13, s5
	s_delay_alu instid0(SALU_CYCLE_1) | instskip(NEXT) | instid1(SALU_CYCLE_1)
	s_lshl_b64 s[4:5], s[4:5], 2
	s_add_u32 s16, s18, s4
	s_addc_u32 s17, s19, s5
.LBB72_2:
	s_load_b32 s13, s[2:3], 0x0
	v_cndmask_b32_e64 v1, 0, 1, s15
	s_and_not1_b32 vcc_lo, exec_lo, s15
	s_delay_alu instid0(VALU_DEP_1)
	v_cmp_ne_u32_e64 s3, 1, v1
	s_cbranch_vccnz .LBB72_4
; %bb.3:
	s_mul_i32 s2, s12, s9
	s_mul_hi_u32 s4, s12, s8
	s_delay_alu instid0(SALU_CYCLE_1) | instskip(SKIP_1) | instid1(SALU_CYCLE_1)
	s_add_i32 s5, s4, s2
	s_mul_i32 s4, s12, s8
	s_lshl_b64 s[4:5], s[4:5], 2
	s_delay_alu instid0(SALU_CYCLE_1)
	s_add_u32 s10, s6, s4
	s_addc_u32 s11, s7, s5
.LBB72_4:
	s_load_b128 s[4:7], s[0:1], 0x60
	s_waitcnt lgkmcnt(0)
	v_cmp_eq_f32_e64 s2, s13, 0
	s_delay_alu instid0(VALU_DEP_1) | instskip(NEXT) | instid1(SALU_CYCLE_1)
	s_and_b32 s2, exec_lo, s2
	s_mov_b32 vcc_lo, s2
	s_cbranch_vccnz .LBB72_6
; %bb.5:
	s_mul_i32 s5, s12, s5
	s_mul_hi_u32 s8, s12, s4
	s_mul_i32 s4, s12, s4
	s_add_i32 s5, s8, s5
	s_delay_alu instid0(SALU_CYCLE_1) | instskip(NEXT) | instid1(SALU_CYCLE_1)
	s_lshl_b64 s[4:5], s[4:5], 2
	s_add_u32 s4, s20, s4
	s_addc_u32 s5, s21, s5
	s_branch .LBB72_7
.LBB72_6:
	s_mov_b64 s[4:5], 0
.LBB72_7:
	s_clause 0x1
	s_load_b32 s8, s[0:1], 0x0
	s_load_b32 s19, s[0:1], 0x20
	v_and_b32_e32 v150, 0x3ff, v0
	v_bfe_u32 v152, v0, 10, 10
	s_delay_alu instid0(VALU_DEP_1) | instskip(NEXT) | instid1(VALU_DEP_1)
	v_lshl_add_u32 v0, v152, 3, v150
	v_lshrrev_b32_e32 v14, 2, v0
	s_waitcnt lgkmcnt(0)
	s_add_i32 s8, s8, -1
	s_delay_alu instid0(SALU_CYCLE_1) | instskip(NEXT) | instid1(SALU_CYCLE_1)
	s_ashr_i32 s9, s8, 31
	s_lshr_b32 s9, s9, 26
	s_delay_alu instid0(SALU_CYCLE_1) | instskip(NEXT) | instid1(SALU_CYCLE_1)
	s_add_i32 s8, s8, s9
	s_ashr_i32 s8, s8, 6
	s_delay_alu instid0(SALU_CYCLE_1) | instskip(SKIP_2) | instid1(VALU_DEP_1)
	s_add_i32 s15, s8, 1
	s_not_b32 s8, s8
	v_cvt_f32_u32_e32 v1, s15
	v_rcp_iflag_f32_e32 v1, v1
	s_waitcnt_depctr 0xfff
	v_mul_f32_e32 v1, 0x4f7ffffe, v1
	s_delay_alu instid0(VALU_DEP_1) | instskip(NEXT) | instid1(VALU_DEP_1)
	v_cvt_u32_f32_e32 v1, v1
	v_readfirstlane_b32 s9, v1
	v_and_b32_e32 v1, 3, v150
	s_delay_alu instid0(VALU_DEP_2) | instskip(NEXT) | instid1(VALU_DEP_1)
	s_mul_i32 s8, s8, s9
	v_lshlrev_b32_e32 v12, 2, v1
	s_mul_hi_u32 s8, s9, s8
	s_delay_alu instid0(SALU_CYCLE_1) | instskip(NEXT) | instid1(SALU_CYCLE_1)
	s_add_i32 s9, s9, s8
	s_mul_hi_u32 s8, s14, s9
	s_delay_alu instid0(SALU_CYCLE_1) | instskip(SKIP_2) | instid1(SALU_CYCLE_1)
	s_mul_i32 s9, s8, s15
	s_add_i32 s18, s8, 1
	s_sub_i32 s9, s14, s9
	s_sub_i32 s20, s9, s15
	s_cmp_ge_u32 s9, s15
	s_cselect_b32 s8, s18, s8
	s_cselect_b32 s9, s20, s9
	s_add_i32 s18, s8, 1
	s_cmp_ge_u32 s9, s15
	s_cselect_b32 s9, s18, s8
	s_and_b32 vcc_lo, exec_lo, s3
	s_mul_i32 s20, s9, s15
	s_delay_alu instid0(SALU_CYCLE_1) | instskip(NEXT) | instid1(SALU_CYCLE_1)
	s_sub_i32 s8, s14, s20
	s_lshl_b32 s15, s8, 6
	s_delay_alu instid0(SALU_CYCLE_1)
	v_add_nc_u32_e32 v7, s15, v14
	s_cbranch_vccnz .LBB72_9
; %bb.8:
	s_delay_alu instid0(VALU_DEP_1) | instskip(NEXT) | instid1(VALU_DEP_1)
	v_mad_i64_i32 v[1:2], null, v7, s19, 0
	v_lshlrev_b64 v[1:2], 2, v[1:2]
	s_delay_alu instid0(VALU_DEP_1) | instskip(NEXT) | instid1(VALU_DEP_2)
	v_add_co_u32 v1, vcc_lo, s16, v1
	v_add_co_ci_u32_e32 v2, vcc_lo, s17, v2, vcc_lo
	s_delay_alu instid0(VALU_DEP_2) | instskip(NEXT) | instid1(VALU_DEP_2)
	v_add_co_u32 v1, vcc_lo, v1, v12
	v_add_co_ci_u32_e32 v2, vcc_lo, 0, v2, vcc_lo
	flat_load_b32 v1, v[1:2]
	s_waitcnt vmcnt(0) lgkmcnt(0)
	v_mul_f32_e32 v2, s22, v1
	s_branch .LBB72_10
.LBB72_9:
	v_mov_b32_e32 v2, 0
.LBB72_10:
	s_load_b32 s8, s[0:1], 0x38
	v_lshrrev_b32_e32 v13, 6, v0
	v_and_b32_e32 v15, 63, v0
	s_lshl_b32 s18, s9, 8
	s_delay_alu instid0(VALU_DEP_1) | instid1(SALU_CYCLE_1)
	v_or_b32_e32 v0, s18, v15
	s_delay_alu instid0(VALU_DEP_1) | instskip(SKIP_3) | instid1(VALU_DEP_1)
	v_ashrrev_i32_e32 v1, 31, v0
	s_waitcnt lgkmcnt(0)
	v_mad_i64_i32 v[3:4], null, s8, v13, 0
	s_ashr_i32 s9, s8, 31
	v_lshlrev_b64 v[3:4], 2, v[3:4]
	s_delay_alu instid0(VALU_DEP_1) | instskip(NEXT) | instid1(VALU_DEP_2)
	v_add_co_u32 v5, vcc_lo, s10, v3
	v_add_co_ci_u32_e32 v6, vcc_lo, s11, v4, vcc_lo
	s_and_b32 vcc_lo, exec_lo, s3
	s_cbranch_vccnz .LBB72_14
; %bb.11:
	v_lshlrev_b64 v[3:4], 2, v[0:1]
	s_delay_alu instid0(VALU_DEP_1) | instskip(NEXT) | instid1(VALU_DEP_2)
	v_add_co_u32 v3, vcc_lo, v5, v3
	v_add_co_ci_u32_e32 v4, vcc_lo, v6, v4, vcc_lo
	s_clause 0x1
	flat_load_b32 v8, v[3:4]
	flat_load_b32 v4, v[3:4] offset:256
	s_waitcnt vmcnt(1) lgkmcnt(1)
	v_mul_f32_e32 v3, s22, v8
	s_waitcnt vmcnt(0) lgkmcnt(0)
	v_mul_f32_e32 v4, s22, v4
	s_and_b32 vcc_lo, exec_lo, s3
	s_cbranch_vccnz .LBB72_15
.LBB72_12:
	v_lshlrev_b64 v[8:9], 2, v[0:1]
	s_delay_alu instid0(VALU_DEP_1) | instskip(NEXT) | instid1(VALU_DEP_2)
	v_add_co_u32 v5, vcc_lo, v5, v8
	v_add_co_ci_u32_e32 v6, vcc_lo, v6, v9, vcc_lo
	s_clause 0x1
	flat_load_b32 v8, v[5:6] offset:512
	flat_load_b32 v6, v[5:6] offset:768
	s_waitcnt vmcnt(0) lgkmcnt(0)
	v_dual_mul_f32 v5, s22, v8 :: v_dual_mul_f32 v6, s22, v6
	s_and_b32 vcc_lo, exec_lo, s3
	s_cbranch_vccnz .LBB72_16
.LBB72_13:
	v_mad_i64_i32 v[8:9], null, v7, s19, 0
	s_delay_alu instid0(VALU_DEP_1) | instskip(NEXT) | instid1(VALU_DEP_1)
	v_lshlrev_b64 v[7:8], 2, v[8:9]
	v_add_co_u32 v7, vcc_lo, s16, v7
	s_delay_alu instid0(VALU_DEP_2) | instskip(NEXT) | instid1(VALU_DEP_2)
	v_add_co_ci_u32_e32 v8, vcc_lo, s17, v8, vcc_lo
	v_add_co_u32 v7, vcc_lo, v7, v12
	s_delay_alu instid0(VALU_DEP_2)
	v_add_co_ci_u32_e32 v8, vcc_lo, 0, v8, vcc_lo
	flat_load_b32 v7, v[7:8] offset:16
	s_waitcnt vmcnt(0) lgkmcnt(0)
	v_mul_f32_e32 v7, s22, v7
	s_branch .LBB72_17
.LBB72_14:
	v_dual_mov_b32 v3, 0 :: v_dual_mov_b32 v4, 0
	s_and_b32 vcc_lo, exec_lo, s3
	s_cbranch_vccz .LBB72_12
.LBB72_15:
	v_dual_mov_b32 v5, 0 :: v_dual_mov_b32 v6, 0
	s_and_b32 vcc_lo, exec_lo, s3
	s_cbranch_vccz .LBB72_13
.LBB72_16:
	v_mov_b32_e32 v7, 0
.LBB72_17:
	v_add_nc_u32_e32 v9, 4, v13
	scratch_store_b32 off, v7, off          ; 4-byte Folded Spill
	v_mad_i64_i32 v[7:8], null, s8, v9, 0
	s_delay_alu instid0(VALU_DEP_1) | instskip(NEXT) | instid1(VALU_DEP_1)
	v_lshlrev_b64 v[7:8], 2, v[7:8]
	v_add_co_u32 v7, vcc_lo, s10, v7
	s_delay_alu instid0(VALU_DEP_2)
	v_add_co_ci_u32_e32 v8, vcc_lo, s11, v8, vcc_lo
	s_and_b32 vcc_lo, exec_lo, s3
	s_cbranch_vccnz .LBB72_20
; %bb.18:
	v_lshlrev_b64 v[9:10], 2, v[0:1]
	s_delay_alu instid0(VALU_DEP_1) | instskip(NEXT) | instid1(VALU_DEP_2)
	v_add_co_u32 v9, vcc_lo, v7, v9
	v_add_co_ci_u32_e32 v10, vcc_lo, v8, v10, vcc_lo
	s_clause 0x1
	flat_load_b32 v11, v[9:10]
	flat_load_b32 v9, v[9:10] offset:256
	s_waitcnt vmcnt(0) lgkmcnt(0)
	v_dual_mul_f32 v10, s22, v11 :: v_dual_mul_f32 v9, s22, v9
	scratch_store_b32 off, v10, off offset:4 ; 4-byte Folded Spill
	s_and_b32 vcc_lo, exec_lo, s3
	scratch_store_b32 off, v9, off offset:8 ; 4-byte Folded Spill
	s_cbranch_vccnz .LBB72_21
.LBB72_19:
	v_lshlrev_b64 v[0:1], 2, v[0:1]
	s_delay_alu instid0(VALU_DEP_1) | instskip(NEXT) | instid1(VALU_DEP_2)
	v_add_co_u32 v0, vcc_lo, v7, v0
	v_add_co_ci_u32_e32 v1, vcc_lo, v8, v1, vcc_lo
	s_clause 0x1
	flat_load_b32 v7, v[0:1] offset:512
	flat_load_b32 v0, v[0:1] offset:768
	s_waitcnt vmcnt(0) lgkmcnt(0)
	v_dual_mul_f32 v1, s22, v7 :: v_dual_mul_f32 v0, s22, v0
	scratch_store_b32 off, v1, off offset:12 ; 4-byte Folded Spill
	s_branch .LBB72_22
.LBB72_20:
	v_mov_b32_e32 v9, 0
	scratch_store_b32 off, v9, off offset:4 ; 4-byte Folded Spill
	v_mov_b32_e32 v9, 0
	s_and_b32 vcc_lo, exec_lo, s3
	scratch_store_b32 off, v9, off offset:8 ; 4-byte Folded Spill
	s_cbranch_vccz .LBB72_19
.LBB72_21:
	v_mov_b32_e32 v0, 0
	scratch_store_b32 off, v0, off offset:12 ; 4-byte Folded Spill
	v_mov_b32_e32 v0, 0
.LBB72_22:
	v_lshl_or_b32 v1, v14, 4, v12
	scratch_store_b32 off, v0, off offset:16 ; 4-byte Folded Spill
	v_lshlrev_b32_e32 v0, 2, v13
	v_lshlrev_b32_e32 v72, 4, v152
	v_lshlrev_b32_e32 v200, 4, v150
	scratch_store_b32 off, v1, off offset:20 ; 4-byte Folded Spill
	s_load_b32 s21, s[0:1], 0x8
	v_lshl_add_u32 v74, v15, 4, v0
	ds_store_b32 v1, v2 offset:8192
	ds_store_2addr_stride64_b32 v74, v3, v4 offset1:4
	ds_store_2addr_stride64_b32 v74, v5, v6 offset0:8 offset1:12
	s_waitcnt lgkmcnt(0)
	s_waitcnt_vscnt null, 0x0
	s_barrier
	buffer_gl0_inv
	ds_load_b128 v[26:29], v72
	ds_load_b128 v[0:3], v200 offset:8192
	s_clause 0x3
	scratch_store_b32 off, v12, off offset:60
	scratch_store_b32 off, v13, off offset:64
	;; [unrolled: 1-line block ×4, first 2 shown]
	ds_load_b128 v[12:15], v200 offset:8320
	ds_load_b128 v[8:11], v200 offset:8448
	;; [unrolled: 1-line block ×4, first 2 shown]
	s_cmp_lt_i32 s21, 9
	s_waitcnt lgkmcnt(3)
	v_add_f32_e32 v135, v15, v29
	v_dual_add_f32 v17, v1, v27 :: v_dual_add_f32 v144, v0, v26
	s_waitcnt lgkmcnt(2)
	v_dual_add_f32 v145, v8, v26 :: v_dual_add_f32 v128, v2, v28
	s_waitcnt lgkmcnt(0)
	v_dual_add_f32 v83, v14, v28 :: v_dual_add_f32 v90, v12, v30
	scratch_store_b32 off, v17, off offset:24 ; 4-byte Folded Spill
	v_add_f32_e32 v17, v13, v27
	v_dual_add_f32 v81, v10, v28 :: v_dual_add_f32 v92, v8, v30
	v_dual_add_f32 v85, v6, v28 :: v_dual_add_f32 v94, v4, v30
	scratch_store_b32 off, v17, off offset:28 ; 4-byte Folded Spill
	v_dual_add_f32 v17, v9, v27 :: v_dual_add_f32 v136, v11, v29
	v_dual_add_f32 v88, v0, v30 :: v_dual_add_f32 v89, v13, v31
	v_add_f32_e32 v104, v2, v32
	scratch_store_b32 off, v17, off offset:32 ; 4-byte Folded Spill
	v_add_f32_e32 v17, v5, v27
	v_dual_add_f32 v91, v9, v31 :: v_dual_add_f32 v106, v14, v32
	v_dual_add_f32 v93, v5, v31 :: v_dual_add_f32 v108, v10, v32
	scratch_store_b32 off, v17, off offset:36 ; 4-byte Folded Spill
	v_add_f32_e32 v17, v4, v26
	v_add_f32_e32 v105, v15, v33
	;; [unrolled: 1-line block ×3, first 2 shown]
	v_dual_add_f32 v109, v7, v33 :: v_dual_add_f32 v110, v6, v32
	scratch_store_b32 off, v17, off offset:40 ; 4-byte Folded Spill
	ds_load_b128 v[34:37], v200 offset:8704
	ds_load_b128 v[38:41], v200 offset:8832
	v_add_f32_e32 v142, v12, v26
	v_add_f32_e32 v130, v7, v29
	s_waitcnt lgkmcnt(1)
	v_dual_add_f32 v143, v35, v27 :: v_dual_add_f32 v140, v34, v26
	s_waitcnt lgkmcnt(0)
	v_add_f32_e32 v17, v39, v27
	v_dual_add_f32 v131, v37, v29 :: v_dual_add_f32 v96, v34, v30
	v_dual_add_f32 v129, v36, v28 :: v_dual_add_f32 v98, v38, v30
	scratch_store_b32 off, v17, off offset:44 ; 4-byte Folded Spill
	v_add_f32_e32 v17, v38, v26
	v_add_f32_e32 v95, v35, v31
	v_dual_add_f32 v97, v39, v31 :: v_dual_add_f32 v112, v36, v32
	v_add_f32_e32 v111, v37, v33
	scratch_store_b32 off, v17, off offset:48 ; 4-byte Folded Spill
	ds_load_b128 v[42:45], v200 offset:8960
	ds_load_b128 v[46:49], v200 offset:9088
	v_add_f32_e32 v147, v3, v29
	v_add_f32_e32 v87, v1, v31
	;; [unrolled: 1-line block ×7, first 2 shown]
	s_waitcnt lgkmcnt(0)
	v_dual_add_f32 v84, v44, v28 :: v_dual_add_f32 v17, v47, v27
	v_dual_add_f32 v134, v49, v29 :: v_dual_add_f32 v141, v43, v27
	v_add_f32_e32 v137, v42, v26
	v_dual_add_f32 v133, v45, v29 :: v_dual_add_f32 v100, v42, v30
	scratch_store_b32 off, v17, off offset:52 ; 4-byte Folded Spill
	v_dual_add_f32 v17, v46, v26 :: v_dual_add_f32 v86, v48, v28
	v_add_f32_e32 v99, v43, v31
	v_dual_add_f32 v101, v47, v31 :: v_dual_add_f32 v116, v44, v32
	scratch_store_b32 off, v17, off offset:56 ; 4-byte Folded Spill
	v_dual_add_f32 v102, v46, v30 :: v_dual_add_f32 v115, v45, v33
	v_dual_add_f32 v117, v49, v33 :: v_dual_add_f32 v118, v48, v32
	ds_load_b128 v[26:29], v72 offset:1024
	ds_load_b128 v[30:33], v72 offset:1536
	s_waitcnt lgkmcnt(1)
	v_add_f32_e32 v80, v47, v27
	v_dual_add_f32 v119, v1, v27 :: v_dual_add_f32 v126, v3, v29
	v_dual_add_f32 v120, v0, v26 :: v_dual_add_f32 v121, v13, v27
	v_add_f32_e32 v154, v15, v29
	v_dual_add_f32 v122, v12, v26 :: v_dual_add_f32 v123, v9, v27
	v_add_f32_e32 v156, v11, v29
	;; [unrolled: 2-line block ×4, first 2 shown]
	v_add_f32_e32 v146, v34, v26
	v_dual_add_f32 v78, v39, v27 :: v_dual_add_f32 v149, v38, v26
	v_dual_add_f32 v162, v41, v29 :: v_dual_add_f32 v79, v43, v27
	;; [unrolled: 1-line block ×4, first 2 shown]
	s_waitcnt lgkmcnt(0)
	v_dual_add_f32 v168, v1, v31 :: v_dual_add_f32 v127, v2, v28
	v_dual_add_f32 v170, v13, v31 :: v_dual_add_f32 v155, v14, v28
	;; [unrolled: 1-line block ×16, first 2 shown]
	v_add_f32_e32 v185, v2, v32
	v_add_f32_e32 v187, v14, v32
	;; [unrolled: 1-line block ×8, first 2 shown]
	ds_load_b128 v[26:29], v72 offset:2048
	ds_load_b128 v[30:33], v72 offset:2560
	s_waitcnt lgkmcnt(1)
	v_add_f32_e32 v148, v1, v27
	s_waitcnt lgkmcnt(0)
	v_dual_add_f32 v240, v35, v31 :: v_dual_add_f32 v201, v0, v26
	v_add_f32_e32 v216, v3, v29
	v_dual_add_f32 v202, v13, v27 :: v_dual_add_f32 v203, v12, v26
	v_add_f32_e32 v218, v15, v29
	;; [unrolled: 2-line block ×7, first 2 shown]
	v_dual_add_f32 v214, v47, v27 :: v_dual_add_f32 v215, v46, v26
	v_dual_add_f32 v230, v49, v29 :: v_dual_add_f32 v217, v2, v28
	;; [unrolled: 1-line block ×17, first 2 shown]
	v_add_f32_e32 v249, v2, v32
	v_add_f32_e32 v251, v14, v32
	;; [unrolled: 1-line block ×8, first 2 shown]
	ds_load_b128 v[26:29], v72 offset:3072
	ds_load_b128 v[30:33], v72 offset:3584
	s_waitcnt lgkmcnt(1)
	v_add_f32_e32 v24, v14, v28
	v_add_f32_e32 v54, v0, v26
	v_dual_add_f32 v51, v12, v26 :: v_dual_add_f32 v64, v3, v29
	v_dual_add_f32 v55, v8, v26 :: v_dual_add_f32 v68, v6, v28
	v_add_f32_e32 v22, v4, v26
	v_add_f32_e32 v60, v34, v26
	;; [unrolled: 1-line block ×3, first 2 shown]
	s_waitcnt lgkmcnt(0)
	v_dual_add_f32 v23, v43, v27 :: v_dual_add_f32 v0, v0, v30
	v_add_f32_e32 v62, v42, v26
	v_add_f32_e32 v26, v46, v26
	v_dual_add_f32 v63, v2, v28 :: v_dual_add_f32 v12, v12, v30
	v_dual_add_f32 v65, v15, v29 :: v_dual_add_f32 v14, v14, v32
	;; [unrolled: 1-line block ×3, first 2 shown]
	v_add_f32_e32 v17, v7, v29
	v_dual_add_f32 v67, v37, v29 :: v_dual_add_f32 v4, v4, v30
	v_dual_add_f32 v69, v36, v28 :: v_dual_add_f32 v34, v34, v30
	;; [unrolled: 1-line block ×7, first 2 shown]
	scratch_load_b32 v46, off, off offset:24 ; 4-byte Folded Reload
	v_add_f32_e32 v52, v1, v27
	v_add_f32_e32 v56, v13, v27
	v_dual_add_f32 v53, v9, v27 :: v_dual_add_f32 v66, v10, v28
	v_dual_add_f32 v57, v5, v27 :: v_dual_add_f32 v198, v40, v28
	v_add_f32_e32 v58, v35, v27
	v_dual_add_f32 v59, v39, v27 :: v_dual_add_f32 v16, v44, v28
	v_dual_add_f32 v27, v47, v27 :: v_dual_add_f32 v2, v2, v32
	;; [unrolled: 1-line block ×4, first 2 shown]
	v_add_f32_e32 v9, v9, v31
	v_add_f32_e32 v5, v5, v31
	;; [unrolled: 1-line block ×6, first 2 shown]
	v_min3_f32 v0, v0, v1, 0x7f7fffff
	v_dual_add_f32 v11, v11, v33 :: v_dual_add_f32 v10, v10, v32
	v_dual_add_f32 v32, v48, v32 :: v_dual_add_f32 v7, v7, v33
	v_add_f32_e32 v37, v37, v33
	v_add_f32_e32 v41, v41, v33
	;; [unrolled: 1-line block ×3, first 2 shown]
	v_dual_add_f32 v33, v49, v33 :: v_dual_add_f32 v28, v48, v28
	s_waitcnt vmcnt(0)
	v_min3_f32 v46, v144, v46, 0x7f7fffff
	s_delay_alu instid0(VALU_DEP_1) | instskip(SKIP_3) | instid1(VALU_DEP_1)
	v_min3_f32 v147, v128, v147, v46
	scratch_load_b32 v46, off, off offset:28 ; 4-byte Folded Reload
	s_waitcnt vmcnt(0)
	v_min3_f32 v46, v142, v46, 0x7f7fffff
	v_min3_f32 v144, v83, v135, v46
	scratch_load_b32 v46, off, off offset:32 ; 4-byte Folded Reload
	s_waitcnt vmcnt(0)
	v_min3_f32 v46, v145, v46, 0x7f7fffff
	s_delay_alu instid0(VALU_DEP_1)
	v_min3_f32 v145, v81, v136, v46
	s_clause 0x1
	scratch_load_b32 v46, off, off offset:36
	scratch_load_b32 v47, off, off offset:40
	s_waitcnt vmcnt(0)
	v_min3_f32 v46, v47, v46, 0x7f7fffff
	s_delay_alu instid0(VALU_DEP_1) | instskip(SKIP_1) | instid1(VALU_DEP_1)
	v_min3_f32 v142, v85, v130, v46
	v_min3_f32 v46, v140, v143, 0x7f7fffff
	v_min3_f32 v143, v129, v131, v46
	s_clause 0x1
	scratch_load_b32 v46, off, off offset:44
	scratch_load_b32 v47, off, off offset:48
	s_waitcnt vmcnt(0)
	v_min3_f32 v46, v47, v46, 0x7f7fffff
	s_delay_alu instid0(VALU_DEP_1) | instskip(SKIP_1) | instid1(VALU_DEP_1)
	v_min3_f32 v140, v82, v132, v46
	v_min3_f32 v46, v137, v141, 0x7f7fffff
	;; [unrolled: 1-line block ×3, first 2 shown]
	s_clause 0x1
	scratch_load_b32 v46, off, off offset:52
	scratch_load_b32 v47, off, off offset:56
	s_waitcnt vmcnt(0)
	v_min3_f32 v46, v47, v46, 0x7f7fffff
	s_delay_alu instid0(VALU_DEP_1) | instskip(SKIP_3) | instid1(VALU_DEP_3)
	v_min3_f32 v137, v86, v134, v46
	v_min3_f32 v46, v88, v87, 0x7f7fffff
	;; [unrolled: 1-line block ×6, first 2 shown]
	s_delay_alu instid0(VALU_DEP_3) | instskip(SKIP_1) | instid1(VALU_DEP_3)
	v_min3_f32 v86, v14, v15, v0
	v_min3_f32 v0, v8, v9, 0x7f7fffff
	v_min3_f32 v134, v106, v105, v46
	v_min3_f32 v46, v92, v91, 0x7f7fffff
	s_delay_alu instid0(VALU_DEP_3) | instskip(SKIP_1) | instid1(VALU_DEP_3)
	v_min3_f32 v85, v10, v11, v0
	v_min3_f32 v0, v4, v5, 0x7f7fffff
	v_min3_f32 v135, v108, v107, v46
	v_min3_f32 v46, v94, v93, 0x7f7fffff
	;; [unrolled: 5-line block ×6, first 2 shown]
	s_delay_alu instid0(VALU_DEP_1) | instskip(SKIP_1) | instid1(VALU_DEP_1)
	v_min3_f32 v128, v118, v117, v46
	v_min3_f32 v46, v120, v119, 0x7f7fffff
	v_min3_f32 v129, v127, v126, v46
	v_min3_f32 v46, v122, v121, 0x7f7fffff
	s_delay_alu instid0(VALU_DEP_1) | instskip(SKIP_1) | instid1(VALU_DEP_1)
	v_min3_f32 v127, v155, v154, v46
	v_min3_f32 v46, v124, v123, 0x7f7fffff
	v_min3_f32 v126, v157, v156, v46
	v_min3_f32 v46, v138, v125, 0x7f7fffff
	s_delay_alu instid0(VALU_DEP_1) | instskip(SKIP_1) | instid1(VALU_DEP_1)
	v_min3_f32 v124, v159, v158, v46
	v_min3_f32 v46, v146, v139, 0x7f7fffff
	v_min3_f32 v125, v161, v160, v46
	v_min3_f32 v46, v149, v78, 0x7f7fffff
	s_delay_alu instid0(VALU_DEP_1) | instskip(SKIP_1) | instid1(VALU_DEP_1)
	v_min3_f32 v122, v163, v162, v46
	v_min3_f32 v46, v151, v79, 0x7f7fffff
	v_min3_f32 v123, v165, v164, v46
	v_min3_f32 v46, v153, v80, 0x7f7fffff
	v_min3_f32 v80, v32, v33, v0
	s_clause 0x1
	scratch_load_b32 v0, off, off offset:4
	scratch_load_b32 v1, off, off offset:8
	v_min3_f32 v120, v167, v166, v46
	v_min3_f32 v46, v169, v168, 0x7f7fffff
	s_delay_alu instid0(VALU_DEP_1) | instskip(SKIP_1) | instid1(VALU_DEP_1)
	v_min3_f32 v121, v185, v184, v46
	v_min3_f32 v46, v171, v170, 0x7f7fffff
	v_min3_f32 v118, v187, v186, v46
	v_min3_f32 v46, v173, v172, 0x7f7fffff
	s_delay_alu instid0(VALU_DEP_1) | instskip(SKIP_1) | instid1(VALU_DEP_1)
	v_min3_f32 v119, v189, v188, v46
	v_min3_f32 v46, v175, v174, 0x7f7fffff
	;; [unrolled: 5-line block ×16, first 2 shown]
	v_min3_f32 v87, v28, v29, v16
	s_waitcnt vmcnt(0)
	ds_store_2addr_stride64_b32 v74, v0, v1 offset0:16 offset1:20
	s_clause 0x1
	scratch_load_b32 v0, off, off offset:12
	scratch_load_b32 v1, off, off offset:16
	s_waitcnt vmcnt(0)
	ds_store_2addr_stride64_b32 v74, v0, v1 offset0:24 offset1:28
	s_clause 0x1
	scratch_load_b32 v1, off, off offset:20
	scratch_load_b32 v0, off, off
	s_waitcnt vmcnt(0)
	ds_store_b32 v1, v0 offset:9216
	s_waitcnt lgkmcnt(0)
	s_waitcnt_vscnt null, 0x0
	s_barrier
	buffer_gl0_inv
	s_cbranch_scc1 .LBB72_40
; %bb.23:
	s_clause 0x1
	scratch_load_b32 v0, off, off offset:72
	scratch_load_b32 v3, off, off offset:64
	v_dual_mov_b32 v198, v152 :: v_dual_add_nc_u32 v75, 0x2000, v1
	v_add_nc_u32_e32 v77, 0x2400, v1
	v_dual_mov_b32 v199, v150 :: v_dual_add_nc_u32 v76, 0x2000, v200
	v_or_b32_e32 v78, 0x1000, v74
	v_lshl_add_u32 v79, v150, 4, 0x2400
	v_lshl_add_u32 v111, v152, 4, 0x1000
	s_waitcnt vmcnt(1)
	v_lshl_add_u32 v0, s14, 6, v0
	s_lshl_b32 s14, s20, 6
	s_waitcnt vmcnt(0)
	v_add_nc_u32_e32 v6, 12, v3
	v_add_nc_u32_e32 v8, 8, v3
	v_subrev_nc_u32_e32 v2, s14, v0
	s_delay_alu instid0(VALU_DEP_3) | instskip(NEXT) | instid1(VALU_DEP_3)
	v_mad_i64_i32 v[4:5], null, v6, s8, 0
	v_mad_i64_i32 v[6:7], null, v8, s8, 0
	s_delay_alu instid0(VALU_DEP_3)
	v_mad_i64_i32 v[0:1], null, s19, v2, 0
	s_clause 0x1
	scratch_load_b32 v2, off, off offset:68
	scratch_load_b32 v8, off, off offset:60
	v_lshlrev_b64 v[64:65], 2, v[4:5]
	s_lshl_b64 s[8:9], s[8:9], 5
	v_lshlrev_b64 v[66:67], 2, v[6:7]
	v_lshlrev_b64 v[0:1], 2, v[0:1]
	s_waitcnt vmcnt(1)
	v_add_nc_u32_e32 v2, s18, v2
	s_waitcnt vmcnt(0)
	s_delay_alu instid0(VALU_DEP_2) | instskip(NEXT) | instid1(VALU_DEP_3)
	v_add_co_u32 v0, vcc_lo, v0, v8
	v_add_co_ci_u32_e32 v1, vcc_lo, 0, v1, vcc_lo
	s_delay_alu instid0(VALU_DEP_3) | instskip(NEXT) | instid1(VALU_DEP_3)
	v_ashrrev_i32_e32 v3, 31, v2
	v_add_co_u32 v0, vcc_lo, v0, s16
	s_delay_alu instid0(VALU_DEP_3) | instskip(NEXT) | instid1(VALU_DEP_3)
	v_add_co_ci_u32_e32 v1, vcc_lo, s17, v1, vcc_lo
	v_lshlrev_b64 v[2:3], 2, v[2:3]
	s_delay_alu instid0(VALU_DEP_3) | instskip(NEXT) | instid1(VALU_DEP_3)
	v_add_co_u32 v68, vcc_lo, v0, 32
	v_add_co_ci_u32_e32 v69, vcc_lo, 0, v1, vcc_lo
	s_delay_alu instid0(VALU_DEP_3) | instskip(NEXT) | instid1(VALU_DEP_4)
	v_add_co_u32 v138, vcc_lo, s10, v2
	v_add_co_ci_u32_e32 v139, vcc_lo, s11, v3, vcc_lo
	s_add_i32 s10, s21, -8
	s_mov_b32 s11, 0
	s_branch .LBB72_26
.LBB72_24:                              ;   in Loop: Header=BB72_26 Depth=1
	v_add_co_u32 v0, vcc_lo, v138, v64
	v_add_co_ci_u32_e32 v1, vcc_lo, v139, v65, vcc_lo
	s_clause 0x1
	flat_load_b32 v11, v[0:1] offset:512
	flat_load_b32 v1, v[0:1] offset:768
	s_waitcnt vmcnt(0) lgkmcnt(0)
	v_dual_mul_f32 v0, s22, v11 :: v_dual_mul_f32 v1, s22, v1
.LBB72_25:                              ;   in Loop: Header=BB72_26 Depth=1
	ds_load_b128 v[93:96], v72
	ds_load_b128 v[150:153], v76
	ds_load_b128 v[154:157], v76 offset:128
	ds_load_b128 v[158:161], v76 offset:256
	;; [unrolled: 1-line block ×14, first 2 shown]
	v_add_co_u32 v68, vcc_lo, v68, 32
	v_add_co_ci_u32_e32 v69, vcc_lo, 0, v69, vcc_lo
	v_add_co_u32 v138, vcc_lo, v138, s8
	s_waitcnt lgkmcnt(14)
	v_dual_add_f32 v11, v151, v94 :: v_dual_add_f32 v14, v150, v93
	s_waitcnt lgkmcnt(13)
	v_dual_add_f32 v15, v155, v94 :: v_dual_add_f32 v18, v154, v93
	;; [unrolled: 2-line block ×3, first 2 shown]
	s_waitcnt lgkmcnt(11)
	v_add_f32_e32 v23, v163, v94
	v_min3_f32 v11, v14, v11, v28
	v_min3_f32 v14, v18, v15, v29
	v_add_f32_e32 v18, v162, v93
	v_min3_f32 v15, v22, v19, v32
	s_waitcnt lgkmcnt(10)
	v_dual_add_f32 v19, v167, v94 :: v_dual_add_f32 v22, v166, v93
	s_waitcnt lgkmcnt(9)
	v_dual_add_f32 v28, v171, v94 :: v_dual_add_f32 v29, v170, v93
	s_waitcnt lgkmcnt(8)
	v_add_f32_e32 v32, v175, v94
	s_waitcnt lgkmcnt(7)
	v_dual_add_f32 v34, v174, v93 :: v_dual_add_f32 v35, v179, v94
	s_waitcnt lgkmcnt(2)
	v_dual_add_f32 v38, v178, v93 :: v_dual_add_f32 v73, v159, v187
	v_min3_f32 v4, v18, v23, v4
	v_min3_f32 v18, v22, v19, v33
	;; [unrolled: 1-line block ×3, first 2 shown]
	s_delay_alu instid0(VALU_DEP_4)
	v_min3_f32 v23, v38, v35, v40
	v_dual_add_f32 v28, v151, v98 :: v_dual_add_f32 v33, v154, v97
	v_add_f32_e32 v29, v150, v97
	v_min3_f32 v22, v34, v32, v37
	v_dual_add_f32 v32, v155, v98 :: v_dual_add_f32 v35, v158, v97
	v_dual_add_f32 v34, v159, v98 :: v_dual_add_f32 v37, v162, v97
	v_dual_add_f32 v36, v163, v98 :: v_dual_add_f32 v39, v166, v97
	v_add_f32_e32 v38, v167, v98
	v_min3_f32 v5, v29, v28, v5
	v_min3_f32 v28, v33, v32, v41
	v_min3_f32 v29, v35, v34, v44
	v_add_f32_e32 v35, v170, v97
	v_min3_f32 v32, v37, v36, v45
	v_min3_f32 v33, v39, v38, v48
	v_dual_add_f32 v34, v171, v98 :: v_dual_add_f32 v37, v174, v97
	v_dual_add_f32 v36, v175, v98 :: v_dual_add_f32 v39, v178, v97
	v_dual_add_f32 v38, v179, v98 :: v_dual_add_f32 v41, v150, v101
	v_dual_add_f32 v40, v151, v102 :: v_dual_add_f32 v45, v154, v101
	v_add_f32_e32 v44, v155, v102
	v_min3_f32 v8, v35, v34, v8
	v_min3_f32 v34, v37, v36, v49
	v_min3_f32 v35, v39, v38, v52
	v_add_f32_e32 v39, v158, v101
	v_min3_f32 v36, v41, v40, v53
	v_min3_f32 v37, v45, v44, v56
	v_dual_add_f32 v38, v159, v102 :: v_dual_add_f32 v41, v162, v101
	;; [unrolled: 11-line block ×4, first 2 shown]
	v_dual_add_f32 v54, v171, v106 :: v_dual_add_f32 v57, v174, v105
	v_dual_add_f32 v56, v175, v106 :: v_dual_add_f32 v59, v178, v105
	v_add_f32_e32 v58, v179, v106
	v_dual_add_f32 v60, v151, v183 :: v_dual_add_f32 v61, v150, v182
	v_min3_f32 v13, v53, v52, v13
	v_min3_f32 v50, v55, v54, v50
	;; [unrolled: 1-line block ×5, first 2 shown]
	v_dual_add_f32 v54, v155, v183 :: v_dual_add_f32 v55, v154, v182
	v_dual_add_f32 v56, v159, v183 :: v_dual_add_f32 v57, v158, v182
	v_dual_add_f32 v58, v163, v183 :: v_dual_add_f32 v59, v162, v182
	v_dual_add_f32 v60, v167, v183 :: v_dual_add_f32 v61, v166, v182
	v_dual_add_f32 v62, v171, v183 :: v_dual_add_f32 v63, v170, v182
	v_min3_f32 v16, v55, v54, v16
	v_min3_f32 v54, v57, v56, v81
	;; [unrolled: 1-line block ×5, first 2 shown]
	v_dual_add_f32 v58, v175, v183 :: v_dual_add_f32 v59, v174, v182
	v_dual_add_f32 v60, v179, v183 :: v_dual_add_f32 v61, v178, v182
	;; [unrolled: 1-line block ×4, first 2 shown]
	v_add_f32_e32 v80, v158, v186
	v_min3_f32 v17, v59, v58, v17
	v_min3_f32 v46, v61, v60, v46
	;; [unrolled: 1-line block ×5, first 2 shown]
	v_add_f32_e32 v73, v175, v187
	v_dual_add_f32 v60, v163, v187 :: v_dual_add_f32 v61, v162, v186
	v_dual_add_f32 v62, v167, v187 :: v_dual_add_f32 v63, v166, v186
	;; [unrolled: 1-line block ×4, first 2 shown]
	v_add_f32_e32 v82, v178, v186
	v_min3_f32 v20, v61, v60, v20
	v_min3_f32 v42, v63, v62, v42
	;; [unrolled: 1-line block ×4, first 2 shown]
	s_waitcnt lgkmcnt(1)
	v_add_f32_e32 v73, v159, v191
	v_min3_f32 v61, v82, v81, v88
	v_dual_add_f32 v62, v151, v191 :: v_dual_add_f32 v63, v150, v190
	v_dual_add_f32 v70, v155, v191 :: v_dual_add_f32 v71, v154, v190
	;; [unrolled: 1-line block ×4, first 2 shown]
	v_add_f32_e32 v84, v166, v190
	v_min3_f32 v21, v63, v62, v21
	v_min3_f32 v62, v71, v70, v89
	;; [unrolled: 1-line block ×3, first 2 shown]
	v_add_f32_e32 v73, v171, v191
	v_min3_f32 v70, v82, v81, v91
	v_min3_f32 v71, v84, v83, v92
	v_dual_add_f32 v80, v170, v190 :: v_dual_add_f32 v81, v175, v191
	v_dual_add_f32 v82, v174, v190 :: v_dual_add_f32 v83, v179, v191
	s_waitcnt lgkmcnt(0)
	v_dual_add_f32 v84, v178, v190 :: v_dual_add_f32 v85, v151, v195
	v_dual_add_f32 v86, v150, v194 :: v_dual_add_f32 v87, v155, v195
	v_add_f32_e32 v88, v154, v194
	v_min3_f32 v24, v80, v73, v24
	v_add_f32_e32 v73, v159, v195
	v_min3_f32 v26, v82, v81, v26
	v_min3_f32 v27, v84, v83, v27
	;; [unrolled: 1-line block ×4, first 2 shown]
	v_dual_add_f32 v80, v158, v194 :: v_dual_add_f32 v81, v163, v195
	v_dual_add_f32 v82, v162, v194 :: v_dual_add_f32 v83, v167, v195
	;; [unrolled: 1-line block ×4, first 2 shown]
	v_add_f32_e32 v88, v174, v194
	v_min3_f32 v25, v80, v73, v25
	v_add_f32_e32 v73, v179, v195
	v_min3_f32 v3, v82, v81, v3
	v_min3_f32 v6, v84, v83, v6
	;; [unrolled: 1-line block ×4, first 2 shown]
	v_dual_add_f32 v80, v178, v194 :: v_dual_add_f32 v83, v157, v96
	v_dual_add_f32 v81, v153, v96 :: v_dual_add_f32 v82, v152, v95
	v_dual_add_f32 v85, v161, v96 :: v_dual_add_f32 v84, v156, v95
	v_dual_add_f32 v87, v165, v96 :: v_dual_add_f32 v86, v160, v95
	v_add_f32_e32 v88, v164, v95
	v_min3_f32 v2, v80, v73, v2
	v_min3_f32 v147, v82, v81, v11
	v_add_f32_e32 v81, v181, v96
	v_min3_f32 v144, v84, v83, v14
	v_min3_f32 v142, v88, v87, v4
	v_dual_add_f32 v4, v169, v96 :: v_dual_add_f32 v11, v168, v95
	v_add_f32_e32 v14, v173, v96
	v_add_f32_e32 v73, v177, v96
	v_min3_f32 v145, v86, v85, v15
	v_add_f32_e32 v15, v172, v95
	v_dual_add_f32 v80, v176, v95 :: v_dual_add_f32 v83, v153, v100
	v_add_f32_e32 v82, v180, v95
	v_add_f32_e32 v84, v152, v99
	v_min3_f32 v143, v11, v4, v18
	v_min3_f32 v140, v15, v14, v19
	v_add_f32_e32 v15, v165, v100
	v_min3_f32 v141, v80, v73, v22
	v_min3_f32 v136, v84, v83, v5
	v_dual_add_f32 v4, v157, v100 :: v_dual_add_f32 v5, v156, v99
	v_add_f32_e32 v11, v161, v100
	v_min3_f32 v137, v82, v81, v23
	v_dual_add_f32 v14, v160, v99 :: v_dual_add_f32 v19, v169, v100
	v_dual_add_f32 v18, v164, v99 :: v_dual_add_f32 v23, v173, v100
	v_add_f32_e32 v73, v172, v99
	v_add_f32_e32 v22, v168, v99
	v_min3_f32 v134, v5, v4, v28
	v_min3_f32 v135, v14, v11, v29
	v_add_f32_e32 v4, v177, v100
	v_min3_f32 v130, v73, v23, v8
	v_dual_add_f32 v5, v176, v99 :: v_dual_add_f32 v8, v181, v100
	v_dual_add_f32 v11, v180, v99 :: v_dual_add_f32 v14, v153, v104
	v_min3_f32 v132, v18, v15, v32
	v_dual_add_f32 v15, v152, v103 :: v_dual_add_f32 v18, v157, v104
	v_add_f32_e32 v23, v160, v103
	s_delay_alu instid0(VALU_DEP_4)
	v_min3_f32 v128, v11, v8, v35
	v_add_f32_e32 v11, v173, v104
	v_min3_f32 v133, v22, v19, v33
	v_dual_add_f32 v19, v156, v103 :: v_dual_add_f32 v22, v161, v104
	v_min3_f32 v131, v5, v4, v34
	v_min3_f32 v129, v15, v14, v36
	v_add_f32_e32 v4, v165, v104
	s_delay_alu instid0(VALU_DEP_4)
	v_min3_f32 v127, v19, v18, v37
	v_min3_f32 v126, v23, v22, v9
	v_dual_add_f32 v5, v164, v103 :: v_dual_add_f32 v8, v169, v104
	v_add_f32_e32 v9, v168, v103
	v_dual_add_f32 v14, v172, v103 :: v_dual_add_f32 v15, v177, v104
	v_dual_add_f32 v18, v176, v103 :: v_dual_add_f32 v19, v181, v104
	v_add_f32_e32 v22, v180, v103
	v_min3_f32 v124, v5, v4, v38
	s_delay_alu instid0(VALU_DEP_4)
	v_min3_f32 v122, v14, v11, v40
	v_add_f32_e32 v11, v161, v108
	v_min3_f32 v123, v18, v15, v41
	v_min3_f32 v120, v22, v19, v12
	v_add_f32_e32 v4, v153, v108
	v_min3_f32 v125, v9, v8, v39
	v_dual_add_f32 v5, v152, v107 :: v_dual_add_f32 v8, v157, v108
	v_dual_add_f32 v9, v156, v107 :: v_dual_add_f32 v14, v165, v108
	v_add_f32_e32 v12, v160, v107
	v_dual_add_f32 v15, v164, v107 :: v_dual_add_f32 v18, v169, v108
	v_add_f32_e32 v19, v168, v107
	v_min3_f32 v121, v5, v4, v44
	v_add_f32_e32 v4, v173, v108
	v_min3_f32 v118, v9, v8, v45
	v_min3_f32 v119, v12, v11, v48
	;; [unrolled: 1-line block ×4, first 2 shown]
	v_dual_add_f32 v5, v172, v107 :: v_dual_add_f32 v8, v177, v108
	v_add_f32_e32 v9, v176, v107
	v_dual_add_f32 v11, v181, v108 :: v_dual_add_f32 v12, v180, v107
	v_dual_add_f32 v13, v153, v185 :: v_dual_add_f32 v14, v152, v184
	v_dual_add_f32 v15, v157, v185 :: v_dual_add_f32 v18, v156, v184
	v_min3_f32 v114, v5, v4, v50
	s_delay_alu instid0(VALU_DEP_4)
	v_min3_f32 v112, v12, v11, v52
	v_add_f32_e32 v11, v169, v185
	v_min3_f32 v113, v14, v13, v53
	v_min3_f32 v109, v18, v15, v16
	v_add_f32_e32 v4, v161, v185
	v_min3_f32 v115, v9, v8, v51
	v_dual_add_f32 v5, v160, v184 :: v_dual_add_f32 v8, v165, v185
	v_add_f32_e32 v9, v164, v184
	v_dual_add_f32 v12, v168, v184 :: v_dual_add_f32 v13, v173, v185
	v_dual_add_f32 v14, v172, v184 :: v_dual_add_f32 v15, v177, v185
	v_add_f32_e32 v16, v176, v184
	v_min3_f32 v110, v5, v4, v54
	s_delay_alu instid0(VALU_DEP_4)
	v_min3_f32 v108, v12, v11, v56
	v_add_f32_e32 v11, v157, v189
	v_min3_f32 v106, v14, v13, v57
	v_min3_f32 v105, v16, v15, v17
	v_add_f32_e32 v4, v181, v185
	v_min3_f32 v107, v9, v8, v55
	v_dual_add_f32 v5, v180, v184 :: v_dual_add_f32 v8, v153, v189
	v_add_f32_e32 v9, v152, v188
	v_dual_add_f32 v12, v156, v188 :: v_dual_add_f32 v13, v161, v189
	v_dual_add_f32 v14, v160, v188 :: v_dual_add_f32 v15, v165, v189
	v_add_f32_e32 v16, v164, v188
	;; [unrolled: 13-line block ×6, first 2 shown]
	v_min3_f32 v83, v5, v4, v3
	v_min3_f32 v84, v9, v8, v6
	;; [unrolled: 1-line block ×5, first 2 shown]
	v_add_co_ci_u32_e32 v139, vcc_lo, s9, v139, vcc_lo
	s_add_i32 s11, s11, 8
	ds_store_b32 v77, v146
	ds_store_2addr_stride64_b32 v78, v148, v149 offset1:4
	ds_store_2addr_stride64_b32 v78, v0, v1 offset0:8 offset1:12
	s_cmp_ge_i32 s11, s10
	s_waitcnt lgkmcnt(0)
	s_barrier
	buffer_gl0_inv
	s_cbranch_scc1 .LBB72_41
.LBB72_26:                              ; =>This Inner Loop Header: Depth=1
	v_mov_b32_e32 v146, 0
	s_and_b32 vcc_lo, exec_lo, s3
	s_cbranch_vccnz .LBB72_28
; %bb.27:                               ;   in Loop: Header=BB72_26 Depth=1
	flat_load_b32 v0, v[68:69]
	s_waitcnt vmcnt(0) lgkmcnt(0)
	v_mul_f32_e32 v146, s22, v0
.LBB72_28:                              ;   in Loop: Header=BB72_26 Depth=1
	s_and_b32 vcc_lo, exec_lo, s3
	s_cbranch_vccnz .LBB72_31
; %bb.29:                               ;   in Loop: Header=BB72_26 Depth=1
	v_add_co_u32 v0, vcc_lo, v138, v66
	v_add_co_ci_u32_e32 v1, vcc_lo, v139, v67, vcc_lo
	s_clause 0x1
	flat_load_b32 v2, v[0:1]
	flat_load_b32 v0, v[0:1] offset:256
	s_waitcnt vmcnt(0) lgkmcnt(0)
	v_dual_mul_f32 v148, s22, v2 :: v_dual_mul_f32 v149, s22, v0
	s_and_b32 vcc_lo, exec_lo, s3
	s_cbranch_vccnz .LBB72_32
.LBB72_30:                              ;   in Loop: Header=BB72_26 Depth=1
	v_add_co_u32 v0, vcc_lo, v138, v66
	v_add_co_ci_u32_e32 v1, vcc_lo, v139, v67, vcc_lo
	s_clause 0x1
	flat_load_b32 v2, v[0:1] offset:512
	flat_load_b32 v0, v[0:1] offset:768
	s_waitcnt vmcnt(0) lgkmcnt(0)
	v_dual_mul_f32 v150, s22, v2 :: v_dual_mul_f32 v151, s22, v0
	s_branch .LBB72_33
.LBB72_31:                              ;   in Loop: Header=BB72_26 Depth=1
	v_dual_mov_b32 v148, 0 :: v_dual_mov_b32 v149, 0
	s_and_b32 vcc_lo, exec_lo, s3
	s_cbranch_vccz .LBB72_30
.LBB72_32:                              ;   in Loop: Header=BB72_26 Depth=1
	v_dual_mov_b32 v150, 0 :: v_dual_mov_b32 v151, 0
.LBB72_33:                              ;   in Loop: Header=BB72_26 Depth=1
	ds_load_b128 v[32:35], v79
	ds_load_b128 v[28:31], v79 offset:128
	ds_load_b128 v[24:27], v79 offset:256
	;; [unrolled: 1-line block ×7, first 2 shown]
	ds_load_b128 v[60:63], v111
	ds_load_b128 v[56:59], v111 offset:512
	ds_load_b128 v[52:55], v111 offset:1024
	;; [unrolled: 1-line block ×7, first 2 shown]
	s_and_b32 vcc_lo, exec_lo, s3
	ds_store_b32 v75, v146
	ds_store_2addr_stride64_b32 v74, v148, v149 offset1:4
	ds_store_2addr_stride64_b32 v74, v150, v151 offset0:8 offset1:12
	s_waitcnt lgkmcnt(0)
	s_barrier
	buffer_gl0_inv
	s_cbranch_vccnz .LBB72_36
; %bb.34:                               ;   in Loop: Header=BB72_26 Depth=1
	flat_load_b32 v70, v[68:69] offset:16
	s_waitcnt vmcnt(0) lgkmcnt(0)
	v_mul_f32_e32 v146, s22, v70
	s_and_b32 vcc_lo, exec_lo, s3
	s_cbranch_vccnz .LBB72_37
.LBB72_35:                              ;   in Loop: Header=BB72_26 Depth=1
	v_add_co_u32 v148, vcc_lo, v138, v64
	v_add_co_ci_u32_e32 v149, vcc_lo, v139, v65, vcc_lo
	s_clause 0x1
	flat_load_b32 v70, v[148:149]
	flat_load_b32 v71, v[148:149] offset:256
	s_waitcnt vmcnt(0) lgkmcnt(0)
	v_dual_mul_f32 v148, s22, v70 :: v_dual_mul_f32 v149, s22, v71
	s_branch .LBB72_38
.LBB72_36:                              ;   in Loop: Header=BB72_26 Depth=1
	v_mov_b32_e32 v146, 0
	s_and_b32 vcc_lo, exec_lo, s3
	s_cbranch_vccz .LBB72_35
.LBB72_37:                              ;   in Loop: Header=BB72_26 Depth=1
	v_dual_mov_b32 v148, 0 :: v_dual_mov_b32 v149, 0
.LBB72_38:                              ;   in Loop: Header=BB72_26 Depth=1
	v_dual_add_f32 v70, v33, v61 :: v_dual_add_f32 v71, v32, v60
	v_dual_add_f32 v73, v29, v61 :: v_dual_add_f32 v150, v28, v60
	;; [unrolled: 1-line block ×3, first 2 shown]
	s_delay_alu instid0(VALU_DEP_3) | instskip(SKIP_1) | instid1(VALU_DEP_4)
	v_min3_f32 v70, v71, v70, v147
	v_add_f32_e32 v147, v13, v61
	v_min3_f32 v71, v150, v73, v144
	v_add_f32_e32 v150, v12, v60
	v_min3_f32 v73, v152, v151, v145
	v_dual_add_f32 v144, v17, v61 :: v_dual_add_f32 v145, v16, v60
	v_dual_add_f32 v151, v9, v61 :: v_dual_add_f32 v152, v8, v60
	v_dual_add_f32 v153, v5, v61 :: v_dual_add_f32 v154, v4, v60
	v_dual_add_f32 v61, v1, v61 :: v_dual_add_f32 v60, v0, v60
	s_delay_alu instid0(VALU_DEP_4) | instskip(SKIP_2) | instid1(VALU_DEP_4)
	v_min3_f32 v142, v145, v144, v142
	v_min3_f32 v143, v150, v147, v143
	v_dual_add_f32 v144, v29, v57 :: v_dual_add_f32 v145, v28, v56
	v_min3_f32 v60, v60, v61, v137
	v_dual_add_f32 v61, v33, v57 :: v_dual_add_f32 v150, v24, v56
	v_add_f32_e32 v137, v32, v56
	v_add_f32_e32 v147, v25, v57
	v_min3_f32 v140, v152, v151, v140
	v_add_f32_e32 v152, v16, v56
	v_min3_f32 v141, v154, v153, v141
	v_dual_add_f32 v151, v17, v57 :: v_dual_add_f32 v154, v12, v56
	v_add_f32_e32 v153, v13, v57
	v_min3_f32 v61, v137, v61, v136
	v_min3_f32 v135, v150, v147, v135
	v_add_f32_e32 v136, v9, v57
	v_min3_f32 v134, v145, v144, v134
	v_dual_add_f32 v137, v8, v56 :: v_dual_add_f32 v144, v5, v57
	v_add_f32_e32 v145, v4, v56
	v_dual_add_f32 v57, v1, v57 :: v_dual_add_f32 v150, v32, v52
	v_dual_add_f32 v56, v0, v56 :: v_dual_add_f32 v147, v33, v53
	v_min3_f32 v132, v152, v151, v132
	v_dual_add_f32 v152, v28, v52 :: v_dual_add_f32 v151, v29, v53
	v_min3_f32 v130, v137, v136, v130
	s_delay_alu instid0(VALU_DEP_4)
	v_min3_f32 v56, v56, v57, v128
	v_min3_f32 v57, v150, v147, v129
	v_add_f32_e32 v150, v8, v52
	v_dual_add_f32 v128, v25, v53 :: v_dual_add_f32 v129, v24, v52
	v_dual_add_f32 v136, v17, v53 :: v_dual_add_f32 v137, v16, v52
	v_min3_f32 v131, v145, v144, v131
	v_add_f32_e32 v144, v13, v53
	v_min3_f32 v127, v152, v151, v127
	v_add_f32_e32 v145, v12, v52
	v_dual_add_f32 v147, v9, v53 :: v_dual_add_f32 v152, v4, v52
	v_dual_add_f32 v151, v5, v53 :: v_dual_add_f32 v52, v0, v52
	v_min3_f32 v126, v129, v128, v126
	v_min3_f32 v124, v137, v136, v124
	v_add_f32_e32 v53, v1, v53
	v_dual_add_f32 v128, v33, v49 :: v_dual_add_f32 v129, v32, v48
	v_dual_add_f32 v136, v29, v49 :: v_dual_add_f32 v137, v28, v48
	v_min3_f32 v125, v145, v144, v125
	v_add_f32_e32 v144, v25, v49
	v_min3_f32 v122, v150, v147, v122
	v_add_f32_e32 v145, v24, v48
	v_dual_add_f32 v147, v17, v49 :: v_dual_add_f32 v150, v16, v48
	v_min3_f32 v120, v52, v53, v120
	v_min3_f32 v121, v129, v128, v121
	v_min3_f32 v118, v137, v136, v118
	v_dual_add_f32 v52, v13, v49 :: v_dual_add_f32 v53, v12, v48
	v_dual_add_f32 v128, v9, v49 :: v_dual_add_f32 v129, v8, v48
	;; [unrolled: 1-line block ×4, first 2 shown]
	v_min3_f32 v119, v145, v144, v119
	v_dual_add_f32 v144, v33, v45 :: v_dual_add_f32 v145, v32, v44
	v_min3_f32 v116, v53, v52, v116
	v_min3_f32 v114, v129, v128, v114
	;; [unrolled: 1-line block ×3, first 2 shown]
	v_dual_add_f32 v48, v29, v45 :: v_dual_add_f32 v49, v28, v44
	v_dual_add_f32 v52, v25, v45 :: v_dual_add_f32 v53, v24, v44
	v_dual_add_f32 v128, v17, v45 :: v_dual_add_f32 v129, v16, v44
	v_min3_f32 v115, v137, v136, v115
	v_add_f32_e32 v136, v13, v45
	v_min3_f32 v113, v145, v144, v113
	v_dual_add_f32 v137, v12, v44 :: v_dual_add_f32 v144, v9, v45
	v_add_f32_e32 v145, v8, v44
	v_min3_f32 v109, v49, v48, v109
	v_add_f32_e32 v48, v5, v45
	v_min3_f32 v110, v53, v52, v110
	v_min3_f32 v107, v129, v128, v107
	v_dual_add_f32 v49, v4, v44 :: v_dual_add_f32 v52, v33, v41
	v_dual_add_f32 v45, v1, v45 :: v_dual_add_f32 v44, v0, v44
	;; [unrolled: 1-line block ×3, first 2 shown]
	v_add_f32_e32 v129, v28, v40
	v_min3_f32 v108, v137, v136, v108
	v_dual_add_f32 v136, v25, v41 :: v_dual_add_f32 v137, v24, v40
	v_min3_f32 v105, v49, v48, v105
	v_min3_f32 v103, v44, v45, v103
	v_add_f32_e32 v44, v17, v41
	v_min3_f32 v104, v53, v52, v104
	v_min3_f32 v101, v129, v128, v101
	v_dual_add_f32 v45, v16, v40 :: v_dual_add_f32 v48, v13, v41
	v_dual_add_f32 v49, v12, v40 :: v_dual_add_f32 v52, v9, v41
	;; [unrolled: 1-line block ×3, first 2 shown]
	v_add_f32_e32 v129, v4, v40
	v_dual_add_f32 v41, v1, v41 :: v_dual_add_f32 v40, v0, v40
	v_min3_f32 v99, v45, v44, v99
	v_dual_add_f32 v44, v29, v37 :: v_dual_add_f32 v45, v28, v36
	v_min3_f32 v100, v49, v48, v100
	v_add_f32_e32 v48, v25, v37
	v_min3_f32 v96, v40, v41, v96
	v_dual_add_f32 v40, v33, v37 :: v_dual_add_f32 v41, v32, v36
	v_min3_f32 v97, v53, v52, v97
	v_min3_f32 v98, v129, v128, v98
	v_dual_add_f32 v49, v24, v36 :: v_dual_add_f32 v52, v17, v37
	v_dual_add_f32 v53, v16, v36 :: v_dual_add_f32 v128, v13, v37
	v_add_f32_e32 v129, v12, v36
	v_min3_f32 v95, v41, v40, v95
	v_add_f32_e32 v40, v9, v37
	v_min3_f32 v93, v45, v44, v93
	v_dual_add_f32 v41, v8, v36 :: v_dual_add_f32 v44, v5, v37
	v_add_f32_e32 v45, v4, v36
	v_dual_add_f32 v25, v25, v21 :: v_dual_add_f32 v16, v16, v20
	v_dual_add_f32 v17, v17, v21 :: v_dual_add_f32 v12, v12, v20
	;; [unrolled: 1-line block ×4, first 2 shown]
	v_add_f32_e32 v5, v5, v21
	v_min3_f32 v123, v152, v151, v123
	v_min3_f32 v117, v150, v147, v117
	;; [unrolled: 1-line block ×3, first 2 shown]
	v_dual_add_f32 v37, v1, v37 :: v_dual_add_f32 v32, v32, v20
	v_dual_add_f32 v36, v0, v36 :: v_dual_add_f32 v33, v33, v21
	;; [unrolled: 1-line block ×3, first 2 shown]
	v_add_f32_e32 v24, v24, v20
	v_min3_f32 v145, v16, v17, v83
	v_min3_f32 v147, v12, v13, v84
	;; [unrolled: 1-line block ×3, first 2 shown]
	v_dual_add_f32 v1, v1, v21 :: v_dual_add_f32 v8, v31, v63
	v_add_f32_e32 v0, v0, v20
	v_min3_f32 v151, v4, v5, v82
	v_dual_add_f32 v4, v35, v63 :: v_dual_add_f32 v5, v34, v62
	v_dual_add_f32 v12, v27, v63 :: v_dual_add_f32 v9, v30, v62
	v_dual_add_f32 v16, v19, v63 :: v_dual_add_f32 v13, v26, v62
	v_add_f32_e32 v17, v18, v62
	v_min3_f32 v102, v137, v136, v102
	v_min3_f32 v137, v32, v33, v88
	;; [unrolled: 1-line block ×6, first 2 shown]
	v_add_f32_e32 v1, v15, v63
	v_dual_add_f32 v5, v14, v62 :: v_dual_add_f32 v8, v11, v63
	v_min3_f32 v32, v13, v12, v73
	v_dual_add_f32 v9, v10, v62 :: v_dual_add_f32 v20, v35, v59
	v_add_f32_e32 v12, v7, v63
	v_min3_f32 v4, v17, v16, v142
	v_dual_add_f32 v13, v6, v62 :: v_dual_add_f32 v16, v3, v63
	v_add_f32_e32 v17, v2, v62
	v_add_f32_e32 v21, v34, v58
	v_min3_f32 v133, v154, v153, v133
	v_min3_f32 v92, v129, v128, v92
	;; [unrolled: 1-line block ×8, first 2 shown]
	v_add_f32_e32 v8, v30, v58
	v_min3_f32 v33, v5, v1, v143
	v_min3_f32 v5, v21, v20, v61
	v_dual_add_f32 v1, v31, v59 :: v_dual_add_f32 v12, v26, v58
	v_dual_add_f32 v9, v27, v59 :: v_dual_add_f32 v16, v18, v58
	;; [unrolled: 1-line block ×4, first 2 shown]
	v_add_f32_e32 v21, v11, v59
	v_min3_f32 v94, v49, v48, v94
	v_min3_f32 v129, v45, v44, v90
	;; [unrolled: 1-line block ×6, first 2 shown]
	v_add_f32_e32 v1, v7, v59
	v_dual_add_f32 v9, v6, v58 :: v_dual_add_f32 v12, v3, v59
	v_dual_add_f32 v13, v2, v58 :: v_dual_add_f32 v16, v35, v55
	;; [unrolled: 1-line block ×3, first 2 shown]
	v_add_f32_e32 v58, v26, v54
	v_min3_f32 v8, v24, v21, v130
	v_dual_add_f32 v21, v30, v54 :: v_dual_add_f32 v24, v27, v55
	v_min3_f32 v91, v53, v52, v91
	v_min3_f32 v52, v13, v12, v56
	;; [unrolled: 1-line block ×3, first 2 shown]
	s_delay_alu instid0(VALU_DEP_4)
	v_min3_f32 v56, v21, v20, v127
	v_add_f32_e32 v12, v18, v54
	v_min3_f32 v49, v9, v1, v131
	v_min3_f32 v9, v58, v24, v126
	v_dual_add_f32 v1, v19, v55 :: v_dual_add_f32 v16, v14, v54
	v_dual_add_f32 v13, v15, v55 :: v_dual_add_f32 v20, v10, v54
	;; [unrolled: 1-line block ×5, first 2 shown]
	v_min3_f32 v54, v12, v1, v124
	v_min3_f32 v55, v16, v13, v125
	;; [unrolled: 1-line block ×4, first 2 shown]
	v_dual_add_f32 v1, v35, v51 :: v_dual_add_f32 v70, v14, v50
	v_dual_add_f32 v13, v34, v50 :: v_dual_add_f32 v16, v31, v51
	;; [unrolled: 1-line block ×4, first 2 shown]
	v_add_f32_e32 v63, v15, v51
	v_min3_f32 v12, v60, v59, v120
	v_min3_f32 v59, v13, v1, v121
	;; [unrolled: 1-line block ×3, first 2 shown]
	v_add_f32_e32 v16, v10, v50
	v_min3_f32 v61, v21, v20, v119
	v_min3_f32 v62, v62, v24, v117
	;; [unrolled: 1-line block ×3, first 2 shown]
	v_dual_add_f32 v1, v11, v51 :: v_dual_add_f32 v20, v6, v50
	v_dual_add_f32 v17, v7, v51 :: v_dual_add_f32 v24, v2, v50
	v_add_f32_e32 v21, v3, v51
	v_dual_add_f32 v70, v35, v47 :: v_dual_add_f32 v71, v34, v46
	v_dual_add_f32 v73, v31, v47 :: v_dual_add_f32 v86, v6, v46
	v_add_f32_e32 v81, v30, v46
	v_min3_f32 v50, v16, v1, v114
	v_min3_f32 v51, v20, v17, v115
	;; [unrolled: 1-line block ×3, first 2 shown]
	v_add_f32_e32 v1, v27, v47
	v_dual_add_f32 v17, v26, v46 :: v_dual_add_f32 v20, v19, v47
	v_add_f32_e32 v70, v14, v46
	v_min3_f32 v63, v24, v21, v112
	v_dual_add_f32 v21, v18, v46 :: v_dual_add_f32 v90, v35, v39
	v_min3_f32 v16, v81, v73, v109
	v_add_f32_e32 v24, v15, v47
	v_add_f32_e32 v71, v11, v47
	;; [unrolled: 1-line block ×3, first 2 shown]
	v_min3_f32 v82, v21, v20, v107
	v_add_f32_e32 v20, v2, v46
	v_min3_f32 v81, v17, v1, v110
	v_dual_add_f32 v1, v3, v47 :: v_dual_add_f32 v88, v18, v42
	v_add_f32_e32 v87, v19, v43
	v_add_f32_e32 v85, v7, v47
	v_min3_f32 v83, v70, v24, v108
	v_dual_add_f32 v21, v35, v43 :: v_dual_add_f32 v24, v34, v42
	v_min3_f32 v84, v73, v71, v106
	v_dual_add_f32 v70, v31, v43 :: v_dual_add_f32 v71, v30, v42
	v_min3_f32 v46, v20, v1, v103
	v_min3_f32 v20, v88, v87, v99
	v_dual_add_f32 v88, v3, v43 :: v_dual_add_f32 v89, v2, v42
	v_min3_f32 v17, v86, v85, v105
	v_dual_add_f32 v73, v27, v43 :: v_dual_add_f32 v86, v26, v42
	v_add_f32_e32 v1, v15, v43
	s_delay_alu instid0(VALU_DEP_4)
	v_min3_f32 v88, v89, v88, v96
	v_add_f32_e32 v96, v15, v39
	v_min3_f32 v85, v71, v70, v101
	v_add_f32_e32 v70, v10, v42
	v_min3_f32 v47, v24, v21, v104
	v_dual_add_f32 v24, v11, v43 :: v_dual_add_f32 v21, v14, v42
	v_add_f32_e32 v71, v7, v43
	v_add_f32_e32 v99, v34, v38
	;; [unrolled: 1-line block ×3, first 2 shown]
	s_delay_alu instid0(VALU_DEP_4)
	v_min3_f32 v43, v70, v24, v97
	v_add_f32_e32 v24, v30, v38
	v_min3_f32 v86, v86, v73, v102
	v_dual_add_f32 v73, v6, v42 :: v_dual_add_f32 v70, v27, v39
	v_add_f32_e32 v35, v35, v23
	v_add_f32_e32 v97, v14, v38
	;; [unrolled: 1-line block ×3, first 2 shown]
	s_delay_alu instid0(VALU_DEP_4)
	v_min3_f32 v87, v73, v71, v98
	v_dual_add_f32 v71, v26, v38 :: v_dual_add_f32 v98, v11, v39
	v_min3_f32 v42, v21, v1, v100
	v_add_f32_e32 v1, v31, v39
	v_min3_f32 v21, v99, v90, v95
	v_dual_add_f32 v73, v19, v39 :: v_dual_add_f32 v14, v14, v22
	v_add_f32_e32 v95, v18, v38
	v_min3_f32 v90, v71, v70, v94
	v_add_f32_e32 v70, v6, v38
	v_add_f32_e32 v18, v18, v22
	v_min3_f32 v89, v24, v1, v93
	v_add_f32_e32 v1, v7, v39
	v_add_f32_e32 v99, v10, v38
	;; [unrolled: 1-line block ×3, first 2 shown]
	v_min3_f32 v91, v95, v73, v91
	v_dual_add_f32 v39, v3, v39 :: v_dual_add_f32 v38, v2, v38
	v_add_f32_e32 v31, v31, v23
	v_add_f32_e32 v71, v30, v22
	;; [unrolled: 1-line block ×4, first 2 shown]
	v_min3_f32 v26, v70, v1, v129
	v_add_f32_e32 v1, v19, v23
	v_add_f32_e32 v11, v11, v23
	;; [unrolled: 1-line block ×3, first 2 shown]
	v_dual_add_f32 v23, v3, v23 :: v_dual_add_f32 v2, v2, v22
	v_min3_f32 v30, v34, v35, v137
	v_add_f32_e32 v34, v6, v22
	v_min3_f32 v92, v97, v96, v92
	v_min3_f32 v24, v99, v98, v128
	v_min3_f32 v27, v38, v39, v136
	v_min3_f32 v31, v71, v31, v144
	v_min3_f32 v25, v93, v73, v25
	v_min3_f32 v3, v18, v1, v145
	v_min3_f32 v6, v14, v15, v147
	v_min3_f32 v7, v10, v11, v150
	v_min3_f32 v10, v34, v19, v151
	v_min3_f32 v2, v2, v23, v0
	s_and_b32 vcc_lo, exec_lo, s3
	s_cbranch_vccz .LBB72_24
; %bb.39:                               ;   in Loop: Header=BB72_26 Depth=1
	v_dual_mov_b32 v0, 0 :: v_dual_mov_b32 v1, 0
	s_branch .LBB72_25
.LBB72_40:
	v_dual_mov_b32 v198, v152 :: v_dual_mov_b32 v199, v150
.LBB72_41:
	ds_load_b128 v[32:35], v200 offset:9216
	ds_load_b128 v[60:63], v72 offset:4096
	s_clause 0x2
	s_load_b64 s[8:9], s[0:1], 0x78
	s_load_b32 s3, s[0:1], 0x70
	s_load_b32 s0, s[0:1], 0x58
	v_add_nc_u32_e32 v111, s18, v198
	s_waitcnt lgkmcnt(0)
	v_dual_add_f32 v7, v32, v60 :: v_dual_add_nc_u32 v76, s15, v199
	v_add_f32_e32 v6, v33, v61
	s_delay_alu instid0(VALU_DEP_3)
	v_mad_i64_i32 v[2:3], null, v111, s3, 0
	v_mad_i64_i32 v[4:5], null, v111, s0, 0
	s_mul_i32 s1, s12, s9
	s_mul_hi_u32 s9, s12, s8
	s_mul_i32 s8, s12, s8
	s_add_i32 s9, s9, s1
	s_delay_alu instid0(VALU_DEP_2)
	v_lshlrev_b64 v[2:3], 2, v[2:3]
	v_dual_add_f32 v9, v34, v62 :: v_dual_add_nc_u32 v0, 8, v76
	v_add_f32_e32 v8, v35, v63
	v_min3_f32 v6, v7, v6, v147
	s_lshl_b64 s[8:9], s[8:9], 2
	v_lshlrev_b64 v[4:5], 2, v[4:5]
	s_add_u32 s1, s6, s8
	v_ashrrev_i32_e32 v77, 31, v76
	s_addc_u32 s6, s7, s9
	v_min3_f32 v6, v9, v8, v6
	v_add_co_u32 v138, vcc_lo, s1, v2
	v_add_co_ci_u32_e32 v139, vcc_lo, s6, v3, vcc_lo
	v_add_co_u32 v146, vcc_lo, s4, v4
	v_lshlrev_b64 v[66:67], 2, v[76:77]
	v_ashrrev_i32_e32 v1, 31, v0
	v_add_co_ci_u32_e32 v147, vcc_lo, s5, v5, vcc_lo
	v_max_f32_e32 v2, v6, v6
	s_mov_b32 vcc_lo, s2
	s_cbranch_vccz .LBB72_43
; %bb.42:
	v_add_co_u32 v3, vcc_lo, v138, v66
	s_delay_alu instid0(VALU_DEP_2)
	v_min_f32_e32 v5, 0, v2
	v_add_co_ci_u32_e32 v4, vcc_lo, v139, v67, vcc_lo
	s_mov_b32 s7, 0
	global_store_b32 v[3:4], v5, off
	s_branch .LBB72_44
.LBB72_43:
	s_mov_b32 s7, -1
.LBB72_44:
	ds_load_b128 v[28:31], v200 offset:9344
	ds_load_b128 v[24:27], v200 offset:9472
	v_lshlrev_b64 v[64:65], 2, v[0:1]
	s_and_not1_b32 vcc_lo, exec_lo, s7
	s_cbranch_vccnz .LBB72_46
; %bb.45:
	v_add_co_u32 v0, vcc_lo, v146, v66
	v_add_co_ci_u32_e32 v1, vcc_lo, v147, v67, vcc_lo
	flat_load_b32 v0, v[0:1]
	s_waitcnt vmcnt(0) lgkmcnt(0)
	v_mul_f32_e32 v3, s13, v0
	v_add_co_u32 v0, vcc_lo, v138, v66
	v_add_co_ci_u32_e32 v1, vcc_lo, v139, v67, vcc_lo
	s_delay_alu instid0(VALU_DEP_3)
	v_min_f32_e32 v4, v3, v2
	v_add_co_u32 v2, vcc_lo, v146, v64
	v_add_co_ci_u32_e32 v3, vcc_lo, v147, v65, vcc_lo
	global_store_b32 v[0:1], v4, off
	flat_load_b32 v0, v[2:3]
	s_waitcnt vmcnt(0) lgkmcnt(0)
	v_mul_f32_e32 v69, s13, v0
	s_branch .LBB72_47
.LBB72_46:
	v_mov_b32_e32 v69, s7
.LBB72_47:
	ds_load_b128 v[16:19], v200 offset:9728
	ds_load_b128 v[12:15], v200 offset:9856
	;; [unrolled: 1-line block ×10, first 2 shown]
	s_waitcnt lgkmcnt(10)
	v_dual_add_f32 v68, v25, v61 :: v_dual_add_f32 v73, v31, v63
	v_dual_add_f32 v70, v24, v60 :: v_dual_add_f32 v71, v29, v61
	ds_load_b128 v[20:23], v200 offset:9600
	ds_load_b128 v[4:7], v72 offset:7680
	v_dual_add_f32 v72, v28, v60 :: v_dual_add_f32 v75, v27, v63
	v_add_f32_e32 v74, v30, v62
	v_min3_f32 v68, v70, v68, v145
	v_dual_add_f32 v77, v26, v62 :: v_dual_add_nc_u32 v70, 16, v76
	s_delay_alu instid0(VALU_DEP_4) | instskip(NEXT) | instid1(VALU_DEP_4)
	v_min3_f32 v72, v72, v71, v144
	v_min_f32_e32 v73, v74, v73
	s_delay_alu instid0(VALU_DEP_3) | instskip(SKIP_2) | instid1(VALU_DEP_4)
	v_min3_f32 v75, v77, v75, v68
	v_add_nc_u32_e32 v68, 24, v76
	v_ashrrev_i32_e32 v71, 31, v70
	v_min3_f32 v77, v69, v73, v72
	v_add_co_u32 v73, vcc_lo, v138, v64
	v_add_co_ci_u32_e32 v74, vcc_lo, v139, v65, vcc_lo
	s_delay_alu instid0(VALU_DEP_4)
	v_lshlrev_b64 v[70:71], 2, v[70:71]
	v_ashrrev_i32_e32 v69, 31, v68
	v_max_f32_e32 v72, v75, v75
	s_mov_b32 vcc_lo, s2
	global_store_b32 v[73:74], v77, off
	s_cbranch_vccz .LBB72_50
; %bb.48:
	v_add_co_u32 v73, vcc_lo, v138, v70
	v_min_f32_e32 v75, 0, v72
	v_add_co_ci_u32_e32 v74, vcc_lo, v139, v71, vcc_lo
	s_mov_b32 s7, 0
	global_store_b32 v[73:74], v75, off
	v_lshlrev_b64 v[68:69], 2, v[68:69]
	s_cbranch_execz .LBB72_51
; %bb.49:
	v_mov_b32_e32 v73, s7
	s_branch .LBB72_52
.LBB72_50:
	s_mov_b32 s7, -1
	v_lshlrev_b64 v[68:69], 2, v[68:69]
.LBB72_51:
	v_add_co_u32 v73, vcc_lo, v146, v70
	v_add_co_ci_u32_e32 v74, vcc_lo, v147, v71, vcc_lo
	flat_load_b32 v73, v[73:74]
	s_waitcnt vmcnt(0) lgkmcnt(0)
	v_mul_f32_e32 v75, s13, v73
	v_add_co_u32 v73, vcc_lo, v138, v70
	v_add_co_ci_u32_e32 v74, vcc_lo, v139, v71, vcc_lo
	v_add_co_u32 v77, vcc_lo, v146, v68
	s_delay_alu instid0(VALU_DEP_4)
	v_min_f32_e32 v72, v75, v72
	v_add_co_ci_u32_e32 v78, vcc_lo, v147, v69, vcc_lo
	global_store_b32 v[73:74], v72, off
	flat_load_b32 v72, v[77:78]
	s_waitcnt vmcnt(0) lgkmcnt(0)
	v_mul_f32_e32 v73, s13, v72
.LBB72_52:
	s_waitcnt lgkmcnt(1)
	v_dual_add_f32 v72, v17, v61 :: v_dual_add_f32 v77, v20, v60
	v_dual_add_f32 v74, v16, v60 :: v_dual_add_f32 v75, v21, v61
	;; [unrolled: 1-line block ×3, first 2 shown]
	v_add_f32_e32 v144, v18, v62
	s_delay_alu instid0(VALU_DEP_3) | instskip(SKIP_3) | instid1(VALU_DEP_3)
	v_min3_f32 v72, v74, v72, v143
	v_add_f32_e32 v143, v19, v63
	v_min3_f32 v77, v77, v75, v142
	v_min_f32_e32 v78, v79, v78
	v_min3_f32 v142, v144, v143, v72
	v_add_nc_u32_e32 v74, 32, v76
	s_delay_alu instid0(VALU_DEP_3)
	v_min3_f32 v143, v73, v78, v77
	v_add_nc_u32_e32 v72, 40, v76
	v_add_co_u32 v78, vcc_lo, v138, v68
	v_max_f32_e32 v77, v142, v142
	v_ashrrev_i32_e32 v75, 31, v74
	v_add_co_ci_u32_e32 v79, vcc_lo, v139, v69, vcc_lo
	v_ashrrev_i32_e32 v73, 31, v72
	s_mov_b32 vcc_lo, s2
	s_delay_alu instid0(VALU_DEP_3)
	v_lshlrev_b64 v[74:75], 2, v[74:75]
	global_store_b32 v[78:79], v143, off
	s_cbranch_vccz .LBB72_55
; %bb.53:
	v_add_co_u32 v78, vcc_lo, v138, v74
	v_min_f32_e32 v142, 0, v77
	v_add_co_ci_u32_e32 v79, vcc_lo, v139, v75, vcc_lo
	s_mov_b32 s7, 0
	global_store_b32 v[78:79], v142, off
	v_lshlrev_b64 v[72:73], 2, v[72:73]
	s_cbranch_execz .LBB72_56
; %bb.54:
	v_mov_b32_e32 v77, s7
	s_branch .LBB72_57
.LBB72_55:
	s_mov_b32 s7, -1
	v_lshlrev_b64 v[72:73], 2, v[72:73]
.LBB72_56:
	v_add_co_u32 v78, vcc_lo, v146, v74
	v_add_co_ci_u32_e32 v79, vcc_lo, v147, v75, vcc_lo
	flat_load_b32 v78, v[78:79]
	s_waitcnt vmcnt(0) lgkmcnt(0)
	v_mul_f32_e32 v142, s13, v78
	v_add_co_u32 v78, vcc_lo, v138, v74
	v_add_co_ci_u32_e32 v79, vcc_lo, v139, v75, vcc_lo
	s_delay_alu instid0(VALU_DEP_3)
	v_min_f32_e32 v77, v142, v77
	v_add_co_u32 v142, vcc_lo, v146, v72
	v_add_co_ci_u32_e32 v143, vcc_lo, v147, v73, vcc_lo
	global_store_b32 v[78:79], v77, off
	flat_load_b32 v77, v[142:143]
	s_waitcnt vmcnt(0) lgkmcnt(0)
	v_mul_f32_e32 v77, s13, v77
.LBB72_57:
	v_dual_add_f32 v78, v9, v61 :: v_dual_add_f32 v79, v8, v60
	v_dual_add_f32 v142, v13, v61 :: v_dual_add_f32 v143, v12, v60
	v_add_f32_e32 v144, v15, v63
	v_dual_add_f32 v145, v11, v63 :: v_dual_add_f32 v148, v10, v62
	s_delay_alu instid0(VALU_DEP_4) | instskip(SKIP_3) | instid1(VALU_DEP_4)
	v_min3_f32 v79, v79, v78, v141
	v_dual_add_f32 v141, v14, v62 :: v_dual_add_nc_u32 v78, 48, v76
	v_min3_f32 v140, v143, v142, v140
	v_add_nc_u32_e32 v76, 56, v76
	v_min3_f32 v143, v148, v145, v79
	s_delay_alu instid0(VALU_DEP_4) | instskip(SKIP_1) | instid1(VALU_DEP_2)
	v_min_f32_e32 v141, v141, v144
	v_ashrrev_i32_e32 v79, 31, v78
	v_min3_f32 v144, v77, v141, v140
	s_delay_alu instid0(VALU_DEP_4) | instskip(SKIP_1) | instid1(VALU_DEP_4)
	v_max_f32_e32 v140, v143, v143
	v_add_co_u32 v141, vcc_lo, v138, v72
	v_lshlrev_b64 v[78:79], 2, v[78:79]
	v_add_co_ci_u32_e32 v142, vcc_lo, v139, v73, vcc_lo
	v_ashrrev_i32_e32 v77, 31, v76
	s_mov_b32 vcc_lo, s2
	global_store_b32 v[141:142], v144, off
	s_cbranch_vccz .LBB72_60
; %bb.58:
	v_add_co_u32 v141, vcc_lo, v138, v78
	v_min_f32_e32 v143, 0, v140
	v_add_co_ci_u32_e32 v142, vcc_lo, v139, v79, vcc_lo
	s_mov_b32 s7, 0
	global_store_b32 v[141:142], v143, off
	v_lshlrev_b64 v[76:77], 2, v[76:77]
	s_cbranch_execz .LBB72_61
; %bb.59:
	v_mov_b32_e32 v140, s7
	s_branch .LBB72_62
.LBB72_60:
	s_mov_b32 s7, -1
	v_lshlrev_b64 v[76:77], 2, v[76:77]
.LBB72_61:
	v_add_co_u32 v141, vcc_lo, v146, v78
	v_add_co_ci_u32_e32 v142, vcc_lo, v147, v79, vcc_lo
	flat_load_b32 v141, v[141:142]
	s_waitcnt vmcnt(0) lgkmcnt(0)
	v_mul_f32_e32 v143, s13, v141
	v_add_co_u32 v141, vcc_lo, v138, v78
	v_add_co_ci_u32_e32 v142, vcc_lo, v139, v79, vcc_lo
	s_delay_alu instid0(VALU_DEP_3)
	v_min_f32_e32 v140, v143, v140
	v_add_co_u32 v143, vcc_lo, v146, v76
	v_add_co_ci_u32_e32 v144, vcc_lo, v147, v77, vcc_lo
	global_store_b32 v[141:142], v140, off
	flat_load_b32 v140, v[143:144]
	s_waitcnt vmcnt(0) lgkmcnt(0)
	v_mul_f32_e32 v140, s13, v140
.LBB72_62:
	v_dual_add_f32 v141, v33, v57 :: v_dual_add_f32 v142, v32, v56
	v_dual_add_f32 v61, v1, v61 :: v_dual_add_f32 v60, v0, v60
	v_add_f32_e32 v143, v34, v58
	v_add_f32_e32 v62, v2, v62
	s_delay_alu instid0(VALU_DEP_4) | instskip(SKIP_3) | instid1(VALU_DEP_3)
	v_min3_f32 v136, v142, v141, v136
	v_add_f32_e32 v142, v35, v59
	v_add_nc_u32_e32 v141, 32, v111
	v_min3_f32 v137, v60, v61, v137
	v_min3_f32 v136, v143, v142, v136
	v_add_f32_e32 v63, v3, v63
	s_delay_alu instid0(VALU_DEP_4) | instskip(NEXT) | instid1(VALU_DEP_3)
	v_mad_i64_i32 v[60:61], null, v141, s3, 0
	v_max_f32_e32 v136, v136, v136
	s_delay_alu instid0(VALU_DEP_3) | instskip(SKIP_1) | instid1(VALU_DEP_4)
	v_min_f32_e32 v144, v62, v63
	v_mad_i64_i32 v[62:63], null, v141, s0, 0
	v_lshlrev_b64 v[60:61], 2, v[60:61]
	s_delay_alu instid0(VALU_DEP_3)
	v_min3_f32 v140, v140, v144, v137
	v_add_co_u32 v137, vcc_lo, v138, v76
	v_add_co_ci_u32_e32 v138, vcc_lo, v139, v77, vcc_lo
	v_lshlrev_b64 v[62:63], 2, v[62:63]
	v_add_co_u32 v60, vcc_lo, s1, v60
	v_add_co_ci_u32_e32 v61, vcc_lo, s6, v61, vcc_lo
	global_store_b32 v[137:138], v140, off
	v_add_co_u32 v62, vcc_lo, s4, v62
	v_add_co_ci_u32_e32 v63, vcc_lo, s5, v63, vcc_lo
	s_mov_b32 vcc_lo, s2
	s_cbranch_vccz .LBB72_65
; %bb.63:
	v_add_co_u32 v137, vcc_lo, v60, v66
	v_min_f32_e32 v139, 0, v136
	v_add_co_ci_u32_e32 v138, vcc_lo, v61, v67, vcc_lo
	s_mov_b32 s7, 0
	global_store_b32 v[137:138], v139, off
	s_cbranch_execz .LBB72_66
; %bb.64:
	v_mov_b32_e32 v136, s7
	s_branch .LBB72_67
.LBB72_65:
	s_mov_b32 s7, -1
.LBB72_66:
	v_add_co_u32 v137, vcc_lo, v62, v66
	v_add_co_ci_u32_e32 v138, vcc_lo, v63, v67, vcc_lo
	flat_load_b32 v137, v[137:138]
	s_waitcnt vmcnt(0) lgkmcnt(0)
	v_mul_f32_e32 v139, s13, v137
	v_add_co_u32 v137, vcc_lo, v60, v66
	v_add_co_ci_u32_e32 v138, vcc_lo, v61, v67, vcc_lo
	s_delay_alu instid0(VALU_DEP_3)
	v_min_f32_e32 v136, v139, v136
	v_add_co_u32 v139, vcc_lo, v62, v64
	v_add_co_ci_u32_e32 v140, vcc_lo, v63, v65, vcc_lo
	global_store_b32 v[137:138], v136, off
	flat_load_b32 v136, v[139:140]
	s_waitcnt vmcnt(0) lgkmcnt(0)
	v_mul_f32_e32 v136, s13, v136
.LBB72_67:
	v_dual_add_f32 v137, v29, v57 :: v_dual_add_f32 v138, v28, v56
	v_dual_add_f32 v139, v25, v57 :: v_dual_add_f32 v140, v24, v56
	v_dual_add_f32 v141, v31, v59 :: v_dual_add_f32 v142, v30, v58
	s_delay_alu instid0(VALU_DEP_3) | instskip(SKIP_1) | instid1(VALU_DEP_4)
	v_min3_f32 v134, v138, v137, v134
	v_dual_add_f32 v137, v27, v59 :: v_dual_add_f32 v138, v26, v58
	v_min3_f32 v135, v140, v139, v135
	s_delay_alu instid0(VALU_DEP_4) | instskip(NEXT) | instid1(VALU_DEP_2)
	v_min_f32_e32 v139, v142, v141
	v_min3_f32 v137, v138, v137, v135
	v_add_co_u32 v135, vcc_lo, v60, v64
	s_delay_alu instid0(VALU_DEP_3) | instskip(SKIP_1) | instid1(VALU_DEP_4)
	v_min3_f32 v138, v136, v139, v134
	v_add_co_ci_u32_e32 v136, vcc_lo, v61, v65, vcc_lo
	v_max_f32_e32 v134, v137, v137
	s_mov_b32 vcc_lo, s2
	global_store_b32 v[135:136], v138, off
	s_cbranch_vccz .LBB72_70
; %bb.68:
	v_add_co_u32 v135, vcc_lo, v60, v70
	v_min_f32_e32 v137, 0, v134
	v_add_co_ci_u32_e32 v136, vcc_lo, v61, v71, vcc_lo
	s_mov_b32 s7, 0
	global_store_b32 v[135:136], v137, off
	s_cbranch_execz .LBB72_71
; %bb.69:
	v_mov_b32_e32 v134, s7
	s_branch .LBB72_72
.LBB72_70:
	s_mov_b32 s7, -1
.LBB72_71:
	v_add_co_u32 v135, vcc_lo, v62, v70
	v_add_co_ci_u32_e32 v136, vcc_lo, v63, v71, vcc_lo
	flat_load_b32 v135, v[135:136]
	s_waitcnt vmcnt(0) lgkmcnt(0)
	v_mul_f32_e32 v137, s13, v135
	v_add_co_u32 v135, vcc_lo, v60, v70
	v_add_co_ci_u32_e32 v136, vcc_lo, v61, v71, vcc_lo
	s_delay_alu instid0(VALU_DEP_3)
	v_min_f32_e32 v134, v137, v134
	v_add_co_u32 v137, vcc_lo, v62, v68
	v_add_co_ci_u32_e32 v138, vcc_lo, v63, v69, vcc_lo
	global_store_b32 v[135:136], v134, off
	flat_load_b32 v134, v[137:138]
	s_waitcnt vmcnt(0) lgkmcnt(0)
	v_mul_f32_e32 v134, s13, v134
.LBB72_72:
	v_dual_add_f32 v135, v21, v57 :: v_dual_add_f32 v136, v20, v56
	v_dual_add_f32 v137, v17, v57 :: v_dual_add_f32 v138, v16, v56
	v_dual_add_f32 v139, v23, v59 :: v_dual_add_f32 v140, v22, v58
	s_delay_alu instid0(VALU_DEP_3) | instskip(SKIP_1) | instid1(VALU_DEP_4)
	v_min3_f32 v132, v136, v135, v132
	v_dual_add_f32 v135, v19, v59 :: v_dual_add_f32 v136, v18, v58
	v_min3_f32 v133, v138, v137, v133
	s_delay_alu instid0(VALU_DEP_4) | instskip(NEXT) | instid1(VALU_DEP_2)
	v_min_f32_e32 v137, v140, v139
	v_min3_f32 v135, v136, v135, v133
	v_add_co_u32 v133, vcc_lo, v60, v68
	s_delay_alu instid0(VALU_DEP_3) | instskip(SKIP_1) | instid1(VALU_DEP_4)
	v_min3_f32 v136, v134, v137, v132
	v_add_co_ci_u32_e32 v134, vcc_lo, v61, v69, vcc_lo
	v_max_f32_e32 v132, v135, v135
	s_mov_b32 vcc_lo, s2
	global_store_b32 v[133:134], v136, off
	;; [unrolled: 47-line block ×3, first 2 shown]
	s_cbranch_vccz .LBB72_80
; %bb.78:
	v_add_co_u32 v131, vcc_lo, v60, v78
	v_min_f32_e32 v133, 0, v130
	v_add_co_ci_u32_e32 v132, vcc_lo, v61, v79, vcc_lo
	s_mov_b32 s7, 0
	global_store_b32 v[131:132], v133, off
	s_cbranch_execz .LBB72_81
; %bb.79:
	v_mov_b32_e32 v62, s7
	s_branch .LBB72_82
.LBB72_80:
	s_mov_b32 s7, -1
.LBB72_81:
	v_add_co_u32 v131, vcc_lo, v62, v78
	v_add_co_ci_u32_e32 v132, vcc_lo, v63, v79, vcc_lo
	flat_load_b32 v131, v[131:132]
	s_waitcnt vmcnt(0) lgkmcnt(0)
	v_mul_f32_e32 v133, s13, v131
	v_add_co_u32 v131, vcc_lo, v60, v78
	v_add_co_ci_u32_e32 v132, vcc_lo, v61, v79, vcc_lo
	v_add_co_u32 v62, vcc_lo, v62, v76
	s_delay_alu instid0(VALU_DEP_4)
	v_min_f32_e32 v130, v133, v130
	v_add_co_ci_u32_e32 v63, vcc_lo, v63, v77, vcc_lo
	global_store_b32 v[131:132], v130, off
	flat_load_b32 v62, v[62:63]
	s_waitcnt vmcnt(0) lgkmcnt(0)
	v_mul_f32_e32 v62, s13, v62
.LBB72_82:
	v_dual_add_f32 v63, v33, v53 :: v_dual_add_f32 v130, v32, v52
	v_dual_add_f32 v57, v1, v57 :: v_dual_add_f32 v56, v0, v56
	;; [unrolled: 1-line block ×3, first 2 shown]
	s_delay_alu instid0(VALU_DEP_3) | instskip(SKIP_1) | instid1(VALU_DEP_4)
	v_min3_f32 v63, v130, v63, v129
	v_add_nc_u32_e32 v129, 64, v111
	v_min3_f32 v128, v56, v57, v128
	v_dual_add_f32 v130, v35, v55 :: v_dual_add_f32 v131, v34, v54
	v_min_f32_e32 v132, v58, v59
	s_delay_alu instid0(VALU_DEP_4) | instskip(SKIP_1) | instid1(VALU_DEP_3)
	v_mad_i64_i32 v[56:57], null, v129, s3, 0
	v_mad_i64_i32 v[58:59], null, v129, s0, 0
	v_min3_f32 v128, v62, v132, v128
	v_add_co_u32 v62, vcc_lo, v60, v76
	v_min3_f32 v129, v131, v130, v63
	v_lshlrev_b64 v[56:57], 2, v[56:57]
	v_add_co_ci_u32_e32 v63, vcc_lo, v61, v77, vcc_lo
	v_lshlrev_b64 v[58:59], 2, v[58:59]
	s_delay_alu instid0(VALU_DEP_4) | instskip(NEXT) | instid1(VALU_DEP_4)
	v_max_f32_e32 v60, v129, v129
	v_add_co_u32 v56, vcc_lo, s1, v56
	v_add_co_ci_u32_e32 v57, vcc_lo, s6, v57, vcc_lo
	s_delay_alu instid0(VALU_DEP_4)
	v_add_co_u32 v58, vcc_lo, s4, v58
	v_add_co_ci_u32_e32 v59, vcc_lo, s5, v59, vcc_lo
	s_mov_b32 vcc_lo, s2
	global_store_b32 v[62:63], v128, off
	s_cbranch_vccz .LBB72_85
; %bb.83:
	v_add_co_u32 v61, vcc_lo, v56, v66
	v_min_f32_e32 v63, 0, v60
	v_add_co_ci_u32_e32 v62, vcc_lo, v57, v67, vcc_lo
	s_mov_b32 s7, 0
	global_store_b32 v[61:62], v63, off
	s_cbranch_execz .LBB72_86
; %bb.84:
	v_mov_b32_e32 v60, s7
	s_branch .LBB72_87
.LBB72_85:
	s_mov_b32 s7, -1
.LBB72_86:
	v_add_co_u32 v61, vcc_lo, v58, v66
	v_add_co_ci_u32_e32 v62, vcc_lo, v59, v67, vcc_lo
	flat_load_b32 v61, v[61:62]
	s_waitcnt vmcnt(0) lgkmcnt(0)
	v_mul_f32_e32 v63, s13, v61
	v_add_co_u32 v61, vcc_lo, v56, v66
	v_add_co_ci_u32_e32 v62, vcc_lo, v57, v67, vcc_lo
	v_add_co_u32 v128, vcc_lo, v58, v64
	s_delay_alu instid0(VALU_DEP_4)
	v_min_f32_e32 v60, v63, v60
	v_add_co_ci_u32_e32 v129, vcc_lo, v59, v65, vcc_lo
	global_store_b32 v[61:62], v60, off
	flat_load_b32 v60, v[128:129]
	s_waitcnt vmcnt(0) lgkmcnt(0)
	v_mul_f32_e32 v60, s13, v60
.LBB72_87:
	v_dual_add_f32 v61, v29, v53 :: v_dual_add_f32 v62, v28, v52
	v_dual_add_f32 v63, v25, v53 :: v_dual_add_f32 v128, v24, v52
	;; [unrolled: 1-line block ×3, first 2 shown]
	s_delay_alu instid0(VALU_DEP_3) | instskip(NEXT) | instid1(VALU_DEP_3)
	v_min3_f32 v61, v62, v61, v127
	v_min3_f32 v62, v128, v63, v126
	v_dual_add_f32 v63, v27, v55 :: v_dual_add_f32 v126, v26, v54
	s_delay_alu instid0(VALU_DEP_1) | instskip(SKIP_1) | instid1(VALU_DEP_1)
	v_min3_f32 v63, v126, v63, v62
	v_min_f32_e32 v127, v130, v129
	v_min3_f32 v126, v60, v127, v61
	s_delay_alu instid0(VALU_DEP_3)
	v_max_f32_e32 v60, v63, v63
	v_add_co_u32 v61, vcc_lo, v56, v64
	v_add_co_ci_u32_e32 v62, vcc_lo, v57, v65, vcc_lo
	s_mov_b32 vcc_lo, s2
	global_store_b32 v[61:62], v126, off
	s_cbranch_vccz .LBB72_90
; %bb.88:
	v_add_co_u32 v61, vcc_lo, v56, v70
	v_min_f32_e32 v63, 0, v60
	v_add_co_ci_u32_e32 v62, vcc_lo, v57, v71, vcc_lo
	s_mov_b32 s7, 0
	global_store_b32 v[61:62], v63, off
	s_cbranch_execz .LBB72_91
; %bb.89:
	v_mov_b32_e32 v60, s7
	s_branch .LBB72_92
.LBB72_90:
	s_mov_b32 s7, -1
.LBB72_91:
	v_add_co_u32 v61, vcc_lo, v58, v70
	v_add_co_ci_u32_e32 v62, vcc_lo, v59, v71, vcc_lo
	flat_load_b32 v61, v[61:62]
	s_waitcnt vmcnt(0) lgkmcnt(0)
	v_mul_f32_e32 v63, s13, v61
	v_add_co_u32 v61, vcc_lo, v56, v70
	v_add_co_ci_u32_e32 v62, vcc_lo, v57, v71, vcc_lo
	v_add_co_u32 v126, vcc_lo, v58, v68
	s_delay_alu instid0(VALU_DEP_4)
	v_min_f32_e32 v60, v63, v60
	v_add_co_ci_u32_e32 v127, vcc_lo, v59, v69, vcc_lo
	global_store_b32 v[61:62], v60, off
	flat_load_b32 v60, v[126:127]
	s_waitcnt vmcnt(0) lgkmcnt(0)
	v_mul_f32_e32 v60, s13, v60
.LBB72_92:
	v_dual_add_f32 v61, v21, v53 :: v_dual_add_f32 v62, v20, v52
	v_dual_add_f32 v63, v17, v53 :: v_dual_add_f32 v126, v16, v52
	;; [unrolled: 1-line block ×3, first 2 shown]
	s_delay_alu instid0(VALU_DEP_3) | instskip(SKIP_1) | instid1(VALU_DEP_4)
	v_min3_f32 v61, v62, v61, v124
	v_add_f32_e32 v124, v18, v54
	v_min3_f32 v62, v126, v63, v125
	v_add_f32_e32 v63, v19, v55
	v_min_f32_e32 v125, v128, v127
	s_delay_alu instid0(VALU_DEP_2) | instskip(NEXT) | instid1(VALU_DEP_2)
	v_min3_f32 v63, v124, v63, v62
	v_min3_f32 v124, v60, v125, v61
	v_add_co_u32 v61, vcc_lo, v56, v68
	v_add_co_ci_u32_e32 v62, vcc_lo, v57, v69, vcc_lo
	s_delay_alu instid0(VALU_DEP_4)
	v_max_f32_e32 v60, v63, v63
	s_mov_b32 vcc_lo, s2
	global_store_b32 v[61:62], v124, off
	s_cbranch_vccz .LBB72_95
; %bb.93:
	v_add_co_u32 v61, vcc_lo, v56, v74
	v_min_f32_e32 v63, 0, v60
	v_add_co_ci_u32_e32 v62, vcc_lo, v57, v75, vcc_lo
	s_mov_b32 s7, 0
	global_store_b32 v[61:62], v63, off
	s_cbranch_execz .LBB72_96
; %bb.94:
	v_mov_b32_e32 v60, s7
	s_branch .LBB72_97
.LBB72_95:
	s_mov_b32 s7, -1
.LBB72_96:
	v_add_co_u32 v61, vcc_lo, v58, v74
	v_add_co_ci_u32_e32 v62, vcc_lo, v59, v75, vcc_lo
	flat_load_b32 v61, v[61:62]
	s_waitcnt vmcnt(0) lgkmcnt(0)
	v_mul_f32_e32 v63, s13, v61
	v_add_co_u32 v61, vcc_lo, v56, v74
	v_add_co_ci_u32_e32 v62, vcc_lo, v57, v75, vcc_lo
	v_add_co_u32 v124, vcc_lo, v58, v72
	s_delay_alu instid0(VALU_DEP_4)
	v_min_f32_e32 v60, v63, v60
	v_add_co_ci_u32_e32 v125, vcc_lo, v59, v73, vcc_lo
	global_store_b32 v[61:62], v60, off
	flat_load_b32 v60, v[124:125]
	s_waitcnt vmcnt(0) lgkmcnt(0)
	v_mul_f32_e32 v60, s13, v60
.LBB72_97:
	v_dual_add_f32 v61, v13, v53 :: v_dual_add_f32 v62, v12, v52
	v_dual_add_f32 v63, v9, v53 :: v_dual_add_f32 v124, v8, v52
	;; [unrolled: 1-line block ×3, first 2 shown]
	s_delay_alu instid0(VALU_DEP_3) | instskip(SKIP_1) | instid1(VALU_DEP_4)
	v_min3_f32 v61, v62, v61, v122
	v_add_f32_e32 v122, v10, v54
	v_min3_f32 v62, v124, v63, v123
	v_add_f32_e32 v63, v11, v55
	s_delay_alu instid0(VALU_DEP_1) | instskip(SKIP_1) | instid1(VALU_DEP_1)
	v_min3_f32 v63, v122, v63, v62
	v_min_f32_e32 v123, v126, v125
	v_min3_f32 v122, v60, v123, v61
	s_delay_alu instid0(VALU_DEP_3)
	v_max_f32_e32 v60, v63, v63
	v_add_co_u32 v61, vcc_lo, v56, v72
	v_add_co_ci_u32_e32 v62, vcc_lo, v57, v73, vcc_lo
	s_mov_b32 vcc_lo, s2
	global_store_b32 v[61:62], v122, off
	s_cbranch_vccz .LBB72_100
; %bb.98:
	v_add_co_u32 v61, vcc_lo, v56, v78
	v_min_f32_e32 v63, 0, v60
	v_add_co_ci_u32_e32 v62, vcc_lo, v57, v79, vcc_lo
	s_mov_b32 s7, 0
	global_store_b32 v[61:62], v63, off
	s_cbranch_execz .LBB72_101
; %bb.99:
	v_mov_b32_e32 v58, s7
	s_branch .LBB72_102
.LBB72_100:
	s_mov_b32 s7, -1
.LBB72_101:
	v_add_co_u32 v61, vcc_lo, v58, v78
	v_add_co_ci_u32_e32 v62, vcc_lo, v59, v79, vcc_lo
	flat_load_b32 v61, v[61:62]
	s_waitcnt vmcnt(0) lgkmcnt(0)
	v_mul_f32_e32 v63, s13, v61
	v_add_co_u32 v61, vcc_lo, v56, v78
	v_add_co_ci_u32_e32 v62, vcc_lo, v57, v79, vcc_lo
	v_add_co_u32 v58, vcc_lo, v58, v76
	s_delay_alu instid0(VALU_DEP_4)
	v_min_f32_e32 v60, v63, v60
	v_add_co_ci_u32_e32 v59, vcc_lo, v59, v77, vcc_lo
	global_store_b32 v[61:62], v60, off
	flat_load_b32 v58, v[58:59]
	s_waitcnt vmcnt(0) lgkmcnt(0)
	v_mul_f32_e32 v58, s13, v58
.LBB72_102:
	v_dual_add_f32 v59, v33, v49 :: v_dual_add_f32 v60, v32, v48
	v_dual_add_f32 v53, v1, v53 :: v_dual_add_f32 v52, v0, v52
	;; [unrolled: 1-line block ×3, first 2 shown]
	s_delay_alu instid0(VALU_DEP_3) | instskip(SKIP_1) | instid1(VALU_DEP_4)
	v_min3_f32 v59, v60, v59, v121
	v_dual_add_f32 v63, v34, v50 :: v_dual_add_nc_u32 v60, 0x60, v111
	v_min3_f32 v61, v52, v53, v120
	s_delay_alu instid0(VALU_DEP_4) | instskip(SKIP_1) | instid1(VALU_DEP_4)
	v_min_f32_e32 v120, v54, v55
	v_add_f32_e32 v62, v35, v51
	v_mad_i64_i32 v[52:53], null, v60, s3, 0
	v_mad_i64_i32 v[54:55], null, v60, s0, 0
	s_delay_alu instid0(VALU_DEP_4)
	v_min3_f32 v61, v58, v120, v61
	v_add_co_u32 v58, vcc_lo, v56, v76
	v_min3_f32 v60, v63, v62, v59
	v_lshlrev_b64 v[52:53], 2, v[52:53]
	v_add_co_ci_u32_e32 v59, vcc_lo, v57, v77, vcc_lo
	v_lshlrev_b64 v[54:55], 2, v[54:55]
	s_delay_alu instid0(VALU_DEP_4) | instskip(NEXT) | instid1(VALU_DEP_4)
	v_max_f32_e32 v56, v60, v60
	v_add_co_u32 v52, vcc_lo, s1, v52
	v_add_co_ci_u32_e32 v53, vcc_lo, s6, v53, vcc_lo
	s_delay_alu instid0(VALU_DEP_4)
	v_add_co_u32 v54, vcc_lo, s4, v54
	v_add_co_ci_u32_e32 v55, vcc_lo, s5, v55, vcc_lo
	s_mov_b32 vcc_lo, s2
	global_store_b32 v[58:59], v61, off
	s_cbranch_vccz .LBB72_105
; %bb.103:
	v_add_co_u32 v57, vcc_lo, v52, v66
	v_min_f32_e32 v59, 0, v56
	v_add_co_ci_u32_e32 v58, vcc_lo, v53, v67, vcc_lo
	s_mov_b32 s7, 0
	global_store_b32 v[57:58], v59, off
	s_cbranch_execz .LBB72_106
; %bb.104:
	v_mov_b32_e32 v56, s7
	s_branch .LBB72_107
.LBB72_105:
	s_mov_b32 s7, -1
.LBB72_106:
	v_add_co_u32 v57, vcc_lo, v54, v66
	v_add_co_ci_u32_e32 v58, vcc_lo, v55, v67, vcc_lo
	flat_load_b32 v57, v[57:58]
	s_waitcnt vmcnt(0) lgkmcnt(0)
	v_mul_f32_e32 v59, s13, v57
	v_add_co_u32 v57, vcc_lo, v52, v66
	v_add_co_ci_u32_e32 v58, vcc_lo, v53, v67, vcc_lo
	s_delay_alu instid0(VALU_DEP_3)
	v_min_f32_e32 v56, v59, v56
	v_add_co_u32 v59, vcc_lo, v54, v64
	v_add_co_ci_u32_e32 v60, vcc_lo, v55, v65, vcc_lo
	global_store_b32 v[57:58], v56, off
	flat_load_b32 v56, v[59:60]
	s_waitcnt vmcnt(0) lgkmcnt(0)
	v_mul_f32_e32 v56, s13, v56
.LBB72_107:
	v_dual_add_f32 v57, v29, v49 :: v_dual_add_f32 v58, v28, v48
	v_dual_add_f32 v59, v25, v49 :: v_dual_add_f32 v60, v24, v48
	v_dual_add_f32 v61, v31, v51 :: v_dual_add_f32 v62, v30, v50
	s_delay_alu instid0(VALU_DEP_3) | instskip(NEXT) | instid1(VALU_DEP_3)
	v_min3_f32 v57, v58, v57, v118
	v_min3_f32 v58, v60, v59, v119
	v_dual_add_f32 v59, v27, v51 :: v_dual_add_f32 v60, v26, v50
	s_delay_alu instid0(VALU_DEP_1) | instskip(SKIP_1) | instid1(VALU_DEP_1)
	v_min3_f32 v59, v60, v59, v58
	v_min_f32_e32 v61, v62, v61
	v_min3_f32 v60, v56, v61, v57
	s_delay_alu instid0(VALU_DEP_3)
	v_max_f32_e32 v56, v59, v59
	v_add_co_u32 v57, vcc_lo, v52, v64
	v_add_co_ci_u32_e32 v58, vcc_lo, v53, v65, vcc_lo
	s_mov_b32 vcc_lo, s2
	global_store_b32 v[57:58], v60, off
	s_cbranch_vccz .LBB72_110
; %bb.108:
	v_add_co_u32 v57, vcc_lo, v52, v70
	v_min_f32_e32 v59, 0, v56
	v_add_co_ci_u32_e32 v58, vcc_lo, v53, v71, vcc_lo
	s_mov_b32 s7, 0
	global_store_b32 v[57:58], v59, off
	s_cbranch_execz .LBB72_111
; %bb.109:
	v_mov_b32_e32 v56, s7
	s_branch .LBB72_112
.LBB72_110:
	s_mov_b32 s7, -1
.LBB72_111:
	v_add_co_u32 v57, vcc_lo, v54, v70
	v_add_co_ci_u32_e32 v58, vcc_lo, v55, v71, vcc_lo
	flat_load_b32 v57, v[57:58]
	s_waitcnt vmcnt(0) lgkmcnt(0)
	v_mul_f32_e32 v59, s13, v57
	v_add_co_u32 v57, vcc_lo, v52, v70
	v_add_co_ci_u32_e32 v58, vcc_lo, v53, v71, vcc_lo
	s_delay_alu instid0(VALU_DEP_3)
	v_min_f32_e32 v56, v59, v56
	v_add_co_u32 v59, vcc_lo, v54, v68
	v_add_co_ci_u32_e32 v60, vcc_lo, v55, v69, vcc_lo
	global_store_b32 v[57:58], v56, off
	flat_load_b32 v56, v[59:60]
	s_waitcnt vmcnt(0) lgkmcnt(0)
	v_mul_f32_e32 v56, s13, v56
.LBB72_112:
	v_dual_add_f32 v57, v21, v49 :: v_dual_add_f32 v58, v20, v48
	v_dual_add_f32 v59, v17, v49 :: v_dual_add_f32 v60, v16, v48
	v_dual_add_f32 v61, v23, v51 :: v_dual_add_f32 v62, v22, v50
	s_delay_alu instid0(VALU_DEP_3) | instskip(NEXT) | instid1(VALU_DEP_3)
	v_min3_f32 v57, v58, v57, v117
	v_min3_f32 v58, v60, v59, v116
	v_dual_add_f32 v59, v19, v51 :: v_dual_add_f32 v60, v18, v50
	s_delay_alu instid0(VALU_DEP_1) | instskip(SKIP_1) | instid1(VALU_DEP_1)
	v_min3_f32 v59, v60, v59, v58
	v_min_f32_e32 v61, v62, v61
	v_min3_f32 v60, v56, v61, v57
	s_delay_alu instid0(VALU_DEP_3)
	v_max_f32_e32 v56, v59, v59
	;; [unrolled: 47-line block ×3, first 2 shown]
	v_add_co_u32 v57, vcc_lo, v52, v72
	v_add_co_ci_u32_e32 v58, vcc_lo, v53, v73, vcc_lo
	s_mov_b32 vcc_lo, s2
	global_store_b32 v[57:58], v60, off
	s_cbranch_vccz .LBB72_120
; %bb.118:
	v_add_co_u32 v57, vcc_lo, v52, v78
	v_min_f32_e32 v59, 0, v56
	v_add_co_ci_u32_e32 v58, vcc_lo, v53, v79, vcc_lo
	s_mov_b32 s7, 0
	global_store_b32 v[57:58], v59, off
	s_cbranch_execz .LBB72_121
; %bb.119:
	v_mov_b32_e32 v54, s7
	s_branch .LBB72_122
.LBB72_120:
	s_mov_b32 s7, -1
.LBB72_121:
	v_add_co_u32 v57, vcc_lo, v54, v78
	v_add_co_ci_u32_e32 v58, vcc_lo, v55, v79, vcc_lo
	flat_load_b32 v57, v[57:58]
	s_waitcnt vmcnt(0) lgkmcnt(0)
	v_mul_f32_e32 v59, s13, v57
	v_add_co_u32 v57, vcc_lo, v52, v78
	v_add_co_ci_u32_e32 v58, vcc_lo, v53, v79, vcc_lo
	v_add_co_u32 v54, vcc_lo, v54, v76
	s_delay_alu instid0(VALU_DEP_4)
	v_min_f32_e32 v56, v59, v56
	v_add_co_ci_u32_e32 v55, vcc_lo, v55, v77, vcc_lo
	global_store_b32 v[57:58], v56, off
	flat_load_b32 v54, v[54:55]
	s_waitcnt vmcnt(0) lgkmcnt(0)
	v_mul_f32_e32 v54, s13, v54
.LBB72_122:
	v_dual_add_f32 v55, v33, v45 :: v_dual_add_f32 v56, v32, v44
	v_dual_add_f32 v49, v1, v49 :: v_dual_add_f32 v48, v0, v48
	v_dual_add_f32 v51, v3, v51 :: v_dual_add_f32 v50, v2, v50
	s_delay_alu instid0(VALU_DEP_3) | instskip(SKIP_1) | instid1(VALU_DEP_4)
	v_min3_f32 v55, v56, v55, v113
	v_dual_add_f32 v59, v34, v46 :: v_dual_add_nc_u32 v56, 0x80, v111
	v_min3_f32 v57, v48, v49, v112
	s_delay_alu instid0(VALU_DEP_4) | instskip(SKIP_1) | instid1(VALU_DEP_4)
	v_min_f32_e32 v60, v50, v51
	v_add_f32_e32 v58, v35, v47
	v_mad_i64_i32 v[48:49], null, v56, s3, 0
	v_mad_i64_i32 v[50:51], null, v56, s0, 0
	s_delay_alu instid0(VALU_DEP_4)
	v_min3_f32 v57, v54, v60, v57
	v_add_co_u32 v54, vcc_lo, v52, v76
	v_min3_f32 v56, v59, v58, v55
	v_lshlrev_b64 v[48:49], 2, v[48:49]
	v_add_co_ci_u32_e32 v55, vcc_lo, v53, v77, vcc_lo
	v_lshlrev_b64 v[50:51], 2, v[50:51]
	s_delay_alu instid0(VALU_DEP_4) | instskip(NEXT) | instid1(VALU_DEP_4)
	v_max_f32_e32 v52, v56, v56
	v_add_co_u32 v48, vcc_lo, s1, v48
	v_add_co_ci_u32_e32 v49, vcc_lo, s6, v49, vcc_lo
	s_delay_alu instid0(VALU_DEP_4)
	v_add_co_u32 v50, vcc_lo, s4, v50
	v_add_co_ci_u32_e32 v51, vcc_lo, s5, v51, vcc_lo
	s_mov_b32 vcc_lo, s2
	global_store_b32 v[54:55], v57, off
	s_cbranch_vccz .LBB72_125
; %bb.123:
	v_add_co_u32 v53, vcc_lo, v48, v66
	v_min_f32_e32 v55, 0, v52
	v_add_co_ci_u32_e32 v54, vcc_lo, v49, v67, vcc_lo
	s_mov_b32 s7, 0
	global_store_b32 v[53:54], v55, off
	s_cbranch_execz .LBB72_126
; %bb.124:
	v_mov_b32_e32 v52, s7
	s_branch .LBB72_127
.LBB72_125:
	s_mov_b32 s7, -1
.LBB72_126:
	v_add_co_u32 v53, vcc_lo, v50, v66
	v_add_co_ci_u32_e32 v54, vcc_lo, v51, v67, vcc_lo
	flat_load_b32 v53, v[53:54]
	s_waitcnt vmcnt(0) lgkmcnt(0)
	v_mul_f32_e32 v55, s13, v53
	v_add_co_u32 v53, vcc_lo, v48, v66
	v_add_co_ci_u32_e32 v54, vcc_lo, v49, v67, vcc_lo
	s_delay_alu instid0(VALU_DEP_3)
	v_min_f32_e32 v52, v55, v52
	v_add_co_u32 v55, vcc_lo, v50, v64
	v_add_co_ci_u32_e32 v56, vcc_lo, v51, v65, vcc_lo
	global_store_b32 v[53:54], v52, off
	flat_load_b32 v52, v[55:56]
	s_waitcnt vmcnt(0) lgkmcnt(0)
	v_mul_f32_e32 v52, s13, v52
.LBB72_127:
	v_dual_add_f32 v53, v29, v45 :: v_dual_add_f32 v54, v28, v44
	v_dual_add_f32 v55, v25, v45 :: v_dual_add_f32 v56, v24, v44
	v_dual_add_f32 v57, v31, v47 :: v_dual_add_f32 v58, v30, v46
	s_delay_alu instid0(VALU_DEP_3) | instskip(NEXT) | instid1(VALU_DEP_3)
	v_min3_f32 v53, v54, v53, v109
	v_min3_f32 v54, v56, v55, v110
	v_dual_add_f32 v55, v27, v47 :: v_dual_add_f32 v56, v26, v46
	s_delay_alu instid0(VALU_DEP_1) | instskip(SKIP_1) | instid1(VALU_DEP_1)
	v_min3_f32 v55, v56, v55, v54
	v_min_f32_e32 v57, v58, v57
	v_min3_f32 v56, v52, v57, v53
	s_delay_alu instid0(VALU_DEP_3)
	v_max_f32_e32 v52, v55, v55
	v_add_co_u32 v53, vcc_lo, v48, v64
	v_add_co_ci_u32_e32 v54, vcc_lo, v49, v65, vcc_lo
	s_mov_b32 vcc_lo, s2
	global_store_b32 v[53:54], v56, off
	s_cbranch_vccz .LBB72_130
; %bb.128:
	v_add_co_u32 v53, vcc_lo, v48, v70
	v_min_f32_e32 v55, 0, v52
	v_add_co_ci_u32_e32 v54, vcc_lo, v49, v71, vcc_lo
	s_mov_b32 s7, 0
	global_store_b32 v[53:54], v55, off
	s_cbranch_execz .LBB72_131
; %bb.129:
	v_mov_b32_e32 v52, s7
	s_branch .LBB72_132
.LBB72_130:
	s_mov_b32 s7, -1
.LBB72_131:
	v_add_co_u32 v53, vcc_lo, v50, v70
	v_add_co_ci_u32_e32 v54, vcc_lo, v51, v71, vcc_lo
	flat_load_b32 v53, v[53:54]
	s_waitcnt vmcnt(0) lgkmcnt(0)
	v_mul_f32_e32 v55, s13, v53
	v_add_co_u32 v53, vcc_lo, v48, v70
	v_add_co_ci_u32_e32 v54, vcc_lo, v49, v71, vcc_lo
	s_delay_alu instid0(VALU_DEP_3)
	v_min_f32_e32 v52, v55, v52
	v_add_co_u32 v55, vcc_lo, v50, v68
	v_add_co_ci_u32_e32 v56, vcc_lo, v51, v69, vcc_lo
	global_store_b32 v[53:54], v52, off
	flat_load_b32 v52, v[55:56]
	s_waitcnt vmcnt(0) lgkmcnt(0)
	v_mul_f32_e32 v52, s13, v52
.LBB72_132:
	v_dual_add_f32 v53, v21, v45 :: v_dual_add_f32 v54, v20, v44
	v_dual_add_f32 v55, v17, v45 :: v_dual_add_f32 v56, v16, v44
	v_dual_add_f32 v57, v23, v47 :: v_dual_add_f32 v58, v22, v46
	s_delay_alu instid0(VALU_DEP_3) | instskip(NEXT) | instid1(VALU_DEP_3)
	v_min3_f32 v53, v54, v53, v107
	v_min3_f32 v54, v56, v55, v108
	v_dual_add_f32 v55, v19, v47 :: v_dual_add_f32 v56, v18, v46
	s_delay_alu instid0(VALU_DEP_1) | instskip(SKIP_1) | instid1(VALU_DEP_1)
	v_min3_f32 v55, v56, v55, v54
	v_min_f32_e32 v57, v58, v57
	v_min3_f32 v56, v52, v57, v53
	s_delay_alu instid0(VALU_DEP_3)
	v_max_f32_e32 v52, v55, v55
	;; [unrolled: 47-line block ×3, first 2 shown]
	v_add_co_u32 v53, vcc_lo, v48, v72
	v_add_co_ci_u32_e32 v54, vcc_lo, v49, v73, vcc_lo
	s_mov_b32 vcc_lo, s2
	global_store_b32 v[53:54], v56, off
	s_cbranch_vccz .LBB72_140
; %bb.138:
	v_add_co_u32 v53, vcc_lo, v48, v78
	v_min_f32_e32 v55, 0, v52
	v_add_co_ci_u32_e32 v54, vcc_lo, v49, v79, vcc_lo
	s_mov_b32 s7, 0
	global_store_b32 v[53:54], v55, off
	s_cbranch_execz .LBB72_141
; %bb.139:
	v_mov_b32_e32 v50, s7
	s_branch .LBB72_142
.LBB72_140:
	s_mov_b32 s7, -1
.LBB72_141:
	v_add_co_u32 v53, vcc_lo, v50, v78
	v_add_co_ci_u32_e32 v54, vcc_lo, v51, v79, vcc_lo
	flat_load_b32 v53, v[53:54]
	s_waitcnt vmcnt(0) lgkmcnt(0)
	v_mul_f32_e32 v55, s13, v53
	v_add_co_u32 v53, vcc_lo, v48, v78
	v_add_co_ci_u32_e32 v54, vcc_lo, v49, v79, vcc_lo
	v_add_co_u32 v50, vcc_lo, v50, v76
	s_delay_alu instid0(VALU_DEP_4)
	v_min_f32_e32 v52, v55, v52
	v_add_co_ci_u32_e32 v51, vcc_lo, v51, v77, vcc_lo
	global_store_b32 v[53:54], v52, off
	flat_load_b32 v50, v[50:51]
	s_waitcnt vmcnt(0) lgkmcnt(0)
	v_mul_f32_e32 v50, s13, v50
.LBB72_142:
	v_dual_add_f32 v51, v33, v41 :: v_dual_add_f32 v52, v32, v40
	v_dual_add_f32 v45, v1, v45 :: v_dual_add_f32 v44, v0, v44
	;; [unrolled: 1-line block ×3, first 2 shown]
	s_delay_alu instid0(VALU_DEP_3) | instskip(SKIP_1) | instid1(VALU_DEP_4)
	v_min3_f32 v51, v52, v51, v104
	v_dual_add_f32 v55, v34, v42 :: v_dual_add_nc_u32 v52, 0xa0, v111
	v_min3_f32 v53, v44, v45, v103
	s_delay_alu instid0(VALU_DEP_4) | instskip(SKIP_1) | instid1(VALU_DEP_4)
	v_min_f32_e32 v56, v46, v47
	v_add_f32_e32 v54, v35, v43
	v_mad_i64_i32 v[44:45], null, v52, s3, 0
	v_mad_i64_i32 v[46:47], null, v52, s0, 0
	s_delay_alu instid0(VALU_DEP_4)
	v_min3_f32 v53, v50, v56, v53
	v_add_co_u32 v50, vcc_lo, v48, v76
	v_min3_f32 v52, v55, v54, v51
	v_lshlrev_b64 v[44:45], 2, v[44:45]
	v_add_co_ci_u32_e32 v51, vcc_lo, v49, v77, vcc_lo
	v_lshlrev_b64 v[46:47], 2, v[46:47]
	s_delay_alu instid0(VALU_DEP_4) | instskip(NEXT) | instid1(VALU_DEP_4)
	v_max_f32_e32 v48, v52, v52
	v_add_co_u32 v44, vcc_lo, s1, v44
	v_add_co_ci_u32_e32 v45, vcc_lo, s6, v45, vcc_lo
	s_delay_alu instid0(VALU_DEP_4)
	v_add_co_u32 v46, vcc_lo, s4, v46
	v_add_co_ci_u32_e32 v47, vcc_lo, s5, v47, vcc_lo
	s_mov_b32 vcc_lo, s2
	global_store_b32 v[50:51], v53, off
	s_cbranch_vccz .LBB72_145
; %bb.143:
	v_add_co_u32 v49, vcc_lo, v44, v66
	v_min_f32_e32 v51, 0, v48
	v_add_co_ci_u32_e32 v50, vcc_lo, v45, v67, vcc_lo
	s_mov_b32 s7, 0
	global_store_b32 v[49:50], v51, off
	s_cbranch_execz .LBB72_146
; %bb.144:
	v_mov_b32_e32 v48, s7
	s_branch .LBB72_147
.LBB72_145:
	s_mov_b32 s7, -1
.LBB72_146:
	v_add_co_u32 v49, vcc_lo, v46, v66
	v_add_co_ci_u32_e32 v50, vcc_lo, v47, v67, vcc_lo
	flat_load_b32 v49, v[49:50]
	s_waitcnt vmcnt(0) lgkmcnt(0)
	v_mul_f32_e32 v51, s13, v49
	v_add_co_u32 v49, vcc_lo, v44, v66
	v_add_co_ci_u32_e32 v50, vcc_lo, v45, v67, vcc_lo
	s_delay_alu instid0(VALU_DEP_3)
	v_min_f32_e32 v48, v51, v48
	v_add_co_u32 v51, vcc_lo, v46, v64
	v_add_co_ci_u32_e32 v52, vcc_lo, v47, v65, vcc_lo
	global_store_b32 v[49:50], v48, off
	flat_load_b32 v48, v[51:52]
	s_waitcnt vmcnt(0) lgkmcnt(0)
	v_mul_f32_e32 v48, s13, v48
.LBB72_147:
	v_dual_add_f32 v49, v29, v41 :: v_dual_add_f32 v50, v28, v40
	v_dual_add_f32 v51, v25, v41 :: v_dual_add_f32 v52, v24, v40
	v_dual_add_f32 v53, v31, v43 :: v_dual_add_f32 v54, v30, v42
	s_delay_alu instid0(VALU_DEP_3) | instskip(NEXT) | instid1(VALU_DEP_3)
	v_min3_f32 v49, v50, v49, v101
	v_min3_f32 v50, v52, v51, v102
	v_dual_add_f32 v51, v27, v43 :: v_dual_add_f32 v52, v26, v42
	s_delay_alu instid0(VALU_DEP_1) | instskip(SKIP_1) | instid1(VALU_DEP_1)
	v_min3_f32 v51, v52, v51, v50
	v_min_f32_e32 v53, v54, v53
	v_min3_f32 v52, v48, v53, v49
	s_delay_alu instid0(VALU_DEP_3)
	v_max_f32_e32 v48, v51, v51
	v_add_co_u32 v49, vcc_lo, v44, v64
	v_add_co_ci_u32_e32 v50, vcc_lo, v45, v65, vcc_lo
	s_mov_b32 vcc_lo, s2
	global_store_b32 v[49:50], v52, off
	s_cbranch_vccz .LBB72_150
; %bb.148:
	v_add_co_u32 v49, vcc_lo, v44, v70
	v_min_f32_e32 v51, 0, v48
	v_add_co_ci_u32_e32 v50, vcc_lo, v45, v71, vcc_lo
	s_mov_b32 s7, 0
	global_store_b32 v[49:50], v51, off
	s_cbranch_execz .LBB72_151
; %bb.149:
	v_mov_b32_e32 v48, s7
	s_branch .LBB72_152
.LBB72_150:
	s_mov_b32 s7, -1
.LBB72_151:
	v_add_co_u32 v49, vcc_lo, v46, v70
	v_add_co_ci_u32_e32 v50, vcc_lo, v47, v71, vcc_lo
	flat_load_b32 v49, v[49:50]
	s_waitcnt vmcnt(0) lgkmcnt(0)
	v_mul_f32_e32 v51, s13, v49
	v_add_co_u32 v49, vcc_lo, v44, v70
	v_add_co_ci_u32_e32 v50, vcc_lo, v45, v71, vcc_lo
	s_delay_alu instid0(VALU_DEP_3)
	v_min_f32_e32 v48, v51, v48
	v_add_co_u32 v51, vcc_lo, v46, v68
	v_add_co_ci_u32_e32 v52, vcc_lo, v47, v69, vcc_lo
	global_store_b32 v[49:50], v48, off
	flat_load_b32 v48, v[51:52]
	s_waitcnt vmcnt(0) lgkmcnt(0)
	v_mul_f32_e32 v48, s13, v48
.LBB72_152:
	v_dual_add_f32 v49, v21, v41 :: v_dual_add_f32 v50, v20, v40
	v_dual_add_f32 v51, v17, v41 :: v_dual_add_f32 v52, v16, v40
	v_dual_add_f32 v53, v23, v43 :: v_dual_add_f32 v54, v22, v42
	s_delay_alu instid0(VALU_DEP_3) | instskip(NEXT) | instid1(VALU_DEP_3)
	v_min3_f32 v49, v50, v49, v99
	v_min3_f32 v50, v52, v51, v100
	v_dual_add_f32 v51, v19, v43 :: v_dual_add_f32 v52, v18, v42
	s_delay_alu instid0(VALU_DEP_1) | instskip(SKIP_1) | instid1(VALU_DEP_1)
	v_min3_f32 v51, v52, v51, v50
	v_min_f32_e32 v53, v54, v53
	v_min3_f32 v52, v48, v53, v49
	s_delay_alu instid0(VALU_DEP_3)
	v_max_f32_e32 v48, v51, v51
	;; [unrolled: 47-line block ×3, first 2 shown]
	v_add_co_u32 v49, vcc_lo, v44, v72
	v_add_co_ci_u32_e32 v50, vcc_lo, v45, v73, vcc_lo
	s_mov_b32 vcc_lo, s2
	global_store_b32 v[49:50], v52, off
	s_cbranch_vccz .LBB72_160
; %bb.158:
	v_add_co_u32 v49, vcc_lo, v44, v78
	v_min_f32_e32 v51, 0, v48
	v_add_co_ci_u32_e32 v50, vcc_lo, v45, v79, vcc_lo
	s_mov_b32 s7, 0
	global_store_b32 v[49:50], v51, off
	s_cbranch_execz .LBB72_161
; %bb.159:
	v_mov_b32_e32 v46, s7
	s_branch .LBB72_162
.LBB72_160:
	s_mov_b32 s7, -1
.LBB72_161:
	v_add_co_u32 v49, vcc_lo, v46, v78
	v_add_co_ci_u32_e32 v50, vcc_lo, v47, v79, vcc_lo
	flat_load_b32 v49, v[49:50]
	s_waitcnt vmcnt(0) lgkmcnt(0)
	v_mul_f32_e32 v51, s13, v49
	v_add_co_u32 v49, vcc_lo, v44, v78
	v_add_co_ci_u32_e32 v50, vcc_lo, v45, v79, vcc_lo
	v_add_co_u32 v46, vcc_lo, v46, v76
	s_delay_alu instid0(VALU_DEP_4)
	v_min_f32_e32 v48, v51, v48
	v_add_co_ci_u32_e32 v47, vcc_lo, v47, v77, vcc_lo
	global_store_b32 v[49:50], v48, off
	flat_load_b32 v46, v[46:47]
	s_waitcnt vmcnt(0) lgkmcnt(0)
	v_mul_f32_e32 v46, s13, v46
.LBB72_162:
	v_dual_add_f32 v47, v33, v37 :: v_dual_add_f32 v48, v32, v36
	v_dual_add_f32 v41, v1, v41 :: v_dual_add_f32 v40, v0, v40
	;; [unrolled: 1-line block ×3, first 2 shown]
	s_delay_alu instid0(VALU_DEP_3) | instskip(SKIP_1) | instid1(VALU_DEP_4)
	v_min3_f32 v47, v48, v47, v95
	v_dual_add_f32 v51, v34, v38 :: v_dual_add_nc_u32 v48, 0xc0, v111
	v_min3_f32 v49, v40, v41, v96
	s_delay_alu instid0(VALU_DEP_4) | instskip(SKIP_1) | instid1(VALU_DEP_4)
	v_min_f32_e32 v52, v42, v43
	v_add_f32_e32 v50, v35, v39
	v_mad_i64_i32 v[40:41], null, v48, s3, 0
	v_mad_i64_i32 v[42:43], null, v48, s0, 0
	s_delay_alu instid0(VALU_DEP_4)
	v_min3_f32 v49, v46, v52, v49
	v_add_co_u32 v46, vcc_lo, v44, v76
	v_min3_f32 v48, v51, v50, v47
	v_lshlrev_b64 v[40:41], 2, v[40:41]
	v_add_co_ci_u32_e32 v47, vcc_lo, v45, v77, vcc_lo
	v_lshlrev_b64 v[42:43], 2, v[42:43]
	s_delay_alu instid0(VALU_DEP_4) | instskip(NEXT) | instid1(VALU_DEP_4)
	v_max_f32_e32 v44, v48, v48
	v_add_co_u32 v40, vcc_lo, s1, v40
	v_add_co_ci_u32_e32 v41, vcc_lo, s6, v41, vcc_lo
	s_delay_alu instid0(VALU_DEP_4)
	v_add_co_u32 v42, vcc_lo, s4, v42
	v_add_co_ci_u32_e32 v43, vcc_lo, s5, v43, vcc_lo
	s_mov_b32 vcc_lo, s2
	global_store_b32 v[46:47], v49, off
	s_cbranch_vccz .LBB72_165
; %bb.163:
	v_add_co_u32 v45, vcc_lo, v40, v66
	v_min_f32_e32 v47, 0, v44
	v_add_co_ci_u32_e32 v46, vcc_lo, v41, v67, vcc_lo
	s_mov_b32 s7, 0
	global_store_b32 v[45:46], v47, off
	s_cbranch_execz .LBB72_166
; %bb.164:
	v_mov_b32_e32 v44, s7
	s_branch .LBB72_167
.LBB72_165:
	s_mov_b32 s7, -1
.LBB72_166:
	v_add_co_u32 v45, vcc_lo, v42, v66
	v_add_co_ci_u32_e32 v46, vcc_lo, v43, v67, vcc_lo
	flat_load_b32 v45, v[45:46]
	s_waitcnt vmcnt(0) lgkmcnt(0)
	v_mul_f32_e32 v47, s13, v45
	v_add_co_u32 v45, vcc_lo, v40, v66
	v_add_co_ci_u32_e32 v46, vcc_lo, v41, v67, vcc_lo
	s_delay_alu instid0(VALU_DEP_3)
	v_min_f32_e32 v44, v47, v44
	v_add_co_u32 v47, vcc_lo, v42, v64
	v_add_co_ci_u32_e32 v48, vcc_lo, v43, v65, vcc_lo
	global_store_b32 v[45:46], v44, off
	flat_load_b32 v44, v[47:48]
	s_waitcnt vmcnt(0) lgkmcnt(0)
	v_mul_f32_e32 v44, s13, v44
.LBB72_167:
	v_dual_add_f32 v45, v29, v37 :: v_dual_add_f32 v46, v28, v36
	v_dual_add_f32 v47, v25, v37 :: v_dual_add_f32 v48, v24, v36
	v_dual_add_f32 v49, v31, v39 :: v_dual_add_f32 v50, v30, v38
	s_delay_alu instid0(VALU_DEP_3) | instskip(NEXT) | instid1(VALU_DEP_3)
	v_min3_f32 v45, v46, v45, v93
	v_min3_f32 v46, v48, v47, v94
	v_dual_add_f32 v47, v27, v39 :: v_dual_add_f32 v48, v26, v38
	s_delay_alu instid0(VALU_DEP_1) | instskip(SKIP_1) | instid1(VALU_DEP_1)
	v_min3_f32 v47, v48, v47, v46
	v_min_f32_e32 v49, v50, v49
	v_min3_f32 v48, v44, v49, v45
	s_delay_alu instid0(VALU_DEP_3)
	v_max_f32_e32 v44, v47, v47
	v_add_co_u32 v45, vcc_lo, v40, v64
	v_add_co_ci_u32_e32 v46, vcc_lo, v41, v65, vcc_lo
	s_mov_b32 vcc_lo, s2
	global_store_b32 v[45:46], v48, off
	s_cbranch_vccz .LBB72_170
; %bb.168:
	v_add_co_u32 v45, vcc_lo, v40, v70
	v_min_f32_e32 v47, 0, v44
	v_add_co_ci_u32_e32 v46, vcc_lo, v41, v71, vcc_lo
	s_mov_b32 s7, 0
	global_store_b32 v[45:46], v47, off
	s_cbranch_execz .LBB72_171
; %bb.169:
	v_mov_b32_e32 v44, s7
	s_branch .LBB72_172
.LBB72_170:
	s_mov_b32 s7, -1
.LBB72_171:
	v_add_co_u32 v45, vcc_lo, v42, v70
	v_add_co_ci_u32_e32 v46, vcc_lo, v43, v71, vcc_lo
	flat_load_b32 v45, v[45:46]
	s_waitcnt vmcnt(0) lgkmcnt(0)
	v_mul_f32_e32 v47, s13, v45
	v_add_co_u32 v45, vcc_lo, v40, v70
	v_add_co_ci_u32_e32 v46, vcc_lo, v41, v71, vcc_lo
	s_delay_alu instid0(VALU_DEP_3)
	v_min_f32_e32 v44, v47, v44
	v_add_co_u32 v47, vcc_lo, v42, v68
	v_add_co_ci_u32_e32 v48, vcc_lo, v43, v69, vcc_lo
	global_store_b32 v[45:46], v44, off
	flat_load_b32 v44, v[47:48]
	s_waitcnt vmcnt(0) lgkmcnt(0)
	v_mul_f32_e32 v44, s13, v44
.LBB72_172:
	v_dual_add_f32 v45, v21, v37 :: v_dual_add_f32 v46, v20, v36
	v_dual_add_f32 v47, v17, v37 :: v_dual_add_f32 v48, v16, v36
	v_dual_add_f32 v49, v23, v39 :: v_dual_add_f32 v50, v22, v38
	s_delay_alu instid0(VALU_DEP_3) | instskip(NEXT) | instid1(VALU_DEP_3)
	v_min3_f32 v45, v46, v45, v91
	v_min3_f32 v46, v48, v47, v92
	v_dual_add_f32 v47, v19, v39 :: v_dual_add_f32 v48, v18, v38
	s_delay_alu instid0(VALU_DEP_1) | instskip(SKIP_1) | instid1(VALU_DEP_1)
	v_min3_f32 v47, v48, v47, v46
	v_min_f32_e32 v49, v50, v49
	v_min3_f32 v48, v44, v49, v45
	s_delay_alu instid0(VALU_DEP_3)
	v_max_f32_e32 v44, v47, v47
	v_add_co_u32 v45, vcc_lo, v40, v68
	v_add_co_ci_u32_e32 v46, vcc_lo, v41, v69, vcc_lo
	s_mov_b32 vcc_lo, s2
	global_store_b32 v[45:46], v48, off
	s_cbranch_vccz .LBB72_175
; %bb.173:
	v_add_co_u32 v45, vcc_lo, v40, v74
	v_min_f32_e32 v47, 0, v44
	v_add_co_ci_u32_e32 v46, vcc_lo, v41, v75, vcc_lo
	s_mov_b32 s7, 0
	global_store_b32 v[45:46], v47, off
	s_cbranch_execz .LBB72_176
; %bb.174:
	v_mov_b32_e32 v44, s7
	s_branch .LBB72_177
.LBB72_175:
	s_mov_b32 s7, -1
.LBB72_176:
	v_add_co_u32 v45, vcc_lo, v42, v74
	v_add_co_ci_u32_e32 v46, vcc_lo, v43, v75, vcc_lo
	flat_load_b32 v45, v[45:46]
	s_waitcnt vmcnt(0) lgkmcnt(0)
	v_mul_f32_e32 v47, s13, v45
	v_add_co_u32 v45, vcc_lo, v40, v74
	v_add_co_ci_u32_e32 v46, vcc_lo, v41, v75, vcc_lo
	s_delay_alu instid0(VALU_DEP_3)
	v_min_f32_e32 v44, v47, v44
	v_add_co_u32 v47, vcc_lo, v42, v72
	v_add_co_ci_u32_e32 v48, vcc_lo, v43, v73, vcc_lo
	global_store_b32 v[45:46], v44, off
	flat_load_b32 v44, v[47:48]
	s_waitcnt vmcnt(0) lgkmcnt(0)
	v_mul_f32_e32 v44, s13, v44
.LBB72_177:
	v_dual_add_f32 v45, v13, v37 :: v_dual_add_f32 v46, v12, v36
	v_dual_add_f32 v47, v9, v37 :: v_dual_add_f32 v48, v8, v36
	v_dual_add_f32 v49, v15, v39 :: v_dual_add_f32 v50, v14, v38
	s_delay_alu instid0(VALU_DEP_3) | instskip(NEXT) | instid1(VALU_DEP_3)
	v_min3_f32 v45, v46, v45, v89
	v_min3_f32 v46, v48, v47, v90
	v_dual_add_f32 v47, v11, v39 :: v_dual_add_f32 v48, v10, v38
	s_delay_alu instid0(VALU_DEP_1) | instskip(SKIP_1) | instid1(VALU_DEP_1)
	v_min3_f32 v47, v48, v47, v46
	v_min_f32_e32 v49, v50, v49
	v_min3_f32 v48, v44, v49, v45
	s_delay_alu instid0(VALU_DEP_3)
	v_max_f32_e32 v44, v47, v47
	v_add_co_u32 v45, vcc_lo, v40, v72
	v_add_co_ci_u32_e32 v46, vcc_lo, v41, v73, vcc_lo
	s_mov_b32 vcc_lo, s2
	global_store_b32 v[45:46], v48, off
	s_cbranch_vccz .LBB72_180
; %bb.178:
	v_add_co_u32 v45, vcc_lo, v40, v78
	v_min_f32_e32 v47, 0, v44
	v_add_co_ci_u32_e32 v46, vcc_lo, v41, v79, vcc_lo
	s_mov_b32 s7, 0
	global_store_b32 v[45:46], v47, off
	s_cbranch_execz .LBB72_181
; %bb.179:
	v_mov_b32_e32 v42, s7
	s_branch .LBB72_182
.LBB72_180:
	s_mov_b32 s7, -1
.LBB72_181:
	v_add_co_u32 v45, vcc_lo, v42, v78
	v_add_co_ci_u32_e32 v46, vcc_lo, v43, v79, vcc_lo
	flat_load_b32 v45, v[45:46]
	s_waitcnt vmcnt(0) lgkmcnt(0)
	v_mul_f32_e32 v47, s13, v45
	v_add_co_u32 v45, vcc_lo, v40, v78
	v_add_co_ci_u32_e32 v46, vcc_lo, v41, v79, vcc_lo
	v_add_co_u32 v42, vcc_lo, v42, v76
	s_delay_alu instid0(VALU_DEP_4)
	v_min_f32_e32 v44, v47, v44
	v_add_co_ci_u32_e32 v43, vcc_lo, v43, v77, vcc_lo
	global_store_b32 v[45:46], v44, off
	flat_load_b32 v42, v[42:43]
	s_waitcnt vmcnt(0) lgkmcnt(0)
	v_mul_f32_e32 v42, s13, v42
.LBB72_182:
	v_dual_add_f32 v37, v1, v37 :: v_dual_add_f32 v36, v0, v36
	s_waitcnt lgkmcnt(0)
	v_dual_add_f32 v33, v33, v5 :: v_dual_add_f32 v32, v32, v4
	v_dual_add_f32 v38, v2, v38 :: v_dual_add_nc_u32 v43, 0xe0, v111
	s_delay_alu instid0(VALU_DEP_3) | instskip(SKIP_1) | instid1(VALU_DEP_4)
	v_min3_f32 v36, v36, v37, v87
	v_add_f32_e32 v39, v3, v39
	v_min3_f32 v37, v32, v33, v88
	s_delay_alu instid0(VALU_DEP_4) | instskip(SKIP_3) | instid1(VALU_DEP_4)
	v_mad_i64_i32 v[32:33], null, v43, s3, 0
	v_dual_add_f32 v44, v35, v7 :: v_dual_add_f32 v45, v34, v6
	v_mad_i64_i32 v[34:35], null, v43, s0, 0
	v_min_f32_e32 v38, v38, v39
	v_lshlrev_b64 v[32:33], 2, v[32:33]
	s_delay_alu instid0(VALU_DEP_4)
	v_min3_f32 v39, v45, v44, v37
	v_add_co_u32 v37, vcc_lo, v40, v76
	v_lshlrev_b64 v[34:35], 2, v[34:35]
	v_min3_f32 v42, v42, v38, v36
	v_add_co_ci_u32_e32 v38, vcc_lo, v41, v77, vcc_lo
	v_add_co_u32 v32, vcc_lo, s1, v32
	v_add_co_ci_u32_e32 v33, vcc_lo, s6, v33, vcc_lo
	v_add_co_u32 v34, vcc_lo, s4, v34
	v_add_co_ci_u32_e32 v35, vcc_lo, s5, v35, vcc_lo
	v_max_f32_e32 v36, v39, v39
	s_mov_b32 vcc_lo, s2
	global_store_b32 v[37:38], v42, off
	s_cbranch_vccz .LBB72_185
; %bb.183:
	v_add_co_u32 v37, vcc_lo, v32, v66
	v_min_f32_e32 v39, 0, v36
	v_add_co_ci_u32_e32 v38, vcc_lo, v33, v67, vcc_lo
	s_mov_b32 s0, 0
	global_store_b32 v[37:38], v39, off
	s_cbranch_execz .LBB72_186
; %bb.184:
	v_mov_b32_e32 v36, s0
	s_branch .LBB72_187
.LBB72_185:
	s_mov_b32 s0, -1
.LBB72_186:
	v_add_co_u32 v37, vcc_lo, v34, v66
	v_add_co_ci_u32_e32 v38, vcc_lo, v35, v67, vcc_lo
	flat_load_b32 v37, v[37:38]
	s_waitcnt vmcnt(0) lgkmcnt(0)
	v_mul_f32_e32 v39, s13, v37
	v_add_co_u32 v37, vcc_lo, v32, v66
	v_add_co_ci_u32_e32 v38, vcc_lo, v33, v67, vcc_lo
	s_delay_alu instid0(VALU_DEP_3)
	v_min_f32_e32 v36, v39, v36
	v_add_co_u32 v39, vcc_lo, v34, v64
	v_add_co_ci_u32_e32 v40, vcc_lo, v35, v65, vcc_lo
	global_store_b32 v[37:38], v36, off
	flat_load_b32 v36, v[39:40]
	s_waitcnt vmcnt(0) lgkmcnt(0)
	v_mul_f32_e32 v36, s13, v36
.LBB72_187:
	v_dual_add_f32 v25, v25, v5 :: v_dual_add_f32 v24, v24, v4
	v_dual_add_f32 v29, v29, v5 :: v_dual_add_f32 v28, v28, v4
	v_dual_add_f32 v31, v31, v7 :: v_dual_add_f32 v30, v30, v6
	s_delay_alu instid0(VALU_DEP_3) | instskip(SKIP_1) | instid1(VALU_DEP_4)
	v_min3_f32 v24, v24, v25, v85
	v_dual_add_f32 v25, v27, v7 :: v_dual_add_f32 v26, v26, v6
	v_min3_f32 v28, v28, v29, v86
	s_delay_alu instid0(VALU_DEP_2) | instskip(SKIP_3) | instid1(VALU_DEP_4)
	v_min3_f32 v24, v26, v25, v24
	v_min_f32_e32 v27, v30, v31
	v_add_co_u32 v25, vcc_lo, v32, v64
	v_add_co_ci_u32_e32 v26, vcc_lo, v33, v65, vcc_lo
	v_max_f32_e32 v24, v24, v24
	s_delay_alu instid0(VALU_DEP_4)
	v_min3_f32 v27, v36, v27, v28
	s_mov_b32 vcc_lo, s2
	global_store_b32 v[25:26], v27, off
	s_cbranch_vccz .LBB72_190
; %bb.188:
	v_add_co_u32 v25, vcc_lo, v32, v70
	v_min_f32_e32 v27, 0, v24
	v_add_co_ci_u32_e32 v26, vcc_lo, v33, v71, vcc_lo
	s_mov_b32 s0, 0
	global_store_b32 v[25:26], v27, off
	s_cbranch_execz .LBB72_191
; %bb.189:
	v_mov_b32_e32 v24, s0
	s_branch .LBB72_192
.LBB72_190:
	s_mov_b32 s0, -1
.LBB72_191:
	v_add_co_u32 v25, vcc_lo, v34, v70
	v_add_co_ci_u32_e32 v26, vcc_lo, v35, v71, vcc_lo
	flat_load_b32 v25, v[25:26]
	s_waitcnt vmcnt(0) lgkmcnt(0)
	v_mul_f32_e32 v27, s13, v25
	v_add_co_u32 v25, vcc_lo, v32, v70
	v_add_co_ci_u32_e32 v26, vcc_lo, v33, v71, vcc_lo
	s_delay_alu instid0(VALU_DEP_3)
	v_min_f32_e32 v24, v27, v24
	v_add_co_u32 v27, vcc_lo, v34, v68
	v_add_co_ci_u32_e32 v28, vcc_lo, v35, v69, vcc_lo
	global_store_b32 v[25:26], v24, off
	flat_load_b32 v24, v[27:28]
	s_waitcnt vmcnt(0) lgkmcnt(0)
	v_mul_f32_e32 v24, s13, v24
.LBB72_192:
	v_dual_add_f32 v17, v17, v5 :: v_dual_add_f32 v16, v16, v4
	v_dual_add_f32 v21, v21, v5 :: v_dual_add_f32 v20, v20, v4
	v_dual_add_f32 v23, v23, v7 :: v_dual_add_f32 v22, v22, v6
	s_delay_alu instid0(VALU_DEP_3) | instskip(SKIP_1) | instid1(VALU_DEP_4)
	v_min3_f32 v16, v16, v17, v84
	v_dual_add_f32 v17, v19, v7 :: v_dual_add_f32 v18, v18, v6
	v_min3_f32 v20, v20, v21, v83
	s_delay_alu instid0(VALU_DEP_2) | instskip(SKIP_3) | instid1(VALU_DEP_4)
	v_min3_f32 v16, v18, v17, v16
	v_min_f32_e32 v19, v22, v23
	v_add_co_u32 v17, vcc_lo, v32, v68
	v_add_co_ci_u32_e32 v18, vcc_lo, v33, v69, vcc_lo
	v_max_f32_e32 v16, v16, v16
	s_delay_alu instid0(VALU_DEP_4)
	v_min3_f32 v19, v24, v19, v20
	;; [unrolled: 47-line block ×3, first 2 shown]
	s_mov_b32 vcc_lo, s2
	global_store_b32 v[9:10], v11, off
	s_cbranch_vccz .LBB72_200
; %bb.198:
	v_add_co_u32 v9, vcc_lo, v32, v78
	v_min_f32_e32 v11, 0, v8
	v_add_co_ci_u32_e32 v10, vcc_lo, v33, v79, vcc_lo
	s_mov_b32 s0, 0
	global_store_b32 v[9:10], v11, off
	s_cbranch_execz .LBB72_201
; %bb.199:
	v_mov_b32_e32 v8, s0
	s_branch .LBB72_202
.LBB72_200:
	s_mov_b32 s0, -1
.LBB72_201:
	v_add_co_u32 v9, vcc_lo, v34, v78
	v_add_co_ci_u32_e32 v10, vcc_lo, v35, v79, vcc_lo
	flat_load_b32 v9, v[9:10]
	s_waitcnt vmcnt(0) lgkmcnt(0)
	v_mul_f32_e32 v11, s13, v9
	v_add_co_u32 v9, vcc_lo, v32, v78
	v_add_co_ci_u32_e32 v10, vcc_lo, v33, v79, vcc_lo
	s_delay_alu instid0(VALU_DEP_3)
	v_min_f32_e32 v8, v11, v8
	v_add_co_u32 v11, vcc_lo, v34, v76
	v_add_co_ci_u32_e32 v12, vcc_lo, v35, v77, vcc_lo
	global_store_b32 v[9:10], v8, off
	flat_load_b32 v8, v[11:12]
	s_waitcnt vmcnt(0) lgkmcnt(0)
	v_mul_f32_e32 v8, s13, v8
.LBB72_202:
	v_dual_add_f32 v3, v3, v7 :: v_dual_add_f32 v2, v2, v6
	v_dual_add_f32 v1, v1, v5 :: v_dual_add_f32 v0, v0, v4
	s_delay_alu instid0(VALU_DEP_2) | instskip(NEXT) | instid1(VALU_DEP_2)
	v_min_f32_e32 v2, v2, v3
	v_min3_f32 v0, v0, v1, v80
	s_delay_alu instid0(VALU_DEP_1)
	v_min3_f32 v2, v8, v2, v0
	v_add_co_u32 v0, vcc_lo, v32, v76
	v_add_co_ci_u32_e32 v1, vcc_lo, v33, v77, vcc_lo
	global_store_b32 v[0:1], v2, off
	s_nop 0
	s_sendmsg sendmsg(MSG_DEALLOC_VGPRS)
	s_endpgm
	.section	.rodata,"a",@progbits
	.p2align	6, 0x0
	.amdhsa_kernel _ZN12_GLOBAL__N_120geam_min_plus_kernelIf15HIP_vector_typeIfLj2EEfLi8ELi32ELi64ELi256ELi4ELi4ELi64ELi64ELi4ELc84ELc84ELb0ELb0ELb1EPKfS3_fEEviiiT16_PT17_ilS7_ilS5_S7_ilPT18_ili26rocblas_geam_ex_operation_
		.amdhsa_group_segment_fixed_size 10240
		.amdhsa_private_segment_fixed_size 80
		.amdhsa_kernarg_size 136
		.amdhsa_user_sgpr_count 14
		.amdhsa_user_sgpr_dispatch_ptr 0
		.amdhsa_user_sgpr_queue_ptr 0
		.amdhsa_user_sgpr_kernarg_segment_ptr 1
		.amdhsa_user_sgpr_dispatch_id 0
		.amdhsa_user_sgpr_private_segment_size 0
		.amdhsa_wavefront_size32 1
		.amdhsa_uses_dynamic_stack 0
		.amdhsa_enable_private_segment 1
		.amdhsa_system_sgpr_workgroup_id_x 1
		.amdhsa_system_sgpr_workgroup_id_y 0
		.amdhsa_system_sgpr_workgroup_id_z 1
		.amdhsa_system_sgpr_workgroup_info 0
		.amdhsa_system_vgpr_workitem_id 1
		.amdhsa_next_free_vgpr 256
		.amdhsa_next_free_sgpr 23
		.amdhsa_reserve_vcc 1
		.amdhsa_float_round_mode_32 0
		.amdhsa_float_round_mode_16_64 0
		.amdhsa_float_denorm_mode_32 3
		.amdhsa_float_denorm_mode_16_64 3
		.amdhsa_dx10_clamp 1
		.amdhsa_ieee_mode 1
		.amdhsa_fp16_overflow 0
		.amdhsa_workgroup_processor_mode 1
		.amdhsa_memory_ordered 1
		.amdhsa_forward_progress 0
		.amdhsa_shared_vgpr_count 0
		.amdhsa_exception_fp_ieee_invalid_op 0
		.amdhsa_exception_fp_denorm_src 0
		.amdhsa_exception_fp_ieee_div_zero 0
		.amdhsa_exception_fp_ieee_overflow 0
		.amdhsa_exception_fp_ieee_underflow 0
		.amdhsa_exception_fp_ieee_inexact 0
		.amdhsa_exception_int_div_zero 0
	.end_amdhsa_kernel
	.section	.text._ZN12_GLOBAL__N_120geam_min_plus_kernelIf15HIP_vector_typeIfLj2EEfLi8ELi32ELi64ELi256ELi4ELi4ELi64ELi64ELi4ELc84ELc84ELb0ELb0ELb1EPKfS3_fEEviiiT16_PT17_ilS7_ilS5_S7_ilPT18_ili26rocblas_geam_ex_operation_,"axG",@progbits,_ZN12_GLOBAL__N_120geam_min_plus_kernelIf15HIP_vector_typeIfLj2EEfLi8ELi32ELi64ELi256ELi4ELi4ELi64ELi64ELi4ELc84ELc84ELb0ELb0ELb1EPKfS3_fEEviiiT16_PT17_ilS7_ilS5_S7_ilPT18_ili26rocblas_geam_ex_operation_,comdat
.Lfunc_end72:
	.size	_ZN12_GLOBAL__N_120geam_min_plus_kernelIf15HIP_vector_typeIfLj2EEfLi8ELi32ELi64ELi256ELi4ELi4ELi64ELi64ELi4ELc84ELc84ELb0ELb0ELb1EPKfS3_fEEviiiT16_PT17_ilS7_ilS5_S7_ilPT18_ili26rocblas_geam_ex_operation_, .Lfunc_end72-_ZN12_GLOBAL__N_120geam_min_plus_kernelIf15HIP_vector_typeIfLj2EEfLi8ELi32ELi64ELi256ELi4ELi4ELi64ELi64ELi4ELc84ELc84ELb0ELb0ELb1EPKfS3_fEEviiiT16_PT17_ilS7_ilS5_S7_ilPT18_ili26rocblas_geam_ex_operation_
                                        ; -- End function
	.section	.AMDGPU.csdata,"",@progbits
; Kernel info:
; codeLenInByte = 18040
; NumSgprs: 25
; NumVgprs: 256
; ScratchSize: 80
; MemoryBound: 0
; FloatMode: 240
; IeeeMode: 1
; LDSByteSize: 10240 bytes/workgroup (compile time only)
; SGPRBlocks: 3
; VGPRBlocks: 31
; NumSGPRsForWavesPerEU: 25
; NumVGPRsForWavesPerEU: 256
; Occupancy: 5
; WaveLimiterHint : 1
; COMPUTE_PGM_RSRC2:SCRATCH_EN: 1
; COMPUTE_PGM_RSRC2:USER_SGPR: 14
; COMPUTE_PGM_RSRC2:TRAP_HANDLER: 0
; COMPUTE_PGM_RSRC2:TGID_X_EN: 1
; COMPUTE_PGM_RSRC2:TGID_Y_EN: 0
; COMPUTE_PGM_RSRC2:TGID_Z_EN: 1
; COMPUTE_PGM_RSRC2:TIDIG_COMP_CNT: 1
	.section	.text._ZN12_GLOBAL__N_120geam_min_plus_kernelIf15HIP_vector_typeIfLj2EEfLi8ELi32ELi64ELi256ELi4ELi4ELi64ELi64ELi4ELc84ELc84ELb1ELb0ELb1EfKffEEviiiT16_PT17_ilS6_ilS4_S6_ilPT18_ili26rocblas_geam_ex_operation_,"axG",@progbits,_ZN12_GLOBAL__N_120geam_min_plus_kernelIf15HIP_vector_typeIfLj2EEfLi8ELi32ELi64ELi256ELi4ELi4ELi64ELi64ELi4ELc84ELc84ELb1ELb0ELb1EfKffEEviiiT16_PT17_ilS6_ilS4_S6_ilPT18_ili26rocblas_geam_ex_operation_,comdat
	.globl	_ZN12_GLOBAL__N_120geam_min_plus_kernelIf15HIP_vector_typeIfLj2EEfLi8ELi32ELi64ELi256ELi4ELi4ELi64ELi64ELi4ELc84ELc84ELb1ELb0ELb1EfKffEEviiiT16_PT17_ilS6_ilS4_S6_ilPT18_ili26rocblas_geam_ex_operation_ ; -- Begin function _ZN12_GLOBAL__N_120geam_min_plus_kernelIf15HIP_vector_typeIfLj2EEfLi8ELi32ELi64ELi256ELi4ELi4ELi64ELi64ELi4ELc84ELc84ELb1ELb0ELb1EfKffEEviiiT16_PT17_ilS6_ilS4_S6_ilPT18_ili26rocblas_geam_ex_operation_
	.p2align	8
	.type	_ZN12_GLOBAL__N_120geam_min_plus_kernelIf15HIP_vector_typeIfLj2EEfLi8ELi32ELi64ELi256ELi4ELi4ELi64ELi64ELi4ELc84ELc84ELb1ELb0ELb1EfKffEEviiiT16_PT17_ilS6_ilS4_S6_ilPT18_ili26rocblas_geam_ex_operation_,@function
_ZN12_GLOBAL__N_120geam_min_plus_kernelIf15HIP_vector_typeIfLj2EEfLi8ELi32ELi64ELi256ELi4ELi4ELi64ELi64ELi4ELc84ELc84ELb1ELb0ELb1EfKffEEviiiT16_PT17_ilS6_ilS4_S6_ilPT18_ili26rocblas_geam_ex_operation_: ; @_ZN12_GLOBAL__N_120geam_min_plus_kernelIf15HIP_vector_typeIfLj2EEfLi8ELi32ELi64ELi256ELi4ELi4ELi64ELi64ELi4ELc84ELc84ELb1ELb0ELb1EfKffEEviiiT16_PT17_ilS6_ilS4_S6_ilPT18_ili26rocblas_geam_ex_operation_
; %bb.0:
	s_clause 0x1
	s_load_b64 s[8:9], s[0:1], 0x8
	s_load_b128 s[4:7], s[0:1], 0x20
	s_waitcnt lgkmcnt(0)
	v_cmp_eq_f32_e64 s2, s9, 0
	s_delay_alu instid0(VALU_DEP_1)
	s_and_b32 vcc_lo, exec_lo, s2
	s_cbranch_vccnz .LBB73_3
; %bb.1:
	s_load_b64 s[10:11], s[0:1], 0x10
	s_mul_i32 s3, s15, s5
	s_mul_hi_u32 s5, s15, s4
	s_mul_i32 s4, s15, s4
	s_add_i32 s5, s5, s3
	s_delay_alu instid0(SALU_CYCLE_1)
	s_lshl_b64 s[4:5], s[4:5], 2
	s_waitcnt lgkmcnt(0)
	s_add_u32 s10, s10, s4
	s_addc_u32 s11, s11, s5
	s_and_not1_b32 vcc_lo, exec_lo, s2
	s_cbranch_vccnz .LBB73_4
.LBB73_2:
	s_mov_b32 s18, 0
	s_mov_b64 s[12:13], 0
	s_cbranch_execz .LBB73_5
	s_branch .LBB73_6
.LBB73_3:
	s_mov_b64 s[10:11], 0
	s_and_not1_b32 vcc_lo, exec_lo, s2
	s_cbranch_vccz .LBB73_2
.LBB73_4:
	s_mov_b32 s18, -1
                                        ; implicit-def: $sgpr12_sgpr13
.LBB73_5:
	s_load_b64 s[2:3], s[0:1], 0x38
	s_mov_b32 s18, 0
	s_waitcnt lgkmcnt(0)
	s_mul_i32 s3, s15, s3
	s_mul_hi_u32 s4, s15, s2
	s_mul_i32 s2, s15, s2
	s_add_i32 s3, s4, s3
	s_delay_alu instid0(SALU_CYCLE_1) | instskip(NEXT) | instid1(SALU_CYCLE_1)
	s_lshl_b64 s[2:3], s[2:3], 2
	s_add_u32 s12, s6, s2
	s_addc_u32 s13, s7, s3
.LBB73_6:
	s_clause 0x1
	s_load_b32 s3, s[0:1], 0x40
	s_load_b128 s[4:7], s[0:1], 0x58
	s_waitcnt lgkmcnt(0)
	v_cmp_eq_f32_e64 s2, s3, 0
	s_delay_alu instid0(VALU_DEP_1) | instskip(NEXT) | instid1(SALU_CYCLE_1)
	s_and_b32 s2, exec_lo, s2
	s_mov_b32 vcc_lo, s2
	s_cbranch_vccnz .LBB73_8
; %bb.7:
	s_load_b64 s[16:17], s[0:1], 0x48
	s_mul_i32 s5, s15, s5
	s_mul_hi_u32 s9, s15, s4
	s_delay_alu instid0(SALU_CYCLE_1) | instskip(SKIP_3) | instid1(SALU_CYCLE_1)
	s_add_i32 s5, s9, s5
	s_mul_i32 s9, s18, s4
	s_mul_i32 s4, s15, s4
	s_add_i32 s5, s5, s9
	s_lshl_b64 s[4:5], s[4:5], 2
	s_waitcnt lgkmcnt(0)
	s_add_u32 s4, s16, s4
	s_addc_u32 s5, s17, s5
	s_branch .LBB73_9
.LBB73_8:
	s_mov_b64 s[4:5], 0
.LBB73_9:
	s_clause 0x1
	s_load_b32 s9, s[0:1], 0x0
	s_load_b32 s17, s[0:1], 0x18
	v_and_b32_e32 v12, 0x3ff, v0
	v_bfe_u32 v13, v0, 10, 10
	s_delay_alu instid0(VALU_DEP_2) | instskip(NEXT) | instid1(VALU_DEP_2)
	v_and_b32_e32 v5, 3, v12
	v_lshl_add_u32 v2, v13, 3, v12
	v_lshlrev_b32_e32 v70, 4, v13
	v_lshlrev_b32_e32 v171, 4, v12
	s_delay_alu instid0(VALU_DEP_4) | instskip(NEXT) | instid1(VALU_DEP_4)
	v_lshlrev_b32_e32 v15, 2, v5
	v_lshrrev_b32_e32 v6, 2, v2
	v_lshrrev_b32_e32 v14, 6, v2
	v_and_b32_e32 v7, 63, v2
	s_delay_alu instid0(VALU_DEP_2) | instskip(SKIP_2) | instid1(SALU_CYCLE_1)
	v_add_nc_u32_e32 v11, 4, v14
	s_waitcnt lgkmcnt(0)
	s_add_i32 s9, s9, -1
	s_ashr_i32 s16, s9, 31
	s_delay_alu instid0(SALU_CYCLE_1) | instskip(NEXT) | instid1(SALU_CYCLE_1)
	s_lshr_b32 s16, s16, 26
	s_add_i32 s9, s9, s16
	s_delay_alu instid0(SALU_CYCLE_1) | instskip(NEXT) | instid1(SALU_CYCLE_1)
	s_ashr_i32 s9, s9, 6
	s_add_i32 s19, s9, 1
	s_not_b32 s9, s9
	v_cvt_f32_u32_e32 v1, s19
	s_delay_alu instid0(VALU_DEP_1) | instskip(SKIP_2) | instid1(VALU_DEP_1)
	v_rcp_iflag_f32_e32 v1, v1
	s_waitcnt_depctr 0xfff
	v_mul_f32_e32 v1, 0x4f7ffffe, v1
	v_cvt_u32_f32_e32 v1, v1
	s_delay_alu instid0(VALU_DEP_1) | instskip(NEXT) | instid1(VALU_DEP_1)
	v_readfirstlane_b32 s16, v1
	s_mul_i32 s9, s9, s16
	s_delay_alu instid0(SALU_CYCLE_1) | instskip(NEXT) | instid1(SALU_CYCLE_1)
	s_mul_hi_u32 s9, s16, s9
	s_add_i32 s9, s16, s9
	s_load_b32 s16, s[0:1], 0x30
	s_mul_hi_u32 s9, s14, s9
	s_delay_alu instid0(SALU_CYCLE_1) | instskip(SKIP_2) | instid1(SALU_CYCLE_1)
	s_mul_i32 s20, s9, s19
	s_add_i32 s21, s9, 1
	s_sub_i32 s20, s14, s20
	s_sub_i32 s22, s20, s19
	s_cmp_ge_u32 s20, s19
	s_cselect_b32 s9, s21, s9
	s_cselect_b32 s20, s22, s20
	s_add_i32 s21, s9, 1
	s_cmp_ge_u32 s20, s19
	s_cselect_b32 s9, s21, s9
	s_delay_alu instid0(SALU_CYCLE_1) | instskip(NEXT) | instid1(SALU_CYCLE_1)
	s_mul_i32 s19, s9, s19
	s_sub_i32 s14, s14, s19
	s_waitcnt lgkmcnt(0)
	v_mad_i64_i32 v[0:1], null, s16, v14, 0
	s_lshl_b32 s19, s14, 6
	s_lshl_b32 s14, s9, 8
	v_add_nc_u32_e32 v4, s19, v6
	v_lshl_or_b32 v6, v6, 4, v15
	s_cmp_lt_i32 s8, 9
	s_delay_alu instid0(VALU_DEP_3) | instskip(NEXT) | instid1(VALU_DEP_3)
	v_lshlrev_b64 v[0:1], 2, v[0:1]
	v_mad_i64_i32 v[2:3], null, v4, s17, 0
	v_or_b32_e32 v4, s14, v7
	s_delay_alu instid0(VALU_DEP_3) | instskip(NEXT) | instid1(VALU_DEP_2)
	v_add_co_u32 v0, vcc_lo, s12, v0
	v_ashrrev_i32_e32 v5, 31, v4
	s_delay_alu instid0(VALU_DEP_4) | instskip(SKIP_1) | instid1(VALU_DEP_3)
	v_lshlrev_b64 v[8:9], 2, v[2:3]
	v_add_co_ci_u32_e32 v1, vcc_lo, s13, v1, vcc_lo
	v_lshlrev_b64 v[18:19], 2, v[4:5]
	s_delay_alu instid0(VALU_DEP_3) | instskip(NEXT) | instid1(VALU_DEP_4)
	v_add_co_u32 v2, vcc_lo, s10, v8
	v_add_co_ci_u32_e32 v3, vcc_lo, s11, v9, vcc_lo
	s_delay_alu instid0(VALU_DEP_3) | instskip(NEXT) | instid1(VALU_DEP_4)
	v_add_co_u32 v0, vcc_lo, v0, v18
	v_add_co_ci_u32_e32 v1, vcc_lo, v1, v19, vcc_lo
	s_delay_alu instid0(VALU_DEP_4)
	v_add_co_u32 v2, vcc_lo, v2, v15
	scratch_store_b64 off, v[8:9], off offset:76 ; 8-byte Folded Spill
	v_add_co_ci_u32_e32 v3, vcc_lo, 0, v3, vcc_lo
	s_clause 0x3
	flat_load_b32 v4, v[0:1]
	flat_load_b32 v5, v[0:1] offset:256
	flat_load_b32 v8, v[0:1] offset:512
	;; [unrolled: 1-line block ×3, first 2 shown]
	flat_load_b32 v10, v[2:3]
	v_mad_i64_i32 v[0:1], null, s16, v11, 0
	v_lshlrev_b32_e32 v11, 2, v14
	scratch_store_b32 off, v12, off         ; 4-byte Folded Spill
	v_lshl_add_u32 v74, v7, 4, v11
	v_lshlrev_b64 v[0:1], 2, v[0:1]
	s_delay_alu instid0(VALU_DEP_1) | instskip(NEXT) | instid1(VALU_DEP_2)
	v_add_co_u32 v0, vcc_lo, s12, v0
	v_add_co_ci_u32_e32 v1, vcc_lo, s13, v1, vcc_lo
	s_delay_alu instid0(VALU_DEP_2) | instskip(NEXT) | instid1(VALU_DEP_2)
	v_add_co_u32 v0, vcc_lo, v0, v18
	v_add_co_ci_u32_e32 v1, vcc_lo, v1, v19, vcc_lo
	flat_load_b32 v7, v[0:1]
	s_clause 0x1
	scratch_store_b32 off, v13, off offset:4
	scratch_store_b32 off, v6, off offset:28
	s_waitcnt vmcnt(0) lgkmcnt(0)
	scratch_store_b32 off, v7, off offset:8 ; 4-byte Folded Spill
	flat_load_b32 v7, v[0:1] offset:256
	scratch_store_b32 off, v14, off offset:68 ; 4-byte Folded Spill
	s_waitcnt vmcnt(0) lgkmcnt(0)
	scratch_store_b32 off, v7, off offset:12 ; 4-byte Folded Spill
	s_clause 0x1
	flat_load_b32 v7, v[0:1] offset:512
	flat_load_b32 v0, v[0:1] offset:768
	s_waitcnt vmcnt(0) lgkmcnt(0)
	scratch_store_b32 off, v0, off offset:24 ; 4-byte Folded Spill
	flat_load_b32 v0, v[2:3] offset:16
	s_clause 0x1
	scratch_store_b32 off, v7, off offset:16
	scratch_store_b32 off, v15, off offset:72
	s_waitcnt vmcnt(0) lgkmcnt(0)
	scratch_store_b32 off, v0, off offset:20 ; 4-byte Folded Spill
	ds_store_2addr_stride64_b32 v74, v4, v5 offset1:4
	ds_store_2addr_stride64_b32 v74, v8, v9 offset0:8 offset1:12
	ds_store_b32 v6, v10 offset:8192
	s_waitcnt lgkmcnt(0)
	s_waitcnt_vscnt null, 0x0
	s_barrier
	buffer_gl0_inv
	ds_load_b128 v[28:31], v70
	ds_load_b128 v[0:3], v171 offset:8192
	ds_load_b128 v[12:15], v171 offset:8320
	;; [unrolled: 1-line block ×5, first 2 shown]
	s_waitcnt lgkmcnt(4)
	v_add_f32_e32 v16, v1, v29
	v_dual_add_f32 v146, v0, v28 :: v_dual_add_f32 v141, v3, v31
	s_waitcnt lgkmcnt(0)
	v_dual_add_f32 v142, v15, v31 :: v_dual_add_f32 v89, v1, v33
	scratch_store_b32 off, v16, off offset:32 ; 4-byte Folded Spill
	v_dual_add_f32 v16, v13, v29 :: v_dual_add_f32 v145, v11, v31
	v_dual_add_f32 v130, v14, v30 :: v_dual_add_f32 v91, v13, v33
	;; [unrolled: 1-line block ×3, first 2 shown]
	scratch_store_b32 off, v16, off offset:36 ; 4-byte Folded Spill
	v_add_f32_e32 v16, v12, v28
	v_dual_add_f32 v90, v0, v32 :: v_dual_add_f32 v105, v3, v35
	v_dual_add_f32 v85, v10, v30 :: v_dual_add_f32 v92, v12, v32
	v_add_f32_e32 v107, v15, v35
	scratch_store_b32 off, v16, off offset:48 ; 4-byte Folded Spill
	v_add_f32_e32 v16, v9, v29
	v_dual_add_f32 v94, v8, v32 :: v_dual_add_f32 v109, v11, v35
	v_dual_add_f32 v96, v4, v32 :: v_dual_add_f32 v111, v7, v35
	scratch_store_b32 off, v16, off offset:40 ; 4-byte Folded Spill
	v_add_f32_e32 v16, v8, v28
	v_add_f32_e32 v106, v2, v34
	;; [unrolled: 1-line block ×5, first 2 shown]
	scratch_store_b32 off, v16, off offset:52 ; 4-byte Folded Spill
	v_add_f32_e32 v16, v5, v29
	v_add_f32_e32 v95, v5, v33
	;; [unrolled: 1-line block ×3, first 2 shown]
	scratch_store_b32 off, v16, off offset:44 ; 4-byte Folded Spill
	v_add_f32_e32 v16, v4, v28
	scratch_store_b32 off, v16, off offset:56 ; 4-byte Folded Spill
	ds_load_b128 v[36:39], v171 offset:8704
	ds_load_b128 v[40:43], v171 offset:8832
	s_waitcnt lgkmcnt(0)
	v_dual_add_f32 v16, v37, v29 :: v_dual_add_f32 v143, v40, v28
	v_add_f32_e32 v137, v36, v28
	v_dual_add_f32 v131, v39, v31 :: v_dual_add_f32 v82, v38, v30
	scratch_store_b32 off, v16, off offset:60 ; 4-byte Folded Spill
	v_add_f32_e32 v16, v41, v29
	v_dual_add_f32 v132, v43, v31 :: v_dual_add_f32 v97, v37, v33
	v_dual_add_f32 v87, v42, v30 :: v_dual_add_f32 v98, v36, v32
	v_add_f32_e32 v113, v39, v35
	scratch_store_b32 off, v16, off offset:64 ; 4-byte Folded Spill
	ds_load_b128 v[44:47], v171 offset:8960
	ds_load_b128 v[48:51], v171 offset:9088
	v_dual_add_f32 v144, v2, v30 :: v_dual_add_f32 v99, v41, v33
	v_dual_add_f32 v100, v40, v32 :: v_dual_add_f32 v115, v43, v35
	v_add_f32_e32 v114, v38, v34
	v_add_f32_e32 v116, v42, v34
	s_waitcnt lgkmcnt(1)
	v_add_f32_e32 v138, v45, v29
	v_add_f32_e32 v136, v44, v28
	s_waitcnt lgkmcnt(0)
	v_dual_add_f32 v140, v49, v29 :: v_dual_add_f32 v139, v48, v28
	v_dual_add_f32 v133, v47, v31 :: v_dual_add_f32 v86, v46, v30
	v_dual_add_f32 v134, v51, v31 :: v_dual_add_f32 v101, v45, v33
	v_dual_add_f32 v88, v50, v30 :: v_dual_add_f32 v103, v49, v33
	v_dual_add_f32 v102, v44, v32 :: v_dual_add_f32 v117, v47, v35
	v_dual_add_f32 v104, v48, v32 :: v_dual_add_f32 v119, v51, v35
	v_add_f32_e32 v118, v46, v34
	v_add_f32_e32 v120, v50, v34
	ds_load_b128 v[28:31], v70 offset:1024
	ds_load_b128 v[32:35], v70 offset:1536
	s_waitcnt lgkmcnt(1)
	v_add_f32_e32 v153, v44, v28
	v_dual_add_f32 v121, v1, v29 :: v_dual_add_f32 v122, v0, v28
	v_add_f32_e32 v129, v2, v30
	v_dual_add_f32 v123, v13, v29 :: v_dual_add_f32 v124, v12, v28
	;; [unrolled: 2-line block ×3, first 2 shown]
	v_add_f32_e32 v159, v10, v30
	v_add_f32_e32 v127, v5, v29
	v_dual_add_f32 v147, v4, v28 :: v_dual_add_f32 v148, v37, v29
	v_add_f32_e32 v155, v48, v28
	v_dual_add_f32 v149, v36, v28 :: v_dual_add_f32 v150, v41, v29
	;; [unrolled: 2-line block ×3, first 2 shown]
	v_dual_add_f32 v163, v38, v30 :: v_dual_add_f32 v154, v49, v29
	v_dual_add_f32 v165, v42, v30 :: v_dual_add_f32 v128, v3, v31
	v_dual_add_f32 v167, v46, v30 :: v_dual_add_f32 v156, v15, v31
	v_dual_add_f32 v169, v50, v30 :: v_dual_add_f32 v158, v11, v31
	s_waitcnt lgkmcnt(0)
	v_dual_add_f32 v173, v12, v32 :: v_dual_add_f32 v160, v7, v31
	v_dual_add_f32 v175, v8, v32 :: v_dual_add_f32 v162, v39, v31
	;; [unrolled: 1-line block ×6, first 2 shown]
	v_add_f32_e32 v185, v48, v32
	v_dual_add_f32 v76, v0, v32 :: v_dual_add_f32 v187, v2, v34
	v_dual_add_f32 v172, v13, v33 :: v_dual_add_f32 v189, v14, v34
	;; [unrolled: 1-line block ×8, first 2 shown]
	v_add_f32_e32 v186, v3, v35
	v_add_f32_e32 v188, v15, v35
	;; [unrolled: 1-line block ×8, first 2 shown]
	ds_load_b128 v[28:31], v70 offset:2048
	ds_load_b128 v[32:35], v70 offset:2560
	s_waitcnt lgkmcnt(1)
	v_dual_add_f32 v217, v48, v28 :: v_dual_add_f32 v202, v1, v29
	v_add_f32_e32 v219, v2, v30
	v_dual_add_f32 v203, v0, v28 :: v_dual_add_f32 v204, v13, v29
	v_add_f32_e32 v221, v14, v30
	;; [unrolled: 2-line block ×7, first 2 shown]
	v_dual_add_f32 v215, v44, v28 :: v_dual_add_f32 v216, v49, v29
	v_dual_add_f32 v233, v50, v30 :: v_dual_add_f32 v218, v3, v31
	s_waitcnt lgkmcnt(0)
	v_dual_add_f32 v235, v0, v32 :: v_dual_add_f32 v220, v15, v31
	v_dual_add_f32 v237, v12, v32 :: v_dual_add_f32 v222, v11, v31
	;; [unrolled: 1-line block ×15, first 2 shown]
	v_add_f32_e32 v250, v3, v35
	v_add_f32_e32 v252, v15, v35
	;; [unrolled: 1-line block ×9, first 2 shown]
	ds_load_b128 v[28:31], v70 offset:3072
	ds_load_b128 v[32:35], v70 offset:3584
	s_waitcnt lgkmcnt(1)
	v_add_f32_e32 v55, v0, v28
	v_add_f32_e32 v59, v12, v28
	v_dual_add_f32 v62, v8, v28 :: v_dual_add_f32 v67, v15, v31
	v_add_f32_e32 v63, v4, v28
	v_add_f32_e32 v75, v36, v28
	;; [unrolled: 1-line block ×3, first 2 shown]
	v_dual_add_f32 v64, v44, v28 :: v_dual_add_f32 v83, v10, v30
	v_dual_add_f32 v28, v48, v28 :: v_dual_add_f32 v23, v38, v30
	s_waitcnt lgkmcnt(0)
	v_dual_add_f32 v0, v0, v32 :: v_dual_add_f32 v15, v15, v35
	v_add_f32_e32 v12, v12, v32
	v_add_f32_e32 v8, v8, v32
	;; [unrolled: 1-line block ×7, first 2 shown]
	scratch_load_b32 v48, off, off offset:32 ; 4-byte Folded Reload
	v_add_f32_e32 v53, v1, v29
	v_add_f32_e32 v57, v13, v29
	v_dual_add_f32 v60, v9, v29 :: v_dual_add_f32 v65, v2, v30
	v_add_f32_e32 v61, v5, v29
	v_dual_add_f32 v68, v37, v29 :: v_dual_add_f32 v79, v14, v30
	;; [unrolled: 2-line block ×3, first 2 shown]
	v_dual_add_f32 v29, v49, v29 :: v_dual_add_f32 v20, v39, v31
	v_dual_add_f32 v1, v1, v33 :: v_dual_add_f32 v24, v43, v31
	;; [unrolled: 1-line block ×3, first 2 shown]
	v_add_f32_e32 v9, v9, v33
	v_add_f32_e32 v5, v5, v33
	;; [unrolled: 1-line block ×5, first 2 shown]
	v_dual_add_f32 v33, v49, v33 :: v_dual_add_f32 v66, v3, v31
	v_dual_add_f32 v25, v42, v30 :: v_dual_add_f32 v78, v7, v31
	v_add_f32_e32 v27, v46, v30
	v_dual_add_f32 v84, v6, v30 :: v_dual_add_f32 v31, v51, v31
	v_dual_add_f32 v30, v50, v30 :: v_dual_add_f32 v3, v3, v35
	;; [unrolled: 1-line block ×3, first 2 shown]
	v_min3_f32 v0, v0, v1, 0x7f7fffff
	v_dual_add_f32 v14, v14, v34 :: v_dual_add_f32 v7, v7, v35
	v_dual_add_f32 v10, v10, v34 :: v_dual_add_f32 v39, v39, v35
	v_dual_add_f32 v6, v6, v34 :: v_dual_add_f32 v43, v43, v35
	v_dual_add_f32 v38, v38, v34 :: v_dual_add_f32 v47, v47, v35
	v_dual_add_f32 v42, v42, v34 :: v_dual_add_f32 v35, v51, v35
	v_add_f32_e32 v46, v46, v34
	v_add_f32_e32 v34, v50, v34
	s_waitcnt vmcnt(0)
	v_min3_f32 v48, v146, v48, 0x7f7fffff
	s_delay_alu instid0(VALU_DEP_1)
	v_min3_f32 v146, v144, v141, v48
	s_clause 0x1
	scratch_load_b32 v48, off, off offset:36
	scratch_load_b32 v49, off, off offset:48
	s_waitcnt vmcnt(0)
	v_min3_f32 v48, v49, v48, 0x7f7fffff
	s_delay_alu instid0(VALU_DEP_1)
	v_min3_f32 v144, v130, v142, v48
	s_clause 0x1
	scratch_load_b32 v48, off, off offset:40
	scratch_load_b32 v49, off, off offset:52
	;; [unrolled: 7-line block ×3, first 2 shown]
	s_waitcnt vmcnt(0)
	v_min3_f32 v48, v49, v48, 0x7f7fffff
	s_delay_alu instid0(VALU_DEP_1) | instskip(SKIP_3) | instid1(VALU_DEP_1)
	v_min3_f32 v141, v80, v135, v48
	scratch_load_b32 v48, off, off offset:60 ; 4-byte Folded Reload
	s_waitcnt vmcnt(0)
	v_min3_f32 v48, v137, v48, 0x7f7fffff
	v_min3_f32 v142, v82, v131, v48
	scratch_load_b32 v48, off, off offset:64 ; 4-byte Folded Reload
	s_waitcnt vmcnt(0)
	v_min3_f32 v48, v143, v48, 0x7f7fffff
	s_delay_alu instid0(VALU_DEP_1) | instskip(SKIP_1) | instid1(VALU_DEP_1)
	v_min3_f32 v137, v87, v132, v48
	v_min3_f32 v48, v136, v138, 0x7f7fffff
	;; [unrolled: 1-line block ×4, first 2 shown]
	s_delay_alu instid0(VALU_DEP_1) | instskip(SKIP_3) | instid1(VALU_DEP_3)
	v_min3_f32 v134, v88, v134, v48
	v_min3_f32 v48, v90, v89, 0x7f7fffff
	v_min3_f32 v90, v2, v3, v0
	v_min3_f32 v0, v12, v13, 0x7f7fffff
	v_min3_f32 v143, v106, v105, v48
	v_min3_f32 v48, v92, v91, 0x7f7fffff
	s_delay_alu instid0(VALU_DEP_3) | instskip(SKIP_1) | instid1(VALU_DEP_3)
	v_min3_f32 v87, v14, v15, v0
	v_min3_f32 v0, v8, v9, 0x7f7fffff
	v_min3_f32 v139, v108, v107, v48
	v_min3_f32 v48, v94, v93, 0x7f7fffff
	s_delay_alu instid0(VALU_DEP_3) | instskip(SKIP_1) | instid1(VALU_DEP_3)
	v_min3_f32 v88, v10, v11, v0
	v_min3_f32 v0, v4, v5, 0x7f7fffff
	v_min3_f32 v140, v110, v109, v48
	v_min3_f32 v48, v96, v95, 0x7f7fffff
	;; [unrolled: 5-line block ×6, first 2 shown]
	s_delay_alu instid0(VALU_DEP_3)
	v_min3_f32 v95, v34, v35, v0
	s_clause 0x2
	scratch_load_b32 v0, off, off offset:28
	scratch_load_b32 v1, off, off offset:8
	;; [unrolled: 1-line block ×3, first 2 shown]
	v_min3_f32 v130, v120, v119, v48
	v_min3_f32 v48, v122, v121, 0x7f7fffff
	s_delay_alu instid0(VALU_DEP_1) | instskip(SKIP_1) | instid1(VALU_DEP_1)
	v_min3_f32 v131, v129, v128, v48
	v_min3_f32 v48, v124, v123, 0x7f7fffff
	v_min3_f32 v128, v157, v156, v48
	v_min3_f32 v48, v126, v125, 0x7f7fffff
	s_delay_alu instid0(VALU_DEP_1) | instskip(SKIP_1) | instid1(VALU_DEP_1)
	v_min3_f32 v129, v159, v158, v48
	v_min3_f32 v48, v147, v127, 0x7f7fffff
	;; [unrolled: 5-line block ×20, first 2 shown]
	v_min3_f32 v89, v30, v31, v16
	s_waitcnt vmcnt(0)
	ds_store_2addr_stride64_b32 v74, v1, v2 offset0:16 offset1:20
	s_clause 0x1
	scratch_load_b32 v1, off, off offset:16
	scratch_load_b32 v2, off, off offset:24
	s_waitcnt vmcnt(0)
	ds_store_2addr_stride64_b32 v74, v1, v2 offset0:24 offset1:28
	scratch_load_b32 v1, off, off offset:20 ; 4-byte Folded Reload
	s_waitcnt vmcnt(0)
	ds_store_b32 v0, v1 offset:9216
	s_waitcnt lgkmcnt(0)
	s_waitcnt_vscnt null, 0x0
	s_barrier
	buffer_gl0_inv
	s_cbranch_scc1 .LBB73_12
; %bb.10:
	s_clause 0x2
	scratch_load_b32 v3, off, off offset:68
	scratch_load_b32 v172, off, off offset:4
	scratch_load_b32 v173, off, off
	v_add_nc_u32_e32 v75, 0x2000, v0
	v_add_nc_u32_e32 v77, 0x2400, v0
	v_add_co_u32 v83, vcc_lo, s12, v18
	v_add_co_ci_u32_e32 v84, vcc_lo, s13, v19, vcc_lo
	v_add_nc_u32_e32 v76, 0x2000, v171
	v_or_b32_e32 v78, 0x1000, v74
	s_ashr_i32 s17, s16, 31
	s_waitcnt vmcnt(2)
	v_add_nc_u32_e32 v2, 12, v3
	v_add_nc_u32_e32 v4, 8, v3
	s_waitcnt vmcnt(0)
	v_lshl_add_u32 v79, v173, 4, 0x2400
	v_lshl_add_u32 v81, v172, 4, 0x1000
	v_mad_i64_i32 v[0:1], null, v2, s16, 0
	v_mad_i64_i32 v[2:3], null, v4, s16, 0
	s_clause 0x1
	scratch_load_b32 v4, off, off offset:72
	scratch_load_b64 v[5:6], off, off offset:76
	v_lshlrev_b64 v[64:65], 2, v[0:1]
	v_lshlrev_b64 v[66:67], 2, v[2:3]
	s_waitcnt vmcnt(0)
	v_add_co_u32 v4, vcc_lo, v5, v4
	v_add_co_ci_u32_e32 v5, vcc_lo, 0, v6, vcc_lo
	s_delay_alu instid0(VALU_DEP_2) | instskip(NEXT) | instid1(VALU_DEP_2)
	v_add_co_u32 v0, vcc_lo, v4, s10
	v_add_co_ci_u32_e32 v1, vcc_lo, s11, v5, vcc_lo
	s_add_i32 s10, s8, -8
	s_delay_alu instid0(VALU_DEP_2) | instskip(NEXT) | instid1(VALU_DEP_2)
	v_add_co_u32 v68, vcc_lo, v0, 32
	v_add_co_ci_u32_e32 v69, vcc_lo, 0, v1, vcc_lo
	s_lshl_b64 s[8:9], s[16:17], 5
	s_mov_b32 s11, 0
.LBB73_11:                              ; =>This Inner Loop Header: Depth=1
	v_add_co_u32 v0, vcc_lo, v83, v66
	v_add_co_ci_u32_e32 v1, vcc_lo, v84, v67, vcc_lo
	flat_load_b32 v151, v[68:69]
	s_add_i32 s11, s11, 8
	s_clause 0x3
	flat_load_b32 v147, v[0:1]
	flat_load_b32 v148, v[0:1] offset:256
	flat_load_b32 v149, v[0:1] offset:512
	;; [unrolled: 1-line block ×3, first 2 shown]
	ds_load_b128 v[28:31], v79
	ds_load_b128 v[24:27], v79 offset:128
	ds_load_b128 v[20:23], v79 offset:256
	;; [unrolled: 1-line block ×7, first 2 shown]
	ds_load_b128 v[60:63], v81
	ds_load_b128 v[56:59], v81 offset:512
	ds_load_b128 v[52:55], v81 offset:1024
	;; [unrolled: 1-line block ×7, first 2 shown]
	s_cmp_ge_i32 s11, s10
	s_waitcnt vmcnt(4) lgkmcnt(20)
	ds_store_b32 v75, v151
	s_waitcnt vmcnt(2) lgkmcnt(19)
	ds_store_2addr_stride64_b32 v74, v147, v148 offset1:4
	s_waitcnt vmcnt(0) lgkmcnt(18)
	ds_store_2addr_stride64_b32 v74, v149, v150 offset0:8 offset1:12
	s_waitcnt lgkmcnt(10)
	v_dual_add_f32 v71, v29, v61 :: v_dual_add_f32 v72, v28, v60
	s_waitcnt lgkmcnt(0)
	s_barrier
	buffer_gl0_inv
	flat_load_b32 v151, v[68:69] offset:16
	v_min3_f32 v146, v72, v71, v146
	v_dual_add_f32 v71, v25, v61 :: v_dual_add_f32 v72, v24, v60
	s_delay_alu instid0(VALU_DEP_1) | instskip(SKIP_1) | instid1(VALU_DEP_1)
	v_min3_f32 v144, v72, v71, v144
	v_dual_add_f32 v71, v21, v61 :: v_dual_add_f32 v72, v20, v60
	v_min3_f32 v145, v72, v71, v145
	v_dual_add_f32 v71, v17, v61 :: v_dual_add_f32 v72, v16, v60
	s_delay_alu instid0(VALU_DEP_1) | instskip(SKIP_1) | instid1(VALU_DEP_1)
	v_min3_f32 v152, v72, v71, v141
	v_dual_add_f32 v71, v13, v61 :: v_dual_add_f32 v72, v12, v60
	v_min3_f32 v153, v72, v71, v142
	v_dual_add_f32 v71, v9, v61 :: v_dual_add_f32 v72, v8, v60
	s_delay_alu instid0(VALU_DEP_1) | instskip(SKIP_2) | instid1(VALU_DEP_2)
	v_min3_f32 v154, v72, v71, v137
	v_dual_add_f32 v71, v5, v61 :: v_dual_add_f32 v72, v4, v60
	v_dual_add_f32 v61, v1, v61 :: v_dual_add_f32 v60, v0, v60
	v_min3_f32 v155, v72, v71, v138
	v_add_f32_e32 v71, v4, v36
	s_delay_alu instid0(VALU_DEP_3) | instskip(SKIP_1) | instid1(VALU_DEP_1)
	v_min3_f32 v156, v60, v61, v134
	v_dual_add_f32 v60, v29, v57 :: v_dual_add_f32 v61, v28, v56
	v_min3_f32 v142, v61, v60, v143
	v_dual_add_f32 v60, v25, v57 :: v_dual_add_f32 v61, v24, v56
	s_delay_alu instid0(VALU_DEP_1) | instskip(SKIP_1) | instid1(VALU_DEP_1)
	v_min3_f32 v141, v61, v60, v139
	v_dual_add_f32 v60, v21, v57 :: v_dual_add_f32 v61, v20, v56
	v_min3_f32 v139, v61, v60, v140
	v_dual_add_f32 v60, v17, v57 :: v_dual_add_f32 v61, v16, v56
	s_delay_alu instid0(VALU_DEP_1) | instskip(SKIP_1) | instid1(VALU_DEP_1)
	v_min3_f32 v138, v61, v60, v135
	v_dual_add_f32 v60, v13, v57 :: v_dual_add_f32 v61, v12, v56
	v_min3_f32 v137, v61, v60, v136
	v_dual_add_f32 v60, v9, v57 :: v_dual_add_f32 v61, v8, v56
	s_delay_alu instid0(VALU_DEP_1) | instskip(SKIP_2) | instid1(VALU_DEP_2)
	v_min3_f32 v136, v61, v60, v132
	v_dual_add_f32 v60, v5, v57 :: v_dual_add_f32 v61, v4, v56
	v_dual_add_f32 v57, v1, v57 :: v_dual_add_f32 v56, v0, v56
	v_min3_f32 v135, v61, v60, v133
	s_delay_alu instid0(VALU_DEP_2) | instskip(SKIP_1) | instid1(VALU_DEP_1)
	v_min3_f32 v134, v56, v57, v130
	v_dual_add_f32 v56, v29, v53 :: v_dual_add_f32 v57, v28, v52
	v_min3_f32 v133, v57, v56, v131
	v_dual_add_f32 v56, v25, v53 :: v_dual_add_f32 v57, v24, v52
	s_delay_alu instid0(VALU_DEP_1) | instskip(SKIP_1) | instid1(VALU_DEP_1)
	v_min3_f32 v132, v57, v56, v128
	v_dual_add_f32 v56, v21, v53 :: v_dual_add_f32 v57, v20, v52
	v_min3_f32 v131, v57, v56, v129
	v_dual_add_f32 v56, v17, v53 :: v_dual_add_f32 v57, v16, v52
	s_delay_alu instid0(VALU_DEP_1) | instskip(SKIP_1) | instid1(VALU_DEP_1)
	v_min3_f32 v130, v57, v56, v126
	v_dual_add_f32 v56, v13, v53 :: v_dual_add_f32 v57, v12, v52
	v_min3_f32 v129, v57, v56, v127
	v_dual_add_f32 v56, v9, v53 :: v_dual_add_f32 v57, v8, v52
	s_delay_alu instid0(VALU_DEP_1) | instskip(SKIP_2) | instid1(VALU_DEP_2)
	v_min3_f32 v128, v57, v56, v124
	v_dual_add_f32 v56, v5, v53 :: v_dual_add_f32 v57, v4, v52
	v_dual_add_f32 v53, v1, v53 :: v_dual_add_f32 v52, v0, v52
	v_min3_f32 v127, v57, v56, v125
	s_delay_alu instid0(VALU_DEP_2) | instskip(SKIP_1) | instid1(VALU_DEP_1)
	;; [unrolled: 20-line block ×4, first 2 shown]
	v_min3_f32 v108, v44, v45, v106
	v_dual_add_f32 v44, v29, v41 :: v_dual_add_f32 v45, v28, v40
	v_min3_f32 v107, v45, v44, v107
	v_dual_add_f32 v44, v25, v41 :: v_dual_add_f32 v45, v24, v40
	s_delay_alu instid0(VALU_DEP_1) | instskip(SKIP_1) | instid1(VALU_DEP_1)
	v_min3_f32 v106, v45, v44, v104
	v_dual_add_f32 v44, v21, v41 :: v_dual_add_f32 v45, v20, v40
	v_min3_f32 v104, v45, v44, v105
	v_dual_add_f32 v44, v17, v41 :: v_dual_add_f32 v45, v16, v40
	s_delay_alu instid0(VALU_DEP_1) | instskip(SKIP_1) | instid1(VALU_DEP_1)
	v_min3_f32 v61, v45, v44, v102
	v_dual_add_f32 v44, v13, v41 :: v_dual_add_f32 v45, v12, v40
	v_min3_f32 v60, v45, v44, v103
	v_dual_add_f32 v44, v9, v41 :: v_dual_add_f32 v45, v8, v40
	s_delay_alu instid0(VALU_DEP_1) | instskip(SKIP_3) | instid1(VALU_DEP_3)
	v_min3_f32 v57, v45, v44, v100
	v_dual_add_f32 v44, v5, v41 :: v_dual_add_f32 v45, v4, v40
	v_dual_add_f32 v41, v1, v41 :: v_dual_add_f32 v40, v0, v40
	v_add_f32_e32 v4, v4, v32
	v_min3_f32 v56, v45, v44, v101
	s_delay_alu instid0(VALU_DEP_3) | instskip(SKIP_2) | instid1(VALU_DEP_2)
	v_min3_f32 v53, v40, v41, v98
	v_dual_add_f32 v40, v29, v37 :: v_dual_add_f32 v41, v28, v36
	v_dual_add_f32 v29, v29, v33 :: v_dual_add_f32 v28, v28, v32
	v_min3_f32 v52, v41, v40, v99
	v_dual_add_f32 v40, v25, v37 :: v_dual_add_f32 v41, v24, v36
	s_delay_alu instid0(VALU_DEP_3) | instskip(SKIP_1) | instid1(VALU_DEP_3)
	v_min3_f32 v28, v28, v29, v90
	v_dual_add_f32 v25, v25, v33 :: v_dual_add_f32 v24, v24, v32
	v_min3_f32 v49, v41, v40, v96
	v_dual_add_f32 v40, v21, v37 :: v_dual_add_f32 v41, v20, v36
	v_dual_add_f32 v21, v21, v33 :: v_dual_add_f32 v20, v20, v32
	s_delay_alu instid0(VALU_DEP_4) | instskip(NEXT) | instid1(VALU_DEP_3)
	v_min3_f32 v24, v24, v25, v87
	v_min3_f32 v48, v41, v40, v97
	v_dual_add_f32 v40, v17, v37 :: v_dual_add_f32 v41, v16, v36
	s_delay_alu instid0(VALU_DEP_4) | instskip(SKIP_1) | instid1(VALU_DEP_3)
	v_min3_f32 v20, v20, v21, v88
	v_dual_add_f32 v17, v17, v33 :: v_dual_add_f32 v16, v16, v32
	v_min3_f32 v45, v41, v40, v93
	v_dual_add_f32 v40, v13, v37 :: v_dual_add_f32 v41, v12, v36
	v_dual_add_f32 v13, v13, v33 :: v_dual_add_f32 v12, v12, v32
	s_delay_alu instid0(VALU_DEP_4) | instskip(NEXT) | instid1(VALU_DEP_3)
	v_min3_f32 v16, v16, v17, v85
	v_min3_f32 v44, v41, v40, v94
	v_dual_add_f32 v40, v9, v37 :: v_dual_add_f32 v41, v8, v36
	v_add_f32_e32 v36, v0, v36
	v_add_f32_e32 v0, v0, v32
	v_min3_f32 v12, v12, v13, v86
	v_dual_add_f32 v9, v9, v33 :: v_dual_add_f32 v8, v8, v32
	v_min3_f32 v41, v41, v40, v91
	v_add_f32_e32 v40, v5, v37
	v_add_f32_e32 v37, v1, v37
	;; [unrolled: 1-line block ×4, first 2 shown]
	v_min3_f32 v8, v8, v9, v80
	v_min3_f32 v40, v71, v40, v92
	;; [unrolled: 1-line block ×5, first 2 shown]
	v_add_f32_e32 v1, v31, v63
	v_add_f32_e32 v5, v30, v62
	s_delay_alu instid0(VALU_DEP_1) | instskip(SKIP_2) | instid1(VALU_DEP_1)
	v_min3_f32 v90, v5, v1, v146
	v_add_f32_e32 v1, v27, v63
	v_add_f32_e32 v5, v26, v62
	v_min3_f32 v89, v5, v1, v144
	v_add_f32_e32 v1, v23, v63
	v_add_f32_e32 v5, v22, v62
	s_delay_alu instid0(VALU_DEP_1) | instskip(SKIP_2) | instid1(VALU_DEP_1)
	v_min3_f32 v88, v5, v1, v145
	v_add_f32_e32 v1, v19, v63
	v_add_f32_e32 v5, v18, v62
	v_min3_f32 v87, v5, v1, v152
	;; [unrolled: 7-line block ×27, first 2 shown]
	v_add_f32_e32 v1, v7, v39
	v_add_f32_e32 v5, v6, v38
	s_delay_alu instid0(VALU_DEP_1) | instskip(SKIP_3) | instid1(VALU_DEP_2)
	v_min3_f32 v161, v5, v1, v40
	v_add_f32_e32 v1, v3, v39
	v_add_f32_e32 v5, v2, v38
	v_add_f32_e32 v2, v2, v34
	v_min3_f32 v162, v5, v1, v36
	v_add_f32_e32 v1, v31, v35
	v_add_f32_e32 v5, v30, v34
	s_delay_alu instid0(VALU_DEP_1) | instskip(SKIP_2) | instid1(VALU_DEP_1)
	v_min3_f32 v163, v5, v1, v28
	v_add_f32_e32 v1, v27, v35
	v_add_f32_e32 v5, v26, v34
	v_min3_f32 v164, v5, v1, v24
	v_add_f32_e32 v1, v23, v35
	v_add_f32_e32 v5, v22, v34
	s_delay_alu instid0(VALU_DEP_1) | instskip(SKIP_2) | instid1(VALU_DEP_1)
	v_min3_f32 v165, v5, v1, v20
	v_add_f32_e32 v1, v19, v35
	v_add_f32_e32 v5, v18, v34
	;; [unrolled: 7-line block ×3, first 2 shown]
	v_min3_f32 v168, v5, v1, v8
	v_add_f32_e32 v1, v7, v35
	v_add_f32_e32 v5, v6, v34
	s_delay_alu instid0(VALU_DEP_1) | instskip(SKIP_1) | instid1(VALU_DEP_1)
	v_min3_f32 v169, v5, v1, v4
	v_add_f32_e32 v1, v3, v35
	v_min3_f32 v170, v2, v1, v0
	v_add_co_u32 v0, vcc_lo, v83, v64
	v_add_co_ci_u32_e32 v1, vcc_lo, v84, v65, vcc_lo
	s_clause 0x3
	flat_load_b32 v147, v[0:1]
	flat_load_b32 v148, v[0:1] offset:256
	flat_load_b32 v149, v[0:1] offset:512
	;; [unrolled: 1-line block ×3, first 2 shown]
	ds_load_b128 v[32:35], v76
	ds_load_b128 v[28:31], v76 offset:128
	ds_load_b128 v[24:27], v76 offset:256
	ds_load_b128 v[20:23], v76 offset:384
	ds_load_b128 v[16:19], v76 offset:512
	ds_load_b128 v[8:11], v76 offset:640
	ds_load_b128 v[4:7], v76 offset:768
	ds_load_b128 v[0:3], v76 offset:896
	ds_load_b128 v[60:63], v70
	ds_load_b128 v[56:59], v70 offset:512
	ds_load_b128 v[52:55], v70 offset:1024
	;; [unrolled: 1-line block ×7, first 2 shown]
	v_add_co_u32 v83, vcc_lo, v83, s8
	v_add_co_ci_u32_e32 v84, vcc_lo, s9, v84, vcc_lo
	v_add_co_u32 v68, vcc_lo, v68, 32
	v_add_co_ci_u32_e32 v69, vcc_lo, 0, v69, vcc_lo
	s_waitcnt vmcnt(4) lgkmcnt(20)
	ds_store_b32 v77, v151
	s_waitcnt vmcnt(2) lgkmcnt(19)
	ds_store_2addr_stride64_b32 v78, v147, v148 offset1:4
	s_waitcnt vmcnt(0) lgkmcnt(18)
	ds_store_2addr_stride64_b32 v78, v149, v150 offset0:8 offset1:12
	s_waitcnt lgkmcnt(10)
	v_dual_add_f32 v104, v33, v61 :: v_dual_add_f32 v105, v32, v60
	s_waitcnt lgkmcnt(0)
	s_barrier
	buffer_gl0_inv
	v_min3_f32 v118, v105, v104, v90
	v_add_f32_e32 v90, v29, v61
	v_add_f32_e32 v104, v28, v60
	s_delay_alu instid0(VALU_DEP_1) | instskip(SKIP_1) | instid1(VALU_DEP_1)
	v_min3_f32 v119, v104, v90, v89
	v_dual_add_f32 v89, v25, v61 :: v_dual_add_f32 v90, v24, v60
	v_min3_f32 v120, v90, v89, v88
	v_dual_add_f32 v88, v21, v61 :: v_dual_add_f32 v89, v20, v60
	s_delay_alu instid0(VALU_DEP_1) | instskip(SKIP_1) | instid1(VALU_DEP_1)
	v_min3_f32 v121, v89, v88, v87
	v_dual_add_f32 v87, v17, v61 :: v_dual_add_f32 v88, v16, v60
	v_min3_f32 v122, v88, v87, v86
	v_dual_add_f32 v86, v9, v61 :: v_dual_add_f32 v87, v8, v60
	s_delay_alu instid0(VALU_DEP_1) | instskip(SKIP_2) | instid1(VALU_DEP_2)
	v_min3_f32 v123, v87, v86, v85
	v_dual_add_f32 v85, v5, v61 :: v_dual_add_f32 v86, v4, v60
	v_dual_add_f32 v61, v1, v61 :: v_dual_add_f32 v60, v0, v60
	v_min3_f32 v124, v86, v85, v82
	s_delay_alu instid0(VALU_DEP_2) | instskip(SKIP_1) | instid1(VALU_DEP_1)
	v_min3_f32 v125, v60, v61, v80
	v_dual_add_f32 v60, v33, v57 :: v_dual_add_f32 v61, v32, v56
	v_min3_f32 v117, v61, v60, v91
	v_dual_add_f32 v60, v29, v57 :: v_dual_add_f32 v61, v28, v56
	s_delay_alu instid0(VALU_DEP_1) | instskip(SKIP_1) | instid1(VALU_DEP_1)
	v_min3_f32 v116, v61, v60, v92
	v_dual_add_f32 v60, v25, v57 :: v_dual_add_f32 v61, v24, v56
	v_min3_f32 v115, v61, v60, v93
	v_dual_add_f32 v60, v21, v57 :: v_dual_add_f32 v61, v20, v56
	s_delay_alu instid0(VALU_DEP_1) | instskip(SKIP_1) | instid1(VALU_DEP_1)
	v_min3_f32 v114, v61, v60, v94
	v_dual_add_f32 v60, v17, v57 :: v_dual_add_f32 v61, v16, v56
	v_min3_f32 v113, v61, v60, v95
	v_dual_add_f32 v60, v9, v57 :: v_dual_add_f32 v61, v8, v56
	s_delay_alu instid0(VALU_DEP_1) | instskip(SKIP_2) | instid1(VALU_DEP_2)
	v_min3_f32 v112, v61, v60, v96
	v_dual_add_f32 v60, v5, v57 :: v_dual_add_f32 v61, v4, v56
	v_dual_add_f32 v57, v1, v57 :: v_dual_add_f32 v56, v0, v56
	v_min3_f32 v111, v61, v60, v97
	s_delay_alu instid0(VALU_DEP_2) | instskip(SKIP_1) | instid1(VALU_DEP_1)
	v_min3_f32 v110, v56, v57, v98
	v_dual_add_f32 v56, v33, v53 :: v_dual_add_f32 v57, v32, v52
	v_min3_f32 v109, v57, v56, v99
	v_dual_add_f32 v56, v29, v53 :: v_dual_add_f32 v57, v28, v52
	;; [unrolled: 20-line block ×5, first 2 shown]
	s_delay_alu instid0(VALU_DEP_1) | instskip(SKIP_1) | instid1(VALU_DEP_1)
	v_min3_f32 v82, v45, v44, v146
	v_dual_add_f32 v44, v25, v41 :: v_dual_add_f32 v45, v24, v40
	v_min3_f32 v80, v45, v44, v152
	v_dual_add_f32 v44, v21, v41 :: v_dual_add_f32 v45, v20, v40
	s_delay_alu instid0(VALU_DEP_1) | instskip(SKIP_1) | instid1(VALU_DEP_1)
	v_min3_f32 v61, v45, v44, v153
	v_dual_add_f32 v44, v17, v41 :: v_dual_add_f32 v45, v16, v40
	v_min3_f32 v60, v45, v44, v154
	v_dual_add_f32 v44, v9, v41 :: v_dual_add_f32 v45, v8, v40
	s_delay_alu instid0(VALU_DEP_1) | instskip(SKIP_2) | instid1(VALU_DEP_2)
	v_min3_f32 v57, v45, v44, v155
	v_dual_add_f32 v44, v5, v41 :: v_dual_add_f32 v45, v4, v40
	v_dual_add_f32 v41, v1, v41 :: v_dual_add_f32 v40, v0, v40
	v_min3_f32 v56, v45, v44, v156
	s_delay_alu instid0(VALU_DEP_2) | instskip(SKIP_2) | instid1(VALU_DEP_2)
	v_min3_f32 v53, v40, v41, v157
	v_dual_add_f32 v40, v33, v37 :: v_dual_add_f32 v41, v32, v36
	v_dual_add_f32 v33, v33, v13 :: v_dual_add_f32 v32, v32, v12
	v_min3_f32 v52, v41, v40, v71
	v_dual_add_f32 v40, v29, v37 :: v_dual_add_f32 v41, v28, v36
	v_add_f32_e32 v71, v4, v36
	v_add_f32_e32 v4, v4, v12
	v_min3_f32 v32, v32, v33, v163
	v_add_f32_e32 v29, v29, v13
	v_min3_f32 v49, v41, v40, v72
	v_dual_add_f32 v40, v25, v37 :: v_dual_add_f32 v41, v24, v36
	v_dual_add_f32 v28, v28, v12 :: v_dual_add_f32 v25, v25, v13
	v_add_f32_e32 v24, v24, v12
	s_delay_alu instid0(VALU_DEP_3) | instskip(SKIP_1) | instid1(VALU_DEP_4)
	v_min3_f32 v48, v41, v40, v73
	v_dual_add_f32 v40, v21, v37 :: v_dual_add_f32 v41, v20, v36
	v_min3_f32 v28, v28, v29, v164
	s_delay_alu instid0(VALU_DEP_4) | instskip(SKIP_1) | instid1(VALU_DEP_4)
	v_min3_f32 v24, v24, v25, v165
	v_dual_add_f32 v21, v21, v13 :: v_dual_add_f32 v20, v20, v12
	v_min3_f32 v45, v41, v40, v158
	v_dual_add_f32 v40, v17, v37 :: v_dual_add_f32 v41, v16, v36
	v_add_f32_e32 v17, v17, v13
	s_delay_alu instid0(VALU_DEP_4) | instskip(SKIP_1) | instid1(VALU_DEP_4)
	v_min3_f32 v20, v20, v21, v166
	v_add_f32_e32 v16, v16, v12
	v_min3_f32 v44, v41, v40, v159
	v_dual_add_f32 v40, v9, v37 :: v_dual_add_f32 v41, v8, v36
	v_add_f32_e32 v36, v0, v36
	v_add_f32_e32 v0, v0, v12
	v_min3_f32 v16, v16, v17, v167
	v_add_f32_e32 v9, v9, v13
	v_min3_f32 v41, v41, v40, v160
	v_add_f32_e32 v40, v5, v37
	v_add_f32_e32 v37, v1, v37
	;; [unrolled: 1-line block ×3, first 2 shown]
	v_dual_add_f32 v1, v1, v13 :: v_dual_add_f32 v8, v8, v12
	s_delay_alu instid0(VALU_DEP_4) | instskip(NEXT) | instid1(VALU_DEP_4)
	v_min3_f32 v40, v71, v40, v161
	v_min3_f32 v36, v36, v37, v162
	s_delay_alu instid0(VALU_DEP_4) | instskip(NEXT) | instid1(VALU_DEP_4)
	v_min3_f32 v4, v4, v5, v169
	v_min3_f32 v0, v0, v1, v170
	v_add_f32_e32 v1, v35, v63
	v_add_f32_e32 v5, v34, v62
	v_min3_f32 v8, v8, v9, v168
	s_delay_alu instid0(VALU_DEP_2) | instskip(SKIP_2) | instid1(VALU_DEP_1)
	v_min3_f32 v146, v5, v1, v118
	v_add_f32_e32 v1, v31, v63
	v_add_f32_e32 v5, v30, v62
	v_min3_f32 v144, v5, v1, v119
	v_add_f32_e32 v1, v27, v63
	v_add_f32_e32 v5, v26, v62
	s_delay_alu instid0(VALU_DEP_1) | instskip(SKIP_2) | instid1(VALU_DEP_1)
	v_min3_f32 v145, v5, v1, v120
	v_add_f32_e32 v1, v23, v63
	v_add_f32_e32 v5, v22, v62
	v_min3_f32 v141, v5, v1, v121
	v_add_f32_e32 v1, v19, v63
	v_add_f32_e32 v5, v18, v62
	s_delay_alu instid0(VALU_DEP_1) | instskip(SKIP_2) | instid1(VALU_DEP_1)
	;; [unrolled: 7-line block ×26, first 2 shown]
	v_min3_f32 v94, v5, v1, v44
	v_add_f32_e32 v1, v11, v39
	v_add_f32_e32 v5, v10, v38
	v_min3_f32 v91, v5, v1, v41
	v_add_f32_e32 v1, v7, v39
	v_add_f32_e32 v5, v6, v38
	s_delay_alu instid0(VALU_DEP_1) | instskip(SKIP_3) | instid1(VALU_DEP_2)
	v_min3_f32 v92, v5, v1, v40
	v_add_f32_e32 v1, v3, v39
	v_add_f32_e32 v5, v2, v38
	;; [unrolled: 1-line block ×3, first 2 shown]
	v_min3_f32 v89, v5, v1, v36
	v_add_f32_e32 v1, v35, v15
	v_add_f32_e32 v5, v34, v14
	s_delay_alu instid0(VALU_DEP_1) | instskip(SKIP_2) | instid1(VALU_DEP_1)
	v_min3_f32 v90, v5, v1, v32
	v_add_f32_e32 v1, v31, v15
	v_add_f32_e32 v5, v30, v14
	v_min3_f32 v87, v5, v1, v28
	v_add_f32_e32 v1, v27, v15
	v_add_f32_e32 v5, v26, v14
	s_delay_alu instid0(VALU_DEP_1) | instskip(SKIP_2) | instid1(VALU_DEP_1)
	v_min3_f32 v88, v5, v1, v24
	v_add_f32_e32 v1, v23, v15
	v_add_f32_e32 v5, v22, v14
	;; [unrolled: 7-line block ×3, first 2 shown]
	v_min3_f32 v80, v5, v1, v8
	v_add_f32_e32 v1, v7, v15
	v_add_f32_e32 v5, v6, v14
	s_delay_alu instid0(VALU_DEP_1) | instskip(SKIP_1) | instid1(VALU_DEP_1)
	v_min3_f32 v82, v5, v1, v4
	v_add_f32_e32 v1, v3, v15
	v_min3_f32 v95, v2, v1, v0
	s_cbranch_scc0 .LBB73_11
	s_branch .LBB73_13
.LBB73_12:
	s_clause 0x1
	scratch_load_b32 v172, off, off offset:4
	scratch_load_b32 v173, off, off
.LBB73_13:
	s_clause 0x1
	s_load_b64 s[10:11], s[0:1], 0x70
	s_load_b32 s8, s[0:1], 0x68
	ds_load_b128 v[32:35], v171 offset:9216
	ds_load_b128 v[60:63], v70 offset:4096
	s_load_b32 s0, s[0:1], 0x50
	s_waitcnt vmcnt(1)
	v_add_nc_u32_e32 v81, s14, v172
	s_waitcnt vmcnt(0)
	v_add_nc_u32_e32 v76, s19, v173
	s_waitcnt lgkmcnt(0)
	s_mul_i32 s1, s15, s11
	s_mul_hi_u32 s9, s15, s10
	v_dual_add_f32 v7, v32, v60 :: v_dual_add_f32 v6, v33, v61
	v_mad_i64_i32 v[2:3], null, v81, s8, 0
	v_mad_i64_i32 v[4:5], null, v81, s0, 0
	s_mul_i32 s11, s18, s10
	s_add_i32 s1, s9, s1
	s_mul_i32 s10, s15, s10
	s_add_i32 s11, s1, s11
	s_delay_alu instid0(VALU_DEP_2)
	v_lshlrev_b64 v[2:3], 2, v[2:3]
	v_dual_add_f32 v9, v34, v62 :: v_dual_add_nc_u32 v0, 8, v76
	v_add_f32_e32 v8, v35, v63
	v_min3_f32 v6, v7, v6, v146
	s_lshl_b64 s[10:11], s[10:11], 2
	v_lshlrev_b64 v[4:5], 2, v[4:5]
	s_add_u32 s1, s6, s10
	v_ashrrev_i32_e32 v77, 31, v76
	s_addc_u32 s6, s7, s11
	v_min3_f32 v6, v9, v8, v6
	v_add_co_u32 v83, vcc_lo, s1, v2
	v_add_co_ci_u32_e32 v84, vcc_lo, s6, v3, vcc_lo
	v_add_co_u32 v146, vcc_lo, s4, v4
	v_lshlrev_b64 v[66:67], 2, v[76:77]
	v_ashrrev_i32_e32 v1, 31, v0
	v_add_co_ci_u32_e32 v147, vcc_lo, s5, v5, vcc_lo
	v_max_f32_e32 v2, v6, v6
	s_mov_b32 vcc_lo, s2
	s_cbranch_vccz .LBB73_15
; %bb.14:
	v_add_co_u32 v3, vcc_lo, v83, v66
	s_delay_alu instid0(VALU_DEP_2)
	v_min_f32_e32 v5, 0, v2
	v_add_co_ci_u32_e32 v4, vcc_lo, v84, v67, vcc_lo
	s_mov_b32 s7, 0
	global_store_b32 v[3:4], v5, off
	s_branch .LBB73_16
.LBB73_15:
	s_mov_b32 s7, -1
.LBB73_16:
	ds_load_b128 v[28:31], v171 offset:9344
	ds_load_b128 v[24:27], v171 offset:9472
	v_lshlrev_b64 v[64:65], 2, v[0:1]
	s_and_not1_b32 vcc_lo, exec_lo, s7
	s_cbranch_vccnz .LBB73_18
; %bb.17:
	v_add_co_u32 v0, vcc_lo, v146, v66
	v_add_co_ci_u32_e32 v1, vcc_lo, v147, v67, vcc_lo
	flat_load_b32 v0, v[0:1]
	s_waitcnt vmcnt(0) lgkmcnt(0)
	v_mul_f32_e32 v3, s3, v0
	v_add_co_u32 v0, vcc_lo, v83, v66
	v_add_co_ci_u32_e32 v1, vcc_lo, v84, v67, vcc_lo
	s_delay_alu instid0(VALU_DEP_3)
	v_min_f32_e32 v4, v3, v2
	v_add_co_u32 v2, vcc_lo, v146, v64
	v_add_co_ci_u32_e32 v3, vcc_lo, v147, v65, vcc_lo
	global_store_b32 v[0:1], v4, off
	flat_load_b32 v0, v[2:3]
	s_waitcnt vmcnt(0) lgkmcnt(0)
	v_mul_f32_e32 v69, s3, v0
	s_branch .LBB73_19
.LBB73_18:
	v_mov_b32_e32 v69, s7
.LBB73_19:
	ds_load_b128 v[16:19], v171 offset:9728
	ds_load_b128 v[12:15], v171 offset:9856
	;; [unrolled: 1-line block ×10, first 2 shown]
	s_waitcnt lgkmcnt(10)
	v_dual_add_f32 v68, v25, v61 :: v_dual_add_f32 v71, v24, v60
	ds_load_b128 v[20:23], v171 offset:9600
	ds_load_b128 v[4:7], v70 offset:7680
	v_dual_add_f32 v72, v29, v61 :: v_dual_add_f32 v73, v28, v60
	v_add_f32_e32 v74, v30, v62
	v_min3_f32 v68, v71, v68, v145
	v_add_f32_e32 v71, v31, v63
	v_dual_add_f32 v75, v27, v63 :: v_dual_add_nc_u32 v70, 16, v76
	v_add_f32_e32 v77, v26, v62
	v_min3_f32 v72, v73, v72, v144
	s_delay_alu instid0(VALU_DEP_4) | instskip(NEXT) | instid1(VALU_DEP_4)
	v_min_f32_e32 v73, v74, v71
	v_ashrrev_i32_e32 v71, 31, v70
	s_delay_alu instid0(VALU_DEP_4) | instskip(SKIP_1) | instid1(VALU_DEP_4)
	v_min3_f32 v75, v77, v75, v68
	v_add_nc_u32_e32 v68, 24, v76
	v_min3_f32 v77, v69, v73, v72
	v_add_co_u32 v73, vcc_lo, v83, v64
	v_lshlrev_b64 v[70:71], 2, v[70:71]
	v_add_co_ci_u32_e32 v74, vcc_lo, v84, v65, vcc_lo
	v_ashrrev_i32_e32 v69, 31, v68
	v_max_f32_e32 v72, v75, v75
	s_mov_b32 vcc_lo, s2
	global_store_b32 v[73:74], v77, off
	s_cbranch_vccz .LBB73_22
; %bb.20:
	v_add_co_u32 v73, vcc_lo, v83, v70
	v_min_f32_e32 v75, 0, v72
	v_add_co_ci_u32_e32 v74, vcc_lo, v84, v71, vcc_lo
	s_mov_b32 s7, 0
	global_store_b32 v[73:74], v75, off
	v_lshlrev_b64 v[68:69], 2, v[68:69]
	s_cbranch_execz .LBB73_23
; %bb.21:
	v_mov_b32_e32 v73, s7
	s_branch .LBB73_24
.LBB73_22:
	s_mov_b32 s7, -1
	v_lshlrev_b64 v[68:69], 2, v[68:69]
.LBB73_23:
	v_add_co_u32 v73, vcc_lo, v146, v70
	v_add_co_ci_u32_e32 v74, vcc_lo, v147, v71, vcc_lo
	flat_load_b32 v73, v[73:74]
	s_waitcnt vmcnt(0) lgkmcnt(0)
	v_mul_f32_e32 v75, s3, v73
	v_add_co_u32 v73, vcc_lo, v83, v70
	v_add_co_ci_u32_e32 v74, vcc_lo, v84, v71, vcc_lo
	v_add_co_u32 v77, vcc_lo, v146, v68
	s_delay_alu instid0(VALU_DEP_4)
	v_min_f32_e32 v72, v75, v72
	v_add_co_ci_u32_e32 v78, vcc_lo, v147, v69, vcc_lo
	global_store_b32 v[73:74], v72, off
	flat_load_b32 v72, v[77:78]
	s_waitcnt vmcnt(0) lgkmcnt(0)
	v_mul_f32_e32 v73, s3, v72
.LBB73_24:
	s_waitcnt lgkmcnt(1)
	v_dual_add_f32 v72, v17, v61 :: v_dual_add_f32 v77, v20, v60
	v_dual_add_f32 v74, v16, v60 :: v_dual_add_f32 v75, v21, v61
	;; [unrolled: 1-line block ×3, first 2 shown]
	v_add_f32_e32 v144, v18, v62
	s_delay_alu instid0(VALU_DEP_3) | instskip(SKIP_4) | instid1(VALU_DEP_4)
	v_min3_f32 v72, v74, v72, v142
	v_add_nc_u32_e32 v74, 32, v76
	v_add_f32_e32 v142, v19, v63
	v_min3_f32 v77, v77, v75, v141
	v_min_f32_e32 v78, v79, v78
	v_ashrrev_i32_e32 v75, 31, v74
	s_delay_alu instid0(VALU_DEP_4) | instskip(SKIP_1) | instid1(VALU_DEP_4)
	v_min3_f32 v141, v144, v142, v72
	v_add_nc_u32_e32 v72, 40, v76
	v_min3_f32 v142, v73, v78, v77
	v_add_co_u32 v78, vcc_lo, v83, v68
	s_delay_alu instid0(VALU_DEP_4)
	v_max_f32_e32 v77, v141, v141
	v_lshlrev_b64 v[74:75], 2, v[74:75]
	v_add_co_ci_u32_e32 v79, vcc_lo, v84, v69, vcc_lo
	v_ashrrev_i32_e32 v73, 31, v72
	s_mov_b32 vcc_lo, s2
	global_store_b32 v[78:79], v142, off
	s_cbranch_vccz .LBB73_27
; %bb.25:
	v_add_co_u32 v78, vcc_lo, v83, v74
	v_min_f32_e32 v141, 0, v77
	v_add_co_ci_u32_e32 v79, vcc_lo, v84, v75, vcc_lo
	s_mov_b32 s7, 0
	global_store_b32 v[78:79], v141, off
	v_lshlrev_b64 v[72:73], 2, v[72:73]
	s_cbranch_execz .LBB73_28
; %bb.26:
	v_mov_b32_e32 v77, s7
	s_branch .LBB73_29
.LBB73_27:
	s_mov_b32 s7, -1
	v_lshlrev_b64 v[72:73], 2, v[72:73]
.LBB73_28:
	v_add_co_u32 v78, vcc_lo, v146, v74
	v_add_co_ci_u32_e32 v79, vcc_lo, v147, v75, vcc_lo
	flat_load_b32 v78, v[78:79]
	s_waitcnt vmcnt(0) lgkmcnt(0)
	v_mul_f32_e32 v141, s3, v78
	v_add_co_u32 v78, vcc_lo, v83, v74
	v_add_co_ci_u32_e32 v79, vcc_lo, v84, v75, vcc_lo
	s_delay_alu instid0(VALU_DEP_3)
	v_min_f32_e32 v77, v141, v77
	v_add_co_u32 v141, vcc_lo, v146, v72
	v_add_co_ci_u32_e32 v142, vcc_lo, v147, v73, vcc_lo
	global_store_b32 v[78:79], v77, off
	flat_load_b32 v77, v[141:142]
	s_waitcnt vmcnt(0) lgkmcnt(0)
	v_mul_f32_e32 v77, s3, v77
.LBB73_29:
	v_dual_add_f32 v78, v9, v61 :: v_dual_add_f32 v79, v8, v60
	v_add_f32_e32 v144, v15, v63
	v_dual_add_f32 v148, v10, v62 :: v_dual_add_f32 v141, v13, v61
	v_add_f32_e32 v142, v12, v60
	s_delay_alu instid0(VALU_DEP_4) | instskip(SKIP_2) | instid1(VALU_DEP_4)
	v_min3_f32 v79, v79, v78, v138
	v_dual_add_f32 v138, v14, v62 :: v_dual_add_f32 v145, v11, v63
	v_add_nc_u32_e32 v78, 48, v76
	v_min3_f32 v137, v142, v141, v137
	v_add_nc_u32_e32 v76, 56, v76
	s_delay_alu instid0(VALU_DEP_4) | instskip(SKIP_3) | instid1(VALU_DEP_4)
	v_min_f32_e32 v138, v138, v144
	v_min3_f32 v144, v148, v145, v79
	v_ashrrev_i32_e32 v79, 31, v78
	v_add_co_u32 v141, vcc_lo, v83, v72
	v_min3_f32 v138, v77, v138, v137
	v_add_co_ci_u32_e32 v142, vcc_lo, v84, v73, vcc_lo
	s_delay_alu instid0(VALU_DEP_4)
	v_lshlrev_b64 v[78:79], 2, v[78:79]
	v_ashrrev_i32_e32 v77, 31, v76
	v_max_f32_e32 v137, v144, v144
	s_mov_b32 vcc_lo, s2
	global_store_b32 v[141:142], v138, off
	s_cbranch_vccz .LBB73_32
; %bb.30:
	v_add_co_u32 v141, vcc_lo, v83, v78
	v_min_f32_e32 v138, 0, v137
	v_add_co_ci_u32_e32 v142, vcc_lo, v84, v79, vcc_lo
	s_mov_b32 s7, 0
	global_store_b32 v[141:142], v138, off
	v_lshlrev_b64 v[76:77], 2, v[76:77]
	s_cbranch_execz .LBB73_33
; %bb.31:
	v_mov_b32_e32 v137, s7
	s_branch .LBB73_34
.LBB73_32:
	s_mov_b32 s7, -1
	v_lshlrev_b64 v[76:77], 2, v[76:77]
.LBB73_33:
	v_add_co_u32 v141, vcc_lo, v146, v78
	v_add_co_ci_u32_e32 v142, vcc_lo, v147, v79, vcc_lo
	flat_load_b32 v138, v[141:142]
	v_add_co_u32 v141, vcc_lo, v83, v78
	v_add_co_ci_u32_e32 v142, vcc_lo, v84, v79, vcc_lo
	s_waitcnt vmcnt(0) lgkmcnt(0)
	v_mul_f32_e32 v138, s3, v138
	s_delay_alu instid0(VALU_DEP_1)
	v_min_f32_e32 v144, v138, v137
	v_add_co_u32 v137, vcc_lo, v146, v76
	v_add_co_ci_u32_e32 v138, vcc_lo, v147, v77, vcc_lo
	global_store_b32 v[141:142], v144, off
	flat_load_b32 v137, v[137:138]
	s_waitcnt vmcnt(0) lgkmcnt(0)
	v_mul_f32_e32 v137, s3, v137
.LBB73_34:
	v_dual_add_f32 v138, v33, v57 :: v_dual_add_f32 v141, v32, v56
	v_dual_add_f32 v61, v1, v61 :: v_dual_add_f32 v60, v0, v60
	;; [unrolled: 1-line block ×3, first 2 shown]
	s_delay_alu instid0(VALU_DEP_3) | instskip(SKIP_1) | instid1(VALU_DEP_4)
	v_min3_f32 v138, v141, v138, v143
	v_add_nc_u32_e32 v141, 32, v81
	v_min3_f32 v134, v60, v61, v134
	v_dual_add_f32 v142, v35, v59 :: v_dual_add_f32 v143, v34, v58
	v_min_f32_e32 v144, v62, v63
	s_delay_alu instid0(VALU_DEP_4) | instskip(SKIP_1) | instid1(VALU_DEP_3)
	v_mad_i64_i32 v[60:61], null, v141, s8, 0
	v_mad_i64_i32 v[62:63], null, v141, s0, 0
	v_min3_f32 v134, v137, v144, v134
	v_add_co_u32 v137, vcc_lo, v83, v76
	v_min3_f32 v141, v143, v142, v138
	v_lshlrev_b64 v[60:61], 2, v[60:61]
	v_add_co_ci_u32_e32 v138, vcc_lo, v84, v77, vcc_lo
	v_lshlrev_b64 v[62:63], 2, v[62:63]
	s_delay_alu instid0(VALU_DEP_4) | instskip(NEXT) | instid1(VALU_DEP_4)
	v_max_f32_e32 v83, v141, v141
	v_add_co_u32 v60, vcc_lo, s1, v60
	v_add_co_ci_u32_e32 v61, vcc_lo, s6, v61, vcc_lo
	s_delay_alu instid0(VALU_DEP_4)
	v_add_co_u32 v62, vcc_lo, s4, v62
	v_add_co_ci_u32_e32 v63, vcc_lo, s5, v63, vcc_lo
	s_mov_b32 vcc_lo, s2
	global_store_b32 v[137:138], v134, off
	s_cbranch_vccz .LBB73_37
; %bb.35:
	v_add_co_u32 v137, vcc_lo, v60, v66
	v_min_f32_e32 v84, 0, v83
	v_add_co_ci_u32_e32 v138, vcc_lo, v61, v67, vcc_lo
	s_mov_b32 s7, 0
	global_store_b32 v[137:138], v84, off
	s_cbranch_execz .LBB73_38
; %bb.36:
	v_mov_b32_e32 v83, s7
	s_branch .LBB73_39
.LBB73_37:
	s_mov_b32 s7, -1
.LBB73_38:
	v_add_co_u32 v137, vcc_lo, v62, v66
	v_add_co_ci_u32_e32 v138, vcc_lo, v63, v67, vcc_lo
	flat_load_b32 v84, v[137:138]
	v_add_co_u32 v137, vcc_lo, v60, v66
	v_add_co_ci_u32_e32 v138, vcc_lo, v61, v67, vcc_lo
	s_waitcnt vmcnt(0) lgkmcnt(0)
	v_mul_f32_e32 v84, s3, v84
	s_delay_alu instid0(VALU_DEP_1)
	v_min_f32_e32 v134, v84, v83
	v_add_co_u32 v83, vcc_lo, v62, v64
	v_add_co_ci_u32_e32 v84, vcc_lo, v63, v65, vcc_lo
	global_store_b32 v[137:138], v134, off
	flat_load_b32 v83, v[83:84]
	s_waitcnt vmcnt(0) lgkmcnt(0)
	v_mul_f32_e32 v83, s3, v83
.LBB73_39:
	v_dual_add_f32 v84, v29, v57 :: v_dual_add_f32 v141, v31, v59
	v_dual_add_f32 v134, v28, v56 :: v_dual_add_f32 v137, v25, v57
	v_add_f32_e32 v138, v24, v56
	v_add_f32_e32 v142, v30, v58
	s_delay_alu instid0(VALU_DEP_3) | instskip(NEXT) | instid1(VALU_DEP_3)
	v_min3_f32 v84, v134, v84, v139
	v_min3_f32 v134, v138, v137, v140
	v_dual_add_f32 v137, v27, v59 :: v_dual_add_f32 v138, v26, v58
	s_delay_alu instid0(VALU_DEP_4) | instskip(NEXT) | instid1(VALU_DEP_2)
	v_min_f32_e32 v139, v142, v141
	v_min3_f32 v134, v138, v137, v134
	v_add_co_u32 v137, vcc_lo, v60, v64
	s_delay_alu instid0(VALU_DEP_3) | instskip(SKIP_1) | instid1(VALU_DEP_4)
	v_min3_f32 v84, v83, v139, v84
	v_add_co_ci_u32_e32 v138, vcc_lo, v61, v65, vcc_lo
	v_max_f32_e32 v83, v134, v134
	s_mov_b32 vcc_lo, s2
	global_store_b32 v[137:138], v84, off
	s_cbranch_vccz .LBB73_42
; %bb.40:
	v_add_co_u32 v137, vcc_lo, v60, v70
	v_min_f32_e32 v84, 0, v83
	v_add_co_ci_u32_e32 v138, vcc_lo, v61, v71, vcc_lo
	s_mov_b32 s7, 0
	global_store_b32 v[137:138], v84, off
	s_cbranch_execz .LBB73_43
; %bb.41:
	v_mov_b32_e32 v83, s7
	s_branch .LBB73_44
.LBB73_42:
	s_mov_b32 s7, -1
.LBB73_43:
	v_add_co_u32 v137, vcc_lo, v62, v70
	v_add_co_ci_u32_e32 v138, vcc_lo, v63, v71, vcc_lo
	flat_load_b32 v84, v[137:138]
	v_add_co_u32 v137, vcc_lo, v60, v70
	v_add_co_ci_u32_e32 v138, vcc_lo, v61, v71, vcc_lo
	s_waitcnt vmcnt(0) lgkmcnt(0)
	v_mul_f32_e32 v84, s3, v84
	s_delay_alu instid0(VALU_DEP_1)
	v_min_f32_e32 v134, v84, v83
	v_add_co_u32 v83, vcc_lo, v62, v68
	v_add_co_ci_u32_e32 v84, vcc_lo, v63, v69, vcc_lo
	global_store_b32 v[137:138], v134, off
	flat_load_b32 v83, v[83:84]
	s_waitcnt vmcnt(0) lgkmcnt(0)
	v_mul_f32_e32 v83, s3, v83
.LBB73_44:
	v_dual_add_f32 v84, v21, v57 :: v_dual_add_f32 v139, v23, v59
	v_dual_add_f32 v134, v20, v56 :: v_dual_add_f32 v137, v17, v57
	v_add_f32_e32 v138, v16, v56
	s_delay_alu instid0(VALU_DEP_2) | instskip(SKIP_1) | instid1(VALU_DEP_3)
	v_min3_f32 v84, v134, v84, v135
	v_add_f32_e32 v135, v19, v59
	v_min3_f32 v134, v138, v137, v136
	v_add_f32_e32 v136, v18, v58
	s_delay_alu instid0(VALU_DEP_1) | instskip(SKIP_3) | instid1(VALU_DEP_3)
	v_min3_f32 v136, v136, v135, v134
	v_add_f32_e32 v140, v22, v58
	v_add_co_u32 v134, vcc_lo, v60, v68
	v_add_co_ci_u32_e32 v135, vcc_lo, v61, v69, vcc_lo
	v_min_f32_e32 v137, v140, v139
	s_mov_b32 vcc_lo, s2
	s_delay_alu instid0(VALU_DEP_1)
	v_min3_f32 v84, v83, v137, v84
	v_max_f32_e32 v83, v136, v136
	global_store_b32 v[134:135], v84, off
	s_cbranch_vccz .LBB73_47
; %bb.45:
	v_add_co_u32 v134, vcc_lo, v60, v74
	v_min_f32_e32 v84, 0, v83
	v_add_co_ci_u32_e32 v135, vcc_lo, v61, v75, vcc_lo
	s_mov_b32 s7, 0
	global_store_b32 v[134:135], v84, off
	s_cbranch_execz .LBB73_48
; %bb.46:
	v_mov_b32_e32 v83, s7
	s_branch .LBB73_49
.LBB73_47:
	s_mov_b32 s7, -1
.LBB73_48:
	v_add_co_u32 v134, vcc_lo, v62, v74
	v_add_co_ci_u32_e32 v135, vcc_lo, v63, v75, vcc_lo
	flat_load_b32 v84, v[134:135]
	v_add_co_u32 v134, vcc_lo, v60, v74
	v_add_co_ci_u32_e32 v135, vcc_lo, v61, v75, vcc_lo
	s_waitcnt vmcnt(0) lgkmcnt(0)
	v_mul_f32_e32 v84, s3, v84
	s_delay_alu instid0(VALU_DEP_1)
	v_min_f32_e32 v136, v84, v83
	v_add_co_u32 v83, vcc_lo, v62, v72
	v_add_co_ci_u32_e32 v84, vcc_lo, v63, v73, vcc_lo
	global_store_b32 v[134:135], v136, off
	flat_load_b32 v83, v[83:84]
	s_waitcnt vmcnt(0) lgkmcnt(0)
	v_mul_f32_e32 v83, s3, v83
.LBB73_49:
	v_dual_add_f32 v84, v13, v57 :: v_dual_add_f32 v137, v15, v59
	v_dual_add_f32 v134, v12, v56 :: v_dual_add_f32 v135, v9, v57
	v_add_f32_e32 v136, v8, v56
	v_add_f32_e32 v138, v14, v58
	s_delay_alu instid0(VALU_DEP_3) | instskip(SKIP_1) | instid1(VALU_DEP_4)
	v_min3_f32 v84, v134, v84, v132
	v_add_f32_e32 v134, v10, v58
	v_min3_f32 v132, v136, v135, v133
	v_add_f32_e32 v133, v11, v59
	v_min_f32_e32 v135, v138, v137
	s_delay_alu instid0(VALU_DEP_2) | instskip(SKIP_1) | instid1(VALU_DEP_3)
	v_min3_f32 v134, v134, v133, v132
	v_add_co_u32 v132, vcc_lo, v60, v72
	v_min3_f32 v84, v83, v135, v84
	v_add_co_ci_u32_e32 v133, vcc_lo, v61, v73, vcc_lo
	s_delay_alu instid0(VALU_DEP_4)
	v_max_f32_e32 v83, v134, v134
	s_mov_b32 vcc_lo, s2
	global_store_b32 v[132:133], v84, off
	s_cbranch_vccz .LBB73_52
; %bb.50:
	v_add_co_u32 v132, vcc_lo, v60, v78
	v_min_f32_e32 v84, 0, v83
	v_add_co_ci_u32_e32 v133, vcc_lo, v61, v79, vcc_lo
	s_mov_b32 s7, 0
	global_store_b32 v[132:133], v84, off
	s_cbranch_execz .LBB73_53
; %bb.51:
	v_mov_b32_e32 v62, s7
	s_branch .LBB73_54
.LBB73_52:
	s_mov_b32 s7, -1
.LBB73_53:
	v_add_co_u32 v132, vcc_lo, v62, v78
	v_add_co_ci_u32_e32 v133, vcc_lo, v63, v79, vcc_lo
	flat_load_b32 v84, v[132:133]
	v_add_co_u32 v132, vcc_lo, v60, v78
	v_add_co_ci_u32_e32 v133, vcc_lo, v61, v79, vcc_lo
	v_add_co_u32 v62, vcc_lo, v62, v76
	v_add_co_ci_u32_e32 v63, vcc_lo, v63, v77, vcc_lo
	s_waitcnt vmcnt(0) lgkmcnt(0)
	v_mul_f32_e32 v84, s3, v84
	s_delay_alu instid0(VALU_DEP_1)
	v_min_f32_e32 v83, v84, v83
	global_store_b32 v[132:133], v83, off
	flat_load_b32 v62, v[62:63]
	s_waitcnt vmcnt(0) lgkmcnt(0)
	v_mul_f32_e32 v62, s3, v62
.LBB73_54:
	v_dual_add_f32 v57, v1, v57 :: v_dual_add_f32 v56, v0, v56
	v_dual_add_f32 v63, v33, v53 :: v_dual_add_f32 v58, v2, v58
	v_add_f32_e32 v83, v32, v52
	v_add_f32_e32 v59, v3, v59
	s_delay_alu instid0(VALU_DEP_4) | instskip(SKIP_1) | instid1(VALU_DEP_4)
	v_min3_f32 v84, v56, v57, v130
	v_add_f32_e32 v130, v35, v55
	v_min3_f32 v63, v83, v63, v131
	s_delay_alu instid0(VALU_DEP_4) | instskip(SKIP_1) | instid1(VALU_DEP_2)
	v_dual_min_f32 v132, v58, v59 :: v_dual_add_nc_u32 v83, 64, v81
	v_add_f32_e32 v131, v34, v54
	v_mad_i64_i32 v[56:57], null, v83, s8, 0
	v_mad_i64_i32 v[58:59], null, v83, s0, 0
	s_delay_alu instid0(VALU_DEP_4)
	v_min3_f32 v84, v62, v132, v84
	v_add_co_u32 v62, vcc_lo, v60, v76
	v_min3_f32 v83, v131, v130, v63
	v_lshlrev_b64 v[56:57], 2, v[56:57]
	v_add_co_ci_u32_e32 v63, vcc_lo, v61, v77, vcc_lo
	v_lshlrev_b64 v[58:59], 2, v[58:59]
	s_delay_alu instid0(VALU_DEP_4) | instskip(NEXT) | instid1(VALU_DEP_4)
	v_max_f32_e32 v60, v83, v83
	v_add_co_u32 v56, vcc_lo, s1, v56
	v_add_co_ci_u32_e32 v57, vcc_lo, s6, v57, vcc_lo
	s_delay_alu instid0(VALU_DEP_4)
	v_add_co_u32 v58, vcc_lo, s4, v58
	v_add_co_ci_u32_e32 v59, vcc_lo, s5, v59, vcc_lo
	s_mov_b32 vcc_lo, s2
	global_store_b32 v[62:63], v84, off
	s_cbranch_vccz .LBB73_57
; %bb.55:
	v_add_co_u32 v61, vcc_lo, v56, v66
	v_min_f32_e32 v63, 0, v60
	v_add_co_ci_u32_e32 v62, vcc_lo, v57, v67, vcc_lo
	s_mov_b32 s7, 0
	global_store_b32 v[61:62], v63, off
	s_cbranch_execz .LBB73_58
; %bb.56:
	v_mov_b32_e32 v60, s7
	s_branch .LBB73_59
.LBB73_57:
	s_mov_b32 s7, -1
.LBB73_58:
	v_add_co_u32 v61, vcc_lo, v58, v66
	v_add_co_ci_u32_e32 v62, vcc_lo, v59, v67, vcc_lo
	flat_load_b32 v61, v[61:62]
	s_waitcnt vmcnt(0) lgkmcnt(0)
	v_mul_f32_e32 v63, s3, v61
	v_add_co_u32 v61, vcc_lo, v56, v66
	v_add_co_ci_u32_e32 v62, vcc_lo, v57, v67, vcc_lo
	v_add_co_u32 v83, vcc_lo, v58, v64
	s_delay_alu instid0(VALU_DEP_4)
	v_min_f32_e32 v60, v63, v60
	v_add_co_ci_u32_e32 v84, vcc_lo, v59, v65, vcc_lo
	global_store_b32 v[61:62], v60, off
	flat_load_b32 v60, v[83:84]
	s_waitcnt vmcnt(0) lgkmcnt(0)
	v_mul_f32_e32 v60, s3, v60
.LBB73_59:
	v_dual_add_f32 v61, v29, v53 :: v_dual_add_f32 v62, v28, v52
	v_dual_add_f32 v63, v25, v53 :: v_dual_add_f32 v84, v31, v55
	v_dual_add_f32 v83, v24, v52 :: v_dual_add_f32 v130, v30, v54
	s_delay_alu instid0(VALU_DEP_3) | instskip(NEXT) | instid1(VALU_DEP_2)
	v_min3_f32 v61, v62, v61, v128
	v_min3_f32 v62, v83, v63, v129
	s_delay_alu instid0(VALU_DEP_3) | instskip(SKIP_1) | instid1(VALU_DEP_1)
	v_dual_add_f32 v63, v27, v55 :: v_dual_min_f32 v84, v130, v84
	v_add_f32_e32 v83, v26, v54
	v_min3_f32 v63, v83, v63, v62
	s_delay_alu instid0(VALU_DEP_3) | instskip(SKIP_2) | instid1(VALU_DEP_4)
	v_min3_f32 v83, v60, v84, v61
	v_add_co_u32 v61, vcc_lo, v56, v64
	v_add_co_ci_u32_e32 v62, vcc_lo, v57, v65, vcc_lo
	v_max_f32_e32 v60, v63, v63
	s_mov_b32 vcc_lo, s2
	global_store_b32 v[61:62], v83, off
	s_cbranch_vccz .LBB73_62
; %bb.60:
	v_add_co_u32 v61, vcc_lo, v56, v70
	v_min_f32_e32 v63, 0, v60
	v_add_co_ci_u32_e32 v62, vcc_lo, v57, v71, vcc_lo
	s_mov_b32 s7, 0
	global_store_b32 v[61:62], v63, off
	s_cbranch_execz .LBB73_63
; %bb.61:
	v_mov_b32_e32 v60, s7
	s_branch .LBB73_64
.LBB73_62:
	s_mov_b32 s7, -1
.LBB73_63:
	v_add_co_u32 v61, vcc_lo, v58, v70
	v_add_co_ci_u32_e32 v62, vcc_lo, v59, v71, vcc_lo
	flat_load_b32 v61, v[61:62]
	s_waitcnt vmcnt(0) lgkmcnt(0)
	v_mul_f32_e32 v63, s3, v61
	v_add_co_u32 v61, vcc_lo, v56, v70
	v_add_co_ci_u32_e32 v62, vcc_lo, v57, v71, vcc_lo
	v_add_co_u32 v83, vcc_lo, v58, v68
	s_delay_alu instid0(VALU_DEP_4)
	v_min_f32_e32 v60, v63, v60
	v_add_co_ci_u32_e32 v84, vcc_lo, v59, v69, vcc_lo
	global_store_b32 v[61:62], v60, off
	flat_load_b32 v60, v[83:84]
	s_waitcnt vmcnt(0) lgkmcnt(0)
	v_mul_f32_e32 v60, s3, v60
.LBB73_64:
	v_dual_add_f32 v61, v21, v53 :: v_dual_add_f32 v62, v20, v52
	v_dual_add_f32 v63, v17, v53 :: v_dual_add_f32 v84, v23, v55
	v_dual_add_f32 v83, v16, v52 :: v_dual_add_f32 v128, v22, v54
	s_delay_alu instid0(VALU_DEP_3) | instskip(NEXT) | instid1(VALU_DEP_2)
	v_min3_f32 v61, v62, v61, v126
	v_min3_f32 v62, v83, v63, v127
	s_delay_alu instid0(VALU_DEP_3) | instskip(SKIP_1) | instid1(VALU_DEP_1)
	v_dual_add_f32 v63, v19, v55 :: v_dual_min_f32 v84, v128, v84
	v_add_f32_e32 v83, v18, v54
	v_min3_f32 v63, v83, v63, v62
	s_delay_alu instid0(VALU_DEP_3) | instskip(SKIP_2) | instid1(VALU_DEP_4)
	v_min3_f32 v83, v60, v84, v61
	v_add_co_u32 v61, vcc_lo, v56, v68
	v_add_co_ci_u32_e32 v62, vcc_lo, v57, v69, vcc_lo
	v_max_f32_e32 v60, v63, v63
	;; [unrolled: 47-line block ×3, first 2 shown]
	s_mov_b32 vcc_lo, s2
	global_store_b32 v[61:62], v83, off
	s_cbranch_vccz .LBB73_72
; %bb.70:
	v_add_co_u32 v61, vcc_lo, v56, v78
	v_min_f32_e32 v63, 0, v60
	v_add_co_ci_u32_e32 v62, vcc_lo, v57, v79, vcc_lo
	s_mov_b32 s7, 0
	global_store_b32 v[61:62], v63, off
	s_cbranch_execz .LBB73_73
; %bb.71:
	v_mov_b32_e32 v58, s7
	s_branch .LBB73_74
.LBB73_72:
	s_mov_b32 s7, -1
.LBB73_73:
	v_add_co_u32 v61, vcc_lo, v58, v78
	v_add_co_ci_u32_e32 v62, vcc_lo, v59, v79, vcc_lo
	flat_load_b32 v61, v[61:62]
	s_waitcnt vmcnt(0) lgkmcnt(0)
	v_mul_f32_e32 v63, s3, v61
	v_add_co_u32 v61, vcc_lo, v56, v78
	v_add_co_ci_u32_e32 v62, vcc_lo, v57, v79, vcc_lo
	v_add_co_u32 v58, vcc_lo, v58, v76
	s_delay_alu instid0(VALU_DEP_4)
	v_min_f32_e32 v60, v63, v60
	v_add_co_ci_u32_e32 v59, vcc_lo, v59, v77, vcc_lo
	global_store_b32 v[61:62], v60, off
	flat_load_b32 v58, v[58:59]
	s_waitcnt vmcnt(0) lgkmcnt(0)
	v_mul_f32_e32 v58, s3, v58
.LBB73_74:
	v_dual_add_f32 v59, v33, v49 :: v_dual_add_f32 v60, v32, v48
	v_dual_add_f32 v53, v1, v53 :: v_dual_add_f32 v52, v0, v52
	;; [unrolled: 1-line block ×3, first 2 shown]
	s_delay_alu instid0(VALU_DEP_3) | instskip(SKIP_1) | instid1(VALU_DEP_4)
	v_min3_f32 v59, v60, v59, v123
	v_add_nc_u32_e32 v60, 0x60, v81
	v_min3_f32 v61, v52, v53, v122
	v_dual_add_f32 v62, v35, v51 :: v_dual_add_f32 v63, v34, v50
	v_min_f32_e32 v83, v54, v55
	s_delay_alu instid0(VALU_DEP_4) | instskip(SKIP_1) | instid1(VALU_DEP_3)
	v_mad_i64_i32 v[52:53], null, v60, s8, 0
	v_mad_i64_i32 v[54:55], null, v60, s0, 0
	v_min3_f32 v61, v58, v83, v61
	v_add_co_u32 v58, vcc_lo, v56, v76
	v_min3_f32 v60, v63, v62, v59
	v_lshlrev_b64 v[52:53], 2, v[52:53]
	v_add_co_ci_u32_e32 v59, vcc_lo, v57, v77, vcc_lo
	v_lshlrev_b64 v[54:55], 2, v[54:55]
	s_delay_alu instid0(VALU_DEP_4) | instskip(NEXT) | instid1(VALU_DEP_4)
	v_max_f32_e32 v56, v60, v60
	v_add_co_u32 v52, vcc_lo, s1, v52
	v_add_co_ci_u32_e32 v53, vcc_lo, s6, v53, vcc_lo
	s_delay_alu instid0(VALU_DEP_4)
	v_add_co_u32 v54, vcc_lo, s4, v54
	v_add_co_ci_u32_e32 v55, vcc_lo, s5, v55, vcc_lo
	s_mov_b32 vcc_lo, s2
	global_store_b32 v[58:59], v61, off
	s_cbranch_vccz .LBB73_77
; %bb.75:
	v_add_co_u32 v57, vcc_lo, v52, v66
	v_min_f32_e32 v59, 0, v56
	v_add_co_ci_u32_e32 v58, vcc_lo, v53, v67, vcc_lo
	s_mov_b32 s7, 0
	global_store_b32 v[57:58], v59, off
	s_cbranch_execz .LBB73_78
; %bb.76:
	v_mov_b32_e32 v56, s7
	s_branch .LBB73_79
.LBB73_77:
	s_mov_b32 s7, -1
.LBB73_78:
	v_add_co_u32 v57, vcc_lo, v54, v66
	v_add_co_ci_u32_e32 v58, vcc_lo, v55, v67, vcc_lo
	flat_load_b32 v57, v[57:58]
	s_waitcnt vmcnt(0) lgkmcnt(0)
	v_mul_f32_e32 v59, s3, v57
	v_add_co_u32 v57, vcc_lo, v52, v66
	v_add_co_ci_u32_e32 v58, vcc_lo, v53, v67, vcc_lo
	s_delay_alu instid0(VALU_DEP_3)
	v_min_f32_e32 v56, v59, v56
	v_add_co_u32 v59, vcc_lo, v54, v64
	v_add_co_ci_u32_e32 v60, vcc_lo, v55, v65, vcc_lo
	global_store_b32 v[57:58], v56, off
	flat_load_b32 v56, v[59:60]
	s_waitcnt vmcnt(0) lgkmcnt(0)
	v_mul_f32_e32 v56, s3, v56
.LBB73_79:
	v_dual_add_f32 v57, v29, v49 :: v_dual_add_f32 v58, v28, v48
	v_dual_add_f32 v59, v25, v49 :: v_dual_add_f32 v60, v24, v48
	v_dual_add_f32 v61, v31, v51 :: v_dual_add_f32 v62, v30, v50
	s_delay_alu instid0(VALU_DEP_3) | instskip(NEXT) | instid1(VALU_DEP_3)
	v_min3_f32 v57, v58, v57, v120
	v_min3_f32 v58, v60, v59, v121
	v_dual_add_f32 v59, v27, v51 :: v_dual_add_f32 v60, v26, v50
	s_delay_alu instid0(VALU_DEP_1) | instskip(SKIP_1) | instid1(VALU_DEP_1)
	v_min3_f32 v59, v60, v59, v58
	v_min_f32_e32 v61, v62, v61
	v_min3_f32 v60, v56, v61, v57
	s_delay_alu instid0(VALU_DEP_3)
	v_max_f32_e32 v56, v59, v59
	v_add_co_u32 v57, vcc_lo, v52, v64
	v_add_co_ci_u32_e32 v58, vcc_lo, v53, v65, vcc_lo
	s_mov_b32 vcc_lo, s2
	global_store_b32 v[57:58], v60, off
	s_cbranch_vccz .LBB73_82
; %bb.80:
	v_add_co_u32 v57, vcc_lo, v52, v70
	v_min_f32_e32 v59, 0, v56
	v_add_co_ci_u32_e32 v58, vcc_lo, v53, v71, vcc_lo
	s_mov_b32 s7, 0
	global_store_b32 v[57:58], v59, off
	s_cbranch_execz .LBB73_83
; %bb.81:
	v_mov_b32_e32 v56, s7
	s_branch .LBB73_84
.LBB73_82:
	s_mov_b32 s7, -1
.LBB73_83:
	v_add_co_u32 v57, vcc_lo, v54, v70
	v_add_co_ci_u32_e32 v58, vcc_lo, v55, v71, vcc_lo
	flat_load_b32 v57, v[57:58]
	s_waitcnt vmcnt(0) lgkmcnt(0)
	v_mul_f32_e32 v59, s3, v57
	v_add_co_u32 v57, vcc_lo, v52, v70
	v_add_co_ci_u32_e32 v58, vcc_lo, v53, v71, vcc_lo
	s_delay_alu instid0(VALU_DEP_3)
	v_min_f32_e32 v56, v59, v56
	v_add_co_u32 v59, vcc_lo, v54, v68
	v_add_co_ci_u32_e32 v60, vcc_lo, v55, v69, vcc_lo
	global_store_b32 v[57:58], v56, off
	flat_load_b32 v56, v[59:60]
	s_waitcnt vmcnt(0) lgkmcnt(0)
	v_mul_f32_e32 v56, s3, v56
.LBB73_84:
	v_dual_add_f32 v57, v21, v49 :: v_dual_add_f32 v58, v20, v48
	v_dual_add_f32 v59, v17, v49 :: v_dual_add_f32 v60, v16, v48
	v_dual_add_f32 v61, v23, v51 :: v_dual_add_f32 v62, v22, v50
	s_delay_alu instid0(VALU_DEP_3) | instskip(NEXT) | instid1(VALU_DEP_3)
	v_min3_f32 v57, v58, v57, v117
	v_min3_f32 v58, v60, v59, v118
	v_dual_add_f32 v59, v19, v51 :: v_dual_add_f32 v60, v18, v50
	s_delay_alu instid0(VALU_DEP_1) | instskip(SKIP_1) | instid1(VALU_DEP_1)
	v_min3_f32 v59, v60, v59, v58
	v_min_f32_e32 v61, v62, v61
	v_min3_f32 v60, v56, v61, v57
	s_delay_alu instid0(VALU_DEP_3)
	v_max_f32_e32 v56, v59, v59
	;; [unrolled: 47-line block ×3, first 2 shown]
	v_add_co_u32 v57, vcc_lo, v52, v72
	v_add_co_ci_u32_e32 v58, vcc_lo, v53, v73, vcc_lo
	s_mov_b32 vcc_lo, s2
	global_store_b32 v[57:58], v60, off
	s_cbranch_vccz .LBB73_92
; %bb.90:
	v_add_co_u32 v57, vcc_lo, v52, v78
	v_min_f32_e32 v59, 0, v56
	v_add_co_ci_u32_e32 v58, vcc_lo, v53, v79, vcc_lo
	s_mov_b32 s7, 0
	global_store_b32 v[57:58], v59, off
	s_cbranch_execz .LBB73_93
; %bb.91:
	v_mov_b32_e32 v54, s7
	s_branch .LBB73_94
.LBB73_92:
	s_mov_b32 s7, -1
.LBB73_93:
	v_add_co_u32 v57, vcc_lo, v54, v78
	v_add_co_ci_u32_e32 v58, vcc_lo, v55, v79, vcc_lo
	flat_load_b32 v57, v[57:58]
	s_waitcnt vmcnt(0) lgkmcnt(0)
	v_mul_f32_e32 v59, s3, v57
	v_add_co_u32 v57, vcc_lo, v52, v78
	v_add_co_ci_u32_e32 v58, vcc_lo, v53, v79, vcc_lo
	v_add_co_u32 v54, vcc_lo, v54, v76
	s_delay_alu instid0(VALU_DEP_4)
	v_min_f32_e32 v56, v59, v56
	v_add_co_ci_u32_e32 v55, vcc_lo, v55, v77, vcc_lo
	global_store_b32 v[57:58], v56, off
	flat_load_b32 v54, v[54:55]
	s_waitcnt vmcnt(0) lgkmcnt(0)
	v_mul_f32_e32 v54, s3, v54
.LBB73_94:
	v_dual_add_f32 v55, v33, v45 :: v_dual_add_f32 v56, v32, v44
	v_dual_add_f32 v49, v1, v49 :: v_dual_add_f32 v48, v0, v48
	;; [unrolled: 1-line block ×3, first 2 shown]
	s_delay_alu instid0(VALU_DEP_3) | instskip(SKIP_1) | instid1(VALU_DEP_4)
	v_min3_f32 v55, v56, v55, v119
	v_add_nc_u32_e32 v56, 0x80, v81
	v_min3_f32 v57, v48, v49, v112
	v_dual_add_f32 v58, v35, v47 :: v_dual_add_f32 v59, v34, v46
	v_min_f32_e32 v60, v50, v51
	s_delay_alu instid0(VALU_DEP_4) | instskip(SKIP_1) | instid1(VALU_DEP_3)
	v_mad_i64_i32 v[48:49], null, v56, s8, 0
	v_mad_i64_i32 v[50:51], null, v56, s0, 0
	v_min3_f32 v57, v54, v60, v57
	v_add_co_u32 v54, vcc_lo, v52, v76
	v_min3_f32 v56, v59, v58, v55
	v_lshlrev_b64 v[48:49], 2, v[48:49]
	v_add_co_ci_u32_e32 v55, vcc_lo, v53, v77, vcc_lo
	v_lshlrev_b64 v[50:51], 2, v[50:51]
	s_delay_alu instid0(VALU_DEP_4) | instskip(NEXT) | instid1(VALU_DEP_4)
	v_max_f32_e32 v52, v56, v56
	v_add_co_u32 v48, vcc_lo, s1, v48
	v_add_co_ci_u32_e32 v49, vcc_lo, s6, v49, vcc_lo
	s_delay_alu instid0(VALU_DEP_4)
	v_add_co_u32 v50, vcc_lo, s4, v50
	v_add_co_ci_u32_e32 v51, vcc_lo, s5, v51, vcc_lo
	s_mov_b32 vcc_lo, s2
	global_store_b32 v[54:55], v57, off
	s_cbranch_vccz .LBB73_97
; %bb.95:
	v_add_co_u32 v53, vcc_lo, v48, v66
	v_min_f32_e32 v55, 0, v52
	v_add_co_ci_u32_e32 v54, vcc_lo, v49, v67, vcc_lo
	s_mov_b32 s7, 0
	global_store_b32 v[53:54], v55, off
	s_cbranch_execz .LBB73_98
; %bb.96:
	v_mov_b32_e32 v52, s7
	s_branch .LBB73_99
.LBB73_97:
	s_mov_b32 s7, -1
.LBB73_98:
	v_add_co_u32 v53, vcc_lo, v50, v66
	v_add_co_ci_u32_e32 v54, vcc_lo, v51, v67, vcc_lo
	flat_load_b32 v53, v[53:54]
	s_waitcnt vmcnt(0) lgkmcnt(0)
	v_mul_f32_e32 v55, s3, v53
	v_add_co_u32 v53, vcc_lo, v48, v66
	v_add_co_ci_u32_e32 v54, vcc_lo, v49, v67, vcc_lo
	s_delay_alu instid0(VALU_DEP_3)
	v_min_f32_e32 v52, v55, v52
	v_add_co_u32 v55, vcc_lo, v50, v64
	v_add_co_ci_u32_e32 v56, vcc_lo, v51, v65, vcc_lo
	global_store_b32 v[53:54], v52, off
	flat_load_b32 v52, v[55:56]
	s_waitcnt vmcnt(0) lgkmcnt(0)
	v_mul_f32_e32 v52, s3, v52
.LBB73_99:
	v_dual_add_f32 v53, v29, v45 :: v_dual_add_f32 v54, v28, v44
	v_dual_add_f32 v55, v25, v45 :: v_dual_add_f32 v56, v24, v44
	v_dual_add_f32 v57, v31, v47 :: v_dual_add_f32 v58, v30, v46
	s_delay_alu instid0(VALU_DEP_3) | instskip(NEXT) | instid1(VALU_DEP_3)
	v_min3_f32 v53, v54, v53, v113
	v_min3_f32 v54, v56, v55, v114
	v_dual_add_f32 v55, v27, v47 :: v_dual_add_f32 v56, v26, v46
	s_delay_alu instid0(VALU_DEP_1) | instskip(SKIP_1) | instid1(VALU_DEP_1)
	v_min3_f32 v55, v56, v55, v54
	v_min_f32_e32 v57, v58, v57
	v_min3_f32 v56, v52, v57, v53
	s_delay_alu instid0(VALU_DEP_3)
	v_max_f32_e32 v52, v55, v55
	v_add_co_u32 v53, vcc_lo, v48, v64
	v_add_co_ci_u32_e32 v54, vcc_lo, v49, v65, vcc_lo
	s_mov_b32 vcc_lo, s2
	global_store_b32 v[53:54], v56, off
	s_cbranch_vccz .LBB73_102
; %bb.100:
	v_add_co_u32 v53, vcc_lo, v48, v70
	v_min_f32_e32 v55, 0, v52
	v_add_co_ci_u32_e32 v54, vcc_lo, v49, v71, vcc_lo
	s_mov_b32 s7, 0
	global_store_b32 v[53:54], v55, off
	s_cbranch_execz .LBB73_103
; %bb.101:
	v_mov_b32_e32 v52, s7
	s_branch .LBB73_104
.LBB73_102:
	s_mov_b32 s7, -1
.LBB73_103:
	v_add_co_u32 v53, vcc_lo, v50, v70
	v_add_co_ci_u32_e32 v54, vcc_lo, v51, v71, vcc_lo
	flat_load_b32 v53, v[53:54]
	s_waitcnt vmcnt(0) lgkmcnt(0)
	v_mul_f32_e32 v55, s3, v53
	v_add_co_u32 v53, vcc_lo, v48, v70
	v_add_co_ci_u32_e32 v54, vcc_lo, v49, v71, vcc_lo
	s_delay_alu instid0(VALU_DEP_3)
	v_min_f32_e32 v52, v55, v52
	v_add_co_u32 v55, vcc_lo, v50, v68
	v_add_co_ci_u32_e32 v56, vcc_lo, v51, v69, vcc_lo
	global_store_b32 v[53:54], v52, off
	flat_load_b32 v52, v[55:56]
	s_waitcnt vmcnt(0) lgkmcnt(0)
	v_mul_f32_e32 v52, s3, v52
.LBB73_104:
	v_dual_add_f32 v53, v21, v45 :: v_dual_add_f32 v54, v20, v44
	v_dual_add_f32 v55, v17, v45 :: v_dual_add_f32 v56, v16, v44
	v_dual_add_f32 v57, v23, v47 :: v_dual_add_f32 v58, v22, v46
	s_delay_alu instid0(VALU_DEP_3) | instskip(NEXT) | instid1(VALU_DEP_3)
	v_min3_f32 v53, v54, v53, v110
	v_min3_f32 v54, v56, v55, v111
	v_dual_add_f32 v55, v19, v47 :: v_dual_add_f32 v56, v18, v46
	s_delay_alu instid0(VALU_DEP_1) | instskip(SKIP_1) | instid1(VALU_DEP_1)
	v_min3_f32 v55, v56, v55, v54
	v_min_f32_e32 v57, v58, v57
	v_min3_f32 v56, v52, v57, v53
	s_delay_alu instid0(VALU_DEP_3)
	v_max_f32_e32 v52, v55, v55
	;; [unrolled: 47-line block ×3, first 2 shown]
	v_add_co_u32 v53, vcc_lo, v48, v72
	v_add_co_ci_u32_e32 v54, vcc_lo, v49, v73, vcc_lo
	s_mov_b32 vcc_lo, s2
	global_store_b32 v[53:54], v56, off
	s_cbranch_vccz .LBB73_112
; %bb.110:
	v_add_co_u32 v53, vcc_lo, v48, v78
	v_min_f32_e32 v55, 0, v52
	v_add_co_ci_u32_e32 v54, vcc_lo, v49, v79, vcc_lo
	s_mov_b32 s7, 0
	global_store_b32 v[53:54], v55, off
	s_cbranch_execz .LBB73_113
; %bb.111:
	v_mov_b32_e32 v50, s7
	s_branch .LBB73_114
.LBB73_112:
	s_mov_b32 s7, -1
.LBB73_113:
	v_add_co_u32 v53, vcc_lo, v50, v78
	v_add_co_ci_u32_e32 v54, vcc_lo, v51, v79, vcc_lo
	flat_load_b32 v53, v[53:54]
	s_waitcnt vmcnt(0) lgkmcnt(0)
	v_mul_f32_e32 v55, s3, v53
	v_add_co_u32 v53, vcc_lo, v48, v78
	v_add_co_ci_u32_e32 v54, vcc_lo, v49, v79, vcc_lo
	v_add_co_u32 v50, vcc_lo, v50, v76
	s_delay_alu instid0(VALU_DEP_4)
	v_min_f32_e32 v52, v55, v52
	v_add_co_ci_u32_e32 v51, vcc_lo, v51, v77, vcc_lo
	global_store_b32 v[53:54], v52, off
	flat_load_b32 v50, v[50:51]
	s_waitcnt vmcnt(0) lgkmcnt(0)
	v_mul_f32_e32 v50, s3, v50
.LBB73_114:
	v_dual_add_f32 v51, v33, v41 :: v_dual_add_f32 v52, v32, v40
	v_dual_add_f32 v45, v1, v45 :: v_dual_add_f32 v44, v0, v44
	;; [unrolled: 1-line block ×3, first 2 shown]
	s_delay_alu instid0(VALU_DEP_3) | instskip(SKIP_1) | instid1(VALU_DEP_4)
	v_min3_f32 v51, v52, v51, v107
	v_add_nc_u32_e32 v52, 0xa0, v81
	v_min3_f32 v53, v44, v45, v106
	v_dual_add_f32 v54, v35, v43 :: v_dual_add_f32 v55, v34, v42
	v_min_f32_e32 v56, v46, v47
	s_delay_alu instid0(VALU_DEP_4) | instskip(SKIP_1) | instid1(VALU_DEP_3)
	v_mad_i64_i32 v[44:45], null, v52, s8, 0
	v_mad_i64_i32 v[46:47], null, v52, s0, 0
	v_min3_f32 v53, v50, v56, v53
	v_add_co_u32 v50, vcc_lo, v48, v76
	v_min3_f32 v52, v55, v54, v51
	v_lshlrev_b64 v[44:45], 2, v[44:45]
	v_add_co_ci_u32_e32 v51, vcc_lo, v49, v77, vcc_lo
	v_lshlrev_b64 v[46:47], 2, v[46:47]
	s_delay_alu instid0(VALU_DEP_4) | instskip(NEXT) | instid1(VALU_DEP_4)
	v_max_f32_e32 v48, v52, v52
	v_add_co_u32 v44, vcc_lo, s1, v44
	v_add_co_ci_u32_e32 v45, vcc_lo, s6, v45, vcc_lo
	s_delay_alu instid0(VALU_DEP_4)
	v_add_co_u32 v46, vcc_lo, s4, v46
	v_add_co_ci_u32_e32 v47, vcc_lo, s5, v47, vcc_lo
	s_mov_b32 vcc_lo, s2
	global_store_b32 v[50:51], v53, off
	s_cbranch_vccz .LBB73_117
; %bb.115:
	v_add_co_u32 v49, vcc_lo, v44, v66
	v_min_f32_e32 v51, 0, v48
	v_add_co_ci_u32_e32 v50, vcc_lo, v45, v67, vcc_lo
	s_mov_b32 s7, 0
	global_store_b32 v[49:50], v51, off
	s_cbranch_execz .LBB73_118
; %bb.116:
	v_mov_b32_e32 v48, s7
	s_branch .LBB73_119
.LBB73_117:
	s_mov_b32 s7, -1
.LBB73_118:
	v_add_co_u32 v49, vcc_lo, v46, v66
	v_add_co_ci_u32_e32 v50, vcc_lo, v47, v67, vcc_lo
	flat_load_b32 v49, v[49:50]
	s_waitcnt vmcnt(0) lgkmcnt(0)
	v_mul_f32_e32 v51, s3, v49
	v_add_co_u32 v49, vcc_lo, v44, v66
	v_add_co_ci_u32_e32 v50, vcc_lo, v45, v67, vcc_lo
	s_delay_alu instid0(VALU_DEP_3)
	v_min_f32_e32 v48, v51, v48
	v_add_co_u32 v51, vcc_lo, v46, v64
	v_add_co_ci_u32_e32 v52, vcc_lo, v47, v65, vcc_lo
	global_store_b32 v[49:50], v48, off
	flat_load_b32 v48, v[51:52]
	s_waitcnt vmcnt(0) lgkmcnt(0)
	v_mul_f32_e32 v48, s3, v48
.LBB73_119:
	v_dual_add_f32 v49, v29, v41 :: v_dual_add_f32 v50, v28, v40
	v_dual_add_f32 v51, v25, v41 :: v_dual_add_f32 v52, v24, v40
	v_dual_add_f32 v53, v31, v43 :: v_dual_add_f32 v54, v30, v42
	s_delay_alu instid0(VALU_DEP_3) | instskip(NEXT) | instid1(VALU_DEP_3)
	v_min3_f32 v49, v50, v49, v104
	v_min3_f32 v50, v52, v51, v105
	v_dual_add_f32 v51, v27, v43 :: v_dual_add_f32 v52, v26, v42
	s_delay_alu instid0(VALU_DEP_1) | instskip(SKIP_1) | instid1(VALU_DEP_1)
	v_min3_f32 v51, v52, v51, v50
	v_min_f32_e32 v53, v54, v53
	v_min3_f32 v52, v48, v53, v49
	s_delay_alu instid0(VALU_DEP_3)
	v_max_f32_e32 v48, v51, v51
	v_add_co_u32 v49, vcc_lo, v44, v64
	v_add_co_ci_u32_e32 v50, vcc_lo, v45, v65, vcc_lo
	s_mov_b32 vcc_lo, s2
	global_store_b32 v[49:50], v52, off
	s_cbranch_vccz .LBB73_122
; %bb.120:
	v_add_co_u32 v49, vcc_lo, v44, v70
	v_min_f32_e32 v51, 0, v48
	v_add_co_ci_u32_e32 v50, vcc_lo, v45, v71, vcc_lo
	s_mov_b32 s7, 0
	global_store_b32 v[49:50], v51, off
	s_cbranch_execz .LBB73_123
; %bb.121:
	v_mov_b32_e32 v48, s7
	s_branch .LBB73_124
.LBB73_122:
	s_mov_b32 s7, -1
.LBB73_123:
	v_add_co_u32 v49, vcc_lo, v46, v70
	v_add_co_ci_u32_e32 v50, vcc_lo, v47, v71, vcc_lo
	flat_load_b32 v49, v[49:50]
	s_waitcnt vmcnt(0) lgkmcnt(0)
	v_mul_f32_e32 v51, s3, v49
	v_add_co_u32 v49, vcc_lo, v44, v70
	v_add_co_ci_u32_e32 v50, vcc_lo, v45, v71, vcc_lo
	s_delay_alu instid0(VALU_DEP_3)
	v_min_f32_e32 v48, v51, v48
	v_add_co_u32 v51, vcc_lo, v46, v68
	v_add_co_ci_u32_e32 v52, vcc_lo, v47, v69, vcc_lo
	global_store_b32 v[49:50], v48, off
	flat_load_b32 v48, v[51:52]
	s_waitcnt vmcnt(0) lgkmcnt(0)
	v_mul_f32_e32 v48, s3, v48
.LBB73_124:
	v_dual_add_f32 v49, v21, v41 :: v_dual_add_f32 v50, v20, v40
	v_dual_add_f32 v51, v17, v41 :: v_dual_add_f32 v52, v16, v40
	v_dual_add_f32 v53, v23, v43 :: v_dual_add_f32 v54, v22, v42
	s_delay_alu instid0(VALU_DEP_3) | instskip(NEXT) | instid1(VALU_DEP_3)
	v_min3_f32 v49, v50, v49, v102
	v_min3_f32 v50, v52, v51, v103
	v_dual_add_f32 v51, v19, v43 :: v_dual_add_f32 v52, v18, v42
	s_delay_alu instid0(VALU_DEP_1) | instskip(SKIP_1) | instid1(VALU_DEP_1)
	v_min3_f32 v51, v52, v51, v50
	v_min_f32_e32 v53, v54, v53
	v_min3_f32 v52, v48, v53, v49
	s_delay_alu instid0(VALU_DEP_3)
	v_max_f32_e32 v48, v51, v51
	;; [unrolled: 47-line block ×3, first 2 shown]
	v_add_co_u32 v49, vcc_lo, v44, v72
	v_add_co_ci_u32_e32 v50, vcc_lo, v45, v73, vcc_lo
	s_mov_b32 vcc_lo, s2
	global_store_b32 v[49:50], v52, off
	s_cbranch_vccz .LBB73_132
; %bb.130:
	v_add_co_u32 v49, vcc_lo, v44, v78
	v_min_f32_e32 v51, 0, v48
	v_add_co_ci_u32_e32 v50, vcc_lo, v45, v79, vcc_lo
	s_mov_b32 s7, 0
	global_store_b32 v[49:50], v51, off
	s_cbranch_execz .LBB73_133
; %bb.131:
	v_mov_b32_e32 v46, s7
	s_branch .LBB73_134
.LBB73_132:
	s_mov_b32 s7, -1
.LBB73_133:
	v_add_co_u32 v49, vcc_lo, v46, v78
	v_add_co_ci_u32_e32 v50, vcc_lo, v47, v79, vcc_lo
	flat_load_b32 v49, v[49:50]
	s_waitcnt vmcnt(0) lgkmcnt(0)
	v_mul_f32_e32 v51, s3, v49
	v_add_co_u32 v49, vcc_lo, v44, v78
	v_add_co_ci_u32_e32 v50, vcc_lo, v45, v79, vcc_lo
	v_add_co_u32 v46, vcc_lo, v46, v76
	s_delay_alu instid0(VALU_DEP_4)
	v_min_f32_e32 v48, v51, v48
	v_add_co_ci_u32_e32 v47, vcc_lo, v47, v77, vcc_lo
	global_store_b32 v[49:50], v48, off
	flat_load_b32 v46, v[46:47]
	s_waitcnt vmcnt(0) lgkmcnt(0)
	v_mul_f32_e32 v46, s3, v46
.LBB73_134:
	v_dual_add_f32 v47, v33, v37 :: v_dual_add_f32 v48, v32, v36
	v_dual_add_f32 v41, v1, v41 :: v_dual_add_f32 v40, v0, v40
	;; [unrolled: 1-line block ×3, first 2 shown]
	s_delay_alu instid0(VALU_DEP_3) | instskip(SKIP_1) | instid1(VALU_DEP_4)
	v_min3_f32 v47, v48, v47, v99
	v_add_nc_u32_e32 v48, 0xc0, v81
	v_min3_f32 v49, v40, v41, v98
	v_dual_add_f32 v50, v35, v39 :: v_dual_add_f32 v51, v34, v38
	v_min_f32_e32 v52, v42, v43
	s_delay_alu instid0(VALU_DEP_4) | instskip(SKIP_1) | instid1(VALU_DEP_3)
	v_mad_i64_i32 v[40:41], null, v48, s8, 0
	v_mad_i64_i32 v[42:43], null, v48, s0, 0
	v_min3_f32 v49, v46, v52, v49
	v_add_co_u32 v46, vcc_lo, v44, v76
	v_min3_f32 v48, v51, v50, v47
	v_lshlrev_b64 v[40:41], 2, v[40:41]
	v_add_co_ci_u32_e32 v47, vcc_lo, v45, v77, vcc_lo
	v_lshlrev_b64 v[42:43], 2, v[42:43]
	s_delay_alu instid0(VALU_DEP_4) | instskip(NEXT) | instid1(VALU_DEP_4)
	v_max_f32_e32 v44, v48, v48
	v_add_co_u32 v40, vcc_lo, s1, v40
	v_add_co_ci_u32_e32 v41, vcc_lo, s6, v41, vcc_lo
	s_delay_alu instid0(VALU_DEP_4)
	v_add_co_u32 v42, vcc_lo, s4, v42
	v_add_co_ci_u32_e32 v43, vcc_lo, s5, v43, vcc_lo
	s_mov_b32 vcc_lo, s2
	global_store_b32 v[46:47], v49, off
	s_cbranch_vccz .LBB73_137
; %bb.135:
	v_add_co_u32 v45, vcc_lo, v40, v66
	v_min_f32_e32 v47, 0, v44
	v_add_co_ci_u32_e32 v46, vcc_lo, v41, v67, vcc_lo
	s_mov_b32 s7, 0
	global_store_b32 v[45:46], v47, off
	s_cbranch_execz .LBB73_138
; %bb.136:
	v_mov_b32_e32 v44, s7
	s_branch .LBB73_139
.LBB73_137:
	s_mov_b32 s7, -1
.LBB73_138:
	v_add_co_u32 v45, vcc_lo, v42, v66
	v_add_co_ci_u32_e32 v46, vcc_lo, v43, v67, vcc_lo
	flat_load_b32 v45, v[45:46]
	s_waitcnt vmcnt(0) lgkmcnt(0)
	v_mul_f32_e32 v47, s3, v45
	v_add_co_u32 v45, vcc_lo, v40, v66
	v_add_co_ci_u32_e32 v46, vcc_lo, v41, v67, vcc_lo
	s_delay_alu instid0(VALU_DEP_3)
	v_min_f32_e32 v44, v47, v44
	v_add_co_u32 v47, vcc_lo, v42, v64
	v_add_co_ci_u32_e32 v48, vcc_lo, v43, v65, vcc_lo
	global_store_b32 v[45:46], v44, off
	flat_load_b32 v44, v[47:48]
	s_waitcnt vmcnt(0) lgkmcnt(0)
	v_mul_f32_e32 v44, s3, v44
.LBB73_139:
	v_dual_add_f32 v45, v29, v37 :: v_dual_add_f32 v46, v28, v36
	v_dual_add_f32 v47, v25, v37 :: v_dual_add_f32 v48, v24, v36
	v_dual_add_f32 v49, v31, v39 :: v_dual_add_f32 v50, v30, v38
	s_delay_alu instid0(VALU_DEP_3) | instskip(NEXT) | instid1(VALU_DEP_3)
	v_min3_f32 v45, v46, v45, v96
	v_min3_f32 v46, v48, v47, v97
	v_dual_add_f32 v47, v27, v39 :: v_dual_add_f32 v48, v26, v38
	s_delay_alu instid0(VALU_DEP_1) | instskip(SKIP_1) | instid1(VALU_DEP_1)
	v_min3_f32 v47, v48, v47, v46
	v_min_f32_e32 v49, v50, v49
	v_min3_f32 v48, v44, v49, v45
	s_delay_alu instid0(VALU_DEP_3)
	v_max_f32_e32 v44, v47, v47
	v_add_co_u32 v45, vcc_lo, v40, v64
	v_add_co_ci_u32_e32 v46, vcc_lo, v41, v65, vcc_lo
	s_mov_b32 vcc_lo, s2
	global_store_b32 v[45:46], v48, off
	s_cbranch_vccz .LBB73_142
; %bb.140:
	v_add_co_u32 v45, vcc_lo, v40, v70
	v_min_f32_e32 v47, 0, v44
	v_add_co_ci_u32_e32 v46, vcc_lo, v41, v71, vcc_lo
	s_mov_b32 s7, 0
	global_store_b32 v[45:46], v47, off
	s_cbranch_execz .LBB73_143
; %bb.141:
	v_mov_b32_e32 v44, s7
	s_branch .LBB73_144
.LBB73_142:
	s_mov_b32 s7, -1
.LBB73_143:
	v_add_co_u32 v45, vcc_lo, v42, v70
	v_add_co_ci_u32_e32 v46, vcc_lo, v43, v71, vcc_lo
	flat_load_b32 v45, v[45:46]
	s_waitcnt vmcnt(0) lgkmcnt(0)
	v_mul_f32_e32 v47, s3, v45
	v_add_co_u32 v45, vcc_lo, v40, v70
	v_add_co_ci_u32_e32 v46, vcc_lo, v41, v71, vcc_lo
	s_delay_alu instid0(VALU_DEP_3)
	v_min_f32_e32 v44, v47, v44
	v_add_co_u32 v47, vcc_lo, v42, v68
	v_add_co_ci_u32_e32 v48, vcc_lo, v43, v69, vcc_lo
	global_store_b32 v[45:46], v44, off
	flat_load_b32 v44, v[47:48]
	s_waitcnt vmcnt(0) lgkmcnt(0)
	v_mul_f32_e32 v44, s3, v44
.LBB73_144:
	v_dual_add_f32 v45, v21, v37 :: v_dual_add_f32 v46, v20, v36
	v_dual_add_f32 v47, v17, v37 :: v_dual_add_f32 v48, v16, v36
	v_dual_add_f32 v49, v23, v39 :: v_dual_add_f32 v50, v22, v38
	s_delay_alu instid0(VALU_DEP_3) | instskip(NEXT) | instid1(VALU_DEP_3)
	v_min3_f32 v45, v46, v45, v93
	v_min3_f32 v46, v48, v47, v94
	v_dual_add_f32 v47, v19, v39 :: v_dual_add_f32 v48, v18, v38
	s_delay_alu instid0(VALU_DEP_1) | instskip(SKIP_1) | instid1(VALU_DEP_1)
	v_min3_f32 v47, v48, v47, v46
	v_min_f32_e32 v49, v50, v49
	v_min3_f32 v48, v44, v49, v45
	s_delay_alu instid0(VALU_DEP_3)
	v_max_f32_e32 v44, v47, v47
	;; [unrolled: 47-line block ×3, first 2 shown]
	v_add_co_u32 v45, vcc_lo, v40, v72
	v_add_co_ci_u32_e32 v46, vcc_lo, v41, v73, vcc_lo
	s_mov_b32 vcc_lo, s2
	global_store_b32 v[45:46], v48, off
	s_cbranch_vccz .LBB73_152
; %bb.150:
	v_add_co_u32 v45, vcc_lo, v40, v78
	v_min_f32_e32 v47, 0, v44
	v_add_co_ci_u32_e32 v46, vcc_lo, v41, v79, vcc_lo
	s_mov_b32 s7, 0
	global_store_b32 v[45:46], v47, off
	s_cbranch_execz .LBB73_153
; %bb.151:
	v_mov_b32_e32 v42, s7
	s_branch .LBB73_154
.LBB73_152:
	s_mov_b32 s7, -1
.LBB73_153:
	v_add_co_u32 v45, vcc_lo, v42, v78
	v_add_co_ci_u32_e32 v46, vcc_lo, v43, v79, vcc_lo
	flat_load_b32 v45, v[45:46]
	s_waitcnt vmcnt(0) lgkmcnt(0)
	v_mul_f32_e32 v47, s3, v45
	v_add_co_u32 v45, vcc_lo, v40, v78
	v_add_co_ci_u32_e32 v46, vcc_lo, v41, v79, vcc_lo
	v_add_co_u32 v42, vcc_lo, v42, v76
	s_delay_alu instid0(VALU_DEP_4)
	v_min_f32_e32 v44, v47, v44
	v_add_co_ci_u32_e32 v43, vcc_lo, v43, v77, vcc_lo
	global_store_b32 v[45:46], v44, off
	flat_load_b32 v42, v[42:43]
	s_waitcnt vmcnt(0) lgkmcnt(0)
	v_mul_f32_e32 v42, s3, v42
.LBB73_154:
	v_dual_add_f32 v37, v1, v37 :: v_dual_add_f32 v36, v0, v36
	s_waitcnt lgkmcnt(0)
	v_dual_add_f32 v33, v33, v5 :: v_dual_add_f32 v32, v32, v4
	v_dual_add_f32 v38, v2, v38 :: v_dual_add_nc_u32 v43, 0xe0, v81
	s_delay_alu instid0(VALU_DEP_3) | instskip(SKIP_1) | instid1(VALU_DEP_4)
	v_min3_f32 v36, v36, v37, v89
	v_add_f32_e32 v39, v3, v39
	v_min3_f32 v37, v32, v33, v90
	s_delay_alu instid0(VALU_DEP_4) | instskip(SKIP_3) | instid1(VALU_DEP_4)
	v_mad_i64_i32 v[32:33], null, v43, s8, 0
	v_dual_add_f32 v44, v35, v7 :: v_dual_add_f32 v45, v34, v6
	v_mad_i64_i32 v[34:35], null, v43, s0, 0
	v_min_f32_e32 v38, v38, v39
	v_lshlrev_b64 v[32:33], 2, v[32:33]
	s_delay_alu instid0(VALU_DEP_4)
	v_min3_f32 v39, v45, v44, v37
	v_add_co_u32 v37, vcc_lo, v40, v76
	v_lshlrev_b64 v[34:35], 2, v[34:35]
	v_min3_f32 v42, v42, v38, v36
	v_add_co_ci_u32_e32 v38, vcc_lo, v41, v77, vcc_lo
	v_add_co_u32 v32, vcc_lo, s1, v32
	v_add_co_ci_u32_e32 v33, vcc_lo, s6, v33, vcc_lo
	v_add_co_u32 v34, vcc_lo, s4, v34
	v_add_co_ci_u32_e32 v35, vcc_lo, s5, v35, vcc_lo
	v_max_f32_e32 v36, v39, v39
	s_mov_b32 vcc_lo, s2
	global_store_b32 v[37:38], v42, off
	s_cbranch_vccz .LBB73_157
; %bb.155:
	v_add_co_u32 v37, vcc_lo, v32, v66
	v_min_f32_e32 v39, 0, v36
	v_add_co_ci_u32_e32 v38, vcc_lo, v33, v67, vcc_lo
	s_mov_b32 s0, 0
	global_store_b32 v[37:38], v39, off
	s_cbranch_execz .LBB73_158
; %bb.156:
	v_mov_b32_e32 v36, s0
	s_branch .LBB73_159
.LBB73_157:
	s_mov_b32 s0, -1
.LBB73_158:
	v_add_co_u32 v37, vcc_lo, v34, v66
	v_add_co_ci_u32_e32 v38, vcc_lo, v35, v67, vcc_lo
	flat_load_b32 v37, v[37:38]
	s_waitcnt vmcnt(0) lgkmcnt(0)
	v_mul_f32_e32 v39, s3, v37
	v_add_co_u32 v37, vcc_lo, v32, v66
	v_add_co_ci_u32_e32 v38, vcc_lo, v33, v67, vcc_lo
	s_delay_alu instid0(VALU_DEP_3)
	v_min_f32_e32 v36, v39, v36
	v_add_co_u32 v39, vcc_lo, v34, v64
	v_add_co_ci_u32_e32 v40, vcc_lo, v35, v65, vcc_lo
	global_store_b32 v[37:38], v36, off
	flat_load_b32 v36, v[39:40]
	s_waitcnt vmcnt(0) lgkmcnt(0)
	v_mul_f32_e32 v36, s3, v36
.LBB73_159:
	v_dual_add_f32 v25, v25, v5 :: v_dual_add_f32 v24, v24, v4
	v_dual_add_f32 v29, v29, v5 :: v_dual_add_f32 v28, v28, v4
	v_dual_add_f32 v31, v31, v7 :: v_dual_add_f32 v30, v30, v6
	s_delay_alu instid0(VALU_DEP_3) | instskip(SKIP_1) | instid1(VALU_DEP_4)
	v_min3_f32 v24, v24, v25, v88
	v_dual_add_f32 v25, v27, v7 :: v_dual_add_f32 v26, v26, v6
	v_min3_f32 v28, v28, v29, v87
	s_delay_alu instid0(VALU_DEP_2) | instskip(SKIP_3) | instid1(VALU_DEP_4)
	v_min3_f32 v24, v26, v25, v24
	v_min_f32_e32 v27, v30, v31
	v_add_co_u32 v25, vcc_lo, v32, v64
	v_add_co_ci_u32_e32 v26, vcc_lo, v33, v65, vcc_lo
	v_max_f32_e32 v24, v24, v24
	s_delay_alu instid0(VALU_DEP_4)
	v_min3_f32 v27, v36, v27, v28
	s_mov_b32 vcc_lo, s2
	global_store_b32 v[25:26], v27, off
	s_cbranch_vccz .LBB73_162
; %bb.160:
	v_add_co_u32 v25, vcc_lo, v32, v70
	v_min_f32_e32 v27, 0, v24
	v_add_co_ci_u32_e32 v26, vcc_lo, v33, v71, vcc_lo
	s_mov_b32 s0, 0
	global_store_b32 v[25:26], v27, off
	s_cbranch_execz .LBB73_163
; %bb.161:
	v_mov_b32_e32 v24, s0
	s_branch .LBB73_164
.LBB73_162:
	s_mov_b32 s0, -1
.LBB73_163:
	v_add_co_u32 v25, vcc_lo, v34, v70
	v_add_co_ci_u32_e32 v26, vcc_lo, v35, v71, vcc_lo
	flat_load_b32 v25, v[25:26]
	s_waitcnt vmcnt(0) lgkmcnt(0)
	v_mul_f32_e32 v27, s3, v25
	v_add_co_u32 v25, vcc_lo, v32, v70
	v_add_co_ci_u32_e32 v26, vcc_lo, v33, v71, vcc_lo
	s_delay_alu instid0(VALU_DEP_3)
	v_min_f32_e32 v24, v27, v24
	v_add_co_u32 v27, vcc_lo, v34, v68
	v_add_co_ci_u32_e32 v28, vcc_lo, v35, v69, vcc_lo
	global_store_b32 v[25:26], v24, off
	flat_load_b32 v24, v[27:28]
	s_waitcnt vmcnt(0) lgkmcnt(0)
	v_mul_f32_e32 v24, s3, v24
.LBB73_164:
	v_dual_add_f32 v17, v17, v5 :: v_dual_add_f32 v16, v16, v4
	v_dual_add_f32 v21, v21, v5 :: v_dual_add_f32 v20, v20, v4
	v_dual_add_f32 v23, v23, v7 :: v_dual_add_f32 v22, v22, v6
	s_delay_alu instid0(VALU_DEP_3) | instskip(SKIP_1) | instid1(VALU_DEP_4)
	v_min3_f32 v16, v16, v17, v86
	v_dual_add_f32 v17, v19, v7 :: v_dual_add_f32 v18, v18, v6
	v_min3_f32 v20, v20, v21, v85
	s_delay_alu instid0(VALU_DEP_2) | instskip(SKIP_3) | instid1(VALU_DEP_4)
	v_min3_f32 v16, v18, v17, v16
	v_min_f32_e32 v19, v22, v23
	v_add_co_u32 v17, vcc_lo, v32, v68
	v_add_co_ci_u32_e32 v18, vcc_lo, v33, v69, vcc_lo
	v_max_f32_e32 v16, v16, v16
	s_delay_alu instid0(VALU_DEP_4)
	v_min3_f32 v19, v24, v19, v20
	;; [unrolled: 47-line block ×3, first 2 shown]
	s_mov_b32 vcc_lo, s2
	global_store_b32 v[9:10], v11, off
	s_cbranch_vccz .LBB73_172
; %bb.170:
	v_add_co_u32 v9, vcc_lo, v32, v78
	v_min_f32_e32 v11, 0, v8
	v_add_co_ci_u32_e32 v10, vcc_lo, v33, v79, vcc_lo
	s_mov_b32 s0, 0
	global_store_b32 v[9:10], v11, off
	s_cbranch_execz .LBB73_173
; %bb.171:
	v_mov_b32_e32 v8, s0
	s_branch .LBB73_174
.LBB73_172:
	s_mov_b32 s0, -1
.LBB73_173:
	v_add_co_u32 v9, vcc_lo, v34, v78
	v_add_co_ci_u32_e32 v10, vcc_lo, v35, v79, vcc_lo
	flat_load_b32 v9, v[9:10]
	s_waitcnt vmcnt(0) lgkmcnt(0)
	v_mul_f32_e32 v11, s3, v9
	v_add_co_u32 v9, vcc_lo, v32, v78
	v_add_co_ci_u32_e32 v10, vcc_lo, v33, v79, vcc_lo
	s_delay_alu instid0(VALU_DEP_3)
	v_min_f32_e32 v8, v11, v8
	v_add_co_u32 v11, vcc_lo, v34, v76
	v_add_co_ci_u32_e32 v12, vcc_lo, v35, v77, vcc_lo
	global_store_b32 v[9:10], v8, off
	flat_load_b32 v8, v[11:12]
	s_waitcnt vmcnt(0) lgkmcnt(0)
	v_mul_f32_e32 v8, s3, v8
.LBB73_174:
	v_dual_add_f32 v3, v3, v7 :: v_dual_add_f32 v2, v2, v6
	v_dual_add_f32 v1, v1, v5 :: v_dual_add_f32 v0, v0, v4
	s_delay_alu instid0(VALU_DEP_2) | instskip(NEXT) | instid1(VALU_DEP_2)
	v_min_f32_e32 v2, v2, v3
	v_min3_f32 v0, v0, v1, v95
	s_delay_alu instid0(VALU_DEP_1)
	v_min3_f32 v2, v8, v2, v0
	v_add_co_u32 v0, vcc_lo, v32, v76
	v_add_co_ci_u32_e32 v1, vcc_lo, v33, v77, vcc_lo
	global_store_b32 v[0:1], v2, off
	s_nop 0
	s_sendmsg sendmsg(MSG_DEALLOC_VGPRS)
	s_endpgm
	.section	.rodata,"a",@progbits
	.p2align	6, 0x0
	.amdhsa_kernel _ZN12_GLOBAL__N_120geam_min_plus_kernelIf15HIP_vector_typeIfLj2EEfLi8ELi32ELi64ELi256ELi4ELi4ELi64ELi64ELi4ELc84ELc84ELb1ELb0ELb1EfKffEEviiiT16_PT17_ilS6_ilS4_S6_ilPT18_ili26rocblas_geam_ex_operation_
		.amdhsa_group_segment_fixed_size 10240
		.amdhsa_private_segment_fixed_size 88
		.amdhsa_kernarg_size 128
		.amdhsa_user_sgpr_count 14
		.amdhsa_user_sgpr_dispatch_ptr 0
		.amdhsa_user_sgpr_queue_ptr 0
		.amdhsa_user_sgpr_kernarg_segment_ptr 1
		.amdhsa_user_sgpr_dispatch_id 0
		.amdhsa_user_sgpr_private_segment_size 0
		.amdhsa_wavefront_size32 1
		.amdhsa_uses_dynamic_stack 0
		.amdhsa_enable_private_segment 1
		.amdhsa_system_sgpr_workgroup_id_x 1
		.amdhsa_system_sgpr_workgroup_id_y 0
		.amdhsa_system_sgpr_workgroup_id_z 1
		.amdhsa_system_sgpr_workgroup_info 0
		.amdhsa_system_vgpr_workitem_id 1
		.amdhsa_next_free_vgpr 256
		.amdhsa_next_free_sgpr 23
		.amdhsa_reserve_vcc 1
		.amdhsa_float_round_mode_32 0
		.amdhsa_float_round_mode_16_64 0
		.amdhsa_float_denorm_mode_32 3
		.amdhsa_float_denorm_mode_16_64 3
		.amdhsa_dx10_clamp 1
		.amdhsa_ieee_mode 1
		.amdhsa_fp16_overflow 0
		.amdhsa_workgroup_processor_mode 1
		.amdhsa_memory_ordered 1
		.amdhsa_forward_progress 0
		.amdhsa_shared_vgpr_count 0
		.amdhsa_exception_fp_ieee_invalid_op 0
		.amdhsa_exception_fp_denorm_src 0
		.amdhsa_exception_fp_ieee_div_zero 0
		.amdhsa_exception_fp_ieee_overflow 0
		.amdhsa_exception_fp_ieee_underflow 0
		.amdhsa_exception_fp_ieee_inexact 0
		.amdhsa_exception_int_div_zero 0
	.end_amdhsa_kernel
	.section	.text._ZN12_GLOBAL__N_120geam_min_plus_kernelIf15HIP_vector_typeIfLj2EEfLi8ELi32ELi64ELi256ELi4ELi4ELi64ELi64ELi4ELc84ELc84ELb1ELb0ELb1EfKffEEviiiT16_PT17_ilS6_ilS4_S6_ilPT18_ili26rocblas_geam_ex_operation_,"axG",@progbits,_ZN12_GLOBAL__N_120geam_min_plus_kernelIf15HIP_vector_typeIfLj2EEfLi8ELi32ELi64ELi256ELi4ELi4ELi64ELi64ELi4ELc84ELc84ELb1ELb0ELb1EfKffEEviiiT16_PT17_ilS6_ilS4_S6_ilPT18_ili26rocblas_geam_ex_operation_,comdat
.Lfunc_end73:
	.size	_ZN12_GLOBAL__N_120geam_min_plus_kernelIf15HIP_vector_typeIfLj2EEfLi8ELi32ELi64ELi256ELi4ELi4ELi64ELi64ELi4ELc84ELc84ELb1ELb0ELb1EfKffEEviiiT16_PT17_ilS6_ilS4_S6_ilPT18_ili26rocblas_geam_ex_operation_, .Lfunc_end73-_ZN12_GLOBAL__N_120geam_min_plus_kernelIf15HIP_vector_typeIfLj2EEfLi8ELi32ELi64ELi256ELi4ELi4ELi64ELi64ELi4ELc84ELc84ELb1ELb0ELb1EfKffEEviiiT16_PT17_ilS6_ilS4_S6_ilPT18_ili26rocblas_geam_ex_operation_
                                        ; -- End function
	.section	.AMDGPU.csdata,"",@progbits
; Kernel info:
; codeLenInByte = 17832
; NumSgprs: 25
; NumVgprs: 256
; ScratchSize: 88
; MemoryBound: 0
; FloatMode: 240
; IeeeMode: 1
; LDSByteSize: 10240 bytes/workgroup (compile time only)
; SGPRBlocks: 3
; VGPRBlocks: 31
; NumSGPRsForWavesPerEU: 25
; NumVGPRsForWavesPerEU: 256
; Occupancy: 5
; WaveLimiterHint : 1
; COMPUTE_PGM_RSRC2:SCRATCH_EN: 1
; COMPUTE_PGM_RSRC2:USER_SGPR: 14
; COMPUTE_PGM_RSRC2:TRAP_HANDLER: 0
; COMPUTE_PGM_RSRC2:TGID_X_EN: 1
; COMPUTE_PGM_RSRC2:TGID_Y_EN: 0
; COMPUTE_PGM_RSRC2:TGID_Z_EN: 1
; COMPUTE_PGM_RSRC2:TIDIG_COMP_CNT: 1
	.section	.text._ZN12_GLOBAL__N_120geam_min_plus_kernelIf15HIP_vector_typeIfLj2EEfLi8ELi32ELi64ELi256ELi4ELi4ELi64ELi64ELi4ELc84ELc84ELb0ELb0ELb1EfKffEEviiiT16_PT17_ilS6_ilS4_S6_ilPT18_ili26rocblas_geam_ex_operation_,"axG",@progbits,_ZN12_GLOBAL__N_120geam_min_plus_kernelIf15HIP_vector_typeIfLj2EEfLi8ELi32ELi64ELi256ELi4ELi4ELi64ELi64ELi4ELc84ELc84ELb0ELb0ELb1EfKffEEviiiT16_PT17_ilS6_ilS4_S6_ilPT18_ili26rocblas_geam_ex_operation_,comdat
	.globl	_ZN12_GLOBAL__N_120geam_min_plus_kernelIf15HIP_vector_typeIfLj2EEfLi8ELi32ELi64ELi256ELi4ELi4ELi64ELi64ELi4ELc84ELc84ELb0ELb0ELb1EfKffEEviiiT16_PT17_ilS6_ilS4_S6_ilPT18_ili26rocblas_geam_ex_operation_ ; -- Begin function _ZN12_GLOBAL__N_120geam_min_plus_kernelIf15HIP_vector_typeIfLj2EEfLi8ELi32ELi64ELi256ELi4ELi4ELi64ELi64ELi4ELc84ELc84ELb0ELb0ELb1EfKffEEviiiT16_PT17_ilS6_ilS4_S6_ilPT18_ili26rocblas_geam_ex_operation_
	.p2align	8
	.type	_ZN12_GLOBAL__N_120geam_min_plus_kernelIf15HIP_vector_typeIfLj2EEfLi8ELi32ELi64ELi256ELi4ELi4ELi64ELi64ELi4ELc84ELc84ELb0ELb0ELb1EfKffEEviiiT16_PT17_ilS6_ilS4_S6_ilPT18_ili26rocblas_geam_ex_operation_,@function
_ZN12_GLOBAL__N_120geam_min_plus_kernelIf15HIP_vector_typeIfLj2EEfLi8ELi32ELi64ELi256ELi4ELi4ELi64ELi64ELi4ELc84ELc84ELb0ELb0ELb1EfKffEEviiiT16_PT17_ilS6_ilS4_S6_ilPT18_ili26rocblas_geam_ex_operation_: ; @_ZN12_GLOBAL__N_120geam_min_plus_kernelIf15HIP_vector_typeIfLj2EEfLi8ELi32ELi64ELi256ELi4ELi4ELi64ELi64ELi4ELc84ELc84ELb0ELb0ELb1EfKffEEviiiT16_PT17_ilS6_ilS4_S6_ilPT18_ili26rocblas_geam_ex_operation_
; %bb.0:
	s_clause 0x1
	s_load_b64 s[8:9], s[0:1], 0x8
	s_load_b128 s[4:7], s[0:1], 0x20
	s_waitcnt lgkmcnt(0)
	v_cmp_eq_f32_e64 s2, s9, 0
	s_delay_alu instid0(VALU_DEP_1)
	s_and_b32 vcc_lo, exec_lo, s2
	s_cbranch_vccnz .LBB74_3
; %bb.1:
	s_load_b64 s[10:11], s[0:1], 0x10
	s_mul_i32 s3, s15, s5
	s_mul_hi_u32 s5, s15, s4
	s_mul_i32 s4, s15, s4
	s_add_i32 s5, s5, s3
	s_delay_alu instid0(SALU_CYCLE_1)
	s_lshl_b64 s[4:5], s[4:5], 2
	s_waitcnt lgkmcnt(0)
	s_add_u32 s10, s10, s4
	s_addc_u32 s11, s11, s5
	s_and_not1_b32 vcc_lo, exec_lo, s2
	s_cbranch_vccnz .LBB74_4
.LBB74_2:
	s_mov_b32 s19, 0
	s_mov_b64 s[12:13], 0
	s_cbranch_execz .LBB74_5
	s_branch .LBB74_6
.LBB74_3:
	s_mov_b64 s[10:11], 0
	s_and_not1_b32 vcc_lo, exec_lo, s2
	s_cbranch_vccz .LBB74_2
.LBB74_4:
	s_mov_b32 s19, -1
                                        ; implicit-def: $sgpr12_sgpr13
.LBB74_5:
	s_load_b64 s[2:3], s[0:1], 0x38
	s_mov_b32 s19, 0
	s_waitcnt lgkmcnt(0)
	s_mul_i32 s3, s15, s3
	s_mul_hi_u32 s4, s15, s2
	s_mul_i32 s2, s15, s2
	s_add_i32 s3, s4, s3
	s_delay_alu instid0(SALU_CYCLE_1) | instskip(NEXT) | instid1(SALU_CYCLE_1)
	s_lshl_b64 s[2:3], s[2:3], 2
	s_add_u32 s12, s6, s2
	s_addc_u32 s13, s7, s3
.LBB74_6:
	s_clause 0x1
	s_load_b32 s18, s[0:1], 0x40
	s_load_b128 s[4:7], s[0:1], 0x58
	v_cmp_neq_f32_e64 s16, s9, 0
	s_waitcnt lgkmcnt(0)
	v_cmp_eq_f32_e64 s2, s18, 0
	s_delay_alu instid0(VALU_DEP_1) | instskip(NEXT) | instid1(SALU_CYCLE_1)
	s_and_b32 s2, exec_lo, s2
	s_mov_b32 vcc_lo, s2
	s_cbranch_vccnz .LBB74_8
; %bb.7:
	s_load_b64 s[20:21], s[0:1], 0x48
	s_mul_i32 s3, s15, s5
	s_mul_hi_u32 s5, s15, s4
	s_delay_alu instid0(SALU_CYCLE_1) | instskip(SKIP_3) | instid1(SALU_CYCLE_1)
	s_add_i32 s3, s5, s3
	s_mul_i32 s5, s19, s4
	s_mul_i32 s4, s15, s4
	s_add_i32 s5, s3, s5
	s_lshl_b64 s[4:5], s[4:5], 2
	s_waitcnt lgkmcnt(0)
	s_add_u32 s4, s20, s4
	s_addc_u32 s5, s21, s5
	s_branch .LBB74_9
.LBB74_8:
	s_mov_b64 s[4:5], 0
.LBB74_9:
	s_clause 0x1
	s_load_b32 s3, s[0:1], 0x0
	s_load_b32 s22, s[0:1], 0x18
	v_and_b32_e32 v150, 0x3ff, v0
	v_bfe_u32 v152, v0, 10, 10
	s_delay_alu instid0(VALU_DEP_2) | instskip(NEXT) | instid1(VALU_DEP_2)
	v_and_b32_e32 v2, 3, v150
	v_lshl_add_u32 v0, v152, 3, v150
	s_delay_alu instid0(VALU_DEP_2) | instskip(NEXT) | instid1(VALU_DEP_2)
	v_lshlrev_b32_e32 v12, 2, v2
	v_lshrrev_b32_e32 v14, 2, v0
	s_waitcnt lgkmcnt(0)
	s_add_i32 s3, s3, -1
	s_delay_alu instid0(SALU_CYCLE_1) | instskip(NEXT) | instid1(SALU_CYCLE_1)
	s_ashr_i32 s17, s3, 31
	s_lshr_b32 s17, s17, 26
	s_delay_alu instid0(SALU_CYCLE_1) | instskip(NEXT) | instid1(SALU_CYCLE_1)
	s_add_i32 s3, s3, s17
	s_ashr_i32 s3, s3, 6
	s_delay_alu instid0(SALU_CYCLE_1) | instskip(SKIP_2) | instid1(VALU_DEP_1)
	s_add_i32 s20, s3, 1
	s_not_b32 s3, s3
	v_cvt_f32_u32_e32 v1, s20
	v_rcp_iflag_f32_e32 v1, v1
	s_waitcnt_depctr 0xfff
	v_mul_f32_e32 v1, 0x4f7ffffe, v1
	s_delay_alu instid0(VALU_DEP_1) | instskip(NEXT) | instid1(VALU_DEP_1)
	v_cvt_u32_f32_e32 v1, v1
	v_readfirstlane_b32 s17, v1
	v_cndmask_b32_e64 v1, 0, 1, s16
	s_delay_alu instid0(VALU_DEP_2) | instskip(NEXT) | instid1(SALU_CYCLE_1)
	s_mul_i32 s3, s3, s17
	s_mul_hi_u32 s3, s17, s3
	s_delay_alu instid0(SALU_CYCLE_1) | instskip(NEXT) | instid1(SALU_CYCLE_1)
	s_add_i32 s17, s17, s3
	s_mul_hi_u32 s3, s14, s17
	s_delay_alu instid0(SALU_CYCLE_1) | instskip(SKIP_2) | instid1(SALU_CYCLE_1)
	s_mul_i32 s17, s3, s20
	s_add_i32 s21, s3, 1
	s_sub_i32 s17, s14, s17
	s_sub_i32 s23, s17, s20
	s_cmp_ge_u32 s17, s20
	s_cselect_b32 s3, s21, s3
	s_cselect_b32 s17, s23, s17
	s_add_i32 s21, s3, 1
	s_cmp_ge_u32 s17, s20
	s_cselect_b32 s17, s21, s3
	v_cmp_ne_u32_e64 s3, 1, v1
	s_mul_i32 s23, s17, s20
	s_and_not1_b32 vcc_lo, exec_lo, s16
	s_sub_i32 s20, s14, s23
	s_delay_alu instid0(SALU_CYCLE_1) | instskip(NEXT) | instid1(SALU_CYCLE_1)
	s_lshl_b32 s20, s20, 6
	v_add_nc_u32_e32 v7, s20, v14
	s_cbranch_vccnz .LBB74_11
; %bb.10:
	s_delay_alu instid0(VALU_DEP_1) | instskip(NEXT) | instid1(VALU_DEP_1)
	v_mad_i64_i32 v[1:2], null, v7, s22, 0
	v_lshlrev_b64 v[1:2], 2, v[1:2]
	s_delay_alu instid0(VALU_DEP_1) | instskip(NEXT) | instid1(VALU_DEP_2)
	v_add_co_u32 v1, vcc_lo, s10, v1
	v_add_co_ci_u32_e32 v2, vcc_lo, s11, v2, vcc_lo
	s_delay_alu instid0(VALU_DEP_2) | instskip(NEXT) | instid1(VALU_DEP_2)
	v_add_co_u32 v1, vcc_lo, v1, v12
	v_add_co_ci_u32_e32 v2, vcc_lo, 0, v2, vcc_lo
	flat_load_b32 v1, v[1:2]
	s_waitcnt vmcnt(0) lgkmcnt(0)
	v_mul_f32_e32 v2, s9, v1
	s_branch .LBB74_12
.LBB74_11:
	v_mov_b32_e32 v2, 0
.LBB74_12:
	s_load_b32 s16, s[0:1], 0x30
	v_lshrrev_b32_e32 v13, 6, v0
	v_and_b32_e32 v15, 63, v0
	s_lshl_b32 s21, s17, 8
	s_delay_alu instid0(VALU_DEP_1) | instid1(SALU_CYCLE_1)
	v_or_b32_e32 v0, s21, v15
	s_delay_alu instid0(VALU_DEP_1) | instskip(SKIP_3) | instid1(VALU_DEP_1)
	v_ashrrev_i32_e32 v1, 31, v0
	s_waitcnt lgkmcnt(0)
	v_mad_i64_i32 v[3:4], null, s16, v13, 0
	s_ashr_i32 s17, s16, 31
	v_lshlrev_b64 v[3:4], 2, v[3:4]
	s_delay_alu instid0(VALU_DEP_1) | instskip(NEXT) | instid1(VALU_DEP_2)
	v_add_co_u32 v5, vcc_lo, s12, v3
	v_add_co_ci_u32_e32 v6, vcc_lo, s13, v4, vcc_lo
	s_and_b32 vcc_lo, exec_lo, s3
	s_cbranch_vccnz .LBB74_16
; %bb.13:
	v_lshlrev_b64 v[3:4], 2, v[0:1]
	s_delay_alu instid0(VALU_DEP_1) | instskip(NEXT) | instid1(VALU_DEP_2)
	v_add_co_u32 v3, vcc_lo, v5, v3
	v_add_co_ci_u32_e32 v4, vcc_lo, v6, v4, vcc_lo
	s_clause 0x1
	flat_load_b32 v8, v[3:4]
	flat_load_b32 v4, v[3:4] offset:256
	s_waitcnt vmcnt(1) lgkmcnt(1)
	v_mul_f32_e32 v3, s9, v8
	s_waitcnt vmcnt(0) lgkmcnt(0)
	v_mul_f32_e32 v4, s9, v4
	s_and_b32 vcc_lo, exec_lo, s3
	s_cbranch_vccnz .LBB74_17
.LBB74_14:
	v_lshlrev_b64 v[8:9], 2, v[0:1]
	s_delay_alu instid0(VALU_DEP_1) | instskip(NEXT) | instid1(VALU_DEP_2)
	v_add_co_u32 v5, vcc_lo, v5, v8
	v_add_co_ci_u32_e32 v6, vcc_lo, v6, v9, vcc_lo
	s_clause 0x1
	flat_load_b32 v8, v[5:6] offset:512
	flat_load_b32 v6, v[5:6] offset:768
	s_waitcnt vmcnt(0) lgkmcnt(0)
	v_dual_mul_f32 v5, s9, v8 :: v_dual_mul_f32 v6, s9, v6
	s_and_b32 vcc_lo, exec_lo, s3
	s_cbranch_vccnz .LBB74_18
.LBB74_15:
	v_mad_i64_i32 v[8:9], null, v7, s22, 0
	s_delay_alu instid0(VALU_DEP_1) | instskip(NEXT) | instid1(VALU_DEP_1)
	v_lshlrev_b64 v[7:8], 2, v[8:9]
	v_add_co_u32 v7, vcc_lo, s10, v7
	s_delay_alu instid0(VALU_DEP_2) | instskip(NEXT) | instid1(VALU_DEP_2)
	v_add_co_ci_u32_e32 v8, vcc_lo, s11, v8, vcc_lo
	v_add_co_u32 v7, vcc_lo, v7, v12
	s_delay_alu instid0(VALU_DEP_2)
	v_add_co_ci_u32_e32 v8, vcc_lo, 0, v8, vcc_lo
	flat_load_b32 v7, v[7:8] offset:16
	s_waitcnt vmcnt(0) lgkmcnt(0)
	v_mul_f32_e32 v7, s9, v7
	s_branch .LBB74_19
.LBB74_16:
	v_dual_mov_b32 v3, 0 :: v_dual_mov_b32 v4, 0
	s_and_b32 vcc_lo, exec_lo, s3
	s_cbranch_vccz .LBB74_14
.LBB74_17:
	v_dual_mov_b32 v5, 0 :: v_dual_mov_b32 v6, 0
	s_and_b32 vcc_lo, exec_lo, s3
	s_cbranch_vccz .LBB74_15
.LBB74_18:
	v_mov_b32_e32 v7, 0
.LBB74_19:
	v_add_nc_u32_e32 v9, 4, v13
	scratch_store_b32 off, v7, off          ; 4-byte Folded Spill
	v_mad_i64_i32 v[7:8], null, s16, v9, 0
	s_delay_alu instid0(VALU_DEP_1) | instskip(NEXT) | instid1(VALU_DEP_1)
	v_lshlrev_b64 v[7:8], 2, v[7:8]
	v_add_co_u32 v7, vcc_lo, s12, v7
	s_delay_alu instid0(VALU_DEP_2)
	v_add_co_ci_u32_e32 v8, vcc_lo, s13, v8, vcc_lo
	s_and_b32 vcc_lo, exec_lo, s3
	s_cbranch_vccnz .LBB74_22
; %bb.20:
	v_lshlrev_b64 v[9:10], 2, v[0:1]
	s_delay_alu instid0(VALU_DEP_1) | instskip(NEXT) | instid1(VALU_DEP_2)
	v_add_co_u32 v9, vcc_lo, v7, v9
	v_add_co_ci_u32_e32 v10, vcc_lo, v8, v10, vcc_lo
	s_clause 0x1
	flat_load_b32 v11, v[9:10]
	flat_load_b32 v9, v[9:10] offset:256
	s_waitcnt vmcnt(0) lgkmcnt(0)
	v_dual_mul_f32 v10, s9, v11 :: v_dual_mul_f32 v9, s9, v9
	scratch_store_b32 off, v10, off offset:4 ; 4-byte Folded Spill
	s_and_b32 vcc_lo, exec_lo, s3
	scratch_store_b32 off, v9, off offset:8 ; 4-byte Folded Spill
	s_cbranch_vccnz .LBB74_23
.LBB74_21:
	v_lshlrev_b64 v[0:1], 2, v[0:1]
	s_delay_alu instid0(VALU_DEP_1) | instskip(NEXT) | instid1(VALU_DEP_2)
	v_add_co_u32 v0, vcc_lo, v7, v0
	v_add_co_ci_u32_e32 v1, vcc_lo, v8, v1, vcc_lo
	s_clause 0x1
	flat_load_b32 v7, v[0:1] offset:512
	flat_load_b32 v0, v[0:1] offset:768
	s_waitcnt vmcnt(0) lgkmcnt(0)
	v_dual_mul_f32 v1, s9, v7 :: v_dual_mul_f32 v0, s9, v0
	scratch_store_b32 off, v1, off offset:12 ; 4-byte Folded Spill
	s_branch .LBB74_24
.LBB74_22:
	v_mov_b32_e32 v9, 0
	scratch_store_b32 off, v9, off offset:4 ; 4-byte Folded Spill
	v_mov_b32_e32 v9, 0
	s_and_b32 vcc_lo, exec_lo, s3
	scratch_store_b32 off, v9, off offset:8 ; 4-byte Folded Spill
	s_cbranch_vccz .LBB74_21
.LBB74_23:
	v_mov_b32_e32 v0, 0
	scratch_store_b32 off, v0, off offset:12 ; 4-byte Folded Spill
	v_mov_b32_e32 v0, 0
.LBB74_24:
	v_lshl_or_b32 v1, v14, 4, v12
	scratch_store_b32 off, v0, off offset:16 ; 4-byte Folded Spill
	v_lshlrev_b32_e32 v0, 2, v13
	v_lshlrev_b32_e32 v72, 4, v152
	;; [unrolled: 1-line block ×3, first 2 shown]
	scratch_store_b32 off, v1, off offset:20 ; 4-byte Folded Spill
	s_cmp_lt_i32 s8, 9
	v_lshl_add_u32 v74, v15, 4, v0
	ds_store_b32 v1, v2 offset:8192
	ds_store_2addr_stride64_b32 v74, v3, v4 offset1:4
	ds_store_2addr_stride64_b32 v74, v5, v6 offset0:8 offset1:12
	s_waitcnt lgkmcnt(0)
	s_waitcnt_vscnt null, 0x0
	s_barrier
	buffer_gl0_inv
	ds_load_b128 v[26:29], v72
	ds_load_b128 v[0:3], v200 offset:8192
	s_clause 0x3
	scratch_store_b32 off, v12, off offset:60
	scratch_store_b32 off, v13, off offset:64
	scratch_store_b32 off, v14, off offset:72
	scratch_store_b32 off, v15, off offset:68
	ds_load_b128 v[12:15], v200 offset:8320
	ds_load_b128 v[8:11], v200 offset:8448
	;; [unrolled: 1-line block ×4, first 2 shown]
	s_waitcnt lgkmcnt(3)
	v_add_f32_e32 v135, v15, v29
	v_dual_add_f32 v17, v1, v27 :: v_dual_add_f32 v144, v0, v26
	s_waitcnt lgkmcnt(2)
	v_dual_add_f32 v145, v8, v26 :: v_dual_add_f32 v128, v2, v28
	s_waitcnt lgkmcnt(0)
	v_dual_add_f32 v83, v14, v28 :: v_dual_add_f32 v90, v12, v30
	scratch_store_b32 off, v17, off offset:24 ; 4-byte Folded Spill
	v_add_f32_e32 v17, v13, v27
	v_dual_add_f32 v81, v10, v28 :: v_dual_add_f32 v92, v8, v30
	v_dual_add_f32 v85, v6, v28 :: v_dual_add_f32 v94, v4, v30
	scratch_store_b32 off, v17, off offset:28 ; 4-byte Folded Spill
	v_dual_add_f32 v17, v9, v27 :: v_dual_add_f32 v136, v11, v29
	v_dual_add_f32 v88, v0, v30 :: v_dual_add_f32 v89, v13, v31
	v_add_f32_e32 v104, v2, v32
	scratch_store_b32 off, v17, off offset:32 ; 4-byte Folded Spill
	v_add_f32_e32 v17, v5, v27
	v_dual_add_f32 v91, v9, v31 :: v_dual_add_f32 v106, v14, v32
	v_dual_add_f32 v93, v5, v31 :: v_dual_add_f32 v108, v10, v32
	scratch_store_b32 off, v17, off offset:36 ; 4-byte Folded Spill
	v_add_f32_e32 v17, v4, v26
	v_add_f32_e32 v105, v15, v33
	;; [unrolled: 1-line block ×3, first 2 shown]
	v_dual_add_f32 v109, v7, v33 :: v_dual_add_f32 v110, v6, v32
	scratch_store_b32 off, v17, off offset:40 ; 4-byte Folded Spill
	ds_load_b128 v[34:37], v200 offset:8704
	ds_load_b128 v[38:41], v200 offset:8832
	v_add_f32_e32 v142, v12, v26
	v_add_f32_e32 v130, v7, v29
	s_waitcnt lgkmcnt(1)
	v_dual_add_f32 v143, v35, v27 :: v_dual_add_f32 v140, v34, v26
	s_waitcnt lgkmcnt(0)
	v_add_f32_e32 v17, v39, v27
	v_dual_add_f32 v131, v37, v29 :: v_dual_add_f32 v96, v34, v30
	v_dual_add_f32 v129, v36, v28 :: v_dual_add_f32 v98, v38, v30
	scratch_store_b32 off, v17, off offset:44 ; 4-byte Folded Spill
	v_add_f32_e32 v17, v38, v26
	v_add_f32_e32 v95, v35, v31
	v_dual_add_f32 v97, v39, v31 :: v_dual_add_f32 v112, v36, v32
	v_add_f32_e32 v111, v37, v33
	scratch_store_b32 off, v17, off offset:48 ; 4-byte Folded Spill
	ds_load_b128 v[42:45], v200 offset:8960
	ds_load_b128 v[46:49], v200 offset:9088
	v_add_f32_e32 v147, v3, v29
	v_add_f32_e32 v87, v1, v31
	v_add_f32_e32 v103, v3, v33
	v_add_f32_e32 v113, v41, v33
	v_add_f32_e32 v132, v41, v29
	v_add_f32_e32 v82, v40, v28
	v_add_f32_e32 v114, v40, v32
	s_waitcnt lgkmcnt(0)
	v_dual_add_f32 v84, v44, v28 :: v_dual_add_f32 v17, v47, v27
	v_dual_add_f32 v134, v49, v29 :: v_dual_add_f32 v141, v43, v27
	v_add_f32_e32 v137, v42, v26
	v_dual_add_f32 v133, v45, v29 :: v_dual_add_f32 v100, v42, v30
	scratch_store_b32 off, v17, off offset:52 ; 4-byte Folded Spill
	v_dual_add_f32 v17, v46, v26 :: v_dual_add_f32 v86, v48, v28
	v_add_f32_e32 v99, v43, v31
	v_dual_add_f32 v101, v47, v31 :: v_dual_add_f32 v116, v44, v32
	scratch_store_b32 off, v17, off offset:56 ; 4-byte Folded Spill
	v_dual_add_f32 v102, v46, v30 :: v_dual_add_f32 v115, v45, v33
	v_dual_add_f32 v117, v49, v33 :: v_dual_add_f32 v118, v48, v32
	ds_load_b128 v[26:29], v72 offset:1024
	ds_load_b128 v[30:33], v72 offset:1536
	s_waitcnt lgkmcnt(1)
	v_add_f32_e32 v80, v47, v27
	v_dual_add_f32 v119, v1, v27 :: v_dual_add_f32 v126, v3, v29
	v_dual_add_f32 v120, v0, v26 :: v_dual_add_f32 v121, v13, v27
	v_add_f32_e32 v154, v15, v29
	v_dual_add_f32 v122, v12, v26 :: v_dual_add_f32 v123, v9, v27
	v_add_f32_e32 v156, v11, v29
	;; [unrolled: 2-line block ×4, first 2 shown]
	v_add_f32_e32 v146, v34, v26
	v_dual_add_f32 v78, v39, v27 :: v_dual_add_f32 v149, v38, v26
	v_dual_add_f32 v162, v41, v29 :: v_dual_add_f32 v79, v43, v27
	;; [unrolled: 1-line block ×4, first 2 shown]
	s_waitcnt lgkmcnt(0)
	v_dual_add_f32 v168, v1, v31 :: v_dual_add_f32 v127, v2, v28
	v_dual_add_f32 v170, v13, v31 :: v_dual_add_f32 v155, v14, v28
	v_dual_add_f32 v172, v9, v31 :: v_dual_add_f32 v157, v10, v28
	v_dual_add_f32 v174, v5, v31 :: v_dual_add_f32 v159, v6, v28
	v_dual_add_f32 v176, v35, v31 :: v_dual_add_f32 v161, v36, v28
	v_dual_add_f32 v178, v39, v31 :: v_dual_add_f32 v163, v40, v28
	v_dual_add_f32 v180, v43, v31 :: v_dual_add_f32 v165, v44, v28
	v_dual_add_f32 v182, v47, v31 :: v_dual_add_f32 v167, v48, v28
	v_dual_add_f32 v184, v3, v33 :: v_dual_add_f32 v169, v0, v30
	v_dual_add_f32 v186, v15, v33 :: v_dual_add_f32 v171, v12, v30
	v_dual_add_f32 v188, v11, v33 :: v_dual_add_f32 v173, v8, v30
	v_dual_add_f32 v190, v7, v33 :: v_dual_add_f32 v175, v4, v30
	v_dual_add_f32 v192, v37, v33 :: v_dual_add_f32 v177, v34, v30
	v_dual_add_f32 v194, v41, v33 :: v_dual_add_f32 v179, v38, v30
	v_dual_add_f32 v196, v45, v33 :: v_dual_add_f32 v181, v42, v30
	v_dual_add_f32 v76, v48, v32 :: v_dual_add_f32 v183, v46, v30
	v_add_f32_e32 v185, v2, v32
	v_add_f32_e32 v187, v14, v32
	v_add_f32_e32 v189, v10, v32
	v_add_f32_e32 v191, v6, v32
	v_add_f32_e32 v193, v36, v32
	v_add_f32_e32 v195, v40, v32
	v_add_f32_e32 v197, v44, v32
	v_add_f32_e32 v77, v49, v33
	ds_load_b128 v[26:29], v72 offset:2048
	ds_load_b128 v[30:33], v72 offset:2560
	s_waitcnt lgkmcnt(1)
	v_add_f32_e32 v148, v1, v27
	s_waitcnt lgkmcnt(0)
	v_dual_add_f32 v240, v35, v31 :: v_dual_add_f32 v201, v0, v26
	v_add_f32_e32 v216, v3, v29
	v_dual_add_f32 v202, v13, v27 :: v_dual_add_f32 v203, v12, v26
	v_add_f32_e32 v218, v15, v29
	;; [unrolled: 2-line block ×7, first 2 shown]
	v_dual_add_f32 v214, v47, v27 :: v_dual_add_f32 v215, v46, v26
	v_dual_add_f32 v230, v49, v29 :: v_dual_add_f32 v217, v2, v28
	;; [unrolled: 1-line block ×17, first 2 shown]
	v_add_f32_e32 v52, v48, v32
	v_add_f32_e32 v249, v2, v32
	;; [unrolled: 1-line block ×8, first 2 shown]
	ds_load_b128 v[26:29], v72 offset:3072
	ds_load_b128 v[30:33], v72 offset:3584
	s_waitcnt lgkmcnt(1)
	v_dual_add_f32 v56, v0, v26 :: v_dual_add_f32 v21, v13, v27
	v_dual_add_f32 v64, v3, v29 :: v_dual_add_f32 v51, v12, v26
	;; [unrolled: 1-line block ×3, first 2 shown]
	v_add_f32_e32 v68, v6, v28
	v_add_f32_e32 v58, v4, v26
	;; [unrolled: 1-line block ×4, first 2 shown]
	s_waitcnt lgkmcnt(0)
	v_dual_add_f32 v23, v43, v27 :: v_dual_add_f32 v0, v0, v30
	v_add_f32_e32 v62, v42, v26
	v_add_f32_e32 v26, v46, v26
	v_dual_add_f32 v63, v2, v28 :: v_dual_add_f32 v12, v12, v30
	v_dual_add_f32 v65, v15, v29 :: v_dual_add_f32 v14, v14, v32
	;; [unrolled: 1-line block ×3, first 2 shown]
	v_add_f32_e32 v17, v7, v29
	v_dual_add_f32 v67, v37, v29 :: v_dual_add_f32 v4, v4, v30
	v_dual_add_f32 v69, v36, v28 :: v_dual_add_f32 v34, v34, v30
	;; [unrolled: 1-line block ×7, first 2 shown]
	scratch_load_b32 v46, off, off offset:24 ; 4-byte Folded Reload
	v_add_f32_e32 v54, v1, v27
	v_dual_add_f32 v53, v9, v27 :: v_dual_add_f32 v66, v10, v28
	v_dual_add_f32 v57, v5, v27 :: v_dual_add_f32 v198, v40, v28
	v_add_f32_e32 v60, v35, v27
	v_dual_add_f32 v59, v39, v27 :: v_dual_add_f32 v16, v44, v28
	v_dual_add_f32 v27, v47, v27 :: v_dual_add_f32 v2, v2, v32
	;; [unrolled: 1-line block ×4, first 2 shown]
	v_add_f32_e32 v9, v9, v31
	v_add_f32_e32 v5, v5, v31
	;; [unrolled: 1-line block ×6, first 2 shown]
	v_min3_f32 v0, v0, v1, 0x7f7fffff
	v_dual_add_f32 v11, v11, v33 :: v_dual_add_f32 v10, v10, v32
	v_dual_add_f32 v32, v48, v32 :: v_dual_add_f32 v7, v7, v33
	v_add_f32_e32 v37, v37, v33
	v_add_f32_e32 v41, v41, v33
	;; [unrolled: 1-line block ×3, first 2 shown]
	v_dual_add_f32 v33, v49, v33 :: v_dual_add_f32 v28, v48, v28
	s_waitcnt vmcnt(0)
	v_min3_f32 v46, v144, v46, 0x7f7fffff
	s_delay_alu instid0(VALU_DEP_1) | instskip(SKIP_3) | instid1(VALU_DEP_1)
	v_min3_f32 v147, v128, v147, v46
	scratch_load_b32 v46, off, off offset:28 ; 4-byte Folded Reload
	s_waitcnt vmcnt(0)
	v_min3_f32 v46, v142, v46, 0x7f7fffff
	v_min3_f32 v144, v83, v135, v46
	scratch_load_b32 v46, off, off offset:32 ; 4-byte Folded Reload
	s_waitcnt vmcnt(0)
	v_min3_f32 v46, v145, v46, 0x7f7fffff
	s_delay_alu instid0(VALU_DEP_1)
	v_min3_f32 v145, v81, v136, v46
	s_clause 0x1
	scratch_load_b32 v46, off, off offset:36
	scratch_load_b32 v47, off, off offset:40
	s_waitcnt vmcnt(0)
	v_min3_f32 v46, v47, v46, 0x7f7fffff
	s_delay_alu instid0(VALU_DEP_1) | instskip(SKIP_1) | instid1(VALU_DEP_1)
	v_min3_f32 v142, v85, v130, v46
	v_min3_f32 v46, v140, v143, 0x7f7fffff
	v_min3_f32 v143, v129, v131, v46
	s_clause 0x1
	scratch_load_b32 v46, off, off offset:44
	scratch_load_b32 v47, off, off offset:48
	s_waitcnt vmcnt(0)
	v_min3_f32 v46, v47, v46, 0x7f7fffff
	s_delay_alu instid0(VALU_DEP_1) | instskip(SKIP_1) | instid1(VALU_DEP_1)
	v_min3_f32 v140, v82, v132, v46
	v_min3_f32 v46, v137, v141, 0x7f7fffff
	;; [unrolled: 1-line block ×3, first 2 shown]
	s_clause 0x1
	scratch_load_b32 v46, off, off offset:52
	scratch_load_b32 v47, off, off offset:56
	s_waitcnt vmcnt(0)
	v_min3_f32 v46, v47, v46, 0x7f7fffff
	s_delay_alu instid0(VALU_DEP_1) | instskip(SKIP_3) | instid1(VALU_DEP_3)
	v_min3_f32 v137, v86, v134, v46
	v_min3_f32 v46, v88, v87, 0x7f7fffff
	;; [unrolled: 1-line block ×6, first 2 shown]
	s_delay_alu instid0(VALU_DEP_3) | instskip(SKIP_1) | instid1(VALU_DEP_3)
	v_min3_f32 v86, v14, v15, v0
	v_min3_f32 v0, v8, v9, 0x7f7fffff
	v_min3_f32 v134, v106, v105, v46
	v_min3_f32 v46, v92, v91, 0x7f7fffff
	s_delay_alu instid0(VALU_DEP_3) | instskip(SKIP_1) | instid1(VALU_DEP_3)
	v_min3_f32 v85, v10, v11, v0
	v_min3_f32 v0, v4, v5, 0x7f7fffff
	v_min3_f32 v135, v108, v107, v46
	v_min3_f32 v46, v94, v93, 0x7f7fffff
	;; [unrolled: 5-line block ×6, first 2 shown]
	s_delay_alu instid0(VALU_DEP_1) | instskip(SKIP_1) | instid1(VALU_DEP_1)
	v_min3_f32 v128, v118, v117, v46
	v_min3_f32 v46, v120, v119, 0x7f7fffff
	v_min3_f32 v129, v127, v126, v46
	v_min3_f32 v46, v122, v121, 0x7f7fffff
	s_delay_alu instid0(VALU_DEP_1) | instskip(SKIP_1) | instid1(VALU_DEP_1)
	v_min3_f32 v127, v155, v154, v46
	v_min3_f32 v46, v124, v123, 0x7f7fffff
	v_min3_f32 v126, v157, v156, v46
	v_min3_f32 v46, v138, v125, 0x7f7fffff
	;; [unrolled: 5-line block ×4, first 2 shown]
	v_min3_f32 v80, v32, v33, v0
	s_clause 0x1
	scratch_load_b32 v0, off, off offset:4
	scratch_load_b32 v1, off, off offset:8
	v_min3_f32 v120, v167, v166, v46
	v_min3_f32 v46, v169, v168, 0x7f7fffff
	s_delay_alu instid0(VALU_DEP_1) | instskip(SKIP_1) | instid1(VALU_DEP_1)
	v_min3_f32 v121, v185, v184, v46
	v_min3_f32 v46, v171, v170, 0x7f7fffff
	v_min3_f32 v118, v187, v186, v46
	v_min3_f32 v46, v173, v172, 0x7f7fffff
	s_delay_alu instid0(VALU_DEP_1) | instskip(SKIP_1) | instid1(VALU_DEP_1)
	v_min3_f32 v119, v189, v188, v46
	v_min3_f32 v46, v175, v174, 0x7f7fffff
	;; [unrolled: 5-line block ×16, first 2 shown]
	v_min3_f32 v87, v28, v29, v16
	s_waitcnt vmcnt(0)
	ds_store_2addr_stride64_b32 v74, v0, v1 offset0:16 offset1:20
	s_clause 0x1
	scratch_load_b32 v0, off, off offset:12
	scratch_load_b32 v1, off, off offset:16
	s_waitcnt vmcnt(0)
	ds_store_2addr_stride64_b32 v74, v0, v1 offset0:24 offset1:28
	s_clause 0x1
	scratch_load_b32 v1, off, off offset:20
	scratch_load_b32 v0, off, off
	s_waitcnt vmcnt(0)
	ds_store_b32 v1, v0 offset:9216
	s_waitcnt lgkmcnt(0)
	s_waitcnt_vscnt null, 0x0
	s_barrier
	buffer_gl0_inv
	s_cbranch_scc1 .LBB74_42
; %bb.25:
	s_clause 0x1
	scratch_load_b32 v0, off, off offset:72
	scratch_load_b32 v3, off, off offset:64
	v_dual_mov_b32 v198, v152 :: v_dual_add_nc_u32 v75, 0x2000, v1
	v_add_nc_u32_e32 v77, 0x2400, v1
	v_dual_mov_b32 v199, v150 :: v_dual_add_nc_u32 v76, 0x2000, v200
	v_or_b32_e32 v78, 0x1000, v74
	v_lshl_add_u32 v79, v150, 4, 0x2400
	v_lshl_add_u32 v111, v152, 4, 0x1000
	s_add_i32 s8, s8, -8
	s_waitcnt vmcnt(1)
	v_lshl_add_u32 v0, s14, 6, v0
	s_lshl_b32 s14, s23, 6
	s_waitcnt vmcnt(0)
	v_add_nc_u32_e32 v6, 12, v3
	v_add_nc_u32_e32 v8, 8, v3
	v_subrev_nc_u32_e32 v2, s14, v0
	s_delay_alu instid0(VALU_DEP_3) | instskip(NEXT) | instid1(VALU_DEP_3)
	v_mad_i64_i32 v[4:5], null, v6, s16, 0
	v_mad_i64_i32 v[6:7], null, v8, s16, 0
	s_delay_alu instid0(VALU_DEP_3)
	v_mad_i64_i32 v[0:1], null, s22, v2, 0
	s_clause 0x1
	scratch_load_b32 v2, off, off offset:68
	scratch_load_b32 v8, off, off offset:60
	v_lshlrev_b64 v[64:65], 2, v[4:5]
	v_lshlrev_b64 v[66:67], 2, v[6:7]
	;; [unrolled: 1-line block ×3, first 2 shown]
	s_waitcnt vmcnt(1)
	v_add_nc_u32_e32 v2, s21, v2
	s_waitcnt vmcnt(0)
	s_delay_alu instid0(VALU_DEP_2) | instskip(NEXT) | instid1(VALU_DEP_3)
	v_add_co_u32 v0, vcc_lo, v0, v8
	v_add_co_ci_u32_e32 v1, vcc_lo, 0, v1, vcc_lo
	s_delay_alu instid0(VALU_DEP_3) | instskip(NEXT) | instid1(VALU_DEP_3)
	v_ashrrev_i32_e32 v3, 31, v2
	v_add_co_u32 v0, vcc_lo, v0, s10
	s_delay_alu instid0(VALU_DEP_3) | instskip(NEXT) | instid1(VALU_DEP_3)
	v_add_co_ci_u32_e32 v1, vcc_lo, s11, v1, vcc_lo
	v_lshlrev_b64 v[2:3], 2, v[2:3]
	s_delay_alu instid0(VALU_DEP_3) | instskip(NEXT) | instid1(VALU_DEP_3)
	v_add_co_u32 v68, vcc_lo, v0, 32
	v_add_co_ci_u32_e32 v69, vcc_lo, 0, v1, vcc_lo
	s_lshl_b64 s[10:11], s[16:17], 5
	s_delay_alu instid0(VALU_DEP_3) | instskip(NEXT) | instid1(VALU_DEP_4)
	v_add_co_u32 v138, vcc_lo, s12, v2
	v_add_co_ci_u32_e32 v139, vcc_lo, s13, v3, vcc_lo
	s_mov_b32 s12, 0
	s_branch .LBB74_28
.LBB74_26:                              ;   in Loop: Header=BB74_28 Depth=1
	v_add_co_u32 v0, vcc_lo, v138, v64
	v_add_co_ci_u32_e32 v1, vcc_lo, v139, v65, vcc_lo
	s_clause 0x1
	flat_load_b32 v11, v[0:1] offset:512
	flat_load_b32 v1, v[0:1] offset:768
	s_waitcnt vmcnt(0) lgkmcnt(0)
	v_dual_mul_f32 v0, s9, v11 :: v_dual_mul_f32 v1, s9, v1
.LBB74_27:                              ;   in Loop: Header=BB74_28 Depth=1
	ds_load_b128 v[93:96], v72
	ds_load_b128 v[150:153], v76
	ds_load_b128 v[154:157], v76 offset:128
	ds_load_b128 v[158:161], v76 offset:256
	ds_load_b128 v[162:165], v76 offset:384
	ds_load_b128 v[166:169], v76 offset:512
	ds_load_b128 v[170:173], v76 offset:640
	ds_load_b128 v[174:177], v76 offset:768
	ds_load_b128 v[178:181], v76 offset:896
	ds_load_b128 v[97:100], v72 offset:512
	ds_load_b128 v[101:104], v72 offset:1024
	ds_load_b128 v[105:108], v72 offset:1536
	ds_load_b128 v[182:185], v72 offset:2048
	ds_load_b128 v[186:189], v72 offset:2560
	ds_load_b128 v[190:193], v72 offset:3072
	ds_load_b128 v[194:197], v72 offset:3584
	v_add_co_u32 v68, vcc_lo, v68, 32
	v_add_co_ci_u32_e32 v69, vcc_lo, 0, v69, vcc_lo
	v_add_co_u32 v138, vcc_lo, v138, s10
	s_waitcnt lgkmcnt(14)
	v_dual_add_f32 v11, v151, v94 :: v_dual_add_f32 v14, v150, v93
	s_waitcnt lgkmcnt(13)
	v_dual_add_f32 v15, v155, v94 :: v_dual_add_f32 v18, v154, v93
	;; [unrolled: 2-line block ×3, first 2 shown]
	s_waitcnt lgkmcnt(11)
	v_add_f32_e32 v23, v163, v94
	v_min3_f32 v11, v14, v11, v28
	v_min3_f32 v14, v18, v15, v29
	v_add_f32_e32 v18, v162, v93
	v_min3_f32 v15, v22, v19, v32
	s_waitcnt lgkmcnt(10)
	v_dual_add_f32 v19, v167, v94 :: v_dual_add_f32 v22, v166, v93
	s_waitcnt lgkmcnt(9)
	v_dual_add_f32 v28, v171, v94 :: v_dual_add_f32 v29, v170, v93
	s_waitcnt lgkmcnt(8)
	v_add_f32_e32 v32, v175, v94
	s_waitcnt lgkmcnt(7)
	v_dual_add_f32 v34, v174, v93 :: v_dual_add_f32 v35, v179, v94
	s_waitcnt lgkmcnt(2)
	v_dual_add_f32 v38, v178, v93 :: v_dual_add_f32 v73, v159, v187
	v_min3_f32 v4, v18, v23, v4
	v_min3_f32 v18, v22, v19, v33
	v_min3_f32 v19, v29, v28, v36
	s_delay_alu instid0(VALU_DEP_4)
	v_min3_f32 v23, v38, v35, v40
	v_dual_add_f32 v28, v151, v98 :: v_dual_add_f32 v33, v154, v97
	v_add_f32_e32 v29, v150, v97
	v_min3_f32 v22, v34, v32, v37
	v_dual_add_f32 v32, v155, v98 :: v_dual_add_f32 v35, v158, v97
	v_dual_add_f32 v34, v159, v98 :: v_dual_add_f32 v37, v162, v97
	v_dual_add_f32 v36, v163, v98 :: v_dual_add_f32 v39, v166, v97
	v_add_f32_e32 v38, v167, v98
	v_min3_f32 v5, v29, v28, v5
	v_min3_f32 v28, v33, v32, v41
	v_min3_f32 v29, v35, v34, v44
	v_add_f32_e32 v35, v170, v97
	v_min3_f32 v32, v37, v36, v45
	v_min3_f32 v33, v39, v38, v48
	v_dual_add_f32 v34, v171, v98 :: v_dual_add_f32 v37, v174, v97
	v_dual_add_f32 v36, v175, v98 :: v_dual_add_f32 v39, v178, v97
	v_dual_add_f32 v38, v179, v98 :: v_dual_add_f32 v41, v150, v101
	v_dual_add_f32 v40, v151, v102 :: v_dual_add_f32 v45, v154, v101
	v_add_f32_e32 v44, v155, v102
	v_min3_f32 v8, v35, v34, v8
	v_min3_f32 v34, v37, v36, v49
	v_min3_f32 v35, v39, v38, v52
	v_add_f32_e32 v39, v158, v101
	v_min3_f32 v36, v41, v40, v53
	v_min3_f32 v37, v45, v44, v56
	v_dual_add_f32 v38, v159, v102 :: v_dual_add_f32 v41, v162, v101
	;; [unrolled: 11-line block ×4, first 2 shown]
	v_dual_add_f32 v54, v171, v106 :: v_dual_add_f32 v57, v174, v105
	v_dual_add_f32 v56, v175, v106 :: v_dual_add_f32 v59, v178, v105
	v_add_f32_e32 v58, v179, v106
	v_dual_add_f32 v60, v151, v183 :: v_dual_add_f32 v61, v150, v182
	v_min3_f32 v13, v53, v52, v13
	v_min3_f32 v50, v55, v54, v50
	v_min3_f32 v51, v57, v56, v51
	v_min3_f32 v52, v59, v58, v63
	v_min3_f32 v53, v61, v60, v80
	v_dual_add_f32 v54, v155, v183 :: v_dual_add_f32 v55, v154, v182
	v_dual_add_f32 v56, v159, v183 :: v_dual_add_f32 v57, v158, v182
	;; [unrolled: 1-line block ×5, first 2 shown]
	v_min3_f32 v16, v55, v54, v16
	v_min3_f32 v54, v57, v56, v81
	;; [unrolled: 1-line block ×5, first 2 shown]
	v_dual_add_f32 v58, v175, v183 :: v_dual_add_f32 v59, v174, v182
	v_dual_add_f32 v60, v179, v183 :: v_dual_add_f32 v61, v178, v182
	v_dual_add_f32 v62, v151, v187 :: v_dual_add_f32 v63, v150, v186
	v_dual_add_f32 v70, v155, v187 :: v_dual_add_f32 v71, v154, v186
	v_add_f32_e32 v80, v158, v186
	v_min3_f32 v17, v59, v58, v17
	v_min3_f32 v46, v61, v60, v46
	;; [unrolled: 1-line block ×5, first 2 shown]
	v_add_f32_e32 v73, v175, v187
	v_dual_add_f32 v60, v163, v187 :: v_dual_add_f32 v61, v162, v186
	v_dual_add_f32 v62, v167, v187 :: v_dual_add_f32 v63, v166, v186
	;; [unrolled: 1-line block ×4, first 2 shown]
	v_add_f32_e32 v82, v178, v186
	v_min3_f32 v20, v61, v60, v20
	v_min3_f32 v42, v63, v62, v42
	;; [unrolled: 1-line block ×4, first 2 shown]
	s_waitcnt lgkmcnt(1)
	v_add_f32_e32 v73, v159, v191
	v_min3_f32 v61, v82, v81, v88
	v_dual_add_f32 v62, v151, v191 :: v_dual_add_f32 v63, v150, v190
	v_dual_add_f32 v70, v155, v191 :: v_dual_add_f32 v71, v154, v190
	;; [unrolled: 1-line block ×4, first 2 shown]
	v_add_f32_e32 v84, v166, v190
	v_min3_f32 v21, v63, v62, v21
	v_min3_f32 v62, v71, v70, v89
	;; [unrolled: 1-line block ×3, first 2 shown]
	v_add_f32_e32 v73, v171, v191
	v_min3_f32 v70, v82, v81, v91
	v_min3_f32 v71, v84, v83, v92
	v_dual_add_f32 v80, v170, v190 :: v_dual_add_f32 v81, v175, v191
	v_dual_add_f32 v82, v174, v190 :: v_dual_add_f32 v83, v179, v191
	s_waitcnt lgkmcnt(0)
	v_dual_add_f32 v84, v178, v190 :: v_dual_add_f32 v85, v151, v195
	v_dual_add_f32 v86, v150, v194 :: v_dual_add_f32 v87, v155, v195
	v_add_f32_e32 v88, v154, v194
	v_min3_f32 v24, v80, v73, v24
	v_add_f32_e32 v73, v159, v195
	v_min3_f32 v26, v82, v81, v26
	v_min3_f32 v27, v84, v83, v27
	;; [unrolled: 1-line block ×4, first 2 shown]
	v_dual_add_f32 v80, v158, v194 :: v_dual_add_f32 v81, v163, v195
	v_dual_add_f32 v82, v162, v194 :: v_dual_add_f32 v83, v167, v195
	;; [unrolled: 1-line block ×4, first 2 shown]
	v_add_f32_e32 v88, v174, v194
	v_min3_f32 v25, v80, v73, v25
	v_add_f32_e32 v73, v179, v195
	v_min3_f32 v3, v82, v81, v3
	v_min3_f32 v6, v84, v83, v6
	v_min3_f32 v7, v86, v85, v7
	v_min3_f32 v10, v88, v87, v10
	v_dual_add_f32 v80, v178, v194 :: v_dual_add_f32 v83, v157, v96
	v_dual_add_f32 v81, v153, v96 :: v_dual_add_f32 v82, v152, v95
	;; [unrolled: 1-line block ×4, first 2 shown]
	v_add_f32_e32 v88, v164, v95
	v_min3_f32 v2, v80, v73, v2
	v_min3_f32 v147, v82, v81, v11
	v_add_f32_e32 v81, v181, v96
	v_min3_f32 v144, v84, v83, v14
	v_min3_f32 v142, v88, v87, v4
	v_dual_add_f32 v4, v169, v96 :: v_dual_add_f32 v11, v168, v95
	v_add_f32_e32 v14, v173, v96
	v_add_f32_e32 v73, v177, v96
	v_min3_f32 v145, v86, v85, v15
	v_add_f32_e32 v15, v172, v95
	v_dual_add_f32 v80, v176, v95 :: v_dual_add_f32 v83, v153, v100
	v_add_f32_e32 v82, v180, v95
	v_add_f32_e32 v84, v152, v99
	v_min3_f32 v143, v11, v4, v18
	v_min3_f32 v140, v15, v14, v19
	v_add_f32_e32 v15, v165, v100
	v_min3_f32 v141, v80, v73, v22
	v_min3_f32 v136, v84, v83, v5
	v_dual_add_f32 v4, v157, v100 :: v_dual_add_f32 v5, v156, v99
	v_add_f32_e32 v11, v161, v100
	v_min3_f32 v137, v82, v81, v23
	v_dual_add_f32 v14, v160, v99 :: v_dual_add_f32 v19, v169, v100
	v_dual_add_f32 v18, v164, v99 :: v_dual_add_f32 v23, v173, v100
	v_add_f32_e32 v73, v172, v99
	v_add_f32_e32 v22, v168, v99
	v_min3_f32 v134, v5, v4, v28
	v_min3_f32 v135, v14, v11, v29
	v_add_f32_e32 v4, v177, v100
	v_min3_f32 v130, v73, v23, v8
	v_dual_add_f32 v5, v176, v99 :: v_dual_add_f32 v8, v181, v100
	v_dual_add_f32 v11, v180, v99 :: v_dual_add_f32 v14, v153, v104
	v_min3_f32 v132, v18, v15, v32
	v_dual_add_f32 v15, v152, v103 :: v_dual_add_f32 v18, v157, v104
	v_add_f32_e32 v23, v160, v103
	s_delay_alu instid0(VALU_DEP_4)
	v_min3_f32 v128, v11, v8, v35
	v_add_f32_e32 v11, v173, v104
	v_min3_f32 v133, v22, v19, v33
	v_dual_add_f32 v19, v156, v103 :: v_dual_add_f32 v22, v161, v104
	v_min3_f32 v131, v5, v4, v34
	v_min3_f32 v129, v15, v14, v36
	v_add_f32_e32 v4, v165, v104
	s_delay_alu instid0(VALU_DEP_4)
	v_min3_f32 v127, v19, v18, v37
	v_min3_f32 v126, v23, v22, v9
	v_dual_add_f32 v5, v164, v103 :: v_dual_add_f32 v8, v169, v104
	v_add_f32_e32 v9, v168, v103
	v_dual_add_f32 v14, v172, v103 :: v_dual_add_f32 v15, v177, v104
	v_dual_add_f32 v18, v176, v103 :: v_dual_add_f32 v19, v181, v104
	v_add_f32_e32 v22, v180, v103
	v_min3_f32 v124, v5, v4, v38
	s_delay_alu instid0(VALU_DEP_4)
	v_min3_f32 v122, v14, v11, v40
	v_add_f32_e32 v11, v161, v108
	v_min3_f32 v123, v18, v15, v41
	v_min3_f32 v120, v22, v19, v12
	v_add_f32_e32 v4, v153, v108
	v_min3_f32 v125, v9, v8, v39
	v_dual_add_f32 v5, v152, v107 :: v_dual_add_f32 v8, v157, v108
	v_dual_add_f32 v9, v156, v107 :: v_dual_add_f32 v14, v165, v108
	v_add_f32_e32 v12, v160, v107
	v_dual_add_f32 v15, v164, v107 :: v_dual_add_f32 v18, v169, v108
	v_add_f32_e32 v19, v168, v107
	v_min3_f32 v121, v5, v4, v44
	v_add_f32_e32 v4, v173, v108
	v_min3_f32 v118, v9, v8, v45
	v_min3_f32 v119, v12, v11, v48
	v_min3_f32 v117, v15, v14, v49
	v_min3_f32 v116, v19, v18, v13
	v_dual_add_f32 v5, v172, v107 :: v_dual_add_f32 v8, v177, v108
	v_add_f32_e32 v9, v176, v107
	v_dual_add_f32 v11, v181, v108 :: v_dual_add_f32 v12, v180, v107
	v_dual_add_f32 v13, v153, v185 :: v_dual_add_f32 v14, v152, v184
	v_dual_add_f32 v15, v157, v185 :: v_dual_add_f32 v18, v156, v184
	v_min3_f32 v114, v5, v4, v50
	s_delay_alu instid0(VALU_DEP_4)
	v_min3_f32 v112, v12, v11, v52
	v_add_f32_e32 v11, v169, v185
	v_min3_f32 v113, v14, v13, v53
	v_min3_f32 v109, v18, v15, v16
	v_add_f32_e32 v4, v161, v185
	v_min3_f32 v115, v9, v8, v51
	v_dual_add_f32 v5, v160, v184 :: v_dual_add_f32 v8, v165, v185
	v_add_f32_e32 v9, v164, v184
	v_dual_add_f32 v12, v168, v184 :: v_dual_add_f32 v13, v173, v185
	v_dual_add_f32 v14, v172, v184 :: v_dual_add_f32 v15, v177, v185
	v_add_f32_e32 v16, v176, v184
	v_min3_f32 v110, v5, v4, v54
	s_delay_alu instid0(VALU_DEP_4)
	v_min3_f32 v108, v12, v11, v56
	v_add_f32_e32 v11, v157, v189
	v_min3_f32 v106, v14, v13, v57
	v_min3_f32 v105, v16, v15, v17
	v_add_f32_e32 v4, v181, v185
	v_min3_f32 v107, v9, v8, v55
	v_dual_add_f32 v5, v180, v184 :: v_dual_add_f32 v8, v153, v189
	v_add_f32_e32 v9, v152, v188
	v_dual_add_f32 v12, v156, v188 :: v_dual_add_f32 v13, v161, v189
	v_dual_add_f32 v14, v160, v188 :: v_dual_add_f32 v15, v165, v189
	v_add_f32_e32 v16, v164, v188
	;; [unrolled: 13-line block ×6, first 2 shown]
	v_min3_f32 v83, v5, v4, v3
	v_min3_f32 v84, v9, v8, v6
	;; [unrolled: 1-line block ×5, first 2 shown]
	v_add_co_ci_u32_e32 v139, vcc_lo, s11, v139, vcc_lo
	s_add_i32 s12, s12, 8
	ds_store_b32 v77, v146
	ds_store_2addr_stride64_b32 v78, v148, v149 offset1:4
	ds_store_2addr_stride64_b32 v78, v0, v1 offset0:8 offset1:12
	s_cmp_ge_i32 s12, s8
	s_waitcnt lgkmcnt(0)
	s_barrier
	buffer_gl0_inv
	s_cbranch_scc1 .LBB74_43
.LBB74_28:                              ; =>This Inner Loop Header: Depth=1
	v_mov_b32_e32 v146, 0
	s_and_b32 vcc_lo, exec_lo, s3
	s_cbranch_vccnz .LBB74_30
; %bb.29:                               ;   in Loop: Header=BB74_28 Depth=1
	flat_load_b32 v0, v[68:69]
	s_waitcnt vmcnt(0) lgkmcnt(0)
	v_mul_f32_e32 v146, s9, v0
.LBB74_30:                              ;   in Loop: Header=BB74_28 Depth=1
	s_and_b32 vcc_lo, exec_lo, s3
	s_cbranch_vccnz .LBB74_33
; %bb.31:                               ;   in Loop: Header=BB74_28 Depth=1
	v_add_co_u32 v0, vcc_lo, v138, v66
	v_add_co_ci_u32_e32 v1, vcc_lo, v139, v67, vcc_lo
	s_clause 0x1
	flat_load_b32 v2, v[0:1]
	flat_load_b32 v0, v[0:1] offset:256
	s_waitcnt vmcnt(0) lgkmcnt(0)
	v_dual_mul_f32 v148, s9, v2 :: v_dual_mul_f32 v149, s9, v0
	s_and_b32 vcc_lo, exec_lo, s3
	s_cbranch_vccnz .LBB74_34
.LBB74_32:                              ;   in Loop: Header=BB74_28 Depth=1
	v_add_co_u32 v0, vcc_lo, v138, v66
	v_add_co_ci_u32_e32 v1, vcc_lo, v139, v67, vcc_lo
	s_clause 0x1
	flat_load_b32 v2, v[0:1] offset:512
	flat_load_b32 v0, v[0:1] offset:768
	s_waitcnt vmcnt(0) lgkmcnt(0)
	v_dual_mul_f32 v150, s9, v2 :: v_dual_mul_f32 v151, s9, v0
	s_branch .LBB74_35
.LBB74_33:                              ;   in Loop: Header=BB74_28 Depth=1
	v_dual_mov_b32 v148, 0 :: v_dual_mov_b32 v149, 0
	s_and_b32 vcc_lo, exec_lo, s3
	s_cbranch_vccz .LBB74_32
.LBB74_34:                              ;   in Loop: Header=BB74_28 Depth=1
	v_dual_mov_b32 v150, 0 :: v_dual_mov_b32 v151, 0
.LBB74_35:                              ;   in Loop: Header=BB74_28 Depth=1
	ds_load_b128 v[32:35], v79
	ds_load_b128 v[28:31], v79 offset:128
	ds_load_b128 v[24:27], v79 offset:256
	;; [unrolled: 1-line block ×7, first 2 shown]
	ds_load_b128 v[60:63], v111
	ds_load_b128 v[56:59], v111 offset:512
	ds_load_b128 v[52:55], v111 offset:1024
	;; [unrolled: 1-line block ×7, first 2 shown]
	s_and_b32 vcc_lo, exec_lo, s3
	ds_store_b32 v75, v146
	ds_store_2addr_stride64_b32 v74, v148, v149 offset1:4
	ds_store_2addr_stride64_b32 v74, v150, v151 offset0:8 offset1:12
	s_waitcnt lgkmcnt(0)
	s_barrier
	buffer_gl0_inv
	s_cbranch_vccnz .LBB74_38
; %bb.36:                               ;   in Loop: Header=BB74_28 Depth=1
	flat_load_b32 v70, v[68:69] offset:16
	s_waitcnt vmcnt(0) lgkmcnt(0)
	v_mul_f32_e32 v146, s9, v70
	s_and_b32 vcc_lo, exec_lo, s3
	s_cbranch_vccnz .LBB74_39
.LBB74_37:                              ;   in Loop: Header=BB74_28 Depth=1
	v_add_co_u32 v148, vcc_lo, v138, v64
	v_add_co_ci_u32_e32 v149, vcc_lo, v139, v65, vcc_lo
	s_clause 0x1
	flat_load_b32 v70, v[148:149]
	flat_load_b32 v71, v[148:149] offset:256
	s_waitcnt vmcnt(0) lgkmcnt(0)
	v_dual_mul_f32 v148, s9, v70 :: v_dual_mul_f32 v149, s9, v71
	s_branch .LBB74_40
.LBB74_38:                              ;   in Loop: Header=BB74_28 Depth=1
	v_mov_b32_e32 v146, 0
	s_and_b32 vcc_lo, exec_lo, s3
	s_cbranch_vccz .LBB74_37
.LBB74_39:                              ;   in Loop: Header=BB74_28 Depth=1
	v_dual_mov_b32 v148, 0 :: v_dual_mov_b32 v149, 0
.LBB74_40:                              ;   in Loop: Header=BB74_28 Depth=1
	v_dual_add_f32 v70, v33, v61 :: v_dual_add_f32 v71, v32, v60
	v_dual_add_f32 v73, v29, v61 :: v_dual_add_f32 v150, v28, v60
	;; [unrolled: 1-line block ×3, first 2 shown]
	s_delay_alu instid0(VALU_DEP_3) | instskip(SKIP_1) | instid1(VALU_DEP_4)
	v_min3_f32 v70, v71, v70, v147
	v_add_f32_e32 v147, v13, v61
	v_min3_f32 v71, v150, v73, v144
	v_add_f32_e32 v150, v12, v60
	v_min3_f32 v73, v152, v151, v145
	v_dual_add_f32 v144, v17, v61 :: v_dual_add_f32 v145, v16, v60
	v_dual_add_f32 v151, v9, v61 :: v_dual_add_f32 v152, v8, v60
	;; [unrolled: 1-line block ×4, first 2 shown]
	s_delay_alu instid0(VALU_DEP_4) | instskip(SKIP_2) | instid1(VALU_DEP_4)
	v_min3_f32 v142, v145, v144, v142
	v_min3_f32 v143, v150, v147, v143
	v_dual_add_f32 v144, v29, v57 :: v_dual_add_f32 v145, v28, v56
	v_min3_f32 v60, v60, v61, v137
	v_dual_add_f32 v61, v33, v57 :: v_dual_add_f32 v150, v24, v56
	v_add_f32_e32 v137, v32, v56
	v_add_f32_e32 v147, v25, v57
	v_min3_f32 v140, v152, v151, v140
	v_add_f32_e32 v152, v16, v56
	v_min3_f32 v141, v154, v153, v141
	v_dual_add_f32 v151, v17, v57 :: v_dual_add_f32 v154, v12, v56
	v_add_f32_e32 v153, v13, v57
	v_min3_f32 v61, v137, v61, v136
	v_min3_f32 v135, v150, v147, v135
	v_add_f32_e32 v136, v9, v57
	v_min3_f32 v134, v145, v144, v134
	v_dual_add_f32 v137, v8, v56 :: v_dual_add_f32 v144, v5, v57
	v_add_f32_e32 v145, v4, v56
	v_dual_add_f32 v57, v1, v57 :: v_dual_add_f32 v150, v32, v52
	v_dual_add_f32 v56, v0, v56 :: v_dual_add_f32 v147, v33, v53
	v_min3_f32 v132, v152, v151, v132
	v_dual_add_f32 v152, v28, v52 :: v_dual_add_f32 v151, v29, v53
	v_min3_f32 v130, v137, v136, v130
	s_delay_alu instid0(VALU_DEP_4)
	v_min3_f32 v56, v56, v57, v128
	v_min3_f32 v57, v150, v147, v129
	v_add_f32_e32 v150, v8, v52
	v_dual_add_f32 v128, v25, v53 :: v_dual_add_f32 v129, v24, v52
	v_dual_add_f32 v136, v17, v53 :: v_dual_add_f32 v137, v16, v52
	v_min3_f32 v131, v145, v144, v131
	v_add_f32_e32 v144, v13, v53
	v_min3_f32 v127, v152, v151, v127
	v_add_f32_e32 v145, v12, v52
	v_dual_add_f32 v147, v9, v53 :: v_dual_add_f32 v152, v4, v52
	v_dual_add_f32 v151, v5, v53 :: v_dual_add_f32 v52, v0, v52
	v_min3_f32 v126, v129, v128, v126
	v_min3_f32 v124, v137, v136, v124
	v_add_f32_e32 v53, v1, v53
	v_dual_add_f32 v128, v33, v49 :: v_dual_add_f32 v129, v32, v48
	v_dual_add_f32 v136, v29, v49 :: v_dual_add_f32 v137, v28, v48
	v_min3_f32 v125, v145, v144, v125
	v_add_f32_e32 v144, v25, v49
	v_min3_f32 v122, v150, v147, v122
	v_add_f32_e32 v145, v24, v48
	v_dual_add_f32 v147, v17, v49 :: v_dual_add_f32 v150, v16, v48
	v_min3_f32 v120, v52, v53, v120
	v_min3_f32 v121, v129, v128, v121
	;; [unrolled: 1-line block ×3, first 2 shown]
	v_dual_add_f32 v52, v13, v49 :: v_dual_add_f32 v53, v12, v48
	v_dual_add_f32 v128, v9, v49 :: v_dual_add_f32 v129, v8, v48
	;; [unrolled: 1-line block ×4, first 2 shown]
	v_min3_f32 v119, v145, v144, v119
	v_dual_add_f32 v144, v33, v45 :: v_dual_add_f32 v145, v32, v44
	v_min3_f32 v116, v53, v52, v116
	v_min3_f32 v114, v129, v128, v114
	;; [unrolled: 1-line block ×3, first 2 shown]
	v_dual_add_f32 v48, v29, v45 :: v_dual_add_f32 v49, v28, v44
	v_dual_add_f32 v52, v25, v45 :: v_dual_add_f32 v53, v24, v44
	;; [unrolled: 1-line block ×3, first 2 shown]
	v_min3_f32 v115, v137, v136, v115
	v_add_f32_e32 v136, v13, v45
	v_min3_f32 v113, v145, v144, v113
	v_dual_add_f32 v137, v12, v44 :: v_dual_add_f32 v144, v9, v45
	v_add_f32_e32 v145, v8, v44
	v_min3_f32 v109, v49, v48, v109
	v_add_f32_e32 v48, v5, v45
	v_min3_f32 v110, v53, v52, v110
	v_min3_f32 v107, v129, v128, v107
	v_dual_add_f32 v49, v4, v44 :: v_dual_add_f32 v52, v33, v41
	v_dual_add_f32 v45, v1, v45 :: v_dual_add_f32 v44, v0, v44
	;; [unrolled: 1-line block ×3, first 2 shown]
	v_add_f32_e32 v129, v28, v40
	v_min3_f32 v108, v137, v136, v108
	v_dual_add_f32 v136, v25, v41 :: v_dual_add_f32 v137, v24, v40
	v_min3_f32 v105, v49, v48, v105
	v_min3_f32 v103, v44, v45, v103
	v_add_f32_e32 v44, v17, v41
	v_min3_f32 v104, v53, v52, v104
	v_min3_f32 v101, v129, v128, v101
	v_dual_add_f32 v45, v16, v40 :: v_dual_add_f32 v48, v13, v41
	v_dual_add_f32 v49, v12, v40 :: v_dual_add_f32 v52, v9, v41
	;; [unrolled: 1-line block ×3, first 2 shown]
	v_add_f32_e32 v129, v4, v40
	v_dual_add_f32 v41, v1, v41 :: v_dual_add_f32 v40, v0, v40
	v_min3_f32 v99, v45, v44, v99
	v_dual_add_f32 v44, v29, v37 :: v_dual_add_f32 v45, v28, v36
	v_min3_f32 v100, v49, v48, v100
	v_add_f32_e32 v48, v25, v37
	v_min3_f32 v96, v40, v41, v96
	v_dual_add_f32 v40, v33, v37 :: v_dual_add_f32 v41, v32, v36
	v_min3_f32 v97, v53, v52, v97
	v_min3_f32 v98, v129, v128, v98
	v_dual_add_f32 v49, v24, v36 :: v_dual_add_f32 v52, v17, v37
	v_dual_add_f32 v53, v16, v36 :: v_dual_add_f32 v128, v13, v37
	v_add_f32_e32 v129, v12, v36
	v_min3_f32 v95, v41, v40, v95
	v_add_f32_e32 v40, v9, v37
	v_min3_f32 v93, v45, v44, v93
	v_dual_add_f32 v41, v8, v36 :: v_dual_add_f32 v44, v5, v37
	v_add_f32_e32 v45, v4, v36
	v_dual_add_f32 v25, v25, v21 :: v_dual_add_f32 v16, v16, v20
	v_dual_add_f32 v17, v17, v21 :: v_dual_add_f32 v12, v12, v20
	v_dual_add_f32 v13, v13, v21 :: v_dual_add_f32 v8, v8, v20
	v_dual_add_f32 v9, v9, v21 :: v_dual_add_f32 v4, v4, v20
	v_add_f32_e32 v5, v5, v21
	v_min3_f32 v123, v152, v151, v123
	v_min3_f32 v117, v150, v147, v117
	;; [unrolled: 1-line block ×3, first 2 shown]
	v_dual_add_f32 v37, v1, v37 :: v_dual_add_f32 v32, v32, v20
	v_dual_add_f32 v36, v0, v36 :: v_dual_add_f32 v33, v33, v21
	;; [unrolled: 1-line block ×3, first 2 shown]
	v_add_f32_e32 v24, v24, v20
	v_min3_f32 v145, v16, v17, v83
	v_min3_f32 v147, v12, v13, v84
	;; [unrolled: 1-line block ×3, first 2 shown]
	v_dual_add_f32 v1, v1, v21 :: v_dual_add_f32 v8, v31, v63
	v_add_f32_e32 v0, v0, v20
	v_min3_f32 v151, v4, v5, v82
	v_dual_add_f32 v4, v35, v63 :: v_dual_add_f32 v5, v34, v62
	v_dual_add_f32 v12, v27, v63 :: v_dual_add_f32 v9, v30, v62
	;; [unrolled: 1-line block ×3, first 2 shown]
	v_add_f32_e32 v17, v18, v62
	v_min3_f32 v102, v137, v136, v102
	v_min3_f32 v137, v32, v33, v88
	;; [unrolled: 1-line block ×6, first 2 shown]
	v_add_f32_e32 v1, v15, v63
	v_dual_add_f32 v5, v14, v62 :: v_dual_add_f32 v8, v11, v63
	v_min3_f32 v32, v13, v12, v73
	v_dual_add_f32 v9, v10, v62 :: v_dual_add_f32 v20, v35, v59
	v_add_f32_e32 v12, v7, v63
	v_min3_f32 v4, v17, v16, v142
	v_dual_add_f32 v13, v6, v62 :: v_dual_add_f32 v16, v3, v63
	v_add_f32_e32 v17, v2, v62
	v_add_f32_e32 v21, v34, v58
	v_min3_f32 v133, v154, v153, v133
	v_min3_f32 v92, v129, v128, v92
	;; [unrolled: 1-line block ×8, first 2 shown]
	v_add_f32_e32 v8, v30, v58
	v_min3_f32 v33, v5, v1, v143
	v_min3_f32 v5, v21, v20, v61
	v_dual_add_f32 v1, v31, v59 :: v_dual_add_f32 v12, v26, v58
	v_dual_add_f32 v9, v27, v59 :: v_dual_add_f32 v16, v18, v58
	;; [unrolled: 1-line block ×4, first 2 shown]
	v_add_f32_e32 v21, v11, v59
	v_min3_f32 v94, v49, v48, v94
	v_min3_f32 v129, v45, v44, v90
	;; [unrolled: 1-line block ×6, first 2 shown]
	v_add_f32_e32 v1, v7, v59
	v_dual_add_f32 v9, v6, v58 :: v_dual_add_f32 v12, v3, v59
	v_dual_add_f32 v13, v2, v58 :: v_dual_add_f32 v16, v35, v55
	;; [unrolled: 1-line block ×3, first 2 shown]
	v_add_f32_e32 v58, v26, v54
	v_min3_f32 v8, v24, v21, v130
	v_dual_add_f32 v21, v30, v54 :: v_dual_add_f32 v24, v27, v55
	v_min3_f32 v91, v53, v52, v91
	v_min3_f32 v52, v13, v12, v56
	;; [unrolled: 1-line block ×3, first 2 shown]
	s_delay_alu instid0(VALU_DEP_4)
	v_min3_f32 v56, v21, v20, v127
	v_add_f32_e32 v12, v18, v54
	v_min3_f32 v49, v9, v1, v131
	v_min3_f32 v9, v58, v24, v126
	v_dual_add_f32 v1, v19, v55 :: v_dual_add_f32 v16, v14, v54
	v_dual_add_f32 v13, v15, v55 :: v_dual_add_f32 v20, v10, v54
	;; [unrolled: 1-line block ×5, first 2 shown]
	v_min3_f32 v54, v12, v1, v124
	v_min3_f32 v55, v16, v13, v125
	;; [unrolled: 1-line block ×4, first 2 shown]
	v_dual_add_f32 v1, v35, v51 :: v_dual_add_f32 v70, v14, v50
	v_dual_add_f32 v13, v34, v50 :: v_dual_add_f32 v16, v31, v51
	;; [unrolled: 1-line block ×4, first 2 shown]
	v_add_f32_e32 v63, v15, v51
	v_min3_f32 v12, v60, v59, v120
	v_min3_f32 v59, v13, v1, v121
	;; [unrolled: 1-line block ×3, first 2 shown]
	v_add_f32_e32 v16, v10, v50
	v_min3_f32 v61, v21, v20, v119
	v_min3_f32 v62, v62, v24, v117
	;; [unrolled: 1-line block ×3, first 2 shown]
	v_dual_add_f32 v1, v11, v51 :: v_dual_add_f32 v20, v6, v50
	v_dual_add_f32 v17, v7, v51 :: v_dual_add_f32 v24, v2, v50
	v_add_f32_e32 v21, v3, v51
	v_dual_add_f32 v70, v35, v47 :: v_dual_add_f32 v71, v34, v46
	v_dual_add_f32 v73, v31, v47 :: v_dual_add_f32 v86, v6, v46
	v_add_f32_e32 v81, v30, v46
	v_min3_f32 v50, v16, v1, v114
	v_min3_f32 v51, v20, v17, v115
	;; [unrolled: 1-line block ×3, first 2 shown]
	v_add_f32_e32 v1, v27, v47
	v_dual_add_f32 v17, v26, v46 :: v_dual_add_f32 v20, v19, v47
	v_add_f32_e32 v70, v14, v46
	v_min3_f32 v63, v24, v21, v112
	v_dual_add_f32 v21, v18, v46 :: v_dual_add_f32 v90, v35, v39
	v_min3_f32 v16, v81, v73, v109
	v_add_f32_e32 v24, v15, v47
	v_add_f32_e32 v71, v11, v47
	;; [unrolled: 1-line block ×3, first 2 shown]
	v_min3_f32 v82, v21, v20, v107
	v_add_f32_e32 v20, v2, v46
	v_min3_f32 v81, v17, v1, v110
	v_dual_add_f32 v1, v3, v47 :: v_dual_add_f32 v88, v18, v42
	v_add_f32_e32 v87, v19, v43
	v_add_f32_e32 v85, v7, v47
	v_min3_f32 v83, v70, v24, v108
	v_dual_add_f32 v21, v35, v43 :: v_dual_add_f32 v24, v34, v42
	v_min3_f32 v84, v73, v71, v106
	v_dual_add_f32 v70, v31, v43 :: v_dual_add_f32 v71, v30, v42
	v_min3_f32 v46, v20, v1, v103
	v_min3_f32 v20, v88, v87, v99
	v_dual_add_f32 v88, v3, v43 :: v_dual_add_f32 v89, v2, v42
	v_min3_f32 v17, v86, v85, v105
	v_dual_add_f32 v73, v27, v43 :: v_dual_add_f32 v86, v26, v42
	v_add_f32_e32 v1, v15, v43
	s_delay_alu instid0(VALU_DEP_4)
	v_min3_f32 v88, v89, v88, v96
	v_add_f32_e32 v96, v15, v39
	v_min3_f32 v85, v71, v70, v101
	v_add_f32_e32 v70, v10, v42
	v_min3_f32 v47, v24, v21, v104
	v_dual_add_f32 v24, v11, v43 :: v_dual_add_f32 v21, v14, v42
	v_add_f32_e32 v71, v7, v43
	v_add_f32_e32 v99, v34, v38
	v_add_f32_e32 v34, v34, v22
	s_delay_alu instid0(VALU_DEP_4)
	v_min3_f32 v43, v70, v24, v97
	v_add_f32_e32 v24, v30, v38
	v_min3_f32 v86, v86, v73, v102
	v_dual_add_f32 v73, v6, v42 :: v_dual_add_f32 v70, v27, v39
	v_add_f32_e32 v35, v35, v23
	v_add_f32_e32 v97, v14, v38
	v_add_f32_e32 v15, v15, v23
	s_delay_alu instid0(VALU_DEP_4)
	v_min3_f32 v87, v73, v71, v98
	v_dual_add_f32 v71, v26, v38 :: v_dual_add_f32 v98, v11, v39
	v_min3_f32 v42, v21, v1, v100
	v_add_f32_e32 v1, v31, v39
	v_min3_f32 v21, v99, v90, v95
	v_dual_add_f32 v73, v19, v39 :: v_dual_add_f32 v14, v14, v22
	v_add_f32_e32 v95, v18, v38
	v_min3_f32 v90, v71, v70, v94
	v_add_f32_e32 v70, v6, v38
	v_add_f32_e32 v18, v18, v22
	v_min3_f32 v89, v24, v1, v93
	v_add_f32_e32 v1, v7, v39
	v_add_f32_e32 v99, v10, v38
	v_add_f32_e32 v10, v10, v22
	v_min3_f32 v91, v95, v73, v91
	v_dual_add_f32 v39, v3, v39 :: v_dual_add_f32 v38, v2, v38
	v_add_f32_e32 v31, v31, v23
	v_add_f32_e32 v71, v30, v22
	v_add_f32_e32 v73, v27, v23
	v_add_f32_e32 v93, v26, v22
	v_min3_f32 v26, v70, v1, v129
	v_add_f32_e32 v1, v19, v23
	v_add_f32_e32 v11, v11, v23
	;; [unrolled: 1-line block ×3, first 2 shown]
	v_dual_add_f32 v23, v3, v23 :: v_dual_add_f32 v2, v2, v22
	v_min3_f32 v30, v34, v35, v137
	v_add_f32_e32 v34, v6, v22
	v_min3_f32 v92, v97, v96, v92
	v_min3_f32 v24, v99, v98, v128
	v_min3_f32 v27, v38, v39, v136
	v_min3_f32 v31, v71, v31, v144
	v_min3_f32 v25, v93, v73, v25
	v_min3_f32 v3, v18, v1, v145
	v_min3_f32 v6, v14, v15, v147
	v_min3_f32 v7, v10, v11, v150
	v_min3_f32 v10, v34, v19, v151
	v_min3_f32 v2, v2, v23, v0
	s_and_b32 vcc_lo, exec_lo, s3
	s_cbranch_vccz .LBB74_26
; %bb.41:                               ;   in Loop: Header=BB74_28 Depth=1
	v_dual_mov_b32 v0, 0 :: v_dual_mov_b32 v1, 0
	s_branch .LBB74_27
.LBB74_42:
	v_dual_mov_b32 v198, v152 :: v_dual_mov_b32 v199, v150
.LBB74_43:
	s_clause 0x1
	s_load_b64 s[8:9], s[0:1], 0x70
	s_load_b32 s3, s[0:1], 0x68
	ds_load_b128 v[32:35], v200 offset:9216
	ds_load_b128 v[60:63], v72 offset:4096
	s_load_b32 s0, s[0:1], 0x50
	v_add_nc_u32_e32 v111, s21, v198
	v_add_nc_u32_e32 v76, s20, v199
	s_waitcnt lgkmcnt(0)
	s_mul_i32 s1, s15, s9
	s_mul_hi_u32 s9, s15, s8
	v_dual_add_f32 v7, v32, v60 :: v_dual_add_f32 v6, v33, v61
	v_mad_i64_i32 v[2:3], null, v111, s3, 0
	v_mad_i64_i32 v[4:5], null, v111, s0, 0
	s_mul_i32 s10, s19, s8
	s_add_i32 s1, s9, s1
	s_mul_i32 s8, s15, s8
	s_add_i32 s9, s1, s10
	s_delay_alu instid0(VALU_DEP_2)
	v_lshlrev_b64 v[2:3], 2, v[2:3]
	v_dual_add_f32 v9, v34, v62 :: v_dual_add_nc_u32 v0, 8, v76
	v_add_f32_e32 v8, v35, v63
	v_min3_f32 v6, v7, v6, v147
	s_lshl_b64 s[8:9], s[8:9], 2
	v_lshlrev_b64 v[4:5], 2, v[4:5]
	s_add_u32 s1, s6, s8
	v_ashrrev_i32_e32 v77, 31, v76
	s_addc_u32 s6, s7, s9
	v_min3_f32 v6, v9, v8, v6
	v_add_co_u32 v138, vcc_lo, s1, v2
	v_add_co_ci_u32_e32 v139, vcc_lo, s6, v3, vcc_lo
	v_add_co_u32 v146, vcc_lo, s4, v4
	v_lshlrev_b64 v[66:67], 2, v[76:77]
	v_ashrrev_i32_e32 v1, 31, v0
	v_add_co_ci_u32_e32 v147, vcc_lo, s5, v5, vcc_lo
	v_max_f32_e32 v2, v6, v6
	s_mov_b32 vcc_lo, s2
	s_cbranch_vccz .LBB74_45
; %bb.44:
	v_add_co_u32 v3, vcc_lo, v138, v66
	s_delay_alu instid0(VALU_DEP_2)
	v_min_f32_e32 v5, 0, v2
	v_add_co_ci_u32_e32 v4, vcc_lo, v139, v67, vcc_lo
	s_mov_b32 s7, 0
	global_store_b32 v[3:4], v5, off
	s_branch .LBB74_46
.LBB74_45:
	s_mov_b32 s7, -1
.LBB74_46:
	ds_load_b128 v[28:31], v200 offset:9344
	ds_load_b128 v[24:27], v200 offset:9472
	v_lshlrev_b64 v[64:65], 2, v[0:1]
	s_and_not1_b32 vcc_lo, exec_lo, s7
	s_cbranch_vccnz .LBB74_48
; %bb.47:
	v_add_co_u32 v0, vcc_lo, v146, v66
	v_add_co_ci_u32_e32 v1, vcc_lo, v147, v67, vcc_lo
	flat_load_b32 v0, v[0:1]
	s_waitcnt vmcnt(0) lgkmcnt(0)
	v_mul_f32_e32 v3, s18, v0
	v_add_co_u32 v0, vcc_lo, v138, v66
	v_add_co_ci_u32_e32 v1, vcc_lo, v139, v67, vcc_lo
	s_delay_alu instid0(VALU_DEP_3)
	v_min_f32_e32 v4, v3, v2
	v_add_co_u32 v2, vcc_lo, v146, v64
	v_add_co_ci_u32_e32 v3, vcc_lo, v147, v65, vcc_lo
	global_store_b32 v[0:1], v4, off
	flat_load_b32 v0, v[2:3]
	s_waitcnt vmcnt(0) lgkmcnt(0)
	v_mul_f32_e32 v69, s18, v0
	s_branch .LBB74_49
.LBB74_48:
	v_mov_b32_e32 v69, s7
.LBB74_49:
	ds_load_b128 v[16:19], v200 offset:9728
	ds_load_b128 v[12:15], v200 offset:9856
	;; [unrolled: 1-line block ×10, first 2 shown]
	s_waitcnt lgkmcnt(10)
	v_dual_add_f32 v68, v25, v61 :: v_dual_add_f32 v73, v31, v63
	v_dual_add_f32 v70, v24, v60 :: v_dual_add_f32 v71, v29, v61
	ds_load_b128 v[20:23], v200 offset:9600
	ds_load_b128 v[4:7], v72 offset:7680
	v_dual_add_f32 v72, v28, v60 :: v_dual_add_f32 v75, v27, v63
	v_add_f32_e32 v74, v30, v62
	v_min3_f32 v68, v70, v68, v145
	v_dual_add_f32 v77, v26, v62 :: v_dual_add_nc_u32 v70, 16, v76
	s_delay_alu instid0(VALU_DEP_4) | instskip(NEXT) | instid1(VALU_DEP_4)
	v_min3_f32 v72, v72, v71, v144
	v_min_f32_e32 v73, v74, v73
	s_delay_alu instid0(VALU_DEP_3) | instskip(SKIP_2) | instid1(VALU_DEP_4)
	v_min3_f32 v75, v77, v75, v68
	v_add_nc_u32_e32 v68, 24, v76
	v_ashrrev_i32_e32 v71, 31, v70
	v_min3_f32 v77, v69, v73, v72
	v_add_co_u32 v73, vcc_lo, v138, v64
	v_add_co_ci_u32_e32 v74, vcc_lo, v139, v65, vcc_lo
	s_delay_alu instid0(VALU_DEP_4)
	v_lshlrev_b64 v[70:71], 2, v[70:71]
	v_ashrrev_i32_e32 v69, 31, v68
	v_max_f32_e32 v72, v75, v75
	s_mov_b32 vcc_lo, s2
	global_store_b32 v[73:74], v77, off
	s_cbranch_vccz .LBB74_52
; %bb.50:
	v_add_co_u32 v73, vcc_lo, v138, v70
	v_min_f32_e32 v75, 0, v72
	v_add_co_ci_u32_e32 v74, vcc_lo, v139, v71, vcc_lo
	s_mov_b32 s7, 0
	global_store_b32 v[73:74], v75, off
	v_lshlrev_b64 v[68:69], 2, v[68:69]
	s_cbranch_execz .LBB74_53
; %bb.51:
	v_mov_b32_e32 v73, s7
	s_branch .LBB74_54
.LBB74_52:
	s_mov_b32 s7, -1
	v_lshlrev_b64 v[68:69], 2, v[68:69]
.LBB74_53:
	v_add_co_u32 v73, vcc_lo, v146, v70
	v_add_co_ci_u32_e32 v74, vcc_lo, v147, v71, vcc_lo
	flat_load_b32 v73, v[73:74]
	s_waitcnt vmcnt(0) lgkmcnt(0)
	v_mul_f32_e32 v75, s18, v73
	v_add_co_u32 v73, vcc_lo, v138, v70
	v_add_co_ci_u32_e32 v74, vcc_lo, v139, v71, vcc_lo
	v_add_co_u32 v77, vcc_lo, v146, v68
	s_delay_alu instid0(VALU_DEP_4)
	v_min_f32_e32 v72, v75, v72
	v_add_co_ci_u32_e32 v78, vcc_lo, v147, v69, vcc_lo
	global_store_b32 v[73:74], v72, off
	flat_load_b32 v72, v[77:78]
	s_waitcnt vmcnt(0) lgkmcnt(0)
	v_mul_f32_e32 v73, s18, v72
.LBB74_54:
	s_waitcnt lgkmcnt(1)
	v_dual_add_f32 v72, v17, v61 :: v_dual_add_f32 v77, v20, v60
	v_dual_add_f32 v74, v16, v60 :: v_dual_add_f32 v75, v21, v61
	;; [unrolled: 1-line block ×3, first 2 shown]
	v_add_f32_e32 v144, v18, v62
	s_delay_alu instid0(VALU_DEP_3) | instskip(SKIP_3) | instid1(VALU_DEP_3)
	v_min3_f32 v72, v74, v72, v143
	v_add_f32_e32 v143, v19, v63
	v_min3_f32 v77, v77, v75, v142
	v_min_f32_e32 v78, v79, v78
	v_min3_f32 v142, v144, v143, v72
	v_add_nc_u32_e32 v74, 32, v76
	s_delay_alu instid0(VALU_DEP_3)
	v_min3_f32 v143, v73, v78, v77
	v_add_nc_u32_e32 v72, 40, v76
	v_add_co_u32 v78, vcc_lo, v138, v68
	v_max_f32_e32 v77, v142, v142
	v_ashrrev_i32_e32 v75, 31, v74
	v_add_co_ci_u32_e32 v79, vcc_lo, v139, v69, vcc_lo
	v_ashrrev_i32_e32 v73, 31, v72
	s_mov_b32 vcc_lo, s2
	s_delay_alu instid0(VALU_DEP_3)
	v_lshlrev_b64 v[74:75], 2, v[74:75]
	global_store_b32 v[78:79], v143, off
	s_cbranch_vccz .LBB74_57
; %bb.55:
	v_add_co_u32 v78, vcc_lo, v138, v74
	v_min_f32_e32 v142, 0, v77
	v_add_co_ci_u32_e32 v79, vcc_lo, v139, v75, vcc_lo
	s_mov_b32 s7, 0
	global_store_b32 v[78:79], v142, off
	v_lshlrev_b64 v[72:73], 2, v[72:73]
	s_cbranch_execz .LBB74_58
; %bb.56:
	v_mov_b32_e32 v77, s7
	s_branch .LBB74_59
.LBB74_57:
	s_mov_b32 s7, -1
	v_lshlrev_b64 v[72:73], 2, v[72:73]
.LBB74_58:
	v_add_co_u32 v78, vcc_lo, v146, v74
	v_add_co_ci_u32_e32 v79, vcc_lo, v147, v75, vcc_lo
	flat_load_b32 v78, v[78:79]
	s_waitcnt vmcnt(0) lgkmcnt(0)
	v_mul_f32_e32 v142, s18, v78
	v_add_co_u32 v78, vcc_lo, v138, v74
	v_add_co_ci_u32_e32 v79, vcc_lo, v139, v75, vcc_lo
	s_delay_alu instid0(VALU_DEP_3)
	v_min_f32_e32 v77, v142, v77
	v_add_co_u32 v142, vcc_lo, v146, v72
	v_add_co_ci_u32_e32 v143, vcc_lo, v147, v73, vcc_lo
	global_store_b32 v[78:79], v77, off
	flat_load_b32 v77, v[142:143]
	s_waitcnt vmcnt(0) lgkmcnt(0)
	v_mul_f32_e32 v77, s18, v77
.LBB74_59:
	v_dual_add_f32 v78, v9, v61 :: v_dual_add_f32 v79, v8, v60
	v_dual_add_f32 v142, v13, v61 :: v_dual_add_f32 v143, v12, v60
	v_add_f32_e32 v144, v15, v63
	v_dual_add_f32 v145, v11, v63 :: v_dual_add_f32 v148, v10, v62
	s_delay_alu instid0(VALU_DEP_4) | instskip(SKIP_3) | instid1(VALU_DEP_4)
	v_min3_f32 v79, v79, v78, v141
	v_dual_add_f32 v141, v14, v62 :: v_dual_add_nc_u32 v78, 48, v76
	v_min3_f32 v140, v143, v142, v140
	v_add_nc_u32_e32 v76, 56, v76
	v_min3_f32 v143, v148, v145, v79
	s_delay_alu instid0(VALU_DEP_4) | instskip(SKIP_1) | instid1(VALU_DEP_2)
	v_min_f32_e32 v141, v141, v144
	v_ashrrev_i32_e32 v79, 31, v78
	v_min3_f32 v144, v77, v141, v140
	s_delay_alu instid0(VALU_DEP_4) | instskip(SKIP_1) | instid1(VALU_DEP_4)
	v_max_f32_e32 v140, v143, v143
	v_add_co_u32 v141, vcc_lo, v138, v72
	v_lshlrev_b64 v[78:79], 2, v[78:79]
	v_add_co_ci_u32_e32 v142, vcc_lo, v139, v73, vcc_lo
	v_ashrrev_i32_e32 v77, 31, v76
	s_mov_b32 vcc_lo, s2
	global_store_b32 v[141:142], v144, off
	s_cbranch_vccz .LBB74_62
; %bb.60:
	v_add_co_u32 v141, vcc_lo, v138, v78
	v_min_f32_e32 v143, 0, v140
	v_add_co_ci_u32_e32 v142, vcc_lo, v139, v79, vcc_lo
	s_mov_b32 s7, 0
	global_store_b32 v[141:142], v143, off
	v_lshlrev_b64 v[76:77], 2, v[76:77]
	s_cbranch_execz .LBB74_63
; %bb.61:
	v_mov_b32_e32 v140, s7
	s_branch .LBB74_64
.LBB74_62:
	s_mov_b32 s7, -1
	v_lshlrev_b64 v[76:77], 2, v[76:77]
.LBB74_63:
	v_add_co_u32 v141, vcc_lo, v146, v78
	v_add_co_ci_u32_e32 v142, vcc_lo, v147, v79, vcc_lo
	flat_load_b32 v141, v[141:142]
	s_waitcnt vmcnt(0) lgkmcnt(0)
	v_mul_f32_e32 v143, s18, v141
	v_add_co_u32 v141, vcc_lo, v138, v78
	v_add_co_ci_u32_e32 v142, vcc_lo, v139, v79, vcc_lo
	s_delay_alu instid0(VALU_DEP_3)
	v_min_f32_e32 v140, v143, v140
	v_add_co_u32 v143, vcc_lo, v146, v76
	v_add_co_ci_u32_e32 v144, vcc_lo, v147, v77, vcc_lo
	global_store_b32 v[141:142], v140, off
	flat_load_b32 v140, v[143:144]
	s_waitcnt vmcnt(0) lgkmcnt(0)
	v_mul_f32_e32 v140, s18, v140
.LBB74_64:
	v_dual_add_f32 v141, v33, v57 :: v_dual_add_f32 v142, v32, v56
	v_dual_add_f32 v61, v1, v61 :: v_dual_add_f32 v60, v0, v60
	v_add_f32_e32 v143, v34, v58
	v_add_f32_e32 v62, v2, v62
	s_delay_alu instid0(VALU_DEP_4) | instskip(SKIP_3) | instid1(VALU_DEP_3)
	v_min3_f32 v136, v142, v141, v136
	v_add_f32_e32 v142, v35, v59
	v_add_nc_u32_e32 v141, 32, v111
	v_min3_f32 v137, v60, v61, v137
	v_min3_f32 v136, v143, v142, v136
	v_add_f32_e32 v63, v3, v63
	s_delay_alu instid0(VALU_DEP_4) | instskip(NEXT) | instid1(VALU_DEP_3)
	v_mad_i64_i32 v[60:61], null, v141, s3, 0
	v_max_f32_e32 v136, v136, v136
	s_delay_alu instid0(VALU_DEP_3) | instskip(SKIP_1) | instid1(VALU_DEP_4)
	v_min_f32_e32 v144, v62, v63
	v_mad_i64_i32 v[62:63], null, v141, s0, 0
	v_lshlrev_b64 v[60:61], 2, v[60:61]
	s_delay_alu instid0(VALU_DEP_3)
	v_min3_f32 v140, v140, v144, v137
	v_add_co_u32 v137, vcc_lo, v138, v76
	v_add_co_ci_u32_e32 v138, vcc_lo, v139, v77, vcc_lo
	v_lshlrev_b64 v[62:63], 2, v[62:63]
	v_add_co_u32 v60, vcc_lo, s1, v60
	v_add_co_ci_u32_e32 v61, vcc_lo, s6, v61, vcc_lo
	global_store_b32 v[137:138], v140, off
	v_add_co_u32 v62, vcc_lo, s4, v62
	v_add_co_ci_u32_e32 v63, vcc_lo, s5, v63, vcc_lo
	s_mov_b32 vcc_lo, s2
	s_cbranch_vccz .LBB74_67
; %bb.65:
	v_add_co_u32 v137, vcc_lo, v60, v66
	v_min_f32_e32 v139, 0, v136
	v_add_co_ci_u32_e32 v138, vcc_lo, v61, v67, vcc_lo
	s_mov_b32 s7, 0
	global_store_b32 v[137:138], v139, off
	s_cbranch_execz .LBB74_68
; %bb.66:
	v_mov_b32_e32 v136, s7
	s_branch .LBB74_69
.LBB74_67:
	s_mov_b32 s7, -1
.LBB74_68:
	v_add_co_u32 v137, vcc_lo, v62, v66
	v_add_co_ci_u32_e32 v138, vcc_lo, v63, v67, vcc_lo
	flat_load_b32 v137, v[137:138]
	s_waitcnt vmcnt(0) lgkmcnt(0)
	v_mul_f32_e32 v139, s18, v137
	v_add_co_u32 v137, vcc_lo, v60, v66
	v_add_co_ci_u32_e32 v138, vcc_lo, v61, v67, vcc_lo
	s_delay_alu instid0(VALU_DEP_3)
	v_min_f32_e32 v136, v139, v136
	v_add_co_u32 v139, vcc_lo, v62, v64
	v_add_co_ci_u32_e32 v140, vcc_lo, v63, v65, vcc_lo
	global_store_b32 v[137:138], v136, off
	flat_load_b32 v136, v[139:140]
	s_waitcnt vmcnt(0) lgkmcnt(0)
	v_mul_f32_e32 v136, s18, v136
.LBB74_69:
	v_dual_add_f32 v137, v29, v57 :: v_dual_add_f32 v138, v28, v56
	v_dual_add_f32 v139, v25, v57 :: v_dual_add_f32 v140, v24, v56
	v_dual_add_f32 v141, v31, v59 :: v_dual_add_f32 v142, v30, v58
	s_delay_alu instid0(VALU_DEP_3) | instskip(SKIP_1) | instid1(VALU_DEP_4)
	v_min3_f32 v134, v138, v137, v134
	v_dual_add_f32 v137, v27, v59 :: v_dual_add_f32 v138, v26, v58
	v_min3_f32 v135, v140, v139, v135
	s_delay_alu instid0(VALU_DEP_4) | instskip(NEXT) | instid1(VALU_DEP_2)
	v_min_f32_e32 v139, v142, v141
	v_min3_f32 v137, v138, v137, v135
	v_add_co_u32 v135, vcc_lo, v60, v64
	s_delay_alu instid0(VALU_DEP_3) | instskip(SKIP_1) | instid1(VALU_DEP_4)
	v_min3_f32 v138, v136, v139, v134
	v_add_co_ci_u32_e32 v136, vcc_lo, v61, v65, vcc_lo
	v_max_f32_e32 v134, v137, v137
	s_mov_b32 vcc_lo, s2
	global_store_b32 v[135:136], v138, off
	s_cbranch_vccz .LBB74_72
; %bb.70:
	v_add_co_u32 v135, vcc_lo, v60, v70
	v_min_f32_e32 v137, 0, v134
	v_add_co_ci_u32_e32 v136, vcc_lo, v61, v71, vcc_lo
	s_mov_b32 s7, 0
	global_store_b32 v[135:136], v137, off
	s_cbranch_execz .LBB74_73
; %bb.71:
	v_mov_b32_e32 v134, s7
	s_branch .LBB74_74
.LBB74_72:
	s_mov_b32 s7, -1
.LBB74_73:
	v_add_co_u32 v135, vcc_lo, v62, v70
	v_add_co_ci_u32_e32 v136, vcc_lo, v63, v71, vcc_lo
	flat_load_b32 v135, v[135:136]
	s_waitcnt vmcnt(0) lgkmcnt(0)
	v_mul_f32_e32 v137, s18, v135
	v_add_co_u32 v135, vcc_lo, v60, v70
	v_add_co_ci_u32_e32 v136, vcc_lo, v61, v71, vcc_lo
	s_delay_alu instid0(VALU_DEP_3)
	v_min_f32_e32 v134, v137, v134
	v_add_co_u32 v137, vcc_lo, v62, v68
	v_add_co_ci_u32_e32 v138, vcc_lo, v63, v69, vcc_lo
	global_store_b32 v[135:136], v134, off
	flat_load_b32 v134, v[137:138]
	s_waitcnt vmcnt(0) lgkmcnt(0)
	v_mul_f32_e32 v134, s18, v134
.LBB74_74:
	v_dual_add_f32 v135, v21, v57 :: v_dual_add_f32 v136, v20, v56
	v_dual_add_f32 v137, v17, v57 :: v_dual_add_f32 v138, v16, v56
	v_dual_add_f32 v139, v23, v59 :: v_dual_add_f32 v140, v22, v58
	s_delay_alu instid0(VALU_DEP_3) | instskip(SKIP_1) | instid1(VALU_DEP_4)
	v_min3_f32 v132, v136, v135, v132
	v_dual_add_f32 v135, v19, v59 :: v_dual_add_f32 v136, v18, v58
	v_min3_f32 v133, v138, v137, v133
	s_delay_alu instid0(VALU_DEP_4) | instskip(NEXT) | instid1(VALU_DEP_2)
	v_min_f32_e32 v137, v140, v139
	v_min3_f32 v135, v136, v135, v133
	v_add_co_u32 v133, vcc_lo, v60, v68
	s_delay_alu instid0(VALU_DEP_3) | instskip(SKIP_1) | instid1(VALU_DEP_4)
	v_min3_f32 v136, v134, v137, v132
	v_add_co_ci_u32_e32 v134, vcc_lo, v61, v69, vcc_lo
	v_max_f32_e32 v132, v135, v135
	s_mov_b32 vcc_lo, s2
	global_store_b32 v[133:134], v136, off
	;; [unrolled: 47-line block ×3, first 2 shown]
	s_cbranch_vccz .LBB74_82
; %bb.80:
	v_add_co_u32 v131, vcc_lo, v60, v78
	v_min_f32_e32 v133, 0, v130
	v_add_co_ci_u32_e32 v132, vcc_lo, v61, v79, vcc_lo
	s_mov_b32 s7, 0
	global_store_b32 v[131:132], v133, off
	s_cbranch_execz .LBB74_83
; %bb.81:
	v_mov_b32_e32 v62, s7
	s_branch .LBB74_84
.LBB74_82:
	s_mov_b32 s7, -1
.LBB74_83:
	v_add_co_u32 v131, vcc_lo, v62, v78
	v_add_co_ci_u32_e32 v132, vcc_lo, v63, v79, vcc_lo
	flat_load_b32 v131, v[131:132]
	s_waitcnt vmcnt(0) lgkmcnt(0)
	v_mul_f32_e32 v133, s18, v131
	v_add_co_u32 v131, vcc_lo, v60, v78
	v_add_co_ci_u32_e32 v132, vcc_lo, v61, v79, vcc_lo
	v_add_co_u32 v62, vcc_lo, v62, v76
	s_delay_alu instid0(VALU_DEP_4)
	v_min_f32_e32 v130, v133, v130
	v_add_co_ci_u32_e32 v63, vcc_lo, v63, v77, vcc_lo
	global_store_b32 v[131:132], v130, off
	flat_load_b32 v62, v[62:63]
	s_waitcnt vmcnt(0) lgkmcnt(0)
	v_mul_f32_e32 v62, s18, v62
.LBB74_84:
	v_dual_add_f32 v63, v33, v53 :: v_dual_add_f32 v130, v32, v52
	v_dual_add_f32 v57, v1, v57 :: v_dual_add_f32 v56, v0, v56
	;; [unrolled: 1-line block ×3, first 2 shown]
	s_delay_alu instid0(VALU_DEP_3) | instskip(SKIP_1) | instid1(VALU_DEP_4)
	v_min3_f32 v63, v130, v63, v129
	v_add_nc_u32_e32 v129, 64, v111
	v_min3_f32 v128, v56, v57, v128
	v_dual_add_f32 v130, v35, v55 :: v_dual_add_f32 v131, v34, v54
	v_min_f32_e32 v132, v58, v59
	s_delay_alu instid0(VALU_DEP_4) | instskip(SKIP_1) | instid1(VALU_DEP_3)
	v_mad_i64_i32 v[56:57], null, v129, s3, 0
	v_mad_i64_i32 v[58:59], null, v129, s0, 0
	v_min3_f32 v128, v62, v132, v128
	v_add_co_u32 v62, vcc_lo, v60, v76
	v_min3_f32 v129, v131, v130, v63
	v_lshlrev_b64 v[56:57], 2, v[56:57]
	v_add_co_ci_u32_e32 v63, vcc_lo, v61, v77, vcc_lo
	v_lshlrev_b64 v[58:59], 2, v[58:59]
	s_delay_alu instid0(VALU_DEP_4) | instskip(NEXT) | instid1(VALU_DEP_4)
	v_max_f32_e32 v60, v129, v129
	v_add_co_u32 v56, vcc_lo, s1, v56
	v_add_co_ci_u32_e32 v57, vcc_lo, s6, v57, vcc_lo
	s_delay_alu instid0(VALU_DEP_4)
	v_add_co_u32 v58, vcc_lo, s4, v58
	v_add_co_ci_u32_e32 v59, vcc_lo, s5, v59, vcc_lo
	s_mov_b32 vcc_lo, s2
	global_store_b32 v[62:63], v128, off
	s_cbranch_vccz .LBB74_87
; %bb.85:
	v_add_co_u32 v61, vcc_lo, v56, v66
	v_min_f32_e32 v63, 0, v60
	v_add_co_ci_u32_e32 v62, vcc_lo, v57, v67, vcc_lo
	s_mov_b32 s7, 0
	global_store_b32 v[61:62], v63, off
	s_cbranch_execz .LBB74_88
; %bb.86:
	v_mov_b32_e32 v60, s7
	s_branch .LBB74_89
.LBB74_87:
	s_mov_b32 s7, -1
.LBB74_88:
	v_add_co_u32 v61, vcc_lo, v58, v66
	v_add_co_ci_u32_e32 v62, vcc_lo, v59, v67, vcc_lo
	flat_load_b32 v61, v[61:62]
	s_waitcnt vmcnt(0) lgkmcnt(0)
	v_mul_f32_e32 v63, s18, v61
	v_add_co_u32 v61, vcc_lo, v56, v66
	v_add_co_ci_u32_e32 v62, vcc_lo, v57, v67, vcc_lo
	v_add_co_u32 v128, vcc_lo, v58, v64
	s_delay_alu instid0(VALU_DEP_4)
	v_min_f32_e32 v60, v63, v60
	v_add_co_ci_u32_e32 v129, vcc_lo, v59, v65, vcc_lo
	global_store_b32 v[61:62], v60, off
	flat_load_b32 v60, v[128:129]
	s_waitcnt vmcnt(0) lgkmcnt(0)
	v_mul_f32_e32 v60, s18, v60
.LBB74_89:
	v_dual_add_f32 v61, v29, v53 :: v_dual_add_f32 v62, v28, v52
	v_dual_add_f32 v63, v25, v53 :: v_dual_add_f32 v128, v24, v52
	;; [unrolled: 1-line block ×3, first 2 shown]
	s_delay_alu instid0(VALU_DEP_3) | instskip(NEXT) | instid1(VALU_DEP_3)
	v_min3_f32 v61, v62, v61, v127
	v_min3_f32 v62, v128, v63, v126
	v_dual_add_f32 v63, v27, v55 :: v_dual_add_f32 v126, v26, v54
	s_delay_alu instid0(VALU_DEP_1) | instskip(SKIP_1) | instid1(VALU_DEP_1)
	v_min3_f32 v63, v126, v63, v62
	v_min_f32_e32 v127, v130, v129
	v_min3_f32 v126, v60, v127, v61
	s_delay_alu instid0(VALU_DEP_3)
	v_max_f32_e32 v60, v63, v63
	v_add_co_u32 v61, vcc_lo, v56, v64
	v_add_co_ci_u32_e32 v62, vcc_lo, v57, v65, vcc_lo
	s_mov_b32 vcc_lo, s2
	global_store_b32 v[61:62], v126, off
	s_cbranch_vccz .LBB74_92
; %bb.90:
	v_add_co_u32 v61, vcc_lo, v56, v70
	v_min_f32_e32 v63, 0, v60
	v_add_co_ci_u32_e32 v62, vcc_lo, v57, v71, vcc_lo
	s_mov_b32 s7, 0
	global_store_b32 v[61:62], v63, off
	s_cbranch_execz .LBB74_93
; %bb.91:
	v_mov_b32_e32 v60, s7
	s_branch .LBB74_94
.LBB74_92:
	s_mov_b32 s7, -1
.LBB74_93:
	v_add_co_u32 v61, vcc_lo, v58, v70
	v_add_co_ci_u32_e32 v62, vcc_lo, v59, v71, vcc_lo
	flat_load_b32 v61, v[61:62]
	s_waitcnt vmcnt(0) lgkmcnt(0)
	v_mul_f32_e32 v63, s18, v61
	v_add_co_u32 v61, vcc_lo, v56, v70
	v_add_co_ci_u32_e32 v62, vcc_lo, v57, v71, vcc_lo
	v_add_co_u32 v126, vcc_lo, v58, v68
	s_delay_alu instid0(VALU_DEP_4)
	v_min_f32_e32 v60, v63, v60
	v_add_co_ci_u32_e32 v127, vcc_lo, v59, v69, vcc_lo
	global_store_b32 v[61:62], v60, off
	flat_load_b32 v60, v[126:127]
	s_waitcnt vmcnt(0) lgkmcnt(0)
	v_mul_f32_e32 v60, s18, v60
.LBB74_94:
	v_dual_add_f32 v61, v21, v53 :: v_dual_add_f32 v62, v20, v52
	v_dual_add_f32 v63, v17, v53 :: v_dual_add_f32 v126, v16, v52
	;; [unrolled: 1-line block ×3, first 2 shown]
	s_delay_alu instid0(VALU_DEP_3) | instskip(SKIP_1) | instid1(VALU_DEP_4)
	v_min3_f32 v61, v62, v61, v124
	v_add_f32_e32 v124, v18, v54
	v_min3_f32 v62, v126, v63, v125
	v_add_f32_e32 v63, v19, v55
	v_min_f32_e32 v125, v128, v127
	s_delay_alu instid0(VALU_DEP_2) | instskip(NEXT) | instid1(VALU_DEP_2)
	v_min3_f32 v63, v124, v63, v62
	v_min3_f32 v124, v60, v125, v61
	v_add_co_u32 v61, vcc_lo, v56, v68
	v_add_co_ci_u32_e32 v62, vcc_lo, v57, v69, vcc_lo
	s_delay_alu instid0(VALU_DEP_4)
	v_max_f32_e32 v60, v63, v63
	s_mov_b32 vcc_lo, s2
	global_store_b32 v[61:62], v124, off
	s_cbranch_vccz .LBB74_97
; %bb.95:
	v_add_co_u32 v61, vcc_lo, v56, v74
	v_min_f32_e32 v63, 0, v60
	v_add_co_ci_u32_e32 v62, vcc_lo, v57, v75, vcc_lo
	s_mov_b32 s7, 0
	global_store_b32 v[61:62], v63, off
	s_cbranch_execz .LBB74_98
; %bb.96:
	v_mov_b32_e32 v60, s7
	s_branch .LBB74_99
.LBB74_97:
	s_mov_b32 s7, -1
.LBB74_98:
	v_add_co_u32 v61, vcc_lo, v58, v74
	v_add_co_ci_u32_e32 v62, vcc_lo, v59, v75, vcc_lo
	flat_load_b32 v61, v[61:62]
	s_waitcnt vmcnt(0) lgkmcnt(0)
	v_mul_f32_e32 v63, s18, v61
	v_add_co_u32 v61, vcc_lo, v56, v74
	v_add_co_ci_u32_e32 v62, vcc_lo, v57, v75, vcc_lo
	v_add_co_u32 v124, vcc_lo, v58, v72
	s_delay_alu instid0(VALU_DEP_4)
	v_min_f32_e32 v60, v63, v60
	v_add_co_ci_u32_e32 v125, vcc_lo, v59, v73, vcc_lo
	global_store_b32 v[61:62], v60, off
	flat_load_b32 v60, v[124:125]
	s_waitcnt vmcnt(0) lgkmcnt(0)
	v_mul_f32_e32 v60, s18, v60
.LBB74_99:
	v_dual_add_f32 v61, v13, v53 :: v_dual_add_f32 v62, v12, v52
	v_dual_add_f32 v63, v9, v53 :: v_dual_add_f32 v124, v8, v52
	;; [unrolled: 1-line block ×3, first 2 shown]
	s_delay_alu instid0(VALU_DEP_3) | instskip(SKIP_1) | instid1(VALU_DEP_4)
	v_min3_f32 v61, v62, v61, v122
	v_add_f32_e32 v122, v10, v54
	v_min3_f32 v62, v124, v63, v123
	v_add_f32_e32 v63, v11, v55
	s_delay_alu instid0(VALU_DEP_1) | instskip(SKIP_1) | instid1(VALU_DEP_1)
	v_min3_f32 v63, v122, v63, v62
	v_min_f32_e32 v123, v126, v125
	v_min3_f32 v122, v60, v123, v61
	s_delay_alu instid0(VALU_DEP_3)
	v_max_f32_e32 v60, v63, v63
	v_add_co_u32 v61, vcc_lo, v56, v72
	v_add_co_ci_u32_e32 v62, vcc_lo, v57, v73, vcc_lo
	s_mov_b32 vcc_lo, s2
	global_store_b32 v[61:62], v122, off
	s_cbranch_vccz .LBB74_102
; %bb.100:
	v_add_co_u32 v61, vcc_lo, v56, v78
	v_min_f32_e32 v63, 0, v60
	v_add_co_ci_u32_e32 v62, vcc_lo, v57, v79, vcc_lo
	s_mov_b32 s7, 0
	global_store_b32 v[61:62], v63, off
	s_cbranch_execz .LBB74_103
; %bb.101:
	v_mov_b32_e32 v58, s7
	s_branch .LBB74_104
.LBB74_102:
	s_mov_b32 s7, -1
.LBB74_103:
	v_add_co_u32 v61, vcc_lo, v58, v78
	v_add_co_ci_u32_e32 v62, vcc_lo, v59, v79, vcc_lo
	flat_load_b32 v61, v[61:62]
	s_waitcnt vmcnt(0) lgkmcnt(0)
	v_mul_f32_e32 v63, s18, v61
	v_add_co_u32 v61, vcc_lo, v56, v78
	v_add_co_ci_u32_e32 v62, vcc_lo, v57, v79, vcc_lo
	v_add_co_u32 v58, vcc_lo, v58, v76
	s_delay_alu instid0(VALU_DEP_4)
	v_min_f32_e32 v60, v63, v60
	v_add_co_ci_u32_e32 v59, vcc_lo, v59, v77, vcc_lo
	global_store_b32 v[61:62], v60, off
	flat_load_b32 v58, v[58:59]
	s_waitcnt vmcnt(0) lgkmcnt(0)
	v_mul_f32_e32 v58, s18, v58
.LBB74_104:
	v_dual_add_f32 v59, v33, v49 :: v_dual_add_f32 v60, v32, v48
	v_dual_add_f32 v53, v1, v53 :: v_dual_add_f32 v52, v0, v52
	;; [unrolled: 1-line block ×3, first 2 shown]
	s_delay_alu instid0(VALU_DEP_3) | instskip(SKIP_1) | instid1(VALU_DEP_4)
	v_min3_f32 v59, v60, v59, v121
	v_dual_add_f32 v63, v34, v50 :: v_dual_add_nc_u32 v60, 0x60, v111
	v_min3_f32 v61, v52, v53, v120
	s_delay_alu instid0(VALU_DEP_4) | instskip(SKIP_1) | instid1(VALU_DEP_4)
	v_min_f32_e32 v120, v54, v55
	v_add_f32_e32 v62, v35, v51
	v_mad_i64_i32 v[52:53], null, v60, s3, 0
	v_mad_i64_i32 v[54:55], null, v60, s0, 0
	s_delay_alu instid0(VALU_DEP_4)
	v_min3_f32 v61, v58, v120, v61
	v_add_co_u32 v58, vcc_lo, v56, v76
	v_min3_f32 v60, v63, v62, v59
	v_lshlrev_b64 v[52:53], 2, v[52:53]
	v_add_co_ci_u32_e32 v59, vcc_lo, v57, v77, vcc_lo
	v_lshlrev_b64 v[54:55], 2, v[54:55]
	s_delay_alu instid0(VALU_DEP_4) | instskip(NEXT) | instid1(VALU_DEP_4)
	v_max_f32_e32 v56, v60, v60
	v_add_co_u32 v52, vcc_lo, s1, v52
	v_add_co_ci_u32_e32 v53, vcc_lo, s6, v53, vcc_lo
	s_delay_alu instid0(VALU_DEP_4)
	v_add_co_u32 v54, vcc_lo, s4, v54
	v_add_co_ci_u32_e32 v55, vcc_lo, s5, v55, vcc_lo
	s_mov_b32 vcc_lo, s2
	global_store_b32 v[58:59], v61, off
	s_cbranch_vccz .LBB74_107
; %bb.105:
	v_add_co_u32 v57, vcc_lo, v52, v66
	v_min_f32_e32 v59, 0, v56
	v_add_co_ci_u32_e32 v58, vcc_lo, v53, v67, vcc_lo
	s_mov_b32 s7, 0
	global_store_b32 v[57:58], v59, off
	s_cbranch_execz .LBB74_108
; %bb.106:
	v_mov_b32_e32 v56, s7
	s_branch .LBB74_109
.LBB74_107:
	s_mov_b32 s7, -1
.LBB74_108:
	v_add_co_u32 v57, vcc_lo, v54, v66
	v_add_co_ci_u32_e32 v58, vcc_lo, v55, v67, vcc_lo
	flat_load_b32 v57, v[57:58]
	s_waitcnt vmcnt(0) lgkmcnt(0)
	v_mul_f32_e32 v59, s18, v57
	v_add_co_u32 v57, vcc_lo, v52, v66
	v_add_co_ci_u32_e32 v58, vcc_lo, v53, v67, vcc_lo
	s_delay_alu instid0(VALU_DEP_3)
	v_min_f32_e32 v56, v59, v56
	v_add_co_u32 v59, vcc_lo, v54, v64
	v_add_co_ci_u32_e32 v60, vcc_lo, v55, v65, vcc_lo
	global_store_b32 v[57:58], v56, off
	flat_load_b32 v56, v[59:60]
	s_waitcnt vmcnt(0) lgkmcnt(0)
	v_mul_f32_e32 v56, s18, v56
.LBB74_109:
	v_dual_add_f32 v57, v29, v49 :: v_dual_add_f32 v58, v28, v48
	v_dual_add_f32 v59, v25, v49 :: v_dual_add_f32 v60, v24, v48
	v_dual_add_f32 v61, v31, v51 :: v_dual_add_f32 v62, v30, v50
	s_delay_alu instid0(VALU_DEP_3) | instskip(NEXT) | instid1(VALU_DEP_3)
	v_min3_f32 v57, v58, v57, v118
	v_min3_f32 v58, v60, v59, v119
	v_dual_add_f32 v59, v27, v51 :: v_dual_add_f32 v60, v26, v50
	s_delay_alu instid0(VALU_DEP_1) | instskip(SKIP_1) | instid1(VALU_DEP_1)
	v_min3_f32 v59, v60, v59, v58
	v_min_f32_e32 v61, v62, v61
	v_min3_f32 v60, v56, v61, v57
	s_delay_alu instid0(VALU_DEP_3)
	v_max_f32_e32 v56, v59, v59
	v_add_co_u32 v57, vcc_lo, v52, v64
	v_add_co_ci_u32_e32 v58, vcc_lo, v53, v65, vcc_lo
	s_mov_b32 vcc_lo, s2
	global_store_b32 v[57:58], v60, off
	s_cbranch_vccz .LBB74_112
; %bb.110:
	v_add_co_u32 v57, vcc_lo, v52, v70
	v_min_f32_e32 v59, 0, v56
	v_add_co_ci_u32_e32 v58, vcc_lo, v53, v71, vcc_lo
	s_mov_b32 s7, 0
	global_store_b32 v[57:58], v59, off
	s_cbranch_execz .LBB74_113
; %bb.111:
	v_mov_b32_e32 v56, s7
	s_branch .LBB74_114
.LBB74_112:
	s_mov_b32 s7, -1
.LBB74_113:
	v_add_co_u32 v57, vcc_lo, v54, v70
	v_add_co_ci_u32_e32 v58, vcc_lo, v55, v71, vcc_lo
	flat_load_b32 v57, v[57:58]
	s_waitcnt vmcnt(0) lgkmcnt(0)
	v_mul_f32_e32 v59, s18, v57
	v_add_co_u32 v57, vcc_lo, v52, v70
	v_add_co_ci_u32_e32 v58, vcc_lo, v53, v71, vcc_lo
	s_delay_alu instid0(VALU_DEP_3)
	v_min_f32_e32 v56, v59, v56
	v_add_co_u32 v59, vcc_lo, v54, v68
	v_add_co_ci_u32_e32 v60, vcc_lo, v55, v69, vcc_lo
	global_store_b32 v[57:58], v56, off
	flat_load_b32 v56, v[59:60]
	s_waitcnt vmcnt(0) lgkmcnt(0)
	v_mul_f32_e32 v56, s18, v56
.LBB74_114:
	v_dual_add_f32 v57, v21, v49 :: v_dual_add_f32 v58, v20, v48
	v_dual_add_f32 v59, v17, v49 :: v_dual_add_f32 v60, v16, v48
	v_dual_add_f32 v61, v23, v51 :: v_dual_add_f32 v62, v22, v50
	s_delay_alu instid0(VALU_DEP_3) | instskip(NEXT) | instid1(VALU_DEP_3)
	v_min3_f32 v57, v58, v57, v117
	v_min3_f32 v58, v60, v59, v116
	v_dual_add_f32 v59, v19, v51 :: v_dual_add_f32 v60, v18, v50
	s_delay_alu instid0(VALU_DEP_1) | instskip(SKIP_1) | instid1(VALU_DEP_1)
	v_min3_f32 v59, v60, v59, v58
	v_min_f32_e32 v61, v62, v61
	v_min3_f32 v60, v56, v61, v57
	s_delay_alu instid0(VALU_DEP_3)
	v_max_f32_e32 v56, v59, v59
	;; [unrolled: 47-line block ×3, first 2 shown]
	v_add_co_u32 v57, vcc_lo, v52, v72
	v_add_co_ci_u32_e32 v58, vcc_lo, v53, v73, vcc_lo
	s_mov_b32 vcc_lo, s2
	global_store_b32 v[57:58], v60, off
	s_cbranch_vccz .LBB74_122
; %bb.120:
	v_add_co_u32 v57, vcc_lo, v52, v78
	v_min_f32_e32 v59, 0, v56
	v_add_co_ci_u32_e32 v58, vcc_lo, v53, v79, vcc_lo
	s_mov_b32 s7, 0
	global_store_b32 v[57:58], v59, off
	s_cbranch_execz .LBB74_123
; %bb.121:
	v_mov_b32_e32 v54, s7
	s_branch .LBB74_124
.LBB74_122:
	s_mov_b32 s7, -1
.LBB74_123:
	v_add_co_u32 v57, vcc_lo, v54, v78
	v_add_co_ci_u32_e32 v58, vcc_lo, v55, v79, vcc_lo
	flat_load_b32 v57, v[57:58]
	s_waitcnt vmcnt(0) lgkmcnt(0)
	v_mul_f32_e32 v59, s18, v57
	v_add_co_u32 v57, vcc_lo, v52, v78
	v_add_co_ci_u32_e32 v58, vcc_lo, v53, v79, vcc_lo
	v_add_co_u32 v54, vcc_lo, v54, v76
	s_delay_alu instid0(VALU_DEP_4)
	v_min_f32_e32 v56, v59, v56
	v_add_co_ci_u32_e32 v55, vcc_lo, v55, v77, vcc_lo
	global_store_b32 v[57:58], v56, off
	flat_load_b32 v54, v[54:55]
	s_waitcnt vmcnt(0) lgkmcnt(0)
	v_mul_f32_e32 v54, s18, v54
.LBB74_124:
	v_dual_add_f32 v55, v33, v45 :: v_dual_add_f32 v56, v32, v44
	v_dual_add_f32 v49, v1, v49 :: v_dual_add_f32 v48, v0, v48
	;; [unrolled: 1-line block ×3, first 2 shown]
	s_delay_alu instid0(VALU_DEP_3) | instskip(SKIP_1) | instid1(VALU_DEP_4)
	v_min3_f32 v55, v56, v55, v113
	v_dual_add_f32 v59, v34, v46 :: v_dual_add_nc_u32 v56, 0x80, v111
	v_min3_f32 v57, v48, v49, v112
	s_delay_alu instid0(VALU_DEP_4) | instskip(SKIP_1) | instid1(VALU_DEP_4)
	v_min_f32_e32 v60, v50, v51
	v_add_f32_e32 v58, v35, v47
	v_mad_i64_i32 v[48:49], null, v56, s3, 0
	v_mad_i64_i32 v[50:51], null, v56, s0, 0
	s_delay_alu instid0(VALU_DEP_4)
	v_min3_f32 v57, v54, v60, v57
	v_add_co_u32 v54, vcc_lo, v52, v76
	v_min3_f32 v56, v59, v58, v55
	v_lshlrev_b64 v[48:49], 2, v[48:49]
	v_add_co_ci_u32_e32 v55, vcc_lo, v53, v77, vcc_lo
	v_lshlrev_b64 v[50:51], 2, v[50:51]
	s_delay_alu instid0(VALU_DEP_4) | instskip(NEXT) | instid1(VALU_DEP_4)
	v_max_f32_e32 v52, v56, v56
	v_add_co_u32 v48, vcc_lo, s1, v48
	v_add_co_ci_u32_e32 v49, vcc_lo, s6, v49, vcc_lo
	s_delay_alu instid0(VALU_DEP_4)
	v_add_co_u32 v50, vcc_lo, s4, v50
	v_add_co_ci_u32_e32 v51, vcc_lo, s5, v51, vcc_lo
	s_mov_b32 vcc_lo, s2
	global_store_b32 v[54:55], v57, off
	s_cbranch_vccz .LBB74_127
; %bb.125:
	v_add_co_u32 v53, vcc_lo, v48, v66
	v_min_f32_e32 v55, 0, v52
	v_add_co_ci_u32_e32 v54, vcc_lo, v49, v67, vcc_lo
	s_mov_b32 s7, 0
	global_store_b32 v[53:54], v55, off
	s_cbranch_execz .LBB74_128
; %bb.126:
	v_mov_b32_e32 v52, s7
	s_branch .LBB74_129
.LBB74_127:
	s_mov_b32 s7, -1
.LBB74_128:
	v_add_co_u32 v53, vcc_lo, v50, v66
	v_add_co_ci_u32_e32 v54, vcc_lo, v51, v67, vcc_lo
	flat_load_b32 v53, v[53:54]
	s_waitcnt vmcnt(0) lgkmcnt(0)
	v_mul_f32_e32 v55, s18, v53
	v_add_co_u32 v53, vcc_lo, v48, v66
	v_add_co_ci_u32_e32 v54, vcc_lo, v49, v67, vcc_lo
	s_delay_alu instid0(VALU_DEP_3)
	v_min_f32_e32 v52, v55, v52
	v_add_co_u32 v55, vcc_lo, v50, v64
	v_add_co_ci_u32_e32 v56, vcc_lo, v51, v65, vcc_lo
	global_store_b32 v[53:54], v52, off
	flat_load_b32 v52, v[55:56]
	s_waitcnt vmcnt(0) lgkmcnt(0)
	v_mul_f32_e32 v52, s18, v52
.LBB74_129:
	v_dual_add_f32 v53, v29, v45 :: v_dual_add_f32 v54, v28, v44
	v_dual_add_f32 v55, v25, v45 :: v_dual_add_f32 v56, v24, v44
	v_dual_add_f32 v57, v31, v47 :: v_dual_add_f32 v58, v30, v46
	s_delay_alu instid0(VALU_DEP_3) | instskip(NEXT) | instid1(VALU_DEP_3)
	v_min3_f32 v53, v54, v53, v109
	v_min3_f32 v54, v56, v55, v110
	v_dual_add_f32 v55, v27, v47 :: v_dual_add_f32 v56, v26, v46
	s_delay_alu instid0(VALU_DEP_1) | instskip(SKIP_1) | instid1(VALU_DEP_1)
	v_min3_f32 v55, v56, v55, v54
	v_min_f32_e32 v57, v58, v57
	v_min3_f32 v56, v52, v57, v53
	s_delay_alu instid0(VALU_DEP_3)
	v_max_f32_e32 v52, v55, v55
	v_add_co_u32 v53, vcc_lo, v48, v64
	v_add_co_ci_u32_e32 v54, vcc_lo, v49, v65, vcc_lo
	s_mov_b32 vcc_lo, s2
	global_store_b32 v[53:54], v56, off
	s_cbranch_vccz .LBB74_132
; %bb.130:
	v_add_co_u32 v53, vcc_lo, v48, v70
	v_min_f32_e32 v55, 0, v52
	v_add_co_ci_u32_e32 v54, vcc_lo, v49, v71, vcc_lo
	s_mov_b32 s7, 0
	global_store_b32 v[53:54], v55, off
	s_cbranch_execz .LBB74_133
; %bb.131:
	v_mov_b32_e32 v52, s7
	s_branch .LBB74_134
.LBB74_132:
	s_mov_b32 s7, -1
.LBB74_133:
	v_add_co_u32 v53, vcc_lo, v50, v70
	v_add_co_ci_u32_e32 v54, vcc_lo, v51, v71, vcc_lo
	flat_load_b32 v53, v[53:54]
	s_waitcnt vmcnt(0) lgkmcnt(0)
	v_mul_f32_e32 v55, s18, v53
	v_add_co_u32 v53, vcc_lo, v48, v70
	v_add_co_ci_u32_e32 v54, vcc_lo, v49, v71, vcc_lo
	s_delay_alu instid0(VALU_DEP_3)
	v_min_f32_e32 v52, v55, v52
	v_add_co_u32 v55, vcc_lo, v50, v68
	v_add_co_ci_u32_e32 v56, vcc_lo, v51, v69, vcc_lo
	global_store_b32 v[53:54], v52, off
	flat_load_b32 v52, v[55:56]
	s_waitcnt vmcnt(0) lgkmcnt(0)
	v_mul_f32_e32 v52, s18, v52
.LBB74_134:
	v_dual_add_f32 v53, v21, v45 :: v_dual_add_f32 v54, v20, v44
	v_dual_add_f32 v55, v17, v45 :: v_dual_add_f32 v56, v16, v44
	v_dual_add_f32 v57, v23, v47 :: v_dual_add_f32 v58, v22, v46
	s_delay_alu instid0(VALU_DEP_3) | instskip(NEXT) | instid1(VALU_DEP_3)
	v_min3_f32 v53, v54, v53, v107
	v_min3_f32 v54, v56, v55, v108
	v_dual_add_f32 v55, v19, v47 :: v_dual_add_f32 v56, v18, v46
	s_delay_alu instid0(VALU_DEP_1) | instskip(SKIP_1) | instid1(VALU_DEP_1)
	v_min3_f32 v55, v56, v55, v54
	v_min_f32_e32 v57, v58, v57
	v_min3_f32 v56, v52, v57, v53
	s_delay_alu instid0(VALU_DEP_3)
	v_max_f32_e32 v52, v55, v55
	;; [unrolled: 47-line block ×3, first 2 shown]
	v_add_co_u32 v53, vcc_lo, v48, v72
	v_add_co_ci_u32_e32 v54, vcc_lo, v49, v73, vcc_lo
	s_mov_b32 vcc_lo, s2
	global_store_b32 v[53:54], v56, off
	s_cbranch_vccz .LBB74_142
; %bb.140:
	v_add_co_u32 v53, vcc_lo, v48, v78
	v_min_f32_e32 v55, 0, v52
	v_add_co_ci_u32_e32 v54, vcc_lo, v49, v79, vcc_lo
	s_mov_b32 s7, 0
	global_store_b32 v[53:54], v55, off
	s_cbranch_execz .LBB74_143
; %bb.141:
	v_mov_b32_e32 v50, s7
	s_branch .LBB74_144
.LBB74_142:
	s_mov_b32 s7, -1
.LBB74_143:
	v_add_co_u32 v53, vcc_lo, v50, v78
	v_add_co_ci_u32_e32 v54, vcc_lo, v51, v79, vcc_lo
	flat_load_b32 v53, v[53:54]
	s_waitcnt vmcnt(0) lgkmcnt(0)
	v_mul_f32_e32 v55, s18, v53
	v_add_co_u32 v53, vcc_lo, v48, v78
	v_add_co_ci_u32_e32 v54, vcc_lo, v49, v79, vcc_lo
	v_add_co_u32 v50, vcc_lo, v50, v76
	s_delay_alu instid0(VALU_DEP_4)
	v_min_f32_e32 v52, v55, v52
	v_add_co_ci_u32_e32 v51, vcc_lo, v51, v77, vcc_lo
	global_store_b32 v[53:54], v52, off
	flat_load_b32 v50, v[50:51]
	s_waitcnt vmcnt(0) lgkmcnt(0)
	v_mul_f32_e32 v50, s18, v50
.LBB74_144:
	v_dual_add_f32 v51, v33, v41 :: v_dual_add_f32 v52, v32, v40
	v_dual_add_f32 v45, v1, v45 :: v_dual_add_f32 v44, v0, v44
	;; [unrolled: 1-line block ×3, first 2 shown]
	s_delay_alu instid0(VALU_DEP_3) | instskip(SKIP_1) | instid1(VALU_DEP_4)
	v_min3_f32 v51, v52, v51, v104
	v_dual_add_f32 v55, v34, v42 :: v_dual_add_nc_u32 v52, 0xa0, v111
	v_min3_f32 v53, v44, v45, v103
	s_delay_alu instid0(VALU_DEP_4) | instskip(SKIP_1) | instid1(VALU_DEP_4)
	v_min_f32_e32 v56, v46, v47
	v_add_f32_e32 v54, v35, v43
	v_mad_i64_i32 v[44:45], null, v52, s3, 0
	v_mad_i64_i32 v[46:47], null, v52, s0, 0
	s_delay_alu instid0(VALU_DEP_4)
	v_min3_f32 v53, v50, v56, v53
	v_add_co_u32 v50, vcc_lo, v48, v76
	v_min3_f32 v52, v55, v54, v51
	v_lshlrev_b64 v[44:45], 2, v[44:45]
	v_add_co_ci_u32_e32 v51, vcc_lo, v49, v77, vcc_lo
	v_lshlrev_b64 v[46:47], 2, v[46:47]
	s_delay_alu instid0(VALU_DEP_4) | instskip(NEXT) | instid1(VALU_DEP_4)
	v_max_f32_e32 v48, v52, v52
	v_add_co_u32 v44, vcc_lo, s1, v44
	v_add_co_ci_u32_e32 v45, vcc_lo, s6, v45, vcc_lo
	s_delay_alu instid0(VALU_DEP_4)
	v_add_co_u32 v46, vcc_lo, s4, v46
	v_add_co_ci_u32_e32 v47, vcc_lo, s5, v47, vcc_lo
	s_mov_b32 vcc_lo, s2
	global_store_b32 v[50:51], v53, off
	s_cbranch_vccz .LBB74_147
; %bb.145:
	v_add_co_u32 v49, vcc_lo, v44, v66
	v_min_f32_e32 v51, 0, v48
	v_add_co_ci_u32_e32 v50, vcc_lo, v45, v67, vcc_lo
	s_mov_b32 s7, 0
	global_store_b32 v[49:50], v51, off
	s_cbranch_execz .LBB74_148
; %bb.146:
	v_mov_b32_e32 v48, s7
	s_branch .LBB74_149
.LBB74_147:
	s_mov_b32 s7, -1
.LBB74_148:
	v_add_co_u32 v49, vcc_lo, v46, v66
	v_add_co_ci_u32_e32 v50, vcc_lo, v47, v67, vcc_lo
	flat_load_b32 v49, v[49:50]
	s_waitcnt vmcnt(0) lgkmcnt(0)
	v_mul_f32_e32 v51, s18, v49
	v_add_co_u32 v49, vcc_lo, v44, v66
	v_add_co_ci_u32_e32 v50, vcc_lo, v45, v67, vcc_lo
	s_delay_alu instid0(VALU_DEP_3)
	v_min_f32_e32 v48, v51, v48
	v_add_co_u32 v51, vcc_lo, v46, v64
	v_add_co_ci_u32_e32 v52, vcc_lo, v47, v65, vcc_lo
	global_store_b32 v[49:50], v48, off
	flat_load_b32 v48, v[51:52]
	s_waitcnt vmcnt(0) lgkmcnt(0)
	v_mul_f32_e32 v48, s18, v48
.LBB74_149:
	v_dual_add_f32 v49, v29, v41 :: v_dual_add_f32 v50, v28, v40
	v_dual_add_f32 v51, v25, v41 :: v_dual_add_f32 v52, v24, v40
	v_dual_add_f32 v53, v31, v43 :: v_dual_add_f32 v54, v30, v42
	s_delay_alu instid0(VALU_DEP_3) | instskip(NEXT) | instid1(VALU_DEP_3)
	v_min3_f32 v49, v50, v49, v101
	v_min3_f32 v50, v52, v51, v102
	v_dual_add_f32 v51, v27, v43 :: v_dual_add_f32 v52, v26, v42
	s_delay_alu instid0(VALU_DEP_1) | instskip(SKIP_1) | instid1(VALU_DEP_1)
	v_min3_f32 v51, v52, v51, v50
	v_min_f32_e32 v53, v54, v53
	v_min3_f32 v52, v48, v53, v49
	s_delay_alu instid0(VALU_DEP_3)
	v_max_f32_e32 v48, v51, v51
	v_add_co_u32 v49, vcc_lo, v44, v64
	v_add_co_ci_u32_e32 v50, vcc_lo, v45, v65, vcc_lo
	s_mov_b32 vcc_lo, s2
	global_store_b32 v[49:50], v52, off
	s_cbranch_vccz .LBB74_152
; %bb.150:
	v_add_co_u32 v49, vcc_lo, v44, v70
	v_min_f32_e32 v51, 0, v48
	v_add_co_ci_u32_e32 v50, vcc_lo, v45, v71, vcc_lo
	s_mov_b32 s7, 0
	global_store_b32 v[49:50], v51, off
	s_cbranch_execz .LBB74_153
; %bb.151:
	v_mov_b32_e32 v48, s7
	s_branch .LBB74_154
.LBB74_152:
	s_mov_b32 s7, -1
.LBB74_153:
	v_add_co_u32 v49, vcc_lo, v46, v70
	v_add_co_ci_u32_e32 v50, vcc_lo, v47, v71, vcc_lo
	flat_load_b32 v49, v[49:50]
	s_waitcnt vmcnt(0) lgkmcnt(0)
	v_mul_f32_e32 v51, s18, v49
	v_add_co_u32 v49, vcc_lo, v44, v70
	v_add_co_ci_u32_e32 v50, vcc_lo, v45, v71, vcc_lo
	s_delay_alu instid0(VALU_DEP_3)
	v_min_f32_e32 v48, v51, v48
	v_add_co_u32 v51, vcc_lo, v46, v68
	v_add_co_ci_u32_e32 v52, vcc_lo, v47, v69, vcc_lo
	global_store_b32 v[49:50], v48, off
	flat_load_b32 v48, v[51:52]
	s_waitcnt vmcnt(0) lgkmcnt(0)
	v_mul_f32_e32 v48, s18, v48
.LBB74_154:
	v_dual_add_f32 v49, v21, v41 :: v_dual_add_f32 v50, v20, v40
	v_dual_add_f32 v51, v17, v41 :: v_dual_add_f32 v52, v16, v40
	v_dual_add_f32 v53, v23, v43 :: v_dual_add_f32 v54, v22, v42
	s_delay_alu instid0(VALU_DEP_3) | instskip(NEXT) | instid1(VALU_DEP_3)
	v_min3_f32 v49, v50, v49, v99
	v_min3_f32 v50, v52, v51, v100
	v_dual_add_f32 v51, v19, v43 :: v_dual_add_f32 v52, v18, v42
	s_delay_alu instid0(VALU_DEP_1) | instskip(SKIP_1) | instid1(VALU_DEP_1)
	v_min3_f32 v51, v52, v51, v50
	v_min_f32_e32 v53, v54, v53
	v_min3_f32 v52, v48, v53, v49
	s_delay_alu instid0(VALU_DEP_3)
	v_max_f32_e32 v48, v51, v51
	;; [unrolled: 47-line block ×3, first 2 shown]
	v_add_co_u32 v49, vcc_lo, v44, v72
	v_add_co_ci_u32_e32 v50, vcc_lo, v45, v73, vcc_lo
	s_mov_b32 vcc_lo, s2
	global_store_b32 v[49:50], v52, off
	s_cbranch_vccz .LBB74_162
; %bb.160:
	v_add_co_u32 v49, vcc_lo, v44, v78
	v_min_f32_e32 v51, 0, v48
	v_add_co_ci_u32_e32 v50, vcc_lo, v45, v79, vcc_lo
	s_mov_b32 s7, 0
	global_store_b32 v[49:50], v51, off
	s_cbranch_execz .LBB74_163
; %bb.161:
	v_mov_b32_e32 v46, s7
	s_branch .LBB74_164
.LBB74_162:
	s_mov_b32 s7, -1
.LBB74_163:
	v_add_co_u32 v49, vcc_lo, v46, v78
	v_add_co_ci_u32_e32 v50, vcc_lo, v47, v79, vcc_lo
	flat_load_b32 v49, v[49:50]
	s_waitcnt vmcnt(0) lgkmcnt(0)
	v_mul_f32_e32 v51, s18, v49
	v_add_co_u32 v49, vcc_lo, v44, v78
	v_add_co_ci_u32_e32 v50, vcc_lo, v45, v79, vcc_lo
	v_add_co_u32 v46, vcc_lo, v46, v76
	s_delay_alu instid0(VALU_DEP_4)
	v_min_f32_e32 v48, v51, v48
	v_add_co_ci_u32_e32 v47, vcc_lo, v47, v77, vcc_lo
	global_store_b32 v[49:50], v48, off
	flat_load_b32 v46, v[46:47]
	s_waitcnt vmcnt(0) lgkmcnt(0)
	v_mul_f32_e32 v46, s18, v46
.LBB74_164:
	v_dual_add_f32 v47, v33, v37 :: v_dual_add_f32 v48, v32, v36
	v_dual_add_f32 v41, v1, v41 :: v_dual_add_f32 v40, v0, v40
	;; [unrolled: 1-line block ×3, first 2 shown]
	s_delay_alu instid0(VALU_DEP_3) | instskip(SKIP_1) | instid1(VALU_DEP_4)
	v_min3_f32 v47, v48, v47, v95
	v_dual_add_f32 v51, v34, v38 :: v_dual_add_nc_u32 v48, 0xc0, v111
	v_min3_f32 v49, v40, v41, v96
	s_delay_alu instid0(VALU_DEP_4) | instskip(SKIP_1) | instid1(VALU_DEP_4)
	v_min_f32_e32 v52, v42, v43
	v_add_f32_e32 v50, v35, v39
	v_mad_i64_i32 v[40:41], null, v48, s3, 0
	v_mad_i64_i32 v[42:43], null, v48, s0, 0
	s_delay_alu instid0(VALU_DEP_4)
	v_min3_f32 v49, v46, v52, v49
	v_add_co_u32 v46, vcc_lo, v44, v76
	v_min3_f32 v48, v51, v50, v47
	v_lshlrev_b64 v[40:41], 2, v[40:41]
	v_add_co_ci_u32_e32 v47, vcc_lo, v45, v77, vcc_lo
	v_lshlrev_b64 v[42:43], 2, v[42:43]
	s_delay_alu instid0(VALU_DEP_4) | instskip(NEXT) | instid1(VALU_DEP_4)
	v_max_f32_e32 v44, v48, v48
	v_add_co_u32 v40, vcc_lo, s1, v40
	v_add_co_ci_u32_e32 v41, vcc_lo, s6, v41, vcc_lo
	s_delay_alu instid0(VALU_DEP_4)
	v_add_co_u32 v42, vcc_lo, s4, v42
	v_add_co_ci_u32_e32 v43, vcc_lo, s5, v43, vcc_lo
	s_mov_b32 vcc_lo, s2
	global_store_b32 v[46:47], v49, off
	s_cbranch_vccz .LBB74_167
; %bb.165:
	v_add_co_u32 v45, vcc_lo, v40, v66
	v_min_f32_e32 v47, 0, v44
	v_add_co_ci_u32_e32 v46, vcc_lo, v41, v67, vcc_lo
	s_mov_b32 s7, 0
	global_store_b32 v[45:46], v47, off
	s_cbranch_execz .LBB74_168
; %bb.166:
	v_mov_b32_e32 v44, s7
	s_branch .LBB74_169
.LBB74_167:
	s_mov_b32 s7, -1
.LBB74_168:
	v_add_co_u32 v45, vcc_lo, v42, v66
	v_add_co_ci_u32_e32 v46, vcc_lo, v43, v67, vcc_lo
	flat_load_b32 v45, v[45:46]
	s_waitcnt vmcnt(0) lgkmcnt(0)
	v_mul_f32_e32 v47, s18, v45
	v_add_co_u32 v45, vcc_lo, v40, v66
	v_add_co_ci_u32_e32 v46, vcc_lo, v41, v67, vcc_lo
	s_delay_alu instid0(VALU_DEP_3)
	v_min_f32_e32 v44, v47, v44
	v_add_co_u32 v47, vcc_lo, v42, v64
	v_add_co_ci_u32_e32 v48, vcc_lo, v43, v65, vcc_lo
	global_store_b32 v[45:46], v44, off
	flat_load_b32 v44, v[47:48]
	s_waitcnt vmcnt(0) lgkmcnt(0)
	v_mul_f32_e32 v44, s18, v44
.LBB74_169:
	v_dual_add_f32 v45, v29, v37 :: v_dual_add_f32 v46, v28, v36
	v_dual_add_f32 v47, v25, v37 :: v_dual_add_f32 v48, v24, v36
	v_dual_add_f32 v49, v31, v39 :: v_dual_add_f32 v50, v30, v38
	s_delay_alu instid0(VALU_DEP_3) | instskip(NEXT) | instid1(VALU_DEP_3)
	v_min3_f32 v45, v46, v45, v93
	v_min3_f32 v46, v48, v47, v94
	v_dual_add_f32 v47, v27, v39 :: v_dual_add_f32 v48, v26, v38
	s_delay_alu instid0(VALU_DEP_1) | instskip(SKIP_1) | instid1(VALU_DEP_1)
	v_min3_f32 v47, v48, v47, v46
	v_min_f32_e32 v49, v50, v49
	v_min3_f32 v48, v44, v49, v45
	s_delay_alu instid0(VALU_DEP_3)
	v_max_f32_e32 v44, v47, v47
	v_add_co_u32 v45, vcc_lo, v40, v64
	v_add_co_ci_u32_e32 v46, vcc_lo, v41, v65, vcc_lo
	s_mov_b32 vcc_lo, s2
	global_store_b32 v[45:46], v48, off
	s_cbranch_vccz .LBB74_172
; %bb.170:
	v_add_co_u32 v45, vcc_lo, v40, v70
	v_min_f32_e32 v47, 0, v44
	v_add_co_ci_u32_e32 v46, vcc_lo, v41, v71, vcc_lo
	s_mov_b32 s7, 0
	global_store_b32 v[45:46], v47, off
	s_cbranch_execz .LBB74_173
; %bb.171:
	v_mov_b32_e32 v44, s7
	s_branch .LBB74_174
.LBB74_172:
	s_mov_b32 s7, -1
.LBB74_173:
	v_add_co_u32 v45, vcc_lo, v42, v70
	v_add_co_ci_u32_e32 v46, vcc_lo, v43, v71, vcc_lo
	flat_load_b32 v45, v[45:46]
	s_waitcnt vmcnt(0) lgkmcnt(0)
	v_mul_f32_e32 v47, s18, v45
	v_add_co_u32 v45, vcc_lo, v40, v70
	v_add_co_ci_u32_e32 v46, vcc_lo, v41, v71, vcc_lo
	s_delay_alu instid0(VALU_DEP_3)
	v_min_f32_e32 v44, v47, v44
	v_add_co_u32 v47, vcc_lo, v42, v68
	v_add_co_ci_u32_e32 v48, vcc_lo, v43, v69, vcc_lo
	global_store_b32 v[45:46], v44, off
	flat_load_b32 v44, v[47:48]
	s_waitcnt vmcnt(0) lgkmcnt(0)
	v_mul_f32_e32 v44, s18, v44
.LBB74_174:
	v_dual_add_f32 v45, v21, v37 :: v_dual_add_f32 v46, v20, v36
	v_dual_add_f32 v47, v17, v37 :: v_dual_add_f32 v48, v16, v36
	v_dual_add_f32 v49, v23, v39 :: v_dual_add_f32 v50, v22, v38
	s_delay_alu instid0(VALU_DEP_3) | instskip(NEXT) | instid1(VALU_DEP_3)
	v_min3_f32 v45, v46, v45, v91
	v_min3_f32 v46, v48, v47, v92
	v_dual_add_f32 v47, v19, v39 :: v_dual_add_f32 v48, v18, v38
	s_delay_alu instid0(VALU_DEP_1) | instskip(SKIP_1) | instid1(VALU_DEP_1)
	v_min3_f32 v47, v48, v47, v46
	v_min_f32_e32 v49, v50, v49
	v_min3_f32 v48, v44, v49, v45
	s_delay_alu instid0(VALU_DEP_3)
	v_max_f32_e32 v44, v47, v47
	;; [unrolled: 47-line block ×3, first 2 shown]
	v_add_co_u32 v45, vcc_lo, v40, v72
	v_add_co_ci_u32_e32 v46, vcc_lo, v41, v73, vcc_lo
	s_mov_b32 vcc_lo, s2
	global_store_b32 v[45:46], v48, off
	s_cbranch_vccz .LBB74_182
; %bb.180:
	v_add_co_u32 v45, vcc_lo, v40, v78
	v_min_f32_e32 v47, 0, v44
	v_add_co_ci_u32_e32 v46, vcc_lo, v41, v79, vcc_lo
	s_mov_b32 s7, 0
	global_store_b32 v[45:46], v47, off
	s_cbranch_execz .LBB74_183
; %bb.181:
	v_mov_b32_e32 v42, s7
	s_branch .LBB74_184
.LBB74_182:
	s_mov_b32 s7, -1
.LBB74_183:
	v_add_co_u32 v45, vcc_lo, v42, v78
	v_add_co_ci_u32_e32 v46, vcc_lo, v43, v79, vcc_lo
	flat_load_b32 v45, v[45:46]
	s_waitcnt vmcnt(0) lgkmcnt(0)
	v_mul_f32_e32 v47, s18, v45
	v_add_co_u32 v45, vcc_lo, v40, v78
	v_add_co_ci_u32_e32 v46, vcc_lo, v41, v79, vcc_lo
	v_add_co_u32 v42, vcc_lo, v42, v76
	s_delay_alu instid0(VALU_DEP_4)
	v_min_f32_e32 v44, v47, v44
	v_add_co_ci_u32_e32 v43, vcc_lo, v43, v77, vcc_lo
	global_store_b32 v[45:46], v44, off
	flat_load_b32 v42, v[42:43]
	s_waitcnt vmcnt(0) lgkmcnt(0)
	v_mul_f32_e32 v42, s18, v42
.LBB74_184:
	v_dual_add_f32 v37, v1, v37 :: v_dual_add_f32 v36, v0, v36
	s_waitcnt lgkmcnt(0)
	v_dual_add_f32 v33, v33, v5 :: v_dual_add_f32 v32, v32, v4
	v_dual_add_f32 v38, v2, v38 :: v_dual_add_nc_u32 v43, 0xe0, v111
	s_delay_alu instid0(VALU_DEP_3) | instskip(SKIP_1) | instid1(VALU_DEP_4)
	v_min3_f32 v36, v36, v37, v87
	v_add_f32_e32 v39, v3, v39
	v_min3_f32 v37, v32, v33, v88
	s_delay_alu instid0(VALU_DEP_4) | instskip(SKIP_3) | instid1(VALU_DEP_4)
	v_mad_i64_i32 v[32:33], null, v43, s3, 0
	v_dual_add_f32 v44, v35, v7 :: v_dual_add_f32 v45, v34, v6
	v_mad_i64_i32 v[34:35], null, v43, s0, 0
	v_min_f32_e32 v38, v38, v39
	v_lshlrev_b64 v[32:33], 2, v[32:33]
	s_delay_alu instid0(VALU_DEP_4)
	v_min3_f32 v39, v45, v44, v37
	v_add_co_u32 v37, vcc_lo, v40, v76
	v_lshlrev_b64 v[34:35], 2, v[34:35]
	v_min3_f32 v42, v42, v38, v36
	v_add_co_ci_u32_e32 v38, vcc_lo, v41, v77, vcc_lo
	v_add_co_u32 v32, vcc_lo, s1, v32
	v_add_co_ci_u32_e32 v33, vcc_lo, s6, v33, vcc_lo
	v_add_co_u32 v34, vcc_lo, s4, v34
	v_add_co_ci_u32_e32 v35, vcc_lo, s5, v35, vcc_lo
	v_max_f32_e32 v36, v39, v39
	s_mov_b32 vcc_lo, s2
	global_store_b32 v[37:38], v42, off
	s_cbranch_vccz .LBB74_187
; %bb.185:
	v_add_co_u32 v37, vcc_lo, v32, v66
	v_min_f32_e32 v39, 0, v36
	v_add_co_ci_u32_e32 v38, vcc_lo, v33, v67, vcc_lo
	s_mov_b32 s0, 0
	global_store_b32 v[37:38], v39, off
	s_cbranch_execz .LBB74_188
; %bb.186:
	v_mov_b32_e32 v36, s0
	s_branch .LBB74_189
.LBB74_187:
	s_mov_b32 s0, -1
.LBB74_188:
	v_add_co_u32 v37, vcc_lo, v34, v66
	v_add_co_ci_u32_e32 v38, vcc_lo, v35, v67, vcc_lo
	flat_load_b32 v37, v[37:38]
	s_waitcnt vmcnt(0) lgkmcnt(0)
	v_mul_f32_e32 v39, s18, v37
	v_add_co_u32 v37, vcc_lo, v32, v66
	v_add_co_ci_u32_e32 v38, vcc_lo, v33, v67, vcc_lo
	s_delay_alu instid0(VALU_DEP_3)
	v_min_f32_e32 v36, v39, v36
	v_add_co_u32 v39, vcc_lo, v34, v64
	v_add_co_ci_u32_e32 v40, vcc_lo, v35, v65, vcc_lo
	global_store_b32 v[37:38], v36, off
	flat_load_b32 v36, v[39:40]
	s_waitcnt vmcnt(0) lgkmcnt(0)
	v_mul_f32_e32 v36, s18, v36
.LBB74_189:
	v_dual_add_f32 v25, v25, v5 :: v_dual_add_f32 v24, v24, v4
	v_dual_add_f32 v29, v29, v5 :: v_dual_add_f32 v28, v28, v4
	v_dual_add_f32 v31, v31, v7 :: v_dual_add_f32 v30, v30, v6
	s_delay_alu instid0(VALU_DEP_3) | instskip(SKIP_1) | instid1(VALU_DEP_4)
	v_min3_f32 v24, v24, v25, v85
	v_dual_add_f32 v25, v27, v7 :: v_dual_add_f32 v26, v26, v6
	v_min3_f32 v28, v28, v29, v86
	s_delay_alu instid0(VALU_DEP_2) | instskip(SKIP_3) | instid1(VALU_DEP_4)
	v_min3_f32 v24, v26, v25, v24
	v_min_f32_e32 v27, v30, v31
	v_add_co_u32 v25, vcc_lo, v32, v64
	v_add_co_ci_u32_e32 v26, vcc_lo, v33, v65, vcc_lo
	v_max_f32_e32 v24, v24, v24
	s_delay_alu instid0(VALU_DEP_4)
	v_min3_f32 v27, v36, v27, v28
	s_mov_b32 vcc_lo, s2
	global_store_b32 v[25:26], v27, off
	s_cbranch_vccz .LBB74_192
; %bb.190:
	v_add_co_u32 v25, vcc_lo, v32, v70
	v_min_f32_e32 v27, 0, v24
	v_add_co_ci_u32_e32 v26, vcc_lo, v33, v71, vcc_lo
	s_mov_b32 s0, 0
	global_store_b32 v[25:26], v27, off
	s_cbranch_execz .LBB74_193
; %bb.191:
	v_mov_b32_e32 v24, s0
	s_branch .LBB74_194
.LBB74_192:
	s_mov_b32 s0, -1
.LBB74_193:
	v_add_co_u32 v25, vcc_lo, v34, v70
	v_add_co_ci_u32_e32 v26, vcc_lo, v35, v71, vcc_lo
	flat_load_b32 v25, v[25:26]
	s_waitcnt vmcnt(0) lgkmcnt(0)
	v_mul_f32_e32 v27, s18, v25
	v_add_co_u32 v25, vcc_lo, v32, v70
	v_add_co_ci_u32_e32 v26, vcc_lo, v33, v71, vcc_lo
	s_delay_alu instid0(VALU_DEP_3)
	v_min_f32_e32 v24, v27, v24
	v_add_co_u32 v27, vcc_lo, v34, v68
	v_add_co_ci_u32_e32 v28, vcc_lo, v35, v69, vcc_lo
	global_store_b32 v[25:26], v24, off
	flat_load_b32 v24, v[27:28]
	s_waitcnt vmcnt(0) lgkmcnt(0)
	v_mul_f32_e32 v24, s18, v24
.LBB74_194:
	v_dual_add_f32 v17, v17, v5 :: v_dual_add_f32 v16, v16, v4
	v_dual_add_f32 v21, v21, v5 :: v_dual_add_f32 v20, v20, v4
	v_dual_add_f32 v23, v23, v7 :: v_dual_add_f32 v22, v22, v6
	s_delay_alu instid0(VALU_DEP_3) | instskip(SKIP_1) | instid1(VALU_DEP_4)
	v_min3_f32 v16, v16, v17, v84
	v_dual_add_f32 v17, v19, v7 :: v_dual_add_f32 v18, v18, v6
	v_min3_f32 v20, v20, v21, v83
	s_delay_alu instid0(VALU_DEP_2) | instskip(SKIP_3) | instid1(VALU_DEP_4)
	v_min3_f32 v16, v18, v17, v16
	v_min_f32_e32 v19, v22, v23
	v_add_co_u32 v17, vcc_lo, v32, v68
	v_add_co_ci_u32_e32 v18, vcc_lo, v33, v69, vcc_lo
	v_max_f32_e32 v16, v16, v16
	s_delay_alu instid0(VALU_DEP_4)
	v_min3_f32 v19, v24, v19, v20
	s_mov_b32 vcc_lo, s2
	global_store_b32 v[17:18], v19, off
	s_cbranch_vccz .LBB74_197
; %bb.195:
	v_add_co_u32 v17, vcc_lo, v32, v74
	v_min_f32_e32 v19, 0, v16
	v_add_co_ci_u32_e32 v18, vcc_lo, v33, v75, vcc_lo
	s_mov_b32 s0, 0
	global_store_b32 v[17:18], v19, off
	s_cbranch_execz .LBB74_198
; %bb.196:
	v_mov_b32_e32 v16, s0
	s_branch .LBB74_199
.LBB74_197:
	s_mov_b32 s0, -1
.LBB74_198:
	v_add_co_u32 v17, vcc_lo, v34, v74
	v_add_co_ci_u32_e32 v18, vcc_lo, v35, v75, vcc_lo
	flat_load_b32 v17, v[17:18]
	s_waitcnt vmcnt(0) lgkmcnt(0)
	v_mul_f32_e32 v19, s18, v17
	v_add_co_u32 v17, vcc_lo, v32, v74
	v_add_co_ci_u32_e32 v18, vcc_lo, v33, v75, vcc_lo
	s_delay_alu instid0(VALU_DEP_3)
	v_min_f32_e32 v16, v19, v16
	v_add_co_u32 v19, vcc_lo, v34, v72
	v_add_co_ci_u32_e32 v20, vcc_lo, v35, v73, vcc_lo
	global_store_b32 v[17:18], v16, off
	flat_load_b32 v16, v[19:20]
	s_waitcnt vmcnt(0) lgkmcnt(0)
	v_mul_f32_e32 v16, s18, v16
.LBB74_199:
	v_dual_add_f32 v9, v9, v5 :: v_dual_add_f32 v8, v8, v4
	v_dual_add_f32 v13, v13, v5 :: v_dual_add_f32 v12, v12, v4
	v_dual_add_f32 v15, v15, v7 :: v_dual_add_f32 v14, v14, v6
	s_delay_alu instid0(VALU_DEP_3) | instskip(SKIP_1) | instid1(VALU_DEP_4)
	v_min3_f32 v8, v8, v9, v82
	v_dual_add_f32 v9, v11, v7 :: v_dual_add_f32 v10, v10, v6
	v_min3_f32 v12, v12, v13, v81
	s_delay_alu instid0(VALU_DEP_2) | instskip(SKIP_3) | instid1(VALU_DEP_4)
	v_min3_f32 v8, v10, v9, v8
	v_min_f32_e32 v11, v14, v15
	v_add_co_u32 v9, vcc_lo, v32, v72
	v_add_co_ci_u32_e32 v10, vcc_lo, v33, v73, vcc_lo
	v_max_f32_e32 v8, v8, v8
	s_delay_alu instid0(VALU_DEP_4)
	v_min3_f32 v11, v16, v11, v12
	s_mov_b32 vcc_lo, s2
	global_store_b32 v[9:10], v11, off
	s_cbranch_vccz .LBB74_202
; %bb.200:
	v_add_co_u32 v9, vcc_lo, v32, v78
	v_min_f32_e32 v11, 0, v8
	v_add_co_ci_u32_e32 v10, vcc_lo, v33, v79, vcc_lo
	s_mov_b32 s0, 0
	global_store_b32 v[9:10], v11, off
	s_cbranch_execz .LBB74_203
; %bb.201:
	v_mov_b32_e32 v8, s0
	s_branch .LBB74_204
.LBB74_202:
	s_mov_b32 s0, -1
.LBB74_203:
	v_add_co_u32 v9, vcc_lo, v34, v78
	v_add_co_ci_u32_e32 v10, vcc_lo, v35, v79, vcc_lo
	flat_load_b32 v9, v[9:10]
	s_waitcnt vmcnt(0) lgkmcnt(0)
	v_mul_f32_e32 v11, s18, v9
	v_add_co_u32 v9, vcc_lo, v32, v78
	v_add_co_ci_u32_e32 v10, vcc_lo, v33, v79, vcc_lo
	s_delay_alu instid0(VALU_DEP_3)
	v_min_f32_e32 v8, v11, v8
	v_add_co_u32 v11, vcc_lo, v34, v76
	v_add_co_ci_u32_e32 v12, vcc_lo, v35, v77, vcc_lo
	global_store_b32 v[9:10], v8, off
	flat_load_b32 v8, v[11:12]
	s_waitcnt vmcnt(0) lgkmcnt(0)
	v_mul_f32_e32 v8, s18, v8
.LBB74_204:
	v_dual_add_f32 v3, v3, v7 :: v_dual_add_f32 v2, v2, v6
	v_dual_add_f32 v1, v1, v5 :: v_dual_add_f32 v0, v0, v4
	s_delay_alu instid0(VALU_DEP_2) | instskip(NEXT) | instid1(VALU_DEP_2)
	v_min_f32_e32 v2, v2, v3
	v_min3_f32 v0, v0, v1, v80
	s_delay_alu instid0(VALU_DEP_1)
	v_min3_f32 v2, v8, v2, v0
	v_add_co_u32 v0, vcc_lo, v32, v76
	v_add_co_ci_u32_e32 v1, vcc_lo, v33, v77, vcc_lo
	global_store_b32 v[0:1], v2, off
	s_nop 0
	s_sendmsg sendmsg(MSG_DEALLOC_VGPRS)
	s_endpgm
	.section	.rodata,"a",@progbits
	.p2align	6, 0x0
	.amdhsa_kernel _ZN12_GLOBAL__N_120geam_min_plus_kernelIf15HIP_vector_typeIfLj2EEfLi8ELi32ELi64ELi256ELi4ELi4ELi64ELi64ELi4ELc84ELc84ELb0ELb0ELb1EfKffEEviiiT16_PT17_ilS6_ilS4_S6_ilPT18_ili26rocblas_geam_ex_operation_
		.amdhsa_group_segment_fixed_size 10240
		.amdhsa_private_segment_fixed_size 80
		.amdhsa_kernarg_size 128
		.amdhsa_user_sgpr_count 14
		.amdhsa_user_sgpr_dispatch_ptr 0
		.amdhsa_user_sgpr_queue_ptr 0
		.amdhsa_user_sgpr_kernarg_segment_ptr 1
		.amdhsa_user_sgpr_dispatch_id 0
		.amdhsa_user_sgpr_private_segment_size 0
		.amdhsa_wavefront_size32 1
		.amdhsa_uses_dynamic_stack 0
		.amdhsa_enable_private_segment 1
		.amdhsa_system_sgpr_workgroup_id_x 1
		.amdhsa_system_sgpr_workgroup_id_y 0
		.amdhsa_system_sgpr_workgroup_id_z 1
		.amdhsa_system_sgpr_workgroup_info 0
		.amdhsa_system_vgpr_workitem_id 1
		.amdhsa_next_free_vgpr 256
		.amdhsa_next_free_sgpr 24
		.amdhsa_reserve_vcc 1
		.amdhsa_float_round_mode_32 0
		.amdhsa_float_round_mode_16_64 0
		.amdhsa_float_denorm_mode_32 3
		.amdhsa_float_denorm_mode_16_64 3
		.amdhsa_dx10_clamp 1
		.amdhsa_ieee_mode 1
		.amdhsa_fp16_overflow 0
		.amdhsa_workgroup_processor_mode 1
		.amdhsa_memory_ordered 1
		.amdhsa_forward_progress 0
		.amdhsa_shared_vgpr_count 0
		.amdhsa_exception_fp_ieee_invalid_op 0
		.amdhsa_exception_fp_denorm_src 0
		.amdhsa_exception_fp_ieee_div_zero 0
		.amdhsa_exception_fp_ieee_overflow 0
		.amdhsa_exception_fp_ieee_underflow 0
		.amdhsa_exception_fp_ieee_inexact 0
		.amdhsa_exception_int_div_zero 0
	.end_amdhsa_kernel
	.section	.text._ZN12_GLOBAL__N_120geam_min_plus_kernelIf15HIP_vector_typeIfLj2EEfLi8ELi32ELi64ELi256ELi4ELi4ELi64ELi64ELi4ELc84ELc84ELb0ELb0ELb1EfKffEEviiiT16_PT17_ilS6_ilS4_S6_ilPT18_ili26rocblas_geam_ex_operation_,"axG",@progbits,_ZN12_GLOBAL__N_120geam_min_plus_kernelIf15HIP_vector_typeIfLj2EEfLi8ELi32ELi64ELi256ELi4ELi4ELi64ELi64ELi4ELc84ELc84ELb0ELb0ELb1EfKffEEviiiT16_PT17_ilS6_ilS4_S6_ilPT18_ili26rocblas_geam_ex_operation_,comdat
.Lfunc_end74:
	.size	_ZN12_GLOBAL__N_120geam_min_plus_kernelIf15HIP_vector_typeIfLj2EEfLi8ELi32ELi64ELi256ELi4ELi4ELi64ELi64ELi4ELc84ELc84ELb0ELb0ELb1EfKffEEviiiT16_PT17_ilS6_ilS4_S6_ilPT18_ili26rocblas_geam_ex_operation_, .Lfunc_end74-_ZN12_GLOBAL__N_120geam_min_plus_kernelIf15HIP_vector_typeIfLj2EEfLi8ELi32ELi64ELi256ELi4ELi4ELi64ELi64ELi4ELc84ELc84ELb0ELb0ELb1EfKffEEviiiT16_PT17_ilS6_ilS4_S6_ilPT18_ili26rocblas_geam_ex_operation_
                                        ; -- End function
	.section	.AMDGPU.csdata,"",@progbits
; Kernel info:
; codeLenInByte = 18044
; NumSgprs: 26
; NumVgprs: 256
; ScratchSize: 80
; MemoryBound: 0
; FloatMode: 240
; IeeeMode: 1
; LDSByteSize: 10240 bytes/workgroup (compile time only)
; SGPRBlocks: 3
; VGPRBlocks: 31
; NumSGPRsForWavesPerEU: 26
; NumVGPRsForWavesPerEU: 256
; Occupancy: 5
; WaveLimiterHint : 1
; COMPUTE_PGM_RSRC2:SCRATCH_EN: 1
; COMPUTE_PGM_RSRC2:USER_SGPR: 14
; COMPUTE_PGM_RSRC2:TRAP_HANDLER: 0
; COMPUTE_PGM_RSRC2:TGID_X_EN: 1
; COMPUTE_PGM_RSRC2:TGID_Y_EN: 0
; COMPUTE_PGM_RSRC2:TGID_Z_EN: 1
; COMPUTE_PGM_RSRC2:TIDIG_COMP_CNT: 1
	.section	.text._ZN12_GLOBAL__N_120geam_min_plus_kernelIf15HIP_vector_typeIfLj2EEfLi8ELi32ELi64ELi256ELi4ELi4ELi64ELi64ELi4ELc84ELc84ELb0ELb1ELb1EPKfS3_fEEviiiT16_PT17_ilS7_ilS5_S7_ilPT18_ili26rocblas_geam_ex_operation_,"axG",@progbits,_ZN12_GLOBAL__N_120geam_min_plus_kernelIf15HIP_vector_typeIfLj2EEfLi8ELi32ELi64ELi256ELi4ELi4ELi64ELi64ELi4ELc84ELc84ELb0ELb1ELb1EPKfS3_fEEviiiT16_PT17_ilS7_ilS5_S7_ilPT18_ili26rocblas_geam_ex_operation_,comdat
	.globl	_ZN12_GLOBAL__N_120geam_min_plus_kernelIf15HIP_vector_typeIfLj2EEfLi8ELi32ELi64ELi256ELi4ELi4ELi64ELi64ELi4ELc84ELc84ELb0ELb1ELb1EPKfS3_fEEviiiT16_PT17_ilS7_ilS5_S7_ilPT18_ili26rocblas_geam_ex_operation_ ; -- Begin function _ZN12_GLOBAL__N_120geam_min_plus_kernelIf15HIP_vector_typeIfLj2EEfLi8ELi32ELi64ELi256ELi4ELi4ELi64ELi64ELi4ELc84ELc84ELb0ELb1ELb1EPKfS3_fEEviiiT16_PT17_ilS7_ilS5_S7_ilPT18_ili26rocblas_geam_ex_operation_
	.p2align	8
	.type	_ZN12_GLOBAL__N_120geam_min_plus_kernelIf15HIP_vector_typeIfLj2EEfLi8ELi32ELi64ELi256ELi4ELi4ELi64ELi64ELi4ELc84ELc84ELb0ELb1ELb1EPKfS3_fEEviiiT16_PT17_ilS7_ilS5_S7_ilPT18_ili26rocblas_geam_ex_operation_,@function
_ZN12_GLOBAL__N_120geam_min_plus_kernelIf15HIP_vector_typeIfLj2EEfLi8ELi32ELi64ELi256ELi4ELi4ELi64ELi64ELi4ELc84ELc84ELb0ELb1ELb1EPKfS3_fEEviiiT16_PT17_ilS7_ilS5_S7_ilPT18_ili26rocblas_geam_ex_operation_: ; @_ZN12_GLOBAL__N_120geam_min_plus_kernelIf15HIP_vector_typeIfLj2EEfLi8ELi32ELi64ELi256ELi4ELi4ELi64ELi64ELi4ELc84ELc84ELb0ELb1ELb1EPKfS3_fEEviiiT16_PT17_ilS7_ilS5_S7_ilPT18_ili26rocblas_geam_ex_operation_
; %bb.0:
	s_clause 0x1
	s_load_b128 s[16:19], s[0:1], 0x10
	s_load_b128 s[4:7], s[0:1], 0x28
	s_mov_b32 s20, s15
	s_mov_b32 s21, 0
	s_mov_b64 s[22:23], 0
	s_lshl_b64 s[12:13], s[20:21], 2
	s_mov_b64 s[24:25], 0
	s_waitcnt lgkmcnt(0)
	s_add_u32 s2, s16, s12
	s_addc_u32 s3, s17, s13
	s_load_b32 s26, s[2:3], 0x0
	s_clause 0x1
	s_load_b128 s[8:11], s[0:1], 0x40
	s_load_b64 s[2:3], s[0:1], 0x50
	s_waitcnt lgkmcnt(0)
	v_cmp_eq_f32_e64 s27, s26, 0
	s_add_u32 s10, s10, s12
	v_cmp_neq_f32_e64 s12, s26, 0
	s_addc_u32 s11, s11, s13
	s_delay_alu instid0(VALU_DEP_2)
	s_and_b32 vcc_lo, exec_lo, s27
	s_cbranch_vccnz .LBB75_2
; %bb.1:
	s_mul_i32 s5, s20, s5
	s_mul_hi_u32 s13, s20, s4
	s_mul_i32 s4, s20, s4
	s_add_i32 s5, s13, s5
	s_delay_alu instid0(SALU_CYCLE_1) | instskip(NEXT) | instid1(SALU_CYCLE_1)
	s_lshl_b64 s[4:5], s[4:5], 2
	s_add_u32 s24, s18, s4
	s_addc_u32 s25, s19, s5
.LBB75_2:
	s_load_b32 s15, s[10:11], 0x0
	s_and_not1_b32 vcc_lo, exec_lo, s12
	s_cbranch_vccnz .LBB75_4
; %bb.3:
	s_mul_i32 s4, s20, s9
	s_mul_hi_u32 s5, s20, s8
	s_delay_alu instid0(SALU_CYCLE_1) | instskip(SKIP_1) | instid1(SALU_CYCLE_1)
	s_add_i32 s5, s5, s4
	s_mul_i32 s4, s20, s8
	s_lshl_b64 s[4:5], s[4:5], 2
	s_delay_alu instid0(SALU_CYCLE_1)
	s_add_u32 s22, s6, s4
	s_addc_u32 s23, s7, s5
.LBB75_4:
	s_load_b128 s[8:11], s[0:1], 0x60
	s_waitcnt lgkmcnt(0)
	v_cmp_eq_f32_e64 s4, s15, 0
	v_cmp_neq_f32_e64 s21, s15, 0
	s_delay_alu instid0(VALU_DEP_2)
	s_and_b32 vcc_lo, exec_lo, s4
	s_cbranch_vccnz .LBB75_6
; %bb.5:
	s_mul_i32 s4, s20, s9
	s_mul_hi_u32 s5, s20, s8
	s_delay_alu instid0(SALU_CYCLE_1) | instskip(SKIP_1) | instid1(SALU_CYCLE_1)
	s_add_i32 s5, s5, s4
	s_mul_i32 s4, s20, s8
	s_lshl_b64 s[4:5], s[4:5], 2
	s_delay_alu instid0(SALU_CYCLE_1)
	s_add_u32 s12, s2, s4
	s_addc_u32 s13, s3, s5
	s_branch .LBB75_7
.LBB75_6:
	s_mov_b64 s[12:13], 0
.LBB75_7:
	s_clause 0x1
	s_load_b128 s[16:19], s[0:1], 0x0
	s_load_b32 s28, s[0:1], 0x20
	v_and_b32_e32 v68, 0x3ff, v0
	v_bfe_u32 v69, v0, 10, 10
	s_delay_alu instid0(VALU_DEP_2) | instskip(NEXT) | instid1(VALU_DEP_2)
	v_and_b32_e32 v70, 3, v68
	v_lshl_add_u32 v2, v69, 3, v68
	s_delay_alu instid0(VALU_DEP_2) | instskip(NEXT) | instid1(VALU_DEP_2)
	v_lshlrev_b32_e32 v66, 2, v70
	v_lshrrev_b32_e32 v0, 2, v2
	s_waitcnt lgkmcnt(0)
	s_add_i32 s4, s16, -1
	s_delay_alu instid0(SALU_CYCLE_1) | instskip(NEXT) | instid1(SALU_CYCLE_1)
	s_ashr_i32 s2, s4, 31
	s_lshr_b32 s2, s2, 26
	s_delay_alu instid0(SALU_CYCLE_1) | instskip(NEXT) | instid1(SALU_CYCLE_1)
	s_add_i32 s2, s4, s2
	s_ashr_i32 s2, s2, 6
	s_delay_alu instid0(SALU_CYCLE_1) | instskip(SKIP_2) | instid1(VALU_DEP_1)
	s_add_i32 s5, s2, 1
	s_not_b32 s2, s2
	v_cvt_f32_u32_e32 v1, s5
	v_rcp_iflag_f32_e32 v1, v1
	s_waitcnt_depctr 0xfff
	v_mul_f32_e32 v1, 0x4f7ffffe, v1
	s_delay_alu instid0(VALU_DEP_1) | instskip(NEXT) | instid1(VALU_DEP_1)
	v_cvt_u32_f32_e32 v1, v1
	v_readfirstlane_b32 s3, v1
	s_delay_alu instid0(VALU_DEP_1) | instskip(NEXT) | instid1(SALU_CYCLE_1)
	s_mul_i32 s2, s2, s3
	s_mul_hi_u32 s2, s3, s2
	s_delay_alu instid0(SALU_CYCLE_1) | instskip(NEXT) | instid1(SALU_CYCLE_1)
	s_add_i32 s3, s3, s2
	s_mul_hi_u32 s2, s14, s3
	s_delay_alu instid0(SALU_CYCLE_1) | instskip(SKIP_2) | instid1(SALU_CYCLE_1)
	s_mul_i32 s3, s2, s5
	s_add_i32 s6, s2, 1
	s_sub_i32 s3, s14, s3
	s_sub_i32 s7, s3, s5
	s_cmp_ge_u32 s3, s5
	s_cselect_b32 s2, s6, s2
	s_cselect_b32 s3, s7, s3
	s_add_i32 s6, s2, 1
	s_cmp_ge_u32 s3, s5
	s_cselect_b32 s3, s6, s2
	s_delay_alu instid0(SALU_CYCLE_1) | instskip(NEXT) | instid1(SALU_CYCLE_1)
	s_mul_i32 s2, s3, s5
	s_sub_i32 s2, s14, s2
	s_delay_alu instid0(SALU_CYCLE_1) | instskip(SKIP_2) | instid1(VALU_DEP_1)
	s_lshl_b32 s8, s2, 6
	v_cmp_le_i32_e64 s2, s18, v70
	v_add_nc_u32_e32 v1, s8, v0
	v_cmp_le_i32_e32 vcc_lo, s16, v1
	v_min_i32_e32 v67, s4, v1
	s_delay_alu instid0(VALU_DEP_4) | instskip(NEXT) | instid1(SALU_CYCLE_1)
	s_or_b32 s2, s2, vcc_lo
	v_cndmask_b32_e64 v1, 0, 0x7f7fffff, s2
	s_or_b32 s2, s27, s2
	s_delay_alu instid0(SALU_CYCLE_1) | instskip(NEXT) | instid1(SALU_CYCLE_1)
	s_xor_b32 s2, s2, -1
	s_and_saveexec_b32 s4, s2
	s_cbranch_execz .LBB75_9
; %bb.8:
	v_mad_i64_i32 v[3:4], null, v67, s28, 0
	s_delay_alu instid0(VALU_DEP_1) | instskip(NEXT) | instid1(VALU_DEP_1)
	v_lshlrev_b64 v[3:4], 2, v[3:4]
	v_add_co_u32 v1, s2, s24, v3
	s_delay_alu instid0(VALU_DEP_1) | instskip(NEXT) | instid1(VALU_DEP_2)
	v_add_co_ci_u32_e64 v4, s2, s25, v4, s2
	v_add_co_u32 v3, s2, v1, v66
	s_delay_alu instid0(VALU_DEP_1)
	v_add_co_ci_u32_e64 v4, s2, 0, v4, s2
	flat_load_b32 v1, v[3:4]
	s_waitcnt vmcnt(0) lgkmcnt(0)
	v_mul_f32_e32 v1, s26, v1
.LBB75_9:
	s_or_b32 exec_lo, exec_lo, s4
	s_load_b32 s14, s[0:1], 0x38
	v_lshrrev_b32_e32 v71, 6, v2
	s_add_i32 s19, s18, -1
	v_and_b32_e32 v2, 63, v2
	s_lshl_b32 s9, s3, 8
	s_delay_alu instid0(VALU_DEP_2) | instskip(SKIP_1) | instid1(VALU_DEP_3)
	v_min_i32_e32 v5, s19, v71
	v_cmp_le_i32_e64 s6, s18, v71
	v_or_b32_e32 v64, s9, v2
	s_delay_alu instid0(VALU_DEP_1) | instskip(SKIP_1) | instid1(VALU_DEP_2)
	v_cmp_le_i32_e64 s2, s17, v64
	v_ashrrev_i32_e32 v65, 31, v64
	s_or_b32 s4, s2, s6
	s_waitcnt lgkmcnt(0)
	v_mad_i64_i32 v[3:4], null, s14, v5, 0
	s_delay_alu instid0(VALU_DEP_1) | instskip(SKIP_1) | instid1(VALU_DEP_2)
	v_lshlrev_b64 v[4:5], 2, v[3:4]
	v_cndmask_b32_e64 v3, 0, 0x7f7fffff, s4
	v_add_co_u32 v7, s3, s22, v4
	s_delay_alu instid0(VALU_DEP_1) | instskip(SKIP_1) | instid1(SALU_CYCLE_1)
	v_add_co_ci_u32_e64 v8, s3, s23, v5, s3
	s_or_b32 s3, s27, s4
	s_xor_b32 s3, s3, -1
	s_delay_alu instid0(SALU_CYCLE_1)
	s_and_saveexec_b32 s4, s3
	s_cbranch_execz .LBB75_11
; %bb.10:
	v_lshlrev_b64 v[3:4], 2, v[64:65]
	s_delay_alu instid0(VALU_DEP_1) | instskip(NEXT) | instid1(VALU_DEP_1)
	v_add_co_u32 v3, s3, v7, v3
	v_add_co_ci_u32_e64 v4, s3, v8, v4, s3
	flat_load_b32 v3, v[3:4]
	s_waitcnt vmcnt(0) lgkmcnt(0)
	v_mul_f32_e32 v3, s26, v3
.LBB75_11:
	s_or_b32 exec_lo, exec_lo, s4
	v_or_b32_e32 v4, 64, v64
	s_delay_alu instid0(VALU_DEP_1) | instskip(NEXT) | instid1(VALU_DEP_1)
	v_cmp_le_i32_e64 s3, s17, v4
	s_or_b32 s4, s3, s6
	s_delay_alu instid0(SALU_CYCLE_1) | instskip(SKIP_1) | instid1(SALU_CYCLE_1)
	v_cndmask_b32_e64 v4, 0, 0x7f7fffff, s4
	s_or_b32 s4, s27, s4
	s_xor_b32 s4, s4, -1
	s_delay_alu instid0(SALU_CYCLE_1)
	s_and_saveexec_b32 s5, s4
	s_cbranch_execz .LBB75_13
; %bb.12:
	v_lshlrev_b64 v[4:5], 2, v[64:65]
	s_delay_alu instid0(VALU_DEP_1) | instskip(NEXT) | instid1(VALU_DEP_1)
	v_add_co_u32 v4, s4, v7, v4
	v_add_co_ci_u32_e64 v5, s4, v8, v5, s4
	flat_load_b32 v4, v[4:5] offset:256
	s_waitcnt vmcnt(0) lgkmcnt(0)
	v_mul_f32_e32 v4, s26, v4
.LBB75_13:
	s_or_b32 exec_lo, exec_lo, s5
	v_or_b32_e32 v5, 0x80, v64
	s_delay_alu instid0(VALU_DEP_1) | instskip(NEXT) | instid1(VALU_DEP_1)
	v_cmp_le_i32_e64 s4, s17, v5
	s_or_b32 s5, s4, s6
	s_delay_alu instid0(SALU_CYCLE_1) | instskip(SKIP_1) | instid1(SALU_CYCLE_1)
	v_cndmask_b32_e64 v5, 0, 0x7f7fffff, s5
	s_or_b32 s5, s27, s5
	s_xor_b32 s5, s5, -1
	s_delay_alu instid0(SALU_CYCLE_1)
	s_and_saveexec_b32 s7, s5
	s_cbranch_execz .LBB75_15
; %bb.14:
	v_lshlrev_b64 v[5:6], 2, v[64:65]
	s_delay_alu instid0(VALU_DEP_1) | instskip(NEXT) | instid1(VALU_DEP_1)
	v_add_co_u32 v5, s5, v7, v5
	v_add_co_ci_u32_e64 v6, s5, v8, v6, s5
	flat_load_b32 v5, v[5:6] offset:512
	s_waitcnt vmcnt(0) lgkmcnt(0)
	v_mul_f32_e32 v5, s26, v5
.LBB75_15:
	;; [unrolled: 21-line block ×3, first 2 shown]
	s_or_b32 exec_lo, exec_lo, s7
	v_or_b32_e32 v7, 4, v70
	s_delay_alu instid0(VALU_DEP_1) | instskip(NEXT) | instid1(VALU_DEP_1)
	v_cmp_le_i32_e64 s6, s18, v7
	s_or_b32 s6, s6, vcc_lo
	s_delay_alu instid0(SALU_CYCLE_1) | instskip(SKIP_1) | instid1(SALU_CYCLE_1)
	v_cndmask_b32_e64 v121, 0, 0x7f7fffff, s6
	s_or_b32 s6, s27, s6
	s_xor_b32 s6, s6, -1
	s_delay_alu instid0(SALU_CYCLE_1)
	s_and_saveexec_b32 s7, s6
	s_cbranch_execz .LBB75_19
; %bb.18:
	v_mad_i64_i32 v[7:8], null, v67, s28, 0
	s_delay_alu instid0(VALU_DEP_1) | instskip(NEXT) | instid1(VALU_DEP_1)
	v_lshlrev_b64 v[7:8], 2, v[7:8]
	v_add_co_u32 v7, s6, s24, v7
	s_delay_alu instid0(VALU_DEP_1) | instskip(NEXT) | instid1(VALU_DEP_2)
	v_add_co_ci_u32_e64 v8, s6, s25, v8, s6
	v_add_co_u32 v7, s6, v7, v66
	s_delay_alu instid0(VALU_DEP_1)
	v_add_co_ci_u32_e64 v8, s6, 0, v8, s6
	flat_load_b32 v7, v[7:8] offset:16
	s_waitcnt vmcnt(0) lgkmcnt(0)
	v_mul_f32_e32 v121, s26, v7
.LBB75_19:
	s_or_b32 exec_lo, exec_lo, s7
	v_add_nc_u32_e32 v9, 4, v71
	s_delay_alu instid0(VALU_DEP_1) | instskip(SKIP_1) | instid1(VALU_DEP_2)
	v_min_i32_e32 v10, s19, v9
	v_cmp_le_i32_e64 s6, s18, v9
	v_mad_i64_i32 v[7:8], null, s14, v10, 0
	s_delay_alu instid0(VALU_DEP_1) | instskip(NEXT) | instid1(VALU_DEP_1)
	v_lshlrev_b64 v[7:8], 2, v[7:8]
	v_add_co_u32 v7, s7, s22, v7
	s_delay_alu instid0(VALU_DEP_1) | instskip(SKIP_1) | instid1(SALU_CYCLE_1)
	v_add_co_ci_u32_e64 v8, s7, s23, v8, s7
	s_or_b32 s7, s2, s6
	v_cndmask_b32_e64 v131, 0, 0x7f7fffff, s7
	s_or_b32 s7, s27, s7
	s_delay_alu instid0(SALU_CYCLE_1) | instskip(NEXT) | instid1(SALU_CYCLE_1)
	s_xor_b32 s7, s7, -1
	s_and_saveexec_b32 s29, s7
	s_cbranch_execz .LBB75_21
; %bb.20:
	v_lshlrev_b64 v[9:10], 2, v[64:65]
	s_delay_alu instid0(VALU_DEP_1) | instskip(NEXT) | instid1(VALU_DEP_1)
	v_add_co_u32 v9, s7, v7, v9
	v_add_co_ci_u32_e64 v10, s7, v8, v10, s7
	flat_load_b32 v9, v[9:10]
	s_waitcnt vmcnt(0) lgkmcnt(0)
	v_mul_f32_e32 v131, s26, v9
.LBB75_21:
	s_or_b32 exec_lo, exec_lo, s29
	s_or_b32 s7, s3, s6
	s_delay_alu instid0(SALU_CYCLE_1) | instskip(SKIP_1) | instid1(SALU_CYCLE_1)
	v_cndmask_b32_e64 v141, 0, 0x7f7fffff, s7
	s_or_b32 s7, s27, s7
	s_xor_b32 s7, s7, -1
	s_delay_alu instid0(SALU_CYCLE_1)
	s_and_saveexec_b32 s29, s7
	s_cbranch_execz .LBB75_23
; %bb.22:
	v_lshlrev_b64 v[9:10], 2, v[64:65]
	s_delay_alu instid0(VALU_DEP_1) | instskip(NEXT) | instid1(VALU_DEP_1)
	v_add_co_u32 v9, s7, v7, v9
	v_add_co_ci_u32_e64 v10, s7, v8, v10, s7
	flat_load_b32 v9, v[9:10] offset:256
	s_waitcnt vmcnt(0) lgkmcnt(0)
	v_mul_f32_e32 v141, s26, v9
.LBB75_23:
	s_or_b32 exec_lo, exec_lo, s29
	s_or_b32 s7, s4, s6
	s_delay_alu instid0(SALU_CYCLE_1) | instskip(SKIP_1) | instid1(SALU_CYCLE_1)
	v_cndmask_b32_e64 v142, 0, 0x7f7fffff, s7
	s_or_b32 s7, s27, s7
	s_xor_b32 s7, s7, -1
	s_delay_alu instid0(SALU_CYCLE_1)
	s_and_saveexec_b32 s29, s7
	s_cbranch_execz .LBB75_25
; %bb.24:
	v_lshlrev_b64 v[9:10], 2, v[64:65]
	s_delay_alu instid0(VALU_DEP_1) | instskip(NEXT) | instid1(VALU_DEP_1)
	v_add_co_u32 v9, s7, v7, v9
	v_add_co_ci_u32_e64 v10, s7, v8, v10, s7
	flat_load_b32 v9, v[9:10] offset:512
	s_waitcnt vmcnt(0) lgkmcnt(0)
	v_mul_f32_e32 v142, s26, v9
.LBB75_25:
	;; [unrolled: 18-line block ×3, first 2 shown]
	s_or_b32 exec_lo, exec_lo, s7
	v_lshl_or_b32 v143, v0, 4, v66
	v_lshlrev_b32_e32 v0, 2, v71
	v_lshlrev_b32_e32 v72, 4, v68
	s_cmp_lt_i32 s18, 9
	ds_store_b32 v143, v1 offset:8192
	v_lshl_add_u32 v74, v2, 4, v0
	ds_store_2addr_stride64_b32 v74, v3, v4 offset1:4
	ds_store_2addr_stride64_b32 v74, v5, v6 offset0:8 offset1:12
	s_waitcnt lgkmcnt(0)
	s_barrier
	buffer_gl0_inv
	ds_load_b128 v[32:35], v72 offset:8192
	ds_load_b128 v[28:31], v72 offset:8320
	;; [unrolled: 1-line block ×8, first 2 shown]
	v_lshlrev_b32_e32 v73, 4, v69
	ds_load_b128 v[60:63], v73
	ds_load_b128 v[56:59], v73 offset:512
	ds_load_b128 v[52:55], v73 offset:1024
	ds_load_b128 v[48:51], v73 offset:1536
	ds_load_b128 v[44:47], v73 offset:2048
	ds_load_b128 v[40:43], v73 offset:2560
	ds_load_b128 v[36:39], v73 offset:3072
	ds_load_b128 v[20:23], v73 offset:3584
	ds_store_b32 v143, v121 offset:9216
	ds_store_2addr_stride64_b32 v74, v131, v141 offset0:16 offset1:20
	ds_store_2addr_stride64_b32 v74, v142, v144 offset0:24 offset1:28
	s_waitcnt lgkmcnt(0)
	s_barrier
	buffer_gl0_inv
	v_dual_add_f32 v76, v32, v60 :: v_dual_add_f32 v75, v33, v61
	v_add_f32_e32 v77, v28, v60
	v_add_f32_e32 v78, v24, v60
	;; [unrolled: 1-line block ×4, first 2 shown]
	v_min3_f32 v75, v76, v75, 0x7f7fffff
	v_dual_add_f32 v76, v29, v61 :: v_dual_add_f32 v79, v16, v60
	s_delay_alu instid0(VALU_DEP_1) | instskip(SKIP_1) | instid1(VALU_DEP_1)
	v_min3_f32 v76, v77, v76, 0x7f7fffff
	v_add_f32_e32 v77, v25, v61
	v_min3_f32 v77, v78, v77, 0x7f7fffff
	v_add_f32_e32 v78, v17, v61
	s_delay_alu instid0(VALU_DEP_1) | instskip(SKIP_1) | instid1(VALU_DEP_1)
	v_min3_f32 v78, v79, v78, 0x7f7fffff
	v_add_f32_e32 v79, v13, v61
	v_min3_f32 v80, v80, v79, 0x7f7fffff
	v_add_f32_e32 v79, v9, v61
	s_delay_alu instid0(VALU_DEP_1) | instskip(SKIP_3) | instid1(VALU_DEP_1)
	v_min3_f32 v117, v81, v79, 0x7f7fffff
	v_add_f32_e32 v79, v5, v61
	v_add_f32_e32 v81, v4, v60
	v_dual_add_f32 v61, v1, v61 :: v_dual_add_f32 v60, v0, v60
	v_min3_f32 v119, v60, v61, 0x7f7fffff
	v_dual_add_f32 v60, v33, v57 :: v_dual_add_f32 v61, v32, v56
	s_delay_alu instid0(VALU_DEP_1) | instskip(SKIP_3) | instid1(VALU_DEP_3)
	v_min3_f32 v116, v61, v60, 0x7f7fffff
	v_dual_add_f32 v60, v29, v57 :: v_dual_add_f32 v61, v28, v56
	v_min3_f32 v118, v81, v79, 0x7f7fffff
	v_add_f32_e32 v79, v4, v36
	v_min3_f32 v115, v61, v60, 0x7f7fffff
	v_dual_add_f32 v60, v25, v57 :: v_dual_add_f32 v61, v24, v56
	s_delay_alu instid0(VALU_DEP_1) | instskip(SKIP_1) | instid1(VALU_DEP_1)
	v_min3_f32 v114, v61, v60, 0x7f7fffff
	v_dual_add_f32 v60, v17, v57 :: v_dual_add_f32 v61, v16, v56
	v_min3_f32 v113, v61, v60, 0x7f7fffff
	v_dual_add_f32 v60, v13, v57 :: v_dual_add_f32 v61, v12, v56
	s_delay_alu instid0(VALU_DEP_1) | instskip(SKIP_1) | instid1(VALU_DEP_1)
	v_min3_f32 v112, v61, v60, 0x7f7fffff
	v_dual_add_f32 v60, v9, v57 :: v_dual_add_f32 v61, v8, v56
	v_min3_f32 v111, v61, v60, 0x7f7fffff
	v_dual_add_f32 v60, v5, v57 :: v_dual_add_f32 v61, v4, v56
	v_dual_add_f32 v57, v1, v57 :: v_dual_add_f32 v56, v0, v56
	s_delay_alu instid0(VALU_DEP_1) | instskip(SKIP_1) | instid1(VALU_DEP_1)
	v_min3_f32 v109, v56, v57, 0x7f7fffff
	v_dual_add_f32 v56, v33, v53 :: v_dual_add_f32 v57, v32, v52
	v_min3_f32 v108, v57, v56, 0x7f7fffff
	v_dual_add_f32 v56, v29, v53 :: v_dual_add_f32 v57, v28, v52
	v_min3_f32 v110, v61, v60, 0x7f7fffff
	s_delay_alu instid0(VALU_DEP_2) | instskip(SKIP_1) | instid1(VALU_DEP_1)
	v_min3_f32 v107, v57, v56, 0x7f7fffff
	v_dual_add_f32 v56, v25, v53 :: v_dual_add_f32 v57, v24, v52
	v_min3_f32 v106, v57, v56, 0x7f7fffff
	v_dual_add_f32 v56, v17, v53 :: v_dual_add_f32 v57, v16, v52
	s_delay_alu instid0(VALU_DEP_1) | instskip(SKIP_1) | instid1(VALU_DEP_1)
	v_min3_f32 v105, v57, v56, 0x7f7fffff
	v_dual_add_f32 v56, v13, v53 :: v_dual_add_f32 v57, v12, v52
	v_min3_f32 v104, v57, v56, 0x7f7fffff
	v_dual_add_f32 v56, v9, v53 :: v_dual_add_f32 v57, v8, v52
	s_delay_alu instid0(VALU_DEP_1) | instskip(SKIP_2) | instid1(VALU_DEP_1)
	v_min3_f32 v103, v57, v56, 0x7f7fffff
	v_dual_add_f32 v56, v5, v53 :: v_dual_add_f32 v57, v4, v52
	v_dual_add_f32 v53, v1, v53 :: v_dual_add_f32 v52, v0, v52
	v_min3_f32 v101, v52, v53, 0x7f7fffff
	v_dual_add_f32 v52, v33, v49 :: v_dual_add_f32 v53, v32, v48
	s_delay_alu instid0(VALU_DEP_1) | instskip(SKIP_2) | instid1(VALU_DEP_2)
	v_min3_f32 v100, v53, v52, 0x7f7fffff
	v_dual_add_f32 v52, v29, v49 :: v_dual_add_f32 v53, v28, v48
	v_min3_f32 v102, v57, v56, 0x7f7fffff
	v_min3_f32 v99, v53, v52, 0x7f7fffff
	v_dual_add_f32 v52, v25, v49 :: v_dual_add_f32 v53, v24, v48
	s_delay_alu instid0(VALU_DEP_1) | instskip(SKIP_1) | instid1(VALU_DEP_1)
	v_min3_f32 v98, v53, v52, 0x7f7fffff
	v_dual_add_f32 v52, v17, v49 :: v_dual_add_f32 v53, v16, v48
	v_min3_f32 v97, v53, v52, 0x7f7fffff
	v_dual_add_f32 v52, v13, v49 :: v_dual_add_f32 v53, v12, v48
	s_delay_alu instid0(VALU_DEP_1) | instskip(SKIP_1) | instid1(VALU_DEP_1)
	v_min3_f32 v96, v53, v52, 0x7f7fffff
	v_dual_add_f32 v52, v9, v49 :: v_dual_add_f32 v53, v8, v48
	v_min3_f32 v95, v53, v52, 0x7f7fffff
	v_dual_add_f32 v52, v5, v49 :: v_dual_add_f32 v53, v4, v48
	v_dual_add_f32 v49, v1, v49 :: v_dual_add_f32 v48, v0, v48
	s_delay_alu instid0(VALU_DEP_1) | instskip(SKIP_1) | instid1(VALU_DEP_1)
	v_min3_f32 v93, v48, v49, 0x7f7fffff
	v_dual_add_f32 v48, v33, v45 :: v_dual_add_f32 v49, v32, v44
	v_min3_f32 v92, v49, v48, 0x7f7fffff
	v_dual_add_f32 v48, v29, v45 :: v_dual_add_f32 v49, v28, v44
	v_min3_f32 v94, v53, v52, 0x7f7fffff
	s_delay_alu instid0(VALU_DEP_2) | instskip(SKIP_1) | instid1(VALU_DEP_1)
	v_min3_f32 v91, v49, v48, 0x7f7fffff
	v_dual_add_f32 v48, v25, v45 :: v_dual_add_f32 v49, v24, v44
	v_min3_f32 v90, v49, v48, 0x7f7fffff
	v_dual_add_f32 v48, v17, v45 :: v_dual_add_f32 v49, v16, v44
	s_delay_alu instid0(VALU_DEP_1) | instskip(SKIP_1) | instid1(VALU_DEP_1)
	v_min3_f32 v89, v49, v48, 0x7f7fffff
	v_dual_add_f32 v48, v13, v45 :: v_dual_add_f32 v49, v12, v44
	v_min3_f32 v88, v49, v48, 0x7f7fffff
	v_dual_add_f32 v48, v9, v45 :: v_dual_add_f32 v49, v8, v44
	s_delay_alu instid0(VALU_DEP_1) | instskip(SKIP_2) | instid1(VALU_DEP_1)
	v_min3_f32 v87, v49, v48, 0x7f7fffff
	v_dual_add_f32 v48, v5, v45 :: v_dual_add_f32 v49, v4, v44
	v_dual_add_f32 v45, v1, v45 :: v_dual_add_f32 v44, v0, v44
	v_min3_f32 v85, v44, v45, 0x7f7fffff
	v_dual_add_f32 v44, v33, v41 :: v_dual_add_f32 v45, v32, v40
	s_delay_alu instid0(VALU_DEP_1) | instskip(SKIP_2) | instid1(VALU_DEP_2)
	v_min3_f32 v84, v45, v44, 0x7f7fffff
	v_dual_add_f32 v44, v29, v41 :: v_dual_add_f32 v45, v28, v40
	v_min3_f32 v86, v49, v48, 0x7f7fffff
	v_min3_f32 v83, v45, v44, 0x7f7fffff
	v_dual_add_f32 v44, v25, v41 :: v_dual_add_f32 v45, v24, v40
	s_delay_alu instid0(VALU_DEP_1) | instskip(SKIP_1) | instid1(VALU_DEP_1)
	v_min3_f32 v82, v45, v44, 0x7f7fffff
	v_dual_add_f32 v44, v17, v41 :: v_dual_add_f32 v45, v16, v40
	v_min3_f32 v61, v45, v44, 0x7f7fffff
	v_dual_add_f32 v44, v13, v41 :: v_dual_add_f32 v45, v12, v40
	s_delay_alu instid0(VALU_DEP_1) | instskip(SKIP_1) | instid1(VALU_DEP_1)
	v_min3_f32 v60, v45, v44, 0x7f7fffff
	v_dual_add_f32 v44, v9, v41 :: v_dual_add_f32 v45, v8, v40
	v_min3_f32 v57, v45, v44, 0x7f7fffff
	v_dual_add_f32 v44, v5, v41 :: v_dual_add_f32 v45, v4, v40
	v_dual_add_f32 v41, v1, v41 :: v_dual_add_f32 v40, v0, v40
	v_add_f32_e32 v4, v4, v20
	s_delay_alu instid0(VALU_DEP_2) | instskip(SKIP_2) | instid1(VALU_DEP_2)
	v_min3_f32 v53, v40, v41, 0x7f7fffff
	v_dual_add_f32 v40, v33, v37 :: v_dual_add_f32 v41, v32, v36
	v_dual_add_f32 v33, v33, v21 :: v_dual_add_f32 v32, v32, v20
	v_min3_f32 v52, v41, v40, 0x7f7fffff
	v_dual_add_f32 v40, v29, v37 :: v_dual_add_f32 v41, v28, v36
	v_min3_f32 v56, v45, v44, 0x7f7fffff
	;; [unrolled: 2-line block ×3, first 2 shown]
	s_delay_alu instid0(VALU_DEP_4) | instskip(SKIP_3) | instid1(VALU_DEP_3)
	v_min3_f32 v49, v41, v40, 0x7f7fffff
	v_dual_add_f32 v40, v25, v37 :: v_dual_add_f32 v41, v24, v36
	v_dual_add_f32 v25, v25, v21 :: v_dual_add_f32 v24, v24, v20
	v_min3_f32 v28, v28, v29, 0x7f7fffff
	v_min3_f32 v48, v41, v40, 0x7f7fffff
	v_dual_add_f32 v40, v17, v37 :: v_dual_add_f32 v41, v16, v36
	v_dual_add_f32 v17, v17, v21 :: v_dual_add_f32 v16, v16, v20
	v_min3_f32 v24, v24, v25, 0x7f7fffff
	s_delay_alu instid0(VALU_DEP_3) | instskip(SKIP_3) | instid1(VALU_DEP_3)
	v_min3_f32 v45, v41, v40, 0x7f7fffff
	v_dual_add_f32 v40, v13, v37 :: v_dual_add_f32 v41, v12, v36
	v_dual_add_f32 v13, v13, v21 :: v_dual_add_f32 v12, v12, v20
	v_min3_f32 v16, v16, v17, 0x7f7fffff
	v_min3_f32 v44, v41, v40, 0x7f7fffff
	v_dual_add_f32 v40, v9, v37 :: v_dual_add_f32 v41, v8, v36
	v_dual_add_f32 v36, v0, v36 :: v_dual_add_f32 v9, v9, v21
	v_add_f32_e32 v0, v0, v20
	v_add_f32_e32 v8, v8, v20
	s_delay_alu instid0(VALU_DEP_4)
	v_min3_f32 v41, v41, v40, 0x7f7fffff
	v_add_f32_e32 v40, v5, v37
	v_add_f32_e32 v37, v1, v37
	;; [unrolled: 1-line block ×4, first 2 shown]
	v_min3_f32 v12, v12, v13, 0x7f7fffff
	v_min3_f32 v40, v79, v40, 0x7f7fffff
	v_min3_f32 v36, v36, v37, 0x7f7fffff
	v_min3_f32 v4, v4, v5, 0x7f7fffff
	v_min3_f32 v0, v0, v1, 0x7f7fffff
	v_add_f32_e32 v1, v35, v63
	v_add_f32_e32 v5, v34, v62
	v_min3_f32 v8, v8, v9, 0x7f7fffff
	s_delay_alu instid0(VALU_DEP_2) | instskip(SKIP_2) | instid1(VALU_DEP_1)
	v_min3_f32 v81, v5, v1, v75
	v_add_f32_e32 v1, v31, v63
	v_add_f32_e32 v5, v30, v62
	v_min3_f32 v79, v5, v1, v76
	v_add_f32_e32 v1, v27, v63
	v_add_f32_e32 v5, v26, v62
	s_delay_alu instid0(VALU_DEP_1) | instskip(SKIP_2) | instid1(VALU_DEP_1)
	v_min3_f32 v77, v5, v1, v77
	v_add_f32_e32 v1, v19, v63
	v_add_f32_e32 v5, v18, v62
	v_min3_f32 v75, v5, v1, v78
	v_add_f32_e32 v1, v15, v63
	v_add_f32_e32 v5, v14, v62
	s_delay_alu instid0(VALU_DEP_1) | instskip(SKIP_2) | instid1(VALU_DEP_1)
	;; [unrolled: 7-line block ×26, first 2 shown]
	v_min3_f32 v93, v5, v1, v44
	v_add_f32_e32 v1, v11, v39
	v_add_f32_e32 v5, v10, v38
	v_min3_f32 v91, v5, v1, v41
	v_add_f32_e32 v1, v7, v39
	v_add_f32_e32 v5, v6, v38
	s_delay_alu instid0(VALU_DEP_1) | instskip(SKIP_3) | instid1(VALU_DEP_2)
	v_min3_f32 v90, v5, v1, v40
	v_add_f32_e32 v1, v3, v39
	v_add_f32_e32 v5, v2, v38
	;; [unrolled: 1-line block ×3, first 2 shown]
	v_min3_f32 v89, v5, v1, v36
	v_add_f32_e32 v1, v35, v23
	v_add_f32_e32 v5, v34, v22
	s_delay_alu instid0(VALU_DEP_1) | instskip(SKIP_2) | instid1(VALU_DEP_1)
	v_min3_f32 v88, v5, v1, v32
	v_add_f32_e32 v1, v31, v23
	v_add_f32_e32 v5, v30, v22
	v_min3_f32 v87, v5, v1, v28
	v_add_f32_e32 v1, v27, v23
	v_add_f32_e32 v5, v26, v22
	s_delay_alu instid0(VALU_DEP_1) | instskip(SKIP_2) | instid1(VALU_DEP_1)
	v_min3_f32 v86, v5, v1, v24
	v_add_f32_e32 v1, v19, v23
	v_add_f32_e32 v5, v18, v22
	;; [unrolled: 7-line block ×3, first 2 shown]
	v_min3_f32 v83, v5, v1, v8
	v_add_f32_e32 v1, v7, v23
	v_add_f32_e32 v5, v6, v22
	s_delay_alu instid0(VALU_DEP_1) | instskip(SKIP_1) | instid1(VALU_DEP_1)
	v_min3_f32 v82, v5, v1, v4
	v_add_f32_e32 v1, v3, v23
	v_min3_f32 v92, v2, v1, v0
	s_cbranch_scc1 .LBB75_50
; %bb.28:
	v_mad_i64_i32 v[0:1], null, v67, s28, 0
	v_lshlrev_b64 v[64:65], 2, v[64:65]
	v_add_nc_u32_e32 v121, 0x2000, v143
	v_add_nc_u32_e32 v131, 0x2000, v72
	;; [unrolled: 1-line block ×3, first 2 shown]
	v_or_b32_e32 v142, 0x1000, v74
	v_lshl_add_u32 v143, v68, 4, 0x2400
	v_lshlrev_b64 v[0:1], 2, v[0:1]
	v_lshl_add_u32 v144, v69, 4, 0x1000
	s_delay_alu instid0(VALU_DEP_2) | instskip(NEXT) | instid1(VALU_DEP_1)
	v_add_co_u32 v0, s6, v0, v66
	v_add_co_ci_u32_e64 v1, s6, 0, v1, s6
	s_delay_alu instid0(VALU_DEP_2) | instskip(NEXT) | instid1(VALU_DEP_1)
	v_add_co_u32 v0, s6, v0, s24
	v_add_co_ci_u32_e64 v1, s6, s25, v1, s6
	s_add_i32 s24, s18, -8
	s_delay_alu instid0(VALU_DEP_2) | instskip(NEXT) | instid1(VALU_DEP_1)
	v_add_co_u32 v66, s6, v0, 48
	v_add_co_ci_u32_e64 v67, s6, 0, v1, s6
	s_mov_b32 s25, 0
	s_branch .LBB75_30
.LBB75_29:                              ;   in Loop: Header=BB75_30 Depth=1
	s_or_b32 exec_lo, exec_lo, s7
	ds_load_b128 v[87:90], v73
	ds_load_b128 v[149:152], v131
	ds_load_b128 v[153:156], v131 offset:128
	ds_load_b128 v[157:160], v131 offset:256
	ds_load_b128 v[161:164], v131 offset:384
	ds_load_b128 v[165:168], v131 offset:512
	ds_load_b128 v[169:172], v131 offset:640
	ds_load_b128 v[173:176], v131 offset:768
	ds_load_b128 v[177:180], v131 offset:896
	ds_load_b128 v[91:94], v73 offset:512
	ds_load_b128 v[95:98], v73 offset:1024
	ds_load_b128 v[99:102], v73 offset:1536
	ds_load_b128 v[103:106], v73 offset:2048
	ds_load_b128 v[181:184], v73 offset:2560
	ds_load_b128 v[185:188], v73 offset:3072
	ds_load_b128 v[189:192], v73 offset:3584
	v_add_co_u32 v66, s6, v66, 32
	s_delay_alu instid0(VALU_DEP_1)
	v_add_co_ci_u32_e64 v67, s6, 0, v67, s6
	s_add_i32 s25, s25, 8
	ds_store_b32 v141, v145
	ds_store_2addr_stride64_b32 v142, v146, v147 offset1:4
	ds_store_2addr_stride64_b32 v142, v148, v0 offset0:8 offset1:12
	s_waitcnt lgkmcnt(17)
	v_dual_add_f32 v11, v150, v88 :: v_dual_add_f32 v14, v149, v87
	s_waitcnt lgkmcnt(16)
	v_dual_add_f32 v15, v154, v88 :: v_dual_add_f32 v18, v153, v87
	;; [unrolled: 2-line block ×3, first 2 shown]
	s_waitcnt lgkmcnt(14)
	v_add_f32_e32 v23, v162, v88
	v_min3_f32 v11, v14, v11, v25
	v_min3_f32 v14, v18, v15, v28
	v_add_f32_e32 v18, v161, v87
	v_min3_f32 v15, v22, v19, v29
	s_waitcnt lgkmcnt(13)
	v_dual_add_f32 v19, v166, v88 :: v_dual_add_f32 v22, v165, v87
	s_waitcnt lgkmcnt(12)
	v_dual_add_f32 v25, v170, v88 :: v_dual_add_f32 v28, v169, v87
	;; [unrolled: 2-line block ×4, first 2 shown]
	v_min3_f32 v1, v18, v23, v1
	v_min3_f32 v18, v22, v19, v32
	v_min3_f32 v19, v28, v25, v33
	v_min3_f32 v22, v34, v29, v36
	v_min3_f32 v23, v38, v35, v37
	s_waitcnt lgkmcnt(9)
	v_dual_add_f32 v25, v150, v92 :: v_dual_add_f32 v28, v149, v91
	v_dual_add_f32 v29, v154, v92 :: v_dual_add_f32 v32, v153, v91
	;; [unrolled: 1-line block ×5, first 2 shown]
	v_min3_f32 v4, v28, v25, v4
	v_min3_f32 v25, v32, v29, v40
	;; [unrolled: 1-line block ×5, first 2 shown]
	v_dual_add_f32 v33, v170, v92 :: v_dual_add_f32 v34, v169, v91
	v_dual_add_f32 v35, v174, v92 :: v_dual_add_f32 v36, v173, v91
	;; [unrolled: 1-line block ×3, first 2 shown]
	s_waitcnt lgkmcnt(8)
	v_dual_add_f32 v39, v150, v96 :: v_dual_add_f32 v40, v149, v95
	v_dual_add_f32 v41, v154, v96 :: v_dual_add_f32 v44, v153, v95
	v_min3_f32 v5, v34, v33, v5
	v_min3_f32 v33, v36, v35, v48
	;; [unrolled: 1-line block ×5, first 2 shown]
	v_dual_add_f32 v37, v158, v96 :: v_dual_add_f32 v38, v157, v95
	v_dual_add_f32 v39, v162, v96 :: v_dual_add_f32 v40, v161, v95
	v_dual_add_f32 v41, v166, v96 :: v_dual_add_f32 v44, v165, v95
	v_dual_add_f32 v45, v170, v96 :: v_dual_add_f32 v48, v169, v95
	v_dual_add_f32 v49, v174, v96 :: v_dual_add_f32 v52, v173, v95
	v_min3_f32 v8, v38, v37, v8
	v_min3_f32 v37, v40, v39, v54
	;; [unrolled: 1-line block ×5, first 2 shown]
	v_dual_add_f32 v41, v178, v96 :: v_dual_add_f32 v44, v177, v95
	s_waitcnt lgkmcnt(7)
	v_dual_add_f32 v45, v150, v100 :: v_dual_add_f32 v48, v149, v99
	v_dual_add_f32 v49, v154, v100 :: v_dual_add_f32 v52, v153, v99
	;; [unrolled: 1-line block ×4, first 2 shown]
	v_min3_f32 v9, v44, v41, v9
	v_min3_f32 v41, v48, v45, v58
	v_min3_f32 v44, v52, v49, v59
	v_min3_f32 v45, v54, v53, v60
	v_min3_f32 v48, v56, v55, v61
	v_dual_add_f32 v49, v166, v100 :: v_dual_add_f32 v52, v165, v99
	v_dual_add_f32 v53, v170, v100 :: v_dual_add_f32 v54, v169, v99
	;; [unrolled: 1-line block ×4, first 2 shown]
	s_waitcnt lgkmcnt(6)
	v_dual_add_f32 v59, v150, v104 :: v_dual_add_f32 v60, v149, v103
	v_min3_f32 v12, v52, v49, v12
	v_min3_f32 v49, v54, v53, v50
	;; [unrolled: 1-line block ×5, first 2 shown]
	v_dual_add_f32 v53, v154, v104 :: v_dual_add_f32 v54, v153, v103
	v_dual_add_f32 v55, v158, v104 :: v_dual_add_f32 v56, v157, v103
	;; [unrolled: 1-line block ×5, first 2 shown]
	v_min3_f32 v13, v54, v53, v13
	v_min3_f32 v53, v56, v55, v75
	;; [unrolled: 1-line block ×5, first 2 shown]
	v_dual_add_f32 v57, v174, v104 :: v_dual_add_f32 v58, v173, v103
	v_dual_add_f32 v59, v178, v104 :: v_dual_add_f32 v60, v177, v103
	s_waitcnt lgkmcnt(5)
	v_dual_add_f32 v61, v150, v182 :: v_dual_add_f32 v62, v149, v181
	v_dual_add_f32 v75, v153, v181 :: v_dual_add_f32 v76, v158, v182
	v_add_f32_e32 v77, v157, v181
	v_add_f32_e32 v63, v154, v182
	v_min3_f32 v16, v58, v57, v16
	v_min3_f32 v46, v60, v59, v46
	v_add_f32_e32 v60, v161, v181
	v_min3_f32 v47, v62, v61, v47
	v_min3_f32 v58, v77, v76, v80
	v_dual_add_f32 v59, v162, v182 :: v_dual_add_f32 v62, v165, v181
	v_add_f32_e32 v61, v166, v182
	v_dual_add_f32 v76, v174, v182 :: v_dual_add_f32 v77, v173, v181
	v_min3_f32 v57, v75, v63, v79
	v_add_f32_e32 v63, v170, v182
	v_dual_add_f32 v75, v169, v181 :: v_dual_add_f32 v78, v178, v182
	v_add_f32_e32 v79, v177, v181
	v_min3_f32 v17, v60, v59, v17
	v_min3_f32 v42, v62, v61, v42
	;; [unrolled: 1-line block ×3, first 2 shown]
	s_waitcnt lgkmcnt(4)
	v_dual_add_f32 v61, v150, v186 :: v_dual_add_f32 v62, v149, v185
	v_dual_add_f32 v76, v158, v186 :: v_dual_add_f32 v77, v157, v185
	v_min3_f32 v60, v79, v78, v82
	v_dual_add_f32 v78, v162, v186 :: v_dual_add_f32 v79, v161, v185
	v_dual_add_f32 v80, v166, v186 :: v_dual_add_f32 v81, v165, v185
	v_min3_f32 v20, v62, v61, v20
	v_min3_f32 v62, v77, v76, v84
	v_add_f32_e32 v76, v169, v185
	v_min3_f32 v43, v75, v63, v43
	v_add_f32_e32 v63, v154, v186
	v_add_f32_e32 v75, v153, v185
	v_min3_f32 v82, v81, v80, v86
	v_add_f32_e32 v80, v177, v185
	s_waitcnt lgkmcnt(3)
	v_add_f32_e32 v84, v154, v190
	v_add_f32_e32 v77, v174, v186
	v_min3_f32 v61, v75, v63, v83
	v_min3_f32 v63, v79, v78, v85
	v_add_f32_e32 v79, v178, v186
	v_add_f32_e32 v85, v153, v189
	v_dual_add_f32 v75, v170, v186 :: v_dual_add_f32 v78, v173, v185
	v_add_f32_e32 v81, v150, v190
	s_delay_alu instid0(VALU_DEP_4) | instskip(NEXT) | instid1(VALU_DEP_4)
	v_min3_f32 v27, v80, v79, v27
	v_min3_f32 v31, v85, v84, v31
	v_dual_add_f32 v79, v166, v190 :: v_dual_add_f32 v80, v165, v189
	v_dual_add_f32 v84, v174, v190 :: v_dual_add_f32 v85, v173, v189
	v_add_f32_e32 v83, v149, v189
	v_min3_f32 v21, v76, v75, v21
	v_min3_f32 v26, v78, v77, v26
	v_dual_add_f32 v75, v158, v190 :: v_dual_add_f32 v76, v157, v189
	v_dual_add_f32 v77, v162, v190 :: v_dual_add_f32 v78, v161, v189
	v_min3_f32 v10, v85, v84, v10
	v_add_f32_e32 v84, v159, v89
	v_min3_f32 v6, v80, v79, v6
	v_dual_add_f32 v80, v155, v89 :: v_dual_add_f32 v79, v156, v90
	v_min3_f32 v3, v78, v77, v3
	v_add_f32_e32 v78, v151, v89
	v_min3_f32 v24, v76, v75, v24
	v_dual_add_f32 v75, v178, v190 :: v_dual_add_f32 v76, v177, v189
	v_dual_add_f32 v85, v164, v90 :: v_dual_add_f32 v86, v163, v89
	v_min3_f32 v79, v80, v79, v14
	v_add_f32_e32 v80, v176, v90
	v_min3_f32 v30, v83, v81, v30
	v_add_f32_e32 v81, v170, v190
	v_add_f32_e32 v83, v169, v189
	;; [unrolled: 1-line block ×3, first 2 shown]
	v_min3_f32 v2, v76, v75, v2
	v_min3_f32 v75, v86, v85, v1
	v_add_f32_e32 v86, v152, v94
	v_min3_f32 v7, v83, v81, v7
	v_add_f32_e32 v83, v160, v90
	;; [unrolled: 2-line block ×3, first 2 shown]
	v_dual_add_f32 v11, v167, v89 :: v_dual_add_f32 v14, v172, v90
	s_delay_alu instid0(VALU_DEP_4) | instskip(SKIP_2) | instid1(VALU_DEP_4)
	v_min3_f32 v77, v84, v83, v15
	v_add_f32_e32 v15, v171, v89
	v_add_f32_e32 v83, v175, v89
	v_min3_f32 v76, v11, v1, v18
	v_dual_add_f32 v11, v160, v94 :: v_dual_add_f32 v18, v163, v93
	s_delay_alu instid0(VALU_DEP_4) | instskip(NEXT) | instid1(VALU_DEP_4)
	v_min3_f32 v78, v15, v14, v19
	v_min3_f32 v80, v83, v80, v22
	v_dual_add_f32 v14, v159, v93 :: v_dual_add_f32 v15, v164, v94
	v_dual_add_f32 v19, v168, v94 :: v_dual_add_f32 v22, v167, v93
	v_add_f32_e32 v84, v180, v90
	s_delay_alu instid0(VALU_DEP_3) | instskip(NEXT) | instid1(VALU_DEP_4)
	v_min3_f32 v137, v14, v11, v28
	v_min3_f32 v136, v18, v15, v29
	v_add_f32_e32 v14, v152, v98
	v_min3_f32 v135, v22, v19, v32
	v_dual_add_f32 v15, v151, v97 :: v_dual_add_f32 v18, v156, v98
	v_add_f32_e32 v19, v155, v97
	v_add_f32_e32 v85, v179, v89
	;; [unrolled: 1-line block ×3, first 2 shown]
	s_delay_alu instid0(VALU_DEP_4)
	v_min3_f32 v130, v15, v14, v35
	v_add_f32_e32 v15, v176, v98
	v_min3_f32 v129, v19, v18, v36
	v_add_f32_e32 v18, v175, v97
	v_add_f32_e32 v22, v160, v98
	v_add_f32_e32 v19, v180, v98
	v_add_f32_e32 v87, v151, v93
	v_add_f32_e32 v11, v179, v93
	v_min3_f32 v124, v18, v15, v40
	v_add_f32_e32 v18, v168, v102
	v_min3_f32 v140, v85, v84, v23
	v_add_f32_e32 v23, v172, v94
	v_dual_add_f32 v1, v156, v94 :: v_dual_add_f32 v14, v171, v97
	v_add_f32_e32 v15, v163, v101
	s_cmp_ge_i32 s25, s24
	s_delay_alu instid0(VALU_DEP_3)
	v_min3_f32 v134, v83, v23, v5
	v_add_f32_e32 v23, v159, v97
	v_add_f32_e32 v5, v180, v94
	s_waitcnt lgkmcnt(0)
	s_barrier
	buffer_gl0_inv
	v_min3_f32 v128, v23, v22, v8
	v_add_f32_e32 v22, v179, v97
	v_min3_f32 v132, v11, v5, v34
	v_add_f32_e32 v11, v172, v98
	v_dual_add_f32 v5, v168, v98 :: v_dual_add_f32 v8, v167, v97
	s_delay_alu instid0(VALU_DEP_4) | instskip(SKIP_2) | instid1(VALU_DEP_2)
	v_min3_f32 v122, v22, v19, v9
	v_add_f32_e32 v19, v167, v101
	v_add_f32_e32 v9, v160, v102
	v_min3_f32 v117, v19, v18, v12
	v_add_f32_e32 v12, v152, v106
	v_min3_f32 v139, v87, v86, v4
	v_add_f32_e32 v4, v155, v93
	v_add_f32_e32 v18, v155, v105
	v_min3_f32 v125, v14, v11, v39
	v_dual_add_f32 v14, v164, v102 :: v_dual_add_f32 v11, v159, v101
	s_delay_alu instid0(VALU_DEP_4) | instskip(SKIP_1) | instid1(VALU_DEP_3)
	v_min3_f32 v138, v4, v1, v25
	v_dual_add_f32 v1, v176, v94 :: v_dual_add_f32 v4, v175, v93
	v_min3_f32 v118, v15, v14, v48
	v_add_f32_e32 v14, v151, v105
	v_min3_f32 v126, v8, v5, v38
	v_add_f32_e32 v8, v155, v101
	v_min3_f32 v133, v4, v1, v33
	v_dual_add_f32 v1, v164, v98 :: v_dual_add_f32 v4, v163, v97
	v_add_f32_e32 v5, v156, v102
	v_add_f32_e32 v15, v156, v106
	v_min3_f32 v113, v14, v12, v52
	v_add_f32_e32 v12, v172, v106
	v_min3_f32 v119, v11, v9, v45
	v_min3_f32 v120, v8, v5, v44
	v_add_f32_e32 v8, v175, v101
	v_min3_f32 v127, v4, v1, v37
	v_dual_add_f32 v1, v152, v102 :: v_dual_add_f32 v4, v151, v101
	v_min3_f32 v112, v18, v15, v13
	v_add_f32_e32 v13, v171, v105
	v_add_f32_e32 v5, v176, v102
	;; [unrolled: 1-line block ×3, first 2 shown]
	v_min3_f32 v123, v4, v1, v41
	v_dual_add_f32 v1, v172, v102 :: v_dual_add_f32 v4, v171, v101
	v_min3_f32 v108, v13, v12, v56
	v_dual_add_f32 v12, v160, v184 :: v_dual_add_f32 v13, v159, v183
	v_add_f32_e32 v11, v179, v101
	s_delay_alu instid0(VALU_DEP_4) | instskip(SKIP_1) | instid1(VALU_DEP_4)
	v_min3_f32 v116, v4, v1, v49
	v_dual_add_f32 v1, v160, v106 :: v_dual_add_f32 v4, v159, v105
	v_min3_f32 v103, v13, v12, v58
	v_dual_add_f32 v12, v180, v184 :: v_dual_add_f32 v13, v179, v183
	v_min3_f32 v115, v8, v5, v50
	s_delay_alu instid0(VALU_DEP_4) | instskip(SKIP_1) | instid1(VALU_DEP_4)
	v_min3_f32 v111, v4, v1, v53
	v_dual_add_f32 v1, v180, v106 :: v_dual_add_f32 v4, v179, v105
	v_min3_f32 v98, v13, v12, v60
	v_dual_add_f32 v12, v168, v188 :: v_dual_add_f32 v13, v167, v187
	v_add_f32_e32 v5, v164, v106
	v_add_f32_e32 v14, v176, v106
	v_add_f32_e32 v8, v163, v105
	v_add_f32_e32 v15, v175, v105
	v_min3_f32 v93, v13, v12, v82
	v_add_f32_e32 v12, v156, v192
	v_min3_f32 v114, v11, v9, v51
	v_add_f32_e32 v9, v168, v106
	v_min3_f32 v106, v4, v1, v46
	v_dual_add_f32 v1, v168, v184 :: v_dual_add_f32 v4, v167, v183
	v_add_f32_e32 v11, v167, v105
	v_min3_f32 v107, v15, v14, v16
	v_dual_add_f32 v14, v164, v184 :: v_dual_add_f32 v15, v163, v183
	s_delay_alu instid0(VALU_DEP_4) | instskip(SKIP_2) | instid1(VALU_DEP_4)
	v_min3_f32 v101, v4, v1, v42
	v_dual_add_f32 v1, v156, v188 :: v_dual_add_f32 v4, v155, v187
	v_add_f32_e32 v13, v155, v191
	v_min3_f32 v102, v15, v14, v17
	v_dual_add_f32 v14, v152, v188 :: v_dual_add_f32 v15, v151, v187
	s_delay_alu instid0(VALU_DEP_4) | instskip(SKIP_2) | instid1(VALU_DEP_4)
	v_min3_f32 v96, v4, v1, v61
	v_dual_add_f32 v1, v176, v188 :: v_dual_add_f32 v4, v175, v187
	v_min3_f32 v87, v13, v12, v31
	v_min3_f32 v97, v15, v14, v20
	v_dual_add_f32 v14, v172, v188 :: v_dual_add_f32 v15, v171, v187
	s_delay_alu instid0(VALU_DEP_4)
	v_min3_f32 v90, v4, v1, v26
	v_add_f32_e32 v4, v163, v191
	v_min3_f32 v110, v8, v5, v54
	v_dual_add_f32 v5, v152, v184 :: v_dual_add_f32 v8, v151, v183
	v_min3_f32 v91, v15, v14, v21
	v_dual_add_f32 v14, v160, v192 :: v_dual_add_f32 v15, v159, v191
	v_add_f32_e32 v1, v164, v192
	s_delay_alu instid0(VALU_DEP_4) | instskip(SKIP_1) | instid1(VALU_DEP_4)
	v_min3_f32 v105, v8, v5, v47
	v_dual_add_f32 v5, v172, v184 :: v_dual_add_f32 v8, v171, v183
	v_min3_f32 v86, v15, v14, v24
	v_dual_add_f32 v12, v176, v192 :: v_dual_add_f32 v13, v175, v191
	v_add_f32_e32 v14, v180, v192
	s_delay_alu instid0(VALU_DEP_4) | instskip(SKIP_4) | instid1(VALU_DEP_4)
	v_min3_f32 v100, v8, v5, v43
	v_dual_add_f32 v5, v160, v188 :: v_dual_add_f32 v8, v159, v187
	v_add_f32_e32 v15, v179, v191
	v_min3_f32 v85, v4, v1, v3
	v_min3_f32 v82, v13, v12, v10
	;; [unrolled: 1-line block ×3, first 2 shown]
	v_dual_add_f32 v5, v180, v188 :: v_dual_add_f32 v8, v179, v187
	v_min3_f32 v92, v15, v14, v2
	s_delay_alu instid0(VALU_DEP_2)
	v_min3_f32 v89, v8, v5, v27
	v_add_f32_e32 v8, v167, v191
	v_min3_f32 v109, v11, v9, v55
	v_add_f32_e32 v9, v156, v184
	v_add_f32_e32 v11, v155, v183
	;; [unrolled: 1-line block ×3, first 2 shown]
	s_delay_alu instid0(VALU_DEP_2) | instskip(SKIP_2) | instid1(VALU_DEP_4)
	v_min3_f32 v104, v11, v9, v57
	v_add_f32_e32 v9, v176, v184
	v_add_f32_e32 v11, v175, v183
	v_min3_f32 v84, v8, v5, v6
	s_delay_alu instid0(VALU_DEP_2) | instskip(SKIP_2) | instid1(VALU_DEP_1)
	v_min3_f32 v99, v11, v9, v59
	v_add_f32_e32 v9, v164, v188
	v_add_f32_e32 v11, v163, v187
	v_min3_f32 v94, v11, v9, v63
	v_add_f32_e32 v9, v152, v192
	v_add_f32_e32 v11, v151, v191
	s_delay_alu instid0(VALU_DEP_1) | instskip(SKIP_2) | instid1(VALU_DEP_1)
	v_min3_f32 v88, v11, v9, v30
	v_add_f32_e32 v9, v172, v192
	v_add_f32_e32 v11, v171, v191
	v_min3_f32 v83, v11, v9, v7
	s_cbranch_scc1 .LBB75_50
.LBB75_30:                              ; =>This Inner Loop Header: Depth=1
	v_add_nc_u32_e32 v145, s25, v70
	s_delay_alu instid0(VALU_DEP_1) | instskip(NEXT) | instid1(VALU_DEP_1)
	v_add_nc_u32_e32 v0, 8, v145
	v_cmp_le_i32_e64 s6, s18, v0
	s_delay_alu instid0(VALU_DEP_1) | instskip(NEXT) | instid1(SALU_CYCLE_1)
	s_or_b32 s6, s6, vcc_lo
	v_cndmask_b32_e64 v147, 0, 0x7f7fffff, s6
	s_or_b32 s6, s27, s6
	s_delay_alu instid0(SALU_CYCLE_1) | instskip(NEXT) | instid1(SALU_CYCLE_1)
	s_xor_b32 s6, s6, -1
	s_and_saveexec_b32 s7, s6
	s_cbranch_execz .LBB75_32
; %bb.31:                               ;   in Loop: Header=BB75_30 Depth=1
	v_add_co_u32 v0, s6, -16, v66
	s_delay_alu instid0(VALU_DEP_1)
	v_add_co_ci_u32_e64 v1, s6, -1, v67, s6
	flat_load_b32 v0, v[0:1]
	s_waitcnt vmcnt(0) lgkmcnt(0)
	v_mul_f32_e32 v147, s26, v0
.LBB75_32:                              ;   in Loop: Header=BB75_30 Depth=1
	s_or_b32 exec_lo, exec_lo, s7
	v_add_nc_u32_e32 v146, s25, v71
	s_delay_alu instid0(VALU_DEP_1) | instskip(NEXT) | instid1(VALU_DEP_1)
	v_add_nc_u32_e32 v2, 8, v146
	v_min_i32_e32 v3, s19, v2
	v_cmp_le_i32_e64 s6, s18, v2
	s_delay_alu instid0(VALU_DEP_2) | instskip(NEXT) | instid1(VALU_DEP_1)
	v_mad_i64_i32 v[0:1], null, v3, s14, 0
	v_lshlrev_b64 v[0:1], 2, v[0:1]
	s_delay_alu instid0(VALU_DEP_1) | instskip(NEXT) | instid1(VALU_DEP_1)
	v_add_co_u32 v0, s7, s22, v0
	v_add_co_ci_u32_e64 v1, s7, s23, v1, s7
	s_or_b32 s7, s2, s6
	s_delay_alu instid0(SALU_CYCLE_1) | instskip(SKIP_1) | instid1(SALU_CYCLE_1)
	v_cndmask_b32_e64 v148, 0, 0x7f7fffff, s7
	s_or_b32 s7, s27, s7
	s_xor_b32 s7, s7, -1
	s_delay_alu instid0(SALU_CYCLE_1)
	s_and_saveexec_b32 s28, s7
	s_cbranch_execz .LBB75_34
; %bb.33:                               ;   in Loop: Header=BB75_30 Depth=1
	v_add_co_u32 v2, s7, v0, v64
	s_delay_alu instid0(VALU_DEP_1)
	v_add_co_ci_u32_e64 v3, s7, v1, v65, s7
	flat_load_b32 v2, v[2:3]
	s_waitcnt vmcnt(0) lgkmcnt(0)
	v_mul_f32_e32 v148, s26, v2
.LBB75_34:                              ;   in Loop: Header=BB75_30 Depth=1
	s_or_b32 exec_lo, exec_lo, s28
	s_or_b32 s7, s3, s6
	s_delay_alu instid0(SALU_CYCLE_1) | instskip(SKIP_1) | instid1(SALU_CYCLE_1)
	v_cndmask_b32_e64 v149, 0, 0x7f7fffff, s7
	s_or_b32 s7, s27, s7
	s_xor_b32 s7, s7, -1
	s_delay_alu instid0(SALU_CYCLE_1)
	s_and_saveexec_b32 s28, s7
	s_cbranch_execz .LBB75_36
; %bb.35:                               ;   in Loop: Header=BB75_30 Depth=1
	v_add_co_u32 v2, s7, v0, v64
	s_delay_alu instid0(VALU_DEP_1)
	v_add_co_ci_u32_e64 v3, s7, v1, v65, s7
	flat_load_b32 v2, v[2:3] offset:256
	s_waitcnt vmcnt(0) lgkmcnt(0)
	v_mul_f32_e32 v149, s26, v2
.LBB75_36:                              ;   in Loop: Header=BB75_30 Depth=1
	s_or_b32 exec_lo, exec_lo, s28
	s_or_b32 s7, s4, s6
	s_delay_alu instid0(SALU_CYCLE_1) | instskip(SKIP_1) | instid1(SALU_CYCLE_1)
	v_cndmask_b32_e64 v150, 0, 0x7f7fffff, s7
	s_or_b32 s7, s27, s7
	s_xor_b32 s7, s7, -1
	s_delay_alu instid0(SALU_CYCLE_1)
	s_and_saveexec_b32 s28, s7
	s_cbranch_execz .LBB75_38
; %bb.37:                               ;   in Loop: Header=BB75_30 Depth=1
	v_add_co_u32 v2, s7, v0, v64
	s_delay_alu instid0(VALU_DEP_1)
	v_add_co_ci_u32_e64 v3, s7, v1, v65, s7
	flat_load_b32 v2, v[2:3] offset:512
	s_waitcnt vmcnt(0) lgkmcnt(0)
	v_mul_f32_e32 v150, s26, v2
.LBB75_38:                              ;   in Loop: Header=BB75_30 Depth=1
	;; [unrolled: 17-line block ×3, first 2 shown]
	s_or_b32 exec_lo, exec_lo, s7
	ds_load_b128 v[32:35], v143
	ds_load_b128 v[28:31], v143 offset:128
	ds_load_b128 v[24:27], v143 offset:256
	;; [unrolled: 1-line block ×7, first 2 shown]
	ds_load_b128 v[60:63], v144
	ds_load_b128 v[56:59], v144 offset:512
	ds_load_b128 v[52:55], v144 offset:1024
	ds_load_b128 v[48:51], v144 offset:1536
	ds_load_b128 v[44:47], v144 offset:2048
	ds_load_b128 v[40:43], v144 offset:2560
	ds_load_b128 v[36:39], v144 offset:3072
	ds_load_b128 v[20:23], v144 offset:3584
	v_add_nc_u32_e32 v145, 12, v145
	ds_store_b32 v121, v147
	ds_store_2addr_stride64_b32 v74, v148, v149 offset1:4
	ds_store_2addr_stride64_b32 v74, v150, v151 offset0:8 offset1:12
	s_waitcnt lgkmcnt(0)
	s_barrier
	buffer_gl0_inv
	v_cmp_le_i32_e64 s6, s18, v145
	s_delay_alu instid0(VALU_DEP_1) | instskip(NEXT) | instid1(SALU_CYCLE_1)
	s_or_b32 s6, s6, vcc_lo
	v_cndmask_b32_e64 v145, 0, 0x7f7fffff, s6
	s_or_b32 s6, s27, s6
	s_delay_alu instid0(SALU_CYCLE_1) | instskip(NEXT) | instid1(SALU_CYCLE_1)
	s_xor_b32 s7, s6, -1
	s_and_saveexec_b32 s6, s7
	s_cbranch_execz .LBB75_42
; %bb.41:                               ;   in Loop: Header=BB75_30 Depth=1
	flat_load_b32 v145, v[66:67]
	s_waitcnt vmcnt(0) lgkmcnt(0)
	v_mul_f32_e32 v145, s26, v145
.LBB75_42:                              ;   in Loop: Header=BB75_30 Depth=1
	s_or_b32 exec_lo, exec_lo, s6
	v_add_nc_u32_e32 v148, 12, v146
	s_delay_alu instid0(VALU_DEP_1) | instskip(SKIP_1) | instid1(VALU_DEP_2)
	v_min_i32_e32 v149, s19, v148
	v_cmp_le_i32_e64 s6, s18, v148
	v_mad_i64_i32 v[146:147], null, v149, s14, 0
	s_delay_alu instid0(VALU_DEP_1) | instskip(NEXT) | instid1(VALU_DEP_1)
	v_lshlrev_b64 v[146:147], 2, v[146:147]
	v_add_co_u32 v149, s7, s22, v146
	s_delay_alu instid0(VALU_DEP_1) | instskip(SKIP_1) | instid1(SALU_CYCLE_1)
	v_add_co_ci_u32_e64 v150, s7, s23, v147, s7
	s_or_b32 s7, s2, s6
	v_cndmask_b32_e64 v146, 0, 0x7f7fffff, s7
	s_or_b32 s7, s27, s7
	s_delay_alu instid0(SALU_CYCLE_1) | instskip(NEXT) | instid1(SALU_CYCLE_1)
	s_xor_b32 s7, s7, -1
	s_and_saveexec_b32 s28, s7
	s_cbranch_execz .LBB75_44
; %bb.43:                               ;   in Loop: Header=BB75_30 Depth=1
	v_add_co_u32 v146, s7, v149, v64
	s_delay_alu instid0(VALU_DEP_1)
	v_add_co_ci_u32_e64 v147, s7, v150, v65, s7
	flat_load_b32 v146, v[146:147]
	s_waitcnt vmcnt(0) lgkmcnt(0)
	v_mul_f32_e32 v146, s26, v146
.LBB75_44:                              ;   in Loop: Header=BB75_30 Depth=1
	s_or_b32 exec_lo, exec_lo, s28
	s_or_b32 s7, s3, s6
	s_delay_alu instid0(SALU_CYCLE_1) | instskip(SKIP_1) | instid1(SALU_CYCLE_1)
	v_cndmask_b32_e64 v147, 0, 0x7f7fffff, s7
	s_or_b32 s7, s27, s7
	s_xor_b32 s7, s7, -1
	s_delay_alu instid0(SALU_CYCLE_1)
	s_and_saveexec_b32 s28, s7
	s_cbranch_execz .LBB75_46
; %bb.45:                               ;   in Loop: Header=BB75_30 Depth=1
	v_add_co_u32 v147, s7, v149, v64
	s_delay_alu instid0(VALU_DEP_1)
	v_add_co_ci_u32_e64 v148, s7, v150, v65, s7
	flat_load_b32 v147, v[147:148] offset:256
	s_waitcnt vmcnt(0) lgkmcnt(0)
	v_mul_f32_e32 v147, s26, v147
.LBB75_46:                              ;   in Loop: Header=BB75_30 Depth=1
	s_or_b32 exec_lo, exec_lo, s28
	s_or_b32 s7, s4, s6
	s_delay_alu instid0(SALU_CYCLE_1) | instskip(SKIP_1) | instid1(SALU_CYCLE_1)
	v_cndmask_b32_e64 v148, 0, 0x7f7fffff, s7
	s_or_b32 s7, s27, s7
	s_xor_b32 s7, s7, -1
	s_delay_alu instid0(SALU_CYCLE_1)
	s_and_saveexec_b32 s28, s7
	s_cbranch_execz .LBB75_48
; %bb.47:                               ;   in Loop: Header=BB75_30 Depth=1
	v_add_co_u32 v151, s7, v149, v64
	s_delay_alu instid0(VALU_DEP_1)
	v_add_co_ci_u32_e64 v152, s7, v150, v65, s7
	flat_load_b32 v148, v[151:152] offset:512
	s_waitcnt vmcnt(0) lgkmcnt(0)
	v_mul_f32_e32 v148, s26, v148
.LBB75_48:                              ;   in Loop: Header=BB75_30 Depth=1
	s_or_b32 exec_lo, exec_lo, s28
	v_dual_add_f32 v151, v33, v61 :: v_dual_add_f32 v152, v32, v60
	v_dual_add_f32 v153, v29, v61 :: v_dual_add_f32 v154, v28, v60
	;; [unrolled: 1-line block ×3, first 2 shown]
	s_delay_alu instid0(VALU_DEP_3) | instskip(SKIP_1) | instid1(VALU_DEP_4)
	v_min3_f32 v81, v152, v151, v81
	v_dual_add_f32 v151, v17, v61 :: v_dual_add_f32 v152, v16, v60
	v_min3_f32 v79, v154, v153, v79
	s_delay_alu instid0(VALU_DEP_4)
	v_min3_f32 v77, v156, v155, v77
	v_dual_add_f32 v153, v13, v61 :: v_dual_add_f32 v154, v12, v60
	v_dual_add_f32 v155, v9, v61 :: v_dual_add_f32 v156, v8, v60
	;; [unrolled: 1-line block ×4, first 2 shown]
	v_min3_f32 v75, v152, v151, v75
	v_min3_f32 v76, v154, v153, v76
	v_min3_f32 v78, v156, v155, v78
	v_dual_add_f32 v151, v29, v57 :: v_dual_add_f32 v152, v28, v56
	v_min3_f32 v60, v60, v61, v140
	v_dual_add_f32 v61, v33, v57 :: v_dual_add_f32 v140, v32, v56
	v_dual_add_f32 v153, v25, v57 :: v_dual_add_f32 v154, v24, v56
	;; [unrolled: 1-line block ×3, first 2 shown]
	v_min3_f32 v80, v158, v157, v80
	v_dual_add_f32 v157, v13, v57 :: v_dual_add_f32 v158, v12, v56
	v_min3_f32 v61, v140, v61, v139
	v_min3_f32 v138, v152, v151, v138
	;; [unrolled: 1-line block ×4, first 2 shown]
	v_dual_add_f32 v139, v9, v57 :: v_dual_add_f32 v140, v8, v56
	v_dual_add_f32 v151, v5, v57 :: v_dual_add_f32 v152, v4, v56
	;; [unrolled: 1-line block ×5, first 2 shown]
	v_min3_f32 v134, v140, v139, v134
	v_min3_f32 v133, v152, v151, v133
	v_min3_f32 v56, v56, v57, v132
	v_min3_f32 v57, v154, v153, v130
	v_min3_f32 v129, v156, v155, v129
	v_add_f32_e32 v130, v25, v53
	v_dual_add_f32 v132, v24, v52 :: v_dual_add_f32 v139, v17, v53
	v_dual_add_f32 v140, v16, v52 :: v_dual_add_f32 v151, v13, v53
	;; [unrolled: 1-line block ×5, first 2 shown]
	v_add_f32_e32 v52, v0, v52
	v_min3_f32 v127, v140, v139, v127
	v_add_f32_e32 v139, v29, v49
	v_min3_f32 v126, v152, v151, v126
	v_dual_add_f32 v140, v28, v48 :: v_dual_add_f32 v151, v25, v49
	v_add_f32_e32 v152, v24, v48
	v_min3_f32 v122, v52, v53, v122
	v_add_f32_e32 v53, v12, v48
	v_min3_f32 v128, v132, v130, v128
	v_add_f32_e32 v130, v33, v49
	v_add_f32_e32 v132, v32, v48
	v_min3_f32 v125, v154, v153, v125
	v_dual_add_f32 v153, v17, v49 :: v_dual_add_f32 v154, v16, v48
	v_min3_f32 v120, v140, v139, v120
	s_delay_alu instid0(VALU_DEP_4)
	v_min3_f32 v123, v132, v130, v123
	v_add_f32_e32 v52, v13, v49
	v_add_f32_e32 v130, v9, v49
	v_dual_add_f32 v132, v8, v48 :: v_dual_add_f32 v139, v5, v49
	v_min3_f32 v119, v152, v151, v119
	v_dual_add_f32 v151, v33, v45 :: v_dual_add_f32 v140, v4, v48
	v_dual_add_f32 v49, v1, v49 :: v_dual_add_f32 v48, v0, v48
	v_add_f32_e32 v152, v32, v44
	v_min3_f32 v117, v53, v52, v117
	v_dual_add_f32 v52, v25, v45 :: v_dual_add_f32 v53, v24, v44
	v_min3_f32 v115, v140, v139, v115
	s_delay_alu instid0(VALU_DEP_4)
	v_min3_f32 v113, v152, v151, v113
	v_add_f32_e32 v151, v9, v45
	v_min3_f32 v114, v48, v49, v114
	v_dual_add_f32 v48, v29, v45 :: v_dual_add_f32 v49, v28, v44
	v_dual_add_f32 v139, v13, v45 :: v_dual_add_f32 v140, v12, v44
	v_add_f32_e32 v152, v8, v44
	v_min3_f32 v111, v53, v52, v111
	v_dual_add_f32 v52, v33, v41 :: v_dual_add_f32 v53, v32, v40
	v_min3_f32 v112, v49, v48, v112
	v_dual_add_f32 v48, v5, v45 :: v_dual_add_f32 v49, v4, v44
	v_min3_f32 v116, v132, v130, v116
	v_add_f32_e32 v130, v17, v45
	v_dual_add_f32 v132, v16, v44 :: v_dual_add_f32 v45, v1, v45
	v_add_f32_e32 v44, v0, v44
	v_min3_f32 v109, v140, v139, v109
	v_add_f32_e32 v139, v25, v41
	v_min3_f32 v105, v53, v52, v105
	;; [unrolled: 2-line block ×3, first 2 shown]
	v_dual_add_f32 v44, v17, v41 :: v_dual_add_f32 v45, v16, v40
	v_add_f32_e32 v53, v8, v40
	v_min3_f32 v107, v49, v48, v107
	v_dual_add_f32 v48, v13, v41 :: v_dual_add_f32 v49, v12, v40
	v_min3_f32 v110, v132, v130, v110
	v_add_f32_e32 v130, v29, v41
	v_add_f32_e32 v132, v28, v40
	;; [unrolled: 1-line block ×3, first 2 shown]
	v_min3_f32 v100, v53, v52, v100
	v_add_f32_e32 v53, v16, v36
	v_min3_f32 v101, v49, v48, v101
	v_add_f32_e32 v49, v24, v36
	v_min3_f32 v102, v45, v44, v102
	v_dual_add_f32 v44, v29, v37 :: v_dual_add_f32 v45, v28, v36
	v_add_f32_e32 v29, v29, v21
	v_min3_f32 v104, v132, v130, v104
	v_add_f32_e32 v130, v5, v41
	v_dual_add_f32 v132, v4, v40 :: v_dual_add_f32 v41, v1, v41
	v_add_f32_e32 v40, v0, v40
	v_add_f32_e32 v52, v17, v37
	v_min3_f32 v96, v45, v44, v96
	v_dual_add_f32 v44, v5, v37 :: v_dual_add_f32 v45, v4, v36
	v_add_f32_e32 v17, v17, v21
	v_min3_f32 v99, v132, v130, v99
	v_add_f32_e32 v130, v13, v37
	v_add_f32_e32 v13, v13, v21
	v_min3_f32 v98, v40, v41, v98
	v_add_f32_e32 v41, v32, v36
	v_dual_add_f32 v32, v32, v20 :: v_dual_add_f32 v5, v5, v21
	v_add_f32_e32 v4, v4, v20
	v_add_f32_e32 v40, v33, v37
	v_add_f32_e32 v48, v25, v37
	v_add_f32_e32 v25, v25, v21
	v_min3_f32 v103, v140, v139, v103
	v_add_f32_e32 v24, v24, v20
	v_min3_f32 v140, v4, v5, v82
	v_dual_add_f32 v4, v35, v63 :: v_dual_add_f32 v5, v34, v62
	v_add_f32_e32 v132, v12, v36
	v_min3_f32 v97, v41, v40, v97
	v_dual_add_f32 v40, v9, v37 :: v_dual_add_f32 v41, v8, v36
	v_dual_add_f32 v37, v1, v37 :: v_dual_add_f32 v36, v0, v36
	v_add_f32_e32 v1, v1, v21
	v_dual_add_f32 v33, v33, v21 :: v_dual_add_f32 v16, v16, v20
	v_dual_add_f32 v9, v9, v21 :: v_dual_add_f32 v8, v8, v20
	v_add_f32_e32 v21, v34, v58
	v_min3_f32 v24, v24, v25, v86
	v_min3_f32 v25, v5, v4, v81
	v_dual_add_f32 v4, v15, v63 :: v_dual_add_f32 v5, v14, v62
	v_min3_f32 v93, v132, v130, v93
	v_add_f32_e32 v28, v28, v20
	v_min3_f32 v88, v32, v33, v88
	v_add_f32_e32 v12, v12, v20
	v_min3_f32 v139, v8, v9, v83
	v_add_f32_e32 v0, v0, v20
	v_dual_add_f32 v8, v31, v63 :: v_dual_add_f32 v9, v30, v62
	v_add_f32_e32 v20, v35, v59
	v_min3_f32 v32, v5, v4, v76
	v_add_f32_e32 v5, v31, v59
	v_min3_f32 v130, v16, v17, v85
	v_dual_add_f32 v16, v19, v63 :: v_dual_add_f32 v17, v18, v62
	v_min3_f32 v4, v21, v20, v61
	v_add_f32_e32 v21, v11, v59
	v_min3_f32 v0, v0, v1, v92
	v_min3_f32 v135, v158, v157, v135
	v_min3_f32 v1, v17, v16, v75
	v_add_f32_e32 v17, v2, v62
	v_min3_f32 v87, v28, v29, v87
	v_min3_f32 v28, v9, v8, v79
	v_dual_add_f32 v8, v11, v63 :: v_dual_add_f32 v9, v10, v62
	v_add_f32_e32 v16, v3, v63
	v_min3_f32 v89, v36, v37, v89
	v_add_f32_e32 v20, v14, v58
	v_min3_f32 v91, v41, v40, v91
	v_min3_f32 v33, v9, v8, v78
	v_add_f32_e32 v9, v27, v59
	v_min3_f32 v132, v12, v13, v84
	v_dual_add_f32 v12, v27, v63 :: v_dual_add_f32 v13, v26, v62
	v_min3_f32 v95, v49, v48, v95
	v_min3_f32 v37, v17, v16, v60
	v_add_f32_e32 v8, v30, v58
	v_add_f32_e32 v16, v18, v58
	v_min3_f32 v29, v13, v12, v77
	v_dual_add_f32 v12, v7, v63 :: v_dual_add_f32 v13, v6, v62
	v_dual_add_f32 v17, v15, v59 :: v_dual_add_f32 v48, v10, v58
	v_add_f32_e32 v61, v19, v51
	v_min3_f32 v90, v45, v44, v90
	s_delay_alu instid0(VALU_DEP_4) | instskip(SKIP_4) | instid1(VALU_DEP_4)
	v_min3_f32 v36, v13, v12, v80
	v_dual_add_f32 v13, v19, v59 :: v_dual_add_f32 v12, v26, v58
	v_min3_f32 v40, v8, v5, v138
	v_min3_f32 v45, v20, v17, v135
	;; [unrolled: 1-line block ×4, first 2 shown]
	v_dual_add_f32 v16, v35, v55 :: v_dual_add_f32 v17, v34, v54
	v_dual_add_f32 v20, v31, v55 :: v_dual_add_f32 v77, v30, v46
	v_add_f32_e32 v21, v30, v54
	v_min3_f32 v124, v156, v155, v124
	v_min3_f32 v94, v53, v52, v94
	;; [unrolled: 1-line block ×3, first 2 shown]
	v_dual_add_f32 v8, v7, v59 :: v_dual_add_f32 v9, v6, v58
	v_dual_add_f32 v12, v3, v59 :: v_dual_add_f32 v75, v14, v50
	v_add_f32_e32 v13, v2, v58
	v_min3_f32 v52, v17, v16, v57
	v_min3_f32 v53, v21, v20, v129
	v_dual_add_f32 v17, v11, v55 :: v_dual_add_f32 v20, v10, v54
	v_add_f32_e32 v21, v7, v55
	v_add_f32_e32 v57, v6, v54
	v_min3_f32 v118, v154, v153, v118
	v_dual_add_f32 v58, v27, v55 :: v_dual_add_f32 v59, v26, v54
	v_min3_f32 v49, v13, v12, v56
	v_dual_add_f32 v12, v18, v54 :: v_dual_add_f32 v63, v15, v51
	v_dual_add_f32 v13, v15, v55 :: v_dual_add_f32 v16, v14, v54
	v_min3_f32 v56, v20, v17, v125
	v_min3_f32 v57, v57, v21, v124
	v_dual_add_f32 v20, v27, v51 :: v_dual_add_f32 v21, v26, v50
	v_min3_f32 v48, v9, v8, v133
	v_dual_add_f32 v9, v19, v55 :: v_dual_add_f32 v62, v18, v50
	;; [unrolled: 2-line block ×3, first 2 shown]
	s_delay_alu instid0(VALU_DEP_3)
	v_min3_f32 v54, v12, v9, v127
	v_min3_f32 v55, v16, v13, v126
	v_dual_add_f32 v12, v35, v51 :: v_dual_add_f32 v13, v34, v50
	v_dual_add_f32 v16, v31, v51 :: v_dual_add_f32 v17, v30, v50
	v_min3_f32 v60, v21, v20, v119
	v_add_f32_e32 v21, v3, v51
	v_min3_f32 v61, v62, v61, v118
	v_dual_add_f32 v62, v2, v50 :: v_dual_add_f32 v79, v11, v47
	v_add_f32_e32 v20, v6, v50
	v_add_f32_e32 v76, v31, v47
	v_min3_f32 v108, v152, v151, v108
	s_delay_alu instid0(VALU_DEP_4)
	v_min3_f32 v62, v62, v21, v114
	v_add_f32_e32 v21, v18, v46
	v_min3_f32 v9, v59, v58, v122
	v_min3_f32 v58, v13, v12, v123
	;; [unrolled: 1-line block ×3, first 2 shown]
	v_dual_add_f32 v13, v11, v51 :: v_dual_add_f32 v16, v10, v50
	v_add_f32_e32 v17, v7, v51
	v_min3_f32 v12, v75, v63, v117
	v_add_f32_e32 v63, v35, v47
	v_add_f32_e32 v75, v34, v46
	v_min3_f32 v50, v16, v13, v116
	v_min3_f32 v13, v77, v76, v112
	v_add_f32_e32 v16, v27, v47
	v_add_f32_e32 v77, v15, v47
	v_min3_f32 v51, v20, v17, v115
	v_dual_add_f32 v17, v26, v46 :: v_dual_add_f32 v20, v19, v47
	v_dual_add_f32 v78, v14, v46 :: v_dual_add_f32 v81, v7, v47
	v_add_f32_e32 v80, v10, v46
	v_add_f32_e32 v82, v6, v46
	v_min3_f32 v63, v75, v63, v113
	v_min3_f32 v75, v17, v16, v111
	;; [unrolled: 1-line block ×3, first 2 shown]
	v_add_f32_e32 v21, v35, v43
	v_min3_f32 v77, v78, v77, v109
	v_min3_f32 v16, v82, v81, v107
	v_add_f32_e32 v17, v3, v47
	v_min3_f32 v78, v80, v79, v108
	v_dual_add_f32 v20, v2, v46 :: v_dual_add_f32 v79, v31, v43
	v_add_f32_e32 v47, v34, v42
	v_dual_add_f32 v80, v30, v42 :: v_dual_add_f32 v81, v27, v43
	v_dual_add_f32 v82, v26, v42 :: v_dual_add_f32 v83, v19, v43
	v_add_f32_e32 v84, v18, v42
	v_min3_f32 v46, v20, v17, v106
	v_min3_f32 v47, v47, v21, v105
	;; [unrolled: 1-line block ×4, first 2 shown]
	v_add_f32_e32 v81, v11, v43
	v_min3_f32 v17, v84, v83, v102
	v_dual_add_f32 v20, v15, v43 :: v_dual_add_f32 v21, v14, v42
	v_dual_add_f32 v82, v10, v42 :: v_dual_add_f32 v83, v7, v43
	;; [unrolled: 1-line block ×3, first 2 shown]
	v_add_f32_e32 v86, v2, v42
	v_add_f32_e32 v92, v35, v39
	;; [unrolled: 1-line block ×3, first 2 shown]
	v_min3_f32 v42, v21, v20, v101
	v_min3_f32 v43, v82, v81, v100
	;; [unrolled: 1-line block ×3, first 2 shown]
	v_add_f32_e32 v21, v31, v39
	v_min3_f32 v82, v86, v85, v98
	v_min3_f32 v20, v102, v92, v97
	v_add_f32_e32 v97, v15, v39
	v_dual_add_f32 v84, v27, v39 :: v_dual_add_f32 v85, v26, v38
	v_add_f32_e32 v86, v19, v39
	v_dual_add_f32 v92, v18, v38 :: v_dual_add_f32 v99, v11, v39
	v_add_f32_e32 v83, v30, v38
	v_add_f32_e32 v98, v14, v38
	;; [unrolled: 1-line block ×3, first 2 shown]
	v_min3_f32 v84, v85, v84, v95
	v_min3_f32 v85, v92, v86, v94
	v_dual_add_f32 v92, v6, v38 :: v_dual_add_f32 v35, v35, v23
	v_dual_add_f32 v34, v34, v22 :: v_dual_add_f32 v19, v19, v23
	v_min3_f32 v83, v83, v21, v96
	v_min3_f32 v21, v100, v99, v91
	v_add_f32_e32 v91, v7, v39
	v_min3_f32 v86, v98, v97, v93
	v_dual_add_f32 v39, v3, v39 :: v_dual_add_f32 v38, v2, v38
	v_add_f32_e32 v31, v31, v23
	v_dual_add_f32 v93, v30, v22 :: v_dual_add_f32 v94, v27, v23
	v_add_f32_e32 v95, v26, v22
	v_min3_f32 v30, v34, v35, v88
	v_dual_add_f32 v18, v18, v22 :: v_dual_add_f32 v15, v15, v23
	v_dual_add_f32 v14, v14, v22 :: v_dual_add_f32 v11, v11, v23
	v_add_f32_e32 v10, v10, v22
	v_add_f32_e32 v34, v7, v23
	v_add_f32_e32 v23, v3, v23
	v_add_f32_e32 v35, v6, v22
	v_add_f32_e32 v2, v2, v22
	s_or_b32 s6, s5, s6
	v_min3_f32 v26, v92, v91, v90
	v_min3_f32 v27, v38, v39, v89
	;; [unrolled: 1-line block ×9, first 2 shown]
	v_cndmask_b32_e64 v0, 0, 0x7f7fffff, s6
	s_or_b32 s6, s27, s6
	s_delay_alu instid0(SALU_CYCLE_1) | instskip(NEXT) | instid1(SALU_CYCLE_1)
	s_xor_b32 s6, s6, -1
	s_and_saveexec_b32 s7, s6
	s_cbranch_execz .LBB75_29
; %bb.49:                               ;   in Loop: Header=BB75_30 Depth=1
	v_add_co_u32 v14, s6, v149, v64
	s_delay_alu instid0(VALU_DEP_1)
	v_add_co_ci_u32_e64 v15, s6, v150, v65, s6
	flat_load_b32 v0, v[14:15] offset:768
	s_waitcnt vmcnt(0) lgkmcnt(0)
	v_mul_f32_e32 v0, s26, v0
	s_branch .LBB75_29
.LBB75_50:
	s_clause 0x2
	s_load_b64 s[2:3], s[0:1], 0x78
	s_load_b32 s18, s[0:1], 0x58
	s_load_b32 s14, s[0:1], 0x70
	ds_load_b128 v[32:35], v72 offset:9216
	ds_load_b128 v[28:31], v72 offset:9344
	;; [unrolled: 1-line block ×12, first 2 shown]
	v_add_nc_u32_e32 v131, s9, v69
	ds_load_b128 v[44:47], v73 offset:6144
	ds_load_b128 v[40:43], v73 offset:6656
	;; [unrolled: 1-line block ×4, first 2 shown]
	v_cndmask_b32_e64 v121, 0, 1, s21
	s_waitcnt lgkmcnt(0)
	s_mul_i32 s1, s20, s3
	v_mad_i64_i32 v[64:65], null, v131, s18, 0
	v_mad_i64_i32 v[66:67], null, v131, s14, 0
	s_mul_hi_u32 s3, s20, s2
	s_mul_i32 s0, s20, s2
	s_add_i32 s1, s3, s1
	s_delay_alu instid0(SALU_CYCLE_1) | instskip(NEXT) | instid1(VALU_DEP_2)
	s_lshl_b64 s[0:1], s[0:1], 2
	v_lshlrev_b64 v[69:70], 2, v[64:65]
	s_delay_alu instid0(VALU_DEP_2)
	v_lshlrev_b64 v[65:66], 2, v[66:67]
	v_add_nc_u32_e32 v64, s8, v68
	s_add_u32 s9, s10, s0
	s_addc_u32 s10, s11, s1
	v_cmp_gt_i32_e64 s8, s17, v131
	v_add_co_u32 v143, vcc_lo, s12, v69
	v_add_co_ci_u32_e32 v144, vcc_lo, s13, v70, vcc_lo
	v_add_co_u32 v141, vcc_lo, s9, v65
	v_cmp_gt_i32_e64 s0, s16, v64
	v_add_co_ci_u32_e32 v142, vcc_lo, s10, v66, vcc_lo
	v_ashrrev_i32_e32 v65, 31, v64
	s_delay_alu instid0(VALU_DEP_3) | instskip(NEXT) | instid1(SALU_CYCLE_1)
	s_and_b32 s2, s0, s8
	s_and_saveexec_b32 s1, s2
	s_cbranch_execz .LBB75_55
; %bb.51:
	s_delay_alu instid0(VALU_DEP_1)
	v_lshlrev_b64 v[66:67], 2, v[64:65]
	s_and_not1_b32 vcc_lo, exec_lo, s21
	s_cbranch_vccnz .LBB75_53
; %bb.52:
	s_delay_alu instid0(VALU_DEP_1) | instskip(NEXT) | instid1(VALU_DEP_2)
	v_add_co_u32 v68, vcc_lo, v143, v66
	v_add_co_ci_u32_e32 v69, vcc_lo, v144, v67, vcc_lo
	flat_load_b32 v68, v[68:69]
	s_waitcnt vmcnt(0) lgkmcnt(0)
	v_mul_f32_e32 v68, s15, v68
	s_branch .LBB75_54
.LBB75_53:
	v_mov_b32_e32 v68, 0
.LBB75_54:
	v_dual_add_f32 v69, v33, v61 :: v_dual_add_f32 v70, v32, v60
	v_dual_add_f32 v71, v35, v63 :: v_dual_add_f32 v72, v34, v62
	v_add_co_u32 v66, vcc_lo, v141, v66
	s_delay_alu instid0(VALU_DEP_3) | instskip(SKIP_1) | instid1(VALU_DEP_4)
	v_min3_f32 v69, v70, v69, v81
	v_add_co_ci_u32_e32 v67, vcc_lo, v142, v67, vcc_lo
	v_min_f32_e32 v70, v72, v71
	s_delay_alu instid0(VALU_DEP_1)
	v_min3_f32 v68, v68, v70, v69
	global_store_b32 v[66:67], v68, off
.LBB75_55:
	s_or_b32 exec_lo, exec_lo, s1
	v_add_nc_u32_e32 v66, 8, v64
	s_delay_alu instid0(VALU_DEP_1) | instskip(SKIP_1) | instid1(VALU_DEP_2)
	v_cmp_gt_i32_e64 s1, s16, v66
	v_ashrrev_i32_e32 v67, 31, v66
	s_and_b32 s3, s1, s8
	s_delay_alu instid0(SALU_CYCLE_1)
	s_and_saveexec_b32 s2, s3
	s_cbranch_execz .LBB75_60
; %bb.56:
	v_cmp_ne_u32_e32 vcc_lo, 1, v121
	v_lshlrev_b64 v[68:69], 2, v[66:67]
	s_cbranch_vccnz .LBB75_58
; %bb.57:
	s_delay_alu instid0(VALU_DEP_1) | instskip(NEXT) | instid1(VALU_DEP_2)
	v_add_co_u32 v70, vcc_lo, v143, v68
	v_add_co_ci_u32_e32 v71, vcc_lo, v144, v69, vcc_lo
	flat_load_b32 v70, v[70:71]
	s_waitcnt vmcnt(0) lgkmcnt(0)
	v_mul_f32_e32 v70, s15, v70
	s_branch .LBB75_59
.LBB75_58:
	v_mov_b32_e32 v70, 0
.LBB75_59:
	v_dual_add_f32 v71, v29, v61 :: v_dual_add_f32 v72, v28, v60
	v_dual_add_f32 v73, v31, v63 :: v_dual_add_f32 v74, v30, v62
	s_delay_alu instid0(VALU_DEP_4) | instskip(NEXT) | instid1(VALU_DEP_3)
	v_add_co_u32 v68, vcc_lo, v141, v68
	v_min3_f32 v71, v72, v71, v79
	v_add_co_ci_u32_e32 v69, vcc_lo, v142, v69, vcc_lo
	s_delay_alu instid0(VALU_DEP_4) | instskip(NEXT) | instid1(VALU_DEP_1)
	v_min_f32_e32 v72, v74, v73
	v_min3_f32 v70, v70, v72, v71
	global_store_b32 v[68:69], v70, off
.LBB75_60:
	s_or_b32 exec_lo, exec_lo, s2
	v_add_nc_u32_e32 v68, 16, v64
	s_delay_alu instid0(VALU_DEP_1) | instskip(SKIP_1) | instid1(VALU_DEP_2)
	v_cmp_gt_i32_e64 s2, s16, v68
	v_ashrrev_i32_e32 v69, 31, v68
	s_and_b32 s4, s2, s8
	s_delay_alu instid0(SALU_CYCLE_1)
	s_and_saveexec_b32 s3, s4
	s_cbranch_execz .LBB75_65
; %bb.61:
	v_cmp_ne_u32_e32 vcc_lo, 1, v121
	v_lshlrev_b64 v[70:71], 2, v[68:69]
	s_cbranch_vccnz .LBB75_63
; %bb.62:
	s_delay_alu instid0(VALU_DEP_1) | instskip(NEXT) | instid1(VALU_DEP_2)
	v_add_co_u32 v72, vcc_lo, v143, v70
	v_add_co_ci_u32_e32 v73, vcc_lo, v144, v71, vcc_lo
	flat_load_b32 v72, v[72:73]
	s_waitcnt vmcnt(0) lgkmcnt(0)
	v_mul_f32_e32 v72, s15, v72
	s_branch .LBB75_64
.LBB75_63:
	v_mov_b32_e32 v72, 0
.LBB75_64:
	v_dual_add_f32 v73, v25, v61 :: v_dual_add_f32 v74, v24, v60
	v_add_f32_e32 v79, v27, v63
	v_add_f32_e32 v81, v26, v62
	v_add_co_u32 v70, vcc_lo, v141, v70
	s_delay_alu instid0(VALU_DEP_4) | instskip(SKIP_1) | instid1(VALU_DEP_4)
	v_min3_f32 v73, v74, v73, v77
	v_add_co_ci_u32_e32 v71, vcc_lo, v142, v71, vcc_lo
	v_min_f32_e32 v74, v81, v79
	s_delay_alu instid0(VALU_DEP_1)
	v_min3_f32 v72, v72, v74, v73
	global_store_b32 v[70:71], v72, off
.LBB75_65:
	s_or_b32 exec_lo, exec_lo, s3
	v_add_nc_u32_e32 v70, 24, v64
	s_delay_alu instid0(VALU_DEP_1) | instskip(SKIP_1) | instid1(VALU_DEP_2)
	v_cmp_gt_i32_e64 s3, s16, v70
	v_ashrrev_i32_e32 v71, 31, v70
	s_and_b32 s5, s3, s8
	s_delay_alu instid0(SALU_CYCLE_1)
	s_and_saveexec_b32 s4, s5
	s_cbranch_execz .LBB75_70
; %bb.66:
	v_cmp_ne_u32_e32 vcc_lo, 1, v121
	v_lshlrev_b64 v[72:73], 2, v[70:71]
	s_cbranch_vccnz .LBB75_68
; %bb.67:
	s_delay_alu instid0(VALU_DEP_1) | instskip(NEXT) | instid1(VALU_DEP_2)
	v_add_co_u32 v145, vcc_lo, v143, v72
	v_add_co_ci_u32_e32 v146, vcc_lo, v144, v73, vcc_lo
	flat_load_b32 v74, v[145:146]
	s_waitcnt vmcnt(0) lgkmcnt(0)
	v_mul_f32_e32 v74, s15, v74
	s_branch .LBB75_69
.LBB75_68:
	v_mov_b32_e32 v74, 0
.LBB75_69:
	v_add_f32_e32 v77, v21, v61
	v_add_f32_e32 v79, v20, v60
	;; [unrolled: 1-line block ×4, first 2 shown]
	v_add_co_u32 v72, vcc_lo, v141, v72
	s_delay_alu instid0(VALU_DEP_4) | instskip(SKIP_1) | instid1(VALU_DEP_4)
	v_min3_f32 v75, v79, v77, v75
	v_add_co_ci_u32_e32 v73, vcc_lo, v142, v73, vcc_lo
	v_min_f32_e32 v77, v145, v81
	s_delay_alu instid0(VALU_DEP_1)
	v_min3_f32 v74, v74, v77, v75
	global_store_b32 v[72:73], v74, off
.LBB75_70:
	s_or_b32 exec_lo, exec_lo, s4
	v_add_nc_u32_e32 v72, 32, v64
	s_delay_alu instid0(VALU_DEP_1) | instskip(SKIP_1) | instid1(VALU_DEP_2)
	v_cmp_gt_i32_e64 s4, s16, v72
	v_ashrrev_i32_e32 v73, 31, v72
	s_and_b32 s6, s4, s8
	s_delay_alu instid0(SALU_CYCLE_1)
	s_and_saveexec_b32 s5, s6
	s_cbranch_execz .LBB75_75
; %bb.71:
	v_cmp_ne_u32_e32 vcc_lo, 1, v121
	v_lshlrev_b64 v[74:75], 2, v[72:73]
	s_cbranch_vccnz .LBB75_73
; %bb.72:
	s_delay_alu instid0(VALU_DEP_1) | instskip(NEXT) | instid1(VALU_DEP_2)
	v_add_co_u32 v145, vcc_lo, v143, v74
	v_add_co_ci_u32_e32 v146, vcc_lo, v144, v75, vcc_lo
	flat_load_b32 v77, v[145:146]
	s_waitcnt vmcnt(0) lgkmcnt(0)
	v_mul_f32_e32 v77, s15, v77
	s_branch .LBB75_74
.LBB75_73:
	v_mov_b32_e32 v77, 0
.LBB75_74:
	v_dual_add_f32 v79, v17, v61 :: v_dual_add_f32 v146, v18, v62
	v_add_f32_e32 v81, v16, v60
	v_add_f32_e32 v145, v19, v63
	v_add_co_u32 v74, vcc_lo, v141, v74
	v_add_co_ci_u32_e32 v75, vcc_lo, v142, v75, vcc_lo
	s_delay_alu instid0(VALU_DEP_4) | instskip(NEXT) | instid1(VALU_DEP_4)
	v_min3_f32 v76, v81, v79, v76
	v_min_f32_e32 v79, v146, v145
	s_delay_alu instid0(VALU_DEP_1)
	v_min3_f32 v76, v77, v79, v76
	global_store_b32 v[74:75], v76, off
.LBB75_75:
	s_or_b32 exec_lo, exec_lo, s5
	v_add_nc_u32_e32 v74, 40, v64
	s_delay_alu instid0(VALU_DEP_1) | instskip(SKIP_1) | instid1(VALU_DEP_2)
	v_cmp_gt_i32_e64 s5, s16, v74
	v_ashrrev_i32_e32 v75, 31, v74
	s_and_b32 s7, s5, s8
	s_delay_alu instid0(SALU_CYCLE_1)
	s_and_saveexec_b32 s6, s7
	s_cbranch_execz .LBB75_80
; %bb.76:
	v_cmp_ne_u32_e32 vcc_lo, 1, v121
	v_lshlrev_b64 v[76:77], 2, v[74:75]
	s_cbranch_vccnz .LBB75_78
; %bb.77:
	s_delay_alu instid0(VALU_DEP_1) | instskip(NEXT) | instid1(VALU_DEP_2)
	v_add_co_u32 v145, vcc_lo, v143, v76
	v_add_co_ci_u32_e32 v146, vcc_lo, v144, v77, vcc_lo
	flat_load_b32 v79, v[145:146]
	s_waitcnt vmcnt(0) lgkmcnt(0)
	v_mul_f32_e32 v79, s15, v79
	s_branch .LBB75_79
.LBB75_78:
	v_mov_b32_e32 v79, 0
.LBB75_79:
	v_dual_add_f32 v81, v13, v61 :: v_dual_add_f32 v146, v15, v63
	v_add_f32_e32 v145, v12, v60
	v_add_f32_e32 v147, v14, v62
	v_add_co_u32 v76, vcc_lo, v141, v76
	v_add_co_ci_u32_e32 v77, vcc_lo, v142, v77, vcc_lo
	s_delay_alu instid0(VALU_DEP_4) | instskip(NEXT) | instid1(VALU_DEP_4)
	v_min3_f32 v78, v145, v81, v78
	v_min_f32_e32 v81, v147, v146
	s_delay_alu instid0(VALU_DEP_1)
	v_min3_f32 v78, v79, v81, v78
	global_store_b32 v[76:77], v78, off
.LBB75_80:
	s_or_b32 exec_lo, exec_lo, s6
	v_add_nc_u32_e32 v76, 48, v64
	s_delay_alu instid0(VALU_DEP_1) | instskip(SKIP_1) | instid1(VALU_DEP_2)
	v_cmp_gt_i32_e64 s6, s16, v76
	v_ashrrev_i32_e32 v77, 31, v76
	s_and_b32 s11, s6, s8
	s_delay_alu instid0(SALU_CYCLE_1)
	s_and_saveexec_b32 s7, s11
	s_cbranch_execz .LBB75_85
; %bb.81:
	v_cmp_ne_u32_e32 vcc_lo, 1, v121
	v_lshlrev_b64 v[78:79], 2, v[76:77]
	s_cbranch_vccnz .LBB75_83
; %bb.82:
	s_delay_alu instid0(VALU_DEP_1) | instskip(NEXT) | instid1(VALU_DEP_2)
	v_add_co_u32 v145, vcc_lo, v143, v78
	v_add_co_ci_u32_e32 v146, vcc_lo, v144, v79, vcc_lo
	flat_load_b32 v81, v[145:146]
	s_waitcnt vmcnt(0) lgkmcnt(0)
	v_mul_f32_e32 v81, s15, v81
	s_branch .LBB75_84
.LBB75_83:
	v_mov_b32_e32 v81, 0
.LBB75_84:
	v_dual_add_f32 v145, v9, v61 :: v_dual_add_f32 v146, v8, v60
	v_dual_add_f32 v147, v11, v63 :: v_dual_add_f32 v148, v10, v62
	s_delay_alu instid0(VALU_DEP_4) | instskip(NEXT) | instid1(VALU_DEP_3)
	v_add_co_u32 v78, vcc_lo, v141, v78
	v_min3_f32 v80, v146, v145, v80
	v_add_co_ci_u32_e32 v79, vcc_lo, v142, v79, vcc_lo
	s_delay_alu instid0(VALU_DEP_4) | instskip(NEXT) | instid1(VALU_DEP_1)
	v_min_f32_e32 v145, v148, v147
	v_min3_f32 v80, v81, v145, v80
	global_store_b32 v[78:79], v80, off
.LBB75_85:
	s_or_b32 exec_lo, exec_lo, s7
	v_add_nc_u32_e32 v78, 56, v64
	s_delay_alu instid0(VALU_DEP_1) | instskip(SKIP_1) | instid1(VALU_DEP_2)
	v_cmp_gt_i32_e64 s7, s16, v78
	v_ashrrev_i32_e32 v79, 31, v78
	s_and_b32 s11, s7, s8
	s_delay_alu instid0(SALU_CYCLE_1)
	s_and_saveexec_b32 s8, s11
	s_cbranch_execz .LBB75_90
; %bb.86:
	v_cmp_ne_u32_e32 vcc_lo, 1, v121
	v_lshlrev_b64 v[80:81], 2, v[78:79]
	s_cbranch_vccnz .LBB75_88
; %bb.87:
	s_delay_alu instid0(VALU_DEP_1) | instskip(NEXT) | instid1(VALU_DEP_2)
	v_add_co_u32 v143, vcc_lo, v143, v80
	v_add_co_ci_u32_e32 v144, vcc_lo, v144, v81, vcc_lo
	flat_load_b32 v143, v[143:144]
	s_waitcnt vmcnt(0) lgkmcnt(0)
	v_mul_f32_e32 v143, s15, v143
	s_branch .LBB75_89
.LBB75_88:
	v_mov_b32_e32 v143, 0
.LBB75_89:
	v_dual_add_f32 v61, v1, v61 :: v_dual_add_f32 v60, v0, v60
	v_dual_add_f32 v63, v3, v63 :: v_dual_add_f32 v62, v2, v62
	s_delay_alu instid0(VALU_DEP_2) | instskip(NEXT) | instid1(VALU_DEP_2)
	v_min3_f32 v60, v60, v61, v140
	v_min_f32_e32 v61, v62, v63
	s_delay_alu instid0(VALU_DEP_1)
	v_min3_f32 v62, v143, v61, v60
	v_add_co_u32 v60, vcc_lo, v141, v80
	v_add_co_ci_u32_e32 v61, vcc_lo, v142, v81, vcc_lo
	global_store_b32 v[60:61], v62, off
.LBB75_90:
	s_or_b32 exec_lo, exec_lo, s8
	v_add_nc_u32_e32 v80, 32, v131
	s_delay_alu instid0(VALU_DEP_1) | instskip(SKIP_2) | instid1(VALU_DEP_3)
	v_mad_i64_i32 v[60:61], null, v80, s18, 0
	v_mad_i64_i32 v[62:63], null, v80, s14, 0
	v_cmp_gt_i32_e64 s8, s17, v80
	v_lshlrev_b64 v[60:61], 2, v[60:61]
	s_delay_alu instid0(VALU_DEP_2) | instskip(NEXT) | instid1(VALU_DEP_3)
	s_and_b32 s16, s0, s8
	v_lshlrev_b64 v[62:63], 2, v[62:63]
	s_delay_alu instid0(VALU_DEP_2) | instskip(NEXT) | instid1(VALU_DEP_3)
	v_add_co_u32 v80, vcc_lo, s12, v60
	v_add_co_ci_u32_e32 v81, vcc_lo, s13, v61, vcc_lo
	s_delay_alu instid0(VALU_DEP_3) | instskip(NEXT) | instid1(VALU_DEP_4)
	v_add_co_u32 v62, vcc_lo, s9, v62
	v_add_co_ci_u32_e32 v63, vcc_lo, s10, v63, vcc_lo
	s_and_saveexec_b32 s11, s16
	s_cbranch_execnz .LBB75_98
; %bb.91:
	s_or_b32 exec_lo, exec_lo, s11
	s_and_b32 s16, s1, s8
	s_delay_alu instid0(SALU_CYCLE_1)
	s_and_saveexec_b32 s11, s16
	s_cbranch_execnz .LBB75_102
.LBB75_92:
	s_or_b32 exec_lo, exec_lo, s11
	s_and_b32 s16, s2, s8
	s_delay_alu instid0(SALU_CYCLE_1)
	s_and_saveexec_b32 s11, s16
	s_cbranch_execnz .LBB75_106
.LBB75_93:
	s_or_b32 exec_lo, exec_lo, s11
	s_and_b32 s16, s3, s8
	s_delay_alu instid0(SALU_CYCLE_1)
	s_and_saveexec_b32 s11, s16
	s_cbranch_execnz .LBB75_110
.LBB75_94:
	s_or_b32 exec_lo, exec_lo, s11
	s_and_b32 s16, s4, s8
	s_delay_alu instid0(SALU_CYCLE_1)
	s_and_saveexec_b32 s11, s16
	s_cbranch_execnz .LBB75_114
.LBB75_95:
	s_or_b32 exec_lo, exec_lo, s11
	s_and_b32 s16, s5, s8
	s_delay_alu instid0(SALU_CYCLE_1)
	s_and_saveexec_b32 s11, s16
	s_cbranch_execnz .LBB75_118
.LBB75_96:
	s_or_b32 exec_lo, exec_lo, s11
	s_and_b32 s16, s6, s8
	s_delay_alu instid0(SALU_CYCLE_1)
	s_and_saveexec_b32 s11, s16
	s_cbranch_execnz .LBB75_122
.LBB75_97:
	s_or_b32 exec_lo, exec_lo, s11
	s_and_b32 s11, s7, s8
	s_delay_alu instid0(SALU_CYCLE_1)
	s_and_saveexec_b32 s8, s11
	s_cbranch_execnz .LBB75_126
	s_branch .LBB75_130
.LBB75_98:
	v_cmp_ne_u32_e32 vcc_lo, 1, v121
	v_lshlrev_b64 v[60:61], 2, v[64:65]
	s_cbranch_vccnz .LBB75_100
; %bb.99:
	s_delay_alu instid0(VALU_DEP_1) | instskip(NEXT) | instid1(VALU_DEP_2)
	v_add_co_u32 v140, vcc_lo, v80, v60
	v_add_co_ci_u32_e32 v141, vcc_lo, v81, v61, vcc_lo
	flat_load_b32 v140, v[140:141]
	s_waitcnt vmcnt(0) lgkmcnt(0)
	v_mul_f32_e32 v140, s15, v140
	s_branch .LBB75_101
.LBB75_100:
	v_mov_b32_e32 v140, 0
.LBB75_101:
	v_dual_add_f32 v141, v33, v57 :: v_dual_add_f32 v142, v32, v56
	v_dual_add_f32 v143, v35, v59 :: v_dual_add_f32 v144, v34, v58
	s_delay_alu instid0(VALU_DEP_4) | instskip(NEXT) | instid1(VALU_DEP_3)
	v_add_co_u32 v60, vcc_lo, v62, v60
	v_min3_f32 v139, v142, v141, v139
	v_add_co_ci_u32_e32 v61, vcc_lo, v63, v61, vcc_lo
	s_delay_alu instid0(VALU_DEP_4) | instskip(NEXT) | instid1(VALU_DEP_1)
	v_min_f32_e32 v141, v144, v143
	v_min3_f32 v139, v140, v141, v139
	global_store_b32 v[60:61], v139, off
	s_or_b32 exec_lo, exec_lo, s11
	s_and_b32 s16, s1, s8
	s_delay_alu instid0(SALU_CYCLE_1)
	s_and_saveexec_b32 s11, s16
	s_cbranch_execz .LBB75_92
.LBB75_102:
	v_cmp_ne_u32_e32 vcc_lo, 1, v121
	v_lshlrev_b64 v[60:61], 2, v[66:67]
	s_cbranch_vccnz .LBB75_104
; %bb.103:
	s_delay_alu instid0(VALU_DEP_1) | instskip(NEXT) | instid1(VALU_DEP_2)
	v_add_co_u32 v139, vcc_lo, v80, v60
	v_add_co_ci_u32_e32 v140, vcc_lo, v81, v61, vcc_lo
	flat_load_b32 v139, v[139:140]
	s_waitcnt vmcnt(0) lgkmcnt(0)
	v_mul_f32_e32 v139, s15, v139
	s_branch .LBB75_105
.LBB75_104:
	v_mov_b32_e32 v139, 0
.LBB75_105:
	v_dual_add_f32 v140, v29, v57 :: v_dual_add_f32 v141, v28, v56
	v_dual_add_f32 v142, v31, v59 :: v_dual_add_f32 v143, v30, v58
	s_delay_alu instid0(VALU_DEP_4) | instskip(NEXT) | instid1(VALU_DEP_3)
	v_add_co_u32 v60, vcc_lo, v62, v60
	v_min3_f32 v138, v141, v140, v138
	v_add_co_ci_u32_e32 v61, vcc_lo, v63, v61, vcc_lo
	s_delay_alu instid0(VALU_DEP_4) | instskip(NEXT) | instid1(VALU_DEP_1)
	v_min_f32_e32 v140, v143, v142
	v_min3_f32 v138, v139, v140, v138
	global_store_b32 v[60:61], v138, off
	s_or_b32 exec_lo, exec_lo, s11
	s_and_b32 s16, s2, s8
	s_delay_alu instid0(SALU_CYCLE_1)
	s_and_saveexec_b32 s11, s16
	s_cbranch_execz .LBB75_93
.LBB75_106:
	v_cmp_ne_u32_e32 vcc_lo, 1, v121
	v_lshlrev_b64 v[60:61], 2, v[68:69]
	s_cbranch_vccnz .LBB75_108
; %bb.107:
	s_delay_alu instid0(VALU_DEP_1) | instskip(NEXT) | instid1(VALU_DEP_2)
	v_add_co_u32 v138, vcc_lo, v80, v60
	v_add_co_ci_u32_e32 v139, vcc_lo, v81, v61, vcc_lo
	flat_load_b32 v138, v[138:139]
	s_waitcnt vmcnt(0) lgkmcnt(0)
	v_mul_f32_e32 v138, s15, v138
	s_branch .LBB75_109
.LBB75_108:
	v_mov_b32_e32 v138, 0
.LBB75_109:
	v_dual_add_f32 v139, v25, v57 :: v_dual_add_f32 v140, v24, v56
	v_dual_add_f32 v141, v27, v59 :: v_dual_add_f32 v142, v26, v58
	s_delay_alu instid0(VALU_DEP_4) | instskip(NEXT) | instid1(VALU_DEP_3)
	v_add_co_u32 v60, vcc_lo, v62, v60
	v_min3_f32 v137, v140, v139, v137
	v_add_co_ci_u32_e32 v61, vcc_lo, v63, v61, vcc_lo
	s_delay_alu instid0(VALU_DEP_4) | instskip(NEXT) | instid1(VALU_DEP_1)
	v_min_f32_e32 v139, v142, v141
	v_min3_f32 v137, v138, v139, v137
	global_store_b32 v[60:61], v137, off
	s_or_b32 exec_lo, exec_lo, s11
	s_and_b32 s16, s3, s8
	s_delay_alu instid0(SALU_CYCLE_1)
	s_and_saveexec_b32 s11, s16
	s_cbranch_execz .LBB75_94
.LBB75_110:
	v_cmp_ne_u32_e32 vcc_lo, 1, v121
	v_lshlrev_b64 v[60:61], 2, v[70:71]
	s_cbranch_vccnz .LBB75_112
; %bb.111:
	s_delay_alu instid0(VALU_DEP_1) | instskip(NEXT) | instid1(VALU_DEP_2)
	v_add_co_u32 v137, vcc_lo, v80, v60
	v_add_co_ci_u32_e32 v138, vcc_lo, v81, v61, vcc_lo
	flat_load_b32 v137, v[137:138]
	s_waitcnt vmcnt(0) lgkmcnt(0)
	v_mul_f32_e32 v137, s15, v137
	s_branch .LBB75_113
.LBB75_112:
	v_mov_b32_e32 v137, 0
.LBB75_113:
	v_dual_add_f32 v138, v21, v57 :: v_dual_add_f32 v139, v20, v56
	v_dual_add_f32 v140, v23, v59 :: v_dual_add_f32 v141, v22, v58
	s_delay_alu instid0(VALU_DEP_4) | instskip(NEXT) | instid1(VALU_DEP_3)
	v_add_co_u32 v60, vcc_lo, v62, v60
	v_min3_f32 v136, v139, v138, v136
	v_add_co_ci_u32_e32 v61, vcc_lo, v63, v61, vcc_lo
	s_delay_alu instid0(VALU_DEP_4) | instskip(NEXT) | instid1(VALU_DEP_1)
	v_min_f32_e32 v138, v141, v140
	v_min3_f32 v136, v137, v138, v136
	global_store_b32 v[60:61], v136, off
	s_or_b32 exec_lo, exec_lo, s11
	s_and_b32 s16, s4, s8
	s_delay_alu instid0(SALU_CYCLE_1)
	s_and_saveexec_b32 s11, s16
	s_cbranch_execz .LBB75_95
.LBB75_114:
	v_cmp_ne_u32_e32 vcc_lo, 1, v121
	v_lshlrev_b64 v[60:61], 2, v[72:73]
	s_cbranch_vccnz .LBB75_116
; %bb.115:
	s_delay_alu instid0(VALU_DEP_1) | instskip(NEXT) | instid1(VALU_DEP_2)
	v_add_co_u32 v136, vcc_lo, v80, v60
	v_add_co_ci_u32_e32 v137, vcc_lo, v81, v61, vcc_lo
	flat_load_b32 v136, v[136:137]
	s_waitcnt vmcnt(0) lgkmcnt(0)
	v_mul_f32_e32 v136, s15, v136
	s_branch .LBB75_117
.LBB75_116:
	v_mov_b32_e32 v136, 0
.LBB75_117:
	v_dual_add_f32 v137, v17, v57 :: v_dual_add_f32 v138, v16, v56
	v_dual_add_f32 v139, v19, v59 :: v_dual_add_f32 v140, v18, v58
	s_delay_alu instid0(VALU_DEP_4) | instskip(NEXT) | instid1(VALU_DEP_3)
	v_add_co_u32 v60, vcc_lo, v62, v60
	v_min3_f32 v135, v138, v137, v135
	v_add_co_ci_u32_e32 v61, vcc_lo, v63, v61, vcc_lo
	s_delay_alu instid0(VALU_DEP_4) | instskip(NEXT) | instid1(VALU_DEP_1)
	v_min_f32_e32 v137, v140, v139
	v_min3_f32 v135, v136, v137, v135
	global_store_b32 v[60:61], v135, off
	s_or_b32 exec_lo, exec_lo, s11
	s_and_b32 s16, s5, s8
	s_delay_alu instid0(SALU_CYCLE_1)
	s_and_saveexec_b32 s11, s16
	s_cbranch_execz .LBB75_96
.LBB75_118:
	v_cmp_ne_u32_e32 vcc_lo, 1, v121
	v_lshlrev_b64 v[60:61], 2, v[74:75]
	s_cbranch_vccnz .LBB75_120
; %bb.119:
	s_delay_alu instid0(VALU_DEP_1) | instskip(NEXT) | instid1(VALU_DEP_2)
	v_add_co_u32 v135, vcc_lo, v80, v60
	v_add_co_ci_u32_e32 v136, vcc_lo, v81, v61, vcc_lo
	flat_load_b32 v135, v[135:136]
	s_waitcnt vmcnt(0) lgkmcnt(0)
	v_mul_f32_e32 v135, s15, v135
	s_branch .LBB75_121
.LBB75_120:
	v_mov_b32_e32 v135, 0
.LBB75_121:
	v_dual_add_f32 v136, v13, v57 :: v_dual_add_f32 v137, v12, v56
	v_dual_add_f32 v138, v15, v59 :: v_dual_add_f32 v139, v14, v58
	s_delay_alu instid0(VALU_DEP_4) | instskip(NEXT) | instid1(VALU_DEP_3)
	v_add_co_u32 v60, vcc_lo, v62, v60
	v_min3_f32 v134, v137, v136, v134
	v_add_co_ci_u32_e32 v61, vcc_lo, v63, v61, vcc_lo
	s_delay_alu instid0(VALU_DEP_4) | instskip(NEXT) | instid1(VALU_DEP_1)
	v_min_f32_e32 v136, v139, v138
	v_min3_f32 v134, v135, v136, v134
	global_store_b32 v[60:61], v134, off
	s_or_b32 exec_lo, exec_lo, s11
	s_and_b32 s16, s6, s8
	s_delay_alu instid0(SALU_CYCLE_1)
	s_and_saveexec_b32 s11, s16
	s_cbranch_execz .LBB75_97
.LBB75_122:
	v_cmp_ne_u32_e32 vcc_lo, 1, v121
	v_lshlrev_b64 v[60:61], 2, v[76:77]
	s_cbranch_vccnz .LBB75_124
; %bb.123:
	s_delay_alu instid0(VALU_DEP_1) | instskip(NEXT) | instid1(VALU_DEP_2)
	v_add_co_u32 v134, vcc_lo, v80, v60
	v_add_co_ci_u32_e32 v135, vcc_lo, v81, v61, vcc_lo
	flat_load_b32 v134, v[134:135]
	s_waitcnt vmcnt(0) lgkmcnt(0)
	v_mul_f32_e32 v134, s15, v134
	s_branch .LBB75_125
.LBB75_124:
	v_mov_b32_e32 v134, 0
.LBB75_125:
	v_dual_add_f32 v135, v9, v57 :: v_dual_add_f32 v136, v8, v56
	v_dual_add_f32 v137, v11, v59 :: v_dual_add_f32 v138, v10, v58
	s_delay_alu instid0(VALU_DEP_4) | instskip(NEXT) | instid1(VALU_DEP_3)
	v_add_co_u32 v60, vcc_lo, v62, v60
	v_min3_f32 v133, v136, v135, v133
	v_add_co_ci_u32_e32 v61, vcc_lo, v63, v61, vcc_lo
	s_delay_alu instid0(VALU_DEP_4) | instskip(NEXT) | instid1(VALU_DEP_1)
	v_min_f32_e32 v135, v138, v137
	v_min3_f32 v133, v134, v135, v133
	global_store_b32 v[60:61], v133, off
	s_or_b32 exec_lo, exec_lo, s11
	s_and_b32 s11, s7, s8
	s_delay_alu instid0(SALU_CYCLE_1)
	s_and_saveexec_b32 s8, s11
	s_cbranch_execz .LBB75_130
.LBB75_126:
	v_cmp_ne_u32_e32 vcc_lo, 1, v121
	v_lshlrev_b64 v[60:61], 2, v[78:79]
	s_cbranch_vccnz .LBB75_128
; %bb.127:
	s_delay_alu instid0(VALU_DEP_1) | instskip(NEXT) | instid1(VALU_DEP_2)
	v_add_co_u32 v80, vcc_lo, v80, v60
	v_add_co_ci_u32_e32 v81, vcc_lo, v81, v61, vcc_lo
	flat_load_b32 v80, v[80:81]
	s_waitcnt vmcnt(0) lgkmcnt(0)
	v_mul_f32_e32 v80, s15, v80
	s_branch .LBB75_129
.LBB75_128:
	v_mov_b32_e32 v80, 0
.LBB75_129:
	v_dual_add_f32 v57, v1, v57 :: v_dual_add_f32 v56, v0, v56
	v_dual_add_f32 v59, v3, v59 :: v_dual_add_f32 v58, v2, v58
	s_delay_alu instid0(VALU_DEP_2) | instskip(NEXT) | instid1(VALU_DEP_2)
	v_min3_f32 v56, v56, v57, v132
	v_min_f32_e32 v57, v58, v59
	s_delay_alu instid0(VALU_DEP_1)
	v_min3_f32 v58, v80, v57, v56
	v_add_co_u32 v56, vcc_lo, v62, v60
	v_add_co_ci_u32_e32 v57, vcc_lo, v63, v61, vcc_lo
	global_store_b32 v[56:57], v58, off
.LBB75_130:
	s_or_b32 exec_lo, exec_lo, s8
	v_add_nc_u32_e32 v60, 64, v131
	s_delay_alu instid0(VALU_DEP_1) | instskip(SKIP_2) | instid1(VALU_DEP_3)
	v_mad_i64_i32 v[56:57], null, v60, s18, 0
	v_mad_i64_i32 v[58:59], null, v60, s14, 0
	v_cmp_gt_i32_e64 s8, s17, v60
	v_lshlrev_b64 v[56:57], 2, v[56:57]
	s_delay_alu instid0(VALU_DEP_2) | instskip(NEXT) | instid1(VALU_DEP_3)
	s_and_b32 s16, s0, s8
	v_lshlrev_b64 v[58:59], 2, v[58:59]
	s_delay_alu instid0(VALU_DEP_2) | instskip(NEXT) | instid1(VALU_DEP_3)
	v_add_co_u32 v60, vcc_lo, s12, v56
	v_add_co_ci_u32_e32 v61, vcc_lo, s13, v57, vcc_lo
	s_delay_alu instid0(VALU_DEP_3) | instskip(NEXT) | instid1(VALU_DEP_4)
	v_add_co_u32 v58, vcc_lo, s9, v58
	v_add_co_ci_u32_e32 v59, vcc_lo, s10, v59, vcc_lo
	s_and_saveexec_b32 s11, s16
	s_cbranch_execnz .LBB75_138
; %bb.131:
	s_or_b32 exec_lo, exec_lo, s11
	s_and_b32 s16, s1, s8
	s_delay_alu instid0(SALU_CYCLE_1)
	s_and_saveexec_b32 s11, s16
	s_cbranch_execnz .LBB75_142
.LBB75_132:
	s_or_b32 exec_lo, exec_lo, s11
	s_and_b32 s16, s2, s8
	s_delay_alu instid0(SALU_CYCLE_1)
	s_and_saveexec_b32 s11, s16
	s_cbranch_execnz .LBB75_146
.LBB75_133:
	s_or_b32 exec_lo, exec_lo, s11
	s_and_b32 s16, s3, s8
	s_delay_alu instid0(SALU_CYCLE_1)
	s_and_saveexec_b32 s11, s16
	s_cbranch_execnz .LBB75_150
.LBB75_134:
	s_or_b32 exec_lo, exec_lo, s11
	s_and_b32 s16, s4, s8
	s_delay_alu instid0(SALU_CYCLE_1)
	s_and_saveexec_b32 s11, s16
	s_cbranch_execnz .LBB75_154
.LBB75_135:
	s_or_b32 exec_lo, exec_lo, s11
	s_and_b32 s16, s5, s8
	s_delay_alu instid0(SALU_CYCLE_1)
	s_and_saveexec_b32 s11, s16
	s_cbranch_execnz .LBB75_158
.LBB75_136:
	s_or_b32 exec_lo, exec_lo, s11
	s_and_b32 s16, s6, s8
	s_delay_alu instid0(SALU_CYCLE_1)
	s_and_saveexec_b32 s11, s16
	s_cbranch_execnz .LBB75_162
.LBB75_137:
	s_or_b32 exec_lo, exec_lo, s11
	s_and_b32 s11, s7, s8
	s_delay_alu instid0(SALU_CYCLE_1)
	s_and_saveexec_b32 s8, s11
	s_cbranch_execnz .LBB75_166
	s_branch .LBB75_170
.LBB75_138:
	v_cmp_ne_u32_e32 vcc_lo, 1, v121
	v_lshlrev_b64 v[56:57], 2, v[64:65]
	s_cbranch_vccnz .LBB75_140
; %bb.139:
	s_delay_alu instid0(VALU_DEP_1) | instskip(NEXT) | instid1(VALU_DEP_2)
	v_add_co_u32 v62, vcc_lo, v60, v56
	v_add_co_ci_u32_e32 v63, vcc_lo, v61, v57, vcc_lo
	flat_load_b32 v62, v[62:63]
	s_waitcnt vmcnt(0) lgkmcnt(0)
	v_mul_f32_e32 v62, s15, v62
	s_branch .LBB75_141
.LBB75_140:
	v_mov_b32_e32 v62, 0
.LBB75_141:
	v_dual_add_f32 v63, v33, v53 :: v_dual_add_f32 v80, v32, v52
	v_dual_add_f32 v81, v35, v55 :: v_dual_add_f32 v132, v34, v54
	s_delay_alu instid0(VALU_DEP_4) | instskip(NEXT) | instid1(VALU_DEP_3)
	v_add_co_u32 v56, vcc_lo, v58, v56
	v_min3_f32 v63, v80, v63, v130
	v_add_co_ci_u32_e32 v57, vcc_lo, v59, v57, vcc_lo
	s_delay_alu instid0(VALU_DEP_4) | instskip(NEXT) | instid1(VALU_DEP_1)
	v_min_f32_e32 v80, v132, v81
	v_min3_f32 v62, v62, v80, v63
	global_store_b32 v[56:57], v62, off
	s_or_b32 exec_lo, exec_lo, s11
	s_and_b32 s16, s1, s8
	s_delay_alu instid0(SALU_CYCLE_1)
	s_and_saveexec_b32 s11, s16
	s_cbranch_execz .LBB75_132
.LBB75_142:
	v_cmp_ne_u32_e32 vcc_lo, 1, v121
	v_lshlrev_b64 v[56:57], 2, v[66:67]
	s_cbranch_vccnz .LBB75_144
; %bb.143:
	s_delay_alu instid0(VALU_DEP_1) | instskip(NEXT) | instid1(VALU_DEP_2)
	v_add_co_u32 v62, vcc_lo, v60, v56
	v_add_co_ci_u32_e32 v63, vcc_lo, v61, v57, vcc_lo
	flat_load_b32 v62, v[62:63]
	s_waitcnt vmcnt(0) lgkmcnt(0)
	v_mul_f32_e32 v62, s15, v62
	s_branch .LBB75_145
.LBB75_144:
	v_mov_b32_e32 v62, 0
.LBB75_145:
	v_dual_add_f32 v63, v29, v53 :: v_dual_add_f32 v80, v28, v52
	v_dual_add_f32 v81, v31, v55 :: v_dual_add_f32 v130, v30, v54
	s_delay_alu instid0(VALU_DEP_4) | instskip(NEXT) | instid1(VALU_DEP_3)
	v_add_co_u32 v56, vcc_lo, v58, v56
	v_min3_f32 v63, v80, v63, v129
	v_add_co_ci_u32_e32 v57, vcc_lo, v59, v57, vcc_lo
	s_delay_alu instid0(VALU_DEP_4) | instskip(NEXT) | instid1(VALU_DEP_1)
	v_min_f32_e32 v80, v130, v81
	v_min3_f32 v62, v62, v80, v63
	global_store_b32 v[56:57], v62, off
	s_or_b32 exec_lo, exec_lo, s11
	s_and_b32 s16, s2, s8
	s_delay_alu instid0(SALU_CYCLE_1)
	s_and_saveexec_b32 s11, s16
	s_cbranch_execz .LBB75_133
.LBB75_146:
	v_cmp_ne_u32_e32 vcc_lo, 1, v121
	v_lshlrev_b64 v[56:57], 2, v[68:69]
	s_cbranch_vccnz .LBB75_148
; %bb.147:
	s_delay_alu instid0(VALU_DEP_1) | instskip(NEXT) | instid1(VALU_DEP_2)
	v_add_co_u32 v62, vcc_lo, v60, v56
	v_add_co_ci_u32_e32 v63, vcc_lo, v61, v57, vcc_lo
	flat_load_b32 v62, v[62:63]
	s_waitcnt vmcnt(0) lgkmcnt(0)
	v_mul_f32_e32 v62, s15, v62
	s_branch .LBB75_149
.LBB75_148:
	v_mov_b32_e32 v62, 0
.LBB75_149:
	v_dual_add_f32 v63, v25, v53 :: v_dual_add_f32 v80, v24, v52
	v_add_f32_e32 v81, v27, v55
	v_add_f32_e32 v129, v26, v54
	v_add_co_u32 v56, vcc_lo, v58, v56
	s_delay_alu instid0(VALU_DEP_4) | instskip(SKIP_1) | instid1(VALU_DEP_4)
	v_min3_f32 v63, v80, v63, v128
	v_add_co_ci_u32_e32 v57, vcc_lo, v59, v57, vcc_lo
	v_min_f32_e32 v80, v129, v81
	s_delay_alu instid0(VALU_DEP_1) | instskip(SKIP_3) | instid1(SALU_CYCLE_1)
	v_min3_f32 v62, v62, v80, v63
	global_store_b32 v[56:57], v62, off
	s_or_b32 exec_lo, exec_lo, s11
	s_and_b32 s16, s3, s8
	s_and_saveexec_b32 s11, s16
	s_cbranch_execz .LBB75_134
.LBB75_150:
	v_cmp_ne_u32_e32 vcc_lo, 1, v121
	v_lshlrev_b64 v[56:57], 2, v[70:71]
	s_cbranch_vccnz .LBB75_152
; %bb.151:
	s_delay_alu instid0(VALU_DEP_1) | instskip(NEXT) | instid1(VALU_DEP_2)
	v_add_co_u32 v62, vcc_lo, v60, v56
	v_add_co_ci_u32_e32 v63, vcc_lo, v61, v57, vcc_lo
	flat_load_b32 v62, v[62:63]
	s_waitcnt vmcnt(0) lgkmcnt(0)
	v_mul_f32_e32 v62, s15, v62
	s_branch .LBB75_153
.LBB75_152:
	v_mov_b32_e32 v62, 0
.LBB75_153:
	v_dual_add_f32 v63, v21, v53 :: v_dual_add_f32 v80, v20, v52
	v_dual_add_f32 v81, v23, v55 :: v_dual_add_f32 v128, v22, v54
	s_delay_alu instid0(VALU_DEP_4) | instskip(NEXT) | instid1(VALU_DEP_3)
	v_add_co_u32 v56, vcc_lo, v58, v56
	v_min3_f32 v63, v80, v63, v127
	v_add_co_ci_u32_e32 v57, vcc_lo, v59, v57, vcc_lo
	s_delay_alu instid0(VALU_DEP_4) | instskip(NEXT) | instid1(VALU_DEP_1)
	v_min_f32_e32 v80, v128, v81
	v_min3_f32 v62, v62, v80, v63
	global_store_b32 v[56:57], v62, off
	s_or_b32 exec_lo, exec_lo, s11
	s_and_b32 s16, s4, s8
	s_delay_alu instid0(SALU_CYCLE_1)
	s_and_saveexec_b32 s11, s16
	s_cbranch_execz .LBB75_135
.LBB75_154:
	v_cmp_ne_u32_e32 vcc_lo, 1, v121
	v_lshlrev_b64 v[56:57], 2, v[72:73]
	s_cbranch_vccnz .LBB75_156
; %bb.155:
	s_delay_alu instid0(VALU_DEP_1) | instskip(NEXT) | instid1(VALU_DEP_2)
	v_add_co_u32 v62, vcc_lo, v60, v56
	v_add_co_ci_u32_e32 v63, vcc_lo, v61, v57, vcc_lo
	flat_load_b32 v62, v[62:63]
	s_waitcnt vmcnt(0) lgkmcnt(0)
	v_mul_f32_e32 v62, s15, v62
	s_branch .LBB75_157
.LBB75_156:
	v_mov_b32_e32 v62, 0
.LBB75_157:
	v_dual_add_f32 v63, v17, v53 :: v_dual_add_f32 v80, v16, v52
	v_add_f32_e32 v81, v19, v55
	v_add_f32_e32 v127, v18, v54
	v_add_co_u32 v56, vcc_lo, v58, v56
	s_delay_alu instid0(VALU_DEP_4) | instskip(SKIP_1) | instid1(VALU_DEP_4)
	v_min3_f32 v63, v80, v63, v126
	v_add_co_ci_u32_e32 v57, vcc_lo, v59, v57, vcc_lo
	v_min_f32_e32 v80, v127, v81
	s_delay_alu instid0(VALU_DEP_1) | instskip(SKIP_3) | instid1(SALU_CYCLE_1)
	v_min3_f32 v62, v62, v80, v63
	global_store_b32 v[56:57], v62, off
	s_or_b32 exec_lo, exec_lo, s11
	s_and_b32 s16, s5, s8
	s_and_saveexec_b32 s11, s16
	s_cbranch_execz .LBB75_136
.LBB75_158:
	v_cmp_ne_u32_e32 vcc_lo, 1, v121
	v_lshlrev_b64 v[56:57], 2, v[74:75]
	s_cbranch_vccnz .LBB75_160
; %bb.159:
	s_delay_alu instid0(VALU_DEP_1) | instskip(NEXT) | instid1(VALU_DEP_2)
	v_add_co_u32 v62, vcc_lo, v60, v56
	v_add_co_ci_u32_e32 v63, vcc_lo, v61, v57, vcc_lo
	flat_load_b32 v62, v[62:63]
	s_waitcnt vmcnt(0) lgkmcnt(0)
	v_mul_f32_e32 v62, s15, v62
	s_branch .LBB75_161
.LBB75_160:
	v_mov_b32_e32 v62, 0
.LBB75_161:
	v_dual_add_f32 v63, v13, v53 :: v_dual_add_f32 v80, v12, v52
	v_dual_add_f32 v81, v15, v55 :: v_dual_add_f32 v126, v14, v54
	s_delay_alu instid0(VALU_DEP_4) | instskip(NEXT) | instid1(VALU_DEP_3)
	v_add_co_u32 v56, vcc_lo, v58, v56
	v_min3_f32 v63, v80, v63, v125
	v_add_co_ci_u32_e32 v57, vcc_lo, v59, v57, vcc_lo
	s_delay_alu instid0(VALU_DEP_4) | instskip(NEXT) | instid1(VALU_DEP_1)
	v_min_f32_e32 v80, v126, v81
	v_min3_f32 v62, v62, v80, v63
	global_store_b32 v[56:57], v62, off
	s_or_b32 exec_lo, exec_lo, s11
	s_and_b32 s16, s6, s8
	s_delay_alu instid0(SALU_CYCLE_1)
	s_and_saveexec_b32 s11, s16
	s_cbranch_execz .LBB75_137
.LBB75_162:
	v_cmp_ne_u32_e32 vcc_lo, 1, v121
	v_lshlrev_b64 v[56:57], 2, v[76:77]
	s_cbranch_vccnz .LBB75_164
; %bb.163:
	s_delay_alu instid0(VALU_DEP_1) | instskip(NEXT) | instid1(VALU_DEP_2)
	v_add_co_u32 v62, vcc_lo, v60, v56
	v_add_co_ci_u32_e32 v63, vcc_lo, v61, v57, vcc_lo
	flat_load_b32 v62, v[62:63]
	s_waitcnt vmcnt(0) lgkmcnt(0)
	v_mul_f32_e32 v62, s15, v62
	s_branch .LBB75_165
.LBB75_164:
	v_mov_b32_e32 v62, 0
.LBB75_165:
	v_dual_add_f32 v63, v9, v53 :: v_dual_add_f32 v80, v8, v52
	v_add_f32_e32 v81, v11, v55
	v_add_f32_e32 v125, v10, v54
	v_add_co_u32 v56, vcc_lo, v58, v56
	s_delay_alu instid0(VALU_DEP_4) | instskip(SKIP_1) | instid1(VALU_DEP_4)
	v_min3_f32 v63, v80, v63, v124
	v_add_co_ci_u32_e32 v57, vcc_lo, v59, v57, vcc_lo
	v_min_f32_e32 v80, v125, v81
	s_delay_alu instid0(VALU_DEP_1) | instskip(SKIP_3) | instid1(SALU_CYCLE_1)
	v_min3_f32 v62, v62, v80, v63
	global_store_b32 v[56:57], v62, off
	s_or_b32 exec_lo, exec_lo, s11
	s_and_b32 s11, s7, s8
	s_and_saveexec_b32 s8, s11
	s_cbranch_execz .LBB75_170
.LBB75_166:
	v_cmp_ne_u32_e32 vcc_lo, 1, v121
	v_lshlrev_b64 v[56:57], 2, v[78:79]
	s_cbranch_vccnz .LBB75_168
; %bb.167:
	s_delay_alu instid0(VALU_DEP_1) | instskip(NEXT) | instid1(VALU_DEP_2)
	v_add_co_u32 v60, vcc_lo, v60, v56
	v_add_co_ci_u32_e32 v61, vcc_lo, v61, v57, vcc_lo
	flat_load_b32 v60, v[60:61]
	s_waitcnt vmcnt(0) lgkmcnt(0)
	v_mul_f32_e32 v60, s15, v60
	s_branch .LBB75_169
.LBB75_168:
	v_mov_b32_e32 v60, 0
.LBB75_169:
	v_dual_add_f32 v53, v1, v53 :: v_dual_add_f32 v52, v0, v52
	v_dual_add_f32 v55, v3, v55 :: v_dual_add_f32 v54, v2, v54
	s_delay_alu instid0(VALU_DEP_2) | instskip(NEXT) | instid1(VALU_DEP_2)
	v_min3_f32 v52, v52, v53, v122
	v_min_f32_e32 v53, v54, v55
	s_delay_alu instid0(VALU_DEP_1)
	v_min3_f32 v54, v60, v53, v52
	v_add_co_u32 v52, vcc_lo, v58, v56
	v_add_co_ci_u32_e32 v53, vcc_lo, v59, v57, vcc_lo
	global_store_b32 v[52:53], v54, off
.LBB75_170:
	s_or_b32 exec_lo, exec_lo, s8
	v_add_nc_u32_e32 v56, 0x60, v131
	s_delay_alu instid0(VALU_DEP_1) | instskip(SKIP_2) | instid1(VALU_DEP_3)
	v_mad_i64_i32 v[52:53], null, v56, s18, 0
	v_mad_i64_i32 v[54:55], null, v56, s14, 0
	v_cmp_gt_i32_e64 s8, s17, v56
	v_lshlrev_b64 v[52:53], 2, v[52:53]
	s_delay_alu instid0(VALU_DEP_2) | instskip(NEXT) | instid1(VALU_DEP_3)
	s_and_b32 s16, s0, s8
	v_lshlrev_b64 v[54:55], 2, v[54:55]
	s_delay_alu instid0(VALU_DEP_2) | instskip(NEXT) | instid1(VALU_DEP_3)
	v_add_co_u32 v56, vcc_lo, s12, v52
	v_add_co_ci_u32_e32 v57, vcc_lo, s13, v53, vcc_lo
	s_delay_alu instid0(VALU_DEP_3) | instskip(NEXT) | instid1(VALU_DEP_4)
	v_add_co_u32 v54, vcc_lo, s9, v54
	v_add_co_ci_u32_e32 v55, vcc_lo, s10, v55, vcc_lo
	s_and_saveexec_b32 s11, s16
	s_cbranch_execnz .LBB75_178
; %bb.171:
	s_or_b32 exec_lo, exec_lo, s11
	s_and_b32 s16, s1, s8
	s_delay_alu instid0(SALU_CYCLE_1)
	s_and_saveexec_b32 s11, s16
	s_cbranch_execnz .LBB75_182
.LBB75_172:
	s_or_b32 exec_lo, exec_lo, s11
	s_and_b32 s16, s2, s8
	s_delay_alu instid0(SALU_CYCLE_1)
	s_and_saveexec_b32 s11, s16
	s_cbranch_execnz .LBB75_186
.LBB75_173:
	s_or_b32 exec_lo, exec_lo, s11
	s_and_b32 s16, s3, s8
	s_delay_alu instid0(SALU_CYCLE_1)
	s_and_saveexec_b32 s11, s16
	s_cbranch_execnz .LBB75_190
.LBB75_174:
	s_or_b32 exec_lo, exec_lo, s11
	s_and_b32 s16, s4, s8
	s_delay_alu instid0(SALU_CYCLE_1)
	s_and_saveexec_b32 s11, s16
	s_cbranch_execnz .LBB75_194
.LBB75_175:
	s_or_b32 exec_lo, exec_lo, s11
	s_and_b32 s16, s5, s8
	s_delay_alu instid0(SALU_CYCLE_1)
	s_and_saveexec_b32 s11, s16
	s_cbranch_execnz .LBB75_198
.LBB75_176:
	s_or_b32 exec_lo, exec_lo, s11
	s_and_b32 s16, s6, s8
	s_delay_alu instid0(SALU_CYCLE_1)
	s_and_saveexec_b32 s11, s16
	s_cbranch_execnz .LBB75_202
.LBB75_177:
	s_or_b32 exec_lo, exec_lo, s11
	s_and_b32 s11, s7, s8
	s_delay_alu instid0(SALU_CYCLE_1)
	s_and_saveexec_b32 s8, s11
	s_cbranch_execnz .LBB75_206
	s_branch .LBB75_210
.LBB75_178:
	v_cmp_ne_u32_e32 vcc_lo, 1, v121
	v_lshlrev_b64 v[52:53], 2, v[64:65]
	s_cbranch_vccnz .LBB75_180
; %bb.179:
	s_delay_alu instid0(VALU_DEP_1) | instskip(NEXT) | instid1(VALU_DEP_2)
	v_add_co_u32 v58, vcc_lo, v56, v52
	v_add_co_ci_u32_e32 v59, vcc_lo, v57, v53, vcc_lo
	flat_load_b32 v58, v[58:59]
	s_waitcnt vmcnt(0) lgkmcnt(0)
	v_mul_f32_e32 v58, s15, v58
	s_branch .LBB75_181
.LBB75_180:
	v_mov_b32_e32 v58, 0
.LBB75_181:
	v_dual_add_f32 v59, v33, v49 :: v_dual_add_f32 v60, v32, v48
	v_dual_add_f32 v61, v35, v51 :: v_dual_add_f32 v62, v34, v50
	s_delay_alu instid0(VALU_DEP_4) | instskip(NEXT) | instid1(VALU_DEP_3)
	v_add_co_u32 v52, vcc_lo, v54, v52
	v_min3_f32 v59, v60, v59, v123
	v_add_co_ci_u32_e32 v53, vcc_lo, v55, v53, vcc_lo
	s_delay_alu instid0(VALU_DEP_4) | instskip(NEXT) | instid1(VALU_DEP_1)
	v_min_f32_e32 v60, v62, v61
	v_min3_f32 v58, v58, v60, v59
	global_store_b32 v[52:53], v58, off
	s_or_b32 exec_lo, exec_lo, s11
	s_and_b32 s16, s1, s8
	s_delay_alu instid0(SALU_CYCLE_1)
	s_and_saveexec_b32 s11, s16
	s_cbranch_execz .LBB75_172
.LBB75_182:
	v_cmp_ne_u32_e32 vcc_lo, 1, v121
	v_lshlrev_b64 v[52:53], 2, v[66:67]
	s_cbranch_vccnz .LBB75_184
; %bb.183:
	s_delay_alu instid0(VALU_DEP_1) | instskip(NEXT) | instid1(VALU_DEP_2)
	v_add_co_u32 v58, vcc_lo, v56, v52
	v_add_co_ci_u32_e32 v59, vcc_lo, v57, v53, vcc_lo
	flat_load_b32 v58, v[58:59]
	s_waitcnt vmcnt(0) lgkmcnt(0)
	v_mul_f32_e32 v58, s15, v58
	s_branch .LBB75_185
.LBB75_184:
	v_mov_b32_e32 v58, 0
.LBB75_185:
	v_dual_add_f32 v59, v29, v49 :: v_dual_add_f32 v60, v28, v48
	v_dual_add_f32 v61, v31, v51 :: v_dual_add_f32 v62, v30, v50
	s_delay_alu instid0(VALU_DEP_4) | instskip(NEXT) | instid1(VALU_DEP_3)
	v_add_co_u32 v52, vcc_lo, v54, v52
	v_min3_f32 v59, v60, v59, v120
	v_add_co_ci_u32_e32 v53, vcc_lo, v55, v53, vcc_lo
	s_delay_alu instid0(VALU_DEP_4) | instskip(NEXT) | instid1(VALU_DEP_1)
	v_min_f32_e32 v60, v62, v61
	v_min3_f32 v58, v58, v60, v59
	global_store_b32 v[52:53], v58, off
	s_or_b32 exec_lo, exec_lo, s11
	s_and_b32 s16, s2, s8
	s_delay_alu instid0(SALU_CYCLE_1)
	s_and_saveexec_b32 s11, s16
	s_cbranch_execz .LBB75_173
.LBB75_186:
	v_cmp_ne_u32_e32 vcc_lo, 1, v121
	v_lshlrev_b64 v[52:53], 2, v[68:69]
	s_cbranch_vccnz .LBB75_188
; %bb.187:
	s_delay_alu instid0(VALU_DEP_1) | instskip(NEXT) | instid1(VALU_DEP_2)
	v_add_co_u32 v58, vcc_lo, v56, v52
	v_add_co_ci_u32_e32 v59, vcc_lo, v57, v53, vcc_lo
	flat_load_b32 v58, v[58:59]
	s_waitcnt vmcnt(0) lgkmcnt(0)
	v_mul_f32_e32 v58, s15, v58
	s_branch .LBB75_189
.LBB75_188:
	v_mov_b32_e32 v58, 0
.LBB75_189:
	v_dual_add_f32 v59, v25, v49 :: v_dual_add_f32 v60, v24, v48
	v_dual_add_f32 v61, v27, v51 :: v_dual_add_f32 v62, v26, v50
	s_delay_alu instid0(VALU_DEP_4) | instskip(NEXT) | instid1(VALU_DEP_3)
	v_add_co_u32 v52, vcc_lo, v54, v52
	v_min3_f32 v59, v60, v59, v119
	v_add_co_ci_u32_e32 v53, vcc_lo, v55, v53, vcc_lo
	s_delay_alu instid0(VALU_DEP_4) | instskip(NEXT) | instid1(VALU_DEP_1)
	v_min_f32_e32 v60, v62, v61
	v_min3_f32 v58, v58, v60, v59
	global_store_b32 v[52:53], v58, off
	s_or_b32 exec_lo, exec_lo, s11
	s_and_b32 s16, s3, s8
	s_delay_alu instid0(SALU_CYCLE_1)
	s_and_saveexec_b32 s11, s16
	s_cbranch_execz .LBB75_174
.LBB75_190:
	v_cmp_ne_u32_e32 vcc_lo, 1, v121
	v_lshlrev_b64 v[52:53], 2, v[70:71]
	s_cbranch_vccnz .LBB75_192
; %bb.191:
	s_delay_alu instid0(VALU_DEP_1) | instskip(NEXT) | instid1(VALU_DEP_2)
	v_add_co_u32 v58, vcc_lo, v56, v52
	v_add_co_ci_u32_e32 v59, vcc_lo, v57, v53, vcc_lo
	flat_load_b32 v58, v[58:59]
	s_waitcnt vmcnt(0) lgkmcnt(0)
	v_mul_f32_e32 v58, s15, v58
	s_branch .LBB75_193
.LBB75_192:
	v_mov_b32_e32 v58, 0
.LBB75_193:
	v_dual_add_f32 v59, v21, v49 :: v_dual_add_f32 v60, v20, v48
	v_dual_add_f32 v61, v23, v51 :: v_dual_add_f32 v62, v22, v50
	s_delay_alu instid0(VALU_DEP_4) | instskip(NEXT) | instid1(VALU_DEP_3)
	v_add_co_u32 v52, vcc_lo, v54, v52
	v_min3_f32 v59, v60, v59, v118
	v_add_co_ci_u32_e32 v53, vcc_lo, v55, v53, vcc_lo
	s_delay_alu instid0(VALU_DEP_4) | instskip(NEXT) | instid1(VALU_DEP_1)
	v_min_f32_e32 v60, v62, v61
	v_min3_f32 v58, v58, v60, v59
	global_store_b32 v[52:53], v58, off
	s_or_b32 exec_lo, exec_lo, s11
	s_and_b32 s16, s4, s8
	s_delay_alu instid0(SALU_CYCLE_1)
	s_and_saveexec_b32 s11, s16
	s_cbranch_execz .LBB75_175
.LBB75_194:
	v_cmp_ne_u32_e32 vcc_lo, 1, v121
	v_lshlrev_b64 v[52:53], 2, v[72:73]
	s_cbranch_vccnz .LBB75_196
; %bb.195:
	s_delay_alu instid0(VALU_DEP_1) | instskip(NEXT) | instid1(VALU_DEP_2)
	v_add_co_u32 v58, vcc_lo, v56, v52
	v_add_co_ci_u32_e32 v59, vcc_lo, v57, v53, vcc_lo
	flat_load_b32 v58, v[58:59]
	s_waitcnt vmcnt(0) lgkmcnt(0)
	v_mul_f32_e32 v58, s15, v58
	s_branch .LBB75_197
.LBB75_196:
	v_mov_b32_e32 v58, 0
.LBB75_197:
	v_dual_add_f32 v59, v17, v49 :: v_dual_add_f32 v60, v16, v48
	v_dual_add_f32 v61, v19, v51 :: v_dual_add_f32 v62, v18, v50
	s_delay_alu instid0(VALU_DEP_4) | instskip(NEXT) | instid1(VALU_DEP_3)
	v_add_co_u32 v52, vcc_lo, v54, v52
	v_min3_f32 v59, v60, v59, v117
	v_add_co_ci_u32_e32 v53, vcc_lo, v55, v53, vcc_lo
	s_delay_alu instid0(VALU_DEP_4) | instskip(NEXT) | instid1(VALU_DEP_1)
	v_min_f32_e32 v60, v62, v61
	v_min3_f32 v58, v58, v60, v59
	global_store_b32 v[52:53], v58, off
	s_or_b32 exec_lo, exec_lo, s11
	s_and_b32 s16, s5, s8
	s_delay_alu instid0(SALU_CYCLE_1)
	s_and_saveexec_b32 s11, s16
	s_cbranch_execz .LBB75_176
.LBB75_198:
	v_cmp_ne_u32_e32 vcc_lo, 1, v121
	v_lshlrev_b64 v[52:53], 2, v[74:75]
	s_cbranch_vccnz .LBB75_200
; %bb.199:
	s_delay_alu instid0(VALU_DEP_1) | instskip(NEXT) | instid1(VALU_DEP_2)
	v_add_co_u32 v58, vcc_lo, v56, v52
	v_add_co_ci_u32_e32 v59, vcc_lo, v57, v53, vcc_lo
	flat_load_b32 v58, v[58:59]
	s_waitcnt vmcnt(0) lgkmcnt(0)
	v_mul_f32_e32 v58, s15, v58
	s_branch .LBB75_201
.LBB75_200:
	v_mov_b32_e32 v58, 0
.LBB75_201:
	v_dual_add_f32 v59, v13, v49 :: v_dual_add_f32 v60, v12, v48
	v_dual_add_f32 v61, v15, v51 :: v_dual_add_f32 v62, v14, v50
	s_delay_alu instid0(VALU_DEP_4) | instskip(NEXT) | instid1(VALU_DEP_3)
	v_add_co_u32 v52, vcc_lo, v54, v52
	v_min3_f32 v59, v60, v59, v116
	v_add_co_ci_u32_e32 v53, vcc_lo, v55, v53, vcc_lo
	s_delay_alu instid0(VALU_DEP_4) | instskip(NEXT) | instid1(VALU_DEP_1)
	v_min_f32_e32 v60, v62, v61
	v_min3_f32 v58, v58, v60, v59
	global_store_b32 v[52:53], v58, off
	s_or_b32 exec_lo, exec_lo, s11
	s_and_b32 s16, s6, s8
	s_delay_alu instid0(SALU_CYCLE_1)
	s_and_saveexec_b32 s11, s16
	s_cbranch_execz .LBB75_177
.LBB75_202:
	v_cmp_ne_u32_e32 vcc_lo, 1, v121
	v_lshlrev_b64 v[52:53], 2, v[76:77]
	s_cbranch_vccnz .LBB75_204
; %bb.203:
	s_delay_alu instid0(VALU_DEP_1) | instskip(NEXT) | instid1(VALU_DEP_2)
	v_add_co_u32 v58, vcc_lo, v56, v52
	v_add_co_ci_u32_e32 v59, vcc_lo, v57, v53, vcc_lo
	flat_load_b32 v58, v[58:59]
	s_waitcnt vmcnt(0) lgkmcnt(0)
	v_mul_f32_e32 v58, s15, v58
	s_branch .LBB75_205
.LBB75_204:
	v_mov_b32_e32 v58, 0
.LBB75_205:
	v_dual_add_f32 v59, v9, v49 :: v_dual_add_f32 v60, v8, v48
	v_dual_add_f32 v61, v11, v51 :: v_dual_add_f32 v62, v10, v50
	s_delay_alu instid0(VALU_DEP_4) | instskip(NEXT) | instid1(VALU_DEP_3)
	v_add_co_u32 v52, vcc_lo, v54, v52
	v_min3_f32 v59, v60, v59, v115
	v_add_co_ci_u32_e32 v53, vcc_lo, v55, v53, vcc_lo
	s_delay_alu instid0(VALU_DEP_4) | instskip(NEXT) | instid1(VALU_DEP_1)
	v_min_f32_e32 v60, v62, v61
	v_min3_f32 v58, v58, v60, v59
	global_store_b32 v[52:53], v58, off
	s_or_b32 exec_lo, exec_lo, s11
	s_and_b32 s11, s7, s8
	s_delay_alu instid0(SALU_CYCLE_1)
	s_and_saveexec_b32 s8, s11
	s_cbranch_execz .LBB75_210
.LBB75_206:
	v_cmp_ne_u32_e32 vcc_lo, 1, v121
	v_lshlrev_b64 v[52:53], 2, v[78:79]
	s_cbranch_vccnz .LBB75_208
; %bb.207:
	s_delay_alu instid0(VALU_DEP_1) | instskip(NEXT) | instid1(VALU_DEP_2)
	v_add_co_u32 v56, vcc_lo, v56, v52
	v_add_co_ci_u32_e32 v57, vcc_lo, v57, v53, vcc_lo
	flat_load_b32 v56, v[56:57]
	s_waitcnt vmcnt(0) lgkmcnt(0)
	v_mul_f32_e32 v56, s15, v56
	s_branch .LBB75_209
.LBB75_208:
	v_mov_b32_e32 v56, 0
.LBB75_209:
	v_dual_add_f32 v49, v1, v49 :: v_dual_add_f32 v48, v0, v48
	v_dual_add_f32 v51, v3, v51 :: v_dual_add_f32 v50, v2, v50
	s_delay_alu instid0(VALU_DEP_2) | instskip(NEXT) | instid1(VALU_DEP_2)
	v_min3_f32 v48, v48, v49, v114
	v_min_f32_e32 v49, v50, v51
	s_delay_alu instid0(VALU_DEP_1)
	v_min3_f32 v50, v56, v49, v48
	v_add_co_u32 v48, vcc_lo, v54, v52
	v_add_co_ci_u32_e32 v49, vcc_lo, v55, v53, vcc_lo
	global_store_b32 v[48:49], v50, off
.LBB75_210:
	s_or_b32 exec_lo, exec_lo, s8
	v_add_nc_u32_e32 v52, 0x80, v131
	s_delay_alu instid0(VALU_DEP_1) | instskip(SKIP_2) | instid1(VALU_DEP_3)
	v_mad_i64_i32 v[48:49], null, v52, s18, 0
	v_mad_i64_i32 v[50:51], null, v52, s14, 0
	v_cmp_gt_i32_e64 s8, s17, v52
	v_lshlrev_b64 v[48:49], 2, v[48:49]
	s_delay_alu instid0(VALU_DEP_2) | instskip(NEXT) | instid1(VALU_DEP_3)
	s_and_b32 s16, s0, s8
	v_lshlrev_b64 v[50:51], 2, v[50:51]
	s_delay_alu instid0(VALU_DEP_2) | instskip(NEXT) | instid1(VALU_DEP_3)
	v_add_co_u32 v52, vcc_lo, s12, v48
	v_add_co_ci_u32_e32 v53, vcc_lo, s13, v49, vcc_lo
	s_delay_alu instid0(VALU_DEP_3) | instskip(NEXT) | instid1(VALU_DEP_4)
	v_add_co_u32 v50, vcc_lo, s9, v50
	v_add_co_ci_u32_e32 v51, vcc_lo, s10, v51, vcc_lo
	s_and_saveexec_b32 s11, s16
	s_cbranch_execnz .LBB75_218
; %bb.211:
	s_or_b32 exec_lo, exec_lo, s11
	s_and_b32 s16, s1, s8
	s_delay_alu instid0(SALU_CYCLE_1)
	s_and_saveexec_b32 s11, s16
	s_cbranch_execnz .LBB75_222
.LBB75_212:
	s_or_b32 exec_lo, exec_lo, s11
	s_and_b32 s16, s2, s8
	s_delay_alu instid0(SALU_CYCLE_1)
	s_and_saveexec_b32 s11, s16
	s_cbranch_execnz .LBB75_226
.LBB75_213:
	s_or_b32 exec_lo, exec_lo, s11
	s_and_b32 s16, s3, s8
	s_delay_alu instid0(SALU_CYCLE_1)
	s_and_saveexec_b32 s11, s16
	s_cbranch_execnz .LBB75_230
.LBB75_214:
	s_or_b32 exec_lo, exec_lo, s11
	s_and_b32 s16, s4, s8
	s_delay_alu instid0(SALU_CYCLE_1)
	s_and_saveexec_b32 s11, s16
	s_cbranch_execnz .LBB75_234
.LBB75_215:
	s_or_b32 exec_lo, exec_lo, s11
	s_and_b32 s16, s5, s8
	s_delay_alu instid0(SALU_CYCLE_1)
	s_and_saveexec_b32 s11, s16
	s_cbranch_execnz .LBB75_238
.LBB75_216:
	s_or_b32 exec_lo, exec_lo, s11
	s_and_b32 s16, s6, s8
	s_delay_alu instid0(SALU_CYCLE_1)
	s_and_saveexec_b32 s11, s16
	s_cbranch_execnz .LBB75_242
.LBB75_217:
	s_or_b32 exec_lo, exec_lo, s11
	s_and_b32 s11, s7, s8
	s_delay_alu instid0(SALU_CYCLE_1)
	s_and_saveexec_b32 s8, s11
	s_cbranch_execnz .LBB75_246
	s_branch .LBB75_250
.LBB75_218:
	v_cmp_ne_u32_e32 vcc_lo, 1, v121
	v_lshlrev_b64 v[48:49], 2, v[64:65]
	s_cbranch_vccnz .LBB75_220
; %bb.219:
	s_delay_alu instid0(VALU_DEP_1) | instskip(NEXT) | instid1(VALU_DEP_2)
	v_add_co_u32 v54, vcc_lo, v52, v48
	v_add_co_ci_u32_e32 v55, vcc_lo, v53, v49, vcc_lo
	flat_load_b32 v54, v[54:55]
	s_waitcnt vmcnt(0) lgkmcnt(0)
	v_mul_f32_e32 v54, s15, v54
	s_branch .LBB75_221
.LBB75_220:
	v_mov_b32_e32 v54, 0
.LBB75_221:
	v_dual_add_f32 v55, v33, v45 :: v_dual_add_f32 v56, v32, v44
	v_dual_add_f32 v57, v35, v47 :: v_dual_add_f32 v58, v34, v46
	s_delay_alu instid0(VALU_DEP_4) | instskip(NEXT) | instid1(VALU_DEP_3)
	v_add_co_u32 v48, vcc_lo, v50, v48
	v_min3_f32 v55, v56, v55, v113
	v_add_co_ci_u32_e32 v49, vcc_lo, v51, v49, vcc_lo
	s_delay_alu instid0(VALU_DEP_4) | instskip(NEXT) | instid1(VALU_DEP_1)
	v_min_f32_e32 v56, v58, v57
	v_min3_f32 v54, v54, v56, v55
	global_store_b32 v[48:49], v54, off
	s_or_b32 exec_lo, exec_lo, s11
	s_and_b32 s16, s1, s8
	s_delay_alu instid0(SALU_CYCLE_1)
	s_and_saveexec_b32 s11, s16
	s_cbranch_execz .LBB75_212
.LBB75_222:
	v_cmp_ne_u32_e32 vcc_lo, 1, v121
	v_lshlrev_b64 v[48:49], 2, v[66:67]
	s_cbranch_vccnz .LBB75_224
; %bb.223:
	s_delay_alu instid0(VALU_DEP_1) | instskip(NEXT) | instid1(VALU_DEP_2)
	v_add_co_u32 v54, vcc_lo, v52, v48
	v_add_co_ci_u32_e32 v55, vcc_lo, v53, v49, vcc_lo
	flat_load_b32 v54, v[54:55]
	s_waitcnt vmcnt(0) lgkmcnt(0)
	v_mul_f32_e32 v54, s15, v54
	s_branch .LBB75_225
.LBB75_224:
	v_mov_b32_e32 v54, 0
.LBB75_225:
	v_dual_add_f32 v55, v29, v45 :: v_dual_add_f32 v56, v28, v44
	v_dual_add_f32 v57, v31, v47 :: v_dual_add_f32 v58, v30, v46
	s_delay_alu instid0(VALU_DEP_4) | instskip(NEXT) | instid1(VALU_DEP_3)
	v_add_co_u32 v48, vcc_lo, v50, v48
	v_min3_f32 v55, v56, v55, v112
	v_add_co_ci_u32_e32 v49, vcc_lo, v51, v49, vcc_lo
	s_delay_alu instid0(VALU_DEP_4) | instskip(NEXT) | instid1(VALU_DEP_1)
	v_min_f32_e32 v56, v58, v57
	v_min3_f32 v54, v54, v56, v55
	global_store_b32 v[48:49], v54, off
	s_or_b32 exec_lo, exec_lo, s11
	s_and_b32 s16, s2, s8
	s_delay_alu instid0(SALU_CYCLE_1)
	s_and_saveexec_b32 s11, s16
	s_cbranch_execz .LBB75_213
.LBB75_226:
	v_cmp_ne_u32_e32 vcc_lo, 1, v121
	v_lshlrev_b64 v[48:49], 2, v[68:69]
	s_cbranch_vccnz .LBB75_228
; %bb.227:
	s_delay_alu instid0(VALU_DEP_1) | instskip(NEXT) | instid1(VALU_DEP_2)
	v_add_co_u32 v54, vcc_lo, v52, v48
	v_add_co_ci_u32_e32 v55, vcc_lo, v53, v49, vcc_lo
	flat_load_b32 v54, v[54:55]
	s_waitcnt vmcnt(0) lgkmcnt(0)
	v_mul_f32_e32 v54, s15, v54
	s_branch .LBB75_229
.LBB75_228:
	v_mov_b32_e32 v54, 0
.LBB75_229:
	v_dual_add_f32 v55, v25, v45 :: v_dual_add_f32 v56, v24, v44
	v_dual_add_f32 v57, v27, v47 :: v_dual_add_f32 v58, v26, v46
	s_delay_alu instid0(VALU_DEP_4) | instskip(NEXT) | instid1(VALU_DEP_3)
	v_add_co_u32 v48, vcc_lo, v50, v48
	v_min3_f32 v55, v56, v55, v111
	v_add_co_ci_u32_e32 v49, vcc_lo, v51, v49, vcc_lo
	s_delay_alu instid0(VALU_DEP_4) | instskip(NEXT) | instid1(VALU_DEP_1)
	v_min_f32_e32 v56, v58, v57
	v_min3_f32 v54, v54, v56, v55
	global_store_b32 v[48:49], v54, off
	s_or_b32 exec_lo, exec_lo, s11
	s_and_b32 s16, s3, s8
	s_delay_alu instid0(SALU_CYCLE_1)
	s_and_saveexec_b32 s11, s16
	s_cbranch_execz .LBB75_214
.LBB75_230:
	v_cmp_ne_u32_e32 vcc_lo, 1, v121
	v_lshlrev_b64 v[48:49], 2, v[70:71]
	s_cbranch_vccnz .LBB75_232
; %bb.231:
	s_delay_alu instid0(VALU_DEP_1) | instskip(NEXT) | instid1(VALU_DEP_2)
	v_add_co_u32 v54, vcc_lo, v52, v48
	v_add_co_ci_u32_e32 v55, vcc_lo, v53, v49, vcc_lo
	flat_load_b32 v54, v[54:55]
	s_waitcnt vmcnt(0) lgkmcnt(0)
	v_mul_f32_e32 v54, s15, v54
	s_branch .LBB75_233
.LBB75_232:
	v_mov_b32_e32 v54, 0
.LBB75_233:
	v_dual_add_f32 v55, v21, v45 :: v_dual_add_f32 v56, v20, v44
	v_dual_add_f32 v57, v23, v47 :: v_dual_add_f32 v58, v22, v46
	s_delay_alu instid0(VALU_DEP_4) | instskip(NEXT) | instid1(VALU_DEP_3)
	v_add_co_u32 v48, vcc_lo, v50, v48
	v_min3_f32 v55, v56, v55, v110
	v_add_co_ci_u32_e32 v49, vcc_lo, v51, v49, vcc_lo
	s_delay_alu instid0(VALU_DEP_4) | instskip(NEXT) | instid1(VALU_DEP_1)
	v_min_f32_e32 v56, v58, v57
	v_min3_f32 v54, v54, v56, v55
	global_store_b32 v[48:49], v54, off
	s_or_b32 exec_lo, exec_lo, s11
	s_and_b32 s16, s4, s8
	s_delay_alu instid0(SALU_CYCLE_1)
	s_and_saveexec_b32 s11, s16
	s_cbranch_execz .LBB75_215
.LBB75_234:
	v_cmp_ne_u32_e32 vcc_lo, 1, v121
	v_lshlrev_b64 v[48:49], 2, v[72:73]
	s_cbranch_vccnz .LBB75_236
; %bb.235:
	s_delay_alu instid0(VALU_DEP_1) | instskip(NEXT) | instid1(VALU_DEP_2)
	v_add_co_u32 v54, vcc_lo, v52, v48
	v_add_co_ci_u32_e32 v55, vcc_lo, v53, v49, vcc_lo
	flat_load_b32 v54, v[54:55]
	s_waitcnt vmcnt(0) lgkmcnt(0)
	v_mul_f32_e32 v54, s15, v54
	s_branch .LBB75_237
.LBB75_236:
	v_mov_b32_e32 v54, 0
.LBB75_237:
	v_dual_add_f32 v55, v17, v45 :: v_dual_add_f32 v56, v16, v44
	v_dual_add_f32 v57, v19, v47 :: v_dual_add_f32 v58, v18, v46
	s_delay_alu instid0(VALU_DEP_4) | instskip(NEXT) | instid1(VALU_DEP_3)
	v_add_co_u32 v48, vcc_lo, v50, v48
	v_min3_f32 v55, v56, v55, v109
	v_add_co_ci_u32_e32 v49, vcc_lo, v51, v49, vcc_lo
	s_delay_alu instid0(VALU_DEP_4) | instskip(NEXT) | instid1(VALU_DEP_1)
	v_min_f32_e32 v56, v58, v57
	v_min3_f32 v54, v54, v56, v55
	global_store_b32 v[48:49], v54, off
	s_or_b32 exec_lo, exec_lo, s11
	s_and_b32 s16, s5, s8
	s_delay_alu instid0(SALU_CYCLE_1)
	s_and_saveexec_b32 s11, s16
	s_cbranch_execz .LBB75_216
.LBB75_238:
	v_cmp_ne_u32_e32 vcc_lo, 1, v121
	v_lshlrev_b64 v[48:49], 2, v[74:75]
	s_cbranch_vccnz .LBB75_240
; %bb.239:
	s_delay_alu instid0(VALU_DEP_1) | instskip(NEXT) | instid1(VALU_DEP_2)
	v_add_co_u32 v54, vcc_lo, v52, v48
	v_add_co_ci_u32_e32 v55, vcc_lo, v53, v49, vcc_lo
	flat_load_b32 v54, v[54:55]
	s_waitcnt vmcnt(0) lgkmcnt(0)
	v_mul_f32_e32 v54, s15, v54
	s_branch .LBB75_241
.LBB75_240:
	v_mov_b32_e32 v54, 0
.LBB75_241:
	v_dual_add_f32 v55, v13, v45 :: v_dual_add_f32 v56, v12, v44
	v_dual_add_f32 v57, v15, v47 :: v_dual_add_f32 v58, v14, v46
	s_delay_alu instid0(VALU_DEP_4) | instskip(NEXT) | instid1(VALU_DEP_3)
	v_add_co_u32 v48, vcc_lo, v50, v48
	v_min3_f32 v55, v56, v55, v108
	v_add_co_ci_u32_e32 v49, vcc_lo, v51, v49, vcc_lo
	s_delay_alu instid0(VALU_DEP_4) | instskip(NEXT) | instid1(VALU_DEP_1)
	v_min_f32_e32 v56, v58, v57
	v_min3_f32 v54, v54, v56, v55
	global_store_b32 v[48:49], v54, off
	s_or_b32 exec_lo, exec_lo, s11
	s_and_b32 s16, s6, s8
	s_delay_alu instid0(SALU_CYCLE_1)
	s_and_saveexec_b32 s11, s16
	s_cbranch_execz .LBB75_217
.LBB75_242:
	v_cmp_ne_u32_e32 vcc_lo, 1, v121
	v_lshlrev_b64 v[48:49], 2, v[76:77]
	s_cbranch_vccnz .LBB75_244
; %bb.243:
	s_delay_alu instid0(VALU_DEP_1) | instskip(NEXT) | instid1(VALU_DEP_2)
	v_add_co_u32 v54, vcc_lo, v52, v48
	v_add_co_ci_u32_e32 v55, vcc_lo, v53, v49, vcc_lo
	flat_load_b32 v54, v[54:55]
	s_waitcnt vmcnt(0) lgkmcnt(0)
	v_mul_f32_e32 v54, s15, v54
	s_branch .LBB75_245
.LBB75_244:
	v_mov_b32_e32 v54, 0
.LBB75_245:
	v_dual_add_f32 v55, v9, v45 :: v_dual_add_f32 v56, v8, v44
	v_dual_add_f32 v57, v11, v47 :: v_dual_add_f32 v58, v10, v46
	s_delay_alu instid0(VALU_DEP_4) | instskip(NEXT) | instid1(VALU_DEP_3)
	v_add_co_u32 v48, vcc_lo, v50, v48
	v_min3_f32 v55, v56, v55, v107
	v_add_co_ci_u32_e32 v49, vcc_lo, v51, v49, vcc_lo
	s_delay_alu instid0(VALU_DEP_4) | instskip(NEXT) | instid1(VALU_DEP_1)
	v_min_f32_e32 v56, v58, v57
	v_min3_f32 v54, v54, v56, v55
	global_store_b32 v[48:49], v54, off
	s_or_b32 exec_lo, exec_lo, s11
	s_and_b32 s11, s7, s8
	s_delay_alu instid0(SALU_CYCLE_1)
	s_and_saveexec_b32 s8, s11
	s_cbranch_execz .LBB75_250
.LBB75_246:
	v_cmp_ne_u32_e32 vcc_lo, 1, v121
	v_lshlrev_b64 v[48:49], 2, v[78:79]
	s_cbranch_vccnz .LBB75_248
; %bb.247:
	s_delay_alu instid0(VALU_DEP_1) | instskip(NEXT) | instid1(VALU_DEP_2)
	v_add_co_u32 v52, vcc_lo, v52, v48
	v_add_co_ci_u32_e32 v53, vcc_lo, v53, v49, vcc_lo
	flat_load_b32 v52, v[52:53]
	s_waitcnt vmcnt(0) lgkmcnt(0)
	v_mul_f32_e32 v52, s15, v52
	s_branch .LBB75_249
.LBB75_248:
	v_mov_b32_e32 v52, 0
.LBB75_249:
	v_dual_add_f32 v45, v1, v45 :: v_dual_add_f32 v44, v0, v44
	v_dual_add_f32 v47, v3, v47 :: v_dual_add_f32 v46, v2, v46
	s_delay_alu instid0(VALU_DEP_2) | instskip(NEXT) | instid1(VALU_DEP_2)
	v_min3_f32 v44, v44, v45, v106
	v_min_f32_e32 v45, v46, v47
	s_delay_alu instid0(VALU_DEP_1)
	v_min3_f32 v46, v52, v45, v44
	v_add_co_u32 v44, vcc_lo, v50, v48
	v_add_co_ci_u32_e32 v45, vcc_lo, v51, v49, vcc_lo
	global_store_b32 v[44:45], v46, off
.LBB75_250:
	s_or_b32 exec_lo, exec_lo, s8
	v_add_nc_u32_e32 v48, 0xa0, v131
	s_delay_alu instid0(VALU_DEP_1) | instskip(SKIP_2) | instid1(VALU_DEP_3)
	v_mad_i64_i32 v[44:45], null, v48, s18, 0
	v_mad_i64_i32 v[46:47], null, v48, s14, 0
	v_cmp_gt_i32_e64 s8, s17, v48
	v_lshlrev_b64 v[44:45], 2, v[44:45]
	s_delay_alu instid0(VALU_DEP_2) | instskip(NEXT) | instid1(VALU_DEP_3)
	s_and_b32 s16, s0, s8
	v_lshlrev_b64 v[46:47], 2, v[46:47]
	s_delay_alu instid0(VALU_DEP_2) | instskip(NEXT) | instid1(VALU_DEP_3)
	v_add_co_u32 v48, vcc_lo, s12, v44
	v_add_co_ci_u32_e32 v49, vcc_lo, s13, v45, vcc_lo
	s_delay_alu instid0(VALU_DEP_3) | instskip(NEXT) | instid1(VALU_DEP_4)
	v_add_co_u32 v46, vcc_lo, s9, v46
	v_add_co_ci_u32_e32 v47, vcc_lo, s10, v47, vcc_lo
	s_and_saveexec_b32 s11, s16
	s_cbranch_execnz .LBB75_258
; %bb.251:
	s_or_b32 exec_lo, exec_lo, s11
	s_and_b32 s16, s1, s8
	s_delay_alu instid0(SALU_CYCLE_1)
	s_and_saveexec_b32 s11, s16
	s_cbranch_execnz .LBB75_262
.LBB75_252:
	s_or_b32 exec_lo, exec_lo, s11
	s_and_b32 s16, s2, s8
	s_delay_alu instid0(SALU_CYCLE_1)
	s_and_saveexec_b32 s11, s16
	s_cbranch_execnz .LBB75_266
.LBB75_253:
	s_or_b32 exec_lo, exec_lo, s11
	s_and_b32 s16, s3, s8
	s_delay_alu instid0(SALU_CYCLE_1)
	s_and_saveexec_b32 s11, s16
	s_cbranch_execnz .LBB75_270
.LBB75_254:
	s_or_b32 exec_lo, exec_lo, s11
	s_and_b32 s16, s4, s8
	s_delay_alu instid0(SALU_CYCLE_1)
	s_and_saveexec_b32 s11, s16
	s_cbranch_execnz .LBB75_274
.LBB75_255:
	s_or_b32 exec_lo, exec_lo, s11
	s_and_b32 s16, s5, s8
	s_delay_alu instid0(SALU_CYCLE_1)
	s_and_saveexec_b32 s11, s16
	s_cbranch_execnz .LBB75_278
.LBB75_256:
	s_or_b32 exec_lo, exec_lo, s11
	s_and_b32 s16, s6, s8
	s_delay_alu instid0(SALU_CYCLE_1)
	s_and_saveexec_b32 s11, s16
	s_cbranch_execnz .LBB75_282
.LBB75_257:
	s_or_b32 exec_lo, exec_lo, s11
	s_and_b32 s11, s7, s8
	s_delay_alu instid0(SALU_CYCLE_1)
	s_and_saveexec_b32 s8, s11
	s_cbranch_execnz .LBB75_286
	s_branch .LBB75_290
.LBB75_258:
	v_cmp_ne_u32_e32 vcc_lo, 1, v121
	v_lshlrev_b64 v[44:45], 2, v[64:65]
	s_cbranch_vccnz .LBB75_260
; %bb.259:
	s_delay_alu instid0(VALU_DEP_1) | instskip(NEXT) | instid1(VALU_DEP_2)
	v_add_co_u32 v50, vcc_lo, v48, v44
	v_add_co_ci_u32_e32 v51, vcc_lo, v49, v45, vcc_lo
	flat_load_b32 v50, v[50:51]
	s_waitcnt vmcnt(0) lgkmcnt(0)
	v_mul_f32_e32 v50, s15, v50
	s_branch .LBB75_261
.LBB75_260:
	v_mov_b32_e32 v50, 0
.LBB75_261:
	v_dual_add_f32 v51, v33, v41 :: v_dual_add_f32 v52, v32, v40
	v_dual_add_f32 v53, v35, v43 :: v_dual_add_f32 v54, v34, v42
	s_delay_alu instid0(VALU_DEP_4) | instskip(NEXT) | instid1(VALU_DEP_3)
	v_add_co_u32 v44, vcc_lo, v46, v44
	v_min3_f32 v51, v52, v51, v105
	v_add_co_ci_u32_e32 v45, vcc_lo, v47, v45, vcc_lo
	s_delay_alu instid0(VALU_DEP_4) | instskip(NEXT) | instid1(VALU_DEP_1)
	v_min_f32_e32 v52, v54, v53
	v_min3_f32 v50, v50, v52, v51
	global_store_b32 v[44:45], v50, off
	s_or_b32 exec_lo, exec_lo, s11
	s_and_b32 s16, s1, s8
	s_delay_alu instid0(SALU_CYCLE_1)
	s_and_saveexec_b32 s11, s16
	s_cbranch_execz .LBB75_252
.LBB75_262:
	v_cmp_ne_u32_e32 vcc_lo, 1, v121
	v_lshlrev_b64 v[44:45], 2, v[66:67]
	s_cbranch_vccnz .LBB75_264
; %bb.263:
	s_delay_alu instid0(VALU_DEP_1) | instskip(NEXT) | instid1(VALU_DEP_2)
	v_add_co_u32 v50, vcc_lo, v48, v44
	v_add_co_ci_u32_e32 v51, vcc_lo, v49, v45, vcc_lo
	flat_load_b32 v50, v[50:51]
	s_waitcnt vmcnt(0) lgkmcnt(0)
	v_mul_f32_e32 v50, s15, v50
	s_branch .LBB75_265
.LBB75_264:
	v_mov_b32_e32 v50, 0
.LBB75_265:
	v_dual_add_f32 v51, v29, v41 :: v_dual_add_f32 v52, v28, v40
	v_dual_add_f32 v53, v31, v43 :: v_dual_add_f32 v54, v30, v42
	s_delay_alu instid0(VALU_DEP_4) | instskip(NEXT) | instid1(VALU_DEP_3)
	v_add_co_u32 v44, vcc_lo, v46, v44
	v_min3_f32 v51, v52, v51, v104
	v_add_co_ci_u32_e32 v45, vcc_lo, v47, v45, vcc_lo
	s_delay_alu instid0(VALU_DEP_4) | instskip(NEXT) | instid1(VALU_DEP_1)
	v_min_f32_e32 v52, v54, v53
	v_min3_f32 v50, v50, v52, v51
	global_store_b32 v[44:45], v50, off
	s_or_b32 exec_lo, exec_lo, s11
	s_and_b32 s16, s2, s8
	s_delay_alu instid0(SALU_CYCLE_1)
	s_and_saveexec_b32 s11, s16
	s_cbranch_execz .LBB75_253
.LBB75_266:
	v_cmp_ne_u32_e32 vcc_lo, 1, v121
	v_lshlrev_b64 v[44:45], 2, v[68:69]
	s_cbranch_vccnz .LBB75_268
; %bb.267:
	s_delay_alu instid0(VALU_DEP_1) | instskip(NEXT) | instid1(VALU_DEP_2)
	v_add_co_u32 v50, vcc_lo, v48, v44
	v_add_co_ci_u32_e32 v51, vcc_lo, v49, v45, vcc_lo
	flat_load_b32 v50, v[50:51]
	s_waitcnt vmcnt(0) lgkmcnt(0)
	v_mul_f32_e32 v50, s15, v50
	s_branch .LBB75_269
.LBB75_268:
	v_mov_b32_e32 v50, 0
.LBB75_269:
	v_dual_add_f32 v51, v25, v41 :: v_dual_add_f32 v52, v24, v40
	v_dual_add_f32 v53, v27, v43 :: v_dual_add_f32 v54, v26, v42
	s_delay_alu instid0(VALU_DEP_4) | instskip(NEXT) | instid1(VALU_DEP_3)
	v_add_co_u32 v44, vcc_lo, v46, v44
	v_min3_f32 v51, v52, v51, v103
	v_add_co_ci_u32_e32 v45, vcc_lo, v47, v45, vcc_lo
	s_delay_alu instid0(VALU_DEP_4) | instskip(NEXT) | instid1(VALU_DEP_1)
	v_min_f32_e32 v52, v54, v53
	v_min3_f32 v50, v50, v52, v51
	global_store_b32 v[44:45], v50, off
	s_or_b32 exec_lo, exec_lo, s11
	s_and_b32 s16, s3, s8
	s_delay_alu instid0(SALU_CYCLE_1)
	s_and_saveexec_b32 s11, s16
	s_cbranch_execz .LBB75_254
.LBB75_270:
	v_cmp_ne_u32_e32 vcc_lo, 1, v121
	v_lshlrev_b64 v[44:45], 2, v[70:71]
	s_cbranch_vccnz .LBB75_272
; %bb.271:
	s_delay_alu instid0(VALU_DEP_1) | instskip(NEXT) | instid1(VALU_DEP_2)
	v_add_co_u32 v50, vcc_lo, v48, v44
	v_add_co_ci_u32_e32 v51, vcc_lo, v49, v45, vcc_lo
	flat_load_b32 v50, v[50:51]
	s_waitcnt vmcnt(0) lgkmcnt(0)
	v_mul_f32_e32 v50, s15, v50
	s_branch .LBB75_273
.LBB75_272:
	v_mov_b32_e32 v50, 0
.LBB75_273:
	v_dual_add_f32 v51, v21, v41 :: v_dual_add_f32 v52, v20, v40
	v_dual_add_f32 v53, v23, v43 :: v_dual_add_f32 v54, v22, v42
	s_delay_alu instid0(VALU_DEP_4) | instskip(NEXT) | instid1(VALU_DEP_3)
	v_add_co_u32 v44, vcc_lo, v46, v44
	v_min3_f32 v51, v52, v51, v102
	v_add_co_ci_u32_e32 v45, vcc_lo, v47, v45, vcc_lo
	s_delay_alu instid0(VALU_DEP_4) | instskip(NEXT) | instid1(VALU_DEP_1)
	v_min_f32_e32 v52, v54, v53
	v_min3_f32 v50, v50, v52, v51
	global_store_b32 v[44:45], v50, off
	s_or_b32 exec_lo, exec_lo, s11
	s_and_b32 s16, s4, s8
	s_delay_alu instid0(SALU_CYCLE_1)
	s_and_saveexec_b32 s11, s16
	s_cbranch_execz .LBB75_255
.LBB75_274:
	v_cmp_ne_u32_e32 vcc_lo, 1, v121
	v_lshlrev_b64 v[44:45], 2, v[72:73]
	s_cbranch_vccnz .LBB75_276
; %bb.275:
	s_delay_alu instid0(VALU_DEP_1) | instskip(NEXT) | instid1(VALU_DEP_2)
	v_add_co_u32 v50, vcc_lo, v48, v44
	v_add_co_ci_u32_e32 v51, vcc_lo, v49, v45, vcc_lo
	flat_load_b32 v50, v[50:51]
	s_waitcnt vmcnt(0) lgkmcnt(0)
	v_mul_f32_e32 v50, s15, v50
	s_branch .LBB75_277
.LBB75_276:
	v_mov_b32_e32 v50, 0
.LBB75_277:
	v_dual_add_f32 v51, v17, v41 :: v_dual_add_f32 v52, v16, v40
	v_dual_add_f32 v53, v19, v43 :: v_dual_add_f32 v54, v18, v42
	s_delay_alu instid0(VALU_DEP_4) | instskip(NEXT) | instid1(VALU_DEP_3)
	v_add_co_u32 v44, vcc_lo, v46, v44
	v_min3_f32 v51, v52, v51, v101
	v_add_co_ci_u32_e32 v45, vcc_lo, v47, v45, vcc_lo
	s_delay_alu instid0(VALU_DEP_4) | instskip(NEXT) | instid1(VALU_DEP_1)
	v_min_f32_e32 v52, v54, v53
	v_min3_f32 v50, v50, v52, v51
	global_store_b32 v[44:45], v50, off
	s_or_b32 exec_lo, exec_lo, s11
	s_and_b32 s16, s5, s8
	s_delay_alu instid0(SALU_CYCLE_1)
	s_and_saveexec_b32 s11, s16
	s_cbranch_execz .LBB75_256
.LBB75_278:
	v_cmp_ne_u32_e32 vcc_lo, 1, v121
	v_lshlrev_b64 v[44:45], 2, v[74:75]
	s_cbranch_vccnz .LBB75_280
; %bb.279:
	s_delay_alu instid0(VALU_DEP_1) | instskip(NEXT) | instid1(VALU_DEP_2)
	v_add_co_u32 v50, vcc_lo, v48, v44
	v_add_co_ci_u32_e32 v51, vcc_lo, v49, v45, vcc_lo
	flat_load_b32 v50, v[50:51]
	s_waitcnt vmcnt(0) lgkmcnt(0)
	v_mul_f32_e32 v50, s15, v50
	s_branch .LBB75_281
.LBB75_280:
	v_mov_b32_e32 v50, 0
.LBB75_281:
	v_dual_add_f32 v51, v13, v41 :: v_dual_add_f32 v52, v12, v40
	v_dual_add_f32 v53, v15, v43 :: v_dual_add_f32 v54, v14, v42
	s_delay_alu instid0(VALU_DEP_4) | instskip(NEXT) | instid1(VALU_DEP_3)
	v_add_co_u32 v44, vcc_lo, v46, v44
	v_min3_f32 v51, v52, v51, v100
	v_add_co_ci_u32_e32 v45, vcc_lo, v47, v45, vcc_lo
	s_delay_alu instid0(VALU_DEP_4) | instskip(NEXT) | instid1(VALU_DEP_1)
	v_min_f32_e32 v52, v54, v53
	v_min3_f32 v50, v50, v52, v51
	global_store_b32 v[44:45], v50, off
	s_or_b32 exec_lo, exec_lo, s11
	s_and_b32 s16, s6, s8
	s_delay_alu instid0(SALU_CYCLE_1)
	s_and_saveexec_b32 s11, s16
	s_cbranch_execz .LBB75_257
.LBB75_282:
	v_cmp_ne_u32_e32 vcc_lo, 1, v121
	v_lshlrev_b64 v[44:45], 2, v[76:77]
	s_cbranch_vccnz .LBB75_284
; %bb.283:
	s_delay_alu instid0(VALU_DEP_1) | instskip(NEXT) | instid1(VALU_DEP_2)
	v_add_co_u32 v50, vcc_lo, v48, v44
	v_add_co_ci_u32_e32 v51, vcc_lo, v49, v45, vcc_lo
	flat_load_b32 v50, v[50:51]
	s_waitcnt vmcnt(0) lgkmcnt(0)
	v_mul_f32_e32 v50, s15, v50
	s_branch .LBB75_285
.LBB75_284:
	v_mov_b32_e32 v50, 0
.LBB75_285:
	v_dual_add_f32 v51, v9, v41 :: v_dual_add_f32 v52, v8, v40
	v_dual_add_f32 v53, v11, v43 :: v_dual_add_f32 v54, v10, v42
	s_delay_alu instid0(VALU_DEP_4) | instskip(NEXT) | instid1(VALU_DEP_3)
	v_add_co_u32 v44, vcc_lo, v46, v44
	v_min3_f32 v51, v52, v51, v99
	v_add_co_ci_u32_e32 v45, vcc_lo, v47, v45, vcc_lo
	s_delay_alu instid0(VALU_DEP_4) | instskip(NEXT) | instid1(VALU_DEP_1)
	v_min_f32_e32 v52, v54, v53
	v_min3_f32 v50, v50, v52, v51
	global_store_b32 v[44:45], v50, off
	s_or_b32 exec_lo, exec_lo, s11
	s_and_b32 s11, s7, s8
	s_delay_alu instid0(SALU_CYCLE_1)
	s_and_saveexec_b32 s8, s11
	s_cbranch_execz .LBB75_290
.LBB75_286:
	v_cmp_ne_u32_e32 vcc_lo, 1, v121
	v_lshlrev_b64 v[44:45], 2, v[78:79]
	s_cbranch_vccnz .LBB75_288
; %bb.287:
	s_delay_alu instid0(VALU_DEP_1) | instskip(NEXT) | instid1(VALU_DEP_2)
	v_add_co_u32 v48, vcc_lo, v48, v44
	v_add_co_ci_u32_e32 v49, vcc_lo, v49, v45, vcc_lo
	flat_load_b32 v48, v[48:49]
	s_waitcnt vmcnt(0) lgkmcnt(0)
	v_mul_f32_e32 v48, s15, v48
	s_branch .LBB75_289
.LBB75_288:
	v_mov_b32_e32 v48, 0
.LBB75_289:
	v_dual_add_f32 v41, v1, v41 :: v_dual_add_f32 v40, v0, v40
	v_dual_add_f32 v43, v3, v43 :: v_dual_add_f32 v42, v2, v42
	s_delay_alu instid0(VALU_DEP_2) | instskip(NEXT) | instid1(VALU_DEP_2)
	v_min3_f32 v40, v40, v41, v98
	v_min_f32_e32 v41, v42, v43
	s_delay_alu instid0(VALU_DEP_1)
	v_min3_f32 v42, v48, v41, v40
	v_add_co_u32 v40, vcc_lo, v46, v44
	v_add_co_ci_u32_e32 v41, vcc_lo, v47, v45, vcc_lo
	global_store_b32 v[40:41], v42, off
.LBB75_290:
	s_or_b32 exec_lo, exec_lo, s8
	v_add_nc_u32_e32 v44, 0xc0, v131
	s_delay_alu instid0(VALU_DEP_1) | instskip(SKIP_2) | instid1(VALU_DEP_3)
	v_mad_i64_i32 v[40:41], null, v44, s18, 0
	v_mad_i64_i32 v[42:43], null, v44, s14, 0
	v_cmp_gt_i32_e64 s8, s17, v44
	v_lshlrev_b64 v[40:41], 2, v[40:41]
	s_delay_alu instid0(VALU_DEP_2) | instskip(NEXT) | instid1(VALU_DEP_3)
	s_and_b32 s16, s0, s8
	v_lshlrev_b64 v[42:43], 2, v[42:43]
	s_delay_alu instid0(VALU_DEP_2) | instskip(NEXT) | instid1(VALU_DEP_3)
	v_add_co_u32 v44, vcc_lo, s12, v40
	v_add_co_ci_u32_e32 v45, vcc_lo, s13, v41, vcc_lo
	s_delay_alu instid0(VALU_DEP_3) | instskip(NEXT) | instid1(VALU_DEP_4)
	v_add_co_u32 v42, vcc_lo, s9, v42
	v_add_co_ci_u32_e32 v43, vcc_lo, s10, v43, vcc_lo
	s_and_saveexec_b32 s11, s16
	s_cbranch_execnz .LBB75_298
; %bb.291:
	s_or_b32 exec_lo, exec_lo, s11
	s_and_b32 s16, s1, s8
	s_delay_alu instid0(SALU_CYCLE_1)
	s_and_saveexec_b32 s11, s16
	s_cbranch_execnz .LBB75_302
.LBB75_292:
	s_or_b32 exec_lo, exec_lo, s11
	s_and_b32 s16, s2, s8
	s_delay_alu instid0(SALU_CYCLE_1)
	s_and_saveexec_b32 s11, s16
	s_cbranch_execnz .LBB75_306
.LBB75_293:
	s_or_b32 exec_lo, exec_lo, s11
	s_and_b32 s16, s3, s8
	s_delay_alu instid0(SALU_CYCLE_1)
	s_and_saveexec_b32 s11, s16
	s_cbranch_execnz .LBB75_310
.LBB75_294:
	s_or_b32 exec_lo, exec_lo, s11
	s_and_b32 s16, s4, s8
	s_delay_alu instid0(SALU_CYCLE_1)
	s_and_saveexec_b32 s11, s16
	s_cbranch_execnz .LBB75_314
.LBB75_295:
	s_or_b32 exec_lo, exec_lo, s11
	s_and_b32 s16, s5, s8
	s_delay_alu instid0(SALU_CYCLE_1)
	s_and_saveexec_b32 s11, s16
	s_cbranch_execnz .LBB75_318
.LBB75_296:
	s_or_b32 exec_lo, exec_lo, s11
	s_and_b32 s16, s6, s8
	s_delay_alu instid0(SALU_CYCLE_1)
	s_and_saveexec_b32 s11, s16
	s_cbranch_execnz .LBB75_322
.LBB75_297:
	s_or_b32 exec_lo, exec_lo, s11
	s_and_b32 s11, s7, s8
	s_delay_alu instid0(SALU_CYCLE_1)
	s_and_saveexec_b32 s8, s11
	s_cbranch_execnz .LBB75_326
	s_branch .LBB75_330
.LBB75_298:
	v_cmp_ne_u32_e32 vcc_lo, 1, v121
	v_lshlrev_b64 v[40:41], 2, v[64:65]
	s_cbranch_vccnz .LBB75_300
; %bb.299:
	s_delay_alu instid0(VALU_DEP_1) | instskip(NEXT) | instid1(VALU_DEP_2)
	v_add_co_u32 v46, vcc_lo, v44, v40
	v_add_co_ci_u32_e32 v47, vcc_lo, v45, v41, vcc_lo
	flat_load_b32 v46, v[46:47]
	s_waitcnt vmcnt(0) lgkmcnt(0)
	v_mul_f32_e32 v46, s15, v46
	s_branch .LBB75_301
.LBB75_300:
	v_mov_b32_e32 v46, 0
.LBB75_301:
	v_dual_add_f32 v47, v33, v37 :: v_dual_add_f32 v48, v32, v36
	v_dual_add_f32 v49, v35, v39 :: v_dual_add_f32 v50, v34, v38
	s_delay_alu instid0(VALU_DEP_4) | instskip(NEXT) | instid1(VALU_DEP_3)
	v_add_co_u32 v40, vcc_lo, v42, v40
	v_min3_f32 v47, v48, v47, v97
	v_add_co_ci_u32_e32 v41, vcc_lo, v43, v41, vcc_lo
	s_delay_alu instid0(VALU_DEP_4) | instskip(NEXT) | instid1(VALU_DEP_1)
	v_min_f32_e32 v48, v50, v49
	v_min3_f32 v46, v46, v48, v47
	global_store_b32 v[40:41], v46, off
	s_or_b32 exec_lo, exec_lo, s11
	s_and_b32 s16, s1, s8
	s_delay_alu instid0(SALU_CYCLE_1)
	s_and_saveexec_b32 s11, s16
	s_cbranch_execz .LBB75_292
.LBB75_302:
	v_cmp_ne_u32_e32 vcc_lo, 1, v121
	v_lshlrev_b64 v[40:41], 2, v[66:67]
	s_cbranch_vccnz .LBB75_304
; %bb.303:
	s_delay_alu instid0(VALU_DEP_1) | instskip(NEXT) | instid1(VALU_DEP_2)
	v_add_co_u32 v46, vcc_lo, v44, v40
	v_add_co_ci_u32_e32 v47, vcc_lo, v45, v41, vcc_lo
	flat_load_b32 v46, v[46:47]
	s_waitcnt vmcnt(0) lgkmcnt(0)
	v_mul_f32_e32 v46, s15, v46
	s_branch .LBB75_305
.LBB75_304:
	v_mov_b32_e32 v46, 0
.LBB75_305:
	v_dual_add_f32 v47, v29, v37 :: v_dual_add_f32 v48, v28, v36
	v_dual_add_f32 v49, v31, v39 :: v_dual_add_f32 v50, v30, v38
	s_delay_alu instid0(VALU_DEP_4) | instskip(NEXT) | instid1(VALU_DEP_3)
	v_add_co_u32 v40, vcc_lo, v42, v40
	v_min3_f32 v47, v48, v47, v96
	v_add_co_ci_u32_e32 v41, vcc_lo, v43, v41, vcc_lo
	s_delay_alu instid0(VALU_DEP_4) | instskip(NEXT) | instid1(VALU_DEP_1)
	v_min_f32_e32 v48, v50, v49
	v_min3_f32 v46, v46, v48, v47
	global_store_b32 v[40:41], v46, off
	s_or_b32 exec_lo, exec_lo, s11
	s_and_b32 s16, s2, s8
	s_delay_alu instid0(SALU_CYCLE_1)
	s_and_saveexec_b32 s11, s16
	s_cbranch_execz .LBB75_293
.LBB75_306:
	v_cmp_ne_u32_e32 vcc_lo, 1, v121
	v_lshlrev_b64 v[40:41], 2, v[68:69]
	s_cbranch_vccnz .LBB75_308
; %bb.307:
	s_delay_alu instid0(VALU_DEP_1) | instskip(NEXT) | instid1(VALU_DEP_2)
	v_add_co_u32 v46, vcc_lo, v44, v40
	v_add_co_ci_u32_e32 v47, vcc_lo, v45, v41, vcc_lo
	flat_load_b32 v46, v[46:47]
	s_waitcnt vmcnt(0) lgkmcnt(0)
	v_mul_f32_e32 v46, s15, v46
	s_branch .LBB75_309
.LBB75_308:
	v_mov_b32_e32 v46, 0
.LBB75_309:
	v_dual_add_f32 v47, v25, v37 :: v_dual_add_f32 v48, v24, v36
	v_dual_add_f32 v49, v27, v39 :: v_dual_add_f32 v50, v26, v38
	s_delay_alu instid0(VALU_DEP_4) | instskip(NEXT) | instid1(VALU_DEP_3)
	v_add_co_u32 v40, vcc_lo, v42, v40
	v_min3_f32 v47, v48, v47, v95
	v_add_co_ci_u32_e32 v41, vcc_lo, v43, v41, vcc_lo
	s_delay_alu instid0(VALU_DEP_4) | instskip(NEXT) | instid1(VALU_DEP_1)
	v_min_f32_e32 v48, v50, v49
	v_min3_f32 v46, v46, v48, v47
	global_store_b32 v[40:41], v46, off
	s_or_b32 exec_lo, exec_lo, s11
	s_and_b32 s16, s3, s8
	s_delay_alu instid0(SALU_CYCLE_1)
	s_and_saveexec_b32 s11, s16
	s_cbranch_execz .LBB75_294
.LBB75_310:
	v_cmp_ne_u32_e32 vcc_lo, 1, v121
	v_lshlrev_b64 v[40:41], 2, v[70:71]
	s_cbranch_vccnz .LBB75_312
; %bb.311:
	s_delay_alu instid0(VALU_DEP_1) | instskip(NEXT) | instid1(VALU_DEP_2)
	v_add_co_u32 v46, vcc_lo, v44, v40
	v_add_co_ci_u32_e32 v47, vcc_lo, v45, v41, vcc_lo
	flat_load_b32 v46, v[46:47]
	s_waitcnt vmcnt(0) lgkmcnt(0)
	v_mul_f32_e32 v46, s15, v46
	s_branch .LBB75_313
.LBB75_312:
	v_mov_b32_e32 v46, 0
.LBB75_313:
	v_dual_add_f32 v47, v21, v37 :: v_dual_add_f32 v48, v20, v36
	v_dual_add_f32 v49, v23, v39 :: v_dual_add_f32 v50, v22, v38
	s_delay_alu instid0(VALU_DEP_4) | instskip(NEXT) | instid1(VALU_DEP_3)
	v_add_co_u32 v40, vcc_lo, v42, v40
	v_min3_f32 v47, v48, v47, v94
	v_add_co_ci_u32_e32 v41, vcc_lo, v43, v41, vcc_lo
	s_delay_alu instid0(VALU_DEP_4) | instskip(NEXT) | instid1(VALU_DEP_1)
	v_min_f32_e32 v48, v50, v49
	v_min3_f32 v46, v46, v48, v47
	global_store_b32 v[40:41], v46, off
	s_or_b32 exec_lo, exec_lo, s11
	s_and_b32 s16, s4, s8
	s_delay_alu instid0(SALU_CYCLE_1)
	s_and_saveexec_b32 s11, s16
	s_cbranch_execz .LBB75_295
.LBB75_314:
	v_cmp_ne_u32_e32 vcc_lo, 1, v121
	v_lshlrev_b64 v[40:41], 2, v[72:73]
	s_cbranch_vccnz .LBB75_316
; %bb.315:
	s_delay_alu instid0(VALU_DEP_1) | instskip(NEXT) | instid1(VALU_DEP_2)
	v_add_co_u32 v46, vcc_lo, v44, v40
	v_add_co_ci_u32_e32 v47, vcc_lo, v45, v41, vcc_lo
	flat_load_b32 v46, v[46:47]
	s_waitcnt vmcnt(0) lgkmcnt(0)
	v_mul_f32_e32 v46, s15, v46
	s_branch .LBB75_317
.LBB75_316:
	v_mov_b32_e32 v46, 0
.LBB75_317:
	v_dual_add_f32 v47, v17, v37 :: v_dual_add_f32 v48, v16, v36
	v_dual_add_f32 v49, v19, v39 :: v_dual_add_f32 v50, v18, v38
	s_delay_alu instid0(VALU_DEP_4) | instskip(NEXT) | instid1(VALU_DEP_3)
	v_add_co_u32 v40, vcc_lo, v42, v40
	v_min3_f32 v47, v48, v47, v93
	v_add_co_ci_u32_e32 v41, vcc_lo, v43, v41, vcc_lo
	s_delay_alu instid0(VALU_DEP_4) | instskip(NEXT) | instid1(VALU_DEP_1)
	v_min_f32_e32 v48, v50, v49
	v_min3_f32 v46, v46, v48, v47
	global_store_b32 v[40:41], v46, off
	s_or_b32 exec_lo, exec_lo, s11
	s_and_b32 s16, s5, s8
	s_delay_alu instid0(SALU_CYCLE_1)
	s_and_saveexec_b32 s11, s16
	s_cbranch_execz .LBB75_296
.LBB75_318:
	v_cmp_ne_u32_e32 vcc_lo, 1, v121
	v_lshlrev_b64 v[40:41], 2, v[74:75]
	s_cbranch_vccnz .LBB75_320
; %bb.319:
	s_delay_alu instid0(VALU_DEP_1) | instskip(NEXT) | instid1(VALU_DEP_2)
	v_add_co_u32 v46, vcc_lo, v44, v40
	v_add_co_ci_u32_e32 v47, vcc_lo, v45, v41, vcc_lo
	flat_load_b32 v46, v[46:47]
	s_waitcnt vmcnt(0) lgkmcnt(0)
	v_mul_f32_e32 v46, s15, v46
	s_branch .LBB75_321
.LBB75_320:
	v_mov_b32_e32 v46, 0
.LBB75_321:
	v_dual_add_f32 v47, v13, v37 :: v_dual_add_f32 v48, v12, v36
	v_dual_add_f32 v49, v15, v39 :: v_dual_add_f32 v50, v14, v38
	s_delay_alu instid0(VALU_DEP_4) | instskip(NEXT) | instid1(VALU_DEP_3)
	v_add_co_u32 v40, vcc_lo, v42, v40
	v_min3_f32 v47, v48, v47, v91
	v_add_co_ci_u32_e32 v41, vcc_lo, v43, v41, vcc_lo
	s_delay_alu instid0(VALU_DEP_4) | instskip(NEXT) | instid1(VALU_DEP_1)
	v_min_f32_e32 v48, v50, v49
	v_min3_f32 v46, v46, v48, v47
	global_store_b32 v[40:41], v46, off
	s_or_b32 exec_lo, exec_lo, s11
	s_and_b32 s16, s6, s8
	s_delay_alu instid0(SALU_CYCLE_1)
	s_and_saveexec_b32 s11, s16
	s_cbranch_execz .LBB75_297
.LBB75_322:
	v_cmp_ne_u32_e32 vcc_lo, 1, v121
	v_lshlrev_b64 v[40:41], 2, v[76:77]
	s_cbranch_vccnz .LBB75_324
; %bb.323:
	s_delay_alu instid0(VALU_DEP_1) | instskip(NEXT) | instid1(VALU_DEP_2)
	v_add_co_u32 v46, vcc_lo, v44, v40
	v_add_co_ci_u32_e32 v47, vcc_lo, v45, v41, vcc_lo
	flat_load_b32 v46, v[46:47]
	s_waitcnt vmcnt(0) lgkmcnt(0)
	v_mul_f32_e32 v46, s15, v46
	s_branch .LBB75_325
.LBB75_324:
	v_mov_b32_e32 v46, 0
.LBB75_325:
	v_dual_add_f32 v47, v9, v37 :: v_dual_add_f32 v48, v8, v36
	v_dual_add_f32 v49, v11, v39 :: v_dual_add_f32 v50, v10, v38
	s_delay_alu instid0(VALU_DEP_4) | instskip(NEXT) | instid1(VALU_DEP_3)
	v_add_co_u32 v40, vcc_lo, v42, v40
	v_min3_f32 v47, v48, v47, v90
	v_add_co_ci_u32_e32 v41, vcc_lo, v43, v41, vcc_lo
	s_delay_alu instid0(VALU_DEP_4) | instskip(NEXT) | instid1(VALU_DEP_1)
	v_min_f32_e32 v48, v50, v49
	v_min3_f32 v46, v46, v48, v47
	global_store_b32 v[40:41], v46, off
	s_or_b32 exec_lo, exec_lo, s11
	s_and_b32 s11, s7, s8
	s_delay_alu instid0(SALU_CYCLE_1)
	s_and_saveexec_b32 s8, s11
	s_cbranch_execz .LBB75_330
.LBB75_326:
	v_cmp_ne_u32_e32 vcc_lo, 1, v121
	v_lshlrev_b64 v[40:41], 2, v[78:79]
	s_cbranch_vccnz .LBB75_328
; %bb.327:
	s_delay_alu instid0(VALU_DEP_1) | instskip(NEXT) | instid1(VALU_DEP_2)
	v_add_co_u32 v44, vcc_lo, v44, v40
	v_add_co_ci_u32_e32 v45, vcc_lo, v45, v41, vcc_lo
	flat_load_b32 v44, v[44:45]
	s_waitcnt vmcnt(0) lgkmcnt(0)
	v_mul_f32_e32 v44, s15, v44
	s_branch .LBB75_329
.LBB75_328:
	v_mov_b32_e32 v44, 0
.LBB75_329:
	v_dual_add_f32 v37, v1, v37 :: v_dual_add_f32 v36, v0, v36
	v_dual_add_f32 v39, v3, v39 :: v_dual_add_f32 v38, v2, v38
	s_delay_alu instid0(VALU_DEP_2) | instskip(NEXT) | instid1(VALU_DEP_2)
	v_min3_f32 v36, v36, v37, v89
	v_min_f32_e32 v37, v38, v39
	s_delay_alu instid0(VALU_DEP_1)
	v_min3_f32 v38, v44, v37, v36
	v_add_co_u32 v36, vcc_lo, v42, v40
	v_add_co_ci_u32_e32 v37, vcc_lo, v43, v41, vcc_lo
	global_store_b32 v[36:37], v38, off
.LBB75_330:
	s_or_b32 exec_lo, exec_lo, s8
	v_add_nc_u32_e32 v40, 0xe0, v131
	s_delay_alu instid0(VALU_DEP_1) | instskip(SKIP_2) | instid1(VALU_DEP_3)
	v_mad_i64_i32 v[36:37], null, v40, s18, 0
	v_mad_i64_i32 v[38:39], null, v40, s14, 0
	v_cmp_gt_i32_e64 s8, s17, v40
	v_lshlrev_b64 v[36:37], 2, v[36:37]
	s_delay_alu instid0(VALU_DEP_3) | instskip(NEXT) | instid1(VALU_DEP_2)
	v_lshlrev_b64 v[38:39], 2, v[38:39]
	v_add_co_u32 v40, vcc_lo, s12, v36
	s_delay_alu instid0(VALU_DEP_3) | instskip(NEXT) | instid1(VALU_DEP_3)
	v_add_co_ci_u32_e32 v41, vcc_lo, s13, v37, vcc_lo
	v_add_co_u32 v38, vcc_lo, s9, v38
	s_delay_alu instid0(VALU_DEP_4) | instskip(SKIP_1) | instid1(SALU_CYCLE_1)
	v_add_co_ci_u32_e32 v39, vcc_lo, s10, v39, vcc_lo
	s_and_b32 s9, s0, s8
	s_and_saveexec_b32 s0, s9
	s_cbranch_execnz .LBB75_339
; %bb.331:
	s_or_b32 exec_lo, exec_lo, s0
	s_and_b32 s1, s1, s8
	s_delay_alu instid0(SALU_CYCLE_1)
	s_and_saveexec_b32 s0, s1
	s_cbranch_execnz .LBB75_343
.LBB75_332:
	s_or_b32 exec_lo, exec_lo, s0
	s_and_b32 s1, s2, s8
	s_delay_alu instid0(SALU_CYCLE_1)
	s_and_saveexec_b32 s0, s1
	s_cbranch_execnz .LBB75_347
.LBB75_333:
	s_or_b32 exec_lo, exec_lo, s0
	s_and_b32 s1, s3, s8
	s_delay_alu instid0(SALU_CYCLE_1)
	s_and_saveexec_b32 s0, s1
	s_cbranch_execnz .LBB75_351
.LBB75_334:
	s_or_b32 exec_lo, exec_lo, s0
	s_and_b32 s1, s4, s8
	s_delay_alu instid0(SALU_CYCLE_1)
	s_and_saveexec_b32 s0, s1
	s_cbranch_execnz .LBB75_355
.LBB75_335:
	s_or_b32 exec_lo, exec_lo, s0
	s_and_b32 s1, s5, s8
	s_delay_alu instid0(SALU_CYCLE_1)
	s_and_saveexec_b32 s0, s1
	s_cbranch_execnz .LBB75_359
.LBB75_336:
	s_or_b32 exec_lo, exec_lo, s0
	s_and_b32 s1, s6, s8
	s_delay_alu instid0(SALU_CYCLE_1)
	s_and_saveexec_b32 s0, s1
	s_cbranch_execnz .LBB75_363
.LBB75_337:
	s_or_b32 exec_lo, exec_lo, s0
	s_and_b32 s0, s7, s8
	s_delay_alu instid0(SALU_CYCLE_1)
	s_and_saveexec_b32 s1, s0
	s_cbranch_execnz .LBB75_367
.LBB75_338:
	s_nop 0
	s_sendmsg sendmsg(MSG_DEALLOC_VGPRS)
	s_endpgm
.LBB75_339:
	v_cmp_ne_u32_e32 vcc_lo, 1, v121
	v_lshlrev_b64 v[36:37], 2, v[64:65]
	s_cbranch_vccnz .LBB75_341
; %bb.340:
	s_delay_alu instid0(VALU_DEP_1) | instskip(NEXT) | instid1(VALU_DEP_2)
	v_add_co_u32 v42, vcc_lo, v40, v36
	v_add_co_ci_u32_e32 v43, vcc_lo, v41, v37, vcc_lo
	flat_load_b32 v42, v[42:43]
	s_waitcnt vmcnt(0) lgkmcnt(0)
	v_mul_f32_e32 v42, s15, v42
	s_branch .LBB75_342
.LBB75_341:
	v_mov_b32_e32 v42, 0
.LBB75_342:
	v_dual_add_f32 v33, v33, v5 :: v_dual_add_f32 v32, v32, v4
	v_dual_add_f32 v35, v35, v7 :: v_dual_add_f32 v34, v34, v6
	s_delay_alu instid0(VALU_DEP_2) | instskip(NEXT) | instid1(VALU_DEP_2)
	v_min3_f32 v32, v32, v33, v88
	v_min_f32_e32 v33, v34, v35
	s_delay_alu instid0(VALU_DEP_1)
	v_min3_f32 v34, v42, v33, v32
	v_add_co_u32 v32, vcc_lo, v38, v36
	v_add_co_ci_u32_e32 v33, vcc_lo, v39, v37, vcc_lo
	global_store_b32 v[32:33], v34, off
	s_or_b32 exec_lo, exec_lo, s0
	s_and_b32 s1, s1, s8
	s_delay_alu instid0(SALU_CYCLE_1)
	s_and_saveexec_b32 s0, s1
	s_cbranch_execz .LBB75_332
.LBB75_343:
	v_cmp_ne_u32_e32 vcc_lo, 1, v121
	v_lshlrev_b64 v[32:33], 2, v[66:67]
	s_cbranch_vccnz .LBB75_345
; %bb.344:
	s_delay_alu instid0(VALU_DEP_1) | instskip(NEXT) | instid1(VALU_DEP_2)
	v_add_co_u32 v34, vcc_lo, v40, v32
	v_add_co_ci_u32_e32 v35, vcc_lo, v41, v33, vcc_lo
	flat_load_b32 v34, v[34:35]
	s_waitcnt vmcnt(0) lgkmcnt(0)
	v_mul_f32_e32 v34, s15, v34
	s_branch .LBB75_346
.LBB75_345:
	v_mov_b32_e32 v34, 0
.LBB75_346:
	v_dual_add_f32 v29, v29, v5 :: v_dual_add_f32 v28, v28, v4
	v_dual_add_f32 v31, v31, v7 :: v_dual_add_f32 v30, v30, v6
	s_delay_alu instid0(VALU_DEP_2) | instskip(NEXT) | instid1(VALU_DEP_2)
	v_min3_f32 v28, v28, v29, v87
	v_min_f32_e32 v29, v30, v31
	s_delay_alu instid0(VALU_DEP_1)
	v_min3_f32 v30, v34, v29, v28
	v_add_co_u32 v28, vcc_lo, v38, v32
	v_add_co_ci_u32_e32 v29, vcc_lo, v39, v33, vcc_lo
	global_store_b32 v[28:29], v30, off
	s_or_b32 exec_lo, exec_lo, s0
	s_and_b32 s1, s2, s8
	s_delay_alu instid0(SALU_CYCLE_1)
	s_and_saveexec_b32 s0, s1
	s_cbranch_execz .LBB75_333
.LBB75_347:
	v_cmp_ne_u32_e32 vcc_lo, 1, v121
	v_lshlrev_b64 v[28:29], 2, v[68:69]
	s_cbranch_vccnz .LBB75_349
; %bb.348:
	s_delay_alu instid0(VALU_DEP_1) | instskip(NEXT) | instid1(VALU_DEP_2)
	v_add_co_u32 v30, vcc_lo, v40, v28
	v_add_co_ci_u32_e32 v31, vcc_lo, v41, v29, vcc_lo
	flat_load_b32 v30, v[30:31]
	s_waitcnt vmcnt(0) lgkmcnt(0)
	v_mul_f32_e32 v30, s15, v30
	s_branch .LBB75_350
.LBB75_349:
	v_mov_b32_e32 v30, 0
.LBB75_350:
	v_dual_add_f32 v25, v25, v5 :: v_dual_add_f32 v24, v24, v4
	v_dual_add_f32 v27, v27, v7 :: v_dual_add_f32 v26, v26, v6
	s_delay_alu instid0(VALU_DEP_2) | instskip(NEXT) | instid1(VALU_DEP_2)
	v_min3_f32 v24, v24, v25, v86
	v_min_f32_e32 v25, v26, v27
	s_delay_alu instid0(VALU_DEP_1)
	v_min3_f32 v26, v30, v25, v24
	v_add_co_u32 v24, vcc_lo, v38, v28
	v_add_co_ci_u32_e32 v25, vcc_lo, v39, v29, vcc_lo
	global_store_b32 v[24:25], v26, off
	s_or_b32 exec_lo, exec_lo, s0
	s_and_b32 s1, s3, s8
	s_delay_alu instid0(SALU_CYCLE_1)
	s_and_saveexec_b32 s0, s1
	s_cbranch_execz .LBB75_334
.LBB75_351:
	v_cmp_ne_u32_e32 vcc_lo, 1, v121
	v_lshlrev_b64 v[24:25], 2, v[70:71]
	s_cbranch_vccnz .LBB75_353
; %bb.352:
	s_delay_alu instid0(VALU_DEP_1) | instskip(NEXT) | instid1(VALU_DEP_2)
	v_add_co_u32 v26, vcc_lo, v40, v24
	v_add_co_ci_u32_e32 v27, vcc_lo, v41, v25, vcc_lo
	flat_load_b32 v26, v[26:27]
	s_waitcnt vmcnt(0) lgkmcnt(0)
	v_mul_f32_e32 v26, s15, v26
	s_branch .LBB75_354
.LBB75_353:
	v_mov_b32_e32 v26, 0
.LBB75_354:
	v_dual_add_f32 v21, v21, v5 :: v_dual_add_f32 v20, v20, v4
	v_dual_add_f32 v23, v23, v7 :: v_dual_add_f32 v22, v22, v6
	s_delay_alu instid0(VALU_DEP_2) | instskip(NEXT) | instid1(VALU_DEP_2)
	v_min3_f32 v20, v20, v21, v85
	v_min_f32_e32 v21, v22, v23
	s_delay_alu instid0(VALU_DEP_1)
	v_min3_f32 v22, v26, v21, v20
	v_add_co_u32 v20, vcc_lo, v38, v24
	v_add_co_ci_u32_e32 v21, vcc_lo, v39, v25, vcc_lo
	global_store_b32 v[20:21], v22, off
	s_or_b32 exec_lo, exec_lo, s0
	s_and_b32 s1, s4, s8
	s_delay_alu instid0(SALU_CYCLE_1)
	s_and_saveexec_b32 s0, s1
	s_cbranch_execz .LBB75_335
.LBB75_355:
	v_cmp_ne_u32_e32 vcc_lo, 1, v121
	v_lshlrev_b64 v[20:21], 2, v[72:73]
	s_cbranch_vccnz .LBB75_357
; %bb.356:
	s_delay_alu instid0(VALU_DEP_1) | instskip(NEXT) | instid1(VALU_DEP_2)
	v_add_co_u32 v22, vcc_lo, v40, v20
	v_add_co_ci_u32_e32 v23, vcc_lo, v41, v21, vcc_lo
	flat_load_b32 v22, v[22:23]
	s_waitcnt vmcnt(0) lgkmcnt(0)
	v_mul_f32_e32 v22, s15, v22
	s_branch .LBB75_358
.LBB75_357:
	v_mov_b32_e32 v22, 0
.LBB75_358:
	v_dual_add_f32 v17, v17, v5 :: v_dual_add_f32 v16, v16, v4
	v_dual_add_f32 v19, v19, v7 :: v_dual_add_f32 v18, v18, v6
	s_delay_alu instid0(VALU_DEP_2) | instskip(NEXT) | instid1(VALU_DEP_2)
	v_min3_f32 v16, v16, v17, v84
	v_min_f32_e32 v17, v18, v19
	s_delay_alu instid0(VALU_DEP_1)
	v_min3_f32 v18, v22, v17, v16
	v_add_co_u32 v16, vcc_lo, v38, v20
	v_add_co_ci_u32_e32 v17, vcc_lo, v39, v21, vcc_lo
	global_store_b32 v[16:17], v18, off
	s_or_b32 exec_lo, exec_lo, s0
	s_and_b32 s1, s5, s8
	s_delay_alu instid0(SALU_CYCLE_1)
	s_and_saveexec_b32 s0, s1
	s_cbranch_execz .LBB75_336
.LBB75_359:
	v_cmp_ne_u32_e32 vcc_lo, 1, v121
	v_lshlrev_b64 v[16:17], 2, v[74:75]
	s_cbranch_vccnz .LBB75_361
; %bb.360:
	s_delay_alu instid0(VALU_DEP_1) | instskip(NEXT) | instid1(VALU_DEP_2)
	v_add_co_u32 v18, vcc_lo, v40, v16
	v_add_co_ci_u32_e32 v19, vcc_lo, v41, v17, vcc_lo
	flat_load_b32 v18, v[18:19]
	s_waitcnt vmcnt(0) lgkmcnt(0)
	v_mul_f32_e32 v18, s15, v18
	s_branch .LBB75_362
.LBB75_361:
	v_mov_b32_e32 v18, 0
.LBB75_362:
	v_dual_add_f32 v13, v13, v5 :: v_dual_add_f32 v12, v12, v4
	v_dual_add_f32 v15, v15, v7 :: v_dual_add_f32 v14, v14, v6
	s_delay_alu instid0(VALU_DEP_2) | instskip(NEXT) | instid1(VALU_DEP_2)
	v_min3_f32 v12, v12, v13, v83
	v_min_f32_e32 v13, v14, v15
	s_delay_alu instid0(VALU_DEP_1)
	v_min3_f32 v14, v18, v13, v12
	v_add_co_u32 v12, vcc_lo, v38, v16
	v_add_co_ci_u32_e32 v13, vcc_lo, v39, v17, vcc_lo
	global_store_b32 v[12:13], v14, off
	s_or_b32 exec_lo, exec_lo, s0
	s_and_b32 s1, s6, s8
	s_delay_alu instid0(SALU_CYCLE_1)
	s_and_saveexec_b32 s0, s1
	s_cbranch_execz .LBB75_337
.LBB75_363:
	v_cmp_ne_u32_e32 vcc_lo, 1, v121
	v_lshlrev_b64 v[12:13], 2, v[76:77]
	s_cbranch_vccnz .LBB75_365
; %bb.364:
	s_delay_alu instid0(VALU_DEP_1) | instskip(NEXT) | instid1(VALU_DEP_2)
	v_add_co_u32 v14, vcc_lo, v40, v12
	v_add_co_ci_u32_e32 v15, vcc_lo, v41, v13, vcc_lo
	flat_load_b32 v14, v[14:15]
	s_waitcnt vmcnt(0) lgkmcnt(0)
	v_mul_f32_e32 v14, s15, v14
	s_branch .LBB75_366
.LBB75_365:
	v_mov_b32_e32 v14, 0
.LBB75_366:
	v_dual_add_f32 v9, v9, v5 :: v_dual_add_f32 v8, v8, v4
	v_dual_add_f32 v11, v11, v7 :: v_dual_add_f32 v10, v10, v6
	s_delay_alu instid0(VALU_DEP_2) | instskip(NEXT) | instid1(VALU_DEP_2)
	v_min3_f32 v8, v8, v9, v82
	v_min_f32_e32 v9, v10, v11
	s_delay_alu instid0(VALU_DEP_1)
	v_min3_f32 v10, v14, v9, v8
	v_add_co_u32 v8, vcc_lo, v38, v12
	v_add_co_ci_u32_e32 v9, vcc_lo, v39, v13, vcc_lo
	global_store_b32 v[8:9], v10, off
	s_or_b32 exec_lo, exec_lo, s0
	s_and_b32 s0, s7, s8
	s_delay_alu instid0(SALU_CYCLE_1)
	s_and_saveexec_b32 s1, s0
	s_cbranch_execz .LBB75_338
.LBB75_367:
	v_cmp_ne_u32_e32 vcc_lo, 1, v121
	v_lshlrev_b64 v[8:9], 2, v[78:79]
	s_cbranch_vccnz .LBB75_369
; %bb.368:
	s_delay_alu instid0(VALU_DEP_1) | instskip(NEXT) | instid1(VALU_DEP_2)
	v_add_co_u32 v10, vcc_lo, v40, v8
	v_add_co_ci_u32_e32 v11, vcc_lo, v41, v9, vcc_lo
	flat_load_b32 v10, v[10:11]
	s_waitcnt vmcnt(0) lgkmcnt(0)
	v_mul_f32_e32 v10, s15, v10
	s_branch .LBB75_370
.LBB75_369:
	v_mov_b32_e32 v10, 0
.LBB75_370:
	v_dual_add_f32 v1, v1, v5 :: v_dual_add_f32 v0, v0, v4
	v_dual_add_f32 v3, v3, v7 :: v_dual_add_f32 v2, v2, v6
	s_delay_alu instid0(VALU_DEP_2) | instskip(NEXT) | instid1(VALU_DEP_2)
	v_min3_f32 v0, v0, v1, v92
	v_min_f32_e32 v1, v2, v3
	s_delay_alu instid0(VALU_DEP_1)
	v_min3_f32 v2, v10, v1, v0
	v_add_co_u32 v0, vcc_lo, v38, v8
	v_add_co_ci_u32_e32 v1, vcc_lo, v39, v9, vcc_lo
	global_store_b32 v[0:1], v2, off
	s_nop 0
	s_sendmsg sendmsg(MSG_DEALLOC_VGPRS)
	s_endpgm
	.section	.rodata,"a",@progbits
	.p2align	6, 0x0
	.amdhsa_kernel _ZN12_GLOBAL__N_120geam_min_plus_kernelIf15HIP_vector_typeIfLj2EEfLi8ELi32ELi64ELi256ELi4ELi4ELi64ELi64ELi4ELc84ELc84ELb0ELb1ELb1EPKfS3_fEEviiiT16_PT17_ilS7_ilS5_S7_ilPT18_ili26rocblas_geam_ex_operation_
		.amdhsa_group_segment_fixed_size 10240
		.amdhsa_private_segment_fixed_size 0
		.amdhsa_kernarg_size 136
		.amdhsa_user_sgpr_count 14
		.amdhsa_user_sgpr_dispatch_ptr 0
		.amdhsa_user_sgpr_queue_ptr 0
		.amdhsa_user_sgpr_kernarg_segment_ptr 1
		.amdhsa_user_sgpr_dispatch_id 0
		.amdhsa_user_sgpr_private_segment_size 0
		.amdhsa_wavefront_size32 1
		.amdhsa_uses_dynamic_stack 0
		.amdhsa_enable_private_segment 0
		.amdhsa_system_sgpr_workgroup_id_x 1
		.amdhsa_system_sgpr_workgroup_id_y 0
		.amdhsa_system_sgpr_workgroup_id_z 1
		.amdhsa_system_sgpr_workgroup_info 0
		.amdhsa_system_vgpr_workitem_id 1
		.amdhsa_next_free_vgpr 193
		.amdhsa_next_free_sgpr 30
		.amdhsa_reserve_vcc 1
		.amdhsa_float_round_mode_32 0
		.amdhsa_float_round_mode_16_64 0
		.amdhsa_float_denorm_mode_32 3
		.amdhsa_float_denorm_mode_16_64 3
		.amdhsa_dx10_clamp 1
		.amdhsa_ieee_mode 1
		.amdhsa_fp16_overflow 0
		.amdhsa_workgroup_processor_mode 1
		.amdhsa_memory_ordered 1
		.amdhsa_forward_progress 0
		.amdhsa_shared_vgpr_count 0
		.amdhsa_exception_fp_ieee_invalid_op 0
		.amdhsa_exception_fp_denorm_src 0
		.amdhsa_exception_fp_ieee_div_zero 0
		.amdhsa_exception_fp_ieee_overflow 0
		.amdhsa_exception_fp_ieee_underflow 0
		.amdhsa_exception_fp_ieee_inexact 0
		.amdhsa_exception_int_div_zero 0
	.end_amdhsa_kernel
	.section	.text._ZN12_GLOBAL__N_120geam_min_plus_kernelIf15HIP_vector_typeIfLj2EEfLi8ELi32ELi64ELi256ELi4ELi4ELi64ELi64ELi4ELc84ELc84ELb0ELb1ELb1EPKfS3_fEEviiiT16_PT17_ilS7_ilS5_S7_ilPT18_ili26rocblas_geam_ex_operation_,"axG",@progbits,_ZN12_GLOBAL__N_120geam_min_plus_kernelIf15HIP_vector_typeIfLj2EEfLi8ELi32ELi64ELi256ELi4ELi4ELi64ELi64ELi4ELc84ELc84ELb0ELb1ELb1EPKfS3_fEEviiiT16_PT17_ilS7_ilS5_S7_ilPT18_ili26rocblas_geam_ex_operation_,comdat
.Lfunc_end75:
	.size	_ZN12_GLOBAL__N_120geam_min_plus_kernelIf15HIP_vector_typeIfLj2EEfLi8ELi32ELi64ELi256ELi4ELi4ELi64ELi64ELi4ELc84ELc84ELb0ELb1ELb1EPKfS3_fEEviiiT16_PT17_ilS7_ilS5_S7_ilPT18_ili26rocblas_geam_ex_operation_, .Lfunc_end75-_ZN12_GLOBAL__N_120geam_min_plus_kernelIf15HIP_vector_typeIfLj2EEfLi8ELi32ELi64ELi256ELi4ELi4ELi64ELi64ELi4ELc84ELc84ELb0ELb1ELb1EPKfS3_fEEviiiT16_PT17_ilS7_ilS5_S7_ilPT18_ili26rocblas_geam_ex_operation_
                                        ; -- End function
	.section	.AMDGPU.csdata,"",@progbits
; Kernel info:
; codeLenInByte = 21176
; NumSgprs: 32
; NumVgprs: 193
; ScratchSize: 0
; MemoryBound: 0
; FloatMode: 240
; IeeeMode: 1
; LDSByteSize: 10240 bytes/workgroup (compile time only)
; SGPRBlocks: 3
; VGPRBlocks: 24
; NumSGPRsForWavesPerEU: 32
; NumVGPRsForWavesPerEU: 193
; Occupancy: 7
; WaveLimiterHint : 0
; COMPUTE_PGM_RSRC2:SCRATCH_EN: 0
; COMPUTE_PGM_RSRC2:USER_SGPR: 14
; COMPUTE_PGM_RSRC2:TRAP_HANDLER: 0
; COMPUTE_PGM_RSRC2:TGID_X_EN: 1
; COMPUTE_PGM_RSRC2:TGID_Y_EN: 0
; COMPUTE_PGM_RSRC2:TGID_Z_EN: 1
; COMPUTE_PGM_RSRC2:TIDIG_COMP_CNT: 1
	.section	.text._ZN12_GLOBAL__N_120geam_min_plus_kernelIf15HIP_vector_typeIfLj2EEfLi8ELi32ELi64ELi256ELi4ELi4ELi64ELi64ELi4ELc84ELc84ELb1ELb1ELb1EfKffEEviiiT16_PT17_ilS6_ilS4_S6_ilPT18_ili26rocblas_geam_ex_operation_,"axG",@progbits,_ZN12_GLOBAL__N_120geam_min_plus_kernelIf15HIP_vector_typeIfLj2EEfLi8ELi32ELi64ELi256ELi4ELi4ELi64ELi64ELi4ELc84ELc84ELb1ELb1ELb1EfKffEEviiiT16_PT17_ilS6_ilS4_S6_ilPT18_ili26rocblas_geam_ex_operation_,comdat
	.globl	_ZN12_GLOBAL__N_120geam_min_plus_kernelIf15HIP_vector_typeIfLj2EEfLi8ELi32ELi64ELi256ELi4ELi4ELi64ELi64ELi4ELc84ELc84ELb1ELb1ELb1EfKffEEviiiT16_PT17_ilS6_ilS4_S6_ilPT18_ili26rocblas_geam_ex_operation_ ; -- Begin function _ZN12_GLOBAL__N_120geam_min_plus_kernelIf15HIP_vector_typeIfLj2EEfLi8ELi32ELi64ELi256ELi4ELi4ELi64ELi64ELi4ELc84ELc84ELb1ELb1ELb1EfKffEEviiiT16_PT17_ilS6_ilS4_S6_ilPT18_ili26rocblas_geam_ex_operation_
	.p2align	8
	.type	_ZN12_GLOBAL__N_120geam_min_plus_kernelIf15HIP_vector_typeIfLj2EEfLi8ELi32ELi64ELi256ELi4ELi4ELi64ELi64ELi4ELc84ELc84ELb1ELb1ELb1EfKffEEviiiT16_PT17_ilS6_ilS4_S6_ilPT18_ili26rocblas_geam_ex_operation_,@function
_ZN12_GLOBAL__N_120geam_min_plus_kernelIf15HIP_vector_typeIfLj2EEfLi8ELi32ELi64ELi256ELi4ELi4ELi64ELi64ELi4ELc84ELc84ELb1ELb1ELb1EfKffEEviiiT16_PT17_ilS6_ilS4_S6_ilPT18_ili26rocblas_geam_ex_operation_: ; @_ZN12_GLOBAL__N_120geam_min_plus_kernelIf15HIP_vector_typeIfLj2EEfLi8ELi32ELi64ELi256ELi4ELi4ELi64ELi64ELi4ELc84ELc84ELb1ELb1ELb1EfKffEEviiiT16_PT17_ilS6_ilS4_S6_ilPT18_ili26rocblas_geam_ex_operation_
; %bb.0:
	s_clause 0x1
	s_load_b128 s[16:19], s[0:1], 0x0
	s_load_b128 s[4:7], s[0:1], 0x20
	s_waitcnt lgkmcnt(0)
	v_cmp_eq_f32_e64 s2, s19, 0
	s_delay_alu instid0(VALU_DEP_1)
	s_and_b32 vcc_lo, exec_lo, s2
	s_cbranch_vccnz .LBB76_3
; %bb.1:
	s_load_b64 s[8:9], s[0:1], 0x10
	s_mul_i32 s3, s15, s5
	s_mul_hi_u32 s5, s15, s4
	s_mul_i32 s4, s15, s4
	s_add_i32 s5, s5, s3
	s_delay_alu instid0(SALU_CYCLE_1)
	s_lshl_b64 s[4:5], s[4:5], 2
	s_waitcnt lgkmcnt(0)
	s_add_u32 s20, s8, s4
	s_addc_u32 s21, s9, s5
	s_and_not1_b32 vcc_lo, exec_lo, s2
	s_cbranch_vccnz .LBB76_4
.LBB76_2:
	s_mov_b32 s24, 0
	s_mov_b64 s[22:23], 0
	s_cbranch_execz .LBB76_5
	s_branch .LBB76_6
.LBB76_3:
	s_mov_b64 s[20:21], 0
	s_and_not1_b32 vcc_lo, exec_lo, s2
	s_cbranch_vccz .LBB76_2
.LBB76_4:
	s_mov_b32 s24, -1
                                        ; implicit-def: $sgpr22_sgpr23
.LBB76_5:
	s_load_b64 s[2:3], s[0:1], 0x38
	s_mov_b32 s24, 0
	s_waitcnt lgkmcnt(0)
	s_mul_i32 s3, s15, s3
	s_mul_hi_u32 s4, s15, s2
	s_mul_i32 s2, s15, s2
	s_add_i32 s3, s4, s3
	s_delay_alu instid0(SALU_CYCLE_1) | instskip(NEXT) | instid1(SALU_CYCLE_1)
	s_lshl_b64 s[2:3], s[2:3], 2
	s_add_u32 s22, s6, s2
	s_addc_u32 s23, s7, s3
.LBB76_6:
	s_clause 0x1
	s_load_b32 s19, s[0:1], 0x40
	s_load_b128 s[8:11], s[0:1], 0x58
	s_waitcnt lgkmcnt(0)
	v_cmp_eq_f32_e64 s2, s19, 0
	v_cmp_neq_f32_e64 s7, s19, 0
	s_delay_alu instid0(VALU_DEP_2)
	s_and_b32 vcc_lo, exec_lo, s2
	s_cbranch_vccnz .LBB76_8
; %bb.7:
	s_load_b64 s[2:3], s[0:1], 0x48
	s_mul_i32 s4, s15, s9
	s_mul_hi_u32 s5, s15, s8
	s_delay_alu instid0(SALU_CYCLE_1) | instskip(SKIP_1) | instid1(SALU_CYCLE_1)
	s_add_i32 s4, s5, s4
	s_mul_i32 s5, s24, s8
	s_add_i32 s5, s4, s5
	s_mul_i32 s4, s15, s8
	s_delay_alu instid0(SALU_CYCLE_1)
	s_lshl_b64 s[4:5], s[4:5], 2
	s_waitcnt lgkmcnt(0)
	s_add_u32 s12, s2, s4
	s_addc_u32 s13, s3, s5
	s_branch .LBB76_9
.LBB76_8:
	s_mov_b64 s[12:13], 0
.LBB76_9:
	s_add_i32 s2, s16, -1
	v_and_b32_e32 v70, 0x3ff, v0
	s_ashr_i32 s3, s2, 31
	v_bfe_u32 v71, v0, 10, 10
	s_lshr_b32 s3, s3, 26
	s_load_b32 s28, s[0:1], 0x18
	s_add_i32 s2, s2, s3
	v_and_b32_e32 v72, 3, v70
	s_ashr_i32 s2, s2, 6
	v_lshl_add_u32 v2, v71, 3, v70
	s_add_i32 s4, s2, 1
	s_not_b32 s2, s2
	v_cvt_f32_u32_e32 v1, s4
	v_lshlrev_b32_e32 v66, 2, v72
	v_lshrrev_b32_e32 v67, 2, v2
	v_mov_b32_e32 v0, 0x7f7fffff
	s_delay_alu instid0(VALU_DEP_4) | instskip(SKIP_2) | instid1(VALU_DEP_1)
	v_rcp_iflag_f32_e32 v1, v1
	s_waitcnt_depctr 0xfff
	v_mul_f32_e32 v1, 0x4f7ffffe, v1
	v_cvt_u32_f32_e32 v1, v1
	s_delay_alu instid0(VALU_DEP_1) | instskip(SKIP_1) | instid1(VALU_DEP_2)
	v_readfirstlane_b32 s3, v1
	v_mov_b32_e32 v1, 0x7f7fffff
	s_mul_i32 s2, s2, s3
	s_delay_alu instid0(SALU_CYCLE_1) | instskip(NEXT) | instid1(SALU_CYCLE_1)
	s_mul_hi_u32 s2, s3, s2
	s_add_i32 s3, s3, s2
	s_delay_alu instid0(SALU_CYCLE_1) | instskip(NEXT) | instid1(SALU_CYCLE_1)
	s_mul_hi_u32 s2, s14, s3
	s_mul_i32 s3, s2, s4
	s_add_i32 s5, s2, 1
	s_sub_i32 s3, s14, s3
	s_delay_alu instid0(SALU_CYCLE_1)
	s_sub_i32 s6, s3, s4
	s_cmp_ge_u32 s3, s4
	s_cselect_b32 s2, s5, s2
	s_cselect_b32 s3, s6, s3
	s_add_i32 s5, s2, 1
	s_cmp_ge_u32 s3, s4
	s_cselect_b32 s3, s5, s2
	s_delay_alu instid0(SALU_CYCLE_1) | instskip(NEXT) | instid1(SALU_CYCLE_1)
	s_mul_i32 s29, s3, s4
	s_sub_i32 s2, s14, s29
	s_delay_alu instid0(SALU_CYCLE_1) | instskip(SKIP_2) | instid1(VALU_DEP_1)
	s_lshl_b32 s25, s2, 6
	v_cmp_gt_i32_e64 s2, s18, v72
	v_add_nc_u32_e32 v5, s25, v67
	v_cmp_le_i32_e32 vcc_lo, s16, v5
	s_xor_b32 s27, vcc_lo, -1
	s_delay_alu instid0(VALU_DEP_3) | instid1(SALU_CYCLE_1)
	s_and_b32 s4, s2, s27
	s_delay_alu instid0(SALU_CYCLE_1)
	s_and_saveexec_b32 s2, s4
	s_cbranch_execz .LBB76_11
; %bb.10:
	s_waitcnt lgkmcnt(0)
	v_mad_i64_i32 v[3:4], null, v5, s28, 0
	s_delay_alu instid0(VALU_DEP_1) | instskip(NEXT) | instid1(VALU_DEP_1)
	v_lshlrev_b64 v[3:4], 2, v[3:4]
	v_add_co_u32 v1, vcc_lo, s20, v3
	s_delay_alu instid0(VALU_DEP_2) | instskip(NEXT) | instid1(VALU_DEP_2)
	v_add_co_ci_u32_e32 v4, vcc_lo, s21, v4, vcc_lo
	v_add_co_u32 v3, vcc_lo, v1, v66
	s_delay_alu instid0(VALU_DEP_2)
	v_add_co_ci_u32_e32 v4, vcc_lo, 0, v4, vcc_lo
	flat_load_b32 v1, v[3:4]
.LBB76_11:
	s_or_b32 exec_lo, exec_lo, s2
	s_load_b32 s8, s[0:1], 0x30
	v_lshrrev_b32_e32 v73, 6, v2
	v_and_b32_e32 v2, 63, v2
	s_lshl_b32 s26, s3, 8
	s_delay_alu instid0(VALU_DEP_2) | instskip(NEXT) | instid1(VALU_DEP_2)
	v_cmp_le_i32_e64 s5, s18, v73
	v_or_b32_e32 v64, s26, v2
	s_delay_alu instid0(VALU_DEP_1) | instskip(SKIP_3) | instid1(VALU_DEP_1)
	v_cmp_le_i32_e32 vcc_lo, s17, v64
	v_ashrrev_i32_e32 v65, 31, v64
	s_waitcnt lgkmcnt(0)
	v_mad_i64_i32 v[3:4], null, s8, v73, 0
	v_lshlrev_b64 v[3:4], 2, v[3:4]
	s_delay_alu instid0(VALU_DEP_1) | instskip(NEXT) | instid1(VALU_DEP_1)
	v_add_co_u32 v7, s2, s22, v3
	v_add_co_ci_u32_e64 v8, s2, s23, v4, s2
	s_or_b32 s2, vcc_lo, s5
	s_delay_alu instid0(SALU_CYCLE_1) | instskip(NEXT) | instid1(SALU_CYCLE_1)
	s_xor_b32 s2, s2, -1
	s_and_saveexec_b32 s3, s2
	s_cbranch_execz .LBB76_13
; %bb.12:
	v_lshlrev_b64 v[3:4], 2, v[64:65]
	s_delay_alu instid0(VALU_DEP_1) | instskip(NEXT) | instid1(VALU_DEP_1)
	v_add_co_u32 v3, s2, v7, v3
	v_add_co_ci_u32_e64 v4, s2, v8, v4, s2
	flat_load_b32 v0, v[3:4]
.LBB76_13:
	s_or_b32 exec_lo, exec_lo, s3
	v_or_b32_e32 v3, 64, v64
	v_mov_b32_e32 v4, 0x7f7fffff
	s_delay_alu instid0(VALU_DEP_2) | instskip(SKIP_1) | instid1(VALU_DEP_2)
	v_cmp_le_i32_e64 s2, s17, v3
	v_mov_b32_e32 v3, 0x7f7fffff
	s_or_b32 s3, s2, s5
	s_delay_alu instid0(SALU_CYCLE_1) | instskip(NEXT) | instid1(SALU_CYCLE_1)
	s_xor_b32 s3, s3, -1
	s_and_saveexec_b32 s4, s3
	s_cbranch_execz .LBB76_15
; %bb.14:
	v_lshlrev_b64 v[9:10], 2, v[64:65]
	s_delay_alu instid0(VALU_DEP_1) | instskip(NEXT) | instid1(VALU_DEP_1)
	v_add_co_u32 v9, s3, v7, v9
	v_add_co_ci_u32_e64 v10, s3, v8, v10, s3
	flat_load_b32 v4, v[9:10] offset:256
.LBB76_15:
	s_or_b32 exec_lo, exec_lo, s4
	v_or_b32_e32 v6, 0x80, v64
	s_ashr_i32 s9, s8, 31
	s_delay_alu instid0(VALU_DEP_1) | instskip(NEXT) | instid1(VALU_DEP_1)
	v_cmp_le_i32_e64 s3, s17, v6
	s_or_b32 s4, s3, s5
	s_delay_alu instid0(SALU_CYCLE_1) | instskip(NEXT) | instid1(SALU_CYCLE_1)
	s_xor_b32 s4, s4, -1
	s_and_saveexec_b32 s6, s4
	s_cbranch_execz .LBB76_17
; %bb.16:
	v_lshlrev_b64 v[9:10], 2, v[64:65]
	s_delay_alu instid0(VALU_DEP_1) | instskip(NEXT) | instid1(VALU_DEP_1)
	v_add_co_u32 v9, s4, v7, v9
	v_add_co_ci_u32_e64 v10, s4, v8, v10, s4
	flat_load_b32 v3, v[9:10] offset:512
.LBB76_17:
	s_or_b32 exec_lo, exec_lo, s6
	v_or_b32_e32 v6, 0xc0, v64
	v_mov_b32_e32 v68, 0x7f7fffff
	s_delay_alu instid0(VALU_DEP_2) | instskip(SKIP_1) | instid1(VALU_DEP_2)
	v_cmp_le_i32_e64 s4, s17, v6
	v_mov_b32_e32 v6, 0x7f7fffff
	s_or_b32 s5, s4, s5
	s_delay_alu instid0(SALU_CYCLE_1) | instskip(NEXT) | instid1(SALU_CYCLE_1)
	s_xor_b32 s5, s5, -1
	s_and_saveexec_b32 s6, s5
	s_cbranch_execz .LBB76_19
; %bb.18:
	v_lshlrev_b64 v[9:10], 2, v[64:65]
	s_delay_alu instid0(VALU_DEP_1) | instskip(NEXT) | instid1(VALU_DEP_1)
	v_add_co_u32 v6, s5, v7, v9
	v_add_co_ci_u32_e64 v7, s5, v8, v10, s5
	flat_load_b32 v6, v[6:7] offset:768
.LBB76_19:
	s_or_b32 exec_lo, exec_lo, s6
	v_or_b32_e32 v7, 4, v72
	s_delay_alu instid0(VALU_DEP_1) | instskip(NEXT) | instid1(VALU_DEP_1)
	v_cmp_gt_i32_e64 s5, s18, v7
	s_and_b32 s5, s5, s27
	s_delay_alu instid0(SALU_CYCLE_1)
	s_and_saveexec_b32 s6, s5
	s_cbranch_execz .LBB76_21
; %bb.20:
	v_mad_i64_i32 v[7:8], null, v5, s28, 0
	s_delay_alu instid0(VALU_DEP_1) | instskip(NEXT) | instid1(VALU_DEP_1)
	v_lshlrev_b64 v[7:8], 2, v[7:8]
	v_add_co_u32 v5, s5, s20, v7
	s_delay_alu instid0(VALU_DEP_1) | instskip(NEXT) | instid1(VALU_DEP_2)
	v_add_co_ci_u32_e64 v8, s5, s21, v8, s5
	v_add_co_u32 v7, s5, v5, v66
	s_delay_alu instid0(VALU_DEP_1)
	v_add_co_ci_u32_e64 v8, s5, 0, v8, s5
	flat_load_b32 v68, v[7:8] offset:16
.LBB76_21:
	s_or_b32 exec_lo, exec_lo, s6
	v_add_nc_u32_e32 v5, 4, v73
	v_mov_b32_e32 v69, 0x7f7fffff
	v_mov_b32_e32 v121, 0x7f7fffff
	s_delay_alu instid0(VALU_DEP_3) | instskip(SKIP_1) | instid1(VALU_DEP_2)
	v_mad_i64_i32 v[7:8], null, s8, v5, 0
	v_cmp_le_i32_e64 s5, s18, v5
	v_lshlrev_b64 v[7:8], 2, v[7:8]
	s_delay_alu instid0(VALU_DEP_1) | instskip(NEXT) | instid1(VALU_DEP_1)
	v_add_co_u32 v5, s6, s22, v7
	v_add_co_ci_u32_e64 v7, s6, s23, v8, s6
	s_delay_alu instid0(VALU_DEP_4) | instskip(NEXT) | instid1(SALU_CYCLE_1)
	s_or_b32 s6, vcc_lo, s5
	s_xor_b32 s6, s6, -1
	s_delay_alu instid0(SALU_CYCLE_1)
	s_and_saveexec_b32 s30, s6
	s_cbranch_execz .LBB76_23
; %bb.22:
	v_lshlrev_b64 v[8:9], 2, v[64:65]
	s_delay_alu instid0(VALU_DEP_1) | instskip(NEXT) | instid1(VALU_DEP_1)
	v_add_co_u32 v8, s6, v5, v8
	v_add_co_ci_u32_e64 v9, s6, v7, v9, s6
	flat_load_b32 v121, v[8:9]
.LBB76_23:
	s_or_b32 exec_lo, exec_lo, s30
	s_or_b32 s6, s2, s5
	s_delay_alu instid0(SALU_CYCLE_1) | instskip(NEXT) | instid1(SALU_CYCLE_1)
	s_xor_b32 s6, s6, -1
	s_and_saveexec_b32 s30, s6
	s_cbranch_execz .LBB76_25
; %bb.24:
	v_lshlrev_b64 v[8:9], 2, v[64:65]
	s_delay_alu instid0(VALU_DEP_1) | instskip(NEXT) | instid1(VALU_DEP_1)
	v_add_co_u32 v8, s6, v5, v8
	v_add_co_ci_u32_e64 v9, s6, v7, v9, s6
	flat_load_b32 v69, v[8:9] offset:256
.LBB76_25:
	s_or_b32 exec_lo, exec_lo, s30
	v_dual_mov_b32 v143, 0x7f7fffff :: v_dual_mov_b32 v144, 0x7f7fffff
	s_or_b32 s6, s3, s5
	s_delay_alu instid0(SALU_CYCLE_1) | instskip(NEXT) | instid1(SALU_CYCLE_1)
	s_xor_b32 s6, s6, -1
	s_and_saveexec_b32 s30, s6
	s_cbranch_execz .LBB76_27
; %bb.26:
	v_lshlrev_b64 v[8:9], 2, v[64:65]
	s_delay_alu instid0(VALU_DEP_1) | instskip(NEXT) | instid1(VALU_DEP_1)
	v_add_co_u32 v8, s6, v5, v8
	v_add_co_ci_u32_e64 v9, s6, v7, v9, s6
	flat_load_b32 v144, v[8:9] offset:512
.LBB76_27:
	s_or_b32 exec_lo, exec_lo, s30
	s_or_b32 s5, s4, s5
	s_delay_alu instid0(SALU_CYCLE_1) | instskip(NEXT) | instid1(SALU_CYCLE_1)
	s_xor_b32 s5, s5, -1
	s_and_saveexec_b32 s6, s5
	s_cbranch_execz .LBB76_29
; %bb.28:
	v_lshlrev_b64 v[8:9], 2, v[64:65]
	s_delay_alu instid0(VALU_DEP_1) | instskip(NEXT) | instid1(VALU_DEP_1)
	v_add_co_u32 v8, s5, v5, v8
	v_add_co_ci_u32_e64 v9, s5, v7, v9, s5
	flat_load_b32 v143, v[8:9] offset:768
.LBB76_29:
	s_or_b32 exec_lo, exec_lo, s6
	v_lshl_or_b32 v130, v67, 4, v66
	v_lshlrev_b32_e32 v74, 4, v70
	s_cmp_lt_i32 s18, 9
	s_waitcnt vmcnt(0)
	ds_store_b32 v130, v1 offset:8192
	v_lshlrev_b32_e32 v1, 2, v73
	s_delay_alu instid0(VALU_DEP_1)
	v_lshl_add_u32 v76, v2, 4, v1
	s_waitcnt lgkmcnt(1)
	ds_store_2addr_stride64_b32 v76, v0, v4 offset1:4
	ds_store_2addr_stride64_b32 v76, v3, v6 offset0:8 offset1:12
	s_waitcnt lgkmcnt(0)
	s_barrier
	buffer_gl0_inv
	ds_load_b128 v[32:35], v74 offset:8192
	ds_load_b128 v[28:31], v74 offset:8320
	;; [unrolled: 1-line block ×8, first 2 shown]
	v_lshlrev_b32_e32 v75, 4, v71
	ds_load_b128 v[60:63], v75
	ds_load_b128 v[56:59], v75 offset:512
	ds_load_b128 v[52:55], v75 offset:1024
	;; [unrolled: 1-line block ×7, first 2 shown]
	ds_store_b32 v130, v68 offset:9216
	ds_store_2addr_stride64_b32 v76, v121, v69 offset0:16 offset1:20
	ds_store_2addr_stride64_b32 v76, v144, v143 offset0:24 offset1:28
	s_waitcnt lgkmcnt(0)
	s_barrier
	buffer_gl0_inv
	v_dual_add_f32 v77, v33, v61 :: v_dual_add_f32 v78, v32, v60
	v_add_f32_e32 v79, v28, v60
	v_add_f32_e32 v81, v16, v60
	;; [unrolled: 1-line block ×4, first 2 shown]
	v_min3_f32 v77, v78, v77, 0x7f7fffff
	v_add_f32_e32 v78, v29, v61
	s_delay_alu instid0(VALU_DEP_1) | instskip(SKIP_1) | instid1(VALU_DEP_1)
	v_min3_f32 v78, v79, v78, 0x7f7fffff
	v_add_f32_e32 v79, v25, v61
	v_min3_f32 v79, v80, v79, 0x7f7fffff
	v_add_f32_e32 v80, v17, v61
	s_delay_alu instid0(VALU_DEP_1) | instskip(SKIP_1) | instid1(VALU_DEP_1)
	v_min3_f32 v80, v81, v80, 0x7f7fffff
	v_add_f32_e32 v81, v13, v61
	v_min3_f32 v117, v82, v81, 0x7f7fffff
	v_dual_add_f32 v81, v9, v61 :: v_dual_add_f32 v82, v8, v60
	s_delay_alu instid0(VALU_DEP_1) | instskip(SKIP_2) | instid1(VALU_DEP_2)
	v_min3_f32 v118, v82, v81, 0x7f7fffff
	v_dual_add_f32 v81, v5, v61 :: v_dual_add_f32 v82, v4, v60
	v_dual_add_f32 v61, v1, v61 :: v_dual_add_f32 v60, v0, v60
	v_min3_f32 v119, v82, v81, 0x7f7fffff
	v_add_f32_e32 v81, v4, v36
	s_delay_alu instid0(VALU_DEP_3) | instskip(SKIP_1) | instid1(VALU_DEP_1)
	v_min3_f32 v120, v60, v61, 0x7f7fffff
	v_dual_add_f32 v60, v33, v57 :: v_dual_add_f32 v61, v32, v56
	v_min3_f32 v116, v61, v60, 0x7f7fffff
	v_dual_add_f32 v60, v29, v57 :: v_dual_add_f32 v61, v28, v56
	s_delay_alu instid0(VALU_DEP_1) | instskip(SKIP_1) | instid1(VALU_DEP_1)
	v_min3_f32 v115, v61, v60, 0x7f7fffff
	v_dual_add_f32 v60, v25, v57 :: v_dual_add_f32 v61, v24, v56
	v_min3_f32 v114, v61, v60, 0x7f7fffff
	v_dual_add_f32 v60, v17, v57 :: v_dual_add_f32 v61, v16, v56
	s_delay_alu instid0(VALU_DEP_1) | instskip(SKIP_1) | instid1(VALU_DEP_1)
	v_min3_f32 v113, v61, v60, 0x7f7fffff
	v_dual_add_f32 v60, v13, v57 :: v_dual_add_f32 v61, v12, v56
	v_min3_f32 v112, v61, v60, 0x7f7fffff
	v_dual_add_f32 v60, v9, v57 :: v_dual_add_f32 v61, v8, v56
	s_delay_alu instid0(VALU_DEP_1) | instskip(SKIP_2) | instid1(VALU_DEP_1)
	v_min3_f32 v111, v61, v60, 0x7f7fffff
	v_dual_add_f32 v60, v5, v57 :: v_dual_add_f32 v61, v4, v56
	v_dual_add_f32 v57, v1, v57 :: v_dual_add_f32 v56, v0, v56
	v_min3_f32 v109, v56, v57, 0x7f7fffff
	v_dual_add_f32 v56, v33, v53 :: v_dual_add_f32 v57, v32, v52
	s_delay_alu instid0(VALU_DEP_4) | instskip(NEXT) | instid1(VALU_DEP_2)
	v_min3_f32 v110, v61, v60, 0x7f7fffff
	v_min3_f32 v108, v57, v56, 0x7f7fffff
	v_dual_add_f32 v56, v29, v53 :: v_dual_add_f32 v57, v28, v52
	s_delay_alu instid0(VALU_DEP_1) | instskip(SKIP_1) | instid1(VALU_DEP_1)
	v_min3_f32 v107, v57, v56, 0x7f7fffff
	v_dual_add_f32 v56, v25, v53 :: v_dual_add_f32 v57, v24, v52
	v_min3_f32 v106, v57, v56, 0x7f7fffff
	v_dual_add_f32 v56, v17, v53 :: v_dual_add_f32 v57, v16, v52
	s_delay_alu instid0(VALU_DEP_1) | instskip(SKIP_1) | instid1(VALU_DEP_1)
	v_min3_f32 v105, v57, v56, 0x7f7fffff
	v_dual_add_f32 v56, v13, v53 :: v_dual_add_f32 v57, v12, v52
	v_min3_f32 v104, v57, v56, 0x7f7fffff
	v_dual_add_f32 v56, v9, v53 :: v_dual_add_f32 v57, v8, v52
	s_delay_alu instid0(VALU_DEP_1) | instskip(SKIP_2) | instid1(VALU_DEP_1)
	v_min3_f32 v103, v57, v56, 0x7f7fffff
	v_dual_add_f32 v56, v5, v53 :: v_dual_add_f32 v57, v4, v52
	v_dual_add_f32 v53, v1, v53 :: v_dual_add_f32 v52, v0, v52
	v_min3_f32 v101, v52, v53, 0x7f7fffff
	v_dual_add_f32 v52, v33, v49 :: v_dual_add_f32 v53, v32, v48
	s_delay_alu instid0(VALU_DEP_4) | instskip(NEXT) | instid1(VALU_DEP_2)
	v_min3_f32 v102, v57, v56, 0x7f7fffff
	;; [unrolled: 20-line block ×4, first 2 shown]
	v_min3_f32 v84, v45, v44, 0x7f7fffff
	v_dual_add_f32 v44, v29, v41 :: v_dual_add_f32 v45, v28, v40
	s_delay_alu instid0(VALU_DEP_1) | instskip(SKIP_1) | instid1(VALU_DEP_1)
	v_min3_f32 v83, v45, v44, 0x7f7fffff
	v_dual_add_f32 v44, v25, v41 :: v_dual_add_f32 v45, v24, v40
	v_min3_f32 v82, v45, v44, 0x7f7fffff
	v_dual_add_f32 v44, v17, v41 :: v_dual_add_f32 v45, v16, v40
	s_delay_alu instid0(VALU_DEP_1) | instskip(SKIP_1) | instid1(VALU_DEP_1)
	v_min3_f32 v61, v45, v44, 0x7f7fffff
	v_dual_add_f32 v44, v13, v41 :: v_dual_add_f32 v45, v12, v40
	v_min3_f32 v60, v45, v44, 0x7f7fffff
	v_dual_add_f32 v44, v9, v41 :: v_dual_add_f32 v45, v8, v40
	s_delay_alu instid0(VALU_DEP_1) | instskip(SKIP_3) | instid1(VALU_DEP_2)
	v_min3_f32 v57, v45, v44, 0x7f7fffff
	v_dual_add_f32 v44, v5, v41 :: v_dual_add_f32 v45, v4, v40
	v_dual_add_f32 v41, v1, v41 :: v_dual_add_f32 v40, v0, v40
	v_add_f32_e32 v4, v4, v20
	v_min3_f32 v53, v40, v41, 0x7f7fffff
	v_dual_add_f32 v40, v33, v37 :: v_dual_add_f32 v41, v32, v36
	v_min3_f32 v56, v45, v44, 0x7f7fffff
	v_dual_add_f32 v33, v33, v21 :: v_dual_add_f32 v32, v32, v20
	s_delay_alu instid0(VALU_DEP_3) | instskip(SKIP_1) | instid1(VALU_DEP_3)
	v_min3_f32 v52, v41, v40, 0x7f7fffff
	v_dual_add_f32 v40, v29, v37 :: v_dual_add_f32 v41, v28, v36
	v_min3_f32 v32, v32, v33, 0x7f7fffff
	v_dual_add_f32 v29, v29, v21 :: v_dual_add_f32 v28, v28, v20
	s_delay_alu instid0(VALU_DEP_3) | instskip(SKIP_1) | instid1(VALU_DEP_3)
	;; [unrolled: 5-line block ×4, first 2 shown]
	v_min3_f32 v45, v41, v40, 0x7f7fffff
	v_dual_add_f32 v40, v13, v37 :: v_dual_add_f32 v41, v12, v36
	v_min3_f32 v16, v16, v17, 0x7f7fffff
	v_dual_add_f32 v13, v13, v21 :: v_dual_add_f32 v12, v12, v20
	s_delay_alu instid0(VALU_DEP_3)
	v_min3_f32 v44, v41, v40, 0x7f7fffff
	v_dual_add_f32 v40, v9, v37 :: v_dual_add_f32 v41, v8, v36
	v_add_f32_e32 v36, v0, v36
	v_add_f32_e32 v0, v0, v20
	v_min3_f32 v12, v12, v13, 0x7f7fffff
	v_dual_add_f32 v9, v9, v21 :: v_dual_add_f32 v8, v8, v20
	v_min3_f32 v41, v41, v40, 0x7f7fffff
	v_add_f32_e32 v40, v5, v37
	v_add_f32_e32 v37, v1, v37
	v_add_f32_e32 v5, v5, v21
	v_add_f32_e32 v1, v1, v21
	v_min3_f32 v8, v8, v9, 0x7f7fffff
	v_min3_f32 v40, v81, v40, 0x7f7fffff
	;; [unrolled: 1-line block ×5, first 2 shown]
	v_add_f32_e32 v1, v35, v63
	v_add_f32_e32 v5, v34, v62
	s_delay_alu instid0(VALU_DEP_1) | instskip(SKIP_2) | instid1(VALU_DEP_1)
	v_min3_f32 v142, v5, v1, v77
	v_add_f32_e32 v1, v31, v63
	v_add_f32_e32 v5, v30, v62
	v_min3_f32 v141, v5, v1, v78
	v_add_f32_e32 v1, v27, v63
	v_add_f32_e32 v5, v26, v62
	s_delay_alu instid0(VALU_DEP_1) | instskip(SKIP_2) | instid1(VALU_DEP_1)
	v_min3_f32 v81, v5, v1, v79
	v_add_f32_e32 v1, v19, v63
	v_add_f32_e32 v5, v18, v62
	v_min3_f32 v79, v5, v1, v80
	;; [unrolled: 7-line block ×27, first 2 shown]
	v_add_f32_e32 v1, v7, v39
	v_add_f32_e32 v5, v6, v38
	s_delay_alu instid0(VALU_DEP_1) | instskip(SKIP_3) | instid1(VALU_DEP_2)
	v_min3_f32 v90, v5, v1, v40
	v_add_f32_e32 v1, v3, v39
	v_add_f32_e32 v5, v2, v38
	;; [unrolled: 1-line block ×3, first 2 shown]
	v_min3_f32 v89, v5, v1, v36
	v_add_f32_e32 v1, v35, v23
	v_add_f32_e32 v5, v34, v22
	s_delay_alu instid0(VALU_DEP_1) | instskip(SKIP_2) | instid1(VALU_DEP_1)
	v_min3_f32 v88, v5, v1, v32
	v_add_f32_e32 v1, v31, v23
	v_add_f32_e32 v5, v30, v22
	v_min3_f32 v87, v5, v1, v28
	v_add_f32_e32 v1, v27, v23
	v_add_f32_e32 v5, v26, v22
	s_delay_alu instid0(VALU_DEP_1) | instskip(SKIP_2) | instid1(VALU_DEP_1)
	v_min3_f32 v86, v5, v1, v24
	v_add_f32_e32 v1, v19, v23
	v_add_f32_e32 v5, v18, v22
	v_min3_f32 v85, v5, v1, v16
	v_add_f32_e32 v1, v15, v23
	v_add_f32_e32 v5, v14, v22
	s_delay_alu instid0(VALU_DEP_1) | instskip(SKIP_2) | instid1(VALU_DEP_1)
	v_min3_f32 v84, v5, v1, v12
	v_add_f32_e32 v1, v11, v23
	v_add_f32_e32 v5, v10, v22
	v_min3_f32 v83, v5, v1, v8
	v_add_f32_e32 v1, v7, v23
	v_add_f32_e32 v5, v6, v22
	s_delay_alu instid0(VALU_DEP_1) | instskip(SKIP_1) | instid1(VALU_DEP_1)
	v_min3_f32 v82, v5, v1, v4
	v_add_f32_e32 v1, v3, v23
	v_min3_f32 v92, v2, v1, v0
	s_cbranch_scc1 .LBB76_52
; %bb.30:
	v_lshl_add_u32 v0, s14, 6, v67
	s_lshl_b32 s5, s29, 6
	v_add_nc_u32_e32 v4, 8, v73
	v_add_nc_u32_e32 v8, 12, v73
	;; [unrolled: 1-line block ×3, first 2 shown]
	v_subrev_nc_u32_e32 v2, s5, v0
	v_add_nc_u32_e32 v143, 0x2000, v74
	v_add_nc_u32_e32 v130, 0x2400, v130
	v_mad_i64_i32 v[6:7], null, v8, s8, 0
	s_delay_alu instid0(VALU_DEP_4)
	v_mad_i64_i32 v[0:1], null, s28, v2, 0
	v_mad_i64_i32 v[2:3], null, v4, s8, 0
	v_lshlrev_b64 v[4:5], 2, v[64:65]
	v_or_b32_e32 v144, 0x1000, v76
	v_lshl_add_u32 v145, v70, 4, 0x2400
	v_lshl_add_u32 v146, v71, 4, 0x1000
	v_lshlrev_b64 v[0:1], 2, v[0:1]
	s_add_i32 s14, s18, -8
	v_lshlrev_b64 v[64:65], 2, v[2:3]
	s_lshl_b64 s[8:9], s[8:9], 5
	s_delay_alu instid0(VALU_DEP_2) | instskip(NEXT) | instid1(VALU_DEP_1)
	v_add_co_u32 v0, s5, v0, v66
	v_add_co_ci_u32_e64 v1, s5, 0, v1, s5
	v_lshlrev_b64 v[66:67], 2, v[6:7]
	s_delay_alu instid0(VALU_DEP_3) | instskip(NEXT) | instid1(VALU_DEP_1)
	v_add_co_u32 v0, s5, v0, s20
	v_add_co_ci_u32_e64 v1, s5, s21, v1, s5
	s_mov_b32 s20, 0
	s_delay_alu instid0(VALU_DEP_2) | instskip(NEXT) | instid1(VALU_DEP_1)
	v_add_co_u32 v68, s5, v0, 32
	v_add_co_ci_u32_e64 v69, s5, 0, v1, s5
	v_add_co_u32 v147, s5, s22, v4
	s_delay_alu instid0(VALU_DEP_1)
	v_add_co_ci_u32_e64 v148, s5, s23, v5, s5
	s_branch .LBB76_32
.LBB76_31:                              ;   in Loop: Header=BB76_32 Depth=1
	s_or_b32 exec_lo, exec_lo, s6
	ds_load_b128 v[88:91], v75
	ds_load_b128 v[154:157], v143
	ds_load_b128 v[158:161], v143 offset:128
	ds_load_b128 v[162:165], v143 offset:256
	ds_load_b128 v[166:169], v143 offset:384
	ds_load_b128 v[170:173], v143 offset:512
	ds_load_b128 v[174:177], v143 offset:640
	ds_load_b128 v[178:181], v143 offset:768
	ds_load_b128 v[182:185], v143 offset:896
	ds_load_b128 v[92:95], v75 offset:512
	ds_load_b128 v[96:99], v75 offset:1024
	ds_load_b128 v[100:103], v75 offset:1536
	ds_load_b128 v[186:189], v75 offset:2048
	ds_load_b128 v[190:193], v75 offset:2560
	ds_load_b128 v[194:197], v75 offset:3072
	ds_load_b128 v[198:201], v75 offset:3584
	v_add_co_u32 v68, s5, v68, 32
	s_delay_alu instid0(VALU_DEP_1)
	v_add_co_ci_u32_e64 v69, s5, 0, v69, s5
	v_add_co_u32 v147, s5, v147, s8
	s_waitcnt lgkmcnt(14)
	v_dual_add_f32 v11, v155, v89 :: v_dual_add_f32 v14, v154, v88
	s_waitcnt lgkmcnt(13)
	v_dual_add_f32 v15, v159, v89 :: v_dual_add_f32 v18, v158, v88
	;; [unrolled: 2-line block ×3, first 2 shown]
	s_waitcnt lgkmcnt(11)
	v_add_f32_e32 v23, v167, v89
	v_min3_f32 v11, v14, v11, v24
	v_min3_f32 v14, v18, v15, v25
	v_add_f32_e32 v18, v166, v88
	v_min3_f32 v15, v22, v19, v28
	s_waitcnt lgkmcnt(10)
	v_dual_add_f32 v19, v171, v89 :: v_dual_add_f32 v22, v170, v88
	s_waitcnt lgkmcnt(9)
	v_dual_add_f32 v24, v175, v89 :: v_dual_add_f32 v25, v174, v88
	s_waitcnt lgkmcnt(8)
	v_add_f32_e32 v28, v179, v89
	s_waitcnt lgkmcnt(7)
	v_dual_add_f32 v34, v178, v88 :: v_dual_add_f32 v35, v183, v89
	v_add_f32_e32 v38, v182, v88
	v_min3_f32 v0, v18, v23, v0
	v_min3_f32 v18, v22, v19, v29
	;; [unrolled: 1-line block ×3, first 2 shown]
	s_waitcnt lgkmcnt(6)
	v_dual_add_f32 v24, v155, v93 :: v_dual_add_f32 v29, v158, v92
	v_min3_f32 v23, v38, v35, v36
	v_add_f32_e32 v25, v154, v92
	v_min3_f32 v22, v34, v28, v33
	v_dual_add_f32 v28, v159, v93 :: v_dual_add_f32 v33, v162, v92
	v_dual_add_f32 v32, v163, v93 :: v_dual_add_f32 v35, v166, v92
	v_add_f32_e32 v34, v167, v93
	v_add_f32_e32 v36, v171, v93
	;; [unrolled: 1-line block ×3, first 2 shown]
	v_min3_f32 v1, v25, v24, v1
	v_min3_f32 v24, v29, v28, v37
	;; [unrolled: 1-line block ×3, first 2 shown]
	v_dual_add_f32 v32, v175, v93 :: v_dual_add_f32 v37, v182, v92
	v_add_f32_e32 v33, v174, v92
	v_min3_f32 v28, v35, v34, v41
	s_waitcnt lgkmcnt(5)
	v_dual_add_f32 v34, v179, v93 :: v_dual_add_f32 v39, v154, v96
	v_add_f32_e32 v35, v178, v92
	v_min3_f32 v29, v38, v36, v44
	v_dual_add_f32 v36, v183, v93 :: v_dual_add_f32 v41, v158, v96
	v_add_f32_e32 v38, v155, v97
	v_add_f32_e32 v40, v159, v97
	v_min3_f32 v4, v33, v32, v4
	v_min3_f32 v32, v35, v34, v45
	v_min3_f32 v33, v37, v36, v48
	v_dual_add_f32 v36, v163, v97 :: v_dual_add_f32 v37, v162, v96
	v_min3_f32 v34, v39, v38, v49
	v_dual_add_f32 v38, v167, v97 :: v_dual_add_f32 v45, v174, v96
	v_add_f32_e32 v39, v166, v96
	v_min3_f32 v35, v41, v40, v52
	v_dual_add_f32 v40, v171, v97 :: v_dual_add_f32 v49, v178, v96
	v_dual_add_f32 v41, v170, v96 :: v_dual_add_f32 v44, v175, v97
	v_add_f32_e32 v48, v179, v97
	v_min3_f32 v5, v37, v36, v5
	v_min3_f32 v36, v39, v38, v53
	s_delay_alu instid0(VALU_DEP_4)
	v_min3_f32 v37, v41, v40, v54
	v_dual_add_f32 v40, v183, v97 :: v_dual_add_f32 v41, v182, v96
	v_min3_f32 v38, v45, v44, v55
	s_waitcnt lgkmcnt(4)
	v_dual_add_f32 v44, v155, v101 :: v_dual_add_f32 v53, v162, v100
	v_add_f32_e32 v45, v154, v100
	v_min3_f32 v39, v49, v48, v56
	v_dual_add_f32 v48, v159, v101 :: v_dual_add_f32 v55, v166, v100
	v_dual_add_f32 v49, v158, v100 :: v_dual_add_f32 v52, v163, v101
	v_add_f32_e32 v54, v167, v101
	v_min3_f32 v8, v41, v40, v8
	v_min3_f32 v40, v45, v44, v57
	s_delay_alu instid0(VALU_DEP_4)
	v_min3_f32 v41, v49, v48, v58
	v_dual_add_f32 v48, v171, v101 :: v_dual_add_f32 v49, v170, v100
	v_min3_f32 v44, v53, v52, v59
	v_dual_add_f32 v52, v175, v101 :: v_dual_add_f32 v57, v182, v100
	v_add_f32_e32 v53, v174, v100
	v_min3_f32 v45, v55, v54, v60
	s_waitcnt lgkmcnt(3)
	v_dual_add_f32 v54, v179, v101 :: v_dual_add_f32 v59, v154, v186
	v_dual_add_f32 v55, v178, v100 :: v_dual_add_f32 v56, v183, v101
	v_add_f32_e32 v58, v155, v187
	v_min3_f32 v9, v49, v48, v9
	v_min3_f32 v48, v53, v52, v50
	s_delay_alu instid0(VALU_DEP_4)
	v_min3_f32 v49, v55, v54, v51
	v_add_f32_e32 v55, v162, v186
	v_min3_f32 v51, v59, v58, v62
	v_dual_add_f32 v52, v159, v187 :: v_dual_add_f32 v53, v158, v186
	v_min3_f32 v50, v57, v56, v61
	v_dual_add_f32 v57, v166, v186 :: v_dual_add_f32 v54, v163, v187
	v_dual_add_f32 v59, v170, v186 :: v_dual_add_f32 v56, v167, v187
	v_dual_add_f32 v61, v174, v186 :: v_dual_add_f32 v58, v171, v187
	v_add_f32_e32 v60, v175, v187
	v_min3_f32 v12, v53, v52, v12
	v_min3_f32 v52, v55, v54, v63
	;; [unrolled: 1-line block ×3, first 2 shown]
	v_dual_add_f32 v56, v179, v187 :: v_dual_add_f32 v57, v178, v186
	v_min3_f32 v54, v59, v58, v78
	s_waitcnt lgkmcnt(2)
	v_dual_add_f32 v58, v183, v187 :: v_dual_add_f32 v63, v158, v190
	v_add_f32_e32 v59, v182, v186
	v_min3_f32 v55, v61, v60, v79
	v_dual_add_f32 v60, v155, v191 :: v_dual_add_f32 v61, v154, v190
	v_add_f32_e32 v62, v159, v191
	v_dual_add_f32 v77, v163, v191 :: v_dual_add_f32 v78, v162, v190
	v_add_f32_e32 v79, v183, v191
	v_min3_f32 v13, v57, v56, v13
	v_min3_f32 v46, v59, v58, v46
	v_add_f32_e32 v58, v167, v191
	v_min3_f32 v57, v78, v77, v81
	v_add_f32_e32 v59, v166, v190
	v_min3_f32 v47, v61, v60, v47
	v_dual_add_f32 v60, v171, v191 :: v_dual_add_f32 v61, v170, v190
	v_min3_f32 v56, v63, v62, v80
	v_dual_add_f32 v62, v175, v191 :: v_dual_add_f32 v63, v174, v190
	v_dual_add_f32 v77, v179, v191 :: v_dual_add_f32 v78, v178, v190
	v_add_f32_e32 v80, v182, v190
	v_min3_f32 v16, v59, v58, v16
	v_min3_f32 v42, v61, v60, v42
	;; [unrolled: 1-line block ×5, first 2 shown]
	s_waitcnt lgkmcnt(1)
	v_add_f32_e32 v79, v167, v195
	v_dual_add_f32 v60, v155, v195 :: v_dual_add_f32 v61, v154, v194
	v_dual_add_f32 v62, v159, v195 :: v_dual_add_f32 v63, v158, v194
	;; [unrolled: 1-line block ×4, first 2 shown]
	v_add_f32_e32 v82, v170, v194
	v_min3_f32 v17, v61, v60, v17
	v_min3_f32 v60, v63, v62, v84
	;; [unrolled: 1-line block ×3, first 2 shown]
	v_add_f32_e32 v77, v175, v195
	v_min3_f32 v62, v80, v79, v86
	v_add_f32_e32 v79, v179, v195
	v_min3_f32 v63, v82, v81, v87
	v_dual_add_f32 v78, v174, v194 :: v_dual_add_f32 v81, v183, v195
	s_waitcnt lgkmcnt(0)
	v_dual_add_f32 v80, v178, v194 :: v_dual_add_f32 v83, v155, v199
	v_dual_add_f32 v82, v182, v194 :: v_dual_add_f32 v85, v159, v199
	v_add_f32_e32 v86, v158, v198
	v_add_f32_e32 v84, v154, v198
	v_min3_f32 v20, v78, v77, v20
	v_add_f32_e32 v77, v163, v199
	v_min3_f32 v26, v80, v79, v26
	v_min3_f32 v27, v82, v81, v27
	v_dual_add_f32 v78, v162, v198 :: v_dual_add_f32 v81, v171, v199
	v_add_f32_e32 v79, v167, v199
	v_min3_f32 v31, v86, v85, v31
	v_add_f32_e32 v80, v166, v198
	v_dual_add_f32 v82, v170, v198 :: v_dual_add_f32 v85, v179, v199
	v_add_f32_e32 v86, v178, v198
	v_min3_f32 v30, v84, v83, v30
	v_dual_add_f32 v83, v175, v199 :: v_dual_add_f32 v84, v174, v198
	v_min3_f32 v3, v80, v79, v3
	v_min3_f32 v6, v82, v81, v6
	v_add_f32_e32 v79, v157, v91
	v_min3_f32 v10, v86, v85, v10
	v_add_f32_e32 v80, v156, v90
	v_dual_add_f32 v82, v160, v90 :: v_dual_add_f32 v85, v169, v91
	v_add_f32_e32 v86, v168, v90
	v_min3_f32 v21, v78, v77, v21
	v_add_f32_e32 v77, v183, v199
	v_min3_f32 v7, v84, v83, v7
	v_dual_add_f32 v78, v182, v198 :: v_dual_add_f32 v81, v161, v91
	v_dual_add_f32 v83, v165, v91 :: v_dual_add_f32 v84, v164, v90
	v_min3_f32 v142, v80, v79, v11
	v_min3_f32 v79, v86, v85, v0
	v_dual_add_f32 v0, v173, v91 :: v_dual_add_f32 v11, v172, v90
	v_dual_add_f32 v85, v157, v95 :: v_dual_add_f32 v86, v156, v94
	v_min3_f32 v2, v78, v77, v2
	v_min3_f32 v141, v82, v81, v14
	;; [unrolled: 1-line block ×3, first 2 shown]
	v_dual_add_f32 v14, v177, v91 :: v_dual_add_f32 v15, v176, v90
	v_min3_f32 v139, v86, v85, v1
	v_add_f32_e32 v1, v160, v94
	v_min3_f32 v77, v11, v0, v18
	v_add_f32_e32 v0, v161, v95
	v_add_f32_e32 v80, v181, v91
	v_dual_add_f32 v82, v180, v90 :: v_dual_add_f32 v11, v165, v95
	v_dual_add_f32 v83, v185, v91 :: v_dual_add_f32 v84, v184, v90
	s_delay_alu instid0(VALU_DEP_4)
	v_min3_f32 v138, v1, v0, v24
	v_add_f32_e32 v1, v180, v94
	v_min3_f32 v78, v15, v14, v19
	v_dual_add_f32 v15, v169, v95 :: v_dual_add_f32 v14, v164, v94
	v_min3_f32 v140, v84, v83, v23
	v_dual_add_f32 v23, v177, v95 :: v_dual_add_f32 v18, v168, v94
	v_add_f32_e32 v19, v173, v95
	s_delay_alu instid0(VALU_DEP_4)
	v_min3_f32 v137, v14, v11, v25
	v_add_f32_e32 v11, v184, v94
	v_min3_f32 v80, v82, v80, v22
	v_add_f32_e32 v82, v176, v94
	v_add_f32_e32 v22, v172, v94
	;; [unrolled: 1-line block ×4, first 2 shown]
	v_add_co_ci_u32_e64 v148, s5, s9, v148, s5
	v_min3_f32 v134, v82, v23, v4
	v_dual_add_f32 v4, v185, v95 :: v_dual_add_f32 v23, v164, v98
	s_add_i32 s20, s20, 8
	s_waitcnt vmcnt(0)
	ds_store_b32 v130, v149
	ds_store_2addr_stride64_b32 v144, v151, v150 offset1:4
	ds_store_2addr_stride64_b32 v144, v153, v152 offset0:8 offset1:12
	s_cmp_ge_i32 s20, s14
	v_min3_f32 v132, v11, v4, v33
	v_add_f32_e32 v11, v177, v99
	v_min3_f32 v136, v18, v15, v28
	v_dual_add_f32 v15, v156, v98 :: v_dual_add_f32 v18, v161, v99
	v_add_f32_e32 v4, v173, v99
	s_waitcnt lgkmcnt(0)
	s_barrier
	s_delay_alu instid0(VALU_DEP_2)
	v_min3_f32 v131, v15, v14, v34
	v_add_f32_e32 v15, v181, v99
	v_min3_f32 v135, v22, v19, v29
	v_dual_add_f32 v19, v160, v98 :: v_dual_add_f32 v22, v165, v99
	v_min3_f32 v133, v1, v0, v32
	v_dual_add_f32 v0, v169, v99 :: v_dual_add_f32 v1, v168, v98
	v_add_f32_e32 v14, v176, v98
	buffer_gl0_inv
	v_min3_f32 v127, v1, v0, v36
	v_add_f32_e32 v1, v156, v102
	v_min3_f32 v128, v23, v22, v5
	v_add_f32_e32 v5, v172, v98
	v_min3_f32 v129, v19, v18, v35
	v_dual_add_f32 v18, v180, v98 :: v_dual_add_f32 v19, v185, v99
	v_add_f32_e32 v22, v184, v98
	v_min3_f32 v125, v14, v11, v38
	v_add_f32_e32 v0, v157, v103
	s_delay_alu instid0(VALU_DEP_4)
	v_min3_f32 v124, v18, v15, v39
	v_add_f32_e32 v15, v168, v102
	v_min3_f32 v122, v22, v19, v8
	v_dual_add_f32 v8, v165, v103 :: v_dual_add_f32 v11, v164, v102
	v_min3_f32 v126, v5, v4, v37
	v_dual_add_f32 v4, v161, v103 :: v_dual_add_f32 v19, v172, v102
	v_dual_add_f32 v5, v160, v102 :: v_dual_add_f32 v14, v169, v103
	v_add_f32_e32 v18, v173, v103
	v_min3_f32 v123, v1, v0, v40
	v_add_f32_e32 v0, v177, v103
	s_delay_alu instid0(VALU_DEP_4)
	v_min3_f32 v120, v5, v4, v41
	v_add_f32_e32 v1, v176, v102
	v_min3_f32 v119, v11, v8, v44
	v_min3_f32 v117, v19, v18, v9
	v_dual_add_f32 v4, v181, v103 :: v_dual_add_f32 v5, v180, v102
	v_min3_f32 v118, v15, v14, v45
	v_dual_add_f32 v8, v185, v103 :: v_dual_add_f32 v9, v184, v102
	v_dual_add_f32 v11, v157, v189 :: v_dual_add_f32 v14, v156, v188
	;; [unrolled: 1-line block ×3, first 2 shown]
	v_min3_f32 v116, v1, v0, v48
	v_min3_f32 v115, v5, v4, v49
	;; [unrolled: 1-line block ×5, first 2 shown]
	v_dual_add_f32 v0, v165, v189 :: v_dual_add_f32 v15, v180, v188
	v_dual_add_f32 v1, v164, v188 :: v_dual_add_f32 v4, v169, v189
	;; [unrolled: 1-line block ×3, first 2 shown]
	v_add_f32_e32 v9, v172, v188
	v_dual_add_f32 v11, v177, v189 :: v_dual_add_f32 v12, v176, v188
	v_add_f32_e32 v14, v181, v189
	v_min3_f32 v111, v1, v0, v52
	v_dual_add_f32 v0, v185, v189 :: v_dual_add_f32 v1, v184, v188
	v_min3_f32 v110, v5, v4, v53
	v_min3_f32 v108, v12, v11, v55
	v_dual_add_f32 v4, v157, v193 :: v_dual_add_f32 v5, v156, v192
	v_min3_f32 v109, v9, v8, v54
	v_dual_add_f32 v8, v161, v193 :: v_dual_add_f32 v9, v160, v192
	;; [unrolled: 2-line block ×3, first 2 shown]
	v_dual_add_f32 v13, v169, v193 :: v_dual_add_f32 v14, v168, v192
	v_min3_f32 v106, v1, v0, v46
	v_min3_f32 v105, v5, v4, v47
	v_min3_f32 v104, v9, v8, v56
	v_add_f32_e32 v0, v173, v193
	v_min3_f32 v102, v14, v13, v16
	v_dual_add_f32 v1, v172, v192 :: v_dual_add_f32 v4, v177, v193
	v_dual_add_f32 v5, v176, v192 :: v_dual_add_f32 v8, v181, v193
	v_add_f32_e32 v9, v180, v192
	v_add_f32_e32 v13, v157, v197
	v_min3_f32 v103, v12, v11, v57
	v_dual_add_f32 v11, v185, v193 :: v_dual_add_f32 v12, v184, v192
	v_add_f32_e32 v14, v156, v196
	v_min3_f32 v101, v1, v0, v42
	v_min3_f32 v100, v5, v4, v43
	v_min3_f32 v99, v9, v8, v58
	v_add_f32_e32 v0, v161, v197
	v_min3_f32 v97, v14, v13, v17
	v_dual_add_f32 v1, v160, v196 :: v_dual_add_f32 v4, v165, v197
	v_dual_add_f32 v5, v164, v196 :: v_dual_add_f32 v8, v169, v197
	v_add_f32_e32 v9, v168, v196
	v_add_f32_e32 v13, v177, v197
	v_min3_f32 v98, v12, v11, v59
	v_dual_add_f32 v11, v173, v197 :: v_dual_add_f32 v12, v172, v196
	v_add_f32_e32 v14, v176, v196
	;; [unrolled: 12-line block ×3, first 2 shown]
	v_min3_f32 v90, v1, v0, v26
	v_min3_f32 v89, v5, v4, v27
	;; [unrolled: 1-line block ×3, first 2 shown]
	v_add_f32_e32 v0, v169, v201
	v_min3_f32 v86, v14, v13, v21
	v_add_f32_e32 v13, v185, v201
	v_min3_f32 v87, v12, v11, v31
	v_dual_add_f32 v1, v168, v200 :: v_dual_add_f32 v4, v173, v201
	v_dual_add_f32 v5, v172, v200 :: v_dual_add_f32 v8, v177, v201
	v_add_f32_e32 v9, v176, v200
	v_dual_add_f32 v11, v181, v201 :: v_dual_add_f32 v12, v180, v200
	v_add_f32_e32 v14, v184, v200
	v_min3_f32 v85, v1, v0, v3
	v_min3_f32 v84, v5, v4, v6
	;; [unrolled: 1-line block ×5, first 2 shown]
	s_cbranch_scc1 .LBB76_52
.LBB76_32:                              ; =>This Inner Loop Header: Depth=1
	v_dual_mov_b32 v152, 0x7f7fffff :: v_dual_add_nc_u32 v151, s20, v72
	s_delay_alu instid0(VALU_DEP_1) | instskip(NEXT) | instid1(VALU_DEP_1)
	v_dual_mov_b32 v153, 0x7f7fffff :: v_dual_add_nc_u32 v0, 8, v151
	v_cmp_gt_i32_e64 s5, s18, v0
	s_delay_alu instid0(VALU_DEP_1) | instskip(NEXT) | instid1(SALU_CYCLE_1)
	s_and_b32 s6, s5, s27
	s_and_saveexec_b32 s5, s6
	s_cbranch_execz .LBB76_34
; %bb.33:                               ;   in Loop: Header=BB76_32 Depth=1
	flat_load_b32 v152, v[68:69]
.LBB76_34:                              ;   in Loop: Header=BB76_32 Depth=1
	s_or_b32 exec_lo, exec_lo, s5
	v_add_nc_u32_e32 v150, s20, v73
	s_delay_alu instid0(VALU_DEP_1) | instskip(NEXT) | instid1(VALU_DEP_1)
	v_add_nc_u32_e32 v0, 8, v150
	v_cmp_le_i32_e64 s5, s18, v0
	s_delay_alu instid0(VALU_DEP_1) | instskip(NEXT) | instid1(SALU_CYCLE_1)
	s_or_b32 s6, vcc_lo, s5
	s_xor_b32 s6, s6, -1
	s_delay_alu instid0(SALU_CYCLE_1)
	s_and_saveexec_b32 s21, s6
	s_cbranch_execz .LBB76_36
; %bb.35:                               ;   in Loop: Header=BB76_32 Depth=1
	v_add_co_u32 v0, s6, v147, v64
	s_delay_alu instid0(VALU_DEP_1)
	v_add_co_ci_u32_e64 v1, s6, v148, v65, s6
	flat_load_b32 v153, v[0:1]
.LBB76_36:                              ;   in Loop: Header=BB76_32 Depth=1
	s_or_b32 exec_lo, exec_lo, s21
	v_dual_mov_b32 v154, 0x7f7fffff :: v_dual_mov_b32 v155, 0x7f7fffff
	s_or_b32 s6, s2, s5
	s_delay_alu instid0(SALU_CYCLE_1) | instskip(NEXT) | instid1(SALU_CYCLE_1)
	s_xor_b32 s6, s6, -1
	s_and_saveexec_b32 s21, s6
	s_cbranch_execz .LBB76_38
; %bb.37:                               ;   in Loop: Header=BB76_32 Depth=1
	v_add_co_u32 v0, s6, v147, v64
	s_delay_alu instid0(VALU_DEP_1)
	v_add_co_ci_u32_e64 v1, s6, v148, v65, s6
	flat_load_b32 v155, v[0:1] offset:256
.LBB76_38:                              ;   in Loop: Header=BB76_32 Depth=1
	s_or_b32 exec_lo, exec_lo, s21
	s_or_b32 s6, s3, s5
	s_delay_alu instid0(SALU_CYCLE_1) | instskip(NEXT) | instid1(SALU_CYCLE_1)
	s_xor_b32 s6, s6, -1
	s_and_saveexec_b32 s21, s6
	s_cbranch_execz .LBB76_40
; %bb.39:                               ;   in Loop: Header=BB76_32 Depth=1
	v_add_co_u32 v0, s6, v147, v64
	s_delay_alu instid0(VALU_DEP_1)
	v_add_co_ci_u32_e64 v1, s6, v148, v65, s6
	flat_load_b32 v154, v[0:1] offset:512
.LBB76_40:                              ;   in Loop: Header=BB76_32 Depth=1
	s_or_b32 exec_lo, exec_lo, s21
	v_dual_mov_b32 v149, 0x7f7fffff :: v_dual_mov_b32 v156, 0x7f7fffff
	s_or_b32 s5, s4, s5
	s_delay_alu instid0(SALU_CYCLE_1) | instskip(NEXT) | instid1(SALU_CYCLE_1)
	s_xor_b32 s5, s5, -1
	s_and_saveexec_b32 s6, s5
	s_cbranch_execz .LBB76_42
; %bb.41:                               ;   in Loop: Header=BB76_32 Depth=1
	v_add_co_u32 v0, s5, v147, v64
	s_delay_alu instid0(VALU_DEP_1)
	v_add_co_ci_u32_e64 v1, s5, v148, v65, s5
	flat_load_b32 v156, v[0:1] offset:768
.LBB76_42:                              ;   in Loop: Header=BB76_32 Depth=1
	s_or_b32 exec_lo, exec_lo, s6
	ds_load_b128 v[32:35], v145
	ds_load_b128 v[28:31], v145 offset:128
	ds_load_b128 v[24:27], v145 offset:256
	;; [unrolled: 1-line block ×7, first 2 shown]
	ds_load_b128 v[60:63], v146
	ds_load_b128 v[56:59], v146 offset:512
	ds_load_b128 v[52:55], v146 offset:1024
	ds_load_b128 v[48:51], v146 offset:1536
	ds_load_b128 v[44:47], v146 offset:2048
	ds_load_b128 v[40:43], v146 offset:2560
	ds_load_b128 v[36:39], v146 offset:3072
	ds_load_b128 v[20:23], v146 offset:3584
	v_add_nc_u32_e32 v151, 12, v151
	s_waitcnt vmcnt(0) lgkmcnt(16)
	ds_store_b32 v121, v152
	ds_store_2addr_stride64_b32 v76, v153, v155 offset1:4
	ds_store_2addr_stride64_b32 v76, v154, v156 offset0:8 offset1:12
	s_waitcnt lgkmcnt(0)
	s_barrier
	v_cmp_gt_i32_e64 s5, s18, v151
	buffer_gl0_inv
	s_and_b32 s6, s5, s27
	s_delay_alu instid0(SALU_CYCLE_1)
	s_and_saveexec_b32 s5, s6
	s_cbranch_execz .LBB76_44
; %bb.43:                               ;   in Loop: Header=BB76_32 Depth=1
	flat_load_b32 v149, v[68:69] offset:16
.LBB76_44:                              ;   in Loop: Header=BB76_32 Depth=1
	s_or_b32 exec_lo, exec_lo, s5
	v_dual_mov_b32 v151, 0x7f7fffff :: v_dual_add_nc_u32 v150, 12, v150
	s_delay_alu instid0(VALU_DEP_1) | instskip(SKIP_1) | instid1(VALU_DEP_2)
	v_cmp_le_i32_e64 s5, s18, v150
	v_mov_b32_e32 v150, 0x7f7fffff
	s_or_b32 s6, vcc_lo, s5
	s_delay_alu instid0(SALU_CYCLE_1) | instskip(NEXT) | instid1(SALU_CYCLE_1)
	s_xor_b32 s6, s6, -1
	s_and_saveexec_b32 s21, s6
	s_cbranch_execz .LBB76_46
; %bb.45:                               ;   in Loop: Header=BB76_32 Depth=1
	v_add_co_u32 v151, s6, v147, v66
	s_delay_alu instid0(VALU_DEP_1)
	v_add_co_ci_u32_e64 v152, s6, v148, v67, s6
	flat_load_b32 v151, v[151:152]
.LBB76_46:                              ;   in Loop: Header=BB76_32 Depth=1
	s_or_b32 exec_lo, exec_lo, s21
	s_or_b32 s6, s2, s5
	s_delay_alu instid0(SALU_CYCLE_1) | instskip(NEXT) | instid1(SALU_CYCLE_1)
	s_xor_b32 s6, s6, -1
	s_and_saveexec_b32 s21, s6
	s_cbranch_execz .LBB76_48
; %bb.47:                               ;   in Loop: Header=BB76_32 Depth=1
	v_add_co_u32 v152, s6, v147, v66
	s_delay_alu instid0(VALU_DEP_1)
	v_add_co_ci_u32_e64 v153, s6, v148, v67, s6
	flat_load_b32 v150, v[152:153] offset:256
.LBB76_48:                              ;   in Loop: Header=BB76_32 Depth=1
	s_or_b32 exec_lo, exec_lo, s21
	v_dual_mov_b32 v152, 0x7f7fffff :: v_dual_mov_b32 v153, 0x7f7fffff
	s_or_b32 s6, s3, s5
	s_delay_alu instid0(SALU_CYCLE_1) | instskip(NEXT) | instid1(SALU_CYCLE_1)
	s_xor_b32 s6, s6, -1
	s_and_saveexec_b32 s21, s6
	s_cbranch_execz .LBB76_50
; %bb.49:                               ;   in Loop: Header=BB76_32 Depth=1
	v_add_co_u32 v153, s6, v147, v66
	s_delay_alu instid0(VALU_DEP_1)
	v_add_co_ci_u32_e64 v154, s6, v148, v67, s6
	flat_load_b32 v153, v[153:154] offset:512
.LBB76_50:                              ;   in Loop: Header=BB76_32 Depth=1
	s_or_b32 exec_lo, exec_lo, s21
	v_dual_add_f32 v154, v33, v61 :: v_dual_add_f32 v155, v32, v60
	v_dual_add_f32 v156, v29, v61 :: v_dual_add_f32 v157, v28, v60
	;; [unrolled: 1-line block ×3, first 2 shown]
	s_delay_alu instid0(VALU_DEP_3) | instskip(SKIP_1) | instid1(VALU_DEP_4)
	v_min3_f32 v142, v155, v154, v142
	v_dual_add_f32 v154, v17, v61 :: v_dual_add_f32 v155, v16, v60
	v_min3_f32 v141, v157, v156, v141
	s_delay_alu instid0(VALU_DEP_4)
	v_min3_f32 v81, v159, v158, v81
	v_dual_add_f32 v156, v13, v61 :: v_dual_add_f32 v157, v12, v60
	v_dual_add_f32 v158, v9, v61 :: v_dual_add_f32 v159, v8, v60
	;; [unrolled: 1-line block ×4, first 2 shown]
	v_min3_f32 v79, v155, v154, v79
	v_min3_f32 v77, v157, v156, v77
	v_dual_add_f32 v154, v29, v57 :: v_dual_add_f32 v155, v28, v56
	s_delay_alu instid0(VALU_DEP_4)
	v_min3_f32 v60, v60, v61, v140
	v_dual_add_f32 v61, v33, v57 :: v_dual_add_f32 v140, v32, v56
	v_dual_add_f32 v156, v25, v57 :: v_dual_add_f32 v157, v24, v56
	v_min3_f32 v78, v159, v158, v78
	v_min3_f32 v80, v161, v160, v80
	v_dual_add_f32 v158, v17, v57 :: v_dual_add_f32 v159, v16, v56
	v_dual_add_f32 v160, v13, v57 :: v_dual_add_f32 v161, v12, v56
	v_min3_f32 v61, v140, v61, v139
	v_min3_f32 v138, v155, v154, v138
	;; [unrolled: 1-line block ×3, first 2 shown]
	v_dual_add_f32 v139, v9, v57 :: v_dual_add_f32 v140, v8, v56
	v_dual_add_f32 v154, v5, v57 :: v_dual_add_f32 v155, v4, v56
	;; [unrolled: 1-line block ×4, first 2 shown]
	v_min3_f32 v136, v159, v158, v136
	v_dual_add_f32 v158, v29, v53 :: v_dual_add_f32 v159, v28, v52
	v_min3_f32 v134, v140, v139, v134
	v_min3_f32 v56, v56, v57, v132
	;; [unrolled: 1-line block ×3, first 2 shown]
	v_dual_add_f32 v131, v25, v53 :: v_dual_add_f32 v132, v24, v52
	v_dual_add_f32 v139, v17, v53 :: v_dual_add_f32 v140, v16, v52
	v_min3_f32 v133, v155, v154, v133
	v_min3_f32 v129, v159, v158, v129
	v_dual_add_f32 v154, v13, v53 :: v_dual_add_f32 v155, v12, v52
	v_dual_add_f32 v156, v9, v53 :: v_dual_add_f32 v157, v8, v52
	v_dual_add_f32 v158, v5, v53 :: v_dual_add_f32 v159, v4, v52
	v_min3_f32 v128, v132, v131, v128
	v_min3_f32 v127, v140, v139, v127
	v_dual_add_f32 v53, v1, v53 :: v_dual_add_f32 v52, v0, v52
	;; [unrolled: 5-line block ×3, first 2 shown]
	v_dual_add_f32 v156, v17, v49 :: v_dual_add_f32 v157, v16, v48
	v_min3_f32 v122, v52, v53, v122
	v_min3_f32 v123, v132, v131, v123
	v_min3_f32 v120, v140, v139, v120
	v_dual_add_f32 v52, v13, v49 :: v_dual_add_f32 v53, v12, v48
	v_dual_add_f32 v131, v9, v49 :: v_dual_add_f32 v132, v8, v48
	;; [unrolled: 1-line block ×4, first 2 shown]
	v_min3_f32 v119, v155, v154, v119
	v_dual_add_f32 v154, v33, v45 :: v_dual_add_f32 v155, v32, v44
	v_min3_f32 v117, v53, v52, v117
	v_min3_f32 v116, v132, v131, v116
	;; [unrolled: 1-line block ×3, first 2 shown]
	v_dual_add_f32 v48, v29, v45 :: v_dual_add_f32 v49, v28, v44
	v_dual_add_f32 v52, v25, v45 :: v_dual_add_f32 v53, v24, v44
	;; [unrolled: 1-line block ×3, first 2 shown]
	v_min3_f32 v115, v140, v139, v115
	v_min3_f32 v113, v155, v154, v113
	v_dual_add_f32 v139, v13, v45 :: v_dual_add_f32 v140, v12, v44
	v_dual_add_f32 v154, v9, v45 :: v_dual_add_f32 v155, v8, v44
	v_min3_f32 v112, v49, v48, v112
	v_min3_f32 v111, v53, v52, v111
	;; [unrolled: 1-line block ×3, first 2 shown]
	v_dual_add_f32 v48, v5, v45 :: v_dual_add_f32 v49, v4, v44
	v_dual_add_f32 v45, v1, v45 :: v_dual_add_f32 v44, v0, v44
	v_dual_add_f32 v52, v33, v41 :: v_dual_add_f32 v53, v32, v40
	v_dual_add_f32 v131, v29, v41 :: v_dual_add_f32 v132, v28, v40
	v_min3_f32 v109, v140, v139, v109
	v_dual_add_f32 v139, v25, v41 :: v_dual_add_f32 v140, v24, v40
	v_min3_f32 v107, v49, v48, v107
	v_min3_f32 v106, v44, v45, v106
	;; [unrolled: 1-line block ×4, first 2 shown]
	v_dual_add_f32 v44, v17, v41 :: v_dual_add_f32 v45, v16, v40
	v_dual_add_f32 v48, v13, v41 :: v_dual_add_f32 v49, v12, v40
	;; [unrolled: 1-line block ×5, first 2 shown]
	v_min3_f32 v102, v45, v44, v102
	v_dual_add_f32 v44, v29, v37 :: v_dual_add_f32 v45, v28, v36
	v_min3_f32 v100, v53, v52, v100
	s_delay_alu instid0(VALU_DEP_4) | instskip(SKIP_4) | instid1(VALU_DEP_4)
	v_min3_f32 v98, v40, v41, v98
	v_dual_add_f32 v40, v33, v37 :: v_dual_add_f32 v41, v32, v36
	v_min3_f32 v99, v132, v131, v99
	v_dual_add_f32 v52, v17, v37 :: v_dual_add_f32 v53, v16, v36
	v_dual_add_f32 v131, v13, v37 :: v_dual_add_f32 v132, v12, v36
	v_min3_f32 v97, v41, v40, v97
	v_min3_f32 v96, v45, v44, v96
	v_dual_add_f32 v40, v9, v37 :: v_dual_add_f32 v41, v8, v36
	v_dual_add_f32 v44, v5, v37 :: v_dual_add_f32 v45, v4, v36
	;; [unrolled: 1-line block ×6, first 2 shown]
	v_min3_f32 v108, v155, v154, v108
	v_min3_f32 v103, v140, v139, v103
	;; [unrolled: 1-line block ×3, first 2 shown]
	v_dual_add_f32 v48, v25, v37 :: v_dual_add_f32 v49, v24, v36
	v_dual_add_f32 v37, v1, v37 :: v_dual_add_f32 v36, v0, v36
	;; [unrolled: 1-line block ×4, first 2 shown]
	v_min3_f32 v139, v16, v17, v85
	v_min3_f32 v140, v12, v13, v84
	;; [unrolled: 1-line block ×4, first 2 shown]
	v_dual_add_f32 v1, v1, v21 :: v_dual_add_f32 v0, v0, v20
	v_dual_add_f32 v4, v35, v63 :: v_dual_add_f32 v5, v34, v62
	;; [unrolled: 1-line block ×5, first 2 shown]
	v_min3_f32 v93, v132, v131, v93
	v_dual_add_f32 v33, v33, v21 :: v_dual_add_f32 v32, v32, v20
	v_min3_f32 v131, v28, v29, v87
	v_min3_f32 v132, v24, v25, v86
	;; [unrolled: 1-line block ×7, first 2 shown]
	v_dual_add_f32 v1, v15, v63 :: v_dual_add_f32 v4, v14, v62
	v_dual_add_f32 v5, v11, v63 :: v_dual_add_f32 v8, v10, v62
	;; [unrolled: 1-line block ×5, first 2 shown]
	v_min3_f32 v135, v161, v160, v135
	v_min3_f32 v89, v36, v37, v89
	v_min3_f32 v88, v32, v33, v88
	v_min3_f32 v29, v4, v1, v77
	v_min3_f32 v32, v8, v5, v78
	v_min3_f32 v33, v12, v9, v80
	v_min3_f32 v36, v16, v13, v60
	v_min3_f32 v1, v20, v17, v61
	v_dual_add_f32 v4, v31, v59 :: v_dual_add_f32 v5, v30, v58
	v_dual_add_f32 v8, v27, v59 :: v_dual_add_f32 v9, v26, v58
	;; [unrolled: 1-line block ×4, first 2 shown]
	v_min3_f32 v91, v41, v40, v91
	v_min3_f32 v90, v45, v44, v90
	v_dual_add_f32 v20, v11, v59 :: v_dual_add_f32 v21, v10, v58
	v_min3_f32 v37, v5, v4, v138
	v_min3_f32 v40, v9, v8, v137
	;; [unrolled: 1-line block ×4, first 2 shown]
	v_dual_add_f32 v5, v7, v59 :: v_dual_add_f32 v8, v6, v58
	v_dual_add_f32 v9, v3, v59 :: v_dual_add_f32 v12, v2, v58
	;; [unrolled: 1-line block ×3, first 2 shown]
	v_min3_f32 v95, v49, v48, v95
	v_min3_f32 v94, v53, v52, v94
	;; [unrolled: 1-line block ×3, first 2 shown]
	v_dual_add_f32 v17, v31, v55 :: v_dual_add_f32 v20, v30, v54
	v_dual_add_f32 v21, v27, v55 :: v_dual_add_f32 v58, v2, v54
	v_add_f32_e32 v53, v26, v54
	v_min3_f32 v45, v8, v5, v133
	v_add_f32_e32 v8, v19, v55
	v_min3_f32 v48, v12, v9, v56
	v_min3_f32 v49, v16, v13, v57
	v_dual_add_f32 v9, v18, v54 :: v_dual_add_f32 v12, v15, v55
	v_dual_add_f32 v13, v14, v54 :: v_dual_add_f32 v16, v11, v55
	v_min3_f32 v124, v159, v158, v124
	v_min3_f32 v52, v20, v17, v129
	;; [unrolled: 1-line block ×3, first 2 shown]
	v_dual_add_f32 v17, v10, v54 :: v_dual_add_f32 v20, v7, v55
	v_add_f32_e32 v21, v6, v54
	v_add_f32_e32 v57, v3, v55
	v_min3_f32 v53, v9, v8, v127
	v_min3_f32 v54, v13, v12, v126
	v_dual_add_f32 v12, v34, v50 :: v_dual_add_f32 v9, v35, v51
	v_min3_f32 v118, v157, v156, v118
	v_min3_f32 v55, v17, v16, v125
	v_add_f32_e32 v16, v30, v50
	v_min3_f32 v8, v58, v57, v122
	v_add_f32_e32 v13, v31, v51
	v_dual_add_f32 v17, v27, v51 :: v_dual_add_f32 v60, v18, v50
	v_min3_f32 v57, v12, v9, v123
	v_add_f32_e32 v12, v11, v51
	v_min3_f32 v56, v21, v20, v124
	v_dual_add_f32 v20, v26, v50 :: v_dual_add_f32 v21, v19, v51
	v_dual_add_f32 v62, v14, v50 :: v_dual_add_f32 v61, v15, v51
	v_add_f32_e32 v78, v30, v46
	v_min3_f32 v58, v16, v13, v120
	s_delay_alu instid0(VALU_DEP_4)
	v_min3_f32 v59, v20, v17, v119
	v_min3_f32 v60, v60, v21, v118
	v_dual_add_f32 v13, v10, v50 :: v_dual_add_f32 v16, v7, v51
	v_dual_add_f32 v17, v6, v50 :: v_dual_add_f32 v20, v3, v51
	v_add_f32_e32 v21, v2, v50
	v_add_f32_e32 v77, v31, v47
	v_min3_f32 v9, v62, v61, v117
	v_add_f32_e32 v62, v35, v47
	v_min3_f32 v50, v13, v12, v116
	v_min3_f32 v51, v17, v16, v115
	v_add_f32_e32 v16, v26, v46
	v_min3_f32 v61, v21, v20, v114
	v_min3_f32 v12, v78, v77, v112
	v_dual_add_f32 v13, v27, v47 :: v_dual_add_f32 v20, v18, v46
	v_dual_add_f32 v17, v19, v47 :: v_dual_add_f32 v78, v14, v46
	;; [unrolled: 1-line block ×3, first 2 shown]
	v_add_f32_e32 v63, v34, v46
	v_dual_add_f32 v79, v11, v47 :: v_dual_add_f32 v82, v6, v46
	v_add_f32_e32 v81, v7, v47
	v_min3_f32 v77, v20, v17, v110
	v_min3_f32 v78, v78, v21, v109
	v_dual_add_f32 v17, v2, v46 :: v_dual_add_f32 v20, v35, v43
	v_add_f32_e32 v21, v34, v42
	v_min3_f32 v62, v63, v62, v113
	v_min3_f32 v63, v16, v13, v111
	;; [unrolled: 1-line block ×3, first 2 shown]
	v_add_f32_e32 v80, v31, v43
	v_dual_add_f32 v16, v3, v47 :: v_dual_add_f32 v83, v26, v42
	v_dual_add_f32 v84, v19, v43 :: v_dual_add_f32 v85, v18, v42
	v_min3_f32 v47, v21, v20, v105
	v_add_f32_e32 v20, v14, v42
	v_min3_f32 v13, v82, v81, v107
	v_dual_add_f32 v81, v30, v42 :: v_dual_add_f32 v82, v27, v43
	v_min3_f32 v46, v17, v16, v106
	v_min3_f32 v16, v85, v84, v102
	v_add_f32_e32 v17, v15, v43
	s_delay_alu instid0(VALU_DEP_4)
	v_min3_f32 v80, v81, v80, v104
	v_min3_f32 v81, v83, v82, v103
	v_dual_add_f32 v82, v10, v42 :: v_dual_add_f32 v21, v11, v43
	v_dual_add_f32 v84, v6, v42 :: v_dual_add_f32 v83, v7, v43
	;; [unrolled: 1-line block ×4, first 2 shown]
	v_min3_f32 v42, v20, v17, v101
	v_min3_f32 v43, v82, v21, v100
	;; [unrolled: 1-line block ×4, first 2 shown]
	v_add_f32_e32 v86, v26, v38
	v_min3_f32 v17, v102, v87, v97
	v_dual_add_f32 v20, v31, v39 :: v_dual_add_f32 v21, v30, v38
	v_add_f32_e32 v98, v15, v39
	v_add_f32_e32 v85, v27, v39
	v_dual_add_f32 v87, v19, v39 :: v_dual_add_f32 v34, v34, v22
	v_dual_add_f32 v97, v18, v38 :: v_dual_add_f32 v100, v11, v39
	v_add_f32_e32 v99, v14, v38
	v_add_f32_e32 v101, v10, v38
	v_dual_add_f32 v35, v35, v23 :: v_dual_add_f32 v10, v10, v22
	v_min3_f32 v84, v21, v20, v96
	v_dual_add_f32 v21, v7, v39 :: v_dual_add_f32 v18, v18, v22
	s_delay_alu instid0(VALU_DEP_4)
	v_min3_f32 v20, v101, v100, v91
	v_add_f32_e32 v91, v6, v38
	v_dual_add_f32 v39, v3, v39 :: v_dual_add_f32 v14, v14, v22
	v_add_f32_e32 v38, v2, v38
	v_min3_f32 v85, v86, v85, v95
	v_min3_f32 v86, v97, v87, v94
	v_dual_add_f32 v31, v31, v23 :: v_dual_add_f32 v2, v2, v22
	v_add_f32_e32 v94, v27, v23
	v_min3_f32 v87, v99, v98, v93
	v_add_f32_e32 v93, v30, v22
	v_add_f32_e32 v95, v26, v22
	v_min3_f32 v30, v34, v35, v88
	v_add_f32_e32 v19, v19, v23
	v_add_f32_e32 v15, v15, v23
	;; [unrolled: 1-line block ×3, first 2 shown]
	v_dual_add_f32 v34, v7, v23 :: v_dual_add_f32 v35, v6, v22
	v_add_f32_e32 v23, v3, v23
	v_min3_f32 v26, v91, v21, v90
	v_min3_f32 v27, v38, v39, v89
	;; [unrolled: 1-line block ×9, first 2 shown]
	s_or_b32 s5, s4, s5
	s_delay_alu instid0(SALU_CYCLE_1) | instskip(NEXT) | instid1(SALU_CYCLE_1)
	s_xor_b32 s5, s5, -1
	s_and_saveexec_b32 s6, s5
	s_cbranch_execz .LBB76_31
; %bb.51:                               ;   in Loop: Header=BB76_32 Depth=1
	v_add_co_u32 v14, s5, v147, v66
	s_delay_alu instid0(VALU_DEP_1)
	v_add_co_ci_u32_e64 v15, s5, v148, v67, s5
	flat_load_b32 v152, v[14:15] offset:768
	s_branch .LBB76_31
.LBB76_52:
	s_clause 0x2
	s_load_b64 s[2:3], s[0:1], 0x70
	s_load_b32 s14, s[0:1], 0x50
	s_load_b32 s9, s[0:1], 0x68
	ds_load_b128 v[32:35], v74 offset:9216
	ds_load_b128 v[28:31], v74 offset:9344
	ds_load_b128 v[24:27], v74 offset:9472
	ds_load_b128 v[20:23], v74 offset:9600
	ds_load_b128 v[16:19], v74 offset:9728
	ds_load_b128 v[12:15], v74 offset:9856
	ds_load_b128 v[8:11], v74 offset:9984
	ds_load_b128 v[0:3], v74 offset:10112
	ds_load_b128 v[60:63], v75 offset:4096
	ds_load_b128 v[56:59], v75 offset:4608
	ds_load_b128 v[52:55], v75 offset:5120
	ds_load_b128 v[48:51], v75 offset:5632
	v_add_nc_u32_e32 v130, s26, v71
	ds_load_b128 v[44:47], v75 offset:6144
	ds_load_b128 v[40:43], v75 offset:6656
	;; [unrolled: 1-line block ×4, first 2 shown]
	v_cndmask_b32_e64 v121, 0, 1, s7
	v_cmp_gt_i32_e64 s8, s17, v130
	s_waitcnt lgkmcnt(0)
	s_mul_i32 s0, s15, s3
	v_mad_i64_i32 v[64:65], null, v130, s14, 0
	v_mad_i64_i32 v[66:67], null, v130, s9, 0
	s_mul_hi_u32 s1, s15, s2
	s_mul_i32 s3, s24, s2
	s_add_i32 s1, s1, s0
	s_mul_i32 s0, s15, s2
	s_delay_alu instid0(VALU_DEP_2) | instskip(SKIP_1) | instid1(VALU_DEP_2)
	v_lshlrev_b64 v[68:69], 2, v[64:65]
	s_add_i32 s1, s1, s3
	v_lshlrev_b64 v[65:66], 2, v[66:67]
	v_add_nc_u32_e32 v64, s25, v70
	s_lshl_b64 s[0:1], s[0:1], 2
	s_delay_alu instid0(SALU_CYCLE_1)
	s_add_u32 s10, s10, s0
	v_add_co_u32 v145, vcc_lo, s12, v68
	v_add_co_ci_u32_e32 v146, vcc_lo, s13, v69, vcc_lo
	s_addc_u32 s11, s11, s1
	v_add_co_u32 v143, vcc_lo, s10, v65
	v_cmp_gt_i32_e64 s0, s16, v64
	v_add_co_ci_u32_e32 v144, vcc_lo, s11, v66, vcc_lo
	v_ashrrev_i32_e32 v65, 31, v64
	s_delay_alu instid0(VALU_DEP_3) | instskip(NEXT) | instid1(SALU_CYCLE_1)
	s_and_b32 s2, s0, s8
	s_and_saveexec_b32 s1, s2
	s_cbranch_execz .LBB76_57
; %bb.53:
	s_delay_alu instid0(VALU_DEP_1)
	v_lshlrev_b64 v[66:67], 2, v[64:65]
	s_and_not1_b32 vcc_lo, exec_lo, s7
	s_cbranch_vccnz .LBB76_55
; %bb.54:
	s_delay_alu instid0(VALU_DEP_1) | instskip(NEXT) | instid1(VALU_DEP_2)
	v_add_co_u32 v68, vcc_lo, v145, v66
	v_add_co_ci_u32_e32 v69, vcc_lo, v146, v67, vcc_lo
	flat_load_b32 v68, v[68:69]
	s_waitcnt vmcnt(0) lgkmcnt(0)
	v_mul_f32_e32 v68, s19, v68
	s_branch .LBB76_56
.LBB76_55:
	v_mov_b32_e32 v68, 0
.LBB76_56:
	v_dual_add_f32 v69, v33, v61 :: v_dual_add_f32 v70, v32, v60
	v_dual_add_f32 v71, v35, v63 :: v_dual_add_f32 v72, v34, v62
	v_add_co_u32 v66, vcc_lo, v143, v66
	s_delay_alu instid0(VALU_DEP_3) | instskip(SKIP_1) | instid1(VALU_DEP_4)
	v_min3_f32 v69, v70, v69, v142
	v_add_co_ci_u32_e32 v67, vcc_lo, v144, v67, vcc_lo
	v_min_f32_e32 v70, v72, v71
	s_delay_alu instid0(VALU_DEP_1)
	v_min3_f32 v68, v68, v70, v69
	global_store_b32 v[66:67], v68, off
.LBB76_57:
	s_or_b32 exec_lo, exec_lo, s1
	v_add_nc_u32_e32 v66, 8, v64
	s_delay_alu instid0(VALU_DEP_1) | instskip(SKIP_1) | instid1(VALU_DEP_2)
	v_cmp_gt_i32_e64 s1, s16, v66
	v_ashrrev_i32_e32 v67, 31, v66
	s_and_b32 s3, s1, s8
	s_delay_alu instid0(SALU_CYCLE_1)
	s_and_saveexec_b32 s2, s3
	s_cbranch_execz .LBB76_62
; %bb.58:
	v_cmp_ne_u32_e32 vcc_lo, 1, v121
	v_lshlrev_b64 v[68:69], 2, v[66:67]
	s_cbranch_vccnz .LBB76_60
; %bb.59:
	s_delay_alu instid0(VALU_DEP_1) | instskip(NEXT) | instid1(VALU_DEP_2)
	v_add_co_u32 v70, vcc_lo, v145, v68
	v_add_co_ci_u32_e32 v71, vcc_lo, v146, v69, vcc_lo
	flat_load_b32 v70, v[70:71]
	s_waitcnt vmcnt(0) lgkmcnt(0)
	v_mul_f32_e32 v70, s19, v70
	s_branch .LBB76_61
.LBB76_60:
	v_mov_b32_e32 v70, 0
.LBB76_61:
	v_dual_add_f32 v71, v29, v61 :: v_dual_add_f32 v72, v28, v60
	v_dual_add_f32 v73, v31, v63 :: v_dual_add_f32 v74, v30, v62
	s_delay_alu instid0(VALU_DEP_4) | instskip(NEXT) | instid1(VALU_DEP_3)
	v_add_co_u32 v68, vcc_lo, v143, v68
	v_min3_f32 v71, v72, v71, v141
	v_add_co_ci_u32_e32 v69, vcc_lo, v144, v69, vcc_lo
	s_delay_alu instid0(VALU_DEP_4) | instskip(NEXT) | instid1(VALU_DEP_1)
	v_min_f32_e32 v72, v74, v73
	v_min3_f32 v70, v70, v72, v71
	global_store_b32 v[68:69], v70, off
.LBB76_62:
	s_or_b32 exec_lo, exec_lo, s2
	v_add_nc_u32_e32 v68, 16, v64
	s_delay_alu instid0(VALU_DEP_1) | instskip(SKIP_1) | instid1(VALU_DEP_2)
	v_cmp_gt_i32_e64 s2, s16, v68
	v_ashrrev_i32_e32 v69, 31, v68
	s_and_b32 s4, s2, s8
	s_delay_alu instid0(SALU_CYCLE_1)
	s_and_saveexec_b32 s3, s4
	s_cbranch_execz .LBB76_67
; %bb.63:
	v_cmp_ne_u32_e32 vcc_lo, 1, v121
	v_lshlrev_b64 v[70:71], 2, v[68:69]
	s_cbranch_vccnz .LBB76_65
; %bb.64:
	s_delay_alu instid0(VALU_DEP_1) | instskip(NEXT) | instid1(VALU_DEP_2)
	v_add_co_u32 v72, vcc_lo, v145, v70
	v_add_co_ci_u32_e32 v73, vcc_lo, v146, v71, vcc_lo
	flat_load_b32 v72, v[72:73]
	s_waitcnt vmcnt(0) lgkmcnt(0)
	v_mul_f32_e32 v72, s19, v72
	s_branch .LBB76_66
.LBB76_65:
	v_mov_b32_e32 v72, 0
.LBB76_66:
	v_dual_add_f32 v73, v25, v61 :: v_dual_add_f32 v74, v24, v60
	v_dual_add_f32 v75, v27, v63 :: v_dual_add_f32 v76, v26, v62
	s_delay_alu instid0(VALU_DEP_4) | instskip(NEXT) | instid1(VALU_DEP_3)
	v_add_co_u32 v70, vcc_lo, v143, v70
	v_min3_f32 v73, v74, v73, v81
	v_add_co_ci_u32_e32 v71, vcc_lo, v144, v71, vcc_lo
	s_delay_alu instid0(VALU_DEP_4) | instskip(NEXT) | instid1(VALU_DEP_1)
	v_min_f32_e32 v74, v76, v75
	v_min3_f32 v72, v72, v74, v73
	global_store_b32 v[70:71], v72, off
.LBB76_67:
	s_or_b32 exec_lo, exec_lo, s3
	v_add_nc_u32_e32 v70, 24, v64
	s_delay_alu instid0(VALU_DEP_1) | instskip(SKIP_1) | instid1(VALU_DEP_2)
	v_cmp_gt_i32_e64 s3, s16, v70
	v_ashrrev_i32_e32 v71, 31, v70
	s_and_b32 s5, s3, s8
	s_delay_alu instid0(SALU_CYCLE_1)
	s_and_saveexec_b32 s4, s5
	s_cbranch_execz .LBB76_72
; %bb.68:
	v_cmp_ne_u32_e32 vcc_lo, 1, v121
	v_lshlrev_b64 v[72:73], 2, v[70:71]
	s_cbranch_vccnz .LBB76_70
; %bb.69:
	s_delay_alu instid0(VALU_DEP_1) | instskip(NEXT) | instid1(VALU_DEP_2)
	v_add_co_u32 v74, vcc_lo, v145, v72
	v_add_co_ci_u32_e32 v75, vcc_lo, v146, v73, vcc_lo
	flat_load_b32 v74, v[74:75]
	s_waitcnt vmcnt(0) lgkmcnt(0)
	v_mul_f32_e32 v74, s19, v74
	s_branch .LBB76_71
.LBB76_70:
	v_mov_b32_e32 v74, 0
.LBB76_71:
	v_dual_add_f32 v75, v21, v61 :: v_dual_add_f32 v76, v20, v60
	v_add_f32_e32 v81, v23, v63
	v_add_f32_e32 v141, v22, v62
	v_add_co_u32 v72, vcc_lo, v143, v72
	s_delay_alu instid0(VALU_DEP_4) | instskip(SKIP_1) | instid1(VALU_DEP_4)
	v_min3_f32 v75, v76, v75, v79
	v_add_co_ci_u32_e32 v73, vcc_lo, v144, v73, vcc_lo
	v_min_f32_e32 v76, v141, v81
	s_delay_alu instid0(VALU_DEP_1)
	v_min3_f32 v74, v74, v76, v75
	global_store_b32 v[72:73], v74, off
.LBB76_72:
	s_or_b32 exec_lo, exec_lo, s4
	v_add_nc_u32_e32 v72, 32, v64
	s_delay_alu instid0(VALU_DEP_1) | instskip(SKIP_1) | instid1(VALU_DEP_2)
	v_cmp_gt_i32_e64 s4, s16, v72
	v_ashrrev_i32_e32 v73, 31, v72
	s_and_b32 s6, s4, s8
	s_delay_alu instid0(SALU_CYCLE_1)
	s_and_saveexec_b32 s5, s6
	s_cbranch_execz .LBB76_77
; %bb.73:
	v_cmp_ne_u32_e32 vcc_lo, 1, v121
	v_lshlrev_b64 v[74:75], 2, v[72:73]
	s_cbranch_vccnz .LBB76_75
; %bb.74:
	s_delay_alu instid0(VALU_DEP_1) | instskip(NEXT) | instid1(VALU_DEP_2)
	v_add_co_u32 v141, vcc_lo, v145, v74
	v_add_co_ci_u32_e32 v142, vcc_lo, v146, v75, vcc_lo
	flat_load_b32 v76, v[141:142]
	s_waitcnt vmcnt(0) lgkmcnt(0)
	v_mul_f32_e32 v76, s19, v76
	s_branch .LBB76_76
.LBB76_75:
	v_mov_b32_e32 v76, 0
.LBB76_76:
	v_dual_add_f32 v79, v17, v61 :: v_dual_add_f32 v142, v18, v62
	v_add_f32_e32 v81, v16, v60
	v_add_f32_e32 v141, v19, v63
	v_add_co_u32 v74, vcc_lo, v143, v74
	v_add_co_ci_u32_e32 v75, vcc_lo, v144, v75, vcc_lo
	s_delay_alu instid0(VALU_DEP_4) | instskip(NEXT) | instid1(VALU_DEP_4)
	v_min3_f32 v77, v81, v79, v77
	v_min_f32_e32 v79, v142, v141
	s_delay_alu instid0(VALU_DEP_1)
	v_min3_f32 v76, v76, v79, v77
	global_store_b32 v[74:75], v76, off
.LBB76_77:
	s_or_b32 exec_lo, exec_lo, s5
	v_add_nc_u32_e32 v74, 40, v64
	s_delay_alu instid0(VALU_DEP_1) | instskip(SKIP_1) | instid1(VALU_DEP_2)
	v_cmp_gt_i32_e64 s5, s16, v74
	v_ashrrev_i32_e32 v75, 31, v74
	s_and_b32 s7, s5, s8
	s_delay_alu instid0(SALU_CYCLE_1)
	s_and_saveexec_b32 s6, s7
	s_cbranch_execz .LBB76_82
; %bb.78:
	v_cmp_ne_u32_e32 vcc_lo, 1, v121
	v_lshlrev_b64 v[76:77], 2, v[74:75]
	s_cbranch_vccnz .LBB76_80
; %bb.79:
	s_delay_alu instid0(VALU_DEP_1) | instskip(NEXT) | instid1(VALU_DEP_2)
	v_add_co_u32 v141, vcc_lo, v145, v76
	v_add_co_ci_u32_e32 v142, vcc_lo, v146, v77, vcc_lo
	flat_load_b32 v79, v[141:142]
	s_waitcnt vmcnt(0) lgkmcnt(0)
	v_mul_f32_e32 v79, s19, v79
	s_branch .LBB76_81
.LBB76_80:
	v_mov_b32_e32 v79, 0
.LBB76_81:
	v_dual_add_f32 v81, v13, v61 :: v_dual_add_f32 v142, v15, v63
	v_add_f32_e32 v141, v12, v60
	v_add_f32_e32 v147, v14, v62
	v_add_co_u32 v76, vcc_lo, v143, v76
	v_add_co_ci_u32_e32 v77, vcc_lo, v144, v77, vcc_lo
	s_delay_alu instid0(VALU_DEP_4) | instskip(NEXT) | instid1(VALU_DEP_4)
	v_min3_f32 v78, v141, v81, v78
	v_min_f32_e32 v81, v147, v142
	s_delay_alu instid0(VALU_DEP_1)
	v_min3_f32 v78, v79, v81, v78
	global_store_b32 v[76:77], v78, off
.LBB76_82:
	s_or_b32 exec_lo, exec_lo, s6
	v_add_nc_u32_e32 v76, 48, v64
	s_delay_alu instid0(VALU_DEP_1) | instskip(SKIP_1) | instid1(VALU_DEP_2)
	v_cmp_gt_i32_e64 s6, s16, v76
	v_ashrrev_i32_e32 v77, 31, v76
	s_and_b32 s15, s6, s8
	s_delay_alu instid0(SALU_CYCLE_1)
	s_and_saveexec_b32 s7, s15
	s_cbranch_execz .LBB76_87
; %bb.83:
	v_cmp_ne_u32_e32 vcc_lo, 1, v121
	v_lshlrev_b64 v[78:79], 2, v[76:77]
	s_cbranch_vccnz .LBB76_85
; %bb.84:
	s_delay_alu instid0(VALU_DEP_1) | instskip(NEXT) | instid1(VALU_DEP_2)
	v_add_co_u32 v141, vcc_lo, v145, v78
	v_add_co_ci_u32_e32 v142, vcc_lo, v146, v79, vcc_lo
	flat_load_b32 v81, v[141:142]
	s_waitcnt vmcnt(0) lgkmcnt(0)
	v_mul_f32_e32 v81, s19, v81
	s_branch .LBB76_86
.LBB76_85:
	v_mov_b32_e32 v81, 0
.LBB76_86:
	v_dual_add_f32 v141, v9, v61 :: v_dual_add_f32 v142, v8, v60
	v_dual_add_f32 v147, v11, v63 :: v_dual_add_f32 v148, v10, v62
	s_delay_alu instid0(VALU_DEP_4) | instskip(NEXT) | instid1(VALU_DEP_3)
	v_add_co_u32 v78, vcc_lo, v143, v78
	v_min3_f32 v80, v142, v141, v80
	v_add_co_ci_u32_e32 v79, vcc_lo, v144, v79, vcc_lo
	s_delay_alu instid0(VALU_DEP_4) | instskip(NEXT) | instid1(VALU_DEP_1)
	v_min_f32_e32 v141, v148, v147
	v_min3_f32 v80, v81, v141, v80
	global_store_b32 v[78:79], v80, off
.LBB76_87:
	s_or_b32 exec_lo, exec_lo, s7
	v_add_nc_u32_e32 v78, 56, v64
	s_delay_alu instid0(VALU_DEP_1) | instskip(SKIP_1) | instid1(VALU_DEP_2)
	v_cmp_gt_i32_e64 s7, s16, v78
	v_ashrrev_i32_e32 v79, 31, v78
	s_and_b32 s15, s7, s8
	s_delay_alu instid0(SALU_CYCLE_1)
	s_and_saveexec_b32 s8, s15
	s_cbranch_execz .LBB76_92
; %bb.88:
	v_cmp_ne_u32_e32 vcc_lo, 1, v121
	v_lshlrev_b64 v[80:81], 2, v[78:79]
	s_cbranch_vccnz .LBB76_90
; %bb.89:
	s_delay_alu instid0(VALU_DEP_1) | instskip(NEXT) | instid1(VALU_DEP_2)
	v_add_co_u32 v141, vcc_lo, v145, v80
	v_add_co_ci_u32_e32 v142, vcc_lo, v146, v81, vcc_lo
	flat_load_b32 v141, v[141:142]
	s_waitcnt vmcnt(0) lgkmcnt(0)
	v_mul_f32_e32 v141, s19, v141
	s_branch .LBB76_91
.LBB76_90:
	v_mov_b32_e32 v141, 0
.LBB76_91:
	v_dual_add_f32 v61, v1, v61 :: v_dual_add_f32 v60, v0, v60
	v_dual_add_f32 v63, v3, v63 :: v_dual_add_f32 v62, v2, v62
	s_delay_alu instid0(VALU_DEP_2) | instskip(NEXT) | instid1(VALU_DEP_2)
	v_min3_f32 v60, v60, v61, v140
	v_min_f32_e32 v61, v62, v63
	s_delay_alu instid0(VALU_DEP_1)
	v_min3_f32 v62, v141, v61, v60
	v_add_co_u32 v60, vcc_lo, v143, v80
	v_add_co_ci_u32_e32 v61, vcc_lo, v144, v81, vcc_lo
	global_store_b32 v[60:61], v62, off
.LBB76_92:
	s_or_b32 exec_lo, exec_lo, s8
	v_add_nc_u32_e32 v80, 32, v130
	s_delay_alu instid0(VALU_DEP_1) | instskip(SKIP_2) | instid1(VALU_DEP_3)
	v_mad_i64_i32 v[60:61], null, v80, s14, 0
	v_mad_i64_i32 v[62:63], null, v80, s9, 0
	v_cmp_gt_i32_e64 s8, s17, v80
	v_lshlrev_b64 v[60:61], 2, v[60:61]
	s_delay_alu instid0(VALU_DEP_2) | instskip(NEXT) | instid1(VALU_DEP_3)
	s_and_b32 s16, s0, s8
	v_lshlrev_b64 v[62:63], 2, v[62:63]
	s_delay_alu instid0(VALU_DEP_2) | instskip(NEXT) | instid1(VALU_DEP_3)
	v_add_co_u32 v80, vcc_lo, s12, v60
	v_add_co_ci_u32_e32 v81, vcc_lo, s13, v61, vcc_lo
	s_delay_alu instid0(VALU_DEP_3) | instskip(NEXT) | instid1(VALU_DEP_4)
	v_add_co_u32 v62, vcc_lo, s10, v62
	v_add_co_ci_u32_e32 v63, vcc_lo, s11, v63, vcc_lo
	s_and_saveexec_b32 s15, s16
	s_cbranch_execnz .LBB76_100
; %bb.93:
	s_or_b32 exec_lo, exec_lo, s15
	s_and_b32 s16, s1, s8
	s_delay_alu instid0(SALU_CYCLE_1)
	s_and_saveexec_b32 s15, s16
	s_cbranch_execnz .LBB76_104
.LBB76_94:
	s_or_b32 exec_lo, exec_lo, s15
	s_and_b32 s16, s2, s8
	s_delay_alu instid0(SALU_CYCLE_1)
	s_and_saveexec_b32 s15, s16
	s_cbranch_execnz .LBB76_108
.LBB76_95:
	s_or_b32 exec_lo, exec_lo, s15
	s_and_b32 s16, s3, s8
	s_delay_alu instid0(SALU_CYCLE_1)
	s_and_saveexec_b32 s15, s16
	s_cbranch_execnz .LBB76_112
.LBB76_96:
	s_or_b32 exec_lo, exec_lo, s15
	s_and_b32 s16, s4, s8
	s_delay_alu instid0(SALU_CYCLE_1)
	s_and_saveexec_b32 s15, s16
	s_cbranch_execnz .LBB76_116
.LBB76_97:
	s_or_b32 exec_lo, exec_lo, s15
	s_and_b32 s16, s5, s8
	s_delay_alu instid0(SALU_CYCLE_1)
	s_and_saveexec_b32 s15, s16
	s_cbranch_execnz .LBB76_120
.LBB76_98:
	s_or_b32 exec_lo, exec_lo, s15
	s_and_b32 s16, s6, s8
	s_delay_alu instid0(SALU_CYCLE_1)
	s_and_saveexec_b32 s15, s16
	s_cbranch_execnz .LBB76_124
.LBB76_99:
	s_or_b32 exec_lo, exec_lo, s15
	s_and_b32 s15, s7, s8
	s_delay_alu instid0(SALU_CYCLE_1)
	s_and_saveexec_b32 s8, s15
	s_cbranch_execnz .LBB76_128
	s_branch .LBB76_132
.LBB76_100:
	v_cmp_ne_u32_e32 vcc_lo, 1, v121
	v_lshlrev_b64 v[60:61], 2, v[64:65]
	s_cbranch_vccnz .LBB76_102
; %bb.101:
	s_delay_alu instid0(VALU_DEP_1) | instskip(NEXT) | instid1(VALU_DEP_2)
	v_add_co_u32 v140, vcc_lo, v80, v60
	v_add_co_ci_u32_e32 v141, vcc_lo, v81, v61, vcc_lo
	flat_load_b32 v140, v[140:141]
	s_waitcnt vmcnt(0) lgkmcnt(0)
	v_mul_f32_e32 v140, s19, v140
	s_branch .LBB76_103
.LBB76_102:
	v_mov_b32_e32 v140, 0
.LBB76_103:
	v_dual_add_f32 v141, v33, v57 :: v_dual_add_f32 v142, v32, v56
	v_dual_add_f32 v143, v35, v59 :: v_dual_add_f32 v144, v34, v58
	s_delay_alu instid0(VALU_DEP_4) | instskip(NEXT) | instid1(VALU_DEP_3)
	v_add_co_u32 v60, vcc_lo, v62, v60
	v_min3_f32 v139, v142, v141, v139
	v_add_co_ci_u32_e32 v61, vcc_lo, v63, v61, vcc_lo
	s_delay_alu instid0(VALU_DEP_4) | instskip(NEXT) | instid1(VALU_DEP_1)
	v_min_f32_e32 v141, v144, v143
	v_min3_f32 v139, v140, v141, v139
	global_store_b32 v[60:61], v139, off
	s_or_b32 exec_lo, exec_lo, s15
	s_and_b32 s16, s1, s8
	s_delay_alu instid0(SALU_CYCLE_1)
	s_and_saveexec_b32 s15, s16
	s_cbranch_execz .LBB76_94
.LBB76_104:
	v_cmp_ne_u32_e32 vcc_lo, 1, v121
	v_lshlrev_b64 v[60:61], 2, v[66:67]
	s_cbranch_vccnz .LBB76_106
; %bb.105:
	s_delay_alu instid0(VALU_DEP_1) | instskip(NEXT) | instid1(VALU_DEP_2)
	v_add_co_u32 v139, vcc_lo, v80, v60
	v_add_co_ci_u32_e32 v140, vcc_lo, v81, v61, vcc_lo
	flat_load_b32 v139, v[139:140]
	s_waitcnt vmcnt(0) lgkmcnt(0)
	v_mul_f32_e32 v139, s19, v139
	s_branch .LBB76_107
.LBB76_106:
	v_mov_b32_e32 v139, 0
.LBB76_107:
	v_dual_add_f32 v140, v29, v57 :: v_dual_add_f32 v141, v28, v56
	v_dual_add_f32 v142, v31, v59 :: v_dual_add_f32 v143, v30, v58
	s_delay_alu instid0(VALU_DEP_4) | instskip(NEXT) | instid1(VALU_DEP_3)
	v_add_co_u32 v60, vcc_lo, v62, v60
	v_min3_f32 v138, v141, v140, v138
	v_add_co_ci_u32_e32 v61, vcc_lo, v63, v61, vcc_lo
	s_delay_alu instid0(VALU_DEP_4) | instskip(NEXT) | instid1(VALU_DEP_1)
	v_min_f32_e32 v140, v143, v142
	v_min3_f32 v138, v139, v140, v138
	global_store_b32 v[60:61], v138, off
	s_or_b32 exec_lo, exec_lo, s15
	s_and_b32 s16, s2, s8
	s_delay_alu instid0(SALU_CYCLE_1)
	s_and_saveexec_b32 s15, s16
	s_cbranch_execz .LBB76_95
.LBB76_108:
	v_cmp_ne_u32_e32 vcc_lo, 1, v121
	v_lshlrev_b64 v[60:61], 2, v[68:69]
	s_cbranch_vccnz .LBB76_110
; %bb.109:
	s_delay_alu instid0(VALU_DEP_1) | instskip(NEXT) | instid1(VALU_DEP_2)
	v_add_co_u32 v138, vcc_lo, v80, v60
	v_add_co_ci_u32_e32 v139, vcc_lo, v81, v61, vcc_lo
	flat_load_b32 v138, v[138:139]
	s_waitcnt vmcnt(0) lgkmcnt(0)
	v_mul_f32_e32 v138, s19, v138
	s_branch .LBB76_111
.LBB76_110:
	v_mov_b32_e32 v138, 0
.LBB76_111:
	v_dual_add_f32 v139, v25, v57 :: v_dual_add_f32 v140, v24, v56
	v_dual_add_f32 v141, v27, v59 :: v_dual_add_f32 v142, v26, v58
	s_delay_alu instid0(VALU_DEP_4) | instskip(NEXT) | instid1(VALU_DEP_3)
	v_add_co_u32 v60, vcc_lo, v62, v60
	v_min3_f32 v137, v140, v139, v137
	v_add_co_ci_u32_e32 v61, vcc_lo, v63, v61, vcc_lo
	s_delay_alu instid0(VALU_DEP_4) | instskip(NEXT) | instid1(VALU_DEP_1)
	v_min_f32_e32 v139, v142, v141
	v_min3_f32 v137, v138, v139, v137
	global_store_b32 v[60:61], v137, off
	s_or_b32 exec_lo, exec_lo, s15
	s_and_b32 s16, s3, s8
	s_delay_alu instid0(SALU_CYCLE_1)
	s_and_saveexec_b32 s15, s16
	s_cbranch_execz .LBB76_96
.LBB76_112:
	v_cmp_ne_u32_e32 vcc_lo, 1, v121
	v_lshlrev_b64 v[60:61], 2, v[70:71]
	s_cbranch_vccnz .LBB76_114
; %bb.113:
	s_delay_alu instid0(VALU_DEP_1) | instskip(NEXT) | instid1(VALU_DEP_2)
	v_add_co_u32 v137, vcc_lo, v80, v60
	v_add_co_ci_u32_e32 v138, vcc_lo, v81, v61, vcc_lo
	flat_load_b32 v137, v[137:138]
	s_waitcnt vmcnt(0) lgkmcnt(0)
	v_mul_f32_e32 v137, s19, v137
	s_branch .LBB76_115
.LBB76_114:
	v_mov_b32_e32 v137, 0
.LBB76_115:
	v_dual_add_f32 v138, v21, v57 :: v_dual_add_f32 v139, v20, v56
	v_dual_add_f32 v140, v23, v59 :: v_dual_add_f32 v141, v22, v58
	s_delay_alu instid0(VALU_DEP_4) | instskip(NEXT) | instid1(VALU_DEP_3)
	v_add_co_u32 v60, vcc_lo, v62, v60
	v_min3_f32 v136, v139, v138, v136
	v_add_co_ci_u32_e32 v61, vcc_lo, v63, v61, vcc_lo
	s_delay_alu instid0(VALU_DEP_4) | instskip(NEXT) | instid1(VALU_DEP_1)
	v_min_f32_e32 v138, v141, v140
	v_min3_f32 v136, v137, v138, v136
	global_store_b32 v[60:61], v136, off
	s_or_b32 exec_lo, exec_lo, s15
	s_and_b32 s16, s4, s8
	s_delay_alu instid0(SALU_CYCLE_1)
	s_and_saveexec_b32 s15, s16
	s_cbranch_execz .LBB76_97
.LBB76_116:
	v_cmp_ne_u32_e32 vcc_lo, 1, v121
	v_lshlrev_b64 v[60:61], 2, v[72:73]
	s_cbranch_vccnz .LBB76_118
; %bb.117:
	s_delay_alu instid0(VALU_DEP_1) | instskip(NEXT) | instid1(VALU_DEP_2)
	v_add_co_u32 v136, vcc_lo, v80, v60
	v_add_co_ci_u32_e32 v137, vcc_lo, v81, v61, vcc_lo
	flat_load_b32 v136, v[136:137]
	s_waitcnt vmcnt(0) lgkmcnt(0)
	v_mul_f32_e32 v136, s19, v136
	s_branch .LBB76_119
.LBB76_118:
	v_mov_b32_e32 v136, 0
.LBB76_119:
	v_dual_add_f32 v137, v17, v57 :: v_dual_add_f32 v138, v16, v56
	v_dual_add_f32 v139, v19, v59 :: v_dual_add_f32 v140, v18, v58
	s_delay_alu instid0(VALU_DEP_4) | instskip(NEXT) | instid1(VALU_DEP_3)
	v_add_co_u32 v60, vcc_lo, v62, v60
	v_min3_f32 v135, v138, v137, v135
	v_add_co_ci_u32_e32 v61, vcc_lo, v63, v61, vcc_lo
	s_delay_alu instid0(VALU_DEP_4) | instskip(NEXT) | instid1(VALU_DEP_1)
	v_min_f32_e32 v137, v140, v139
	v_min3_f32 v135, v136, v137, v135
	global_store_b32 v[60:61], v135, off
	s_or_b32 exec_lo, exec_lo, s15
	s_and_b32 s16, s5, s8
	s_delay_alu instid0(SALU_CYCLE_1)
	s_and_saveexec_b32 s15, s16
	s_cbranch_execz .LBB76_98
.LBB76_120:
	v_cmp_ne_u32_e32 vcc_lo, 1, v121
	v_lshlrev_b64 v[60:61], 2, v[74:75]
	s_cbranch_vccnz .LBB76_122
; %bb.121:
	s_delay_alu instid0(VALU_DEP_1) | instskip(NEXT) | instid1(VALU_DEP_2)
	v_add_co_u32 v135, vcc_lo, v80, v60
	v_add_co_ci_u32_e32 v136, vcc_lo, v81, v61, vcc_lo
	flat_load_b32 v135, v[135:136]
	s_waitcnt vmcnt(0) lgkmcnt(0)
	v_mul_f32_e32 v135, s19, v135
	s_branch .LBB76_123
.LBB76_122:
	v_mov_b32_e32 v135, 0
.LBB76_123:
	v_dual_add_f32 v136, v13, v57 :: v_dual_add_f32 v137, v12, v56
	v_dual_add_f32 v138, v15, v59 :: v_dual_add_f32 v139, v14, v58
	s_delay_alu instid0(VALU_DEP_4) | instskip(NEXT) | instid1(VALU_DEP_3)
	v_add_co_u32 v60, vcc_lo, v62, v60
	v_min3_f32 v134, v137, v136, v134
	v_add_co_ci_u32_e32 v61, vcc_lo, v63, v61, vcc_lo
	s_delay_alu instid0(VALU_DEP_4) | instskip(NEXT) | instid1(VALU_DEP_1)
	v_min_f32_e32 v136, v139, v138
	v_min3_f32 v134, v135, v136, v134
	global_store_b32 v[60:61], v134, off
	s_or_b32 exec_lo, exec_lo, s15
	s_and_b32 s16, s6, s8
	s_delay_alu instid0(SALU_CYCLE_1)
	s_and_saveexec_b32 s15, s16
	s_cbranch_execz .LBB76_99
.LBB76_124:
	v_cmp_ne_u32_e32 vcc_lo, 1, v121
	v_lshlrev_b64 v[60:61], 2, v[76:77]
	s_cbranch_vccnz .LBB76_126
; %bb.125:
	s_delay_alu instid0(VALU_DEP_1) | instskip(NEXT) | instid1(VALU_DEP_2)
	v_add_co_u32 v134, vcc_lo, v80, v60
	v_add_co_ci_u32_e32 v135, vcc_lo, v81, v61, vcc_lo
	flat_load_b32 v134, v[134:135]
	s_waitcnt vmcnt(0) lgkmcnt(0)
	v_mul_f32_e32 v134, s19, v134
	s_branch .LBB76_127
.LBB76_126:
	v_mov_b32_e32 v134, 0
.LBB76_127:
	v_dual_add_f32 v135, v9, v57 :: v_dual_add_f32 v136, v8, v56
	v_dual_add_f32 v137, v11, v59 :: v_dual_add_f32 v138, v10, v58
	s_delay_alu instid0(VALU_DEP_4) | instskip(NEXT) | instid1(VALU_DEP_3)
	v_add_co_u32 v60, vcc_lo, v62, v60
	v_min3_f32 v133, v136, v135, v133
	v_add_co_ci_u32_e32 v61, vcc_lo, v63, v61, vcc_lo
	s_delay_alu instid0(VALU_DEP_4) | instskip(NEXT) | instid1(VALU_DEP_1)
	v_min_f32_e32 v135, v138, v137
	v_min3_f32 v133, v134, v135, v133
	global_store_b32 v[60:61], v133, off
	s_or_b32 exec_lo, exec_lo, s15
	s_and_b32 s15, s7, s8
	s_delay_alu instid0(SALU_CYCLE_1)
	s_and_saveexec_b32 s8, s15
	s_cbranch_execz .LBB76_132
.LBB76_128:
	v_cmp_ne_u32_e32 vcc_lo, 1, v121
	v_lshlrev_b64 v[60:61], 2, v[78:79]
	s_cbranch_vccnz .LBB76_130
; %bb.129:
	s_delay_alu instid0(VALU_DEP_1) | instskip(NEXT) | instid1(VALU_DEP_2)
	v_add_co_u32 v80, vcc_lo, v80, v60
	v_add_co_ci_u32_e32 v81, vcc_lo, v81, v61, vcc_lo
	flat_load_b32 v80, v[80:81]
	s_waitcnt vmcnt(0) lgkmcnt(0)
	v_mul_f32_e32 v80, s19, v80
	s_branch .LBB76_131
.LBB76_130:
	v_mov_b32_e32 v80, 0
.LBB76_131:
	v_dual_add_f32 v57, v1, v57 :: v_dual_add_f32 v56, v0, v56
	v_dual_add_f32 v59, v3, v59 :: v_dual_add_f32 v58, v2, v58
	s_delay_alu instid0(VALU_DEP_2) | instskip(NEXT) | instid1(VALU_DEP_2)
	v_min3_f32 v56, v56, v57, v132
	v_min_f32_e32 v57, v58, v59
	s_delay_alu instid0(VALU_DEP_1)
	v_min3_f32 v58, v80, v57, v56
	v_add_co_u32 v56, vcc_lo, v62, v60
	v_add_co_ci_u32_e32 v57, vcc_lo, v63, v61, vcc_lo
	global_store_b32 v[56:57], v58, off
.LBB76_132:
	s_or_b32 exec_lo, exec_lo, s8
	v_add_nc_u32_e32 v60, 64, v130
	s_delay_alu instid0(VALU_DEP_1) | instskip(SKIP_2) | instid1(VALU_DEP_3)
	v_mad_i64_i32 v[56:57], null, v60, s14, 0
	v_mad_i64_i32 v[58:59], null, v60, s9, 0
	v_cmp_gt_i32_e64 s8, s17, v60
	v_lshlrev_b64 v[56:57], 2, v[56:57]
	s_delay_alu instid0(VALU_DEP_2) | instskip(NEXT) | instid1(VALU_DEP_3)
	s_and_b32 s16, s0, s8
	v_lshlrev_b64 v[58:59], 2, v[58:59]
	s_delay_alu instid0(VALU_DEP_2) | instskip(NEXT) | instid1(VALU_DEP_3)
	v_add_co_u32 v60, vcc_lo, s12, v56
	v_add_co_ci_u32_e32 v61, vcc_lo, s13, v57, vcc_lo
	s_delay_alu instid0(VALU_DEP_3) | instskip(NEXT) | instid1(VALU_DEP_4)
	v_add_co_u32 v58, vcc_lo, s10, v58
	v_add_co_ci_u32_e32 v59, vcc_lo, s11, v59, vcc_lo
	s_and_saveexec_b32 s15, s16
	s_cbranch_execnz .LBB76_140
; %bb.133:
	s_or_b32 exec_lo, exec_lo, s15
	s_and_b32 s16, s1, s8
	s_delay_alu instid0(SALU_CYCLE_1)
	s_and_saveexec_b32 s15, s16
	s_cbranch_execnz .LBB76_144
.LBB76_134:
	s_or_b32 exec_lo, exec_lo, s15
	s_and_b32 s16, s2, s8
	s_delay_alu instid0(SALU_CYCLE_1)
	s_and_saveexec_b32 s15, s16
	s_cbranch_execnz .LBB76_148
.LBB76_135:
	s_or_b32 exec_lo, exec_lo, s15
	s_and_b32 s16, s3, s8
	s_delay_alu instid0(SALU_CYCLE_1)
	s_and_saveexec_b32 s15, s16
	s_cbranch_execnz .LBB76_152
.LBB76_136:
	s_or_b32 exec_lo, exec_lo, s15
	s_and_b32 s16, s4, s8
	s_delay_alu instid0(SALU_CYCLE_1)
	s_and_saveexec_b32 s15, s16
	s_cbranch_execnz .LBB76_156
.LBB76_137:
	s_or_b32 exec_lo, exec_lo, s15
	s_and_b32 s16, s5, s8
	s_delay_alu instid0(SALU_CYCLE_1)
	s_and_saveexec_b32 s15, s16
	s_cbranch_execnz .LBB76_160
.LBB76_138:
	s_or_b32 exec_lo, exec_lo, s15
	s_and_b32 s16, s6, s8
	s_delay_alu instid0(SALU_CYCLE_1)
	s_and_saveexec_b32 s15, s16
	s_cbranch_execnz .LBB76_164
.LBB76_139:
	s_or_b32 exec_lo, exec_lo, s15
	s_and_b32 s15, s7, s8
	s_delay_alu instid0(SALU_CYCLE_1)
	s_and_saveexec_b32 s8, s15
	s_cbranch_execnz .LBB76_168
	s_branch .LBB76_172
.LBB76_140:
	v_cmp_ne_u32_e32 vcc_lo, 1, v121
	v_lshlrev_b64 v[56:57], 2, v[64:65]
	s_cbranch_vccnz .LBB76_142
; %bb.141:
	s_delay_alu instid0(VALU_DEP_1) | instskip(NEXT) | instid1(VALU_DEP_2)
	v_add_co_u32 v62, vcc_lo, v60, v56
	v_add_co_ci_u32_e32 v63, vcc_lo, v61, v57, vcc_lo
	flat_load_b32 v62, v[62:63]
	s_waitcnt vmcnt(0) lgkmcnt(0)
	v_mul_f32_e32 v62, s19, v62
	s_branch .LBB76_143
.LBB76_142:
	v_mov_b32_e32 v62, 0
.LBB76_143:
	v_dual_add_f32 v63, v33, v53 :: v_dual_add_f32 v80, v32, v52
	v_dual_add_f32 v81, v35, v55 :: v_dual_add_f32 v132, v34, v54
	s_delay_alu instid0(VALU_DEP_4) | instskip(NEXT) | instid1(VALU_DEP_3)
	v_add_co_u32 v56, vcc_lo, v58, v56
	v_min3_f32 v63, v80, v63, v131
	v_add_co_ci_u32_e32 v57, vcc_lo, v59, v57, vcc_lo
	s_delay_alu instid0(VALU_DEP_4) | instskip(NEXT) | instid1(VALU_DEP_1)
	v_min_f32_e32 v80, v132, v81
	v_min3_f32 v62, v62, v80, v63
	global_store_b32 v[56:57], v62, off
	s_or_b32 exec_lo, exec_lo, s15
	s_and_b32 s16, s1, s8
	s_delay_alu instid0(SALU_CYCLE_1)
	s_and_saveexec_b32 s15, s16
	s_cbranch_execz .LBB76_134
.LBB76_144:
	v_cmp_ne_u32_e32 vcc_lo, 1, v121
	v_lshlrev_b64 v[56:57], 2, v[66:67]
	s_cbranch_vccnz .LBB76_146
; %bb.145:
	s_delay_alu instid0(VALU_DEP_1) | instskip(NEXT) | instid1(VALU_DEP_2)
	v_add_co_u32 v62, vcc_lo, v60, v56
	v_add_co_ci_u32_e32 v63, vcc_lo, v61, v57, vcc_lo
	flat_load_b32 v62, v[62:63]
	s_waitcnt vmcnt(0) lgkmcnt(0)
	v_mul_f32_e32 v62, s19, v62
	s_branch .LBB76_147
.LBB76_146:
	v_mov_b32_e32 v62, 0
.LBB76_147:
	v_dual_add_f32 v63, v29, v53 :: v_dual_add_f32 v80, v28, v52
	v_add_f32_e32 v81, v31, v55
	v_add_f32_e32 v131, v30, v54
	v_add_co_u32 v56, vcc_lo, v58, v56
	s_delay_alu instid0(VALU_DEP_4) | instskip(SKIP_1) | instid1(VALU_DEP_4)
	v_min3_f32 v63, v80, v63, v129
	v_add_co_ci_u32_e32 v57, vcc_lo, v59, v57, vcc_lo
	v_min_f32_e32 v80, v131, v81
	s_delay_alu instid0(VALU_DEP_1) | instskip(SKIP_3) | instid1(SALU_CYCLE_1)
	v_min3_f32 v62, v62, v80, v63
	global_store_b32 v[56:57], v62, off
	s_or_b32 exec_lo, exec_lo, s15
	s_and_b32 s16, s2, s8
	s_and_saveexec_b32 s15, s16
	s_cbranch_execz .LBB76_135
.LBB76_148:
	v_cmp_ne_u32_e32 vcc_lo, 1, v121
	v_lshlrev_b64 v[56:57], 2, v[68:69]
	s_cbranch_vccnz .LBB76_150
; %bb.149:
	s_delay_alu instid0(VALU_DEP_1) | instskip(NEXT) | instid1(VALU_DEP_2)
	v_add_co_u32 v62, vcc_lo, v60, v56
	v_add_co_ci_u32_e32 v63, vcc_lo, v61, v57, vcc_lo
	flat_load_b32 v62, v[62:63]
	s_waitcnt vmcnt(0) lgkmcnt(0)
	v_mul_f32_e32 v62, s19, v62
	s_branch .LBB76_151
.LBB76_150:
	v_mov_b32_e32 v62, 0
.LBB76_151:
	v_dual_add_f32 v63, v25, v53 :: v_dual_add_f32 v80, v24, v52
	v_add_f32_e32 v81, v27, v55
	v_add_f32_e32 v129, v26, v54
	v_add_co_u32 v56, vcc_lo, v58, v56
	s_delay_alu instid0(VALU_DEP_4) | instskip(SKIP_1) | instid1(VALU_DEP_4)
	v_min3_f32 v63, v80, v63, v128
	v_add_co_ci_u32_e32 v57, vcc_lo, v59, v57, vcc_lo
	v_min_f32_e32 v80, v129, v81
	s_delay_alu instid0(VALU_DEP_1) | instskip(SKIP_3) | instid1(SALU_CYCLE_1)
	v_min3_f32 v62, v62, v80, v63
	global_store_b32 v[56:57], v62, off
	s_or_b32 exec_lo, exec_lo, s15
	s_and_b32 s16, s3, s8
	s_and_saveexec_b32 s15, s16
	s_cbranch_execz .LBB76_136
.LBB76_152:
	v_cmp_ne_u32_e32 vcc_lo, 1, v121
	v_lshlrev_b64 v[56:57], 2, v[70:71]
	s_cbranch_vccnz .LBB76_154
; %bb.153:
	s_delay_alu instid0(VALU_DEP_1) | instskip(NEXT) | instid1(VALU_DEP_2)
	v_add_co_u32 v62, vcc_lo, v60, v56
	v_add_co_ci_u32_e32 v63, vcc_lo, v61, v57, vcc_lo
	flat_load_b32 v62, v[62:63]
	s_waitcnt vmcnt(0) lgkmcnt(0)
	v_mul_f32_e32 v62, s19, v62
	s_branch .LBB76_155
.LBB76_154:
	v_mov_b32_e32 v62, 0
.LBB76_155:
	v_dual_add_f32 v63, v21, v53 :: v_dual_add_f32 v80, v20, v52
	v_dual_add_f32 v81, v23, v55 :: v_dual_add_f32 v128, v22, v54
	s_delay_alu instid0(VALU_DEP_4) | instskip(NEXT) | instid1(VALU_DEP_3)
	v_add_co_u32 v56, vcc_lo, v58, v56
	v_min3_f32 v63, v80, v63, v127
	v_add_co_ci_u32_e32 v57, vcc_lo, v59, v57, vcc_lo
	s_delay_alu instid0(VALU_DEP_4) | instskip(NEXT) | instid1(VALU_DEP_1)
	v_min_f32_e32 v80, v128, v81
	v_min3_f32 v62, v62, v80, v63
	global_store_b32 v[56:57], v62, off
	s_or_b32 exec_lo, exec_lo, s15
	s_and_b32 s16, s4, s8
	s_delay_alu instid0(SALU_CYCLE_1)
	s_and_saveexec_b32 s15, s16
	s_cbranch_execz .LBB76_137
.LBB76_156:
	v_cmp_ne_u32_e32 vcc_lo, 1, v121
	v_lshlrev_b64 v[56:57], 2, v[72:73]
	s_cbranch_vccnz .LBB76_158
; %bb.157:
	s_delay_alu instid0(VALU_DEP_1) | instskip(NEXT) | instid1(VALU_DEP_2)
	v_add_co_u32 v62, vcc_lo, v60, v56
	v_add_co_ci_u32_e32 v63, vcc_lo, v61, v57, vcc_lo
	flat_load_b32 v62, v[62:63]
	s_waitcnt vmcnt(0) lgkmcnt(0)
	v_mul_f32_e32 v62, s19, v62
	s_branch .LBB76_159
.LBB76_158:
	v_mov_b32_e32 v62, 0
.LBB76_159:
	v_dual_add_f32 v63, v17, v53 :: v_dual_add_f32 v80, v16, v52
	v_add_f32_e32 v81, v19, v55
	v_add_f32_e32 v127, v18, v54
	v_add_co_u32 v56, vcc_lo, v58, v56
	s_delay_alu instid0(VALU_DEP_4) | instskip(SKIP_1) | instid1(VALU_DEP_4)
	v_min3_f32 v63, v80, v63, v126
	v_add_co_ci_u32_e32 v57, vcc_lo, v59, v57, vcc_lo
	v_min_f32_e32 v80, v127, v81
	s_delay_alu instid0(VALU_DEP_1) | instskip(SKIP_3) | instid1(SALU_CYCLE_1)
	v_min3_f32 v62, v62, v80, v63
	global_store_b32 v[56:57], v62, off
	s_or_b32 exec_lo, exec_lo, s15
	s_and_b32 s16, s5, s8
	s_and_saveexec_b32 s15, s16
	s_cbranch_execz .LBB76_138
.LBB76_160:
	v_cmp_ne_u32_e32 vcc_lo, 1, v121
	v_lshlrev_b64 v[56:57], 2, v[74:75]
	s_cbranch_vccnz .LBB76_162
; %bb.161:
	s_delay_alu instid0(VALU_DEP_1) | instskip(NEXT) | instid1(VALU_DEP_2)
	v_add_co_u32 v62, vcc_lo, v60, v56
	v_add_co_ci_u32_e32 v63, vcc_lo, v61, v57, vcc_lo
	flat_load_b32 v62, v[62:63]
	s_waitcnt vmcnt(0) lgkmcnt(0)
	v_mul_f32_e32 v62, s19, v62
	s_branch .LBB76_163
.LBB76_162:
	v_mov_b32_e32 v62, 0
.LBB76_163:
	v_dual_add_f32 v63, v13, v53 :: v_dual_add_f32 v80, v12, v52
	v_dual_add_f32 v81, v15, v55 :: v_dual_add_f32 v126, v14, v54
	s_delay_alu instid0(VALU_DEP_4) | instskip(NEXT) | instid1(VALU_DEP_3)
	v_add_co_u32 v56, vcc_lo, v58, v56
	v_min3_f32 v63, v80, v63, v125
	v_add_co_ci_u32_e32 v57, vcc_lo, v59, v57, vcc_lo
	s_delay_alu instid0(VALU_DEP_4) | instskip(NEXT) | instid1(VALU_DEP_1)
	v_min_f32_e32 v80, v126, v81
	v_min3_f32 v62, v62, v80, v63
	global_store_b32 v[56:57], v62, off
	s_or_b32 exec_lo, exec_lo, s15
	s_and_b32 s16, s6, s8
	s_delay_alu instid0(SALU_CYCLE_1)
	s_and_saveexec_b32 s15, s16
	s_cbranch_execz .LBB76_139
.LBB76_164:
	v_cmp_ne_u32_e32 vcc_lo, 1, v121
	v_lshlrev_b64 v[56:57], 2, v[76:77]
	s_cbranch_vccnz .LBB76_166
; %bb.165:
	s_delay_alu instid0(VALU_DEP_1) | instskip(NEXT) | instid1(VALU_DEP_2)
	v_add_co_u32 v62, vcc_lo, v60, v56
	v_add_co_ci_u32_e32 v63, vcc_lo, v61, v57, vcc_lo
	flat_load_b32 v62, v[62:63]
	s_waitcnt vmcnt(0) lgkmcnt(0)
	v_mul_f32_e32 v62, s19, v62
	s_branch .LBB76_167
.LBB76_166:
	v_mov_b32_e32 v62, 0
.LBB76_167:
	v_dual_add_f32 v63, v9, v53 :: v_dual_add_f32 v80, v8, v52
	v_add_f32_e32 v81, v11, v55
	v_add_f32_e32 v125, v10, v54
	v_add_co_u32 v56, vcc_lo, v58, v56
	s_delay_alu instid0(VALU_DEP_4) | instskip(SKIP_1) | instid1(VALU_DEP_4)
	v_min3_f32 v63, v80, v63, v124
	v_add_co_ci_u32_e32 v57, vcc_lo, v59, v57, vcc_lo
	v_min_f32_e32 v80, v125, v81
	s_delay_alu instid0(VALU_DEP_1) | instskip(SKIP_3) | instid1(SALU_CYCLE_1)
	v_min3_f32 v62, v62, v80, v63
	global_store_b32 v[56:57], v62, off
	s_or_b32 exec_lo, exec_lo, s15
	s_and_b32 s15, s7, s8
	s_and_saveexec_b32 s8, s15
	s_cbranch_execz .LBB76_172
.LBB76_168:
	v_cmp_ne_u32_e32 vcc_lo, 1, v121
	v_lshlrev_b64 v[56:57], 2, v[78:79]
	s_cbranch_vccnz .LBB76_170
; %bb.169:
	s_delay_alu instid0(VALU_DEP_1) | instskip(NEXT) | instid1(VALU_DEP_2)
	v_add_co_u32 v60, vcc_lo, v60, v56
	v_add_co_ci_u32_e32 v61, vcc_lo, v61, v57, vcc_lo
	flat_load_b32 v60, v[60:61]
	s_waitcnt vmcnt(0) lgkmcnt(0)
	v_mul_f32_e32 v60, s19, v60
	s_branch .LBB76_171
.LBB76_170:
	v_mov_b32_e32 v60, 0
.LBB76_171:
	v_dual_add_f32 v53, v1, v53 :: v_dual_add_f32 v52, v0, v52
	v_dual_add_f32 v55, v3, v55 :: v_dual_add_f32 v54, v2, v54
	s_delay_alu instid0(VALU_DEP_2) | instskip(NEXT) | instid1(VALU_DEP_2)
	v_min3_f32 v52, v52, v53, v122
	v_min_f32_e32 v53, v54, v55
	s_delay_alu instid0(VALU_DEP_1)
	v_min3_f32 v54, v60, v53, v52
	v_add_co_u32 v52, vcc_lo, v58, v56
	v_add_co_ci_u32_e32 v53, vcc_lo, v59, v57, vcc_lo
	global_store_b32 v[52:53], v54, off
.LBB76_172:
	s_or_b32 exec_lo, exec_lo, s8
	v_add_nc_u32_e32 v56, 0x60, v130
	s_delay_alu instid0(VALU_DEP_1) | instskip(SKIP_2) | instid1(VALU_DEP_3)
	v_mad_i64_i32 v[52:53], null, v56, s14, 0
	v_mad_i64_i32 v[54:55], null, v56, s9, 0
	v_cmp_gt_i32_e64 s8, s17, v56
	v_lshlrev_b64 v[52:53], 2, v[52:53]
	s_delay_alu instid0(VALU_DEP_2) | instskip(NEXT) | instid1(VALU_DEP_3)
	s_and_b32 s16, s0, s8
	v_lshlrev_b64 v[54:55], 2, v[54:55]
	s_delay_alu instid0(VALU_DEP_2) | instskip(NEXT) | instid1(VALU_DEP_3)
	v_add_co_u32 v56, vcc_lo, s12, v52
	v_add_co_ci_u32_e32 v57, vcc_lo, s13, v53, vcc_lo
	s_delay_alu instid0(VALU_DEP_3) | instskip(NEXT) | instid1(VALU_DEP_4)
	v_add_co_u32 v54, vcc_lo, s10, v54
	v_add_co_ci_u32_e32 v55, vcc_lo, s11, v55, vcc_lo
	s_and_saveexec_b32 s15, s16
	s_cbranch_execnz .LBB76_180
; %bb.173:
	s_or_b32 exec_lo, exec_lo, s15
	s_and_b32 s16, s1, s8
	s_delay_alu instid0(SALU_CYCLE_1)
	s_and_saveexec_b32 s15, s16
	s_cbranch_execnz .LBB76_184
.LBB76_174:
	s_or_b32 exec_lo, exec_lo, s15
	s_and_b32 s16, s2, s8
	s_delay_alu instid0(SALU_CYCLE_1)
	s_and_saveexec_b32 s15, s16
	s_cbranch_execnz .LBB76_188
.LBB76_175:
	s_or_b32 exec_lo, exec_lo, s15
	s_and_b32 s16, s3, s8
	s_delay_alu instid0(SALU_CYCLE_1)
	s_and_saveexec_b32 s15, s16
	s_cbranch_execnz .LBB76_192
.LBB76_176:
	s_or_b32 exec_lo, exec_lo, s15
	s_and_b32 s16, s4, s8
	s_delay_alu instid0(SALU_CYCLE_1)
	s_and_saveexec_b32 s15, s16
	s_cbranch_execnz .LBB76_196
.LBB76_177:
	s_or_b32 exec_lo, exec_lo, s15
	s_and_b32 s16, s5, s8
	s_delay_alu instid0(SALU_CYCLE_1)
	s_and_saveexec_b32 s15, s16
	s_cbranch_execnz .LBB76_200
.LBB76_178:
	s_or_b32 exec_lo, exec_lo, s15
	s_and_b32 s16, s6, s8
	s_delay_alu instid0(SALU_CYCLE_1)
	s_and_saveexec_b32 s15, s16
	s_cbranch_execnz .LBB76_204
.LBB76_179:
	s_or_b32 exec_lo, exec_lo, s15
	s_and_b32 s15, s7, s8
	s_delay_alu instid0(SALU_CYCLE_1)
	s_and_saveexec_b32 s8, s15
	s_cbranch_execnz .LBB76_208
	s_branch .LBB76_212
.LBB76_180:
	v_cmp_ne_u32_e32 vcc_lo, 1, v121
	v_lshlrev_b64 v[52:53], 2, v[64:65]
	s_cbranch_vccnz .LBB76_182
; %bb.181:
	s_delay_alu instid0(VALU_DEP_1) | instskip(NEXT) | instid1(VALU_DEP_2)
	v_add_co_u32 v58, vcc_lo, v56, v52
	v_add_co_ci_u32_e32 v59, vcc_lo, v57, v53, vcc_lo
	flat_load_b32 v58, v[58:59]
	s_waitcnt vmcnt(0) lgkmcnt(0)
	v_mul_f32_e32 v58, s19, v58
	s_branch .LBB76_183
.LBB76_182:
	v_mov_b32_e32 v58, 0
.LBB76_183:
	v_dual_add_f32 v59, v33, v49 :: v_dual_add_f32 v60, v32, v48
	v_dual_add_f32 v61, v35, v51 :: v_dual_add_f32 v62, v34, v50
	s_delay_alu instid0(VALU_DEP_4) | instskip(NEXT) | instid1(VALU_DEP_3)
	v_add_co_u32 v52, vcc_lo, v54, v52
	v_min3_f32 v59, v60, v59, v123
	v_add_co_ci_u32_e32 v53, vcc_lo, v55, v53, vcc_lo
	s_delay_alu instid0(VALU_DEP_4) | instskip(NEXT) | instid1(VALU_DEP_1)
	v_min_f32_e32 v60, v62, v61
	v_min3_f32 v58, v58, v60, v59
	global_store_b32 v[52:53], v58, off
	s_or_b32 exec_lo, exec_lo, s15
	s_and_b32 s16, s1, s8
	s_delay_alu instid0(SALU_CYCLE_1)
	s_and_saveexec_b32 s15, s16
	s_cbranch_execz .LBB76_174
.LBB76_184:
	v_cmp_ne_u32_e32 vcc_lo, 1, v121
	v_lshlrev_b64 v[52:53], 2, v[66:67]
	s_cbranch_vccnz .LBB76_186
; %bb.185:
	s_delay_alu instid0(VALU_DEP_1) | instskip(NEXT) | instid1(VALU_DEP_2)
	v_add_co_u32 v58, vcc_lo, v56, v52
	v_add_co_ci_u32_e32 v59, vcc_lo, v57, v53, vcc_lo
	flat_load_b32 v58, v[58:59]
	s_waitcnt vmcnt(0) lgkmcnt(0)
	v_mul_f32_e32 v58, s19, v58
	s_branch .LBB76_187
.LBB76_186:
	v_mov_b32_e32 v58, 0
.LBB76_187:
	v_dual_add_f32 v59, v29, v49 :: v_dual_add_f32 v60, v28, v48
	v_dual_add_f32 v61, v31, v51 :: v_dual_add_f32 v62, v30, v50
	s_delay_alu instid0(VALU_DEP_4) | instskip(NEXT) | instid1(VALU_DEP_3)
	v_add_co_u32 v52, vcc_lo, v54, v52
	v_min3_f32 v59, v60, v59, v120
	v_add_co_ci_u32_e32 v53, vcc_lo, v55, v53, vcc_lo
	s_delay_alu instid0(VALU_DEP_4) | instskip(NEXT) | instid1(VALU_DEP_1)
	v_min_f32_e32 v60, v62, v61
	v_min3_f32 v58, v58, v60, v59
	global_store_b32 v[52:53], v58, off
	s_or_b32 exec_lo, exec_lo, s15
	s_and_b32 s16, s2, s8
	s_delay_alu instid0(SALU_CYCLE_1)
	s_and_saveexec_b32 s15, s16
	s_cbranch_execz .LBB76_175
.LBB76_188:
	v_cmp_ne_u32_e32 vcc_lo, 1, v121
	v_lshlrev_b64 v[52:53], 2, v[68:69]
	s_cbranch_vccnz .LBB76_190
; %bb.189:
	s_delay_alu instid0(VALU_DEP_1) | instskip(NEXT) | instid1(VALU_DEP_2)
	v_add_co_u32 v58, vcc_lo, v56, v52
	v_add_co_ci_u32_e32 v59, vcc_lo, v57, v53, vcc_lo
	flat_load_b32 v58, v[58:59]
	s_waitcnt vmcnt(0) lgkmcnt(0)
	v_mul_f32_e32 v58, s19, v58
	s_branch .LBB76_191
.LBB76_190:
	v_mov_b32_e32 v58, 0
.LBB76_191:
	v_dual_add_f32 v59, v25, v49 :: v_dual_add_f32 v60, v24, v48
	v_dual_add_f32 v61, v27, v51 :: v_dual_add_f32 v62, v26, v50
	s_delay_alu instid0(VALU_DEP_4) | instskip(NEXT) | instid1(VALU_DEP_3)
	v_add_co_u32 v52, vcc_lo, v54, v52
	v_min3_f32 v59, v60, v59, v119
	v_add_co_ci_u32_e32 v53, vcc_lo, v55, v53, vcc_lo
	s_delay_alu instid0(VALU_DEP_4) | instskip(NEXT) | instid1(VALU_DEP_1)
	v_min_f32_e32 v60, v62, v61
	v_min3_f32 v58, v58, v60, v59
	global_store_b32 v[52:53], v58, off
	s_or_b32 exec_lo, exec_lo, s15
	s_and_b32 s16, s3, s8
	s_delay_alu instid0(SALU_CYCLE_1)
	s_and_saveexec_b32 s15, s16
	s_cbranch_execz .LBB76_176
.LBB76_192:
	v_cmp_ne_u32_e32 vcc_lo, 1, v121
	v_lshlrev_b64 v[52:53], 2, v[70:71]
	s_cbranch_vccnz .LBB76_194
; %bb.193:
	s_delay_alu instid0(VALU_DEP_1) | instskip(NEXT) | instid1(VALU_DEP_2)
	v_add_co_u32 v58, vcc_lo, v56, v52
	v_add_co_ci_u32_e32 v59, vcc_lo, v57, v53, vcc_lo
	flat_load_b32 v58, v[58:59]
	s_waitcnt vmcnt(0) lgkmcnt(0)
	v_mul_f32_e32 v58, s19, v58
	s_branch .LBB76_195
.LBB76_194:
	v_mov_b32_e32 v58, 0
.LBB76_195:
	v_dual_add_f32 v59, v21, v49 :: v_dual_add_f32 v60, v20, v48
	v_dual_add_f32 v61, v23, v51 :: v_dual_add_f32 v62, v22, v50
	s_delay_alu instid0(VALU_DEP_4) | instskip(NEXT) | instid1(VALU_DEP_3)
	v_add_co_u32 v52, vcc_lo, v54, v52
	v_min3_f32 v59, v60, v59, v118
	v_add_co_ci_u32_e32 v53, vcc_lo, v55, v53, vcc_lo
	s_delay_alu instid0(VALU_DEP_4) | instskip(NEXT) | instid1(VALU_DEP_1)
	v_min_f32_e32 v60, v62, v61
	v_min3_f32 v58, v58, v60, v59
	global_store_b32 v[52:53], v58, off
	s_or_b32 exec_lo, exec_lo, s15
	s_and_b32 s16, s4, s8
	s_delay_alu instid0(SALU_CYCLE_1)
	s_and_saveexec_b32 s15, s16
	s_cbranch_execz .LBB76_177
.LBB76_196:
	v_cmp_ne_u32_e32 vcc_lo, 1, v121
	v_lshlrev_b64 v[52:53], 2, v[72:73]
	s_cbranch_vccnz .LBB76_198
; %bb.197:
	s_delay_alu instid0(VALU_DEP_1) | instskip(NEXT) | instid1(VALU_DEP_2)
	v_add_co_u32 v58, vcc_lo, v56, v52
	v_add_co_ci_u32_e32 v59, vcc_lo, v57, v53, vcc_lo
	flat_load_b32 v58, v[58:59]
	s_waitcnt vmcnt(0) lgkmcnt(0)
	v_mul_f32_e32 v58, s19, v58
	s_branch .LBB76_199
.LBB76_198:
	v_mov_b32_e32 v58, 0
.LBB76_199:
	v_dual_add_f32 v59, v17, v49 :: v_dual_add_f32 v60, v16, v48
	v_dual_add_f32 v61, v19, v51 :: v_dual_add_f32 v62, v18, v50
	s_delay_alu instid0(VALU_DEP_4) | instskip(NEXT) | instid1(VALU_DEP_3)
	v_add_co_u32 v52, vcc_lo, v54, v52
	v_min3_f32 v59, v60, v59, v117
	v_add_co_ci_u32_e32 v53, vcc_lo, v55, v53, vcc_lo
	s_delay_alu instid0(VALU_DEP_4) | instskip(NEXT) | instid1(VALU_DEP_1)
	v_min_f32_e32 v60, v62, v61
	v_min3_f32 v58, v58, v60, v59
	global_store_b32 v[52:53], v58, off
	s_or_b32 exec_lo, exec_lo, s15
	s_and_b32 s16, s5, s8
	s_delay_alu instid0(SALU_CYCLE_1)
	s_and_saveexec_b32 s15, s16
	s_cbranch_execz .LBB76_178
.LBB76_200:
	v_cmp_ne_u32_e32 vcc_lo, 1, v121
	v_lshlrev_b64 v[52:53], 2, v[74:75]
	s_cbranch_vccnz .LBB76_202
; %bb.201:
	s_delay_alu instid0(VALU_DEP_1) | instskip(NEXT) | instid1(VALU_DEP_2)
	v_add_co_u32 v58, vcc_lo, v56, v52
	v_add_co_ci_u32_e32 v59, vcc_lo, v57, v53, vcc_lo
	flat_load_b32 v58, v[58:59]
	s_waitcnt vmcnt(0) lgkmcnt(0)
	v_mul_f32_e32 v58, s19, v58
	s_branch .LBB76_203
.LBB76_202:
	v_mov_b32_e32 v58, 0
.LBB76_203:
	v_dual_add_f32 v59, v13, v49 :: v_dual_add_f32 v60, v12, v48
	v_dual_add_f32 v61, v15, v51 :: v_dual_add_f32 v62, v14, v50
	s_delay_alu instid0(VALU_DEP_4) | instskip(NEXT) | instid1(VALU_DEP_3)
	v_add_co_u32 v52, vcc_lo, v54, v52
	v_min3_f32 v59, v60, v59, v116
	v_add_co_ci_u32_e32 v53, vcc_lo, v55, v53, vcc_lo
	s_delay_alu instid0(VALU_DEP_4) | instskip(NEXT) | instid1(VALU_DEP_1)
	v_min_f32_e32 v60, v62, v61
	v_min3_f32 v58, v58, v60, v59
	global_store_b32 v[52:53], v58, off
	s_or_b32 exec_lo, exec_lo, s15
	s_and_b32 s16, s6, s8
	s_delay_alu instid0(SALU_CYCLE_1)
	s_and_saveexec_b32 s15, s16
	s_cbranch_execz .LBB76_179
.LBB76_204:
	v_cmp_ne_u32_e32 vcc_lo, 1, v121
	v_lshlrev_b64 v[52:53], 2, v[76:77]
	s_cbranch_vccnz .LBB76_206
; %bb.205:
	s_delay_alu instid0(VALU_DEP_1) | instskip(NEXT) | instid1(VALU_DEP_2)
	v_add_co_u32 v58, vcc_lo, v56, v52
	v_add_co_ci_u32_e32 v59, vcc_lo, v57, v53, vcc_lo
	flat_load_b32 v58, v[58:59]
	s_waitcnt vmcnt(0) lgkmcnt(0)
	v_mul_f32_e32 v58, s19, v58
	s_branch .LBB76_207
.LBB76_206:
	v_mov_b32_e32 v58, 0
.LBB76_207:
	v_dual_add_f32 v59, v9, v49 :: v_dual_add_f32 v60, v8, v48
	v_dual_add_f32 v61, v11, v51 :: v_dual_add_f32 v62, v10, v50
	s_delay_alu instid0(VALU_DEP_4) | instskip(NEXT) | instid1(VALU_DEP_3)
	v_add_co_u32 v52, vcc_lo, v54, v52
	v_min3_f32 v59, v60, v59, v115
	v_add_co_ci_u32_e32 v53, vcc_lo, v55, v53, vcc_lo
	s_delay_alu instid0(VALU_DEP_4) | instskip(NEXT) | instid1(VALU_DEP_1)
	v_min_f32_e32 v60, v62, v61
	v_min3_f32 v58, v58, v60, v59
	global_store_b32 v[52:53], v58, off
	s_or_b32 exec_lo, exec_lo, s15
	s_and_b32 s15, s7, s8
	s_delay_alu instid0(SALU_CYCLE_1)
	s_and_saveexec_b32 s8, s15
	s_cbranch_execz .LBB76_212
.LBB76_208:
	v_cmp_ne_u32_e32 vcc_lo, 1, v121
	v_lshlrev_b64 v[52:53], 2, v[78:79]
	s_cbranch_vccnz .LBB76_210
; %bb.209:
	s_delay_alu instid0(VALU_DEP_1) | instskip(NEXT) | instid1(VALU_DEP_2)
	v_add_co_u32 v56, vcc_lo, v56, v52
	v_add_co_ci_u32_e32 v57, vcc_lo, v57, v53, vcc_lo
	flat_load_b32 v56, v[56:57]
	s_waitcnt vmcnt(0) lgkmcnt(0)
	v_mul_f32_e32 v56, s19, v56
	s_branch .LBB76_211
.LBB76_210:
	v_mov_b32_e32 v56, 0
.LBB76_211:
	v_dual_add_f32 v49, v1, v49 :: v_dual_add_f32 v48, v0, v48
	v_dual_add_f32 v51, v3, v51 :: v_dual_add_f32 v50, v2, v50
	s_delay_alu instid0(VALU_DEP_2) | instskip(NEXT) | instid1(VALU_DEP_2)
	v_min3_f32 v48, v48, v49, v114
	v_min_f32_e32 v49, v50, v51
	s_delay_alu instid0(VALU_DEP_1)
	v_min3_f32 v50, v56, v49, v48
	v_add_co_u32 v48, vcc_lo, v54, v52
	v_add_co_ci_u32_e32 v49, vcc_lo, v55, v53, vcc_lo
	global_store_b32 v[48:49], v50, off
.LBB76_212:
	s_or_b32 exec_lo, exec_lo, s8
	v_add_nc_u32_e32 v52, 0x80, v130
	s_delay_alu instid0(VALU_DEP_1) | instskip(SKIP_2) | instid1(VALU_DEP_3)
	v_mad_i64_i32 v[48:49], null, v52, s14, 0
	v_mad_i64_i32 v[50:51], null, v52, s9, 0
	v_cmp_gt_i32_e64 s8, s17, v52
	v_lshlrev_b64 v[48:49], 2, v[48:49]
	s_delay_alu instid0(VALU_DEP_2) | instskip(NEXT) | instid1(VALU_DEP_3)
	s_and_b32 s16, s0, s8
	v_lshlrev_b64 v[50:51], 2, v[50:51]
	s_delay_alu instid0(VALU_DEP_2) | instskip(NEXT) | instid1(VALU_DEP_3)
	v_add_co_u32 v52, vcc_lo, s12, v48
	v_add_co_ci_u32_e32 v53, vcc_lo, s13, v49, vcc_lo
	s_delay_alu instid0(VALU_DEP_3) | instskip(NEXT) | instid1(VALU_DEP_4)
	v_add_co_u32 v50, vcc_lo, s10, v50
	v_add_co_ci_u32_e32 v51, vcc_lo, s11, v51, vcc_lo
	s_and_saveexec_b32 s15, s16
	s_cbranch_execnz .LBB76_220
; %bb.213:
	s_or_b32 exec_lo, exec_lo, s15
	s_and_b32 s16, s1, s8
	s_delay_alu instid0(SALU_CYCLE_1)
	s_and_saveexec_b32 s15, s16
	s_cbranch_execnz .LBB76_224
.LBB76_214:
	s_or_b32 exec_lo, exec_lo, s15
	s_and_b32 s16, s2, s8
	s_delay_alu instid0(SALU_CYCLE_1)
	s_and_saveexec_b32 s15, s16
	s_cbranch_execnz .LBB76_228
.LBB76_215:
	s_or_b32 exec_lo, exec_lo, s15
	s_and_b32 s16, s3, s8
	s_delay_alu instid0(SALU_CYCLE_1)
	s_and_saveexec_b32 s15, s16
	s_cbranch_execnz .LBB76_232
.LBB76_216:
	s_or_b32 exec_lo, exec_lo, s15
	s_and_b32 s16, s4, s8
	s_delay_alu instid0(SALU_CYCLE_1)
	s_and_saveexec_b32 s15, s16
	s_cbranch_execnz .LBB76_236
.LBB76_217:
	s_or_b32 exec_lo, exec_lo, s15
	s_and_b32 s16, s5, s8
	s_delay_alu instid0(SALU_CYCLE_1)
	s_and_saveexec_b32 s15, s16
	s_cbranch_execnz .LBB76_240
.LBB76_218:
	s_or_b32 exec_lo, exec_lo, s15
	s_and_b32 s16, s6, s8
	s_delay_alu instid0(SALU_CYCLE_1)
	s_and_saveexec_b32 s15, s16
	s_cbranch_execnz .LBB76_244
.LBB76_219:
	s_or_b32 exec_lo, exec_lo, s15
	s_and_b32 s15, s7, s8
	s_delay_alu instid0(SALU_CYCLE_1)
	s_and_saveexec_b32 s8, s15
	s_cbranch_execnz .LBB76_248
	s_branch .LBB76_252
.LBB76_220:
	v_cmp_ne_u32_e32 vcc_lo, 1, v121
	v_lshlrev_b64 v[48:49], 2, v[64:65]
	s_cbranch_vccnz .LBB76_222
; %bb.221:
	s_delay_alu instid0(VALU_DEP_1) | instskip(NEXT) | instid1(VALU_DEP_2)
	v_add_co_u32 v54, vcc_lo, v52, v48
	v_add_co_ci_u32_e32 v55, vcc_lo, v53, v49, vcc_lo
	flat_load_b32 v54, v[54:55]
	s_waitcnt vmcnt(0) lgkmcnt(0)
	v_mul_f32_e32 v54, s19, v54
	s_branch .LBB76_223
.LBB76_222:
	v_mov_b32_e32 v54, 0
.LBB76_223:
	v_dual_add_f32 v55, v33, v45 :: v_dual_add_f32 v56, v32, v44
	v_dual_add_f32 v57, v35, v47 :: v_dual_add_f32 v58, v34, v46
	s_delay_alu instid0(VALU_DEP_4) | instskip(NEXT) | instid1(VALU_DEP_3)
	v_add_co_u32 v48, vcc_lo, v50, v48
	v_min3_f32 v55, v56, v55, v113
	v_add_co_ci_u32_e32 v49, vcc_lo, v51, v49, vcc_lo
	s_delay_alu instid0(VALU_DEP_4) | instskip(NEXT) | instid1(VALU_DEP_1)
	v_min_f32_e32 v56, v58, v57
	v_min3_f32 v54, v54, v56, v55
	global_store_b32 v[48:49], v54, off
	s_or_b32 exec_lo, exec_lo, s15
	s_and_b32 s16, s1, s8
	s_delay_alu instid0(SALU_CYCLE_1)
	s_and_saveexec_b32 s15, s16
	s_cbranch_execz .LBB76_214
.LBB76_224:
	v_cmp_ne_u32_e32 vcc_lo, 1, v121
	v_lshlrev_b64 v[48:49], 2, v[66:67]
	s_cbranch_vccnz .LBB76_226
; %bb.225:
	s_delay_alu instid0(VALU_DEP_1) | instskip(NEXT) | instid1(VALU_DEP_2)
	v_add_co_u32 v54, vcc_lo, v52, v48
	v_add_co_ci_u32_e32 v55, vcc_lo, v53, v49, vcc_lo
	flat_load_b32 v54, v[54:55]
	s_waitcnt vmcnt(0) lgkmcnt(0)
	v_mul_f32_e32 v54, s19, v54
	s_branch .LBB76_227
.LBB76_226:
	v_mov_b32_e32 v54, 0
.LBB76_227:
	v_dual_add_f32 v55, v29, v45 :: v_dual_add_f32 v56, v28, v44
	v_dual_add_f32 v57, v31, v47 :: v_dual_add_f32 v58, v30, v46
	s_delay_alu instid0(VALU_DEP_4) | instskip(NEXT) | instid1(VALU_DEP_3)
	v_add_co_u32 v48, vcc_lo, v50, v48
	v_min3_f32 v55, v56, v55, v112
	v_add_co_ci_u32_e32 v49, vcc_lo, v51, v49, vcc_lo
	s_delay_alu instid0(VALU_DEP_4) | instskip(NEXT) | instid1(VALU_DEP_1)
	v_min_f32_e32 v56, v58, v57
	v_min3_f32 v54, v54, v56, v55
	global_store_b32 v[48:49], v54, off
	s_or_b32 exec_lo, exec_lo, s15
	s_and_b32 s16, s2, s8
	s_delay_alu instid0(SALU_CYCLE_1)
	s_and_saveexec_b32 s15, s16
	s_cbranch_execz .LBB76_215
.LBB76_228:
	v_cmp_ne_u32_e32 vcc_lo, 1, v121
	v_lshlrev_b64 v[48:49], 2, v[68:69]
	s_cbranch_vccnz .LBB76_230
; %bb.229:
	s_delay_alu instid0(VALU_DEP_1) | instskip(NEXT) | instid1(VALU_DEP_2)
	v_add_co_u32 v54, vcc_lo, v52, v48
	v_add_co_ci_u32_e32 v55, vcc_lo, v53, v49, vcc_lo
	flat_load_b32 v54, v[54:55]
	s_waitcnt vmcnt(0) lgkmcnt(0)
	v_mul_f32_e32 v54, s19, v54
	s_branch .LBB76_231
.LBB76_230:
	v_mov_b32_e32 v54, 0
.LBB76_231:
	v_dual_add_f32 v55, v25, v45 :: v_dual_add_f32 v56, v24, v44
	v_dual_add_f32 v57, v27, v47 :: v_dual_add_f32 v58, v26, v46
	s_delay_alu instid0(VALU_DEP_4) | instskip(NEXT) | instid1(VALU_DEP_3)
	v_add_co_u32 v48, vcc_lo, v50, v48
	v_min3_f32 v55, v56, v55, v111
	v_add_co_ci_u32_e32 v49, vcc_lo, v51, v49, vcc_lo
	s_delay_alu instid0(VALU_DEP_4) | instskip(NEXT) | instid1(VALU_DEP_1)
	v_min_f32_e32 v56, v58, v57
	v_min3_f32 v54, v54, v56, v55
	global_store_b32 v[48:49], v54, off
	s_or_b32 exec_lo, exec_lo, s15
	s_and_b32 s16, s3, s8
	s_delay_alu instid0(SALU_CYCLE_1)
	s_and_saveexec_b32 s15, s16
	s_cbranch_execz .LBB76_216
.LBB76_232:
	v_cmp_ne_u32_e32 vcc_lo, 1, v121
	v_lshlrev_b64 v[48:49], 2, v[70:71]
	s_cbranch_vccnz .LBB76_234
; %bb.233:
	s_delay_alu instid0(VALU_DEP_1) | instskip(NEXT) | instid1(VALU_DEP_2)
	v_add_co_u32 v54, vcc_lo, v52, v48
	v_add_co_ci_u32_e32 v55, vcc_lo, v53, v49, vcc_lo
	flat_load_b32 v54, v[54:55]
	s_waitcnt vmcnt(0) lgkmcnt(0)
	v_mul_f32_e32 v54, s19, v54
	s_branch .LBB76_235
.LBB76_234:
	v_mov_b32_e32 v54, 0
.LBB76_235:
	v_dual_add_f32 v55, v21, v45 :: v_dual_add_f32 v56, v20, v44
	v_dual_add_f32 v57, v23, v47 :: v_dual_add_f32 v58, v22, v46
	s_delay_alu instid0(VALU_DEP_4) | instskip(NEXT) | instid1(VALU_DEP_3)
	v_add_co_u32 v48, vcc_lo, v50, v48
	v_min3_f32 v55, v56, v55, v110
	v_add_co_ci_u32_e32 v49, vcc_lo, v51, v49, vcc_lo
	s_delay_alu instid0(VALU_DEP_4) | instskip(NEXT) | instid1(VALU_DEP_1)
	v_min_f32_e32 v56, v58, v57
	v_min3_f32 v54, v54, v56, v55
	global_store_b32 v[48:49], v54, off
	s_or_b32 exec_lo, exec_lo, s15
	s_and_b32 s16, s4, s8
	s_delay_alu instid0(SALU_CYCLE_1)
	s_and_saveexec_b32 s15, s16
	s_cbranch_execz .LBB76_217
.LBB76_236:
	v_cmp_ne_u32_e32 vcc_lo, 1, v121
	v_lshlrev_b64 v[48:49], 2, v[72:73]
	s_cbranch_vccnz .LBB76_238
; %bb.237:
	s_delay_alu instid0(VALU_DEP_1) | instskip(NEXT) | instid1(VALU_DEP_2)
	v_add_co_u32 v54, vcc_lo, v52, v48
	v_add_co_ci_u32_e32 v55, vcc_lo, v53, v49, vcc_lo
	flat_load_b32 v54, v[54:55]
	s_waitcnt vmcnt(0) lgkmcnt(0)
	v_mul_f32_e32 v54, s19, v54
	s_branch .LBB76_239
.LBB76_238:
	v_mov_b32_e32 v54, 0
.LBB76_239:
	v_dual_add_f32 v55, v17, v45 :: v_dual_add_f32 v56, v16, v44
	v_dual_add_f32 v57, v19, v47 :: v_dual_add_f32 v58, v18, v46
	s_delay_alu instid0(VALU_DEP_4) | instskip(NEXT) | instid1(VALU_DEP_3)
	v_add_co_u32 v48, vcc_lo, v50, v48
	v_min3_f32 v55, v56, v55, v109
	v_add_co_ci_u32_e32 v49, vcc_lo, v51, v49, vcc_lo
	s_delay_alu instid0(VALU_DEP_4) | instskip(NEXT) | instid1(VALU_DEP_1)
	v_min_f32_e32 v56, v58, v57
	v_min3_f32 v54, v54, v56, v55
	global_store_b32 v[48:49], v54, off
	s_or_b32 exec_lo, exec_lo, s15
	s_and_b32 s16, s5, s8
	s_delay_alu instid0(SALU_CYCLE_1)
	s_and_saveexec_b32 s15, s16
	s_cbranch_execz .LBB76_218
.LBB76_240:
	v_cmp_ne_u32_e32 vcc_lo, 1, v121
	v_lshlrev_b64 v[48:49], 2, v[74:75]
	s_cbranch_vccnz .LBB76_242
; %bb.241:
	s_delay_alu instid0(VALU_DEP_1) | instskip(NEXT) | instid1(VALU_DEP_2)
	v_add_co_u32 v54, vcc_lo, v52, v48
	v_add_co_ci_u32_e32 v55, vcc_lo, v53, v49, vcc_lo
	flat_load_b32 v54, v[54:55]
	s_waitcnt vmcnt(0) lgkmcnt(0)
	v_mul_f32_e32 v54, s19, v54
	s_branch .LBB76_243
.LBB76_242:
	v_mov_b32_e32 v54, 0
.LBB76_243:
	v_dual_add_f32 v55, v13, v45 :: v_dual_add_f32 v56, v12, v44
	v_dual_add_f32 v57, v15, v47 :: v_dual_add_f32 v58, v14, v46
	s_delay_alu instid0(VALU_DEP_4) | instskip(NEXT) | instid1(VALU_DEP_3)
	v_add_co_u32 v48, vcc_lo, v50, v48
	v_min3_f32 v55, v56, v55, v108
	v_add_co_ci_u32_e32 v49, vcc_lo, v51, v49, vcc_lo
	s_delay_alu instid0(VALU_DEP_4) | instskip(NEXT) | instid1(VALU_DEP_1)
	v_min_f32_e32 v56, v58, v57
	v_min3_f32 v54, v54, v56, v55
	global_store_b32 v[48:49], v54, off
	s_or_b32 exec_lo, exec_lo, s15
	s_and_b32 s16, s6, s8
	s_delay_alu instid0(SALU_CYCLE_1)
	s_and_saveexec_b32 s15, s16
	s_cbranch_execz .LBB76_219
.LBB76_244:
	v_cmp_ne_u32_e32 vcc_lo, 1, v121
	v_lshlrev_b64 v[48:49], 2, v[76:77]
	s_cbranch_vccnz .LBB76_246
; %bb.245:
	s_delay_alu instid0(VALU_DEP_1) | instskip(NEXT) | instid1(VALU_DEP_2)
	v_add_co_u32 v54, vcc_lo, v52, v48
	v_add_co_ci_u32_e32 v55, vcc_lo, v53, v49, vcc_lo
	flat_load_b32 v54, v[54:55]
	s_waitcnt vmcnt(0) lgkmcnt(0)
	v_mul_f32_e32 v54, s19, v54
	s_branch .LBB76_247
.LBB76_246:
	v_mov_b32_e32 v54, 0
.LBB76_247:
	v_dual_add_f32 v55, v9, v45 :: v_dual_add_f32 v56, v8, v44
	v_dual_add_f32 v57, v11, v47 :: v_dual_add_f32 v58, v10, v46
	s_delay_alu instid0(VALU_DEP_4) | instskip(NEXT) | instid1(VALU_DEP_3)
	v_add_co_u32 v48, vcc_lo, v50, v48
	v_min3_f32 v55, v56, v55, v107
	v_add_co_ci_u32_e32 v49, vcc_lo, v51, v49, vcc_lo
	s_delay_alu instid0(VALU_DEP_4) | instskip(NEXT) | instid1(VALU_DEP_1)
	v_min_f32_e32 v56, v58, v57
	v_min3_f32 v54, v54, v56, v55
	global_store_b32 v[48:49], v54, off
	s_or_b32 exec_lo, exec_lo, s15
	s_and_b32 s15, s7, s8
	s_delay_alu instid0(SALU_CYCLE_1)
	s_and_saveexec_b32 s8, s15
	s_cbranch_execz .LBB76_252
.LBB76_248:
	v_cmp_ne_u32_e32 vcc_lo, 1, v121
	v_lshlrev_b64 v[48:49], 2, v[78:79]
	s_cbranch_vccnz .LBB76_250
; %bb.249:
	s_delay_alu instid0(VALU_DEP_1) | instskip(NEXT) | instid1(VALU_DEP_2)
	v_add_co_u32 v52, vcc_lo, v52, v48
	v_add_co_ci_u32_e32 v53, vcc_lo, v53, v49, vcc_lo
	flat_load_b32 v52, v[52:53]
	s_waitcnt vmcnt(0) lgkmcnt(0)
	v_mul_f32_e32 v52, s19, v52
	s_branch .LBB76_251
.LBB76_250:
	v_mov_b32_e32 v52, 0
.LBB76_251:
	v_dual_add_f32 v45, v1, v45 :: v_dual_add_f32 v44, v0, v44
	v_dual_add_f32 v47, v3, v47 :: v_dual_add_f32 v46, v2, v46
	s_delay_alu instid0(VALU_DEP_2) | instskip(NEXT) | instid1(VALU_DEP_2)
	v_min3_f32 v44, v44, v45, v106
	v_min_f32_e32 v45, v46, v47
	s_delay_alu instid0(VALU_DEP_1)
	v_min3_f32 v46, v52, v45, v44
	v_add_co_u32 v44, vcc_lo, v50, v48
	v_add_co_ci_u32_e32 v45, vcc_lo, v51, v49, vcc_lo
	global_store_b32 v[44:45], v46, off
.LBB76_252:
	s_or_b32 exec_lo, exec_lo, s8
	v_add_nc_u32_e32 v48, 0xa0, v130
	s_delay_alu instid0(VALU_DEP_1) | instskip(SKIP_2) | instid1(VALU_DEP_3)
	v_mad_i64_i32 v[44:45], null, v48, s14, 0
	v_mad_i64_i32 v[46:47], null, v48, s9, 0
	v_cmp_gt_i32_e64 s8, s17, v48
	v_lshlrev_b64 v[44:45], 2, v[44:45]
	s_delay_alu instid0(VALU_DEP_2) | instskip(NEXT) | instid1(VALU_DEP_3)
	s_and_b32 s16, s0, s8
	v_lshlrev_b64 v[46:47], 2, v[46:47]
	s_delay_alu instid0(VALU_DEP_2) | instskip(NEXT) | instid1(VALU_DEP_3)
	v_add_co_u32 v48, vcc_lo, s12, v44
	v_add_co_ci_u32_e32 v49, vcc_lo, s13, v45, vcc_lo
	s_delay_alu instid0(VALU_DEP_3) | instskip(NEXT) | instid1(VALU_DEP_4)
	v_add_co_u32 v46, vcc_lo, s10, v46
	v_add_co_ci_u32_e32 v47, vcc_lo, s11, v47, vcc_lo
	s_and_saveexec_b32 s15, s16
	s_cbranch_execnz .LBB76_260
; %bb.253:
	s_or_b32 exec_lo, exec_lo, s15
	s_and_b32 s16, s1, s8
	s_delay_alu instid0(SALU_CYCLE_1)
	s_and_saveexec_b32 s15, s16
	s_cbranch_execnz .LBB76_264
.LBB76_254:
	s_or_b32 exec_lo, exec_lo, s15
	s_and_b32 s16, s2, s8
	s_delay_alu instid0(SALU_CYCLE_1)
	s_and_saveexec_b32 s15, s16
	s_cbranch_execnz .LBB76_268
.LBB76_255:
	s_or_b32 exec_lo, exec_lo, s15
	s_and_b32 s16, s3, s8
	s_delay_alu instid0(SALU_CYCLE_1)
	s_and_saveexec_b32 s15, s16
	s_cbranch_execnz .LBB76_272
.LBB76_256:
	s_or_b32 exec_lo, exec_lo, s15
	s_and_b32 s16, s4, s8
	s_delay_alu instid0(SALU_CYCLE_1)
	s_and_saveexec_b32 s15, s16
	s_cbranch_execnz .LBB76_276
.LBB76_257:
	s_or_b32 exec_lo, exec_lo, s15
	s_and_b32 s16, s5, s8
	s_delay_alu instid0(SALU_CYCLE_1)
	s_and_saveexec_b32 s15, s16
	s_cbranch_execnz .LBB76_280
.LBB76_258:
	s_or_b32 exec_lo, exec_lo, s15
	s_and_b32 s16, s6, s8
	s_delay_alu instid0(SALU_CYCLE_1)
	s_and_saveexec_b32 s15, s16
	s_cbranch_execnz .LBB76_284
.LBB76_259:
	s_or_b32 exec_lo, exec_lo, s15
	s_and_b32 s15, s7, s8
	s_delay_alu instid0(SALU_CYCLE_1)
	s_and_saveexec_b32 s8, s15
	s_cbranch_execnz .LBB76_288
	s_branch .LBB76_292
.LBB76_260:
	v_cmp_ne_u32_e32 vcc_lo, 1, v121
	v_lshlrev_b64 v[44:45], 2, v[64:65]
	s_cbranch_vccnz .LBB76_262
; %bb.261:
	s_delay_alu instid0(VALU_DEP_1) | instskip(NEXT) | instid1(VALU_DEP_2)
	v_add_co_u32 v50, vcc_lo, v48, v44
	v_add_co_ci_u32_e32 v51, vcc_lo, v49, v45, vcc_lo
	flat_load_b32 v50, v[50:51]
	s_waitcnt vmcnt(0) lgkmcnt(0)
	v_mul_f32_e32 v50, s19, v50
	s_branch .LBB76_263
.LBB76_262:
	v_mov_b32_e32 v50, 0
.LBB76_263:
	v_dual_add_f32 v51, v33, v41 :: v_dual_add_f32 v52, v32, v40
	v_dual_add_f32 v53, v35, v43 :: v_dual_add_f32 v54, v34, v42
	s_delay_alu instid0(VALU_DEP_4) | instskip(NEXT) | instid1(VALU_DEP_3)
	v_add_co_u32 v44, vcc_lo, v46, v44
	v_min3_f32 v51, v52, v51, v105
	v_add_co_ci_u32_e32 v45, vcc_lo, v47, v45, vcc_lo
	s_delay_alu instid0(VALU_DEP_4) | instskip(NEXT) | instid1(VALU_DEP_1)
	v_min_f32_e32 v52, v54, v53
	v_min3_f32 v50, v50, v52, v51
	global_store_b32 v[44:45], v50, off
	s_or_b32 exec_lo, exec_lo, s15
	s_and_b32 s16, s1, s8
	s_delay_alu instid0(SALU_CYCLE_1)
	s_and_saveexec_b32 s15, s16
	s_cbranch_execz .LBB76_254
.LBB76_264:
	v_cmp_ne_u32_e32 vcc_lo, 1, v121
	v_lshlrev_b64 v[44:45], 2, v[66:67]
	s_cbranch_vccnz .LBB76_266
; %bb.265:
	s_delay_alu instid0(VALU_DEP_1) | instskip(NEXT) | instid1(VALU_DEP_2)
	v_add_co_u32 v50, vcc_lo, v48, v44
	v_add_co_ci_u32_e32 v51, vcc_lo, v49, v45, vcc_lo
	flat_load_b32 v50, v[50:51]
	s_waitcnt vmcnt(0) lgkmcnt(0)
	v_mul_f32_e32 v50, s19, v50
	s_branch .LBB76_267
.LBB76_266:
	v_mov_b32_e32 v50, 0
.LBB76_267:
	v_dual_add_f32 v51, v29, v41 :: v_dual_add_f32 v52, v28, v40
	v_dual_add_f32 v53, v31, v43 :: v_dual_add_f32 v54, v30, v42
	s_delay_alu instid0(VALU_DEP_4) | instskip(NEXT) | instid1(VALU_DEP_3)
	v_add_co_u32 v44, vcc_lo, v46, v44
	v_min3_f32 v51, v52, v51, v104
	v_add_co_ci_u32_e32 v45, vcc_lo, v47, v45, vcc_lo
	s_delay_alu instid0(VALU_DEP_4) | instskip(NEXT) | instid1(VALU_DEP_1)
	v_min_f32_e32 v52, v54, v53
	v_min3_f32 v50, v50, v52, v51
	global_store_b32 v[44:45], v50, off
	s_or_b32 exec_lo, exec_lo, s15
	s_and_b32 s16, s2, s8
	s_delay_alu instid0(SALU_CYCLE_1)
	s_and_saveexec_b32 s15, s16
	s_cbranch_execz .LBB76_255
.LBB76_268:
	v_cmp_ne_u32_e32 vcc_lo, 1, v121
	v_lshlrev_b64 v[44:45], 2, v[68:69]
	s_cbranch_vccnz .LBB76_270
; %bb.269:
	s_delay_alu instid0(VALU_DEP_1) | instskip(NEXT) | instid1(VALU_DEP_2)
	v_add_co_u32 v50, vcc_lo, v48, v44
	v_add_co_ci_u32_e32 v51, vcc_lo, v49, v45, vcc_lo
	flat_load_b32 v50, v[50:51]
	s_waitcnt vmcnt(0) lgkmcnt(0)
	v_mul_f32_e32 v50, s19, v50
	s_branch .LBB76_271
.LBB76_270:
	v_mov_b32_e32 v50, 0
.LBB76_271:
	v_dual_add_f32 v51, v25, v41 :: v_dual_add_f32 v52, v24, v40
	v_dual_add_f32 v53, v27, v43 :: v_dual_add_f32 v54, v26, v42
	s_delay_alu instid0(VALU_DEP_4) | instskip(NEXT) | instid1(VALU_DEP_3)
	v_add_co_u32 v44, vcc_lo, v46, v44
	v_min3_f32 v51, v52, v51, v103
	v_add_co_ci_u32_e32 v45, vcc_lo, v47, v45, vcc_lo
	s_delay_alu instid0(VALU_DEP_4) | instskip(NEXT) | instid1(VALU_DEP_1)
	v_min_f32_e32 v52, v54, v53
	v_min3_f32 v50, v50, v52, v51
	global_store_b32 v[44:45], v50, off
	s_or_b32 exec_lo, exec_lo, s15
	s_and_b32 s16, s3, s8
	s_delay_alu instid0(SALU_CYCLE_1)
	s_and_saveexec_b32 s15, s16
	s_cbranch_execz .LBB76_256
.LBB76_272:
	v_cmp_ne_u32_e32 vcc_lo, 1, v121
	v_lshlrev_b64 v[44:45], 2, v[70:71]
	s_cbranch_vccnz .LBB76_274
; %bb.273:
	s_delay_alu instid0(VALU_DEP_1) | instskip(NEXT) | instid1(VALU_DEP_2)
	v_add_co_u32 v50, vcc_lo, v48, v44
	v_add_co_ci_u32_e32 v51, vcc_lo, v49, v45, vcc_lo
	flat_load_b32 v50, v[50:51]
	s_waitcnt vmcnt(0) lgkmcnt(0)
	v_mul_f32_e32 v50, s19, v50
	s_branch .LBB76_275
.LBB76_274:
	v_mov_b32_e32 v50, 0
.LBB76_275:
	v_dual_add_f32 v51, v21, v41 :: v_dual_add_f32 v52, v20, v40
	v_dual_add_f32 v53, v23, v43 :: v_dual_add_f32 v54, v22, v42
	s_delay_alu instid0(VALU_DEP_4) | instskip(NEXT) | instid1(VALU_DEP_3)
	v_add_co_u32 v44, vcc_lo, v46, v44
	v_min3_f32 v51, v52, v51, v102
	v_add_co_ci_u32_e32 v45, vcc_lo, v47, v45, vcc_lo
	s_delay_alu instid0(VALU_DEP_4) | instskip(NEXT) | instid1(VALU_DEP_1)
	v_min_f32_e32 v52, v54, v53
	v_min3_f32 v50, v50, v52, v51
	global_store_b32 v[44:45], v50, off
	s_or_b32 exec_lo, exec_lo, s15
	s_and_b32 s16, s4, s8
	s_delay_alu instid0(SALU_CYCLE_1)
	s_and_saveexec_b32 s15, s16
	s_cbranch_execz .LBB76_257
.LBB76_276:
	v_cmp_ne_u32_e32 vcc_lo, 1, v121
	v_lshlrev_b64 v[44:45], 2, v[72:73]
	s_cbranch_vccnz .LBB76_278
; %bb.277:
	s_delay_alu instid0(VALU_DEP_1) | instskip(NEXT) | instid1(VALU_DEP_2)
	v_add_co_u32 v50, vcc_lo, v48, v44
	v_add_co_ci_u32_e32 v51, vcc_lo, v49, v45, vcc_lo
	flat_load_b32 v50, v[50:51]
	s_waitcnt vmcnt(0) lgkmcnt(0)
	v_mul_f32_e32 v50, s19, v50
	s_branch .LBB76_279
.LBB76_278:
	v_mov_b32_e32 v50, 0
.LBB76_279:
	v_dual_add_f32 v51, v17, v41 :: v_dual_add_f32 v52, v16, v40
	v_dual_add_f32 v53, v19, v43 :: v_dual_add_f32 v54, v18, v42
	s_delay_alu instid0(VALU_DEP_4) | instskip(NEXT) | instid1(VALU_DEP_3)
	v_add_co_u32 v44, vcc_lo, v46, v44
	v_min3_f32 v51, v52, v51, v101
	v_add_co_ci_u32_e32 v45, vcc_lo, v47, v45, vcc_lo
	s_delay_alu instid0(VALU_DEP_4) | instskip(NEXT) | instid1(VALU_DEP_1)
	v_min_f32_e32 v52, v54, v53
	v_min3_f32 v50, v50, v52, v51
	global_store_b32 v[44:45], v50, off
	s_or_b32 exec_lo, exec_lo, s15
	s_and_b32 s16, s5, s8
	s_delay_alu instid0(SALU_CYCLE_1)
	s_and_saveexec_b32 s15, s16
	s_cbranch_execz .LBB76_258
.LBB76_280:
	v_cmp_ne_u32_e32 vcc_lo, 1, v121
	v_lshlrev_b64 v[44:45], 2, v[74:75]
	s_cbranch_vccnz .LBB76_282
; %bb.281:
	s_delay_alu instid0(VALU_DEP_1) | instskip(NEXT) | instid1(VALU_DEP_2)
	v_add_co_u32 v50, vcc_lo, v48, v44
	v_add_co_ci_u32_e32 v51, vcc_lo, v49, v45, vcc_lo
	flat_load_b32 v50, v[50:51]
	s_waitcnt vmcnt(0) lgkmcnt(0)
	v_mul_f32_e32 v50, s19, v50
	s_branch .LBB76_283
.LBB76_282:
	v_mov_b32_e32 v50, 0
.LBB76_283:
	v_dual_add_f32 v51, v13, v41 :: v_dual_add_f32 v52, v12, v40
	v_dual_add_f32 v53, v15, v43 :: v_dual_add_f32 v54, v14, v42
	s_delay_alu instid0(VALU_DEP_4) | instskip(NEXT) | instid1(VALU_DEP_3)
	v_add_co_u32 v44, vcc_lo, v46, v44
	v_min3_f32 v51, v52, v51, v100
	v_add_co_ci_u32_e32 v45, vcc_lo, v47, v45, vcc_lo
	s_delay_alu instid0(VALU_DEP_4) | instskip(NEXT) | instid1(VALU_DEP_1)
	v_min_f32_e32 v52, v54, v53
	v_min3_f32 v50, v50, v52, v51
	global_store_b32 v[44:45], v50, off
	s_or_b32 exec_lo, exec_lo, s15
	s_and_b32 s16, s6, s8
	s_delay_alu instid0(SALU_CYCLE_1)
	s_and_saveexec_b32 s15, s16
	s_cbranch_execz .LBB76_259
.LBB76_284:
	v_cmp_ne_u32_e32 vcc_lo, 1, v121
	v_lshlrev_b64 v[44:45], 2, v[76:77]
	s_cbranch_vccnz .LBB76_286
; %bb.285:
	s_delay_alu instid0(VALU_DEP_1) | instskip(NEXT) | instid1(VALU_DEP_2)
	v_add_co_u32 v50, vcc_lo, v48, v44
	v_add_co_ci_u32_e32 v51, vcc_lo, v49, v45, vcc_lo
	flat_load_b32 v50, v[50:51]
	s_waitcnt vmcnt(0) lgkmcnt(0)
	v_mul_f32_e32 v50, s19, v50
	s_branch .LBB76_287
.LBB76_286:
	v_mov_b32_e32 v50, 0
.LBB76_287:
	v_dual_add_f32 v51, v9, v41 :: v_dual_add_f32 v52, v8, v40
	v_dual_add_f32 v53, v11, v43 :: v_dual_add_f32 v54, v10, v42
	s_delay_alu instid0(VALU_DEP_4) | instskip(NEXT) | instid1(VALU_DEP_3)
	v_add_co_u32 v44, vcc_lo, v46, v44
	v_min3_f32 v51, v52, v51, v99
	v_add_co_ci_u32_e32 v45, vcc_lo, v47, v45, vcc_lo
	s_delay_alu instid0(VALU_DEP_4) | instskip(NEXT) | instid1(VALU_DEP_1)
	v_min_f32_e32 v52, v54, v53
	v_min3_f32 v50, v50, v52, v51
	global_store_b32 v[44:45], v50, off
	s_or_b32 exec_lo, exec_lo, s15
	s_and_b32 s15, s7, s8
	s_delay_alu instid0(SALU_CYCLE_1)
	s_and_saveexec_b32 s8, s15
	s_cbranch_execz .LBB76_292
.LBB76_288:
	v_cmp_ne_u32_e32 vcc_lo, 1, v121
	v_lshlrev_b64 v[44:45], 2, v[78:79]
	s_cbranch_vccnz .LBB76_290
; %bb.289:
	s_delay_alu instid0(VALU_DEP_1) | instskip(NEXT) | instid1(VALU_DEP_2)
	v_add_co_u32 v48, vcc_lo, v48, v44
	v_add_co_ci_u32_e32 v49, vcc_lo, v49, v45, vcc_lo
	flat_load_b32 v48, v[48:49]
	s_waitcnt vmcnt(0) lgkmcnt(0)
	v_mul_f32_e32 v48, s19, v48
	s_branch .LBB76_291
.LBB76_290:
	v_mov_b32_e32 v48, 0
.LBB76_291:
	v_dual_add_f32 v41, v1, v41 :: v_dual_add_f32 v40, v0, v40
	v_dual_add_f32 v43, v3, v43 :: v_dual_add_f32 v42, v2, v42
	s_delay_alu instid0(VALU_DEP_2) | instskip(NEXT) | instid1(VALU_DEP_2)
	v_min3_f32 v40, v40, v41, v98
	v_min_f32_e32 v41, v42, v43
	s_delay_alu instid0(VALU_DEP_1)
	v_min3_f32 v42, v48, v41, v40
	v_add_co_u32 v40, vcc_lo, v46, v44
	v_add_co_ci_u32_e32 v41, vcc_lo, v47, v45, vcc_lo
	global_store_b32 v[40:41], v42, off
.LBB76_292:
	s_or_b32 exec_lo, exec_lo, s8
	v_add_nc_u32_e32 v44, 0xc0, v130
	s_delay_alu instid0(VALU_DEP_1) | instskip(SKIP_2) | instid1(VALU_DEP_3)
	v_mad_i64_i32 v[40:41], null, v44, s14, 0
	v_mad_i64_i32 v[42:43], null, v44, s9, 0
	v_cmp_gt_i32_e64 s8, s17, v44
	v_lshlrev_b64 v[40:41], 2, v[40:41]
	s_delay_alu instid0(VALU_DEP_2) | instskip(NEXT) | instid1(VALU_DEP_3)
	s_and_b32 s16, s0, s8
	v_lshlrev_b64 v[42:43], 2, v[42:43]
	s_delay_alu instid0(VALU_DEP_2) | instskip(NEXT) | instid1(VALU_DEP_3)
	v_add_co_u32 v44, vcc_lo, s12, v40
	v_add_co_ci_u32_e32 v45, vcc_lo, s13, v41, vcc_lo
	s_delay_alu instid0(VALU_DEP_3) | instskip(NEXT) | instid1(VALU_DEP_4)
	v_add_co_u32 v42, vcc_lo, s10, v42
	v_add_co_ci_u32_e32 v43, vcc_lo, s11, v43, vcc_lo
	s_and_saveexec_b32 s15, s16
	s_cbranch_execnz .LBB76_300
; %bb.293:
	s_or_b32 exec_lo, exec_lo, s15
	s_and_b32 s16, s1, s8
	s_delay_alu instid0(SALU_CYCLE_1)
	s_and_saveexec_b32 s15, s16
	s_cbranch_execnz .LBB76_304
.LBB76_294:
	s_or_b32 exec_lo, exec_lo, s15
	s_and_b32 s16, s2, s8
	s_delay_alu instid0(SALU_CYCLE_1)
	s_and_saveexec_b32 s15, s16
	s_cbranch_execnz .LBB76_308
.LBB76_295:
	s_or_b32 exec_lo, exec_lo, s15
	s_and_b32 s16, s3, s8
	s_delay_alu instid0(SALU_CYCLE_1)
	s_and_saveexec_b32 s15, s16
	s_cbranch_execnz .LBB76_312
.LBB76_296:
	s_or_b32 exec_lo, exec_lo, s15
	s_and_b32 s16, s4, s8
	s_delay_alu instid0(SALU_CYCLE_1)
	s_and_saveexec_b32 s15, s16
	s_cbranch_execnz .LBB76_316
.LBB76_297:
	s_or_b32 exec_lo, exec_lo, s15
	s_and_b32 s16, s5, s8
	s_delay_alu instid0(SALU_CYCLE_1)
	s_and_saveexec_b32 s15, s16
	s_cbranch_execnz .LBB76_320
.LBB76_298:
	s_or_b32 exec_lo, exec_lo, s15
	s_and_b32 s16, s6, s8
	s_delay_alu instid0(SALU_CYCLE_1)
	s_and_saveexec_b32 s15, s16
	s_cbranch_execnz .LBB76_324
.LBB76_299:
	s_or_b32 exec_lo, exec_lo, s15
	s_and_b32 s15, s7, s8
	s_delay_alu instid0(SALU_CYCLE_1)
	s_and_saveexec_b32 s8, s15
	s_cbranch_execnz .LBB76_328
	s_branch .LBB76_332
.LBB76_300:
	v_cmp_ne_u32_e32 vcc_lo, 1, v121
	v_lshlrev_b64 v[40:41], 2, v[64:65]
	s_cbranch_vccnz .LBB76_302
; %bb.301:
	s_delay_alu instid0(VALU_DEP_1) | instskip(NEXT) | instid1(VALU_DEP_2)
	v_add_co_u32 v46, vcc_lo, v44, v40
	v_add_co_ci_u32_e32 v47, vcc_lo, v45, v41, vcc_lo
	flat_load_b32 v46, v[46:47]
	s_waitcnt vmcnt(0) lgkmcnt(0)
	v_mul_f32_e32 v46, s19, v46
	s_branch .LBB76_303
.LBB76_302:
	v_mov_b32_e32 v46, 0
.LBB76_303:
	v_dual_add_f32 v47, v33, v37 :: v_dual_add_f32 v48, v32, v36
	v_dual_add_f32 v49, v35, v39 :: v_dual_add_f32 v50, v34, v38
	s_delay_alu instid0(VALU_DEP_4) | instskip(NEXT) | instid1(VALU_DEP_3)
	v_add_co_u32 v40, vcc_lo, v42, v40
	v_min3_f32 v47, v48, v47, v97
	v_add_co_ci_u32_e32 v41, vcc_lo, v43, v41, vcc_lo
	s_delay_alu instid0(VALU_DEP_4) | instskip(NEXT) | instid1(VALU_DEP_1)
	v_min_f32_e32 v48, v50, v49
	v_min3_f32 v46, v46, v48, v47
	global_store_b32 v[40:41], v46, off
	s_or_b32 exec_lo, exec_lo, s15
	s_and_b32 s16, s1, s8
	s_delay_alu instid0(SALU_CYCLE_1)
	s_and_saveexec_b32 s15, s16
	s_cbranch_execz .LBB76_294
.LBB76_304:
	v_cmp_ne_u32_e32 vcc_lo, 1, v121
	v_lshlrev_b64 v[40:41], 2, v[66:67]
	s_cbranch_vccnz .LBB76_306
; %bb.305:
	s_delay_alu instid0(VALU_DEP_1) | instskip(NEXT) | instid1(VALU_DEP_2)
	v_add_co_u32 v46, vcc_lo, v44, v40
	v_add_co_ci_u32_e32 v47, vcc_lo, v45, v41, vcc_lo
	flat_load_b32 v46, v[46:47]
	s_waitcnt vmcnt(0) lgkmcnt(0)
	v_mul_f32_e32 v46, s19, v46
	s_branch .LBB76_307
.LBB76_306:
	v_mov_b32_e32 v46, 0
.LBB76_307:
	v_dual_add_f32 v47, v29, v37 :: v_dual_add_f32 v48, v28, v36
	v_dual_add_f32 v49, v31, v39 :: v_dual_add_f32 v50, v30, v38
	s_delay_alu instid0(VALU_DEP_4) | instskip(NEXT) | instid1(VALU_DEP_3)
	v_add_co_u32 v40, vcc_lo, v42, v40
	v_min3_f32 v47, v48, v47, v96
	v_add_co_ci_u32_e32 v41, vcc_lo, v43, v41, vcc_lo
	s_delay_alu instid0(VALU_DEP_4) | instskip(NEXT) | instid1(VALU_DEP_1)
	v_min_f32_e32 v48, v50, v49
	v_min3_f32 v46, v46, v48, v47
	global_store_b32 v[40:41], v46, off
	s_or_b32 exec_lo, exec_lo, s15
	s_and_b32 s16, s2, s8
	s_delay_alu instid0(SALU_CYCLE_1)
	s_and_saveexec_b32 s15, s16
	s_cbranch_execz .LBB76_295
.LBB76_308:
	v_cmp_ne_u32_e32 vcc_lo, 1, v121
	v_lshlrev_b64 v[40:41], 2, v[68:69]
	s_cbranch_vccnz .LBB76_310
; %bb.309:
	s_delay_alu instid0(VALU_DEP_1) | instskip(NEXT) | instid1(VALU_DEP_2)
	v_add_co_u32 v46, vcc_lo, v44, v40
	v_add_co_ci_u32_e32 v47, vcc_lo, v45, v41, vcc_lo
	flat_load_b32 v46, v[46:47]
	s_waitcnt vmcnt(0) lgkmcnt(0)
	v_mul_f32_e32 v46, s19, v46
	s_branch .LBB76_311
.LBB76_310:
	v_mov_b32_e32 v46, 0
.LBB76_311:
	v_dual_add_f32 v47, v25, v37 :: v_dual_add_f32 v48, v24, v36
	v_dual_add_f32 v49, v27, v39 :: v_dual_add_f32 v50, v26, v38
	s_delay_alu instid0(VALU_DEP_4) | instskip(NEXT) | instid1(VALU_DEP_3)
	v_add_co_u32 v40, vcc_lo, v42, v40
	v_min3_f32 v47, v48, v47, v95
	v_add_co_ci_u32_e32 v41, vcc_lo, v43, v41, vcc_lo
	s_delay_alu instid0(VALU_DEP_4) | instskip(NEXT) | instid1(VALU_DEP_1)
	v_min_f32_e32 v48, v50, v49
	v_min3_f32 v46, v46, v48, v47
	global_store_b32 v[40:41], v46, off
	s_or_b32 exec_lo, exec_lo, s15
	s_and_b32 s16, s3, s8
	s_delay_alu instid0(SALU_CYCLE_1)
	s_and_saveexec_b32 s15, s16
	s_cbranch_execz .LBB76_296
.LBB76_312:
	v_cmp_ne_u32_e32 vcc_lo, 1, v121
	v_lshlrev_b64 v[40:41], 2, v[70:71]
	s_cbranch_vccnz .LBB76_314
; %bb.313:
	s_delay_alu instid0(VALU_DEP_1) | instskip(NEXT) | instid1(VALU_DEP_2)
	v_add_co_u32 v46, vcc_lo, v44, v40
	v_add_co_ci_u32_e32 v47, vcc_lo, v45, v41, vcc_lo
	flat_load_b32 v46, v[46:47]
	s_waitcnt vmcnt(0) lgkmcnt(0)
	v_mul_f32_e32 v46, s19, v46
	s_branch .LBB76_315
.LBB76_314:
	v_mov_b32_e32 v46, 0
.LBB76_315:
	v_dual_add_f32 v47, v21, v37 :: v_dual_add_f32 v48, v20, v36
	v_dual_add_f32 v49, v23, v39 :: v_dual_add_f32 v50, v22, v38
	s_delay_alu instid0(VALU_DEP_4) | instskip(NEXT) | instid1(VALU_DEP_3)
	v_add_co_u32 v40, vcc_lo, v42, v40
	v_min3_f32 v47, v48, v47, v94
	v_add_co_ci_u32_e32 v41, vcc_lo, v43, v41, vcc_lo
	s_delay_alu instid0(VALU_DEP_4) | instskip(NEXT) | instid1(VALU_DEP_1)
	v_min_f32_e32 v48, v50, v49
	v_min3_f32 v46, v46, v48, v47
	global_store_b32 v[40:41], v46, off
	s_or_b32 exec_lo, exec_lo, s15
	s_and_b32 s16, s4, s8
	s_delay_alu instid0(SALU_CYCLE_1)
	s_and_saveexec_b32 s15, s16
	s_cbranch_execz .LBB76_297
.LBB76_316:
	v_cmp_ne_u32_e32 vcc_lo, 1, v121
	v_lshlrev_b64 v[40:41], 2, v[72:73]
	s_cbranch_vccnz .LBB76_318
; %bb.317:
	s_delay_alu instid0(VALU_DEP_1) | instskip(NEXT) | instid1(VALU_DEP_2)
	v_add_co_u32 v46, vcc_lo, v44, v40
	v_add_co_ci_u32_e32 v47, vcc_lo, v45, v41, vcc_lo
	flat_load_b32 v46, v[46:47]
	s_waitcnt vmcnt(0) lgkmcnt(0)
	v_mul_f32_e32 v46, s19, v46
	s_branch .LBB76_319
.LBB76_318:
	v_mov_b32_e32 v46, 0
.LBB76_319:
	v_dual_add_f32 v47, v17, v37 :: v_dual_add_f32 v48, v16, v36
	v_dual_add_f32 v49, v19, v39 :: v_dual_add_f32 v50, v18, v38
	s_delay_alu instid0(VALU_DEP_4) | instskip(NEXT) | instid1(VALU_DEP_3)
	v_add_co_u32 v40, vcc_lo, v42, v40
	v_min3_f32 v47, v48, v47, v93
	v_add_co_ci_u32_e32 v41, vcc_lo, v43, v41, vcc_lo
	s_delay_alu instid0(VALU_DEP_4) | instskip(NEXT) | instid1(VALU_DEP_1)
	v_min_f32_e32 v48, v50, v49
	v_min3_f32 v46, v46, v48, v47
	global_store_b32 v[40:41], v46, off
	s_or_b32 exec_lo, exec_lo, s15
	s_and_b32 s16, s5, s8
	s_delay_alu instid0(SALU_CYCLE_1)
	s_and_saveexec_b32 s15, s16
	s_cbranch_execz .LBB76_298
.LBB76_320:
	v_cmp_ne_u32_e32 vcc_lo, 1, v121
	v_lshlrev_b64 v[40:41], 2, v[74:75]
	s_cbranch_vccnz .LBB76_322
; %bb.321:
	s_delay_alu instid0(VALU_DEP_1) | instskip(NEXT) | instid1(VALU_DEP_2)
	v_add_co_u32 v46, vcc_lo, v44, v40
	v_add_co_ci_u32_e32 v47, vcc_lo, v45, v41, vcc_lo
	flat_load_b32 v46, v[46:47]
	s_waitcnt vmcnt(0) lgkmcnt(0)
	v_mul_f32_e32 v46, s19, v46
	s_branch .LBB76_323
.LBB76_322:
	v_mov_b32_e32 v46, 0
.LBB76_323:
	v_dual_add_f32 v47, v13, v37 :: v_dual_add_f32 v48, v12, v36
	v_dual_add_f32 v49, v15, v39 :: v_dual_add_f32 v50, v14, v38
	s_delay_alu instid0(VALU_DEP_4) | instskip(NEXT) | instid1(VALU_DEP_3)
	v_add_co_u32 v40, vcc_lo, v42, v40
	v_min3_f32 v47, v48, v47, v91
	v_add_co_ci_u32_e32 v41, vcc_lo, v43, v41, vcc_lo
	s_delay_alu instid0(VALU_DEP_4) | instskip(NEXT) | instid1(VALU_DEP_1)
	v_min_f32_e32 v48, v50, v49
	v_min3_f32 v46, v46, v48, v47
	global_store_b32 v[40:41], v46, off
	s_or_b32 exec_lo, exec_lo, s15
	s_and_b32 s16, s6, s8
	s_delay_alu instid0(SALU_CYCLE_1)
	s_and_saveexec_b32 s15, s16
	s_cbranch_execz .LBB76_299
.LBB76_324:
	v_cmp_ne_u32_e32 vcc_lo, 1, v121
	v_lshlrev_b64 v[40:41], 2, v[76:77]
	s_cbranch_vccnz .LBB76_326
; %bb.325:
	s_delay_alu instid0(VALU_DEP_1) | instskip(NEXT) | instid1(VALU_DEP_2)
	v_add_co_u32 v46, vcc_lo, v44, v40
	v_add_co_ci_u32_e32 v47, vcc_lo, v45, v41, vcc_lo
	flat_load_b32 v46, v[46:47]
	s_waitcnt vmcnt(0) lgkmcnt(0)
	v_mul_f32_e32 v46, s19, v46
	s_branch .LBB76_327
.LBB76_326:
	v_mov_b32_e32 v46, 0
.LBB76_327:
	v_dual_add_f32 v47, v9, v37 :: v_dual_add_f32 v48, v8, v36
	v_dual_add_f32 v49, v11, v39 :: v_dual_add_f32 v50, v10, v38
	s_delay_alu instid0(VALU_DEP_4) | instskip(NEXT) | instid1(VALU_DEP_3)
	v_add_co_u32 v40, vcc_lo, v42, v40
	v_min3_f32 v47, v48, v47, v90
	v_add_co_ci_u32_e32 v41, vcc_lo, v43, v41, vcc_lo
	s_delay_alu instid0(VALU_DEP_4) | instskip(NEXT) | instid1(VALU_DEP_1)
	v_min_f32_e32 v48, v50, v49
	v_min3_f32 v46, v46, v48, v47
	global_store_b32 v[40:41], v46, off
	s_or_b32 exec_lo, exec_lo, s15
	s_and_b32 s15, s7, s8
	s_delay_alu instid0(SALU_CYCLE_1)
	s_and_saveexec_b32 s8, s15
	s_cbranch_execz .LBB76_332
.LBB76_328:
	v_cmp_ne_u32_e32 vcc_lo, 1, v121
	v_lshlrev_b64 v[40:41], 2, v[78:79]
	s_cbranch_vccnz .LBB76_330
; %bb.329:
	s_delay_alu instid0(VALU_DEP_1) | instskip(NEXT) | instid1(VALU_DEP_2)
	v_add_co_u32 v44, vcc_lo, v44, v40
	v_add_co_ci_u32_e32 v45, vcc_lo, v45, v41, vcc_lo
	flat_load_b32 v44, v[44:45]
	s_waitcnt vmcnt(0) lgkmcnt(0)
	v_mul_f32_e32 v44, s19, v44
	s_branch .LBB76_331
.LBB76_330:
	v_mov_b32_e32 v44, 0
.LBB76_331:
	v_dual_add_f32 v37, v1, v37 :: v_dual_add_f32 v36, v0, v36
	v_dual_add_f32 v39, v3, v39 :: v_dual_add_f32 v38, v2, v38
	s_delay_alu instid0(VALU_DEP_2) | instskip(NEXT) | instid1(VALU_DEP_2)
	v_min3_f32 v36, v36, v37, v89
	v_min_f32_e32 v37, v38, v39
	s_delay_alu instid0(VALU_DEP_1)
	v_min3_f32 v38, v44, v37, v36
	v_add_co_u32 v36, vcc_lo, v42, v40
	v_add_co_ci_u32_e32 v37, vcc_lo, v43, v41, vcc_lo
	global_store_b32 v[36:37], v38, off
.LBB76_332:
	s_or_b32 exec_lo, exec_lo, s8
	v_add_nc_u32_e32 v40, 0xe0, v130
	s_delay_alu instid0(VALU_DEP_1) | instskip(SKIP_2) | instid1(VALU_DEP_3)
	v_mad_i64_i32 v[36:37], null, v40, s14, 0
	v_mad_i64_i32 v[38:39], null, v40, s9, 0
	v_cmp_gt_i32_e64 s8, s17, v40
	v_lshlrev_b64 v[36:37], 2, v[36:37]
	s_delay_alu instid0(VALU_DEP_2) | instskip(NEXT) | instid1(VALU_DEP_3)
	s_and_b32 s9, s0, s8
	v_lshlrev_b64 v[38:39], 2, v[38:39]
	s_delay_alu instid0(VALU_DEP_2) | instskip(NEXT) | instid1(VALU_DEP_3)
	v_add_co_u32 v40, vcc_lo, s12, v36
	v_add_co_ci_u32_e32 v41, vcc_lo, s13, v37, vcc_lo
	s_delay_alu instid0(VALU_DEP_3) | instskip(NEXT) | instid1(VALU_DEP_4)
	v_add_co_u32 v38, vcc_lo, s10, v38
	v_add_co_ci_u32_e32 v39, vcc_lo, s11, v39, vcc_lo
	s_and_saveexec_b32 s0, s9
	s_cbranch_execnz .LBB76_341
; %bb.333:
	s_or_b32 exec_lo, exec_lo, s0
	s_and_b32 s1, s1, s8
	s_delay_alu instid0(SALU_CYCLE_1)
	s_and_saveexec_b32 s0, s1
	s_cbranch_execnz .LBB76_345
.LBB76_334:
	s_or_b32 exec_lo, exec_lo, s0
	s_and_b32 s1, s2, s8
	s_delay_alu instid0(SALU_CYCLE_1)
	s_and_saveexec_b32 s0, s1
	s_cbranch_execnz .LBB76_349
.LBB76_335:
	s_or_b32 exec_lo, exec_lo, s0
	s_and_b32 s1, s3, s8
	s_delay_alu instid0(SALU_CYCLE_1)
	s_and_saveexec_b32 s0, s1
	s_cbranch_execnz .LBB76_353
.LBB76_336:
	s_or_b32 exec_lo, exec_lo, s0
	s_and_b32 s1, s4, s8
	s_delay_alu instid0(SALU_CYCLE_1)
	s_and_saveexec_b32 s0, s1
	s_cbranch_execnz .LBB76_357
.LBB76_337:
	s_or_b32 exec_lo, exec_lo, s0
	s_and_b32 s1, s5, s8
	s_delay_alu instid0(SALU_CYCLE_1)
	s_and_saveexec_b32 s0, s1
	s_cbranch_execnz .LBB76_361
.LBB76_338:
	s_or_b32 exec_lo, exec_lo, s0
	s_and_b32 s1, s6, s8
	s_delay_alu instid0(SALU_CYCLE_1)
	s_and_saveexec_b32 s0, s1
	s_cbranch_execnz .LBB76_365
.LBB76_339:
	s_or_b32 exec_lo, exec_lo, s0
	s_and_b32 s0, s7, s8
	s_delay_alu instid0(SALU_CYCLE_1)
	s_and_saveexec_b32 s1, s0
	s_cbranch_execnz .LBB76_369
.LBB76_340:
	s_nop 0
	s_sendmsg sendmsg(MSG_DEALLOC_VGPRS)
	s_endpgm
.LBB76_341:
	v_cmp_ne_u32_e32 vcc_lo, 1, v121
	v_lshlrev_b64 v[36:37], 2, v[64:65]
	s_cbranch_vccnz .LBB76_343
; %bb.342:
	s_delay_alu instid0(VALU_DEP_1) | instskip(NEXT) | instid1(VALU_DEP_2)
	v_add_co_u32 v42, vcc_lo, v40, v36
	v_add_co_ci_u32_e32 v43, vcc_lo, v41, v37, vcc_lo
	flat_load_b32 v42, v[42:43]
	s_waitcnt vmcnt(0) lgkmcnt(0)
	v_mul_f32_e32 v42, s19, v42
	s_branch .LBB76_344
.LBB76_343:
	v_mov_b32_e32 v42, 0
.LBB76_344:
	v_dual_add_f32 v33, v33, v5 :: v_dual_add_f32 v32, v32, v4
	v_dual_add_f32 v35, v35, v7 :: v_dual_add_f32 v34, v34, v6
	s_delay_alu instid0(VALU_DEP_2) | instskip(NEXT) | instid1(VALU_DEP_2)
	v_min3_f32 v32, v32, v33, v88
	v_min_f32_e32 v33, v34, v35
	s_delay_alu instid0(VALU_DEP_1)
	v_min3_f32 v34, v42, v33, v32
	v_add_co_u32 v32, vcc_lo, v38, v36
	v_add_co_ci_u32_e32 v33, vcc_lo, v39, v37, vcc_lo
	global_store_b32 v[32:33], v34, off
	s_or_b32 exec_lo, exec_lo, s0
	s_and_b32 s1, s1, s8
	s_delay_alu instid0(SALU_CYCLE_1)
	s_and_saveexec_b32 s0, s1
	s_cbranch_execz .LBB76_334
.LBB76_345:
	v_cmp_ne_u32_e32 vcc_lo, 1, v121
	v_lshlrev_b64 v[32:33], 2, v[66:67]
	s_cbranch_vccnz .LBB76_347
; %bb.346:
	s_delay_alu instid0(VALU_DEP_1) | instskip(NEXT) | instid1(VALU_DEP_2)
	v_add_co_u32 v34, vcc_lo, v40, v32
	v_add_co_ci_u32_e32 v35, vcc_lo, v41, v33, vcc_lo
	flat_load_b32 v34, v[34:35]
	s_waitcnt vmcnt(0) lgkmcnt(0)
	v_mul_f32_e32 v34, s19, v34
	s_branch .LBB76_348
.LBB76_347:
	v_mov_b32_e32 v34, 0
.LBB76_348:
	v_dual_add_f32 v29, v29, v5 :: v_dual_add_f32 v28, v28, v4
	v_dual_add_f32 v31, v31, v7 :: v_dual_add_f32 v30, v30, v6
	s_delay_alu instid0(VALU_DEP_2) | instskip(NEXT) | instid1(VALU_DEP_2)
	v_min3_f32 v28, v28, v29, v87
	v_min_f32_e32 v29, v30, v31
	s_delay_alu instid0(VALU_DEP_1)
	v_min3_f32 v30, v34, v29, v28
	v_add_co_u32 v28, vcc_lo, v38, v32
	v_add_co_ci_u32_e32 v29, vcc_lo, v39, v33, vcc_lo
	global_store_b32 v[28:29], v30, off
	s_or_b32 exec_lo, exec_lo, s0
	s_and_b32 s1, s2, s8
	s_delay_alu instid0(SALU_CYCLE_1)
	s_and_saveexec_b32 s0, s1
	s_cbranch_execz .LBB76_335
.LBB76_349:
	v_cmp_ne_u32_e32 vcc_lo, 1, v121
	v_lshlrev_b64 v[28:29], 2, v[68:69]
	s_cbranch_vccnz .LBB76_351
; %bb.350:
	s_delay_alu instid0(VALU_DEP_1) | instskip(NEXT) | instid1(VALU_DEP_2)
	v_add_co_u32 v30, vcc_lo, v40, v28
	v_add_co_ci_u32_e32 v31, vcc_lo, v41, v29, vcc_lo
	flat_load_b32 v30, v[30:31]
	s_waitcnt vmcnt(0) lgkmcnt(0)
	v_mul_f32_e32 v30, s19, v30
	s_branch .LBB76_352
.LBB76_351:
	v_mov_b32_e32 v30, 0
.LBB76_352:
	v_dual_add_f32 v25, v25, v5 :: v_dual_add_f32 v24, v24, v4
	v_dual_add_f32 v27, v27, v7 :: v_dual_add_f32 v26, v26, v6
	s_delay_alu instid0(VALU_DEP_2) | instskip(NEXT) | instid1(VALU_DEP_2)
	v_min3_f32 v24, v24, v25, v86
	v_min_f32_e32 v25, v26, v27
	s_delay_alu instid0(VALU_DEP_1)
	v_min3_f32 v26, v30, v25, v24
	v_add_co_u32 v24, vcc_lo, v38, v28
	v_add_co_ci_u32_e32 v25, vcc_lo, v39, v29, vcc_lo
	global_store_b32 v[24:25], v26, off
	s_or_b32 exec_lo, exec_lo, s0
	s_and_b32 s1, s3, s8
	s_delay_alu instid0(SALU_CYCLE_1)
	s_and_saveexec_b32 s0, s1
	s_cbranch_execz .LBB76_336
.LBB76_353:
	v_cmp_ne_u32_e32 vcc_lo, 1, v121
	v_lshlrev_b64 v[24:25], 2, v[70:71]
	s_cbranch_vccnz .LBB76_355
; %bb.354:
	s_delay_alu instid0(VALU_DEP_1) | instskip(NEXT) | instid1(VALU_DEP_2)
	v_add_co_u32 v26, vcc_lo, v40, v24
	v_add_co_ci_u32_e32 v27, vcc_lo, v41, v25, vcc_lo
	flat_load_b32 v26, v[26:27]
	s_waitcnt vmcnt(0) lgkmcnt(0)
	v_mul_f32_e32 v26, s19, v26
	s_branch .LBB76_356
.LBB76_355:
	v_mov_b32_e32 v26, 0
.LBB76_356:
	v_dual_add_f32 v21, v21, v5 :: v_dual_add_f32 v20, v20, v4
	v_dual_add_f32 v23, v23, v7 :: v_dual_add_f32 v22, v22, v6
	s_delay_alu instid0(VALU_DEP_2) | instskip(NEXT) | instid1(VALU_DEP_2)
	v_min3_f32 v20, v20, v21, v85
	v_min_f32_e32 v21, v22, v23
	s_delay_alu instid0(VALU_DEP_1)
	v_min3_f32 v22, v26, v21, v20
	v_add_co_u32 v20, vcc_lo, v38, v24
	v_add_co_ci_u32_e32 v21, vcc_lo, v39, v25, vcc_lo
	global_store_b32 v[20:21], v22, off
	s_or_b32 exec_lo, exec_lo, s0
	s_and_b32 s1, s4, s8
	s_delay_alu instid0(SALU_CYCLE_1)
	s_and_saveexec_b32 s0, s1
	s_cbranch_execz .LBB76_337
.LBB76_357:
	v_cmp_ne_u32_e32 vcc_lo, 1, v121
	v_lshlrev_b64 v[20:21], 2, v[72:73]
	s_cbranch_vccnz .LBB76_359
; %bb.358:
	s_delay_alu instid0(VALU_DEP_1) | instskip(NEXT) | instid1(VALU_DEP_2)
	v_add_co_u32 v22, vcc_lo, v40, v20
	v_add_co_ci_u32_e32 v23, vcc_lo, v41, v21, vcc_lo
	flat_load_b32 v22, v[22:23]
	s_waitcnt vmcnt(0) lgkmcnt(0)
	v_mul_f32_e32 v22, s19, v22
	s_branch .LBB76_360
.LBB76_359:
	v_mov_b32_e32 v22, 0
.LBB76_360:
	v_dual_add_f32 v17, v17, v5 :: v_dual_add_f32 v16, v16, v4
	v_dual_add_f32 v19, v19, v7 :: v_dual_add_f32 v18, v18, v6
	s_delay_alu instid0(VALU_DEP_2) | instskip(NEXT) | instid1(VALU_DEP_2)
	v_min3_f32 v16, v16, v17, v84
	v_min_f32_e32 v17, v18, v19
	s_delay_alu instid0(VALU_DEP_1)
	v_min3_f32 v18, v22, v17, v16
	v_add_co_u32 v16, vcc_lo, v38, v20
	v_add_co_ci_u32_e32 v17, vcc_lo, v39, v21, vcc_lo
	global_store_b32 v[16:17], v18, off
	s_or_b32 exec_lo, exec_lo, s0
	s_and_b32 s1, s5, s8
	s_delay_alu instid0(SALU_CYCLE_1)
	s_and_saveexec_b32 s0, s1
	s_cbranch_execz .LBB76_338
.LBB76_361:
	v_cmp_ne_u32_e32 vcc_lo, 1, v121
	v_lshlrev_b64 v[16:17], 2, v[74:75]
	s_cbranch_vccnz .LBB76_363
; %bb.362:
	s_delay_alu instid0(VALU_DEP_1) | instskip(NEXT) | instid1(VALU_DEP_2)
	v_add_co_u32 v18, vcc_lo, v40, v16
	v_add_co_ci_u32_e32 v19, vcc_lo, v41, v17, vcc_lo
	flat_load_b32 v18, v[18:19]
	s_waitcnt vmcnt(0) lgkmcnt(0)
	v_mul_f32_e32 v18, s19, v18
	s_branch .LBB76_364
.LBB76_363:
	v_mov_b32_e32 v18, 0
.LBB76_364:
	v_dual_add_f32 v13, v13, v5 :: v_dual_add_f32 v12, v12, v4
	v_dual_add_f32 v15, v15, v7 :: v_dual_add_f32 v14, v14, v6
	s_delay_alu instid0(VALU_DEP_2) | instskip(NEXT) | instid1(VALU_DEP_2)
	v_min3_f32 v12, v12, v13, v83
	v_min_f32_e32 v13, v14, v15
	s_delay_alu instid0(VALU_DEP_1)
	v_min3_f32 v14, v18, v13, v12
	v_add_co_u32 v12, vcc_lo, v38, v16
	v_add_co_ci_u32_e32 v13, vcc_lo, v39, v17, vcc_lo
	global_store_b32 v[12:13], v14, off
	s_or_b32 exec_lo, exec_lo, s0
	s_and_b32 s1, s6, s8
	s_delay_alu instid0(SALU_CYCLE_1)
	s_and_saveexec_b32 s0, s1
	s_cbranch_execz .LBB76_339
.LBB76_365:
	v_cmp_ne_u32_e32 vcc_lo, 1, v121
	v_lshlrev_b64 v[12:13], 2, v[76:77]
	s_cbranch_vccnz .LBB76_367
; %bb.366:
	s_delay_alu instid0(VALU_DEP_1) | instskip(NEXT) | instid1(VALU_DEP_2)
	v_add_co_u32 v14, vcc_lo, v40, v12
	v_add_co_ci_u32_e32 v15, vcc_lo, v41, v13, vcc_lo
	flat_load_b32 v14, v[14:15]
	s_waitcnt vmcnt(0) lgkmcnt(0)
	v_mul_f32_e32 v14, s19, v14
	s_branch .LBB76_368
.LBB76_367:
	v_mov_b32_e32 v14, 0
.LBB76_368:
	v_dual_add_f32 v9, v9, v5 :: v_dual_add_f32 v8, v8, v4
	v_dual_add_f32 v11, v11, v7 :: v_dual_add_f32 v10, v10, v6
	s_delay_alu instid0(VALU_DEP_2) | instskip(NEXT) | instid1(VALU_DEP_2)
	v_min3_f32 v8, v8, v9, v82
	v_min_f32_e32 v9, v10, v11
	s_delay_alu instid0(VALU_DEP_1)
	v_min3_f32 v10, v14, v9, v8
	v_add_co_u32 v8, vcc_lo, v38, v12
	v_add_co_ci_u32_e32 v9, vcc_lo, v39, v13, vcc_lo
	global_store_b32 v[8:9], v10, off
	s_or_b32 exec_lo, exec_lo, s0
	s_and_b32 s0, s7, s8
	s_delay_alu instid0(SALU_CYCLE_1)
	s_and_saveexec_b32 s1, s0
	s_cbranch_execz .LBB76_340
.LBB76_369:
	v_cmp_ne_u32_e32 vcc_lo, 1, v121
	v_lshlrev_b64 v[8:9], 2, v[78:79]
	s_cbranch_vccnz .LBB76_371
; %bb.370:
	s_delay_alu instid0(VALU_DEP_1) | instskip(NEXT) | instid1(VALU_DEP_2)
	v_add_co_u32 v10, vcc_lo, v40, v8
	v_add_co_ci_u32_e32 v11, vcc_lo, v41, v9, vcc_lo
	flat_load_b32 v10, v[10:11]
	s_waitcnt vmcnt(0) lgkmcnt(0)
	v_mul_f32_e32 v10, s19, v10
	s_branch .LBB76_372
.LBB76_371:
	v_mov_b32_e32 v10, 0
.LBB76_372:
	v_dual_add_f32 v1, v1, v5 :: v_dual_add_f32 v0, v0, v4
	v_dual_add_f32 v3, v3, v7 :: v_dual_add_f32 v2, v2, v6
	s_delay_alu instid0(VALU_DEP_2) | instskip(NEXT) | instid1(VALU_DEP_2)
	v_min3_f32 v0, v0, v1, v92
	v_min_f32_e32 v1, v2, v3
	s_delay_alu instid0(VALU_DEP_1)
	v_min3_f32 v2, v10, v1, v0
	v_add_co_u32 v0, vcc_lo, v38, v8
	v_add_co_ci_u32_e32 v1, vcc_lo, v39, v9, vcc_lo
	global_store_b32 v[0:1], v2, off
	s_nop 0
	s_sendmsg sendmsg(MSG_DEALLOC_VGPRS)
	s_endpgm
	.section	.rodata,"a",@progbits
	.p2align	6, 0x0
	.amdhsa_kernel _ZN12_GLOBAL__N_120geam_min_plus_kernelIf15HIP_vector_typeIfLj2EEfLi8ELi32ELi64ELi256ELi4ELi4ELi64ELi64ELi4ELc84ELc84ELb1ELb1ELb1EfKffEEviiiT16_PT17_ilS6_ilS4_S6_ilPT18_ili26rocblas_geam_ex_operation_
		.amdhsa_group_segment_fixed_size 10240
		.amdhsa_private_segment_fixed_size 0
		.amdhsa_kernarg_size 128
		.amdhsa_user_sgpr_count 14
		.amdhsa_user_sgpr_dispatch_ptr 0
		.amdhsa_user_sgpr_queue_ptr 0
		.amdhsa_user_sgpr_kernarg_segment_ptr 1
		.amdhsa_user_sgpr_dispatch_id 0
		.amdhsa_user_sgpr_private_segment_size 0
		.amdhsa_wavefront_size32 1
		.amdhsa_uses_dynamic_stack 0
		.amdhsa_enable_private_segment 0
		.amdhsa_system_sgpr_workgroup_id_x 1
		.amdhsa_system_sgpr_workgroup_id_y 0
		.amdhsa_system_sgpr_workgroup_id_z 1
		.amdhsa_system_sgpr_workgroup_info 0
		.amdhsa_system_vgpr_workitem_id 1
		.amdhsa_next_free_vgpr 202
		.amdhsa_next_free_sgpr 31
		.amdhsa_reserve_vcc 1
		.amdhsa_float_round_mode_32 0
		.amdhsa_float_round_mode_16_64 0
		.amdhsa_float_denorm_mode_32 3
		.amdhsa_float_denorm_mode_16_64 3
		.amdhsa_dx10_clamp 1
		.amdhsa_ieee_mode 1
		.amdhsa_fp16_overflow 0
		.amdhsa_workgroup_processor_mode 1
		.amdhsa_memory_ordered 1
		.amdhsa_forward_progress 0
		.amdhsa_shared_vgpr_count 0
		.amdhsa_exception_fp_ieee_invalid_op 0
		.amdhsa_exception_fp_denorm_src 0
		.amdhsa_exception_fp_ieee_div_zero 0
		.amdhsa_exception_fp_ieee_overflow 0
		.amdhsa_exception_fp_ieee_underflow 0
		.amdhsa_exception_fp_ieee_inexact 0
		.amdhsa_exception_int_div_zero 0
	.end_amdhsa_kernel
	.section	.text._ZN12_GLOBAL__N_120geam_min_plus_kernelIf15HIP_vector_typeIfLj2EEfLi8ELi32ELi64ELi256ELi4ELi4ELi64ELi64ELi4ELc84ELc84ELb1ELb1ELb1EfKffEEviiiT16_PT17_ilS6_ilS4_S6_ilPT18_ili26rocblas_geam_ex_operation_,"axG",@progbits,_ZN12_GLOBAL__N_120geam_min_plus_kernelIf15HIP_vector_typeIfLj2EEfLi8ELi32ELi64ELi256ELi4ELi4ELi64ELi64ELi4ELc84ELc84ELb1ELb1ELb1EfKffEEviiiT16_PT17_ilS6_ilS4_S6_ilPT18_ili26rocblas_geam_ex_operation_,comdat
.Lfunc_end76:
	.size	_ZN12_GLOBAL__N_120geam_min_plus_kernelIf15HIP_vector_typeIfLj2EEfLi8ELi32ELi64ELi256ELi4ELi4ELi64ELi64ELi4ELc84ELc84ELb1ELb1ELb1EfKffEEviiiT16_PT17_ilS6_ilS4_S6_ilPT18_ili26rocblas_geam_ex_operation_, .Lfunc_end76-_ZN12_GLOBAL__N_120geam_min_plus_kernelIf15HIP_vector_typeIfLj2EEfLi8ELi32ELi64ELi256ELi4ELi4ELi64ELi64ELi4ELc84ELc84ELb1ELb1ELb1EfKffEEviiiT16_PT17_ilS6_ilS4_S6_ilPT18_ili26rocblas_geam_ex_operation_
                                        ; -- End function
	.section	.AMDGPU.csdata,"",@progbits
; Kernel info:
; codeLenInByte = 20708
; NumSgprs: 33
; NumVgprs: 202
; ScratchSize: 0
; MemoryBound: 0
; FloatMode: 240
; IeeeMode: 1
; LDSByteSize: 10240 bytes/workgroup (compile time only)
; SGPRBlocks: 4
; VGPRBlocks: 25
; NumSGPRsForWavesPerEU: 33
; NumVGPRsForWavesPerEU: 202
; Occupancy: 7
; WaveLimiterHint : 0
; COMPUTE_PGM_RSRC2:SCRATCH_EN: 0
; COMPUTE_PGM_RSRC2:USER_SGPR: 14
; COMPUTE_PGM_RSRC2:TRAP_HANDLER: 0
; COMPUTE_PGM_RSRC2:TGID_X_EN: 1
; COMPUTE_PGM_RSRC2:TGID_Y_EN: 0
; COMPUTE_PGM_RSRC2:TGID_Z_EN: 1
; COMPUTE_PGM_RSRC2:TIDIG_COMP_CNT: 1
	.section	.text._ZN12_GLOBAL__N_120geam_min_plus_kernelIf15HIP_vector_typeIfLj2EEfLi8ELi32ELi64ELi256ELi4ELi4ELi64ELi64ELi4ELc84ELc84ELb0ELb1ELb1EfKffEEviiiT16_PT17_ilS6_ilS4_S6_ilPT18_ili26rocblas_geam_ex_operation_,"axG",@progbits,_ZN12_GLOBAL__N_120geam_min_plus_kernelIf15HIP_vector_typeIfLj2EEfLi8ELi32ELi64ELi256ELi4ELi4ELi64ELi64ELi4ELc84ELc84ELb0ELb1ELb1EfKffEEviiiT16_PT17_ilS6_ilS4_S6_ilPT18_ili26rocblas_geam_ex_operation_,comdat
	.globl	_ZN12_GLOBAL__N_120geam_min_plus_kernelIf15HIP_vector_typeIfLj2EEfLi8ELi32ELi64ELi256ELi4ELi4ELi64ELi64ELi4ELc84ELc84ELb0ELb1ELb1EfKffEEviiiT16_PT17_ilS6_ilS4_S6_ilPT18_ili26rocblas_geam_ex_operation_ ; -- Begin function _ZN12_GLOBAL__N_120geam_min_plus_kernelIf15HIP_vector_typeIfLj2EEfLi8ELi32ELi64ELi256ELi4ELi4ELi64ELi64ELi4ELc84ELc84ELb0ELb1ELb1EfKffEEviiiT16_PT17_ilS6_ilS4_S6_ilPT18_ili26rocblas_geam_ex_operation_
	.p2align	8
	.type	_ZN12_GLOBAL__N_120geam_min_plus_kernelIf15HIP_vector_typeIfLj2EEfLi8ELi32ELi64ELi256ELi4ELi4ELi64ELi64ELi4ELc84ELc84ELb0ELb1ELb1EfKffEEviiiT16_PT17_ilS6_ilS4_S6_ilPT18_ili26rocblas_geam_ex_operation_,@function
_ZN12_GLOBAL__N_120geam_min_plus_kernelIf15HIP_vector_typeIfLj2EEfLi8ELi32ELi64ELi256ELi4ELi4ELi64ELi64ELi4ELc84ELc84ELb0ELb1ELb1EfKffEEviiiT16_PT17_ilS6_ilS4_S6_ilPT18_ili26rocblas_geam_ex_operation_: ; @_ZN12_GLOBAL__N_120geam_min_plus_kernelIf15HIP_vector_typeIfLj2EEfLi8ELi32ELi64ELi256ELi4ELi4ELi64ELi64ELi4ELc84ELc84ELb0ELb1ELb1EfKffEEviiiT16_PT17_ilS6_ilS4_S6_ilPT18_ili26rocblas_geam_ex_operation_
; %bb.0:
	s_clause 0x1
	s_load_b128 s[16:19], s[0:1], 0x0
	s_load_b128 s[4:7], s[0:1], 0x20
	s_mov_b64 s[22:23], 0
	s_waitcnt lgkmcnt(0)
	v_cmp_eq_f32_e64 s27, s19, 0
	v_cmp_neq_f32_e64 s2, s19, 0
	s_delay_alu instid0(VALU_DEP_2)
	s_and_b32 vcc_lo, exec_lo, s27
	s_cbranch_vccnz .LBB77_2
; %bb.1:
	s_load_b64 s[8:9], s[0:1], 0x10
	s_mul_i32 s3, s15, s5
	s_mul_hi_u32 s5, s15, s4
	s_mul_i32 s4, s15, s4
	s_add_i32 s5, s5, s3
	s_delay_alu instid0(SALU_CYCLE_1)
	s_lshl_b64 s[4:5], s[4:5], 2
	s_waitcnt lgkmcnt(0)
	s_add_u32 s22, s8, s4
	s_addc_u32 s23, s9, s5
.LBB77_2:
	s_delay_alu instid0(VALU_DEP_1)
	s_and_b32 vcc_lo, exec_lo, s2
	s_cbranch_vccz .LBB77_4
; %bb.3:
	s_load_b64 s[2:3], s[0:1], 0x38
	s_mov_b32 s26, 0
	s_waitcnt lgkmcnt(0)
	s_mul_i32 s3, s15, s3
	s_mul_hi_u32 s4, s15, s2
	s_mul_i32 s2, s15, s2
	s_add_i32 s3, s4, s3
	s_delay_alu instid0(SALU_CYCLE_1) | instskip(NEXT) | instid1(SALU_CYCLE_1)
	s_lshl_b64 s[2:3], s[2:3], 2
	s_add_u32 s20, s6, s2
	s_addc_u32 s21, s7, s3
	s_cbranch_execz .LBB77_5
	s_branch .LBB77_6
.LBB77_4:
	s_mov_b32 s26, -1
                                        ; implicit-def: $sgpr20_sgpr21
.LBB77_5:
	s_mov_b32 s26, 0
	s_mov_b64 s[20:21], 0
.LBB77_6:
	s_clause 0x1
	s_load_b32 s24, s[0:1], 0x40
	s_load_b128 s[8:11], s[0:1], 0x58
	s_waitcnt lgkmcnt(0)
	v_cmp_eq_f32_e64 s2, s24, 0
	v_cmp_neq_f32_e64 s25, s24, 0
	s_delay_alu instid0(VALU_DEP_2)
	s_and_b32 vcc_lo, exec_lo, s2
	s_cbranch_vccnz .LBB77_8
; %bb.7:
	s_load_b64 s[2:3], s[0:1], 0x48
	s_mul_i32 s4, s15, s9
	s_mul_hi_u32 s5, s15, s8
	s_delay_alu instid0(SALU_CYCLE_1) | instskip(SKIP_1) | instid1(SALU_CYCLE_1)
	s_add_i32 s4, s5, s4
	s_mul_i32 s5, s26, s8
	s_add_i32 s5, s4, s5
	s_mul_i32 s4, s15, s8
	s_delay_alu instid0(SALU_CYCLE_1)
	s_lshl_b64 s[4:5], s[4:5], 2
	s_waitcnt lgkmcnt(0)
	s_add_u32 s12, s2, s4
	s_addc_u32 s13, s3, s5
	s_branch .LBB77_9
.LBB77_8:
	s_mov_b64 s[12:13], 0
.LBB77_9:
	s_add_i32 s4, s16, -1
	v_and_b32_e32 v68, 0x3ff, v0
	s_ashr_i32 s2, s4, 31
	v_bfe_u32 v69, v0, 10, 10
	s_lshr_b32 s2, s2, 26
	s_load_b32 s29, s[0:1], 0x18
	s_add_i32 s2, s4, s2
	v_and_b32_e32 v70, 3, v68
	s_ashr_i32 s2, s2, 6
	v_lshl_add_u32 v2, v69, 3, v68
	s_add_i32 s5, s2, 1
	s_not_b32 s2, s2
	v_cvt_f32_u32_e32 v1, s5
	v_lshlrev_b32_e32 v66, 2, v70
	v_lshrrev_b32_e32 v0, 2, v2
	s_delay_alu instid0(VALU_DEP_3) | instskip(SKIP_2) | instid1(VALU_DEP_1)
	v_rcp_iflag_f32_e32 v1, v1
	s_waitcnt_depctr 0xfff
	v_mul_f32_e32 v1, 0x4f7ffffe, v1
	v_cvt_u32_f32_e32 v1, v1
	s_delay_alu instid0(VALU_DEP_1) | instskip(NEXT) | instid1(VALU_DEP_1)
	v_readfirstlane_b32 s3, v1
	s_mul_i32 s2, s2, s3
	s_delay_alu instid0(SALU_CYCLE_1) | instskip(NEXT) | instid1(SALU_CYCLE_1)
	s_mul_hi_u32 s2, s3, s2
	s_add_i32 s3, s3, s2
	s_delay_alu instid0(SALU_CYCLE_1) | instskip(NEXT) | instid1(SALU_CYCLE_1)
	s_mul_hi_u32 s2, s14, s3
	s_mul_i32 s3, s2, s5
	s_add_i32 s6, s2, 1
	s_sub_i32 s3, s14, s3
	s_delay_alu instid0(SALU_CYCLE_1)
	s_sub_i32 s7, s3, s5
	s_cmp_ge_u32 s3, s5
	s_cselect_b32 s2, s6, s2
	s_cselect_b32 s3, s7, s3
	s_add_i32 s6, s2, 1
	s_cmp_ge_u32 s3, s5
	s_cselect_b32 s3, s6, s2
	s_delay_alu instid0(SALU_CYCLE_1) | instskip(NEXT) | instid1(SALU_CYCLE_1)
	s_mul_i32 s2, s3, s5
	s_sub_i32 s2, s14, s2
	s_delay_alu instid0(SALU_CYCLE_1) | instskip(SKIP_2) | instid1(VALU_DEP_1)
	s_lshl_b32 s8, s2, 6
	v_cmp_le_i32_e64 s2, s18, v70
	v_add_nc_u32_e32 v1, s8, v0
	v_cmp_le_i32_e32 vcc_lo, s16, v1
	v_min_i32_e32 v67, s4, v1
	s_delay_alu instid0(VALU_DEP_4) | instskip(NEXT) | instid1(SALU_CYCLE_1)
	s_or_b32 s2, s2, vcc_lo
	v_cndmask_b32_e64 v1, 0, 0x7f7fffff, s2
	s_or_b32 s2, s27, s2
	s_delay_alu instid0(SALU_CYCLE_1) | instskip(NEXT) | instid1(SALU_CYCLE_1)
	s_xor_b32 s2, s2, -1
	s_and_saveexec_b32 s4, s2
	s_cbranch_execz .LBB77_11
; %bb.10:
	s_waitcnt lgkmcnt(0)
	v_mad_i64_i32 v[3:4], null, v67, s29, 0
	s_delay_alu instid0(VALU_DEP_1) | instskip(NEXT) | instid1(VALU_DEP_1)
	v_lshlrev_b64 v[3:4], 2, v[3:4]
	v_add_co_u32 v1, s2, s22, v3
	s_delay_alu instid0(VALU_DEP_1) | instskip(NEXT) | instid1(VALU_DEP_2)
	v_add_co_ci_u32_e64 v4, s2, s23, v4, s2
	v_add_co_u32 v3, s2, v1, v66
	s_delay_alu instid0(VALU_DEP_1)
	v_add_co_ci_u32_e64 v4, s2, 0, v4, s2
	flat_load_b32 v1, v[3:4]
	s_waitcnt vmcnt(0) lgkmcnt(0)
	v_mul_f32_e32 v1, s19, v1
.LBB77_11:
	s_or_b32 exec_lo, exec_lo, s4
	s_load_b32 s14, s[0:1], 0x30
	v_lshrrev_b32_e32 v71, 6, v2
	s_add_i32 s28, s18, -1
	v_and_b32_e32 v2, 63, v2
	s_lshl_b32 s9, s3, 8
	s_delay_alu instid0(VALU_DEP_2) | instskip(SKIP_1) | instid1(VALU_DEP_3)
	v_min_i32_e32 v5, s28, v71
	v_cmp_le_i32_e64 s6, s18, v71
	v_or_b32_e32 v64, s9, v2
	s_delay_alu instid0(VALU_DEP_1) | instskip(SKIP_1) | instid1(VALU_DEP_2)
	v_cmp_le_i32_e64 s2, s17, v64
	v_ashrrev_i32_e32 v65, 31, v64
	s_or_b32 s4, s2, s6
	s_waitcnt lgkmcnt(0)
	v_mad_i64_i32 v[3:4], null, s14, v5, 0
	s_delay_alu instid0(VALU_DEP_1) | instskip(SKIP_1) | instid1(VALU_DEP_2)
	v_lshlrev_b64 v[4:5], 2, v[3:4]
	v_cndmask_b32_e64 v3, 0, 0x7f7fffff, s4
	v_add_co_u32 v7, s3, s20, v4
	s_delay_alu instid0(VALU_DEP_1) | instskip(SKIP_1) | instid1(SALU_CYCLE_1)
	v_add_co_ci_u32_e64 v8, s3, s21, v5, s3
	s_or_b32 s3, s27, s4
	s_xor_b32 s3, s3, -1
	s_delay_alu instid0(SALU_CYCLE_1)
	s_and_saveexec_b32 s4, s3
	s_cbranch_execz .LBB77_13
; %bb.12:
	v_lshlrev_b64 v[3:4], 2, v[64:65]
	s_delay_alu instid0(VALU_DEP_1) | instskip(NEXT) | instid1(VALU_DEP_1)
	v_add_co_u32 v3, s3, v7, v3
	v_add_co_ci_u32_e64 v4, s3, v8, v4, s3
	flat_load_b32 v3, v[3:4]
	s_waitcnt vmcnt(0) lgkmcnt(0)
	v_mul_f32_e32 v3, s19, v3
.LBB77_13:
	s_or_b32 exec_lo, exec_lo, s4
	v_or_b32_e32 v4, 64, v64
	s_delay_alu instid0(VALU_DEP_1) | instskip(NEXT) | instid1(VALU_DEP_1)
	v_cmp_le_i32_e64 s3, s17, v4
	s_or_b32 s4, s3, s6
	s_delay_alu instid0(SALU_CYCLE_1) | instskip(SKIP_1) | instid1(SALU_CYCLE_1)
	v_cndmask_b32_e64 v4, 0, 0x7f7fffff, s4
	s_or_b32 s4, s27, s4
	s_xor_b32 s4, s4, -1
	s_delay_alu instid0(SALU_CYCLE_1)
	s_and_saveexec_b32 s5, s4
	s_cbranch_execz .LBB77_15
; %bb.14:
	v_lshlrev_b64 v[4:5], 2, v[64:65]
	s_delay_alu instid0(VALU_DEP_1) | instskip(NEXT) | instid1(VALU_DEP_1)
	v_add_co_u32 v4, s4, v7, v4
	v_add_co_ci_u32_e64 v5, s4, v8, v5, s4
	flat_load_b32 v4, v[4:5] offset:256
	s_waitcnt vmcnt(0) lgkmcnt(0)
	v_mul_f32_e32 v4, s19, v4
.LBB77_15:
	s_or_b32 exec_lo, exec_lo, s5
	v_or_b32_e32 v5, 0x80, v64
	s_delay_alu instid0(VALU_DEP_1) | instskip(NEXT) | instid1(VALU_DEP_1)
	v_cmp_le_i32_e64 s4, s17, v5
	s_or_b32 s5, s4, s6
	s_delay_alu instid0(SALU_CYCLE_1) | instskip(SKIP_1) | instid1(SALU_CYCLE_1)
	v_cndmask_b32_e64 v5, 0, 0x7f7fffff, s5
	s_or_b32 s5, s27, s5
	s_xor_b32 s5, s5, -1
	s_delay_alu instid0(SALU_CYCLE_1)
	s_and_saveexec_b32 s7, s5
	s_cbranch_execz .LBB77_17
; %bb.16:
	v_lshlrev_b64 v[5:6], 2, v[64:65]
	s_delay_alu instid0(VALU_DEP_1) | instskip(NEXT) | instid1(VALU_DEP_1)
	v_add_co_u32 v5, s5, v7, v5
	v_add_co_ci_u32_e64 v6, s5, v8, v6, s5
	flat_load_b32 v5, v[5:6] offset:512
	s_waitcnt vmcnt(0) lgkmcnt(0)
	v_mul_f32_e32 v5, s19, v5
.LBB77_17:
	;; [unrolled: 21-line block ×3, first 2 shown]
	s_or_b32 exec_lo, exec_lo, s7
	v_or_b32_e32 v7, 4, v70
	s_delay_alu instid0(VALU_DEP_1) | instskip(NEXT) | instid1(VALU_DEP_1)
	v_cmp_le_i32_e64 s6, s18, v7
	s_or_b32 s6, s6, vcc_lo
	s_delay_alu instid0(SALU_CYCLE_1) | instskip(SKIP_1) | instid1(SALU_CYCLE_1)
	v_cndmask_b32_e64 v121, 0, 0x7f7fffff, s6
	s_or_b32 s6, s27, s6
	s_xor_b32 s6, s6, -1
	s_delay_alu instid0(SALU_CYCLE_1)
	s_and_saveexec_b32 s7, s6
	s_cbranch_execz .LBB77_21
; %bb.20:
	v_mad_i64_i32 v[7:8], null, v67, s29, 0
	s_delay_alu instid0(VALU_DEP_1) | instskip(NEXT) | instid1(VALU_DEP_1)
	v_lshlrev_b64 v[7:8], 2, v[7:8]
	v_add_co_u32 v7, s6, s22, v7
	s_delay_alu instid0(VALU_DEP_1) | instskip(NEXT) | instid1(VALU_DEP_2)
	v_add_co_ci_u32_e64 v8, s6, s23, v8, s6
	v_add_co_u32 v7, s6, v7, v66
	s_delay_alu instid0(VALU_DEP_1)
	v_add_co_ci_u32_e64 v8, s6, 0, v8, s6
	flat_load_b32 v7, v[7:8] offset:16
	s_waitcnt vmcnt(0) lgkmcnt(0)
	v_mul_f32_e32 v121, s19, v7
.LBB77_21:
	s_or_b32 exec_lo, exec_lo, s7
	v_add_nc_u32_e32 v9, 4, v71
	s_delay_alu instid0(VALU_DEP_1) | instskip(SKIP_1) | instid1(VALU_DEP_2)
	v_min_i32_e32 v10, s28, v9
	v_cmp_le_i32_e64 s6, s18, v9
	v_mad_i64_i32 v[7:8], null, s14, v10, 0
	s_delay_alu instid0(VALU_DEP_1) | instskip(NEXT) | instid1(VALU_DEP_1)
	v_lshlrev_b64 v[7:8], 2, v[7:8]
	v_add_co_u32 v7, s7, s20, v7
	s_delay_alu instid0(VALU_DEP_1) | instskip(SKIP_1) | instid1(SALU_CYCLE_1)
	v_add_co_ci_u32_e64 v8, s7, s21, v8, s7
	s_or_b32 s7, s2, s6
	v_cndmask_b32_e64 v131, 0, 0x7f7fffff, s7
	s_or_b32 s7, s27, s7
	s_delay_alu instid0(SALU_CYCLE_1) | instskip(NEXT) | instid1(SALU_CYCLE_1)
	s_xor_b32 s7, s7, -1
	s_and_saveexec_b32 s30, s7
	s_cbranch_execz .LBB77_23
; %bb.22:
	v_lshlrev_b64 v[9:10], 2, v[64:65]
	s_delay_alu instid0(VALU_DEP_1) | instskip(NEXT) | instid1(VALU_DEP_1)
	v_add_co_u32 v9, s7, v7, v9
	v_add_co_ci_u32_e64 v10, s7, v8, v10, s7
	flat_load_b32 v9, v[9:10]
	s_waitcnt vmcnt(0) lgkmcnt(0)
	v_mul_f32_e32 v131, s19, v9
.LBB77_23:
	s_or_b32 exec_lo, exec_lo, s30
	s_or_b32 s7, s3, s6
	s_delay_alu instid0(SALU_CYCLE_1) | instskip(SKIP_1) | instid1(SALU_CYCLE_1)
	v_cndmask_b32_e64 v141, 0, 0x7f7fffff, s7
	s_or_b32 s7, s27, s7
	s_xor_b32 s7, s7, -1
	s_delay_alu instid0(SALU_CYCLE_1)
	s_and_saveexec_b32 s30, s7
	s_cbranch_execz .LBB77_25
; %bb.24:
	v_lshlrev_b64 v[9:10], 2, v[64:65]
	s_delay_alu instid0(VALU_DEP_1) | instskip(NEXT) | instid1(VALU_DEP_1)
	v_add_co_u32 v9, s7, v7, v9
	v_add_co_ci_u32_e64 v10, s7, v8, v10, s7
	flat_load_b32 v9, v[9:10] offset:256
	s_waitcnt vmcnt(0) lgkmcnt(0)
	v_mul_f32_e32 v141, s19, v9
.LBB77_25:
	s_or_b32 exec_lo, exec_lo, s30
	s_or_b32 s7, s4, s6
	s_delay_alu instid0(SALU_CYCLE_1) | instskip(SKIP_1) | instid1(SALU_CYCLE_1)
	v_cndmask_b32_e64 v142, 0, 0x7f7fffff, s7
	s_or_b32 s7, s27, s7
	s_xor_b32 s7, s7, -1
	s_delay_alu instid0(SALU_CYCLE_1)
	s_and_saveexec_b32 s30, s7
	s_cbranch_execz .LBB77_27
; %bb.26:
	v_lshlrev_b64 v[9:10], 2, v[64:65]
	s_delay_alu instid0(VALU_DEP_1) | instskip(NEXT) | instid1(VALU_DEP_1)
	v_add_co_u32 v9, s7, v7, v9
	v_add_co_ci_u32_e64 v10, s7, v8, v10, s7
	flat_load_b32 v9, v[9:10] offset:512
	s_waitcnt vmcnt(0) lgkmcnt(0)
	v_mul_f32_e32 v142, s19, v9
.LBB77_27:
	;; [unrolled: 18-line block ×3, first 2 shown]
	s_or_b32 exec_lo, exec_lo, s7
	v_lshl_or_b32 v143, v0, 4, v66
	v_lshlrev_b32_e32 v0, 2, v71
	v_lshlrev_b32_e32 v72, 4, v68
	s_cmp_lt_i32 s18, 9
	ds_store_b32 v143, v1 offset:8192
	v_lshl_add_u32 v74, v2, 4, v0
	ds_store_2addr_stride64_b32 v74, v3, v4 offset1:4
	ds_store_2addr_stride64_b32 v74, v5, v6 offset0:8 offset1:12
	s_waitcnt lgkmcnt(0)
	s_barrier
	buffer_gl0_inv
	ds_load_b128 v[32:35], v72 offset:8192
	ds_load_b128 v[28:31], v72 offset:8320
	;; [unrolled: 1-line block ×8, first 2 shown]
	v_lshlrev_b32_e32 v73, 4, v69
	ds_load_b128 v[60:63], v73
	ds_load_b128 v[56:59], v73 offset:512
	ds_load_b128 v[52:55], v73 offset:1024
	;; [unrolled: 1-line block ×7, first 2 shown]
	ds_store_b32 v143, v121 offset:9216
	ds_store_2addr_stride64_b32 v74, v131, v141 offset0:16 offset1:20
	ds_store_2addr_stride64_b32 v74, v142, v144 offset0:24 offset1:28
	s_waitcnt lgkmcnt(0)
	s_barrier
	buffer_gl0_inv
	v_dual_add_f32 v76, v32, v60 :: v_dual_add_f32 v75, v33, v61
	v_add_f32_e32 v77, v28, v60
	v_add_f32_e32 v78, v24, v60
	;; [unrolled: 1-line block ×4, first 2 shown]
	v_min3_f32 v75, v76, v75, 0x7f7fffff
	v_dual_add_f32 v76, v29, v61 :: v_dual_add_f32 v79, v16, v60
	s_delay_alu instid0(VALU_DEP_1) | instskip(SKIP_1) | instid1(VALU_DEP_1)
	v_min3_f32 v76, v77, v76, 0x7f7fffff
	v_add_f32_e32 v77, v25, v61
	v_min3_f32 v77, v78, v77, 0x7f7fffff
	v_add_f32_e32 v78, v17, v61
	s_delay_alu instid0(VALU_DEP_1) | instskip(SKIP_1) | instid1(VALU_DEP_1)
	v_min3_f32 v78, v79, v78, 0x7f7fffff
	v_add_f32_e32 v79, v13, v61
	v_min3_f32 v80, v80, v79, 0x7f7fffff
	v_add_f32_e32 v79, v9, v61
	s_delay_alu instid0(VALU_DEP_1) | instskip(SKIP_3) | instid1(VALU_DEP_1)
	v_min3_f32 v117, v81, v79, 0x7f7fffff
	v_add_f32_e32 v79, v5, v61
	v_add_f32_e32 v81, v4, v60
	v_dual_add_f32 v61, v1, v61 :: v_dual_add_f32 v60, v0, v60
	v_min3_f32 v119, v60, v61, 0x7f7fffff
	v_dual_add_f32 v60, v33, v57 :: v_dual_add_f32 v61, v32, v56
	s_delay_alu instid0(VALU_DEP_1) | instskip(SKIP_3) | instid1(VALU_DEP_3)
	v_min3_f32 v116, v61, v60, 0x7f7fffff
	v_dual_add_f32 v60, v29, v57 :: v_dual_add_f32 v61, v28, v56
	v_min3_f32 v118, v81, v79, 0x7f7fffff
	v_add_f32_e32 v79, v4, v36
	v_min3_f32 v115, v61, v60, 0x7f7fffff
	v_dual_add_f32 v60, v25, v57 :: v_dual_add_f32 v61, v24, v56
	s_delay_alu instid0(VALU_DEP_1) | instskip(SKIP_1) | instid1(VALU_DEP_1)
	v_min3_f32 v114, v61, v60, 0x7f7fffff
	v_dual_add_f32 v60, v17, v57 :: v_dual_add_f32 v61, v16, v56
	v_min3_f32 v113, v61, v60, 0x7f7fffff
	v_dual_add_f32 v60, v13, v57 :: v_dual_add_f32 v61, v12, v56
	s_delay_alu instid0(VALU_DEP_1) | instskip(SKIP_1) | instid1(VALU_DEP_1)
	v_min3_f32 v112, v61, v60, 0x7f7fffff
	v_dual_add_f32 v60, v9, v57 :: v_dual_add_f32 v61, v8, v56
	v_min3_f32 v111, v61, v60, 0x7f7fffff
	v_dual_add_f32 v60, v5, v57 :: v_dual_add_f32 v61, v4, v56
	v_dual_add_f32 v57, v1, v57 :: v_dual_add_f32 v56, v0, v56
	s_delay_alu instid0(VALU_DEP_1) | instskip(SKIP_1) | instid1(VALU_DEP_1)
	v_min3_f32 v109, v56, v57, 0x7f7fffff
	v_dual_add_f32 v56, v33, v53 :: v_dual_add_f32 v57, v32, v52
	v_min3_f32 v108, v57, v56, 0x7f7fffff
	v_dual_add_f32 v56, v29, v53 :: v_dual_add_f32 v57, v28, v52
	v_min3_f32 v110, v61, v60, 0x7f7fffff
	s_delay_alu instid0(VALU_DEP_2) | instskip(SKIP_1) | instid1(VALU_DEP_1)
	v_min3_f32 v107, v57, v56, 0x7f7fffff
	v_dual_add_f32 v56, v25, v53 :: v_dual_add_f32 v57, v24, v52
	v_min3_f32 v106, v57, v56, 0x7f7fffff
	v_dual_add_f32 v56, v17, v53 :: v_dual_add_f32 v57, v16, v52
	s_delay_alu instid0(VALU_DEP_1) | instskip(SKIP_1) | instid1(VALU_DEP_1)
	v_min3_f32 v105, v57, v56, 0x7f7fffff
	v_dual_add_f32 v56, v13, v53 :: v_dual_add_f32 v57, v12, v52
	v_min3_f32 v104, v57, v56, 0x7f7fffff
	v_dual_add_f32 v56, v9, v53 :: v_dual_add_f32 v57, v8, v52
	s_delay_alu instid0(VALU_DEP_1) | instskip(SKIP_2) | instid1(VALU_DEP_1)
	v_min3_f32 v103, v57, v56, 0x7f7fffff
	v_dual_add_f32 v56, v5, v53 :: v_dual_add_f32 v57, v4, v52
	v_dual_add_f32 v53, v1, v53 :: v_dual_add_f32 v52, v0, v52
	v_min3_f32 v101, v52, v53, 0x7f7fffff
	v_dual_add_f32 v52, v33, v49 :: v_dual_add_f32 v53, v32, v48
	s_delay_alu instid0(VALU_DEP_1) | instskip(SKIP_2) | instid1(VALU_DEP_2)
	v_min3_f32 v100, v53, v52, 0x7f7fffff
	v_dual_add_f32 v52, v29, v49 :: v_dual_add_f32 v53, v28, v48
	v_min3_f32 v102, v57, v56, 0x7f7fffff
	v_min3_f32 v99, v53, v52, 0x7f7fffff
	v_dual_add_f32 v52, v25, v49 :: v_dual_add_f32 v53, v24, v48
	s_delay_alu instid0(VALU_DEP_1) | instskip(SKIP_1) | instid1(VALU_DEP_1)
	v_min3_f32 v98, v53, v52, 0x7f7fffff
	v_dual_add_f32 v52, v17, v49 :: v_dual_add_f32 v53, v16, v48
	v_min3_f32 v97, v53, v52, 0x7f7fffff
	v_dual_add_f32 v52, v13, v49 :: v_dual_add_f32 v53, v12, v48
	s_delay_alu instid0(VALU_DEP_1) | instskip(SKIP_1) | instid1(VALU_DEP_1)
	v_min3_f32 v96, v53, v52, 0x7f7fffff
	v_dual_add_f32 v52, v9, v49 :: v_dual_add_f32 v53, v8, v48
	v_min3_f32 v95, v53, v52, 0x7f7fffff
	v_dual_add_f32 v52, v5, v49 :: v_dual_add_f32 v53, v4, v48
	v_dual_add_f32 v49, v1, v49 :: v_dual_add_f32 v48, v0, v48
	s_delay_alu instid0(VALU_DEP_1) | instskip(SKIP_1) | instid1(VALU_DEP_1)
	v_min3_f32 v93, v48, v49, 0x7f7fffff
	v_dual_add_f32 v48, v33, v45 :: v_dual_add_f32 v49, v32, v44
	v_min3_f32 v92, v49, v48, 0x7f7fffff
	v_dual_add_f32 v48, v29, v45 :: v_dual_add_f32 v49, v28, v44
	v_min3_f32 v94, v53, v52, 0x7f7fffff
	s_delay_alu instid0(VALU_DEP_2) | instskip(SKIP_1) | instid1(VALU_DEP_1)
	v_min3_f32 v91, v49, v48, 0x7f7fffff
	v_dual_add_f32 v48, v25, v45 :: v_dual_add_f32 v49, v24, v44
	v_min3_f32 v90, v49, v48, 0x7f7fffff
	v_dual_add_f32 v48, v17, v45 :: v_dual_add_f32 v49, v16, v44
	s_delay_alu instid0(VALU_DEP_1) | instskip(SKIP_1) | instid1(VALU_DEP_1)
	v_min3_f32 v89, v49, v48, 0x7f7fffff
	v_dual_add_f32 v48, v13, v45 :: v_dual_add_f32 v49, v12, v44
	v_min3_f32 v88, v49, v48, 0x7f7fffff
	v_dual_add_f32 v48, v9, v45 :: v_dual_add_f32 v49, v8, v44
	s_delay_alu instid0(VALU_DEP_1) | instskip(SKIP_2) | instid1(VALU_DEP_1)
	v_min3_f32 v87, v49, v48, 0x7f7fffff
	v_dual_add_f32 v48, v5, v45 :: v_dual_add_f32 v49, v4, v44
	v_dual_add_f32 v45, v1, v45 :: v_dual_add_f32 v44, v0, v44
	v_min3_f32 v85, v44, v45, 0x7f7fffff
	v_dual_add_f32 v44, v33, v41 :: v_dual_add_f32 v45, v32, v40
	s_delay_alu instid0(VALU_DEP_1) | instskip(SKIP_2) | instid1(VALU_DEP_2)
	v_min3_f32 v84, v45, v44, 0x7f7fffff
	v_dual_add_f32 v44, v29, v41 :: v_dual_add_f32 v45, v28, v40
	v_min3_f32 v86, v49, v48, 0x7f7fffff
	v_min3_f32 v83, v45, v44, 0x7f7fffff
	v_dual_add_f32 v44, v25, v41 :: v_dual_add_f32 v45, v24, v40
	s_delay_alu instid0(VALU_DEP_1) | instskip(SKIP_1) | instid1(VALU_DEP_1)
	v_min3_f32 v82, v45, v44, 0x7f7fffff
	v_dual_add_f32 v44, v17, v41 :: v_dual_add_f32 v45, v16, v40
	v_min3_f32 v61, v45, v44, 0x7f7fffff
	v_dual_add_f32 v44, v13, v41 :: v_dual_add_f32 v45, v12, v40
	s_delay_alu instid0(VALU_DEP_1) | instskip(SKIP_1) | instid1(VALU_DEP_1)
	v_min3_f32 v60, v45, v44, 0x7f7fffff
	v_dual_add_f32 v44, v9, v41 :: v_dual_add_f32 v45, v8, v40
	v_min3_f32 v57, v45, v44, 0x7f7fffff
	v_dual_add_f32 v44, v5, v41 :: v_dual_add_f32 v45, v4, v40
	v_dual_add_f32 v41, v1, v41 :: v_dual_add_f32 v40, v0, v40
	v_add_f32_e32 v4, v4, v20
	s_delay_alu instid0(VALU_DEP_2) | instskip(SKIP_2) | instid1(VALU_DEP_2)
	v_min3_f32 v53, v40, v41, 0x7f7fffff
	v_dual_add_f32 v40, v33, v37 :: v_dual_add_f32 v41, v32, v36
	v_dual_add_f32 v33, v33, v21 :: v_dual_add_f32 v32, v32, v20
	v_min3_f32 v52, v41, v40, 0x7f7fffff
	v_dual_add_f32 v40, v29, v37 :: v_dual_add_f32 v41, v28, v36
	v_min3_f32 v56, v45, v44, 0x7f7fffff
	;; [unrolled: 2-line block ×3, first 2 shown]
	s_delay_alu instid0(VALU_DEP_4) | instskip(SKIP_3) | instid1(VALU_DEP_3)
	v_min3_f32 v49, v41, v40, 0x7f7fffff
	v_dual_add_f32 v40, v25, v37 :: v_dual_add_f32 v41, v24, v36
	v_dual_add_f32 v25, v25, v21 :: v_dual_add_f32 v24, v24, v20
	v_min3_f32 v28, v28, v29, 0x7f7fffff
	v_min3_f32 v48, v41, v40, 0x7f7fffff
	v_dual_add_f32 v40, v17, v37 :: v_dual_add_f32 v41, v16, v36
	v_dual_add_f32 v17, v17, v21 :: v_dual_add_f32 v16, v16, v20
	v_min3_f32 v24, v24, v25, 0x7f7fffff
	s_delay_alu instid0(VALU_DEP_3) | instskip(SKIP_3) | instid1(VALU_DEP_3)
	v_min3_f32 v45, v41, v40, 0x7f7fffff
	v_dual_add_f32 v40, v13, v37 :: v_dual_add_f32 v41, v12, v36
	v_dual_add_f32 v13, v13, v21 :: v_dual_add_f32 v12, v12, v20
	v_min3_f32 v16, v16, v17, 0x7f7fffff
	v_min3_f32 v44, v41, v40, 0x7f7fffff
	v_dual_add_f32 v40, v9, v37 :: v_dual_add_f32 v41, v8, v36
	v_dual_add_f32 v36, v0, v36 :: v_dual_add_f32 v9, v9, v21
	v_add_f32_e32 v0, v0, v20
	v_add_f32_e32 v8, v8, v20
	s_delay_alu instid0(VALU_DEP_4)
	v_min3_f32 v41, v41, v40, 0x7f7fffff
	v_add_f32_e32 v40, v5, v37
	v_add_f32_e32 v37, v1, v37
	;; [unrolled: 1-line block ×4, first 2 shown]
	v_min3_f32 v12, v12, v13, 0x7f7fffff
	v_min3_f32 v40, v79, v40, 0x7f7fffff
	v_min3_f32 v36, v36, v37, 0x7f7fffff
	v_min3_f32 v4, v4, v5, 0x7f7fffff
	v_min3_f32 v0, v0, v1, 0x7f7fffff
	v_add_f32_e32 v1, v35, v63
	v_add_f32_e32 v5, v34, v62
	v_min3_f32 v8, v8, v9, 0x7f7fffff
	s_delay_alu instid0(VALU_DEP_2) | instskip(SKIP_2) | instid1(VALU_DEP_1)
	v_min3_f32 v81, v5, v1, v75
	v_add_f32_e32 v1, v31, v63
	v_add_f32_e32 v5, v30, v62
	v_min3_f32 v79, v5, v1, v76
	v_add_f32_e32 v1, v27, v63
	v_add_f32_e32 v5, v26, v62
	s_delay_alu instid0(VALU_DEP_1) | instskip(SKIP_2) | instid1(VALU_DEP_1)
	v_min3_f32 v77, v5, v1, v77
	v_add_f32_e32 v1, v19, v63
	v_add_f32_e32 v5, v18, v62
	v_min3_f32 v75, v5, v1, v78
	v_add_f32_e32 v1, v15, v63
	v_add_f32_e32 v5, v14, v62
	s_delay_alu instid0(VALU_DEP_1) | instskip(SKIP_2) | instid1(VALU_DEP_1)
	;; [unrolled: 7-line block ×26, first 2 shown]
	v_min3_f32 v93, v5, v1, v44
	v_add_f32_e32 v1, v11, v39
	v_add_f32_e32 v5, v10, v38
	v_min3_f32 v91, v5, v1, v41
	v_add_f32_e32 v1, v7, v39
	v_add_f32_e32 v5, v6, v38
	s_delay_alu instid0(VALU_DEP_1) | instskip(SKIP_3) | instid1(VALU_DEP_2)
	v_min3_f32 v90, v5, v1, v40
	v_add_f32_e32 v1, v3, v39
	v_add_f32_e32 v5, v2, v38
	;; [unrolled: 1-line block ×3, first 2 shown]
	v_min3_f32 v89, v5, v1, v36
	v_add_f32_e32 v1, v35, v23
	v_add_f32_e32 v5, v34, v22
	s_delay_alu instid0(VALU_DEP_1) | instskip(SKIP_2) | instid1(VALU_DEP_1)
	v_min3_f32 v88, v5, v1, v32
	v_add_f32_e32 v1, v31, v23
	v_add_f32_e32 v5, v30, v22
	v_min3_f32 v87, v5, v1, v28
	v_add_f32_e32 v1, v27, v23
	v_add_f32_e32 v5, v26, v22
	s_delay_alu instid0(VALU_DEP_1) | instskip(SKIP_2) | instid1(VALU_DEP_1)
	v_min3_f32 v86, v5, v1, v24
	v_add_f32_e32 v1, v19, v23
	v_add_f32_e32 v5, v18, v22
	;; [unrolled: 7-line block ×3, first 2 shown]
	v_min3_f32 v83, v5, v1, v8
	v_add_f32_e32 v1, v7, v23
	v_add_f32_e32 v5, v6, v22
	s_delay_alu instid0(VALU_DEP_1) | instskip(SKIP_1) | instid1(VALU_DEP_1)
	v_min3_f32 v82, v5, v1, v4
	v_add_f32_e32 v1, v3, v23
	v_min3_f32 v92, v2, v1, v0
	s_cbranch_scc1 .LBB77_52
; %bb.30:
	v_mad_i64_i32 v[0:1], null, v67, s29, 0
	v_lshlrev_b64 v[64:65], 2, v[64:65]
	v_add_nc_u32_e32 v121, 0x2000, v143
	v_add_nc_u32_e32 v131, 0x2000, v72
	;; [unrolled: 1-line block ×3, first 2 shown]
	v_or_b32_e32 v142, 0x1000, v74
	v_lshl_add_u32 v143, v68, 4, 0x2400
	v_lshlrev_b64 v[0:1], 2, v[0:1]
	v_lshl_add_u32 v144, v69, 4, 0x1000
	s_delay_alu instid0(VALU_DEP_2) | instskip(NEXT) | instid1(VALU_DEP_1)
	v_add_co_u32 v0, s6, v0, v66
	v_add_co_ci_u32_e64 v1, s6, 0, v1, s6
	s_delay_alu instid0(VALU_DEP_2) | instskip(NEXT) | instid1(VALU_DEP_1)
	v_add_co_u32 v0, s6, v0, s22
	v_add_co_ci_u32_e64 v1, s6, s23, v1, s6
	s_add_i32 s22, s18, -8
	s_delay_alu instid0(VALU_DEP_2) | instskip(NEXT) | instid1(VALU_DEP_1)
	v_add_co_u32 v66, s6, v0, 48
	v_add_co_ci_u32_e64 v67, s6, 0, v1, s6
	s_mov_b32 s23, 0
	s_branch .LBB77_32
.LBB77_31:                              ;   in Loop: Header=BB77_32 Depth=1
	s_or_b32 exec_lo, exec_lo, s7
	ds_load_b128 v[87:90], v73
	ds_load_b128 v[149:152], v131
	ds_load_b128 v[153:156], v131 offset:128
	ds_load_b128 v[157:160], v131 offset:256
	;; [unrolled: 1-line block ×14, first 2 shown]
	v_add_co_u32 v66, s6, v66, 32
	s_delay_alu instid0(VALU_DEP_1)
	v_add_co_ci_u32_e64 v67, s6, 0, v67, s6
	s_add_i32 s23, s23, 8
	ds_store_b32 v141, v145
	ds_store_2addr_stride64_b32 v142, v146, v147 offset1:4
	ds_store_2addr_stride64_b32 v142, v148, v0 offset0:8 offset1:12
	s_waitcnt lgkmcnt(17)
	v_dual_add_f32 v11, v150, v88 :: v_dual_add_f32 v14, v149, v87
	s_waitcnt lgkmcnt(16)
	v_dual_add_f32 v15, v154, v88 :: v_dual_add_f32 v18, v153, v87
	;; [unrolled: 2-line block ×3, first 2 shown]
	s_waitcnt lgkmcnt(14)
	v_add_f32_e32 v23, v162, v88
	v_min3_f32 v11, v14, v11, v25
	v_min3_f32 v14, v18, v15, v28
	v_add_f32_e32 v18, v161, v87
	v_min3_f32 v15, v22, v19, v29
	s_waitcnt lgkmcnt(13)
	v_dual_add_f32 v19, v166, v88 :: v_dual_add_f32 v22, v165, v87
	s_waitcnt lgkmcnt(12)
	v_dual_add_f32 v25, v170, v88 :: v_dual_add_f32 v28, v169, v87
	s_waitcnt lgkmcnt(11)
	v_dual_add_f32 v29, v174, v88 :: v_dual_add_f32 v34, v173, v87
	s_waitcnt lgkmcnt(10)
	v_dual_add_f32 v35, v178, v88 :: v_dual_add_f32 v38, v177, v87
	v_min3_f32 v1, v18, v23, v1
	v_min3_f32 v18, v22, v19, v32
	;; [unrolled: 1-line block ×5, first 2 shown]
	s_waitcnt lgkmcnt(9)
	v_dual_add_f32 v25, v150, v92 :: v_dual_add_f32 v28, v149, v91
	v_dual_add_f32 v29, v154, v92 :: v_dual_add_f32 v32, v153, v91
	;; [unrolled: 1-line block ×5, first 2 shown]
	v_min3_f32 v4, v28, v25, v4
	v_min3_f32 v25, v32, v29, v40
	;; [unrolled: 1-line block ×5, first 2 shown]
	v_dual_add_f32 v33, v170, v92 :: v_dual_add_f32 v34, v169, v91
	v_dual_add_f32 v35, v174, v92 :: v_dual_add_f32 v36, v173, v91
	;; [unrolled: 1-line block ×3, first 2 shown]
	s_waitcnt lgkmcnt(8)
	v_dual_add_f32 v39, v150, v96 :: v_dual_add_f32 v40, v149, v95
	v_dual_add_f32 v41, v154, v96 :: v_dual_add_f32 v44, v153, v95
	v_min3_f32 v5, v34, v33, v5
	v_min3_f32 v33, v36, v35, v48
	;; [unrolled: 1-line block ×5, first 2 shown]
	v_dual_add_f32 v37, v158, v96 :: v_dual_add_f32 v38, v157, v95
	v_dual_add_f32 v39, v162, v96 :: v_dual_add_f32 v40, v161, v95
	;; [unrolled: 1-line block ×5, first 2 shown]
	v_min3_f32 v8, v38, v37, v8
	v_min3_f32 v37, v40, v39, v54
	;; [unrolled: 1-line block ×5, first 2 shown]
	v_dual_add_f32 v41, v178, v96 :: v_dual_add_f32 v44, v177, v95
	s_waitcnt lgkmcnt(7)
	v_dual_add_f32 v45, v150, v100 :: v_dual_add_f32 v48, v149, v99
	v_dual_add_f32 v49, v154, v100 :: v_dual_add_f32 v52, v153, v99
	;; [unrolled: 1-line block ×4, first 2 shown]
	v_min3_f32 v9, v44, v41, v9
	v_min3_f32 v41, v48, v45, v58
	;; [unrolled: 1-line block ×5, first 2 shown]
	v_dual_add_f32 v49, v166, v100 :: v_dual_add_f32 v52, v165, v99
	v_dual_add_f32 v53, v170, v100 :: v_dual_add_f32 v54, v169, v99
	;; [unrolled: 1-line block ×4, first 2 shown]
	s_waitcnt lgkmcnt(6)
	v_dual_add_f32 v59, v150, v104 :: v_dual_add_f32 v60, v149, v103
	v_min3_f32 v12, v52, v49, v12
	v_min3_f32 v49, v54, v53, v50
	;; [unrolled: 1-line block ×5, first 2 shown]
	v_dual_add_f32 v53, v154, v104 :: v_dual_add_f32 v54, v153, v103
	v_dual_add_f32 v55, v158, v104 :: v_dual_add_f32 v56, v157, v103
	;; [unrolled: 1-line block ×5, first 2 shown]
	v_min3_f32 v13, v54, v53, v13
	v_min3_f32 v53, v56, v55, v75
	;; [unrolled: 1-line block ×5, first 2 shown]
	v_dual_add_f32 v57, v174, v104 :: v_dual_add_f32 v58, v173, v103
	v_dual_add_f32 v59, v178, v104 :: v_dual_add_f32 v60, v177, v103
	s_waitcnt lgkmcnt(5)
	v_dual_add_f32 v61, v150, v182 :: v_dual_add_f32 v62, v149, v181
	v_dual_add_f32 v75, v153, v181 :: v_dual_add_f32 v76, v158, v182
	v_add_f32_e32 v77, v157, v181
	v_add_f32_e32 v63, v154, v182
	v_min3_f32 v16, v58, v57, v16
	v_min3_f32 v46, v60, v59, v46
	v_add_f32_e32 v60, v161, v181
	v_min3_f32 v47, v62, v61, v47
	v_min3_f32 v58, v77, v76, v80
	v_dual_add_f32 v59, v162, v182 :: v_dual_add_f32 v62, v165, v181
	v_add_f32_e32 v61, v166, v182
	v_dual_add_f32 v76, v174, v182 :: v_dual_add_f32 v77, v173, v181
	v_min3_f32 v57, v75, v63, v79
	v_add_f32_e32 v63, v170, v182
	v_dual_add_f32 v75, v169, v181 :: v_dual_add_f32 v78, v178, v182
	v_add_f32_e32 v79, v177, v181
	v_min3_f32 v17, v60, v59, v17
	v_min3_f32 v42, v62, v61, v42
	;; [unrolled: 1-line block ×3, first 2 shown]
	s_waitcnt lgkmcnt(4)
	v_dual_add_f32 v61, v150, v186 :: v_dual_add_f32 v62, v149, v185
	v_dual_add_f32 v76, v158, v186 :: v_dual_add_f32 v77, v157, v185
	v_min3_f32 v60, v79, v78, v82
	v_dual_add_f32 v78, v162, v186 :: v_dual_add_f32 v79, v161, v185
	v_dual_add_f32 v80, v166, v186 :: v_dual_add_f32 v81, v165, v185
	v_min3_f32 v20, v62, v61, v20
	v_min3_f32 v62, v77, v76, v84
	v_add_f32_e32 v76, v169, v185
	v_min3_f32 v43, v75, v63, v43
	v_add_f32_e32 v63, v154, v186
	v_add_f32_e32 v75, v153, v185
	v_min3_f32 v82, v81, v80, v86
	v_add_f32_e32 v80, v177, v185
	s_waitcnt lgkmcnt(3)
	v_add_f32_e32 v84, v154, v190
	v_add_f32_e32 v77, v174, v186
	v_min3_f32 v61, v75, v63, v83
	v_min3_f32 v63, v79, v78, v85
	v_add_f32_e32 v79, v178, v186
	v_add_f32_e32 v85, v153, v189
	v_dual_add_f32 v75, v170, v186 :: v_dual_add_f32 v78, v173, v185
	v_add_f32_e32 v81, v150, v190
	s_delay_alu instid0(VALU_DEP_4) | instskip(NEXT) | instid1(VALU_DEP_4)
	v_min3_f32 v27, v80, v79, v27
	v_min3_f32 v31, v85, v84, v31
	v_dual_add_f32 v79, v166, v190 :: v_dual_add_f32 v80, v165, v189
	v_dual_add_f32 v84, v174, v190 :: v_dual_add_f32 v85, v173, v189
	v_add_f32_e32 v83, v149, v189
	v_min3_f32 v21, v76, v75, v21
	v_min3_f32 v26, v78, v77, v26
	v_dual_add_f32 v75, v158, v190 :: v_dual_add_f32 v76, v157, v189
	v_dual_add_f32 v77, v162, v190 :: v_dual_add_f32 v78, v161, v189
	v_min3_f32 v10, v85, v84, v10
	v_add_f32_e32 v84, v159, v89
	v_min3_f32 v6, v80, v79, v6
	v_dual_add_f32 v80, v155, v89 :: v_dual_add_f32 v79, v156, v90
	v_min3_f32 v3, v78, v77, v3
	v_add_f32_e32 v78, v151, v89
	v_min3_f32 v24, v76, v75, v24
	v_dual_add_f32 v75, v178, v190 :: v_dual_add_f32 v76, v177, v189
	v_dual_add_f32 v85, v164, v90 :: v_dual_add_f32 v86, v163, v89
	v_min3_f32 v79, v80, v79, v14
	v_add_f32_e32 v80, v176, v90
	v_min3_f32 v30, v83, v81, v30
	v_add_f32_e32 v81, v170, v190
	v_add_f32_e32 v83, v169, v189
	;; [unrolled: 1-line block ×3, first 2 shown]
	v_min3_f32 v2, v76, v75, v2
	v_min3_f32 v75, v86, v85, v1
	v_add_f32_e32 v86, v152, v94
	v_min3_f32 v7, v83, v81, v7
	v_add_f32_e32 v83, v160, v90
	v_min3_f32 v81, v78, v77, v11
	v_add_f32_e32 v1, v168, v90
	v_dual_add_f32 v11, v167, v89 :: v_dual_add_f32 v14, v172, v90
	s_delay_alu instid0(VALU_DEP_4) | instskip(SKIP_2) | instid1(VALU_DEP_4)
	v_min3_f32 v77, v84, v83, v15
	v_add_f32_e32 v15, v171, v89
	v_add_f32_e32 v83, v175, v89
	v_min3_f32 v76, v11, v1, v18
	v_dual_add_f32 v11, v160, v94 :: v_dual_add_f32 v18, v163, v93
	s_delay_alu instid0(VALU_DEP_4) | instskip(NEXT) | instid1(VALU_DEP_4)
	v_min3_f32 v78, v15, v14, v19
	v_min3_f32 v80, v83, v80, v22
	v_dual_add_f32 v14, v159, v93 :: v_dual_add_f32 v15, v164, v94
	v_dual_add_f32 v19, v168, v94 :: v_dual_add_f32 v22, v167, v93
	v_add_f32_e32 v84, v180, v90
	s_delay_alu instid0(VALU_DEP_3) | instskip(NEXT) | instid1(VALU_DEP_4)
	v_min3_f32 v137, v14, v11, v28
	v_min3_f32 v136, v18, v15, v29
	v_add_f32_e32 v14, v152, v98
	v_min3_f32 v135, v22, v19, v32
	v_dual_add_f32 v15, v151, v97 :: v_dual_add_f32 v18, v156, v98
	v_add_f32_e32 v19, v155, v97
	v_add_f32_e32 v85, v179, v89
	;; [unrolled: 1-line block ×3, first 2 shown]
	s_delay_alu instid0(VALU_DEP_4)
	v_min3_f32 v130, v15, v14, v35
	v_add_f32_e32 v15, v176, v98
	v_min3_f32 v129, v19, v18, v36
	v_add_f32_e32 v18, v175, v97
	v_add_f32_e32 v22, v160, v98
	;; [unrolled: 1-line block ×5, first 2 shown]
	v_min3_f32 v124, v18, v15, v40
	v_add_f32_e32 v18, v168, v102
	v_min3_f32 v140, v85, v84, v23
	v_add_f32_e32 v23, v172, v94
	v_dual_add_f32 v1, v156, v94 :: v_dual_add_f32 v14, v171, v97
	v_add_f32_e32 v15, v163, v101
	s_cmp_ge_i32 s23, s22
	s_delay_alu instid0(VALU_DEP_3)
	v_min3_f32 v134, v83, v23, v5
	v_add_f32_e32 v23, v159, v97
	v_add_f32_e32 v5, v180, v94
	s_waitcnt lgkmcnt(0)
	s_barrier
	buffer_gl0_inv
	v_min3_f32 v128, v23, v22, v8
	v_add_f32_e32 v22, v179, v97
	v_min3_f32 v132, v11, v5, v34
	v_add_f32_e32 v11, v172, v98
	v_dual_add_f32 v5, v168, v98 :: v_dual_add_f32 v8, v167, v97
	s_delay_alu instid0(VALU_DEP_4) | instskip(SKIP_2) | instid1(VALU_DEP_2)
	v_min3_f32 v122, v22, v19, v9
	v_add_f32_e32 v19, v167, v101
	v_add_f32_e32 v9, v160, v102
	v_min3_f32 v117, v19, v18, v12
	v_add_f32_e32 v12, v152, v106
	v_min3_f32 v139, v87, v86, v4
	v_add_f32_e32 v4, v155, v93
	v_add_f32_e32 v18, v155, v105
	v_min3_f32 v125, v14, v11, v39
	v_dual_add_f32 v14, v164, v102 :: v_dual_add_f32 v11, v159, v101
	s_delay_alu instid0(VALU_DEP_4) | instskip(SKIP_1) | instid1(VALU_DEP_3)
	v_min3_f32 v138, v4, v1, v25
	v_dual_add_f32 v1, v176, v94 :: v_dual_add_f32 v4, v175, v93
	v_min3_f32 v118, v15, v14, v48
	v_add_f32_e32 v14, v151, v105
	v_min3_f32 v126, v8, v5, v38
	v_add_f32_e32 v8, v155, v101
	v_min3_f32 v133, v4, v1, v33
	v_dual_add_f32 v1, v164, v98 :: v_dual_add_f32 v4, v163, v97
	v_add_f32_e32 v5, v156, v102
	v_add_f32_e32 v15, v156, v106
	v_min3_f32 v113, v14, v12, v52
	v_add_f32_e32 v12, v172, v106
	v_min3_f32 v119, v11, v9, v45
	v_min3_f32 v120, v8, v5, v44
	v_add_f32_e32 v8, v175, v101
	v_min3_f32 v127, v4, v1, v37
	v_dual_add_f32 v1, v152, v102 :: v_dual_add_f32 v4, v151, v101
	v_min3_f32 v112, v18, v15, v13
	v_add_f32_e32 v13, v171, v105
	v_add_f32_e32 v5, v176, v102
	;; [unrolled: 1-line block ×3, first 2 shown]
	v_min3_f32 v123, v4, v1, v41
	v_dual_add_f32 v1, v172, v102 :: v_dual_add_f32 v4, v171, v101
	v_min3_f32 v108, v13, v12, v56
	v_dual_add_f32 v12, v160, v184 :: v_dual_add_f32 v13, v159, v183
	v_add_f32_e32 v11, v179, v101
	s_delay_alu instid0(VALU_DEP_4) | instskip(SKIP_1) | instid1(VALU_DEP_4)
	v_min3_f32 v116, v4, v1, v49
	v_dual_add_f32 v1, v160, v106 :: v_dual_add_f32 v4, v159, v105
	v_min3_f32 v103, v13, v12, v58
	v_dual_add_f32 v12, v180, v184 :: v_dual_add_f32 v13, v179, v183
	v_min3_f32 v115, v8, v5, v50
	s_delay_alu instid0(VALU_DEP_4) | instskip(SKIP_1) | instid1(VALU_DEP_4)
	v_min3_f32 v111, v4, v1, v53
	v_dual_add_f32 v1, v180, v106 :: v_dual_add_f32 v4, v179, v105
	v_min3_f32 v98, v13, v12, v60
	v_dual_add_f32 v12, v168, v188 :: v_dual_add_f32 v13, v167, v187
	v_add_f32_e32 v5, v164, v106
	v_add_f32_e32 v14, v176, v106
	;; [unrolled: 1-line block ×4, first 2 shown]
	v_min3_f32 v93, v13, v12, v82
	v_add_f32_e32 v12, v156, v192
	v_min3_f32 v114, v11, v9, v51
	v_add_f32_e32 v9, v168, v106
	v_min3_f32 v106, v4, v1, v46
	v_dual_add_f32 v1, v168, v184 :: v_dual_add_f32 v4, v167, v183
	v_add_f32_e32 v11, v167, v105
	v_min3_f32 v107, v15, v14, v16
	v_dual_add_f32 v14, v164, v184 :: v_dual_add_f32 v15, v163, v183
	s_delay_alu instid0(VALU_DEP_4) | instskip(SKIP_2) | instid1(VALU_DEP_4)
	v_min3_f32 v101, v4, v1, v42
	v_dual_add_f32 v1, v156, v188 :: v_dual_add_f32 v4, v155, v187
	v_add_f32_e32 v13, v155, v191
	v_min3_f32 v102, v15, v14, v17
	v_dual_add_f32 v14, v152, v188 :: v_dual_add_f32 v15, v151, v187
	s_delay_alu instid0(VALU_DEP_4) | instskip(SKIP_2) | instid1(VALU_DEP_4)
	v_min3_f32 v96, v4, v1, v61
	v_dual_add_f32 v1, v176, v188 :: v_dual_add_f32 v4, v175, v187
	v_min3_f32 v87, v13, v12, v31
	v_min3_f32 v97, v15, v14, v20
	v_dual_add_f32 v14, v172, v188 :: v_dual_add_f32 v15, v171, v187
	s_delay_alu instid0(VALU_DEP_4)
	v_min3_f32 v90, v4, v1, v26
	v_add_f32_e32 v4, v163, v191
	v_min3_f32 v110, v8, v5, v54
	v_dual_add_f32 v5, v152, v184 :: v_dual_add_f32 v8, v151, v183
	v_min3_f32 v91, v15, v14, v21
	v_dual_add_f32 v14, v160, v192 :: v_dual_add_f32 v15, v159, v191
	v_add_f32_e32 v1, v164, v192
	s_delay_alu instid0(VALU_DEP_4) | instskip(SKIP_1) | instid1(VALU_DEP_4)
	v_min3_f32 v105, v8, v5, v47
	v_dual_add_f32 v5, v172, v184 :: v_dual_add_f32 v8, v171, v183
	v_min3_f32 v86, v15, v14, v24
	v_dual_add_f32 v12, v176, v192 :: v_dual_add_f32 v13, v175, v191
	v_add_f32_e32 v14, v180, v192
	s_delay_alu instid0(VALU_DEP_4) | instskip(SKIP_4) | instid1(VALU_DEP_4)
	v_min3_f32 v100, v8, v5, v43
	v_dual_add_f32 v5, v160, v188 :: v_dual_add_f32 v8, v159, v187
	v_add_f32_e32 v15, v179, v191
	v_min3_f32 v85, v4, v1, v3
	v_min3_f32 v82, v13, v12, v10
	;; [unrolled: 1-line block ×3, first 2 shown]
	v_dual_add_f32 v5, v180, v188 :: v_dual_add_f32 v8, v179, v187
	v_min3_f32 v92, v15, v14, v2
	s_delay_alu instid0(VALU_DEP_2)
	v_min3_f32 v89, v8, v5, v27
	v_add_f32_e32 v8, v167, v191
	v_min3_f32 v109, v11, v9, v55
	v_add_f32_e32 v9, v156, v184
	v_add_f32_e32 v11, v155, v183
	;; [unrolled: 1-line block ×3, first 2 shown]
	s_delay_alu instid0(VALU_DEP_2) | instskip(SKIP_2) | instid1(VALU_DEP_4)
	v_min3_f32 v104, v11, v9, v57
	v_add_f32_e32 v9, v176, v184
	v_add_f32_e32 v11, v175, v183
	v_min3_f32 v84, v8, v5, v6
	s_delay_alu instid0(VALU_DEP_2) | instskip(SKIP_2) | instid1(VALU_DEP_1)
	v_min3_f32 v99, v11, v9, v59
	v_add_f32_e32 v9, v164, v188
	v_add_f32_e32 v11, v163, v187
	v_min3_f32 v94, v11, v9, v63
	v_add_f32_e32 v9, v152, v192
	v_add_f32_e32 v11, v151, v191
	s_delay_alu instid0(VALU_DEP_1) | instskip(SKIP_2) | instid1(VALU_DEP_1)
	v_min3_f32 v88, v11, v9, v30
	v_add_f32_e32 v9, v172, v192
	v_add_f32_e32 v11, v171, v191
	v_min3_f32 v83, v11, v9, v7
	s_cbranch_scc1 .LBB77_52
.LBB77_32:                              ; =>This Inner Loop Header: Depth=1
	v_add_nc_u32_e32 v145, s23, v70
	s_delay_alu instid0(VALU_DEP_1) | instskip(NEXT) | instid1(VALU_DEP_1)
	v_add_nc_u32_e32 v0, 8, v145
	v_cmp_le_i32_e64 s6, s18, v0
	s_delay_alu instid0(VALU_DEP_1) | instskip(NEXT) | instid1(SALU_CYCLE_1)
	s_or_b32 s6, s6, vcc_lo
	v_cndmask_b32_e64 v147, 0, 0x7f7fffff, s6
	s_or_b32 s6, s27, s6
	s_delay_alu instid0(SALU_CYCLE_1) | instskip(NEXT) | instid1(SALU_CYCLE_1)
	s_xor_b32 s6, s6, -1
	s_and_saveexec_b32 s7, s6
	s_cbranch_execz .LBB77_34
; %bb.33:                               ;   in Loop: Header=BB77_32 Depth=1
	v_add_co_u32 v0, s6, -16, v66
	s_delay_alu instid0(VALU_DEP_1)
	v_add_co_ci_u32_e64 v1, s6, -1, v67, s6
	flat_load_b32 v0, v[0:1]
	s_waitcnt vmcnt(0) lgkmcnt(0)
	v_mul_f32_e32 v147, s19, v0
.LBB77_34:                              ;   in Loop: Header=BB77_32 Depth=1
	s_or_b32 exec_lo, exec_lo, s7
	v_add_nc_u32_e32 v146, s23, v71
	s_delay_alu instid0(VALU_DEP_1) | instskip(NEXT) | instid1(VALU_DEP_1)
	v_add_nc_u32_e32 v2, 8, v146
	v_min_i32_e32 v3, s28, v2
	v_cmp_le_i32_e64 s6, s18, v2
	s_delay_alu instid0(VALU_DEP_2) | instskip(NEXT) | instid1(VALU_DEP_1)
	v_mad_i64_i32 v[0:1], null, v3, s14, 0
	v_lshlrev_b64 v[0:1], 2, v[0:1]
	s_delay_alu instid0(VALU_DEP_1) | instskip(NEXT) | instid1(VALU_DEP_1)
	v_add_co_u32 v0, s7, s20, v0
	v_add_co_ci_u32_e64 v1, s7, s21, v1, s7
	s_or_b32 s7, s2, s6
	s_delay_alu instid0(SALU_CYCLE_1) | instskip(SKIP_1) | instid1(SALU_CYCLE_1)
	v_cndmask_b32_e64 v148, 0, 0x7f7fffff, s7
	s_or_b32 s7, s27, s7
	s_xor_b32 s7, s7, -1
	s_delay_alu instid0(SALU_CYCLE_1)
	s_and_saveexec_b32 s29, s7
	s_cbranch_execz .LBB77_36
; %bb.35:                               ;   in Loop: Header=BB77_32 Depth=1
	v_add_co_u32 v2, s7, v0, v64
	s_delay_alu instid0(VALU_DEP_1)
	v_add_co_ci_u32_e64 v3, s7, v1, v65, s7
	flat_load_b32 v2, v[2:3]
	s_waitcnt vmcnt(0) lgkmcnt(0)
	v_mul_f32_e32 v148, s19, v2
.LBB77_36:                              ;   in Loop: Header=BB77_32 Depth=1
	s_or_b32 exec_lo, exec_lo, s29
	s_or_b32 s7, s3, s6
	s_delay_alu instid0(SALU_CYCLE_1) | instskip(SKIP_1) | instid1(SALU_CYCLE_1)
	v_cndmask_b32_e64 v149, 0, 0x7f7fffff, s7
	s_or_b32 s7, s27, s7
	s_xor_b32 s7, s7, -1
	s_delay_alu instid0(SALU_CYCLE_1)
	s_and_saveexec_b32 s29, s7
	s_cbranch_execz .LBB77_38
; %bb.37:                               ;   in Loop: Header=BB77_32 Depth=1
	v_add_co_u32 v2, s7, v0, v64
	s_delay_alu instid0(VALU_DEP_1)
	v_add_co_ci_u32_e64 v3, s7, v1, v65, s7
	flat_load_b32 v2, v[2:3] offset:256
	s_waitcnt vmcnt(0) lgkmcnt(0)
	v_mul_f32_e32 v149, s19, v2
.LBB77_38:                              ;   in Loop: Header=BB77_32 Depth=1
	s_or_b32 exec_lo, exec_lo, s29
	s_or_b32 s7, s4, s6
	s_delay_alu instid0(SALU_CYCLE_1) | instskip(SKIP_1) | instid1(SALU_CYCLE_1)
	v_cndmask_b32_e64 v150, 0, 0x7f7fffff, s7
	s_or_b32 s7, s27, s7
	s_xor_b32 s7, s7, -1
	s_delay_alu instid0(SALU_CYCLE_1)
	s_and_saveexec_b32 s29, s7
	s_cbranch_execz .LBB77_40
; %bb.39:                               ;   in Loop: Header=BB77_32 Depth=1
	v_add_co_u32 v2, s7, v0, v64
	s_delay_alu instid0(VALU_DEP_1)
	v_add_co_ci_u32_e64 v3, s7, v1, v65, s7
	flat_load_b32 v2, v[2:3] offset:512
	s_waitcnt vmcnt(0) lgkmcnt(0)
	v_mul_f32_e32 v150, s19, v2
.LBB77_40:                              ;   in Loop: Header=BB77_32 Depth=1
	;; [unrolled: 17-line block ×3, first 2 shown]
	s_or_b32 exec_lo, exec_lo, s7
	ds_load_b128 v[32:35], v143
	ds_load_b128 v[28:31], v143 offset:128
	ds_load_b128 v[24:27], v143 offset:256
	ds_load_b128 v[16:19], v143 offset:384
	ds_load_b128 v[12:15], v143 offset:512
	ds_load_b128 v[8:11], v143 offset:640
	ds_load_b128 v[4:7], v143 offset:768
	ds_load_b128 v[0:3], v143 offset:896
	ds_load_b128 v[60:63], v144
	ds_load_b128 v[56:59], v144 offset:512
	ds_load_b128 v[52:55], v144 offset:1024
	;; [unrolled: 1-line block ×7, first 2 shown]
	v_add_nc_u32_e32 v145, 12, v145
	ds_store_b32 v121, v147
	ds_store_2addr_stride64_b32 v74, v148, v149 offset1:4
	ds_store_2addr_stride64_b32 v74, v150, v151 offset0:8 offset1:12
	s_waitcnt lgkmcnt(0)
	s_barrier
	buffer_gl0_inv
	v_cmp_le_i32_e64 s6, s18, v145
	s_delay_alu instid0(VALU_DEP_1) | instskip(NEXT) | instid1(SALU_CYCLE_1)
	s_or_b32 s6, s6, vcc_lo
	v_cndmask_b32_e64 v145, 0, 0x7f7fffff, s6
	s_or_b32 s6, s27, s6
	s_delay_alu instid0(SALU_CYCLE_1) | instskip(NEXT) | instid1(SALU_CYCLE_1)
	s_xor_b32 s7, s6, -1
	s_and_saveexec_b32 s6, s7
	s_cbranch_execz .LBB77_44
; %bb.43:                               ;   in Loop: Header=BB77_32 Depth=1
	flat_load_b32 v145, v[66:67]
	s_waitcnt vmcnt(0) lgkmcnt(0)
	v_mul_f32_e32 v145, s19, v145
.LBB77_44:                              ;   in Loop: Header=BB77_32 Depth=1
	s_or_b32 exec_lo, exec_lo, s6
	v_add_nc_u32_e32 v148, 12, v146
	s_delay_alu instid0(VALU_DEP_1) | instskip(SKIP_1) | instid1(VALU_DEP_2)
	v_min_i32_e32 v149, s28, v148
	v_cmp_le_i32_e64 s6, s18, v148
	v_mad_i64_i32 v[146:147], null, v149, s14, 0
	s_delay_alu instid0(VALU_DEP_1) | instskip(NEXT) | instid1(VALU_DEP_1)
	v_lshlrev_b64 v[146:147], 2, v[146:147]
	v_add_co_u32 v149, s7, s20, v146
	s_delay_alu instid0(VALU_DEP_1) | instskip(SKIP_1) | instid1(SALU_CYCLE_1)
	v_add_co_ci_u32_e64 v150, s7, s21, v147, s7
	s_or_b32 s7, s2, s6
	v_cndmask_b32_e64 v146, 0, 0x7f7fffff, s7
	s_or_b32 s7, s27, s7
	s_delay_alu instid0(SALU_CYCLE_1) | instskip(NEXT) | instid1(SALU_CYCLE_1)
	s_xor_b32 s7, s7, -1
	s_and_saveexec_b32 s29, s7
	s_cbranch_execz .LBB77_46
; %bb.45:                               ;   in Loop: Header=BB77_32 Depth=1
	v_add_co_u32 v146, s7, v149, v64
	s_delay_alu instid0(VALU_DEP_1)
	v_add_co_ci_u32_e64 v147, s7, v150, v65, s7
	flat_load_b32 v146, v[146:147]
	s_waitcnt vmcnt(0) lgkmcnt(0)
	v_mul_f32_e32 v146, s19, v146
.LBB77_46:                              ;   in Loop: Header=BB77_32 Depth=1
	s_or_b32 exec_lo, exec_lo, s29
	s_or_b32 s7, s3, s6
	s_delay_alu instid0(SALU_CYCLE_1) | instskip(SKIP_1) | instid1(SALU_CYCLE_1)
	v_cndmask_b32_e64 v147, 0, 0x7f7fffff, s7
	s_or_b32 s7, s27, s7
	s_xor_b32 s7, s7, -1
	s_delay_alu instid0(SALU_CYCLE_1)
	s_and_saveexec_b32 s29, s7
	s_cbranch_execz .LBB77_48
; %bb.47:                               ;   in Loop: Header=BB77_32 Depth=1
	v_add_co_u32 v147, s7, v149, v64
	s_delay_alu instid0(VALU_DEP_1)
	v_add_co_ci_u32_e64 v148, s7, v150, v65, s7
	flat_load_b32 v147, v[147:148] offset:256
	s_waitcnt vmcnt(0) lgkmcnt(0)
	v_mul_f32_e32 v147, s19, v147
.LBB77_48:                              ;   in Loop: Header=BB77_32 Depth=1
	s_or_b32 exec_lo, exec_lo, s29
	s_or_b32 s7, s4, s6
	s_delay_alu instid0(SALU_CYCLE_1) | instskip(SKIP_1) | instid1(SALU_CYCLE_1)
	v_cndmask_b32_e64 v148, 0, 0x7f7fffff, s7
	s_or_b32 s7, s27, s7
	s_xor_b32 s7, s7, -1
	s_delay_alu instid0(SALU_CYCLE_1)
	s_and_saveexec_b32 s29, s7
	s_cbranch_execz .LBB77_50
; %bb.49:                               ;   in Loop: Header=BB77_32 Depth=1
	v_add_co_u32 v151, s7, v149, v64
	s_delay_alu instid0(VALU_DEP_1)
	v_add_co_ci_u32_e64 v152, s7, v150, v65, s7
	flat_load_b32 v148, v[151:152] offset:512
	s_waitcnt vmcnt(0) lgkmcnt(0)
	v_mul_f32_e32 v148, s19, v148
.LBB77_50:                              ;   in Loop: Header=BB77_32 Depth=1
	s_or_b32 exec_lo, exec_lo, s29
	v_dual_add_f32 v151, v33, v61 :: v_dual_add_f32 v152, v32, v60
	v_dual_add_f32 v153, v29, v61 :: v_dual_add_f32 v154, v28, v60
	;; [unrolled: 1-line block ×3, first 2 shown]
	s_delay_alu instid0(VALU_DEP_3) | instskip(SKIP_1) | instid1(VALU_DEP_4)
	v_min3_f32 v81, v152, v151, v81
	v_dual_add_f32 v151, v17, v61 :: v_dual_add_f32 v152, v16, v60
	v_min3_f32 v79, v154, v153, v79
	s_delay_alu instid0(VALU_DEP_4)
	v_min3_f32 v77, v156, v155, v77
	v_dual_add_f32 v153, v13, v61 :: v_dual_add_f32 v154, v12, v60
	v_dual_add_f32 v155, v9, v61 :: v_dual_add_f32 v156, v8, v60
	;; [unrolled: 1-line block ×4, first 2 shown]
	v_min3_f32 v75, v152, v151, v75
	v_min3_f32 v76, v154, v153, v76
	;; [unrolled: 1-line block ×3, first 2 shown]
	v_dual_add_f32 v151, v29, v57 :: v_dual_add_f32 v152, v28, v56
	v_min3_f32 v60, v60, v61, v140
	v_dual_add_f32 v61, v33, v57 :: v_dual_add_f32 v140, v32, v56
	v_dual_add_f32 v153, v25, v57 :: v_dual_add_f32 v154, v24, v56
	v_dual_add_f32 v155, v17, v57 :: v_dual_add_f32 v156, v16, v56
	v_min3_f32 v80, v158, v157, v80
	v_dual_add_f32 v157, v13, v57 :: v_dual_add_f32 v158, v12, v56
	v_min3_f32 v61, v140, v61, v139
	v_min3_f32 v138, v152, v151, v138
	v_min3_f32 v137, v154, v153, v137
	v_min3_f32 v136, v156, v155, v136
	v_dual_add_f32 v139, v9, v57 :: v_dual_add_f32 v140, v8, v56
	v_dual_add_f32 v151, v5, v57 :: v_dual_add_f32 v152, v4, v56
	;; [unrolled: 1-line block ×5, first 2 shown]
	v_min3_f32 v134, v140, v139, v134
	v_min3_f32 v133, v152, v151, v133
	;; [unrolled: 1-line block ×5, first 2 shown]
	v_add_f32_e32 v130, v25, v53
	v_dual_add_f32 v132, v24, v52 :: v_dual_add_f32 v139, v17, v53
	v_dual_add_f32 v140, v16, v52 :: v_dual_add_f32 v151, v13, v53
	;; [unrolled: 1-line block ×5, first 2 shown]
	v_add_f32_e32 v52, v0, v52
	v_min3_f32 v127, v140, v139, v127
	v_add_f32_e32 v139, v29, v49
	v_min3_f32 v126, v152, v151, v126
	v_dual_add_f32 v140, v28, v48 :: v_dual_add_f32 v151, v25, v49
	v_add_f32_e32 v152, v24, v48
	v_min3_f32 v122, v52, v53, v122
	v_add_f32_e32 v53, v12, v48
	v_min3_f32 v128, v132, v130, v128
	v_add_f32_e32 v130, v33, v49
	v_add_f32_e32 v132, v32, v48
	v_min3_f32 v125, v154, v153, v125
	v_dual_add_f32 v153, v17, v49 :: v_dual_add_f32 v154, v16, v48
	v_min3_f32 v120, v140, v139, v120
	s_delay_alu instid0(VALU_DEP_4)
	v_min3_f32 v123, v132, v130, v123
	v_add_f32_e32 v52, v13, v49
	v_add_f32_e32 v130, v9, v49
	v_dual_add_f32 v132, v8, v48 :: v_dual_add_f32 v139, v5, v49
	v_min3_f32 v119, v152, v151, v119
	v_dual_add_f32 v151, v33, v45 :: v_dual_add_f32 v140, v4, v48
	v_dual_add_f32 v49, v1, v49 :: v_dual_add_f32 v48, v0, v48
	v_add_f32_e32 v152, v32, v44
	v_min3_f32 v117, v53, v52, v117
	v_dual_add_f32 v52, v25, v45 :: v_dual_add_f32 v53, v24, v44
	v_min3_f32 v115, v140, v139, v115
	s_delay_alu instid0(VALU_DEP_4)
	v_min3_f32 v113, v152, v151, v113
	v_add_f32_e32 v151, v9, v45
	v_min3_f32 v114, v48, v49, v114
	v_dual_add_f32 v48, v29, v45 :: v_dual_add_f32 v49, v28, v44
	v_dual_add_f32 v139, v13, v45 :: v_dual_add_f32 v140, v12, v44
	v_add_f32_e32 v152, v8, v44
	v_min3_f32 v111, v53, v52, v111
	v_dual_add_f32 v52, v33, v41 :: v_dual_add_f32 v53, v32, v40
	v_min3_f32 v112, v49, v48, v112
	v_dual_add_f32 v48, v5, v45 :: v_dual_add_f32 v49, v4, v44
	v_min3_f32 v116, v132, v130, v116
	v_add_f32_e32 v130, v17, v45
	v_dual_add_f32 v132, v16, v44 :: v_dual_add_f32 v45, v1, v45
	v_add_f32_e32 v44, v0, v44
	v_min3_f32 v109, v140, v139, v109
	v_add_f32_e32 v139, v25, v41
	v_min3_f32 v105, v53, v52, v105
	;; [unrolled: 2-line block ×3, first 2 shown]
	v_dual_add_f32 v44, v17, v41 :: v_dual_add_f32 v45, v16, v40
	v_add_f32_e32 v53, v8, v40
	v_min3_f32 v107, v49, v48, v107
	v_dual_add_f32 v48, v13, v41 :: v_dual_add_f32 v49, v12, v40
	v_min3_f32 v110, v132, v130, v110
	v_add_f32_e32 v130, v29, v41
	v_add_f32_e32 v132, v28, v40
	;; [unrolled: 1-line block ×3, first 2 shown]
	v_min3_f32 v100, v53, v52, v100
	v_add_f32_e32 v53, v16, v36
	v_min3_f32 v101, v49, v48, v101
	v_add_f32_e32 v49, v24, v36
	v_min3_f32 v102, v45, v44, v102
	v_dual_add_f32 v44, v29, v37 :: v_dual_add_f32 v45, v28, v36
	v_add_f32_e32 v29, v29, v21
	v_min3_f32 v104, v132, v130, v104
	v_add_f32_e32 v130, v5, v41
	v_dual_add_f32 v132, v4, v40 :: v_dual_add_f32 v41, v1, v41
	v_add_f32_e32 v40, v0, v40
	v_add_f32_e32 v52, v17, v37
	v_min3_f32 v96, v45, v44, v96
	v_dual_add_f32 v44, v5, v37 :: v_dual_add_f32 v45, v4, v36
	v_add_f32_e32 v17, v17, v21
	v_min3_f32 v99, v132, v130, v99
	v_add_f32_e32 v130, v13, v37
	v_add_f32_e32 v13, v13, v21
	v_min3_f32 v98, v40, v41, v98
	v_add_f32_e32 v41, v32, v36
	v_dual_add_f32 v32, v32, v20 :: v_dual_add_f32 v5, v5, v21
	v_add_f32_e32 v4, v4, v20
	v_add_f32_e32 v40, v33, v37
	;; [unrolled: 1-line block ×4, first 2 shown]
	v_min3_f32 v103, v140, v139, v103
	v_add_f32_e32 v24, v24, v20
	v_min3_f32 v140, v4, v5, v82
	v_dual_add_f32 v4, v35, v63 :: v_dual_add_f32 v5, v34, v62
	v_add_f32_e32 v132, v12, v36
	v_min3_f32 v97, v41, v40, v97
	v_dual_add_f32 v40, v9, v37 :: v_dual_add_f32 v41, v8, v36
	v_dual_add_f32 v37, v1, v37 :: v_dual_add_f32 v36, v0, v36
	v_add_f32_e32 v1, v1, v21
	v_dual_add_f32 v33, v33, v21 :: v_dual_add_f32 v16, v16, v20
	v_dual_add_f32 v9, v9, v21 :: v_dual_add_f32 v8, v8, v20
	v_add_f32_e32 v21, v34, v58
	v_min3_f32 v24, v24, v25, v86
	v_min3_f32 v25, v5, v4, v81
	v_dual_add_f32 v4, v15, v63 :: v_dual_add_f32 v5, v14, v62
	v_min3_f32 v93, v132, v130, v93
	v_add_f32_e32 v28, v28, v20
	v_min3_f32 v88, v32, v33, v88
	v_add_f32_e32 v12, v12, v20
	;; [unrolled: 2-line block ×3, first 2 shown]
	v_dual_add_f32 v8, v31, v63 :: v_dual_add_f32 v9, v30, v62
	v_add_f32_e32 v20, v35, v59
	v_min3_f32 v32, v5, v4, v76
	v_add_f32_e32 v5, v31, v59
	v_min3_f32 v130, v16, v17, v85
	v_dual_add_f32 v16, v19, v63 :: v_dual_add_f32 v17, v18, v62
	v_min3_f32 v4, v21, v20, v61
	v_add_f32_e32 v21, v11, v59
	v_min3_f32 v0, v0, v1, v92
	v_min3_f32 v135, v158, v157, v135
	;; [unrolled: 1-line block ×3, first 2 shown]
	v_add_f32_e32 v17, v2, v62
	v_min3_f32 v87, v28, v29, v87
	v_min3_f32 v28, v9, v8, v79
	v_dual_add_f32 v8, v11, v63 :: v_dual_add_f32 v9, v10, v62
	v_add_f32_e32 v16, v3, v63
	v_min3_f32 v89, v36, v37, v89
	v_add_f32_e32 v20, v14, v58
	v_min3_f32 v91, v41, v40, v91
	v_min3_f32 v33, v9, v8, v78
	v_add_f32_e32 v9, v27, v59
	v_min3_f32 v132, v12, v13, v84
	v_dual_add_f32 v12, v27, v63 :: v_dual_add_f32 v13, v26, v62
	v_min3_f32 v95, v49, v48, v95
	v_min3_f32 v37, v17, v16, v60
	v_add_f32_e32 v8, v30, v58
	v_add_f32_e32 v16, v18, v58
	v_min3_f32 v29, v13, v12, v77
	v_dual_add_f32 v12, v7, v63 :: v_dual_add_f32 v13, v6, v62
	v_dual_add_f32 v17, v15, v59 :: v_dual_add_f32 v48, v10, v58
	v_add_f32_e32 v61, v19, v51
	v_min3_f32 v90, v45, v44, v90
	s_delay_alu instid0(VALU_DEP_4) | instskip(SKIP_4) | instid1(VALU_DEP_4)
	v_min3_f32 v36, v13, v12, v80
	v_dual_add_f32 v13, v19, v59 :: v_dual_add_f32 v12, v26, v58
	v_min3_f32 v40, v8, v5, v138
	v_min3_f32 v45, v20, v17, v135
	v_min3_f32 v5, v48, v21, v134
	v_min3_f32 v44, v16, v13, v136
	v_dual_add_f32 v16, v35, v55 :: v_dual_add_f32 v17, v34, v54
	v_dual_add_f32 v20, v31, v55 :: v_dual_add_f32 v77, v30, v46
	v_add_f32_e32 v21, v30, v54
	v_min3_f32 v124, v156, v155, v124
	v_min3_f32 v94, v53, v52, v94
	;; [unrolled: 1-line block ×3, first 2 shown]
	v_dual_add_f32 v8, v7, v59 :: v_dual_add_f32 v9, v6, v58
	v_dual_add_f32 v12, v3, v59 :: v_dual_add_f32 v75, v14, v50
	v_add_f32_e32 v13, v2, v58
	v_min3_f32 v52, v17, v16, v57
	v_min3_f32 v53, v21, v20, v129
	v_dual_add_f32 v17, v11, v55 :: v_dual_add_f32 v20, v10, v54
	v_add_f32_e32 v21, v7, v55
	v_add_f32_e32 v57, v6, v54
	v_min3_f32 v118, v154, v153, v118
	v_dual_add_f32 v58, v27, v55 :: v_dual_add_f32 v59, v26, v54
	v_min3_f32 v49, v13, v12, v56
	v_dual_add_f32 v12, v18, v54 :: v_dual_add_f32 v63, v15, v51
	v_dual_add_f32 v13, v15, v55 :: v_dual_add_f32 v16, v14, v54
	v_min3_f32 v56, v20, v17, v125
	v_min3_f32 v57, v57, v21, v124
	v_dual_add_f32 v20, v27, v51 :: v_dual_add_f32 v21, v26, v50
	v_min3_f32 v48, v9, v8, v133
	v_dual_add_f32 v9, v19, v55 :: v_dual_add_f32 v62, v18, v50
	v_min3_f32 v8, v59, v58, v128
	v_dual_add_f32 v58, v3, v55 :: v_dual_add_f32 v59, v2, v54
	s_delay_alu instid0(VALU_DEP_3)
	v_min3_f32 v54, v12, v9, v127
	v_min3_f32 v55, v16, v13, v126
	v_dual_add_f32 v12, v35, v51 :: v_dual_add_f32 v13, v34, v50
	v_dual_add_f32 v16, v31, v51 :: v_dual_add_f32 v17, v30, v50
	v_min3_f32 v60, v21, v20, v119
	v_add_f32_e32 v21, v3, v51
	v_min3_f32 v61, v62, v61, v118
	v_dual_add_f32 v62, v2, v50 :: v_dual_add_f32 v79, v11, v47
	v_add_f32_e32 v20, v6, v50
	v_add_f32_e32 v76, v31, v47
	v_min3_f32 v108, v152, v151, v108
	s_delay_alu instid0(VALU_DEP_4)
	v_min3_f32 v62, v62, v21, v114
	v_add_f32_e32 v21, v18, v46
	v_min3_f32 v9, v59, v58, v122
	v_min3_f32 v58, v13, v12, v123
	;; [unrolled: 1-line block ×3, first 2 shown]
	v_dual_add_f32 v13, v11, v51 :: v_dual_add_f32 v16, v10, v50
	v_add_f32_e32 v17, v7, v51
	v_min3_f32 v12, v75, v63, v117
	v_add_f32_e32 v63, v35, v47
	v_add_f32_e32 v75, v34, v46
	v_min3_f32 v50, v16, v13, v116
	v_min3_f32 v13, v77, v76, v112
	v_add_f32_e32 v16, v27, v47
	v_add_f32_e32 v77, v15, v47
	v_min3_f32 v51, v20, v17, v115
	v_dual_add_f32 v17, v26, v46 :: v_dual_add_f32 v20, v19, v47
	v_dual_add_f32 v78, v14, v46 :: v_dual_add_f32 v81, v7, v47
	v_add_f32_e32 v80, v10, v46
	v_add_f32_e32 v82, v6, v46
	v_min3_f32 v63, v75, v63, v113
	v_min3_f32 v75, v17, v16, v111
	;; [unrolled: 1-line block ×3, first 2 shown]
	v_add_f32_e32 v21, v35, v43
	v_min3_f32 v77, v78, v77, v109
	v_min3_f32 v16, v82, v81, v107
	v_add_f32_e32 v17, v3, v47
	v_min3_f32 v78, v80, v79, v108
	v_dual_add_f32 v20, v2, v46 :: v_dual_add_f32 v79, v31, v43
	v_add_f32_e32 v47, v34, v42
	v_dual_add_f32 v80, v30, v42 :: v_dual_add_f32 v81, v27, v43
	v_dual_add_f32 v82, v26, v42 :: v_dual_add_f32 v83, v19, v43
	v_add_f32_e32 v84, v18, v42
	v_min3_f32 v46, v20, v17, v106
	v_min3_f32 v47, v47, v21, v105
	;; [unrolled: 1-line block ×4, first 2 shown]
	v_add_f32_e32 v81, v11, v43
	v_min3_f32 v17, v84, v83, v102
	v_dual_add_f32 v20, v15, v43 :: v_dual_add_f32 v21, v14, v42
	v_dual_add_f32 v82, v10, v42 :: v_dual_add_f32 v83, v7, v43
	;; [unrolled: 1-line block ×3, first 2 shown]
	v_add_f32_e32 v86, v2, v42
	v_add_f32_e32 v92, v35, v39
	;; [unrolled: 1-line block ×3, first 2 shown]
	v_min3_f32 v42, v21, v20, v101
	v_min3_f32 v43, v82, v81, v100
	;; [unrolled: 1-line block ×3, first 2 shown]
	v_add_f32_e32 v21, v31, v39
	v_min3_f32 v82, v86, v85, v98
	v_min3_f32 v20, v102, v92, v97
	v_add_f32_e32 v97, v15, v39
	v_dual_add_f32 v84, v27, v39 :: v_dual_add_f32 v85, v26, v38
	v_add_f32_e32 v86, v19, v39
	v_dual_add_f32 v92, v18, v38 :: v_dual_add_f32 v99, v11, v39
	v_add_f32_e32 v83, v30, v38
	v_add_f32_e32 v98, v14, v38
	;; [unrolled: 1-line block ×3, first 2 shown]
	v_min3_f32 v84, v85, v84, v95
	v_min3_f32 v85, v92, v86, v94
	v_dual_add_f32 v92, v6, v38 :: v_dual_add_f32 v35, v35, v23
	v_dual_add_f32 v34, v34, v22 :: v_dual_add_f32 v19, v19, v23
	v_min3_f32 v83, v83, v21, v96
	v_min3_f32 v21, v100, v99, v91
	v_add_f32_e32 v91, v7, v39
	v_min3_f32 v86, v98, v97, v93
	v_dual_add_f32 v39, v3, v39 :: v_dual_add_f32 v38, v2, v38
	v_add_f32_e32 v31, v31, v23
	v_dual_add_f32 v93, v30, v22 :: v_dual_add_f32 v94, v27, v23
	v_add_f32_e32 v95, v26, v22
	v_min3_f32 v30, v34, v35, v88
	v_dual_add_f32 v18, v18, v22 :: v_dual_add_f32 v15, v15, v23
	v_dual_add_f32 v14, v14, v22 :: v_dual_add_f32 v11, v11, v23
	v_add_f32_e32 v10, v10, v22
	v_add_f32_e32 v34, v7, v23
	;; [unrolled: 1-line block ×5, first 2 shown]
	s_or_b32 s6, s5, s6
	v_min3_f32 v26, v92, v91, v90
	v_min3_f32 v27, v38, v39, v89
	;; [unrolled: 1-line block ×9, first 2 shown]
	v_cndmask_b32_e64 v0, 0, 0x7f7fffff, s6
	s_or_b32 s6, s27, s6
	s_delay_alu instid0(SALU_CYCLE_1) | instskip(NEXT) | instid1(SALU_CYCLE_1)
	s_xor_b32 s6, s6, -1
	s_and_saveexec_b32 s7, s6
	s_cbranch_execz .LBB77_31
; %bb.51:                               ;   in Loop: Header=BB77_32 Depth=1
	v_add_co_u32 v14, s6, v149, v64
	s_delay_alu instid0(VALU_DEP_1)
	v_add_co_ci_u32_e64 v15, s6, v150, v65, s6
	flat_load_b32 v0, v[14:15] offset:768
	s_waitcnt vmcnt(0) lgkmcnt(0)
	v_mul_f32_e32 v0, s19, v0
	s_branch .LBB77_31
.LBB77_52:
	s_clause 0x2
	s_load_b64 s[2:3], s[0:1], 0x70
	s_load_b32 s18, s[0:1], 0x50
	s_load_b32 s14, s[0:1], 0x68
	ds_load_b128 v[32:35], v72 offset:9216
	ds_load_b128 v[28:31], v72 offset:9344
	;; [unrolled: 1-line block ×12, first 2 shown]
	v_add_nc_u32_e32 v131, s9, v69
	ds_load_b128 v[44:47], v73 offset:6144
	ds_load_b128 v[40:43], v73 offset:6656
	;; [unrolled: 1-line block ×4, first 2 shown]
	v_cndmask_b32_e64 v121, 0, 1, s25
	s_waitcnt lgkmcnt(0)
	s_mul_i32 s0, s15, s3
	v_mad_i64_i32 v[64:65], null, v131, s18, 0
	v_mad_i64_i32 v[66:67], null, v131, s14, 0
	s_mul_hi_u32 s1, s15, s2
	s_mul_i32 s3, s26, s2
	s_add_i32 s1, s1, s0
	s_mul_i32 s0, s15, s2
	s_delay_alu instid0(VALU_DEP_2) | instskip(SKIP_1) | instid1(VALU_DEP_2)
	v_lshlrev_b64 v[69:70], 2, v[64:65]
	s_add_i32 s1, s1, s3
	v_lshlrev_b64 v[65:66], 2, v[66:67]
	v_add_nc_u32_e32 v64, s8, v68
	s_lshl_b64 s[0:1], s[0:1], 2
	v_cmp_gt_i32_e64 s8, s17, v131
	v_add_co_u32 v143, vcc_lo, s12, v69
	s_add_u32 s9, s10, s0
	v_add_co_ci_u32_e32 v144, vcc_lo, s13, v70, vcc_lo
	s_addc_u32 s10, s11, s1
	v_add_co_u32 v141, vcc_lo, s9, v65
	v_cmp_gt_i32_e64 s0, s16, v64
	v_add_co_ci_u32_e32 v142, vcc_lo, s10, v66, vcc_lo
	v_ashrrev_i32_e32 v65, 31, v64
	s_delay_alu instid0(VALU_DEP_3) | instskip(NEXT) | instid1(SALU_CYCLE_1)
	s_and_b32 s2, s0, s8
	s_and_saveexec_b32 s1, s2
	s_cbranch_execz .LBB77_57
; %bb.53:
	s_delay_alu instid0(VALU_DEP_1)
	v_lshlrev_b64 v[66:67], 2, v[64:65]
	s_and_not1_b32 vcc_lo, exec_lo, s25
	s_cbranch_vccnz .LBB77_55
; %bb.54:
	s_delay_alu instid0(VALU_DEP_1) | instskip(NEXT) | instid1(VALU_DEP_2)
	v_add_co_u32 v68, vcc_lo, v143, v66
	v_add_co_ci_u32_e32 v69, vcc_lo, v144, v67, vcc_lo
	flat_load_b32 v68, v[68:69]
	s_waitcnt vmcnt(0) lgkmcnt(0)
	v_mul_f32_e32 v68, s24, v68
	s_branch .LBB77_56
.LBB77_55:
	v_mov_b32_e32 v68, 0
.LBB77_56:
	v_dual_add_f32 v69, v33, v61 :: v_dual_add_f32 v70, v32, v60
	v_dual_add_f32 v71, v35, v63 :: v_dual_add_f32 v72, v34, v62
	v_add_co_u32 v66, vcc_lo, v141, v66
	s_delay_alu instid0(VALU_DEP_3) | instskip(SKIP_1) | instid1(VALU_DEP_4)
	v_min3_f32 v69, v70, v69, v81
	v_add_co_ci_u32_e32 v67, vcc_lo, v142, v67, vcc_lo
	v_min_f32_e32 v70, v72, v71
	s_delay_alu instid0(VALU_DEP_1)
	v_min3_f32 v68, v68, v70, v69
	global_store_b32 v[66:67], v68, off
.LBB77_57:
	s_or_b32 exec_lo, exec_lo, s1
	v_add_nc_u32_e32 v66, 8, v64
	s_delay_alu instid0(VALU_DEP_1) | instskip(SKIP_1) | instid1(VALU_DEP_2)
	v_cmp_gt_i32_e64 s1, s16, v66
	v_ashrrev_i32_e32 v67, 31, v66
	s_and_b32 s3, s1, s8
	s_delay_alu instid0(SALU_CYCLE_1)
	s_and_saveexec_b32 s2, s3
	s_cbranch_execz .LBB77_62
; %bb.58:
	v_cmp_ne_u32_e32 vcc_lo, 1, v121
	v_lshlrev_b64 v[68:69], 2, v[66:67]
	s_cbranch_vccnz .LBB77_60
; %bb.59:
	s_delay_alu instid0(VALU_DEP_1) | instskip(NEXT) | instid1(VALU_DEP_2)
	v_add_co_u32 v70, vcc_lo, v143, v68
	v_add_co_ci_u32_e32 v71, vcc_lo, v144, v69, vcc_lo
	flat_load_b32 v70, v[70:71]
	s_waitcnt vmcnt(0) lgkmcnt(0)
	v_mul_f32_e32 v70, s24, v70
	s_branch .LBB77_61
.LBB77_60:
	v_mov_b32_e32 v70, 0
.LBB77_61:
	v_dual_add_f32 v71, v29, v61 :: v_dual_add_f32 v72, v28, v60
	v_dual_add_f32 v73, v31, v63 :: v_dual_add_f32 v74, v30, v62
	s_delay_alu instid0(VALU_DEP_4) | instskip(NEXT) | instid1(VALU_DEP_3)
	v_add_co_u32 v68, vcc_lo, v141, v68
	v_min3_f32 v71, v72, v71, v79
	v_add_co_ci_u32_e32 v69, vcc_lo, v142, v69, vcc_lo
	s_delay_alu instid0(VALU_DEP_4) | instskip(NEXT) | instid1(VALU_DEP_1)
	v_min_f32_e32 v72, v74, v73
	v_min3_f32 v70, v70, v72, v71
	global_store_b32 v[68:69], v70, off
.LBB77_62:
	s_or_b32 exec_lo, exec_lo, s2
	v_add_nc_u32_e32 v68, 16, v64
	s_delay_alu instid0(VALU_DEP_1) | instskip(SKIP_1) | instid1(VALU_DEP_2)
	v_cmp_gt_i32_e64 s2, s16, v68
	v_ashrrev_i32_e32 v69, 31, v68
	s_and_b32 s4, s2, s8
	s_delay_alu instid0(SALU_CYCLE_1)
	s_and_saveexec_b32 s3, s4
	s_cbranch_execz .LBB77_67
; %bb.63:
	v_cmp_ne_u32_e32 vcc_lo, 1, v121
	v_lshlrev_b64 v[70:71], 2, v[68:69]
	s_cbranch_vccnz .LBB77_65
; %bb.64:
	s_delay_alu instid0(VALU_DEP_1) | instskip(NEXT) | instid1(VALU_DEP_2)
	v_add_co_u32 v72, vcc_lo, v143, v70
	v_add_co_ci_u32_e32 v73, vcc_lo, v144, v71, vcc_lo
	flat_load_b32 v72, v[72:73]
	s_waitcnt vmcnt(0) lgkmcnt(0)
	v_mul_f32_e32 v72, s24, v72
	s_branch .LBB77_66
.LBB77_65:
	v_mov_b32_e32 v72, 0
.LBB77_66:
	v_dual_add_f32 v73, v25, v61 :: v_dual_add_f32 v74, v24, v60
	v_add_f32_e32 v79, v27, v63
	v_add_f32_e32 v81, v26, v62
	v_add_co_u32 v70, vcc_lo, v141, v70
	s_delay_alu instid0(VALU_DEP_4) | instskip(SKIP_1) | instid1(VALU_DEP_4)
	v_min3_f32 v73, v74, v73, v77
	v_add_co_ci_u32_e32 v71, vcc_lo, v142, v71, vcc_lo
	v_min_f32_e32 v74, v81, v79
	s_delay_alu instid0(VALU_DEP_1)
	v_min3_f32 v72, v72, v74, v73
	global_store_b32 v[70:71], v72, off
.LBB77_67:
	s_or_b32 exec_lo, exec_lo, s3
	v_add_nc_u32_e32 v70, 24, v64
	s_delay_alu instid0(VALU_DEP_1) | instskip(SKIP_1) | instid1(VALU_DEP_2)
	v_cmp_gt_i32_e64 s3, s16, v70
	v_ashrrev_i32_e32 v71, 31, v70
	s_and_b32 s5, s3, s8
	s_delay_alu instid0(SALU_CYCLE_1)
	s_and_saveexec_b32 s4, s5
	s_cbranch_execz .LBB77_72
; %bb.68:
	v_cmp_ne_u32_e32 vcc_lo, 1, v121
	v_lshlrev_b64 v[72:73], 2, v[70:71]
	s_cbranch_vccnz .LBB77_70
; %bb.69:
	s_delay_alu instid0(VALU_DEP_1) | instskip(NEXT) | instid1(VALU_DEP_2)
	v_add_co_u32 v145, vcc_lo, v143, v72
	v_add_co_ci_u32_e32 v146, vcc_lo, v144, v73, vcc_lo
	flat_load_b32 v74, v[145:146]
	s_waitcnt vmcnt(0) lgkmcnt(0)
	v_mul_f32_e32 v74, s24, v74
	s_branch .LBB77_71
.LBB77_70:
	v_mov_b32_e32 v74, 0
.LBB77_71:
	v_add_f32_e32 v77, v21, v61
	v_add_f32_e32 v79, v20, v60
	;; [unrolled: 1-line block ×4, first 2 shown]
	v_add_co_u32 v72, vcc_lo, v141, v72
	s_delay_alu instid0(VALU_DEP_4) | instskip(SKIP_1) | instid1(VALU_DEP_4)
	v_min3_f32 v75, v79, v77, v75
	v_add_co_ci_u32_e32 v73, vcc_lo, v142, v73, vcc_lo
	v_min_f32_e32 v77, v145, v81
	s_delay_alu instid0(VALU_DEP_1)
	v_min3_f32 v74, v74, v77, v75
	global_store_b32 v[72:73], v74, off
.LBB77_72:
	s_or_b32 exec_lo, exec_lo, s4
	v_add_nc_u32_e32 v72, 32, v64
	s_delay_alu instid0(VALU_DEP_1) | instskip(SKIP_1) | instid1(VALU_DEP_2)
	v_cmp_gt_i32_e64 s4, s16, v72
	v_ashrrev_i32_e32 v73, 31, v72
	s_and_b32 s6, s4, s8
	s_delay_alu instid0(SALU_CYCLE_1)
	s_and_saveexec_b32 s5, s6
	s_cbranch_execz .LBB77_77
; %bb.73:
	v_cmp_ne_u32_e32 vcc_lo, 1, v121
	v_lshlrev_b64 v[74:75], 2, v[72:73]
	s_cbranch_vccnz .LBB77_75
; %bb.74:
	s_delay_alu instid0(VALU_DEP_1) | instskip(NEXT) | instid1(VALU_DEP_2)
	v_add_co_u32 v145, vcc_lo, v143, v74
	v_add_co_ci_u32_e32 v146, vcc_lo, v144, v75, vcc_lo
	flat_load_b32 v77, v[145:146]
	s_waitcnt vmcnt(0) lgkmcnt(0)
	v_mul_f32_e32 v77, s24, v77
	s_branch .LBB77_76
.LBB77_75:
	v_mov_b32_e32 v77, 0
.LBB77_76:
	v_dual_add_f32 v79, v17, v61 :: v_dual_add_f32 v146, v18, v62
	v_add_f32_e32 v81, v16, v60
	v_add_f32_e32 v145, v19, v63
	v_add_co_u32 v74, vcc_lo, v141, v74
	v_add_co_ci_u32_e32 v75, vcc_lo, v142, v75, vcc_lo
	s_delay_alu instid0(VALU_DEP_4) | instskip(NEXT) | instid1(VALU_DEP_4)
	v_min3_f32 v76, v81, v79, v76
	v_min_f32_e32 v79, v146, v145
	s_delay_alu instid0(VALU_DEP_1)
	v_min3_f32 v76, v77, v79, v76
	global_store_b32 v[74:75], v76, off
.LBB77_77:
	s_or_b32 exec_lo, exec_lo, s5
	v_add_nc_u32_e32 v74, 40, v64
	s_delay_alu instid0(VALU_DEP_1) | instskip(SKIP_1) | instid1(VALU_DEP_2)
	v_cmp_gt_i32_e64 s5, s16, v74
	v_ashrrev_i32_e32 v75, 31, v74
	s_and_b32 s7, s5, s8
	s_delay_alu instid0(SALU_CYCLE_1)
	s_and_saveexec_b32 s6, s7
	s_cbranch_execz .LBB77_82
; %bb.78:
	v_cmp_ne_u32_e32 vcc_lo, 1, v121
	v_lshlrev_b64 v[76:77], 2, v[74:75]
	s_cbranch_vccnz .LBB77_80
; %bb.79:
	s_delay_alu instid0(VALU_DEP_1) | instskip(NEXT) | instid1(VALU_DEP_2)
	v_add_co_u32 v145, vcc_lo, v143, v76
	v_add_co_ci_u32_e32 v146, vcc_lo, v144, v77, vcc_lo
	flat_load_b32 v79, v[145:146]
	s_waitcnt vmcnt(0) lgkmcnt(0)
	v_mul_f32_e32 v79, s24, v79
	s_branch .LBB77_81
.LBB77_80:
	v_mov_b32_e32 v79, 0
.LBB77_81:
	v_dual_add_f32 v81, v13, v61 :: v_dual_add_f32 v146, v15, v63
	v_add_f32_e32 v145, v12, v60
	v_add_f32_e32 v147, v14, v62
	v_add_co_u32 v76, vcc_lo, v141, v76
	v_add_co_ci_u32_e32 v77, vcc_lo, v142, v77, vcc_lo
	s_delay_alu instid0(VALU_DEP_4) | instskip(NEXT) | instid1(VALU_DEP_4)
	v_min3_f32 v78, v145, v81, v78
	v_min_f32_e32 v81, v147, v146
	s_delay_alu instid0(VALU_DEP_1)
	v_min3_f32 v78, v79, v81, v78
	global_store_b32 v[76:77], v78, off
.LBB77_82:
	s_or_b32 exec_lo, exec_lo, s6
	v_add_nc_u32_e32 v76, 48, v64
	s_delay_alu instid0(VALU_DEP_1) | instskip(SKIP_1) | instid1(VALU_DEP_2)
	v_cmp_gt_i32_e64 s6, s16, v76
	v_ashrrev_i32_e32 v77, 31, v76
	s_and_b32 s11, s6, s8
	s_delay_alu instid0(SALU_CYCLE_1)
	s_and_saveexec_b32 s7, s11
	s_cbranch_execz .LBB77_87
; %bb.83:
	v_cmp_ne_u32_e32 vcc_lo, 1, v121
	v_lshlrev_b64 v[78:79], 2, v[76:77]
	s_cbranch_vccnz .LBB77_85
; %bb.84:
	s_delay_alu instid0(VALU_DEP_1) | instskip(NEXT) | instid1(VALU_DEP_2)
	v_add_co_u32 v145, vcc_lo, v143, v78
	v_add_co_ci_u32_e32 v146, vcc_lo, v144, v79, vcc_lo
	flat_load_b32 v81, v[145:146]
	s_waitcnt vmcnt(0) lgkmcnt(0)
	v_mul_f32_e32 v81, s24, v81
	s_branch .LBB77_86
.LBB77_85:
	v_mov_b32_e32 v81, 0
.LBB77_86:
	v_dual_add_f32 v145, v9, v61 :: v_dual_add_f32 v146, v8, v60
	v_dual_add_f32 v147, v11, v63 :: v_dual_add_f32 v148, v10, v62
	s_delay_alu instid0(VALU_DEP_4) | instskip(NEXT) | instid1(VALU_DEP_3)
	v_add_co_u32 v78, vcc_lo, v141, v78
	v_min3_f32 v80, v146, v145, v80
	v_add_co_ci_u32_e32 v79, vcc_lo, v142, v79, vcc_lo
	s_delay_alu instid0(VALU_DEP_4) | instskip(NEXT) | instid1(VALU_DEP_1)
	v_min_f32_e32 v145, v148, v147
	v_min3_f32 v80, v81, v145, v80
	global_store_b32 v[78:79], v80, off
.LBB77_87:
	s_or_b32 exec_lo, exec_lo, s7
	v_add_nc_u32_e32 v78, 56, v64
	s_delay_alu instid0(VALU_DEP_1) | instskip(SKIP_1) | instid1(VALU_DEP_2)
	v_cmp_gt_i32_e64 s7, s16, v78
	v_ashrrev_i32_e32 v79, 31, v78
	s_and_b32 s11, s7, s8
	s_delay_alu instid0(SALU_CYCLE_1)
	s_and_saveexec_b32 s8, s11
	s_cbranch_execz .LBB77_92
; %bb.88:
	v_cmp_ne_u32_e32 vcc_lo, 1, v121
	v_lshlrev_b64 v[80:81], 2, v[78:79]
	s_cbranch_vccnz .LBB77_90
; %bb.89:
	s_delay_alu instid0(VALU_DEP_1) | instskip(NEXT) | instid1(VALU_DEP_2)
	v_add_co_u32 v143, vcc_lo, v143, v80
	v_add_co_ci_u32_e32 v144, vcc_lo, v144, v81, vcc_lo
	flat_load_b32 v143, v[143:144]
	s_waitcnt vmcnt(0) lgkmcnt(0)
	v_mul_f32_e32 v143, s24, v143
	s_branch .LBB77_91
.LBB77_90:
	v_mov_b32_e32 v143, 0
.LBB77_91:
	v_dual_add_f32 v61, v1, v61 :: v_dual_add_f32 v60, v0, v60
	v_dual_add_f32 v63, v3, v63 :: v_dual_add_f32 v62, v2, v62
	s_delay_alu instid0(VALU_DEP_2) | instskip(NEXT) | instid1(VALU_DEP_2)
	v_min3_f32 v60, v60, v61, v140
	v_min_f32_e32 v61, v62, v63
	s_delay_alu instid0(VALU_DEP_1)
	v_min3_f32 v62, v143, v61, v60
	v_add_co_u32 v60, vcc_lo, v141, v80
	v_add_co_ci_u32_e32 v61, vcc_lo, v142, v81, vcc_lo
	global_store_b32 v[60:61], v62, off
.LBB77_92:
	s_or_b32 exec_lo, exec_lo, s8
	v_add_nc_u32_e32 v80, 32, v131
	s_delay_alu instid0(VALU_DEP_1) | instskip(SKIP_2) | instid1(VALU_DEP_3)
	v_mad_i64_i32 v[60:61], null, v80, s18, 0
	v_mad_i64_i32 v[62:63], null, v80, s14, 0
	v_cmp_gt_i32_e64 s8, s17, v80
	v_lshlrev_b64 v[60:61], 2, v[60:61]
	s_delay_alu instid0(VALU_DEP_2) | instskip(NEXT) | instid1(VALU_DEP_3)
	s_and_b32 s15, s0, s8
	v_lshlrev_b64 v[62:63], 2, v[62:63]
	s_delay_alu instid0(VALU_DEP_2) | instskip(NEXT) | instid1(VALU_DEP_3)
	v_add_co_u32 v80, vcc_lo, s12, v60
	v_add_co_ci_u32_e32 v81, vcc_lo, s13, v61, vcc_lo
	s_delay_alu instid0(VALU_DEP_3) | instskip(NEXT) | instid1(VALU_DEP_4)
	v_add_co_u32 v62, vcc_lo, s9, v62
	v_add_co_ci_u32_e32 v63, vcc_lo, s10, v63, vcc_lo
	s_and_saveexec_b32 s11, s15
	s_cbranch_execnz .LBB77_100
; %bb.93:
	s_or_b32 exec_lo, exec_lo, s11
	s_and_b32 s15, s1, s8
	s_delay_alu instid0(SALU_CYCLE_1)
	s_and_saveexec_b32 s11, s15
	s_cbranch_execnz .LBB77_104
.LBB77_94:
	s_or_b32 exec_lo, exec_lo, s11
	s_and_b32 s15, s2, s8
	s_delay_alu instid0(SALU_CYCLE_1)
	s_and_saveexec_b32 s11, s15
	s_cbranch_execnz .LBB77_108
.LBB77_95:
	s_or_b32 exec_lo, exec_lo, s11
	s_and_b32 s15, s3, s8
	s_delay_alu instid0(SALU_CYCLE_1)
	s_and_saveexec_b32 s11, s15
	s_cbranch_execnz .LBB77_112
.LBB77_96:
	s_or_b32 exec_lo, exec_lo, s11
	s_and_b32 s15, s4, s8
	s_delay_alu instid0(SALU_CYCLE_1)
	s_and_saveexec_b32 s11, s15
	s_cbranch_execnz .LBB77_116
.LBB77_97:
	s_or_b32 exec_lo, exec_lo, s11
	s_and_b32 s15, s5, s8
	s_delay_alu instid0(SALU_CYCLE_1)
	s_and_saveexec_b32 s11, s15
	s_cbranch_execnz .LBB77_120
.LBB77_98:
	s_or_b32 exec_lo, exec_lo, s11
	s_and_b32 s15, s6, s8
	s_delay_alu instid0(SALU_CYCLE_1)
	s_and_saveexec_b32 s11, s15
	s_cbranch_execnz .LBB77_124
.LBB77_99:
	s_or_b32 exec_lo, exec_lo, s11
	s_and_b32 s11, s7, s8
	s_delay_alu instid0(SALU_CYCLE_1)
	s_and_saveexec_b32 s8, s11
	s_cbranch_execnz .LBB77_128
	s_branch .LBB77_132
.LBB77_100:
	v_cmp_ne_u32_e32 vcc_lo, 1, v121
	v_lshlrev_b64 v[60:61], 2, v[64:65]
	s_cbranch_vccnz .LBB77_102
; %bb.101:
	s_delay_alu instid0(VALU_DEP_1) | instskip(NEXT) | instid1(VALU_DEP_2)
	v_add_co_u32 v140, vcc_lo, v80, v60
	v_add_co_ci_u32_e32 v141, vcc_lo, v81, v61, vcc_lo
	flat_load_b32 v140, v[140:141]
	s_waitcnt vmcnt(0) lgkmcnt(0)
	v_mul_f32_e32 v140, s24, v140
	s_branch .LBB77_103
.LBB77_102:
	v_mov_b32_e32 v140, 0
.LBB77_103:
	v_dual_add_f32 v141, v33, v57 :: v_dual_add_f32 v142, v32, v56
	v_dual_add_f32 v143, v35, v59 :: v_dual_add_f32 v144, v34, v58
	s_delay_alu instid0(VALU_DEP_4) | instskip(NEXT) | instid1(VALU_DEP_3)
	v_add_co_u32 v60, vcc_lo, v62, v60
	v_min3_f32 v139, v142, v141, v139
	v_add_co_ci_u32_e32 v61, vcc_lo, v63, v61, vcc_lo
	s_delay_alu instid0(VALU_DEP_4) | instskip(NEXT) | instid1(VALU_DEP_1)
	v_min_f32_e32 v141, v144, v143
	v_min3_f32 v139, v140, v141, v139
	global_store_b32 v[60:61], v139, off
	s_or_b32 exec_lo, exec_lo, s11
	s_and_b32 s15, s1, s8
	s_delay_alu instid0(SALU_CYCLE_1)
	s_and_saveexec_b32 s11, s15
	s_cbranch_execz .LBB77_94
.LBB77_104:
	v_cmp_ne_u32_e32 vcc_lo, 1, v121
	v_lshlrev_b64 v[60:61], 2, v[66:67]
	s_cbranch_vccnz .LBB77_106
; %bb.105:
	s_delay_alu instid0(VALU_DEP_1) | instskip(NEXT) | instid1(VALU_DEP_2)
	v_add_co_u32 v139, vcc_lo, v80, v60
	v_add_co_ci_u32_e32 v140, vcc_lo, v81, v61, vcc_lo
	flat_load_b32 v139, v[139:140]
	s_waitcnt vmcnt(0) lgkmcnt(0)
	v_mul_f32_e32 v139, s24, v139
	s_branch .LBB77_107
.LBB77_106:
	v_mov_b32_e32 v139, 0
.LBB77_107:
	v_dual_add_f32 v140, v29, v57 :: v_dual_add_f32 v141, v28, v56
	v_dual_add_f32 v142, v31, v59 :: v_dual_add_f32 v143, v30, v58
	s_delay_alu instid0(VALU_DEP_4) | instskip(NEXT) | instid1(VALU_DEP_3)
	v_add_co_u32 v60, vcc_lo, v62, v60
	v_min3_f32 v138, v141, v140, v138
	v_add_co_ci_u32_e32 v61, vcc_lo, v63, v61, vcc_lo
	s_delay_alu instid0(VALU_DEP_4) | instskip(NEXT) | instid1(VALU_DEP_1)
	v_min_f32_e32 v140, v143, v142
	v_min3_f32 v138, v139, v140, v138
	global_store_b32 v[60:61], v138, off
	s_or_b32 exec_lo, exec_lo, s11
	s_and_b32 s15, s2, s8
	s_delay_alu instid0(SALU_CYCLE_1)
	s_and_saveexec_b32 s11, s15
	s_cbranch_execz .LBB77_95
.LBB77_108:
	v_cmp_ne_u32_e32 vcc_lo, 1, v121
	v_lshlrev_b64 v[60:61], 2, v[68:69]
	s_cbranch_vccnz .LBB77_110
; %bb.109:
	s_delay_alu instid0(VALU_DEP_1) | instskip(NEXT) | instid1(VALU_DEP_2)
	v_add_co_u32 v138, vcc_lo, v80, v60
	v_add_co_ci_u32_e32 v139, vcc_lo, v81, v61, vcc_lo
	flat_load_b32 v138, v[138:139]
	s_waitcnt vmcnt(0) lgkmcnt(0)
	v_mul_f32_e32 v138, s24, v138
	s_branch .LBB77_111
.LBB77_110:
	v_mov_b32_e32 v138, 0
.LBB77_111:
	v_dual_add_f32 v139, v25, v57 :: v_dual_add_f32 v140, v24, v56
	v_dual_add_f32 v141, v27, v59 :: v_dual_add_f32 v142, v26, v58
	s_delay_alu instid0(VALU_DEP_4) | instskip(NEXT) | instid1(VALU_DEP_3)
	v_add_co_u32 v60, vcc_lo, v62, v60
	v_min3_f32 v137, v140, v139, v137
	v_add_co_ci_u32_e32 v61, vcc_lo, v63, v61, vcc_lo
	s_delay_alu instid0(VALU_DEP_4) | instskip(NEXT) | instid1(VALU_DEP_1)
	v_min_f32_e32 v139, v142, v141
	v_min3_f32 v137, v138, v139, v137
	global_store_b32 v[60:61], v137, off
	s_or_b32 exec_lo, exec_lo, s11
	s_and_b32 s15, s3, s8
	s_delay_alu instid0(SALU_CYCLE_1)
	s_and_saveexec_b32 s11, s15
	s_cbranch_execz .LBB77_96
.LBB77_112:
	v_cmp_ne_u32_e32 vcc_lo, 1, v121
	v_lshlrev_b64 v[60:61], 2, v[70:71]
	s_cbranch_vccnz .LBB77_114
; %bb.113:
	s_delay_alu instid0(VALU_DEP_1) | instskip(NEXT) | instid1(VALU_DEP_2)
	v_add_co_u32 v137, vcc_lo, v80, v60
	v_add_co_ci_u32_e32 v138, vcc_lo, v81, v61, vcc_lo
	flat_load_b32 v137, v[137:138]
	s_waitcnt vmcnt(0) lgkmcnt(0)
	v_mul_f32_e32 v137, s24, v137
	s_branch .LBB77_115
.LBB77_114:
	v_mov_b32_e32 v137, 0
.LBB77_115:
	v_dual_add_f32 v138, v21, v57 :: v_dual_add_f32 v139, v20, v56
	v_dual_add_f32 v140, v23, v59 :: v_dual_add_f32 v141, v22, v58
	s_delay_alu instid0(VALU_DEP_4) | instskip(NEXT) | instid1(VALU_DEP_3)
	v_add_co_u32 v60, vcc_lo, v62, v60
	v_min3_f32 v136, v139, v138, v136
	v_add_co_ci_u32_e32 v61, vcc_lo, v63, v61, vcc_lo
	s_delay_alu instid0(VALU_DEP_4) | instskip(NEXT) | instid1(VALU_DEP_1)
	v_min_f32_e32 v138, v141, v140
	v_min3_f32 v136, v137, v138, v136
	global_store_b32 v[60:61], v136, off
	s_or_b32 exec_lo, exec_lo, s11
	s_and_b32 s15, s4, s8
	s_delay_alu instid0(SALU_CYCLE_1)
	s_and_saveexec_b32 s11, s15
	s_cbranch_execz .LBB77_97
.LBB77_116:
	v_cmp_ne_u32_e32 vcc_lo, 1, v121
	v_lshlrev_b64 v[60:61], 2, v[72:73]
	s_cbranch_vccnz .LBB77_118
; %bb.117:
	s_delay_alu instid0(VALU_DEP_1) | instskip(NEXT) | instid1(VALU_DEP_2)
	v_add_co_u32 v136, vcc_lo, v80, v60
	v_add_co_ci_u32_e32 v137, vcc_lo, v81, v61, vcc_lo
	flat_load_b32 v136, v[136:137]
	s_waitcnt vmcnt(0) lgkmcnt(0)
	v_mul_f32_e32 v136, s24, v136
	s_branch .LBB77_119
.LBB77_118:
	v_mov_b32_e32 v136, 0
.LBB77_119:
	v_dual_add_f32 v137, v17, v57 :: v_dual_add_f32 v138, v16, v56
	v_dual_add_f32 v139, v19, v59 :: v_dual_add_f32 v140, v18, v58
	s_delay_alu instid0(VALU_DEP_4) | instskip(NEXT) | instid1(VALU_DEP_3)
	v_add_co_u32 v60, vcc_lo, v62, v60
	v_min3_f32 v135, v138, v137, v135
	v_add_co_ci_u32_e32 v61, vcc_lo, v63, v61, vcc_lo
	s_delay_alu instid0(VALU_DEP_4) | instskip(NEXT) | instid1(VALU_DEP_1)
	v_min_f32_e32 v137, v140, v139
	v_min3_f32 v135, v136, v137, v135
	global_store_b32 v[60:61], v135, off
	s_or_b32 exec_lo, exec_lo, s11
	s_and_b32 s15, s5, s8
	s_delay_alu instid0(SALU_CYCLE_1)
	s_and_saveexec_b32 s11, s15
	s_cbranch_execz .LBB77_98
.LBB77_120:
	v_cmp_ne_u32_e32 vcc_lo, 1, v121
	v_lshlrev_b64 v[60:61], 2, v[74:75]
	s_cbranch_vccnz .LBB77_122
; %bb.121:
	s_delay_alu instid0(VALU_DEP_1) | instskip(NEXT) | instid1(VALU_DEP_2)
	v_add_co_u32 v135, vcc_lo, v80, v60
	v_add_co_ci_u32_e32 v136, vcc_lo, v81, v61, vcc_lo
	flat_load_b32 v135, v[135:136]
	s_waitcnt vmcnt(0) lgkmcnt(0)
	v_mul_f32_e32 v135, s24, v135
	s_branch .LBB77_123
.LBB77_122:
	v_mov_b32_e32 v135, 0
.LBB77_123:
	v_dual_add_f32 v136, v13, v57 :: v_dual_add_f32 v137, v12, v56
	v_dual_add_f32 v138, v15, v59 :: v_dual_add_f32 v139, v14, v58
	s_delay_alu instid0(VALU_DEP_4) | instskip(NEXT) | instid1(VALU_DEP_3)
	v_add_co_u32 v60, vcc_lo, v62, v60
	v_min3_f32 v134, v137, v136, v134
	v_add_co_ci_u32_e32 v61, vcc_lo, v63, v61, vcc_lo
	s_delay_alu instid0(VALU_DEP_4) | instskip(NEXT) | instid1(VALU_DEP_1)
	v_min_f32_e32 v136, v139, v138
	v_min3_f32 v134, v135, v136, v134
	global_store_b32 v[60:61], v134, off
	s_or_b32 exec_lo, exec_lo, s11
	s_and_b32 s15, s6, s8
	s_delay_alu instid0(SALU_CYCLE_1)
	s_and_saveexec_b32 s11, s15
	s_cbranch_execz .LBB77_99
.LBB77_124:
	v_cmp_ne_u32_e32 vcc_lo, 1, v121
	v_lshlrev_b64 v[60:61], 2, v[76:77]
	s_cbranch_vccnz .LBB77_126
; %bb.125:
	s_delay_alu instid0(VALU_DEP_1) | instskip(NEXT) | instid1(VALU_DEP_2)
	v_add_co_u32 v134, vcc_lo, v80, v60
	v_add_co_ci_u32_e32 v135, vcc_lo, v81, v61, vcc_lo
	flat_load_b32 v134, v[134:135]
	s_waitcnt vmcnt(0) lgkmcnt(0)
	v_mul_f32_e32 v134, s24, v134
	s_branch .LBB77_127
.LBB77_126:
	v_mov_b32_e32 v134, 0
.LBB77_127:
	v_dual_add_f32 v135, v9, v57 :: v_dual_add_f32 v136, v8, v56
	v_dual_add_f32 v137, v11, v59 :: v_dual_add_f32 v138, v10, v58
	s_delay_alu instid0(VALU_DEP_4) | instskip(NEXT) | instid1(VALU_DEP_3)
	v_add_co_u32 v60, vcc_lo, v62, v60
	v_min3_f32 v133, v136, v135, v133
	v_add_co_ci_u32_e32 v61, vcc_lo, v63, v61, vcc_lo
	s_delay_alu instid0(VALU_DEP_4) | instskip(NEXT) | instid1(VALU_DEP_1)
	v_min_f32_e32 v135, v138, v137
	v_min3_f32 v133, v134, v135, v133
	global_store_b32 v[60:61], v133, off
	s_or_b32 exec_lo, exec_lo, s11
	s_and_b32 s11, s7, s8
	s_delay_alu instid0(SALU_CYCLE_1)
	s_and_saveexec_b32 s8, s11
	s_cbranch_execz .LBB77_132
.LBB77_128:
	v_cmp_ne_u32_e32 vcc_lo, 1, v121
	v_lshlrev_b64 v[60:61], 2, v[78:79]
	s_cbranch_vccnz .LBB77_130
; %bb.129:
	s_delay_alu instid0(VALU_DEP_1) | instskip(NEXT) | instid1(VALU_DEP_2)
	v_add_co_u32 v80, vcc_lo, v80, v60
	v_add_co_ci_u32_e32 v81, vcc_lo, v81, v61, vcc_lo
	flat_load_b32 v80, v[80:81]
	s_waitcnt vmcnt(0) lgkmcnt(0)
	v_mul_f32_e32 v80, s24, v80
	s_branch .LBB77_131
.LBB77_130:
	v_mov_b32_e32 v80, 0
.LBB77_131:
	v_dual_add_f32 v57, v1, v57 :: v_dual_add_f32 v56, v0, v56
	v_dual_add_f32 v59, v3, v59 :: v_dual_add_f32 v58, v2, v58
	s_delay_alu instid0(VALU_DEP_2) | instskip(NEXT) | instid1(VALU_DEP_2)
	v_min3_f32 v56, v56, v57, v132
	v_min_f32_e32 v57, v58, v59
	s_delay_alu instid0(VALU_DEP_1)
	v_min3_f32 v58, v80, v57, v56
	v_add_co_u32 v56, vcc_lo, v62, v60
	v_add_co_ci_u32_e32 v57, vcc_lo, v63, v61, vcc_lo
	global_store_b32 v[56:57], v58, off
.LBB77_132:
	s_or_b32 exec_lo, exec_lo, s8
	v_add_nc_u32_e32 v60, 64, v131
	s_delay_alu instid0(VALU_DEP_1) | instskip(SKIP_2) | instid1(VALU_DEP_3)
	v_mad_i64_i32 v[56:57], null, v60, s18, 0
	v_mad_i64_i32 v[58:59], null, v60, s14, 0
	v_cmp_gt_i32_e64 s8, s17, v60
	v_lshlrev_b64 v[56:57], 2, v[56:57]
	s_delay_alu instid0(VALU_DEP_2) | instskip(NEXT) | instid1(VALU_DEP_3)
	s_and_b32 s15, s0, s8
	v_lshlrev_b64 v[58:59], 2, v[58:59]
	s_delay_alu instid0(VALU_DEP_2) | instskip(NEXT) | instid1(VALU_DEP_3)
	v_add_co_u32 v60, vcc_lo, s12, v56
	v_add_co_ci_u32_e32 v61, vcc_lo, s13, v57, vcc_lo
	s_delay_alu instid0(VALU_DEP_3) | instskip(NEXT) | instid1(VALU_DEP_4)
	v_add_co_u32 v58, vcc_lo, s9, v58
	v_add_co_ci_u32_e32 v59, vcc_lo, s10, v59, vcc_lo
	s_and_saveexec_b32 s11, s15
	s_cbranch_execnz .LBB77_140
; %bb.133:
	s_or_b32 exec_lo, exec_lo, s11
	s_and_b32 s15, s1, s8
	s_delay_alu instid0(SALU_CYCLE_1)
	s_and_saveexec_b32 s11, s15
	s_cbranch_execnz .LBB77_144
.LBB77_134:
	s_or_b32 exec_lo, exec_lo, s11
	s_and_b32 s15, s2, s8
	s_delay_alu instid0(SALU_CYCLE_1)
	s_and_saveexec_b32 s11, s15
	s_cbranch_execnz .LBB77_148
.LBB77_135:
	s_or_b32 exec_lo, exec_lo, s11
	s_and_b32 s15, s3, s8
	s_delay_alu instid0(SALU_CYCLE_1)
	s_and_saveexec_b32 s11, s15
	s_cbranch_execnz .LBB77_152
.LBB77_136:
	s_or_b32 exec_lo, exec_lo, s11
	s_and_b32 s15, s4, s8
	s_delay_alu instid0(SALU_CYCLE_1)
	s_and_saveexec_b32 s11, s15
	s_cbranch_execnz .LBB77_156
.LBB77_137:
	s_or_b32 exec_lo, exec_lo, s11
	s_and_b32 s15, s5, s8
	s_delay_alu instid0(SALU_CYCLE_1)
	s_and_saveexec_b32 s11, s15
	s_cbranch_execnz .LBB77_160
.LBB77_138:
	s_or_b32 exec_lo, exec_lo, s11
	s_and_b32 s15, s6, s8
	s_delay_alu instid0(SALU_CYCLE_1)
	s_and_saveexec_b32 s11, s15
	s_cbranch_execnz .LBB77_164
.LBB77_139:
	s_or_b32 exec_lo, exec_lo, s11
	s_and_b32 s11, s7, s8
	s_delay_alu instid0(SALU_CYCLE_1)
	s_and_saveexec_b32 s8, s11
	s_cbranch_execnz .LBB77_168
	s_branch .LBB77_172
.LBB77_140:
	v_cmp_ne_u32_e32 vcc_lo, 1, v121
	v_lshlrev_b64 v[56:57], 2, v[64:65]
	s_cbranch_vccnz .LBB77_142
; %bb.141:
	s_delay_alu instid0(VALU_DEP_1) | instskip(NEXT) | instid1(VALU_DEP_2)
	v_add_co_u32 v62, vcc_lo, v60, v56
	v_add_co_ci_u32_e32 v63, vcc_lo, v61, v57, vcc_lo
	flat_load_b32 v62, v[62:63]
	s_waitcnt vmcnt(0) lgkmcnt(0)
	v_mul_f32_e32 v62, s24, v62
	s_branch .LBB77_143
.LBB77_142:
	v_mov_b32_e32 v62, 0
.LBB77_143:
	v_dual_add_f32 v63, v33, v53 :: v_dual_add_f32 v80, v32, v52
	v_dual_add_f32 v81, v35, v55 :: v_dual_add_f32 v132, v34, v54
	s_delay_alu instid0(VALU_DEP_4) | instskip(NEXT) | instid1(VALU_DEP_3)
	v_add_co_u32 v56, vcc_lo, v58, v56
	v_min3_f32 v63, v80, v63, v130
	v_add_co_ci_u32_e32 v57, vcc_lo, v59, v57, vcc_lo
	s_delay_alu instid0(VALU_DEP_4) | instskip(NEXT) | instid1(VALU_DEP_1)
	v_min_f32_e32 v80, v132, v81
	v_min3_f32 v62, v62, v80, v63
	global_store_b32 v[56:57], v62, off
	s_or_b32 exec_lo, exec_lo, s11
	s_and_b32 s15, s1, s8
	s_delay_alu instid0(SALU_CYCLE_1)
	s_and_saveexec_b32 s11, s15
	s_cbranch_execz .LBB77_134
.LBB77_144:
	v_cmp_ne_u32_e32 vcc_lo, 1, v121
	v_lshlrev_b64 v[56:57], 2, v[66:67]
	s_cbranch_vccnz .LBB77_146
; %bb.145:
	s_delay_alu instid0(VALU_DEP_1) | instskip(NEXT) | instid1(VALU_DEP_2)
	v_add_co_u32 v62, vcc_lo, v60, v56
	v_add_co_ci_u32_e32 v63, vcc_lo, v61, v57, vcc_lo
	flat_load_b32 v62, v[62:63]
	s_waitcnt vmcnt(0) lgkmcnt(0)
	v_mul_f32_e32 v62, s24, v62
	s_branch .LBB77_147
.LBB77_146:
	v_mov_b32_e32 v62, 0
.LBB77_147:
	v_dual_add_f32 v63, v29, v53 :: v_dual_add_f32 v80, v28, v52
	v_dual_add_f32 v81, v31, v55 :: v_dual_add_f32 v130, v30, v54
	s_delay_alu instid0(VALU_DEP_4) | instskip(NEXT) | instid1(VALU_DEP_3)
	v_add_co_u32 v56, vcc_lo, v58, v56
	v_min3_f32 v63, v80, v63, v129
	v_add_co_ci_u32_e32 v57, vcc_lo, v59, v57, vcc_lo
	s_delay_alu instid0(VALU_DEP_4) | instskip(NEXT) | instid1(VALU_DEP_1)
	v_min_f32_e32 v80, v130, v81
	v_min3_f32 v62, v62, v80, v63
	global_store_b32 v[56:57], v62, off
	s_or_b32 exec_lo, exec_lo, s11
	s_and_b32 s15, s2, s8
	s_delay_alu instid0(SALU_CYCLE_1)
	s_and_saveexec_b32 s11, s15
	s_cbranch_execz .LBB77_135
.LBB77_148:
	v_cmp_ne_u32_e32 vcc_lo, 1, v121
	v_lshlrev_b64 v[56:57], 2, v[68:69]
	s_cbranch_vccnz .LBB77_150
; %bb.149:
	s_delay_alu instid0(VALU_DEP_1) | instskip(NEXT) | instid1(VALU_DEP_2)
	v_add_co_u32 v62, vcc_lo, v60, v56
	v_add_co_ci_u32_e32 v63, vcc_lo, v61, v57, vcc_lo
	flat_load_b32 v62, v[62:63]
	s_waitcnt vmcnt(0) lgkmcnt(0)
	v_mul_f32_e32 v62, s24, v62
	s_branch .LBB77_151
.LBB77_150:
	v_mov_b32_e32 v62, 0
.LBB77_151:
	v_dual_add_f32 v63, v25, v53 :: v_dual_add_f32 v80, v24, v52
	v_add_f32_e32 v81, v27, v55
	v_add_f32_e32 v129, v26, v54
	v_add_co_u32 v56, vcc_lo, v58, v56
	s_delay_alu instid0(VALU_DEP_4) | instskip(SKIP_1) | instid1(VALU_DEP_4)
	v_min3_f32 v63, v80, v63, v128
	v_add_co_ci_u32_e32 v57, vcc_lo, v59, v57, vcc_lo
	v_min_f32_e32 v80, v129, v81
	s_delay_alu instid0(VALU_DEP_1) | instskip(SKIP_3) | instid1(SALU_CYCLE_1)
	v_min3_f32 v62, v62, v80, v63
	global_store_b32 v[56:57], v62, off
	s_or_b32 exec_lo, exec_lo, s11
	s_and_b32 s15, s3, s8
	s_and_saveexec_b32 s11, s15
	s_cbranch_execz .LBB77_136
.LBB77_152:
	v_cmp_ne_u32_e32 vcc_lo, 1, v121
	v_lshlrev_b64 v[56:57], 2, v[70:71]
	s_cbranch_vccnz .LBB77_154
; %bb.153:
	s_delay_alu instid0(VALU_DEP_1) | instskip(NEXT) | instid1(VALU_DEP_2)
	v_add_co_u32 v62, vcc_lo, v60, v56
	v_add_co_ci_u32_e32 v63, vcc_lo, v61, v57, vcc_lo
	flat_load_b32 v62, v[62:63]
	s_waitcnt vmcnt(0) lgkmcnt(0)
	v_mul_f32_e32 v62, s24, v62
	s_branch .LBB77_155
.LBB77_154:
	v_mov_b32_e32 v62, 0
.LBB77_155:
	v_dual_add_f32 v63, v21, v53 :: v_dual_add_f32 v80, v20, v52
	v_dual_add_f32 v81, v23, v55 :: v_dual_add_f32 v128, v22, v54
	s_delay_alu instid0(VALU_DEP_4) | instskip(NEXT) | instid1(VALU_DEP_3)
	v_add_co_u32 v56, vcc_lo, v58, v56
	v_min3_f32 v63, v80, v63, v127
	v_add_co_ci_u32_e32 v57, vcc_lo, v59, v57, vcc_lo
	s_delay_alu instid0(VALU_DEP_4) | instskip(NEXT) | instid1(VALU_DEP_1)
	v_min_f32_e32 v80, v128, v81
	v_min3_f32 v62, v62, v80, v63
	global_store_b32 v[56:57], v62, off
	s_or_b32 exec_lo, exec_lo, s11
	s_and_b32 s15, s4, s8
	s_delay_alu instid0(SALU_CYCLE_1)
	s_and_saveexec_b32 s11, s15
	s_cbranch_execz .LBB77_137
.LBB77_156:
	v_cmp_ne_u32_e32 vcc_lo, 1, v121
	v_lshlrev_b64 v[56:57], 2, v[72:73]
	s_cbranch_vccnz .LBB77_158
; %bb.157:
	s_delay_alu instid0(VALU_DEP_1) | instskip(NEXT) | instid1(VALU_DEP_2)
	v_add_co_u32 v62, vcc_lo, v60, v56
	v_add_co_ci_u32_e32 v63, vcc_lo, v61, v57, vcc_lo
	flat_load_b32 v62, v[62:63]
	s_waitcnt vmcnt(0) lgkmcnt(0)
	v_mul_f32_e32 v62, s24, v62
	s_branch .LBB77_159
.LBB77_158:
	v_mov_b32_e32 v62, 0
.LBB77_159:
	v_dual_add_f32 v63, v17, v53 :: v_dual_add_f32 v80, v16, v52
	v_add_f32_e32 v81, v19, v55
	v_add_f32_e32 v127, v18, v54
	v_add_co_u32 v56, vcc_lo, v58, v56
	s_delay_alu instid0(VALU_DEP_4) | instskip(SKIP_1) | instid1(VALU_DEP_4)
	v_min3_f32 v63, v80, v63, v126
	v_add_co_ci_u32_e32 v57, vcc_lo, v59, v57, vcc_lo
	v_min_f32_e32 v80, v127, v81
	s_delay_alu instid0(VALU_DEP_1) | instskip(SKIP_3) | instid1(SALU_CYCLE_1)
	v_min3_f32 v62, v62, v80, v63
	global_store_b32 v[56:57], v62, off
	s_or_b32 exec_lo, exec_lo, s11
	s_and_b32 s15, s5, s8
	s_and_saveexec_b32 s11, s15
	s_cbranch_execz .LBB77_138
.LBB77_160:
	v_cmp_ne_u32_e32 vcc_lo, 1, v121
	v_lshlrev_b64 v[56:57], 2, v[74:75]
	s_cbranch_vccnz .LBB77_162
; %bb.161:
	s_delay_alu instid0(VALU_DEP_1) | instskip(NEXT) | instid1(VALU_DEP_2)
	v_add_co_u32 v62, vcc_lo, v60, v56
	v_add_co_ci_u32_e32 v63, vcc_lo, v61, v57, vcc_lo
	flat_load_b32 v62, v[62:63]
	s_waitcnt vmcnt(0) lgkmcnt(0)
	v_mul_f32_e32 v62, s24, v62
	s_branch .LBB77_163
.LBB77_162:
	v_mov_b32_e32 v62, 0
.LBB77_163:
	v_dual_add_f32 v63, v13, v53 :: v_dual_add_f32 v80, v12, v52
	v_dual_add_f32 v81, v15, v55 :: v_dual_add_f32 v126, v14, v54
	s_delay_alu instid0(VALU_DEP_4) | instskip(NEXT) | instid1(VALU_DEP_3)
	v_add_co_u32 v56, vcc_lo, v58, v56
	v_min3_f32 v63, v80, v63, v125
	v_add_co_ci_u32_e32 v57, vcc_lo, v59, v57, vcc_lo
	s_delay_alu instid0(VALU_DEP_4) | instskip(NEXT) | instid1(VALU_DEP_1)
	v_min_f32_e32 v80, v126, v81
	v_min3_f32 v62, v62, v80, v63
	global_store_b32 v[56:57], v62, off
	s_or_b32 exec_lo, exec_lo, s11
	s_and_b32 s15, s6, s8
	s_delay_alu instid0(SALU_CYCLE_1)
	s_and_saveexec_b32 s11, s15
	s_cbranch_execz .LBB77_139
.LBB77_164:
	v_cmp_ne_u32_e32 vcc_lo, 1, v121
	v_lshlrev_b64 v[56:57], 2, v[76:77]
	s_cbranch_vccnz .LBB77_166
; %bb.165:
	s_delay_alu instid0(VALU_DEP_1) | instskip(NEXT) | instid1(VALU_DEP_2)
	v_add_co_u32 v62, vcc_lo, v60, v56
	v_add_co_ci_u32_e32 v63, vcc_lo, v61, v57, vcc_lo
	flat_load_b32 v62, v[62:63]
	s_waitcnt vmcnt(0) lgkmcnt(0)
	v_mul_f32_e32 v62, s24, v62
	s_branch .LBB77_167
.LBB77_166:
	v_mov_b32_e32 v62, 0
.LBB77_167:
	v_dual_add_f32 v63, v9, v53 :: v_dual_add_f32 v80, v8, v52
	v_add_f32_e32 v81, v11, v55
	v_add_f32_e32 v125, v10, v54
	v_add_co_u32 v56, vcc_lo, v58, v56
	s_delay_alu instid0(VALU_DEP_4) | instskip(SKIP_1) | instid1(VALU_DEP_4)
	v_min3_f32 v63, v80, v63, v124
	v_add_co_ci_u32_e32 v57, vcc_lo, v59, v57, vcc_lo
	v_min_f32_e32 v80, v125, v81
	s_delay_alu instid0(VALU_DEP_1) | instskip(SKIP_3) | instid1(SALU_CYCLE_1)
	v_min3_f32 v62, v62, v80, v63
	global_store_b32 v[56:57], v62, off
	s_or_b32 exec_lo, exec_lo, s11
	s_and_b32 s11, s7, s8
	s_and_saveexec_b32 s8, s11
	s_cbranch_execz .LBB77_172
.LBB77_168:
	v_cmp_ne_u32_e32 vcc_lo, 1, v121
	v_lshlrev_b64 v[56:57], 2, v[78:79]
	s_cbranch_vccnz .LBB77_170
; %bb.169:
	s_delay_alu instid0(VALU_DEP_1) | instskip(NEXT) | instid1(VALU_DEP_2)
	v_add_co_u32 v60, vcc_lo, v60, v56
	v_add_co_ci_u32_e32 v61, vcc_lo, v61, v57, vcc_lo
	flat_load_b32 v60, v[60:61]
	s_waitcnt vmcnt(0) lgkmcnt(0)
	v_mul_f32_e32 v60, s24, v60
	s_branch .LBB77_171
.LBB77_170:
	v_mov_b32_e32 v60, 0
.LBB77_171:
	v_dual_add_f32 v53, v1, v53 :: v_dual_add_f32 v52, v0, v52
	v_dual_add_f32 v55, v3, v55 :: v_dual_add_f32 v54, v2, v54
	s_delay_alu instid0(VALU_DEP_2) | instskip(NEXT) | instid1(VALU_DEP_2)
	v_min3_f32 v52, v52, v53, v122
	v_min_f32_e32 v53, v54, v55
	s_delay_alu instid0(VALU_DEP_1)
	v_min3_f32 v54, v60, v53, v52
	v_add_co_u32 v52, vcc_lo, v58, v56
	v_add_co_ci_u32_e32 v53, vcc_lo, v59, v57, vcc_lo
	global_store_b32 v[52:53], v54, off
.LBB77_172:
	s_or_b32 exec_lo, exec_lo, s8
	v_add_nc_u32_e32 v56, 0x60, v131
	s_delay_alu instid0(VALU_DEP_1) | instskip(SKIP_2) | instid1(VALU_DEP_3)
	v_mad_i64_i32 v[52:53], null, v56, s18, 0
	v_mad_i64_i32 v[54:55], null, v56, s14, 0
	v_cmp_gt_i32_e64 s8, s17, v56
	v_lshlrev_b64 v[52:53], 2, v[52:53]
	s_delay_alu instid0(VALU_DEP_2) | instskip(NEXT) | instid1(VALU_DEP_3)
	s_and_b32 s15, s0, s8
	v_lshlrev_b64 v[54:55], 2, v[54:55]
	s_delay_alu instid0(VALU_DEP_2) | instskip(NEXT) | instid1(VALU_DEP_3)
	v_add_co_u32 v56, vcc_lo, s12, v52
	v_add_co_ci_u32_e32 v57, vcc_lo, s13, v53, vcc_lo
	s_delay_alu instid0(VALU_DEP_3) | instskip(NEXT) | instid1(VALU_DEP_4)
	v_add_co_u32 v54, vcc_lo, s9, v54
	v_add_co_ci_u32_e32 v55, vcc_lo, s10, v55, vcc_lo
	s_and_saveexec_b32 s11, s15
	s_cbranch_execnz .LBB77_180
; %bb.173:
	s_or_b32 exec_lo, exec_lo, s11
	s_and_b32 s15, s1, s8
	s_delay_alu instid0(SALU_CYCLE_1)
	s_and_saveexec_b32 s11, s15
	s_cbranch_execnz .LBB77_184
.LBB77_174:
	s_or_b32 exec_lo, exec_lo, s11
	s_and_b32 s15, s2, s8
	s_delay_alu instid0(SALU_CYCLE_1)
	s_and_saveexec_b32 s11, s15
	s_cbranch_execnz .LBB77_188
.LBB77_175:
	s_or_b32 exec_lo, exec_lo, s11
	s_and_b32 s15, s3, s8
	s_delay_alu instid0(SALU_CYCLE_1)
	s_and_saveexec_b32 s11, s15
	s_cbranch_execnz .LBB77_192
.LBB77_176:
	s_or_b32 exec_lo, exec_lo, s11
	s_and_b32 s15, s4, s8
	s_delay_alu instid0(SALU_CYCLE_1)
	s_and_saveexec_b32 s11, s15
	s_cbranch_execnz .LBB77_196
.LBB77_177:
	s_or_b32 exec_lo, exec_lo, s11
	s_and_b32 s15, s5, s8
	s_delay_alu instid0(SALU_CYCLE_1)
	s_and_saveexec_b32 s11, s15
	s_cbranch_execnz .LBB77_200
.LBB77_178:
	s_or_b32 exec_lo, exec_lo, s11
	s_and_b32 s15, s6, s8
	s_delay_alu instid0(SALU_CYCLE_1)
	s_and_saveexec_b32 s11, s15
	s_cbranch_execnz .LBB77_204
.LBB77_179:
	s_or_b32 exec_lo, exec_lo, s11
	s_and_b32 s11, s7, s8
	s_delay_alu instid0(SALU_CYCLE_1)
	s_and_saveexec_b32 s8, s11
	s_cbranch_execnz .LBB77_208
	s_branch .LBB77_212
.LBB77_180:
	v_cmp_ne_u32_e32 vcc_lo, 1, v121
	v_lshlrev_b64 v[52:53], 2, v[64:65]
	s_cbranch_vccnz .LBB77_182
; %bb.181:
	s_delay_alu instid0(VALU_DEP_1) | instskip(NEXT) | instid1(VALU_DEP_2)
	v_add_co_u32 v58, vcc_lo, v56, v52
	v_add_co_ci_u32_e32 v59, vcc_lo, v57, v53, vcc_lo
	flat_load_b32 v58, v[58:59]
	s_waitcnt vmcnt(0) lgkmcnt(0)
	v_mul_f32_e32 v58, s24, v58
	s_branch .LBB77_183
.LBB77_182:
	v_mov_b32_e32 v58, 0
.LBB77_183:
	v_dual_add_f32 v59, v33, v49 :: v_dual_add_f32 v60, v32, v48
	v_dual_add_f32 v61, v35, v51 :: v_dual_add_f32 v62, v34, v50
	s_delay_alu instid0(VALU_DEP_4) | instskip(NEXT) | instid1(VALU_DEP_3)
	v_add_co_u32 v52, vcc_lo, v54, v52
	v_min3_f32 v59, v60, v59, v123
	v_add_co_ci_u32_e32 v53, vcc_lo, v55, v53, vcc_lo
	s_delay_alu instid0(VALU_DEP_4) | instskip(NEXT) | instid1(VALU_DEP_1)
	v_min_f32_e32 v60, v62, v61
	v_min3_f32 v58, v58, v60, v59
	global_store_b32 v[52:53], v58, off
	s_or_b32 exec_lo, exec_lo, s11
	s_and_b32 s15, s1, s8
	s_delay_alu instid0(SALU_CYCLE_1)
	s_and_saveexec_b32 s11, s15
	s_cbranch_execz .LBB77_174
.LBB77_184:
	v_cmp_ne_u32_e32 vcc_lo, 1, v121
	v_lshlrev_b64 v[52:53], 2, v[66:67]
	s_cbranch_vccnz .LBB77_186
; %bb.185:
	s_delay_alu instid0(VALU_DEP_1) | instskip(NEXT) | instid1(VALU_DEP_2)
	v_add_co_u32 v58, vcc_lo, v56, v52
	v_add_co_ci_u32_e32 v59, vcc_lo, v57, v53, vcc_lo
	flat_load_b32 v58, v[58:59]
	s_waitcnt vmcnt(0) lgkmcnt(0)
	v_mul_f32_e32 v58, s24, v58
	s_branch .LBB77_187
.LBB77_186:
	v_mov_b32_e32 v58, 0
.LBB77_187:
	v_dual_add_f32 v59, v29, v49 :: v_dual_add_f32 v60, v28, v48
	v_dual_add_f32 v61, v31, v51 :: v_dual_add_f32 v62, v30, v50
	s_delay_alu instid0(VALU_DEP_4) | instskip(NEXT) | instid1(VALU_DEP_3)
	v_add_co_u32 v52, vcc_lo, v54, v52
	v_min3_f32 v59, v60, v59, v120
	v_add_co_ci_u32_e32 v53, vcc_lo, v55, v53, vcc_lo
	s_delay_alu instid0(VALU_DEP_4) | instskip(NEXT) | instid1(VALU_DEP_1)
	v_min_f32_e32 v60, v62, v61
	v_min3_f32 v58, v58, v60, v59
	global_store_b32 v[52:53], v58, off
	s_or_b32 exec_lo, exec_lo, s11
	s_and_b32 s15, s2, s8
	s_delay_alu instid0(SALU_CYCLE_1)
	s_and_saveexec_b32 s11, s15
	s_cbranch_execz .LBB77_175
.LBB77_188:
	v_cmp_ne_u32_e32 vcc_lo, 1, v121
	v_lshlrev_b64 v[52:53], 2, v[68:69]
	s_cbranch_vccnz .LBB77_190
; %bb.189:
	s_delay_alu instid0(VALU_DEP_1) | instskip(NEXT) | instid1(VALU_DEP_2)
	v_add_co_u32 v58, vcc_lo, v56, v52
	v_add_co_ci_u32_e32 v59, vcc_lo, v57, v53, vcc_lo
	flat_load_b32 v58, v[58:59]
	s_waitcnt vmcnt(0) lgkmcnt(0)
	v_mul_f32_e32 v58, s24, v58
	s_branch .LBB77_191
.LBB77_190:
	v_mov_b32_e32 v58, 0
.LBB77_191:
	v_dual_add_f32 v59, v25, v49 :: v_dual_add_f32 v60, v24, v48
	v_dual_add_f32 v61, v27, v51 :: v_dual_add_f32 v62, v26, v50
	s_delay_alu instid0(VALU_DEP_4) | instskip(NEXT) | instid1(VALU_DEP_3)
	v_add_co_u32 v52, vcc_lo, v54, v52
	v_min3_f32 v59, v60, v59, v119
	v_add_co_ci_u32_e32 v53, vcc_lo, v55, v53, vcc_lo
	s_delay_alu instid0(VALU_DEP_4) | instskip(NEXT) | instid1(VALU_DEP_1)
	v_min_f32_e32 v60, v62, v61
	v_min3_f32 v58, v58, v60, v59
	global_store_b32 v[52:53], v58, off
	s_or_b32 exec_lo, exec_lo, s11
	s_and_b32 s15, s3, s8
	s_delay_alu instid0(SALU_CYCLE_1)
	s_and_saveexec_b32 s11, s15
	s_cbranch_execz .LBB77_176
.LBB77_192:
	v_cmp_ne_u32_e32 vcc_lo, 1, v121
	v_lshlrev_b64 v[52:53], 2, v[70:71]
	s_cbranch_vccnz .LBB77_194
; %bb.193:
	s_delay_alu instid0(VALU_DEP_1) | instskip(NEXT) | instid1(VALU_DEP_2)
	v_add_co_u32 v58, vcc_lo, v56, v52
	v_add_co_ci_u32_e32 v59, vcc_lo, v57, v53, vcc_lo
	flat_load_b32 v58, v[58:59]
	s_waitcnt vmcnt(0) lgkmcnt(0)
	v_mul_f32_e32 v58, s24, v58
	s_branch .LBB77_195
.LBB77_194:
	v_mov_b32_e32 v58, 0
.LBB77_195:
	v_dual_add_f32 v59, v21, v49 :: v_dual_add_f32 v60, v20, v48
	v_dual_add_f32 v61, v23, v51 :: v_dual_add_f32 v62, v22, v50
	s_delay_alu instid0(VALU_DEP_4) | instskip(NEXT) | instid1(VALU_DEP_3)
	v_add_co_u32 v52, vcc_lo, v54, v52
	v_min3_f32 v59, v60, v59, v118
	v_add_co_ci_u32_e32 v53, vcc_lo, v55, v53, vcc_lo
	s_delay_alu instid0(VALU_DEP_4) | instskip(NEXT) | instid1(VALU_DEP_1)
	v_min_f32_e32 v60, v62, v61
	v_min3_f32 v58, v58, v60, v59
	global_store_b32 v[52:53], v58, off
	s_or_b32 exec_lo, exec_lo, s11
	s_and_b32 s15, s4, s8
	s_delay_alu instid0(SALU_CYCLE_1)
	s_and_saveexec_b32 s11, s15
	s_cbranch_execz .LBB77_177
.LBB77_196:
	v_cmp_ne_u32_e32 vcc_lo, 1, v121
	v_lshlrev_b64 v[52:53], 2, v[72:73]
	s_cbranch_vccnz .LBB77_198
; %bb.197:
	s_delay_alu instid0(VALU_DEP_1) | instskip(NEXT) | instid1(VALU_DEP_2)
	v_add_co_u32 v58, vcc_lo, v56, v52
	v_add_co_ci_u32_e32 v59, vcc_lo, v57, v53, vcc_lo
	flat_load_b32 v58, v[58:59]
	s_waitcnt vmcnt(0) lgkmcnt(0)
	v_mul_f32_e32 v58, s24, v58
	s_branch .LBB77_199
.LBB77_198:
	v_mov_b32_e32 v58, 0
.LBB77_199:
	v_dual_add_f32 v59, v17, v49 :: v_dual_add_f32 v60, v16, v48
	v_dual_add_f32 v61, v19, v51 :: v_dual_add_f32 v62, v18, v50
	s_delay_alu instid0(VALU_DEP_4) | instskip(NEXT) | instid1(VALU_DEP_3)
	v_add_co_u32 v52, vcc_lo, v54, v52
	v_min3_f32 v59, v60, v59, v117
	v_add_co_ci_u32_e32 v53, vcc_lo, v55, v53, vcc_lo
	s_delay_alu instid0(VALU_DEP_4) | instskip(NEXT) | instid1(VALU_DEP_1)
	v_min_f32_e32 v60, v62, v61
	v_min3_f32 v58, v58, v60, v59
	global_store_b32 v[52:53], v58, off
	s_or_b32 exec_lo, exec_lo, s11
	s_and_b32 s15, s5, s8
	s_delay_alu instid0(SALU_CYCLE_1)
	s_and_saveexec_b32 s11, s15
	s_cbranch_execz .LBB77_178
.LBB77_200:
	v_cmp_ne_u32_e32 vcc_lo, 1, v121
	v_lshlrev_b64 v[52:53], 2, v[74:75]
	s_cbranch_vccnz .LBB77_202
; %bb.201:
	s_delay_alu instid0(VALU_DEP_1) | instskip(NEXT) | instid1(VALU_DEP_2)
	v_add_co_u32 v58, vcc_lo, v56, v52
	v_add_co_ci_u32_e32 v59, vcc_lo, v57, v53, vcc_lo
	flat_load_b32 v58, v[58:59]
	s_waitcnt vmcnt(0) lgkmcnt(0)
	v_mul_f32_e32 v58, s24, v58
	s_branch .LBB77_203
.LBB77_202:
	v_mov_b32_e32 v58, 0
.LBB77_203:
	v_dual_add_f32 v59, v13, v49 :: v_dual_add_f32 v60, v12, v48
	v_dual_add_f32 v61, v15, v51 :: v_dual_add_f32 v62, v14, v50
	s_delay_alu instid0(VALU_DEP_4) | instskip(NEXT) | instid1(VALU_DEP_3)
	v_add_co_u32 v52, vcc_lo, v54, v52
	v_min3_f32 v59, v60, v59, v116
	v_add_co_ci_u32_e32 v53, vcc_lo, v55, v53, vcc_lo
	s_delay_alu instid0(VALU_DEP_4) | instskip(NEXT) | instid1(VALU_DEP_1)
	v_min_f32_e32 v60, v62, v61
	v_min3_f32 v58, v58, v60, v59
	global_store_b32 v[52:53], v58, off
	s_or_b32 exec_lo, exec_lo, s11
	s_and_b32 s15, s6, s8
	s_delay_alu instid0(SALU_CYCLE_1)
	s_and_saveexec_b32 s11, s15
	s_cbranch_execz .LBB77_179
.LBB77_204:
	v_cmp_ne_u32_e32 vcc_lo, 1, v121
	v_lshlrev_b64 v[52:53], 2, v[76:77]
	s_cbranch_vccnz .LBB77_206
; %bb.205:
	s_delay_alu instid0(VALU_DEP_1) | instskip(NEXT) | instid1(VALU_DEP_2)
	v_add_co_u32 v58, vcc_lo, v56, v52
	v_add_co_ci_u32_e32 v59, vcc_lo, v57, v53, vcc_lo
	flat_load_b32 v58, v[58:59]
	s_waitcnt vmcnt(0) lgkmcnt(0)
	v_mul_f32_e32 v58, s24, v58
	s_branch .LBB77_207
.LBB77_206:
	v_mov_b32_e32 v58, 0
.LBB77_207:
	v_dual_add_f32 v59, v9, v49 :: v_dual_add_f32 v60, v8, v48
	v_dual_add_f32 v61, v11, v51 :: v_dual_add_f32 v62, v10, v50
	s_delay_alu instid0(VALU_DEP_4) | instskip(NEXT) | instid1(VALU_DEP_3)
	v_add_co_u32 v52, vcc_lo, v54, v52
	v_min3_f32 v59, v60, v59, v115
	v_add_co_ci_u32_e32 v53, vcc_lo, v55, v53, vcc_lo
	s_delay_alu instid0(VALU_DEP_4) | instskip(NEXT) | instid1(VALU_DEP_1)
	v_min_f32_e32 v60, v62, v61
	v_min3_f32 v58, v58, v60, v59
	global_store_b32 v[52:53], v58, off
	s_or_b32 exec_lo, exec_lo, s11
	s_and_b32 s11, s7, s8
	s_delay_alu instid0(SALU_CYCLE_1)
	s_and_saveexec_b32 s8, s11
	s_cbranch_execz .LBB77_212
.LBB77_208:
	v_cmp_ne_u32_e32 vcc_lo, 1, v121
	v_lshlrev_b64 v[52:53], 2, v[78:79]
	s_cbranch_vccnz .LBB77_210
; %bb.209:
	s_delay_alu instid0(VALU_DEP_1) | instskip(NEXT) | instid1(VALU_DEP_2)
	v_add_co_u32 v56, vcc_lo, v56, v52
	v_add_co_ci_u32_e32 v57, vcc_lo, v57, v53, vcc_lo
	flat_load_b32 v56, v[56:57]
	s_waitcnt vmcnt(0) lgkmcnt(0)
	v_mul_f32_e32 v56, s24, v56
	s_branch .LBB77_211
.LBB77_210:
	v_mov_b32_e32 v56, 0
.LBB77_211:
	v_dual_add_f32 v49, v1, v49 :: v_dual_add_f32 v48, v0, v48
	v_dual_add_f32 v51, v3, v51 :: v_dual_add_f32 v50, v2, v50
	s_delay_alu instid0(VALU_DEP_2) | instskip(NEXT) | instid1(VALU_DEP_2)
	v_min3_f32 v48, v48, v49, v114
	v_min_f32_e32 v49, v50, v51
	s_delay_alu instid0(VALU_DEP_1)
	v_min3_f32 v50, v56, v49, v48
	v_add_co_u32 v48, vcc_lo, v54, v52
	v_add_co_ci_u32_e32 v49, vcc_lo, v55, v53, vcc_lo
	global_store_b32 v[48:49], v50, off
.LBB77_212:
	s_or_b32 exec_lo, exec_lo, s8
	v_add_nc_u32_e32 v52, 0x80, v131
	s_delay_alu instid0(VALU_DEP_1) | instskip(SKIP_2) | instid1(VALU_DEP_3)
	v_mad_i64_i32 v[48:49], null, v52, s18, 0
	v_mad_i64_i32 v[50:51], null, v52, s14, 0
	v_cmp_gt_i32_e64 s8, s17, v52
	v_lshlrev_b64 v[48:49], 2, v[48:49]
	s_delay_alu instid0(VALU_DEP_2) | instskip(NEXT) | instid1(VALU_DEP_3)
	s_and_b32 s15, s0, s8
	v_lshlrev_b64 v[50:51], 2, v[50:51]
	s_delay_alu instid0(VALU_DEP_2) | instskip(NEXT) | instid1(VALU_DEP_3)
	v_add_co_u32 v52, vcc_lo, s12, v48
	v_add_co_ci_u32_e32 v53, vcc_lo, s13, v49, vcc_lo
	s_delay_alu instid0(VALU_DEP_3) | instskip(NEXT) | instid1(VALU_DEP_4)
	v_add_co_u32 v50, vcc_lo, s9, v50
	v_add_co_ci_u32_e32 v51, vcc_lo, s10, v51, vcc_lo
	s_and_saveexec_b32 s11, s15
	s_cbranch_execnz .LBB77_220
; %bb.213:
	s_or_b32 exec_lo, exec_lo, s11
	s_and_b32 s15, s1, s8
	s_delay_alu instid0(SALU_CYCLE_1)
	s_and_saveexec_b32 s11, s15
	s_cbranch_execnz .LBB77_224
.LBB77_214:
	s_or_b32 exec_lo, exec_lo, s11
	s_and_b32 s15, s2, s8
	s_delay_alu instid0(SALU_CYCLE_1)
	s_and_saveexec_b32 s11, s15
	s_cbranch_execnz .LBB77_228
.LBB77_215:
	s_or_b32 exec_lo, exec_lo, s11
	s_and_b32 s15, s3, s8
	s_delay_alu instid0(SALU_CYCLE_1)
	s_and_saveexec_b32 s11, s15
	s_cbranch_execnz .LBB77_232
.LBB77_216:
	s_or_b32 exec_lo, exec_lo, s11
	s_and_b32 s15, s4, s8
	s_delay_alu instid0(SALU_CYCLE_1)
	s_and_saveexec_b32 s11, s15
	s_cbranch_execnz .LBB77_236
.LBB77_217:
	s_or_b32 exec_lo, exec_lo, s11
	s_and_b32 s15, s5, s8
	s_delay_alu instid0(SALU_CYCLE_1)
	s_and_saveexec_b32 s11, s15
	s_cbranch_execnz .LBB77_240
.LBB77_218:
	s_or_b32 exec_lo, exec_lo, s11
	s_and_b32 s15, s6, s8
	s_delay_alu instid0(SALU_CYCLE_1)
	s_and_saveexec_b32 s11, s15
	s_cbranch_execnz .LBB77_244
.LBB77_219:
	s_or_b32 exec_lo, exec_lo, s11
	s_and_b32 s11, s7, s8
	s_delay_alu instid0(SALU_CYCLE_1)
	s_and_saveexec_b32 s8, s11
	s_cbranch_execnz .LBB77_248
	s_branch .LBB77_252
.LBB77_220:
	v_cmp_ne_u32_e32 vcc_lo, 1, v121
	v_lshlrev_b64 v[48:49], 2, v[64:65]
	s_cbranch_vccnz .LBB77_222
; %bb.221:
	s_delay_alu instid0(VALU_DEP_1) | instskip(NEXT) | instid1(VALU_DEP_2)
	v_add_co_u32 v54, vcc_lo, v52, v48
	v_add_co_ci_u32_e32 v55, vcc_lo, v53, v49, vcc_lo
	flat_load_b32 v54, v[54:55]
	s_waitcnt vmcnt(0) lgkmcnt(0)
	v_mul_f32_e32 v54, s24, v54
	s_branch .LBB77_223
.LBB77_222:
	v_mov_b32_e32 v54, 0
.LBB77_223:
	v_dual_add_f32 v55, v33, v45 :: v_dual_add_f32 v56, v32, v44
	v_dual_add_f32 v57, v35, v47 :: v_dual_add_f32 v58, v34, v46
	s_delay_alu instid0(VALU_DEP_4) | instskip(NEXT) | instid1(VALU_DEP_3)
	v_add_co_u32 v48, vcc_lo, v50, v48
	v_min3_f32 v55, v56, v55, v113
	v_add_co_ci_u32_e32 v49, vcc_lo, v51, v49, vcc_lo
	s_delay_alu instid0(VALU_DEP_4) | instskip(NEXT) | instid1(VALU_DEP_1)
	v_min_f32_e32 v56, v58, v57
	v_min3_f32 v54, v54, v56, v55
	global_store_b32 v[48:49], v54, off
	s_or_b32 exec_lo, exec_lo, s11
	s_and_b32 s15, s1, s8
	s_delay_alu instid0(SALU_CYCLE_1)
	s_and_saveexec_b32 s11, s15
	s_cbranch_execz .LBB77_214
.LBB77_224:
	v_cmp_ne_u32_e32 vcc_lo, 1, v121
	v_lshlrev_b64 v[48:49], 2, v[66:67]
	s_cbranch_vccnz .LBB77_226
; %bb.225:
	s_delay_alu instid0(VALU_DEP_1) | instskip(NEXT) | instid1(VALU_DEP_2)
	v_add_co_u32 v54, vcc_lo, v52, v48
	v_add_co_ci_u32_e32 v55, vcc_lo, v53, v49, vcc_lo
	flat_load_b32 v54, v[54:55]
	s_waitcnt vmcnt(0) lgkmcnt(0)
	v_mul_f32_e32 v54, s24, v54
	s_branch .LBB77_227
.LBB77_226:
	v_mov_b32_e32 v54, 0
.LBB77_227:
	v_dual_add_f32 v55, v29, v45 :: v_dual_add_f32 v56, v28, v44
	v_dual_add_f32 v57, v31, v47 :: v_dual_add_f32 v58, v30, v46
	s_delay_alu instid0(VALU_DEP_4) | instskip(NEXT) | instid1(VALU_DEP_3)
	v_add_co_u32 v48, vcc_lo, v50, v48
	v_min3_f32 v55, v56, v55, v112
	v_add_co_ci_u32_e32 v49, vcc_lo, v51, v49, vcc_lo
	s_delay_alu instid0(VALU_DEP_4) | instskip(NEXT) | instid1(VALU_DEP_1)
	v_min_f32_e32 v56, v58, v57
	v_min3_f32 v54, v54, v56, v55
	global_store_b32 v[48:49], v54, off
	s_or_b32 exec_lo, exec_lo, s11
	s_and_b32 s15, s2, s8
	s_delay_alu instid0(SALU_CYCLE_1)
	s_and_saveexec_b32 s11, s15
	s_cbranch_execz .LBB77_215
.LBB77_228:
	v_cmp_ne_u32_e32 vcc_lo, 1, v121
	v_lshlrev_b64 v[48:49], 2, v[68:69]
	s_cbranch_vccnz .LBB77_230
; %bb.229:
	s_delay_alu instid0(VALU_DEP_1) | instskip(NEXT) | instid1(VALU_DEP_2)
	v_add_co_u32 v54, vcc_lo, v52, v48
	v_add_co_ci_u32_e32 v55, vcc_lo, v53, v49, vcc_lo
	flat_load_b32 v54, v[54:55]
	s_waitcnt vmcnt(0) lgkmcnt(0)
	v_mul_f32_e32 v54, s24, v54
	s_branch .LBB77_231
.LBB77_230:
	v_mov_b32_e32 v54, 0
.LBB77_231:
	v_dual_add_f32 v55, v25, v45 :: v_dual_add_f32 v56, v24, v44
	v_dual_add_f32 v57, v27, v47 :: v_dual_add_f32 v58, v26, v46
	s_delay_alu instid0(VALU_DEP_4) | instskip(NEXT) | instid1(VALU_DEP_3)
	v_add_co_u32 v48, vcc_lo, v50, v48
	v_min3_f32 v55, v56, v55, v111
	v_add_co_ci_u32_e32 v49, vcc_lo, v51, v49, vcc_lo
	s_delay_alu instid0(VALU_DEP_4) | instskip(NEXT) | instid1(VALU_DEP_1)
	v_min_f32_e32 v56, v58, v57
	v_min3_f32 v54, v54, v56, v55
	global_store_b32 v[48:49], v54, off
	s_or_b32 exec_lo, exec_lo, s11
	s_and_b32 s15, s3, s8
	s_delay_alu instid0(SALU_CYCLE_1)
	s_and_saveexec_b32 s11, s15
	s_cbranch_execz .LBB77_216
.LBB77_232:
	v_cmp_ne_u32_e32 vcc_lo, 1, v121
	v_lshlrev_b64 v[48:49], 2, v[70:71]
	s_cbranch_vccnz .LBB77_234
; %bb.233:
	s_delay_alu instid0(VALU_DEP_1) | instskip(NEXT) | instid1(VALU_DEP_2)
	v_add_co_u32 v54, vcc_lo, v52, v48
	v_add_co_ci_u32_e32 v55, vcc_lo, v53, v49, vcc_lo
	flat_load_b32 v54, v[54:55]
	s_waitcnt vmcnt(0) lgkmcnt(0)
	v_mul_f32_e32 v54, s24, v54
	s_branch .LBB77_235
.LBB77_234:
	v_mov_b32_e32 v54, 0
.LBB77_235:
	v_dual_add_f32 v55, v21, v45 :: v_dual_add_f32 v56, v20, v44
	v_dual_add_f32 v57, v23, v47 :: v_dual_add_f32 v58, v22, v46
	s_delay_alu instid0(VALU_DEP_4) | instskip(NEXT) | instid1(VALU_DEP_3)
	v_add_co_u32 v48, vcc_lo, v50, v48
	v_min3_f32 v55, v56, v55, v110
	v_add_co_ci_u32_e32 v49, vcc_lo, v51, v49, vcc_lo
	s_delay_alu instid0(VALU_DEP_4) | instskip(NEXT) | instid1(VALU_DEP_1)
	v_min_f32_e32 v56, v58, v57
	v_min3_f32 v54, v54, v56, v55
	global_store_b32 v[48:49], v54, off
	s_or_b32 exec_lo, exec_lo, s11
	s_and_b32 s15, s4, s8
	s_delay_alu instid0(SALU_CYCLE_1)
	s_and_saveexec_b32 s11, s15
	s_cbranch_execz .LBB77_217
.LBB77_236:
	v_cmp_ne_u32_e32 vcc_lo, 1, v121
	v_lshlrev_b64 v[48:49], 2, v[72:73]
	s_cbranch_vccnz .LBB77_238
; %bb.237:
	s_delay_alu instid0(VALU_DEP_1) | instskip(NEXT) | instid1(VALU_DEP_2)
	v_add_co_u32 v54, vcc_lo, v52, v48
	v_add_co_ci_u32_e32 v55, vcc_lo, v53, v49, vcc_lo
	flat_load_b32 v54, v[54:55]
	s_waitcnt vmcnt(0) lgkmcnt(0)
	v_mul_f32_e32 v54, s24, v54
	s_branch .LBB77_239
.LBB77_238:
	v_mov_b32_e32 v54, 0
.LBB77_239:
	v_dual_add_f32 v55, v17, v45 :: v_dual_add_f32 v56, v16, v44
	v_dual_add_f32 v57, v19, v47 :: v_dual_add_f32 v58, v18, v46
	s_delay_alu instid0(VALU_DEP_4) | instskip(NEXT) | instid1(VALU_DEP_3)
	v_add_co_u32 v48, vcc_lo, v50, v48
	v_min3_f32 v55, v56, v55, v109
	v_add_co_ci_u32_e32 v49, vcc_lo, v51, v49, vcc_lo
	s_delay_alu instid0(VALU_DEP_4) | instskip(NEXT) | instid1(VALU_DEP_1)
	v_min_f32_e32 v56, v58, v57
	v_min3_f32 v54, v54, v56, v55
	global_store_b32 v[48:49], v54, off
	s_or_b32 exec_lo, exec_lo, s11
	s_and_b32 s15, s5, s8
	s_delay_alu instid0(SALU_CYCLE_1)
	s_and_saveexec_b32 s11, s15
	s_cbranch_execz .LBB77_218
.LBB77_240:
	v_cmp_ne_u32_e32 vcc_lo, 1, v121
	v_lshlrev_b64 v[48:49], 2, v[74:75]
	s_cbranch_vccnz .LBB77_242
; %bb.241:
	s_delay_alu instid0(VALU_DEP_1) | instskip(NEXT) | instid1(VALU_DEP_2)
	v_add_co_u32 v54, vcc_lo, v52, v48
	v_add_co_ci_u32_e32 v55, vcc_lo, v53, v49, vcc_lo
	flat_load_b32 v54, v[54:55]
	s_waitcnt vmcnt(0) lgkmcnt(0)
	v_mul_f32_e32 v54, s24, v54
	s_branch .LBB77_243
.LBB77_242:
	v_mov_b32_e32 v54, 0
.LBB77_243:
	v_dual_add_f32 v55, v13, v45 :: v_dual_add_f32 v56, v12, v44
	v_dual_add_f32 v57, v15, v47 :: v_dual_add_f32 v58, v14, v46
	s_delay_alu instid0(VALU_DEP_4) | instskip(NEXT) | instid1(VALU_DEP_3)
	v_add_co_u32 v48, vcc_lo, v50, v48
	v_min3_f32 v55, v56, v55, v108
	v_add_co_ci_u32_e32 v49, vcc_lo, v51, v49, vcc_lo
	s_delay_alu instid0(VALU_DEP_4) | instskip(NEXT) | instid1(VALU_DEP_1)
	v_min_f32_e32 v56, v58, v57
	v_min3_f32 v54, v54, v56, v55
	global_store_b32 v[48:49], v54, off
	s_or_b32 exec_lo, exec_lo, s11
	s_and_b32 s15, s6, s8
	s_delay_alu instid0(SALU_CYCLE_1)
	s_and_saveexec_b32 s11, s15
	s_cbranch_execz .LBB77_219
.LBB77_244:
	v_cmp_ne_u32_e32 vcc_lo, 1, v121
	v_lshlrev_b64 v[48:49], 2, v[76:77]
	s_cbranch_vccnz .LBB77_246
; %bb.245:
	s_delay_alu instid0(VALU_DEP_1) | instskip(NEXT) | instid1(VALU_DEP_2)
	v_add_co_u32 v54, vcc_lo, v52, v48
	v_add_co_ci_u32_e32 v55, vcc_lo, v53, v49, vcc_lo
	flat_load_b32 v54, v[54:55]
	s_waitcnt vmcnt(0) lgkmcnt(0)
	v_mul_f32_e32 v54, s24, v54
	s_branch .LBB77_247
.LBB77_246:
	v_mov_b32_e32 v54, 0
.LBB77_247:
	v_dual_add_f32 v55, v9, v45 :: v_dual_add_f32 v56, v8, v44
	v_dual_add_f32 v57, v11, v47 :: v_dual_add_f32 v58, v10, v46
	s_delay_alu instid0(VALU_DEP_4) | instskip(NEXT) | instid1(VALU_DEP_3)
	v_add_co_u32 v48, vcc_lo, v50, v48
	v_min3_f32 v55, v56, v55, v107
	v_add_co_ci_u32_e32 v49, vcc_lo, v51, v49, vcc_lo
	s_delay_alu instid0(VALU_DEP_4) | instskip(NEXT) | instid1(VALU_DEP_1)
	v_min_f32_e32 v56, v58, v57
	v_min3_f32 v54, v54, v56, v55
	global_store_b32 v[48:49], v54, off
	s_or_b32 exec_lo, exec_lo, s11
	s_and_b32 s11, s7, s8
	s_delay_alu instid0(SALU_CYCLE_1)
	s_and_saveexec_b32 s8, s11
	s_cbranch_execz .LBB77_252
.LBB77_248:
	v_cmp_ne_u32_e32 vcc_lo, 1, v121
	v_lshlrev_b64 v[48:49], 2, v[78:79]
	s_cbranch_vccnz .LBB77_250
; %bb.249:
	s_delay_alu instid0(VALU_DEP_1) | instskip(NEXT) | instid1(VALU_DEP_2)
	v_add_co_u32 v52, vcc_lo, v52, v48
	v_add_co_ci_u32_e32 v53, vcc_lo, v53, v49, vcc_lo
	flat_load_b32 v52, v[52:53]
	s_waitcnt vmcnt(0) lgkmcnt(0)
	v_mul_f32_e32 v52, s24, v52
	s_branch .LBB77_251
.LBB77_250:
	v_mov_b32_e32 v52, 0
.LBB77_251:
	v_dual_add_f32 v45, v1, v45 :: v_dual_add_f32 v44, v0, v44
	v_dual_add_f32 v47, v3, v47 :: v_dual_add_f32 v46, v2, v46
	s_delay_alu instid0(VALU_DEP_2) | instskip(NEXT) | instid1(VALU_DEP_2)
	v_min3_f32 v44, v44, v45, v106
	v_min_f32_e32 v45, v46, v47
	s_delay_alu instid0(VALU_DEP_1)
	v_min3_f32 v46, v52, v45, v44
	v_add_co_u32 v44, vcc_lo, v50, v48
	v_add_co_ci_u32_e32 v45, vcc_lo, v51, v49, vcc_lo
	global_store_b32 v[44:45], v46, off
.LBB77_252:
	s_or_b32 exec_lo, exec_lo, s8
	v_add_nc_u32_e32 v48, 0xa0, v131
	s_delay_alu instid0(VALU_DEP_1) | instskip(SKIP_2) | instid1(VALU_DEP_3)
	v_mad_i64_i32 v[44:45], null, v48, s18, 0
	v_mad_i64_i32 v[46:47], null, v48, s14, 0
	v_cmp_gt_i32_e64 s8, s17, v48
	v_lshlrev_b64 v[44:45], 2, v[44:45]
	s_delay_alu instid0(VALU_DEP_2) | instskip(NEXT) | instid1(VALU_DEP_3)
	s_and_b32 s15, s0, s8
	v_lshlrev_b64 v[46:47], 2, v[46:47]
	s_delay_alu instid0(VALU_DEP_2) | instskip(NEXT) | instid1(VALU_DEP_3)
	v_add_co_u32 v48, vcc_lo, s12, v44
	v_add_co_ci_u32_e32 v49, vcc_lo, s13, v45, vcc_lo
	s_delay_alu instid0(VALU_DEP_3) | instskip(NEXT) | instid1(VALU_DEP_4)
	v_add_co_u32 v46, vcc_lo, s9, v46
	v_add_co_ci_u32_e32 v47, vcc_lo, s10, v47, vcc_lo
	s_and_saveexec_b32 s11, s15
	s_cbranch_execnz .LBB77_260
; %bb.253:
	s_or_b32 exec_lo, exec_lo, s11
	s_and_b32 s15, s1, s8
	s_delay_alu instid0(SALU_CYCLE_1)
	s_and_saveexec_b32 s11, s15
	s_cbranch_execnz .LBB77_264
.LBB77_254:
	s_or_b32 exec_lo, exec_lo, s11
	s_and_b32 s15, s2, s8
	s_delay_alu instid0(SALU_CYCLE_1)
	s_and_saveexec_b32 s11, s15
	s_cbranch_execnz .LBB77_268
.LBB77_255:
	s_or_b32 exec_lo, exec_lo, s11
	s_and_b32 s15, s3, s8
	s_delay_alu instid0(SALU_CYCLE_1)
	s_and_saveexec_b32 s11, s15
	s_cbranch_execnz .LBB77_272
.LBB77_256:
	s_or_b32 exec_lo, exec_lo, s11
	s_and_b32 s15, s4, s8
	s_delay_alu instid0(SALU_CYCLE_1)
	s_and_saveexec_b32 s11, s15
	s_cbranch_execnz .LBB77_276
.LBB77_257:
	s_or_b32 exec_lo, exec_lo, s11
	s_and_b32 s15, s5, s8
	s_delay_alu instid0(SALU_CYCLE_1)
	s_and_saveexec_b32 s11, s15
	s_cbranch_execnz .LBB77_280
.LBB77_258:
	s_or_b32 exec_lo, exec_lo, s11
	s_and_b32 s15, s6, s8
	s_delay_alu instid0(SALU_CYCLE_1)
	s_and_saveexec_b32 s11, s15
	s_cbranch_execnz .LBB77_284
.LBB77_259:
	s_or_b32 exec_lo, exec_lo, s11
	s_and_b32 s11, s7, s8
	s_delay_alu instid0(SALU_CYCLE_1)
	s_and_saveexec_b32 s8, s11
	s_cbranch_execnz .LBB77_288
	s_branch .LBB77_292
.LBB77_260:
	v_cmp_ne_u32_e32 vcc_lo, 1, v121
	v_lshlrev_b64 v[44:45], 2, v[64:65]
	s_cbranch_vccnz .LBB77_262
; %bb.261:
	s_delay_alu instid0(VALU_DEP_1) | instskip(NEXT) | instid1(VALU_DEP_2)
	v_add_co_u32 v50, vcc_lo, v48, v44
	v_add_co_ci_u32_e32 v51, vcc_lo, v49, v45, vcc_lo
	flat_load_b32 v50, v[50:51]
	s_waitcnt vmcnt(0) lgkmcnt(0)
	v_mul_f32_e32 v50, s24, v50
	s_branch .LBB77_263
.LBB77_262:
	v_mov_b32_e32 v50, 0
.LBB77_263:
	v_dual_add_f32 v51, v33, v41 :: v_dual_add_f32 v52, v32, v40
	v_dual_add_f32 v53, v35, v43 :: v_dual_add_f32 v54, v34, v42
	s_delay_alu instid0(VALU_DEP_4) | instskip(NEXT) | instid1(VALU_DEP_3)
	v_add_co_u32 v44, vcc_lo, v46, v44
	v_min3_f32 v51, v52, v51, v105
	v_add_co_ci_u32_e32 v45, vcc_lo, v47, v45, vcc_lo
	s_delay_alu instid0(VALU_DEP_4) | instskip(NEXT) | instid1(VALU_DEP_1)
	v_min_f32_e32 v52, v54, v53
	v_min3_f32 v50, v50, v52, v51
	global_store_b32 v[44:45], v50, off
	s_or_b32 exec_lo, exec_lo, s11
	s_and_b32 s15, s1, s8
	s_delay_alu instid0(SALU_CYCLE_1)
	s_and_saveexec_b32 s11, s15
	s_cbranch_execz .LBB77_254
.LBB77_264:
	v_cmp_ne_u32_e32 vcc_lo, 1, v121
	v_lshlrev_b64 v[44:45], 2, v[66:67]
	s_cbranch_vccnz .LBB77_266
; %bb.265:
	s_delay_alu instid0(VALU_DEP_1) | instskip(NEXT) | instid1(VALU_DEP_2)
	v_add_co_u32 v50, vcc_lo, v48, v44
	v_add_co_ci_u32_e32 v51, vcc_lo, v49, v45, vcc_lo
	flat_load_b32 v50, v[50:51]
	s_waitcnt vmcnt(0) lgkmcnt(0)
	v_mul_f32_e32 v50, s24, v50
	s_branch .LBB77_267
.LBB77_266:
	v_mov_b32_e32 v50, 0
.LBB77_267:
	v_dual_add_f32 v51, v29, v41 :: v_dual_add_f32 v52, v28, v40
	v_dual_add_f32 v53, v31, v43 :: v_dual_add_f32 v54, v30, v42
	s_delay_alu instid0(VALU_DEP_4) | instskip(NEXT) | instid1(VALU_DEP_3)
	v_add_co_u32 v44, vcc_lo, v46, v44
	v_min3_f32 v51, v52, v51, v104
	v_add_co_ci_u32_e32 v45, vcc_lo, v47, v45, vcc_lo
	s_delay_alu instid0(VALU_DEP_4) | instskip(NEXT) | instid1(VALU_DEP_1)
	v_min_f32_e32 v52, v54, v53
	v_min3_f32 v50, v50, v52, v51
	global_store_b32 v[44:45], v50, off
	s_or_b32 exec_lo, exec_lo, s11
	s_and_b32 s15, s2, s8
	s_delay_alu instid0(SALU_CYCLE_1)
	s_and_saveexec_b32 s11, s15
	s_cbranch_execz .LBB77_255
.LBB77_268:
	v_cmp_ne_u32_e32 vcc_lo, 1, v121
	v_lshlrev_b64 v[44:45], 2, v[68:69]
	s_cbranch_vccnz .LBB77_270
; %bb.269:
	s_delay_alu instid0(VALU_DEP_1) | instskip(NEXT) | instid1(VALU_DEP_2)
	v_add_co_u32 v50, vcc_lo, v48, v44
	v_add_co_ci_u32_e32 v51, vcc_lo, v49, v45, vcc_lo
	flat_load_b32 v50, v[50:51]
	s_waitcnt vmcnt(0) lgkmcnt(0)
	v_mul_f32_e32 v50, s24, v50
	s_branch .LBB77_271
.LBB77_270:
	v_mov_b32_e32 v50, 0
.LBB77_271:
	v_dual_add_f32 v51, v25, v41 :: v_dual_add_f32 v52, v24, v40
	v_dual_add_f32 v53, v27, v43 :: v_dual_add_f32 v54, v26, v42
	s_delay_alu instid0(VALU_DEP_4) | instskip(NEXT) | instid1(VALU_DEP_3)
	v_add_co_u32 v44, vcc_lo, v46, v44
	v_min3_f32 v51, v52, v51, v103
	v_add_co_ci_u32_e32 v45, vcc_lo, v47, v45, vcc_lo
	s_delay_alu instid0(VALU_DEP_4) | instskip(NEXT) | instid1(VALU_DEP_1)
	v_min_f32_e32 v52, v54, v53
	v_min3_f32 v50, v50, v52, v51
	global_store_b32 v[44:45], v50, off
	s_or_b32 exec_lo, exec_lo, s11
	s_and_b32 s15, s3, s8
	s_delay_alu instid0(SALU_CYCLE_1)
	s_and_saveexec_b32 s11, s15
	s_cbranch_execz .LBB77_256
.LBB77_272:
	v_cmp_ne_u32_e32 vcc_lo, 1, v121
	v_lshlrev_b64 v[44:45], 2, v[70:71]
	s_cbranch_vccnz .LBB77_274
; %bb.273:
	s_delay_alu instid0(VALU_DEP_1) | instskip(NEXT) | instid1(VALU_DEP_2)
	v_add_co_u32 v50, vcc_lo, v48, v44
	v_add_co_ci_u32_e32 v51, vcc_lo, v49, v45, vcc_lo
	flat_load_b32 v50, v[50:51]
	s_waitcnt vmcnt(0) lgkmcnt(0)
	v_mul_f32_e32 v50, s24, v50
	s_branch .LBB77_275
.LBB77_274:
	v_mov_b32_e32 v50, 0
.LBB77_275:
	v_dual_add_f32 v51, v21, v41 :: v_dual_add_f32 v52, v20, v40
	v_dual_add_f32 v53, v23, v43 :: v_dual_add_f32 v54, v22, v42
	s_delay_alu instid0(VALU_DEP_4) | instskip(NEXT) | instid1(VALU_DEP_3)
	v_add_co_u32 v44, vcc_lo, v46, v44
	v_min3_f32 v51, v52, v51, v102
	v_add_co_ci_u32_e32 v45, vcc_lo, v47, v45, vcc_lo
	s_delay_alu instid0(VALU_DEP_4) | instskip(NEXT) | instid1(VALU_DEP_1)
	v_min_f32_e32 v52, v54, v53
	v_min3_f32 v50, v50, v52, v51
	global_store_b32 v[44:45], v50, off
	s_or_b32 exec_lo, exec_lo, s11
	s_and_b32 s15, s4, s8
	s_delay_alu instid0(SALU_CYCLE_1)
	s_and_saveexec_b32 s11, s15
	s_cbranch_execz .LBB77_257
.LBB77_276:
	v_cmp_ne_u32_e32 vcc_lo, 1, v121
	v_lshlrev_b64 v[44:45], 2, v[72:73]
	s_cbranch_vccnz .LBB77_278
; %bb.277:
	s_delay_alu instid0(VALU_DEP_1) | instskip(NEXT) | instid1(VALU_DEP_2)
	v_add_co_u32 v50, vcc_lo, v48, v44
	v_add_co_ci_u32_e32 v51, vcc_lo, v49, v45, vcc_lo
	flat_load_b32 v50, v[50:51]
	s_waitcnt vmcnt(0) lgkmcnt(0)
	v_mul_f32_e32 v50, s24, v50
	s_branch .LBB77_279
.LBB77_278:
	v_mov_b32_e32 v50, 0
.LBB77_279:
	v_dual_add_f32 v51, v17, v41 :: v_dual_add_f32 v52, v16, v40
	v_dual_add_f32 v53, v19, v43 :: v_dual_add_f32 v54, v18, v42
	s_delay_alu instid0(VALU_DEP_4) | instskip(NEXT) | instid1(VALU_DEP_3)
	v_add_co_u32 v44, vcc_lo, v46, v44
	v_min3_f32 v51, v52, v51, v101
	v_add_co_ci_u32_e32 v45, vcc_lo, v47, v45, vcc_lo
	s_delay_alu instid0(VALU_DEP_4) | instskip(NEXT) | instid1(VALU_DEP_1)
	v_min_f32_e32 v52, v54, v53
	v_min3_f32 v50, v50, v52, v51
	global_store_b32 v[44:45], v50, off
	s_or_b32 exec_lo, exec_lo, s11
	s_and_b32 s15, s5, s8
	s_delay_alu instid0(SALU_CYCLE_1)
	s_and_saveexec_b32 s11, s15
	s_cbranch_execz .LBB77_258
.LBB77_280:
	v_cmp_ne_u32_e32 vcc_lo, 1, v121
	v_lshlrev_b64 v[44:45], 2, v[74:75]
	s_cbranch_vccnz .LBB77_282
; %bb.281:
	s_delay_alu instid0(VALU_DEP_1) | instskip(NEXT) | instid1(VALU_DEP_2)
	v_add_co_u32 v50, vcc_lo, v48, v44
	v_add_co_ci_u32_e32 v51, vcc_lo, v49, v45, vcc_lo
	flat_load_b32 v50, v[50:51]
	s_waitcnt vmcnt(0) lgkmcnt(0)
	v_mul_f32_e32 v50, s24, v50
	s_branch .LBB77_283
.LBB77_282:
	v_mov_b32_e32 v50, 0
.LBB77_283:
	v_dual_add_f32 v51, v13, v41 :: v_dual_add_f32 v52, v12, v40
	v_dual_add_f32 v53, v15, v43 :: v_dual_add_f32 v54, v14, v42
	s_delay_alu instid0(VALU_DEP_4) | instskip(NEXT) | instid1(VALU_DEP_3)
	v_add_co_u32 v44, vcc_lo, v46, v44
	v_min3_f32 v51, v52, v51, v100
	v_add_co_ci_u32_e32 v45, vcc_lo, v47, v45, vcc_lo
	s_delay_alu instid0(VALU_DEP_4) | instskip(NEXT) | instid1(VALU_DEP_1)
	v_min_f32_e32 v52, v54, v53
	v_min3_f32 v50, v50, v52, v51
	global_store_b32 v[44:45], v50, off
	s_or_b32 exec_lo, exec_lo, s11
	s_and_b32 s15, s6, s8
	s_delay_alu instid0(SALU_CYCLE_1)
	s_and_saveexec_b32 s11, s15
	s_cbranch_execz .LBB77_259
.LBB77_284:
	v_cmp_ne_u32_e32 vcc_lo, 1, v121
	v_lshlrev_b64 v[44:45], 2, v[76:77]
	s_cbranch_vccnz .LBB77_286
; %bb.285:
	s_delay_alu instid0(VALU_DEP_1) | instskip(NEXT) | instid1(VALU_DEP_2)
	v_add_co_u32 v50, vcc_lo, v48, v44
	v_add_co_ci_u32_e32 v51, vcc_lo, v49, v45, vcc_lo
	flat_load_b32 v50, v[50:51]
	s_waitcnt vmcnt(0) lgkmcnt(0)
	v_mul_f32_e32 v50, s24, v50
	s_branch .LBB77_287
.LBB77_286:
	v_mov_b32_e32 v50, 0
.LBB77_287:
	v_dual_add_f32 v51, v9, v41 :: v_dual_add_f32 v52, v8, v40
	v_dual_add_f32 v53, v11, v43 :: v_dual_add_f32 v54, v10, v42
	s_delay_alu instid0(VALU_DEP_4) | instskip(NEXT) | instid1(VALU_DEP_3)
	v_add_co_u32 v44, vcc_lo, v46, v44
	v_min3_f32 v51, v52, v51, v99
	v_add_co_ci_u32_e32 v45, vcc_lo, v47, v45, vcc_lo
	s_delay_alu instid0(VALU_DEP_4) | instskip(NEXT) | instid1(VALU_DEP_1)
	v_min_f32_e32 v52, v54, v53
	v_min3_f32 v50, v50, v52, v51
	global_store_b32 v[44:45], v50, off
	s_or_b32 exec_lo, exec_lo, s11
	s_and_b32 s11, s7, s8
	s_delay_alu instid0(SALU_CYCLE_1)
	s_and_saveexec_b32 s8, s11
	s_cbranch_execz .LBB77_292
.LBB77_288:
	v_cmp_ne_u32_e32 vcc_lo, 1, v121
	v_lshlrev_b64 v[44:45], 2, v[78:79]
	s_cbranch_vccnz .LBB77_290
; %bb.289:
	s_delay_alu instid0(VALU_DEP_1) | instskip(NEXT) | instid1(VALU_DEP_2)
	v_add_co_u32 v48, vcc_lo, v48, v44
	v_add_co_ci_u32_e32 v49, vcc_lo, v49, v45, vcc_lo
	flat_load_b32 v48, v[48:49]
	s_waitcnt vmcnt(0) lgkmcnt(0)
	v_mul_f32_e32 v48, s24, v48
	s_branch .LBB77_291
.LBB77_290:
	v_mov_b32_e32 v48, 0
.LBB77_291:
	v_dual_add_f32 v41, v1, v41 :: v_dual_add_f32 v40, v0, v40
	v_dual_add_f32 v43, v3, v43 :: v_dual_add_f32 v42, v2, v42
	s_delay_alu instid0(VALU_DEP_2) | instskip(NEXT) | instid1(VALU_DEP_2)
	v_min3_f32 v40, v40, v41, v98
	v_min_f32_e32 v41, v42, v43
	s_delay_alu instid0(VALU_DEP_1)
	v_min3_f32 v42, v48, v41, v40
	v_add_co_u32 v40, vcc_lo, v46, v44
	v_add_co_ci_u32_e32 v41, vcc_lo, v47, v45, vcc_lo
	global_store_b32 v[40:41], v42, off
.LBB77_292:
	s_or_b32 exec_lo, exec_lo, s8
	v_add_nc_u32_e32 v44, 0xc0, v131
	s_delay_alu instid0(VALU_DEP_1) | instskip(SKIP_2) | instid1(VALU_DEP_3)
	v_mad_i64_i32 v[40:41], null, v44, s18, 0
	v_mad_i64_i32 v[42:43], null, v44, s14, 0
	v_cmp_gt_i32_e64 s8, s17, v44
	v_lshlrev_b64 v[40:41], 2, v[40:41]
	s_delay_alu instid0(VALU_DEP_2) | instskip(NEXT) | instid1(VALU_DEP_3)
	s_and_b32 s15, s0, s8
	v_lshlrev_b64 v[42:43], 2, v[42:43]
	s_delay_alu instid0(VALU_DEP_2) | instskip(NEXT) | instid1(VALU_DEP_3)
	v_add_co_u32 v44, vcc_lo, s12, v40
	v_add_co_ci_u32_e32 v45, vcc_lo, s13, v41, vcc_lo
	s_delay_alu instid0(VALU_DEP_3) | instskip(NEXT) | instid1(VALU_DEP_4)
	v_add_co_u32 v42, vcc_lo, s9, v42
	v_add_co_ci_u32_e32 v43, vcc_lo, s10, v43, vcc_lo
	s_and_saveexec_b32 s11, s15
	s_cbranch_execnz .LBB77_300
; %bb.293:
	s_or_b32 exec_lo, exec_lo, s11
	s_and_b32 s15, s1, s8
	s_delay_alu instid0(SALU_CYCLE_1)
	s_and_saveexec_b32 s11, s15
	s_cbranch_execnz .LBB77_304
.LBB77_294:
	s_or_b32 exec_lo, exec_lo, s11
	s_and_b32 s15, s2, s8
	s_delay_alu instid0(SALU_CYCLE_1)
	s_and_saveexec_b32 s11, s15
	s_cbranch_execnz .LBB77_308
.LBB77_295:
	s_or_b32 exec_lo, exec_lo, s11
	s_and_b32 s15, s3, s8
	s_delay_alu instid0(SALU_CYCLE_1)
	s_and_saveexec_b32 s11, s15
	s_cbranch_execnz .LBB77_312
.LBB77_296:
	s_or_b32 exec_lo, exec_lo, s11
	s_and_b32 s15, s4, s8
	s_delay_alu instid0(SALU_CYCLE_1)
	s_and_saveexec_b32 s11, s15
	s_cbranch_execnz .LBB77_316
.LBB77_297:
	s_or_b32 exec_lo, exec_lo, s11
	s_and_b32 s15, s5, s8
	s_delay_alu instid0(SALU_CYCLE_1)
	s_and_saveexec_b32 s11, s15
	s_cbranch_execnz .LBB77_320
.LBB77_298:
	s_or_b32 exec_lo, exec_lo, s11
	s_and_b32 s15, s6, s8
	s_delay_alu instid0(SALU_CYCLE_1)
	s_and_saveexec_b32 s11, s15
	s_cbranch_execnz .LBB77_324
.LBB77_299:
	s_or_b32 exec_lo, exec_lo, s11
	s_and_b32 s11, s7, s8
	s_delay_alu instid0(SALU_CYCLE_1)
	s_and_saveexec_b32 s8, s11
	s_cbranch_execnz .LBB77_328
	s_branch .LBB77_332
.LBB77_300:
	v_cmp_ne_u32_e32 vcc_lo, 1, v121
	v_lshlrev_b64 v[40:41], 2, v[64:65]
	s_cbranch_vccnz .LBB77_302
; %bb.301:
	s_delay_alu instid0(VALU_DEP_1) | instskip(NEXT) | instid1(VALU_DEP_2)
	v_add_co_u32 v46, vcc_lo, v44, v40
	v_add_co_ci_u32_e32 v47, vcc_lo, v45, v41, vcc_lo
	flat_load_b32 v46, v[46:47]
	s_waitcnt vmcnt(0) lgkmcnt(0)
	v_mul_f32_e32 v46, s24, v46
	s_branch .LBB77_303
.LBB77_302:
	v_mov_b32_e32 v46, 0
.LBB77_303:
	v_dual_add_f32 v47, v33, v37 :: v_dual_add_f32 v48, v32, v36
	v_dual_add_f32 v49, v35, v39 :: v_dual_add_f32 v50, v34, v38
	s_delay_alu instid0(VALU_DEP_4) | instskip(NEXT) | instid1(VALU_DEP_3)
	v_add_co_u32 v40, vcc_lo, v42, v40
	v_min3_f32 v47, v48, v47, v97
	v_add_co_ci_u32_e32 v41, vcc_lo, v43, v41, vcc_lo
	s_delay_alu instid0(VALU_DEP_4) | instskip(NEXT) | instid1(VALU_DEP_1)
	v_min_f32_e32 v48, v50, v49
	v_min3_f32 v46, v46, v48, v47
	global_store_b32 v[40:41], v46, off
	s_or_b32 exec_lo, exec_lo, s11
	s_and_b32 s15, s1, s8
	s_delay_alu instid0(SALU_CYCLE_1)
	s_and_saveexec_b32 s11, s15
	s_cbranch_execz .LBB77_294
.LBB77_304:
	v_cmp_ne_u32_e32 vcc_lo, 1, v121
	v_lshlrev_b64 v[40:41], 2, v[66:67]
	s_cbranch_vccnz .LBB77_306
; %bb.305:
	s_delay_alu instid0(VALU_DEP_1) | instskip(NEXT) | instid1(VALU_DEP_2)
	v_add_co_u32 v46, vcc_lo, v44, v40
	v_add_co_ci_u32_e32 v47, vcc_lo, v45, v41, vcc_lo
	flat_load_b32 v46, v[46:47]
	s_waitcnt vmcnt(0) lgkmcnt(0)
	v_mul_f32_e32 v46, s24, v46
	s_branch .LBB77_307
.LBB77_306:
	v_mov_b32_e32 v46, 0
.LBB77_307:
	v_dual_add_f32 v47, v29, v37 :: v_dual_add_f32 v48, v28, v36
	v_dual_add_f32 v49, v31, v39 :: v_dual_add_f32 v50, v30, v38
	s_delay_alu instid0(VALU_DEP_4) | instskip(NEXT) | instid1(VALU_DEP_3)
	v_add_co_u32 v40, vcc_lo, v42, v40
	v_min3_f32 v47, v48, v47, v96
	v_add_co_ci_u32_e32 v41, vcc_lo, v43, v41, vcc_lo
	s_delay_alu instid0(VALU_DEP_4) | instskip(NEXT) | instid1(VALU_DEP_1)
	v_min_f32_e32 v48, v50, v49
	v_min3_f32 v46, v46, v48, v47
	global_store_b32 v[40:41], v46, off
	s_or_b32 exec_lo, exec_lo, s11
	s_and_b32 s15, s2, s8
	s_delay_alu instid0(SALU_CYCLE_1)
	s_and_saveexec_b32 s11, s15
	s_cbranch_execz .LBB77_295
.LBB77_308:
	v_cmp_ne_u32_e32 vcc_lo, 1, v121
	v_lshlrev_b64 v[40:41], 2, v[68:69]
	s_cbranch_vccnz .LBB77_310
; %bb.309:
	s_delay_alu instid0(VALU_DEP_1) | instskip(NEXT) | instid1(VALU_DEP_2)
	v_add_co_u32 v46, vcc_lo, v44, v40
	v_add_co_ci_u32_e32 v47, vcc_lo, v45, v41, vcc_lo
	flat_load_b32 v46, v[46:47]
	s_waitcnt vmcnt(0) lgkmcnt(0)
	v_mul_f32_e32 v46, s24, v46
	s_branch .LBB77_311
.LBB77_310:
	v_mov_b32_e32 v46, 0
.LBB77_311:
	v_dual_add_f32 v47, v25, v37 :: v_dual_add_f32 v48, v24, v36
	v_dual_add_f32 v49, v27, v39 :: v_dual_add_f32 v50, v26, v38
	s_delay_alu instid0(VALU_DEP_4) | instskip(NEXT) | instid1(VALU_DEP_3)
	v_add_co_u32 v40, vcc_lo, v42, v40
	v_min3_f32 v47, v48, v47, v95
	v_add_co_ci_u32_e32 v41, vcc_lo, v43, v41, vcc_lo
	s_delay_alu instid0(VALU_DEP_4) | instskip(NEXT) | instid1(VALU_DEP_1)
	v_min_f32_e32 v48, v50, v49
	v_min3_f32 v46, v46, v48, v47
	global_store_b32 v[40:41], v46, off
	s_or_b32 exec_lo, exec_lo, s11
	s_and_b32 s15, s3, s8
	s_delay_alu instid0(SALU_CYCLE_1)
	s_and_saveexec_b32 s11, s15
	s_cbranch_execz .LBB77_296
.LBB77_312:
	v_cmp_ne_u32_e32 vcc_lo, 1, v121
	v_lshlrev_b64 v[40:41], 2, v[70:71]
	s_cbranch_vccnz .LBB77_314
; %bb.313:
	s_delay_alu instid0(VALU_DEP_1) | instskip(NEXT) | instid1(VALU_DEP_2)
	v_add_co_u32 v46, vcc_lo, v44, v40
	v_add_co_ci_u32_e32 v47, vcc_lo, v45, v41, vcc_lo
	flat_load_b32 v46, v[46:47]
	s_waitcnt vmcnt(0) lgkmcnt(0)
	v_mul_f32_e32 v46, s24, v46
	s_branch .LBB77_315
.LBB77_314:
	v_mov_b32_e32 v46, 0
.LBB77_315:
	v_dual_add_f32 v47, v21, v37 :: v_dual_add_f32 v48, v20, v36
	v_dual_add_f32 v49, v23, v39 :: v_dual_add_f32 v50, v22, v38
	s_delay_alu instid0(VALU_DEP_4) | instskip(NEXT) | instid1(VALU_DEP_3)
	v_add_co_u32 v40, vcc_lo, v42, v40
	v_min3_f32 v47, v48, v47, v94
	v_add_co_ci_u32_e32 v41, vcc_lo, v43, v41, vcc_lo
	s_delay_alu instid0(VALU_DEP_4) | instskip(NEXT) | instid1(VALU_DEP_1)
	v_min_f32_e32 v48, v50, v49
	v_min3_f32 v46, v46, v48, v47
	global_store_b32 v[40:41], v46, off
	s_or_b32 exec_lo, exec_lo, s11
	s_and_b32 s15, s4, s8
	s_delay_alu instid0(SALU_CYCLE_1)
	s_and_saveexec_b32 s11, s15
	s_cbranch_execz .LBB77_297
.LBB77_316:
	v_cmp_ne_u32_e32 vcc_lo, 1, v121
	v_lshlrev_b64 v[40:41], 2, v[72:73]
	s_cbranch_vccnz .LBB77_318
; %bb.317:
	s_delay_alu instid0(VALU_DEP_1) | instskip(NEXT) | instid1(VALU_DEP_2)
	v_add_co_u32 v46, vcc_lo, v44, v40
	v_add_co_ci_u32_e32 v47, vcc_lo, v45, v41, vcc_lo
	flat_load_b32 v46, v[46:47]
	s_waitcnt vmcnt(0) lgkmcnt(0)
	v_mul_f32_e32 v46, s24, v46
	s_branch .LBB77_319
.LBB77_318:
	v_mov_b32_e32 v46, 0
.LBB77_319:
	v_dual_add_f32 v47, v17, v37 :: v_dual_add_f32 v48, v16, v36
	v_dual_add_f32 v49, v19, v39 :: v_dual_add_f32 v50, v18, v38
	s_delay_alu instid0(VALU_DEP_4) | instskip(NEXT) | instid1(VALU_DEP_3)
	v_add_co_u32 v40, vcc_lo, v42, v40
	v_min3_f32 v47, v48, v47, v93
	v_add_co_ci_u32_e32 v41, vcc_lo, v43, v41, vcc_lo
	s_delay_alu instid0(VALU_DEP_4) | instskip(NEXT) | instid1(VALU_DEP_1)
	v_min_f32_e32 v48, v50, v49
	v_min3_f32 v46, v46, v48, v47
	global_store_b32 v[40:41], v46, off
	s_or_b32 exec_lo, exec_lo, s11
	s_and_b32 s15, s5, s8
	s_delay_alu instid0(SALU_CYCLE_1)
	s_and_saveexec_b32 s11, s15
	s_cbranch_execz .LBB77_298
.LBB77_320:
	v_cmp_ne_u32_e32 vcc_lo, 1, v121
	v_lshlrev_b64 v[40:41], 2, v[74:75]
	s_cbranch_vccnz .LBB77_322
; %bb.321:
	s_delay_alu instid0(VALU_DEP_1) | instskip(NEXT) | instid1(VALU_DEP_2)
	v_add_co_u32 v46, vcc_lo, v44, v40
	v_add_co_ci_u32_e32 v47, vcc_lo, v45, v41, vcc_lo
	flat_load_b32 v46, v[46:47]
	s_waitcnt vmcnt(0) lgkmcnt(0)
	v_mul_f32_e32 v46, s24, v46
	s_branch .LBB77_323
.LBB77_322:
	v_mov_b32_e32 v46, 0
.LBB77_323:
	v_dual_add_f32 v47, v13, v37 :: v_dual_add_f32 v48, v12, v36
	v_dual_add_f32 v49, v15, v39 :: v_dual_add_f32 v50, v14, v38
	s_delay_alu instid0(VALU_DEP_4) | instskip(NEXT) | instid1(VALU_DEP_3)
	v_add_co_u32 v40, vcc_lo, v42, v40
	v_min3_f32 v47, v48, v47, v91
	v_add_co_ci_u32_e32 v41, vcc_lo, v43, v41, vcc_lo
	s_delay_alu instid0(VALU_DEP_4) | instskip(NEXT) | instid1(VALU_DEP_1)
	v_min_f32_e32 v48, v50, v49
	v_min3_f32 v46, v46, v48, v47
	global_store_b32 v[40:41], v46, off
	s_or_b32 exec_lo, exec_lo, s11
	s_and_b32 s15, s6, s8
	s_delay_alu instid0(SALU_CYCLE_1)
	s_and_saveexec_b32 s11, s15
	s_cbranch_execz .LBB77_299
.LBB77_324:
	v_cmp_ne_u32_e32 vcc_lo, 1, v121
	v_lshlrev_b64 v[40:41], 2, v[76:77]
	s_cbranch_vccnz .LBB77_326
; %bb.325:
	s_delay_alu instid0(VALU_DEP_1) | instskip(NEXT) | instid1(VALU_DEP_2)
	v_add_co_u32 v46, vcc_lo, v44, v40
	v_add_co_ci_u32_e32 v47, vcc_lo, v45, v41, vcc_lo
	flat_load_b32 v46, v[46:47]
	s_waitcnt vmcnt(0) lgkmcnt(0)
	v_mul_f32_e32 v46, s24, v46
	s_branch .LBB77_327
.LBB77_326:
	v_mov_b32_e32 v46, 0
.LBB77_327:
	v_dual_add_f32 v47, v9, v37 :: v_dual_add_f32 v48, v8, v36
	v_dual_add_f32 v49, v11, v39 :: v_dual_add_f32 v50, v10, v38
	s_delay_alu instid0(VALU_DEP_4) | instskip(NEXT) | instid1(VALU_DEP_3)
	v_add_co_u32 v40, vcc_lo, v42, v40
	v_min3_f32 v47, v48, v47, v90
	v_add_co_ci_u32_e32 v41, vcc_lo, v43, v41, vcc_lo
	s_delay_alu instid0(VALU_DEP_4) | instskip(NEXT) | instid1(VALU_DEP_1)
	v_min_f32_e32 v48, v50, v49
	v_min3_f32 v46, v46, v48, v47
	global_store_b32 v[40:41], v46, off
	s_or_b32 exec_lo, exec_lo, s11
	s_and_b32 s11, s7, s8
	s_delay_alu instid0(SALU_CYCLE_1)
	s_and_saveexec_b32 s8, s11
	s_cbranch_execz .LBB77_332
.LBB77_328:
	v_cmp_ne_u32_e32 vcc_lo, 1, v121
	v_lshlrev_b64 v[40:41], 2, v[78:79]
	s_cbranch_vccnz .LBB77_330
; %bb.329:
	s_delay_alu instid0(VALU_DEP_1) | instskip(NEXT) | instid1(VALU_DEP_2)
	v_add_co_u32 v44, vcc_lo, v44, v40
	v_add_co_ci_u32_e32 v45, vcc_lo, v45, v41, vcc_lo
	flat_load_b32 v44, v[44:45]
	s_waitcnt vmcnt(0) lgkmcnt(0)
	v_mul_f32_e32 v44, s24, v44
	s_branch .LBB77_331
.LBB77_330:
	v_mov_b32_e32 v44, 0
.LBB77_331:
	v_dual_add_f32 v37, v1, v37 :: v_dual_add_f32 v36, v0, v36
	v_dual_add_f32 v39, v3, v39 :: v_dual_add_f32 v38, v2, v38
	s_delay_alu instid0(VALU_DEP_2) | instskip(NEXT) | instid1(VALU_DEP_2)
	v_min3_f32 v36, v36, v37, v89
	v_min_f32_e32 v37, v38, v39
	s_delay_alu instid0(VALU_DEP_1)
	v_min3_f32 v38, v44, v37, v36
	v_add_co_u32 v36, vcc_lo, v42, v40
	v_add_co_ci_u32_e32 v37, vcc_lo, v43, v41, vcc_lo
	global_store_b32 v[36:37], v38, off
.LBB77_332:
	s_or_b32 exec_lo, exec_lo, s8
	v_add_nc_u32_e32 v40, 0xe0, v131
	s_delay_alu instid0(VALU_DEP_1) | instskip(SKIP_2) | instid1(VALU_DEP_3)
	v_mad_i64_i32 v[36:37], null, v40, s18, 0
	v_mad_i64_i32 v[38:39], null, v40, s14, 0
	v_cmp_gt_i32_e64 s8, s17, v40
	v_lshlrev_b64 v[36:37], 2, v[36:37]
	s_delay_alu instid0(VALU_DEP_3) | instskip(NEXT) | instid1(VALU_DEP_2)
	v_lshlrev_b64 v[38:39], 2, v[38:39]
	v_add_co_u32 v40, vcc_lo, s12, v36
	s_delay_alu instid0(VALU_DEP_3) | instskip(NEXT) | instid1(VALU_DEP_3)
	v_add_co_ci_u32_e32 v41, vcc_lo, s13, v37, vcc_lo
	v_add_co_u32 v38, vcc_lo, s9, v38
	s_delay_alu instid0(VALU_DEP_4) | instskip(SKIP_1) | instid1(SALU_CYCLE_1)
	v_add_co_ci_u32_e32 v39, vcc_lo, s10, v39, vcc_lo
	s_and_b32 s9, s0, s8
	s_and_saveexec_b32 s0, s9
	s_cbranch_execnz .LBB77_341
; %bb.333:
	s_or_b32 exec_lo, exec_lo, s0
	s_and_b32 s1, s1, s8
	s_delay_alu instid0(SALU_CYCLE_1)
	s_and_saveexec_b32 s0, s1
	s_cbranch_execnz .LBB77_345
.LBB77_334:
	s_or_b32 exec_lo, exec_lo, s0
	s_and_b32 s1, s2, s8
	s_delay_alu instid0(SALU_CYCLE_1)
	s_and_saveexec_b32 s0, s1
	s_cbranch_execnz .LBB77_349
.LBB77_335:
	s_or_b32 exec_lo, exec_lo, s0
	s_and_b32 s1, s3, s8
	s_delay_alu instid0(SALU_CYCLE_1)
	s_and_saveexec_b32 s0, s1
	s_cbranch_execnz .LBB77_353
.LBB77_336:
	s_or_b32 exec_lo, exec_lo, s0
	s_and_b32 s1, s4, s8
	s_delay_alu instid0(SALU_CYCLE_1)
	s_and_saveexec_b32 s0, s1
	s_cbranch_execnz .LBB77_357
.LBB77_337:
	s_or_b32 exec_lo, exec_lo, s0
	s_and_b32 s1, s5, s8
	s_delay_alu instid0(SALU_CYCLE_1)
	s_and_saveexec_b32 s0, s1
	s_cbranch_execnz .LBB77_361
.LBB77_338:
	s_or_b32 exec_lo, exec_lo, s0
	s_and_b32 s1, s6, s8
	s_delay_alu instid0(SALU_CYCLE_1)
	s_and_saveexec_b32 s0, s1
	s_cbranch_execnz .LBB77_365
.LBB77_339:
	s_or_b32 exec_lo, exec_lo, s0
	s_and_b32 s0, s7, s8
	s_delay_alu instid0(SALU_CYCLE_1)
	s_and_saveexec_b32 s1, s0
	s_cbranch_execnz .LBB77_369
.LBB77_340:
	s_nop 0
	s_sendmsg sendmsg(MSG_DEALLOC_VGPRS)
	s_endpgm
.LBB77_341:
	v_cmp_ne_u32_e32 vcc_lo, 1, v121
	v_lshlrev_b64 v[36:37], 2, v[64:65]
	s_cbranch_vccnz .LBB77_343
; %bb.342:
	s_delay_alu instid0(VALU_DEP_1) | instskip(NEXT) | instid1(VALU_DEP_2)
	v_add_co_u32 v42, vcc_lo, v40, v36
	v_add_co_ci_u32_e32 v43, vcc_lo, v41, v37, vcc_lo
	flat_load_b32 v42, v[42:43]
	s_waitcnt vmcnt(0) lgkmcnt(0)
	v_mul_f32_e32 v42, s24, v42
	s_branch .LBB77_344
.LBB77_343:
	v_mov_b32_e32 v42, 0
.LBB77_344:
	v_dual_add_f32 v33, v33, v5 :: v_dual_add_f32 v32, v32, v4
	v_dual_add_f32 v35, v35, v7 :: v_dual_add_f32 v34, v34, v6
	s_delay_alu instid0(VALU_DEP_2) | instskip(NEXT) | instid1(VALU_DEP_2)
	v_min3_f32 v32, v32, v33, v88
	v_min_f32_e32 v33, v34, v35
	s_delay_alu instid0(VALU_DEP_1)
	v_min3_f32 v34, v42, v33, v32
	v_add_co_u32 v32, vcc_lo, v38, v36
	v_add_co_ci_u32_e32 v33, vcc_lo, v39, v37, vcc_lo
	global_store_b32 v[32:33], v34, off
	s_or_b32 exec_lo, exec_lo, s0
	s_and_b32 s1, s1, s8
	s_delay_alu instid0(SALU_CYCLE_1)
	s_and_saveexec_b32 s0, s1
	s_cbranch_execz .LBB77_334
.LBB77_345:
	v_cmp_ne_u32_e32 vcc_lo, 1, v121
	v_lshlrev_b64 v[32:33], 2, v[66:67]
	s_cbranch_vccnz .LBB77_347
; %bb.346:
	s_delay_alu instid0(VALU_DEP_1) | instskip(NEXT) | instid1(VALU_DEP_2)
	v_add_co_u32 v34, vcc_lo, v40, v32
	v_add_co_ci_u32_e32 v35, vcc_lo, v41, v33, vcc_lo
	flat_load_b32 v34, v[34:35]
	s_waitcnt vmcnt(0) lgkmcnt(0)
	v_mul_f32_e32 v34, s24, v34
	s_branch .LBB77_348
.LBB77_347:
	v_mov_b32_e32 v34, 0
.LBB77_348:
	v_dual_add_f32 v29, v29, v5 :: v_dual_add_f32 v28, v28, v4
	v_dual_add_f32 v31, v31, v7 :: v_dual_add_f32 v30, v30, v6
	s_delay_alu instid0(VALU_DEP_2) | instskip(NEXT) | instid1(VALU_DEP_2)
	v_min3_f32 v28, v28, v29, v87
	v_min_f32_e32 v29, v30, v31
	s_delay_alu instid0(VALU_DEP_1)
	v_min3_f32 v30, v34, v29, v28
	v_add_co_u32 v28, vcc_lo, v38, v32
	v_add_co_ci_u32_e32 v29, vcc_lo, v39, v33, vcc_lo
	global_store_b32 v[28:29], v30, off
	s_or_b32 exec_lo, exec_lo, s0
	s_and_b32 s1, s2, s8
	s_delay_alu instid0(SALU_CYCLE_1)
	s_and_saveexec_b32 s0, s1
	s_cbranch_execz .LBB77_335
.LBB77_349:
	v_cmp_ne_u32_e32 vcc_lo, 1, v121
	v_lshlrev_b64 v[28:29], 2, v[68:69]
	s_cbranch_vccnz .LBB77_351
; %bb.350:
	s_delay_alu instid0(VALU_DEP_1) | instskip(NEXT) | instid1(VALU_DEP_2)
	v_add_co_u32 v30, vcc_lo, v40, v28
	v_add_co_ci_u32_e32 v31, vcc_lo, v41, v29, vcc_lo
	flat_load_b32 v30, v[30:31]
	s_waitcnt vmcnt(0) lgkmcnt(0)
	v_mul_f32_e32 v30, s24, v30
	s_branch .LBB77_352
.LBB77_351:
	v_mov_b32_e32 v30, 0
.LBB77_352:
	v_dual_add_f32 v25, v25, v5 :: v_dual_add_f32 v24, v24, v4
	v_dual_add_f32 v27, v27, v7 :: v_dual_add_f32 v26, v26, v6
	s_delay_alu instid0(VALU_DEP_2) | instskip(NEXT) | instid1(VALU_DEP_2)
	v_min3_f32 v24, v24, v25, v86
	v_min_f32_e32 v25, v26, v27
	s_delay_alu instid0(VALU_DEP_1)
	v_min3_f32 v26, v30, v25, v24
	v_add_co_u32 v24, vcc_lo, v38, v28
	v_add_co_ci_u32_e32 v25, vcc_lo, v39, v29, vcc_lo
	global_store_b32 v[24:25], v26, off
	s_or_b32 exec_lo, exec_lo, s0
	s_and_b32 s1, s3, s8
	s_delay_alu instid0(SALU_CYCLE_1)
	s_and_saveexec_b32 s0, s1
	s_cbranch_execz .LBB77_336
.LBB77_353:
	v_cmp_ne_u32_e32 vcc_lo, 1, v121
	v_lshlrev_b64 v[24:25], 2, v[70:71]
	s_cbranch_vccnz .LBB77_355
; %bb.354:
	s_delay_alu instid0(VALU_DEP_1) | instskip(NEXT) | instid1(VALU_DEP_2)
	v_add_co_u32 v26, vcc_lo, v40, v24
	v_add_co_ci_u32_e32 v27, vcc_lo, v41, v25, vcc_lo
	flat_load_b32 v26, v[26:27]
	s_waitcnt vmcnt(0) lgkmcnt(0)
	v_mul_f32_e32 v26, s24, v26
	s_branch .LBB77_356
.LBB77_355:
	v_mov_b32_e32 v26, 0
.LBB77_356:
	v_dual_add_f32 v21, v21, v5 :: v_dual_add_f32 v20, v20, v4
	v_dual_add_f32 v23, v23, v7 :: v_dual_add_f32 v22, v22, v6
	s_delay_alu instid0(VALU_DEP_2) | instskip(NEXT) | instid1(VALU_DEP_2)
	v_min3_f32 v20, v20, v21, v85
	v_min_f32_e32 v21, v22, v23
	s_delay_alu instid0(VALU_DEP_1)
	v_min3_f32 v22, v26, v21, v20
	v_add_co_u32 v20, vcc_lo, v38, v24
	v_add_co_ci_u32_e32 v21, vcc_lo, v39, v25, vcc_lo
	global_store_b32 v[20:21], v22, off
	s_or_b32 exec_lo, exec_lo, s0
	s_and_b32 s1, s4, s8
	s_delay_alu instid0(SALU_CYCLE_1)
	s_and_saveexec_b32 s0, s1
	s_cbranch_execz .LBB77_337
.LBB77_357:
	v_cmp_ne_u32_e32 vcc_lo, 1, v121
	v_lshlrev_b64 v[20:21], 2, v[72:73]
	s_cbranch_vccnz .LBB77_359
; %bb.358:
	s_delay_alu instid0(VALU_DEP_1) | instskip(NEXT) | instid1(VALU_DEP_2)
	v_add_co_u32 v22, vcc_lo, v40, v20
	v_add_co_ci_u32_e32 v23, vcc_lo, v41, v21, vcc_lo
	flat_load_b32 v22, v[22:23]
	s_waitcnt vmcnt(0) lgkmcnt(0)
	v_mul_f32_e32 v22, s24, v22
	s_branch .LBB77_360
.LBB77_359:
	v_mov_b32_e32 v22, 0
.LBB77_360:
	v_dual_add_f32 v17, v17, v5 :: v_dual_add_f32 v16, v16, v4
	v_dual_add_f32 v19, v19, v7 :: v_dual_add_f32 v18, v18, v6
	s_delay_alu instid0(VALU_DEP_2) | instskip(NEXT) | instid1(VALU_DEP_2)
	v_min3_f32 v16, v16, v17, v84
	v_min_f32_e32 v17, v18, v19
	s_delay_alu instid0(VALU_DEP_1)
	v_min3_f32 v18, v22, v17, v16
	v_add_co_u32 v16, vcc_lo, v38, v20
	v_add_co_ci_u32_e32 v17, vcc_lo, v39, v21, vcc_lo
	global_store_b32 v[16:17], v18, off
	s_or_b32 exec_lo, exec_lo, s0
	s_and_b32 s1, s5, s8
	s_delay_alu instid0(SALU_CYCLE_1)
	s_and_saveexec_b32 s0, s1
	s_cbranch_execz .LBB77_338
.LBB77_361:
	v_cmp_ne_u32_e32 vcc_lo, 1, v121
	v_lshlrev_b64 v[16:17], 2, v[74:75]
	s_cbranch_vccnz .LBB77_363
; %bb.362:
	s_delay_alu instid0(VALU_DEP_1) | instskip(NEXT) | instid1(VALU_DEP_2)
	v_add_co_u32 v18, vcc_lo, v40, v16
	v_add_co_ci_u32_e32 v19, vcc_lo, v41, v17, vcc_lo
	flat_load_b32 v18, v[18:19]
	s_waitcnt vmcnt(0) lgkmcnt(0)
	v_mul_f32_e32 v18, s24, v18
	s_branch .LBB77_364
.LBB77_363:
	v_mov_b32_e32 v18, 0
.LBB77_364:
	v_dual_add_f32 v13, v13, v5 :: v_dual_add_f32 v12, v12, v4
	v_dual_add_f32 v15, v15, v7 :: v_dual_add_f32 v14, v14, v6
	s_delay_alu instid0(VALU_DEP_2) | instskip(NEXT) | instid1(VALU_DEP_2)
	v_min3_f32 v12, v12, v13, v83
	v_min_f32_e32 v13, v14, v15
	s_delay_alu instid0(VALU_DEP_1)
	v_min3_f32 v14, v18, v13, v12
	v_add_co_u32 v12, vcc_lo, v38, v16
	v_add_co_ci_u32_e32 v13, vcc_lo, v39, v17, vcc_lo
	global_store_b32 v[12:13], v14, off
	s_or_b32 exec_lo, exec_lo, s0
	s_and_b32 s1, s6, s8
	s_delay_alu instid0(SALU_CYCLE_1)
	s_and_saveexec_b32 s0, s1
	s_cbranch_execz .LBB77_339
.LBB77_365:
	v_cmp_ne_u32_e32 vcc_lo, 1, v121
	v_lshlrev_b64 v[12:13], 2, v[76:77]
	s_cbranch_vccnz .LBB77_367
; %bb.366:
	s_delay_alu instid0(VALU_DEP_1) | instskip(NEXT) | instid1(VALU_DEP_2)
	v_add_co_u32 v14, vcc_lo, v40, v12
	v_add_co_ci_u32_e32 v15, vcc_lo, v41, v13, vcc_lo
	flat_load_b32 v14, v[14:15]
	s_waitcnt vmcnt(0) lgkmcnt(0)
	v_mul_f32_e32 v14, s24, v14
	s_branch .LBB77_368
.LBB77_367:
	v_mov_b32_e32 v14, 0
.LBB77_368:
	v_dual_add_f32 v9, v9, v5 :: v_dual_add_f32 v8, v8, v4
	v_dual_add_f32 v11, v11, v7 :: v_dual_add_f32 v10, v10, v6
	s_delay_alu instid0(VALU_DEP_2) | instskip(NEXT) | instid1(VALU_DEP_2)
	v_min3_f32 v8, v8, v9, v82
	v_min_f32_e32 v9, v10, v11
	s_delay_alu instid0(VALU_DEP_1)
	v_min3_f32 v10, v14, v9, v8
	v_add_co_u32 v8, vcc_lo, v38, v12
	v_add_co_ci_u32_e32 v9, vcc_lo, v39, v13, vcc_lo
	global_store_b32 v[8:9], v10, off
	s_or_b32 exec_lo, exec_lo, s0
	s_and_b32 s0, s7, s8
	s_delay_alu instid0(SALU_CYCLE_1)
	s_and_saveexec_b32 s1, s0
	s_cbranch_execz .LBB77_340
.LBB77_369:
	v_cmp_ne_u32_e32 vcc_lo, 1, v121
	v_lshlrev_b64 v[8:9], 2, v[78:79]
	s_cbranch_vccnz .LBB77_371
; %bb.370:
	s_delay_alu instid0(VALU_DEP_1) | instskip(NEXT) | instid1(VALU_DEP_2)
	v_add_co_u32 v10, vcc_lo, v40, v8
	v_add_co_ci_u32_e32 v11, vcc_lo, v41, v9, vcc_lo
	flat_load_b32 v10, v[10:11]
	s_waitcnt vmcnt(0) lgkmcnt(0)
	v_mul_f32_e32 v10, s24, v10
	s_branch .LBB77_372
.LBB77_371:
	v_mov_b32_e32 v10, 0
.LBB77_372:
	v_dual_add_f32 v1, v1, v5 :: v_dual_add_f32 v0, v0, v4
	v_dual_add_f32 v3, v3, v7 :: v_dual_add_f32 v2, v2, v6
	s_delay_alu instid0(VALU_DEP_2) | instskip(NEXT) | instid1(VALU_DEP_2)
	v_min3_f32 v0, v0, v1, v92
	v_min_f32_e32 v1, v2, v3
	s_delay_alu instid0(VALU_DEP_1)
	v_min3_f32 v2, v10, v1, v0
	v_add_co_u32 v0, vcc_lo, v38, v8
	v_add_co_ci_u32_e32 v1, vcc_lo, v39, v9, vcc_lo
	global_store_b32 v[0:1], v2, off
	s_nop 0
	s_sendmsg sendmsg(MSG_DEALLOC_VGPRS)
	s_endpgm
	.section	.rodata,"a",@progbits
	.p2align	6, 0x0
	.amdhsa_kernel _ZN12_GLOBAL__N_120geam_min_plus_kernelIf15HIP_vector_typeIfLj2EEfLi8ELi32ELi64ELi256ELi4ELi4ELi64ELi64ELi4ELc84ELc84ELb0ELb1ELb1EfKffEEviiiT16_PT17_ilS6_ilS4_S6_ilPT18_ili26rocblas_geam_ex_operation_
		.amdhsa_group_segment_fixed_size 10240
		.amdhsa_private_segment_fixed_size 0
		.amdhsa_kernarg_size 128
		.amdhsa_user_sgpr_count 14
		.amdhsa_user_sgpr_dispatch_ptr 0
		.amdhsa_user_sgpr_queue_ptr 0
		.amdhsa_user_sgpr_kernarg_segment_ptr 1
		.amdhsa_user_sgpr_dispatch_id 0
		.amdhsa_user_sgpr_private_segment_size 0
		.amdhsa_wavefront_size32 1
		.amdhsa_uses_dynamic_stack 0
		.amdhsa_enable_private_segment 0
		.amdhsa_system_sgpr_workgroup_id_x 1
		.amdhsa_system_sgpr_workgroup_id_y 0
		.amdhsa_system_sgpr_workgroup_id_z 1
		.amdhsa_system_sgpr_workgroup_info 0
		.amdhsa_system_vgpr_workitem_id 1
		.amdhsa_next_free_vgpr 193
		.amdhsa_next_free_sgpr 31
		.amdhsa_reserve_vcc 1
		.amdhsa_float_round_mode_32 0
		.amdhsa_float_round_mode_16_64 0
		.amdhsa_float_denorm_mode_32 3
		.amdhsa_float_denorm_mode_16_64 3
		.amdhsa_dx10_clamp 1
		.amdhsa_ieee_mode 1
		.amdhsa_fp16_overflow 0
		.amdhsa_workgroup_processor_mode 1
		.amdhsa_memory_ordered 1
		.amdhsa_forward_progress 0
		.amdhsa_shared_vgpr_count 0
		.amdhsa_exception_fp_ieee_invalid_op 0
		.amdhsa_exception_fp_denorm_src 0
		.amdhsa_exception_fp_ieee_div_zero 0
		.amdhsa_exception_fp_ieee_overflow 0
		.amdhsa_exception_fp_ieee_underflow 0
		.amdhsa_exception_fp_ieee_inexact 0
		.amdhsa_exception_int_div_zero 0
	.end_amdhsa_kernel
	.section	.text._ZN12_GLOBAL__N_120geam_min_plus_kernelIf15HIP_vector_typeIfLj2EEfLi8ELi32ELi64ELi256ELi4ELi4ELi64ELi64ELi4ELc84ELc84ELb0ELb1ELb1EfKffEEviiiT16_PT17_ilS6_ilS4_S6_ilPT18_ili26rocblas_geam_ex_operation_,"axG",@progbits,_ZN12_GLOBAL__N_120geam_min_plus_kernelIf15HIP_vector_typeIfLj2EEfLi8ELi32ELi64ELi256ELi4ELi4ELi64ELi64ELi4ELc84ELc84ELb0ELb1ELb1EfKffEEviiiT16_PT17_ilS6_ilS4_S6_ilPT18_ili26rocblas_geam_ex_operation_,comdat
.Lfunc_end77:
	.size	_ZN12_GLOBAL__N_120geam_min_plus_kernelIf15HIP_vector_typeIfLj2EEfLi8ELi32ELi64ELi256ELi4ELi4ELi64ELi64ELi4ELc84ELc84ELb0ELb1ELb1EfKffEEviiiT16_PT17_ilS6_ilS4_S6_ilPT18_ili26rocblas_geam_ex_operation_, .Lfunc_end77-_ZN12_GLOBAL__N_120geam_min_plus_kernelIf15HIP_vector_typeIfLj2EEfLi8ELi32ELi64ELi256ELi4ELi4ELi64ELi64ELi4ELc84ELc84ELb0ELb1ELb1EfKffEEviiiT16_PT17_ilS6_ilS4_S6_ilPT18_ili26rocblas_geam_ex_operation_
                                        ; -- End function
	.section	.AMDGPU.csdata,"",@progbits
; Kernel info:
; codeLenInByte = 21160
; NumSgprs: 33
; NumVgprs: 193
; ScratchSize: 0
; MemoryBound: 0
; FloatMode: 240
; IeeeMode: 1
; LDSByteSize: 10240 bytes/workgroup (compile time only)
; SGPRBlocks: 4
; VGPRBlocks: 24
; NumSGPRsForWavesPerEU: 33
; NumVGPRsForWavesPerEU: 193
; Occupancy: 7
; WaveLimiterHint : 0
; COMPUTE_PGM_RSRC2:SCRATCH_EN: 0
; COMPUTE_PGM_RSRC2:USER_SGPR: 14
; COMPUTE_PGM_RSRC2:TRAP_HANDLER: 0
; COMPUTE_PGM_RSRC2:TGID_X_EN: 1
; COMPUTE_PGM_RSRC2:TGID_Y_EN: 0
; COMPUTE_PGM_RSRC2:TGID_Z_EN: 1
; COMPUTE_PGM_RSRC2:TIDIG_COMP_CNT: 1
	.section	.text._ZN12_GLOBAL__N_120geam_min_plus_kernelIf15HIP_vector_typeIfLj2EES2_Li8ELi32ELi64ELi128ELi4ELi64ELi4ELi4ELi64ELc78ELc78ELb0ELb0ELb0EPKfS3_fEEviiiT16_PT17_ilS7_ilS5_S7_ilPT18_ili26rocblas_geam_ex_operation_,"axG",@progbits,_ZN12_GLOBAL__N_120geam_min_plus_kernelIf15HIP_vector_typeIfLj2EES2_Li8ELi32ELi64ELi128ELi4ELi64ELi4ELi4ELi64ELc78ELc78ELb0ELb0ELb0EPKfS3_fEEviiiT16_PT17_ilS7_ilS5_S7_ilPT18_ili26rocblas_geam_ex_operation_,comdat
	.globl	_ZN12_GLOBAL__N_120geam_min_plus_kernelIf15HIP_vector_typeIfLj2EES2_Li8ELi32ELi64ELi128ELi4ELi64ELi4ELi4ELi64ELc78ELc78ELb0ELb0ELb0EPKfS3_fEEviiiT16_PT17_ilS7_ilS5_S7_ilPT18_ili26rocblas_geam_ex_operation_ ; -- Begin function _ZN12_GLOBAL__N_120geam_min_plus_kernelIf15HIP_vector_typeIfLj2EES2_Li8ELi32ELi64ELi128ELi4ELi64ELi4ELi4ELi64ELc78ELc78ELb0ELb0ELb0EPKfS3_fEEviiiT16_PT17_ilS7_ilS5_S7_ilPT18_ili26rocblas_geam_ex_operation_
	.p2align	8
	.type	_ZN12_GLOBAL__N_120geam_min_plus_kernelIf15HIP_vector_typeIfLj2EES2_Li8ELi32ELi64ELi128ELi4ELi64ELi4ELi4ELi64ELc78ELc78ELb0ELb0ELb0EPKfS3_fEEviiiT16_PT17_ilS7_ilS5_S7_ilPT18_ili26rocblas_geam_ex_operation_,@function
_ZN12_GLOBAL__N_120geam_min_plus_kernelIf15HIP_vector_typeIfLj2EES2_Li8ELi32ELi64ELi128ELi4ELi64ELi4ELi4ELi64ELc78ELc78ELb0ELb0ELb0EPKfS3_fEEviiiT16_PT17_ilS7_ilS5_S7_ilPT18_ili26rocblas_geam_ex_operation_: ; @_ZN12_GLOBAL__N_120geam_min_plus_kernelIf15HIP_vector_typeIfLj2EES2_Li8ELi32ELi64ELi128ELi4ELi64ELi4ELi4ELi64ELc78ELc78ELb0ELb0ELb0EPKfS3_fEEviiiT16_PT17_ilS7_ilS5_S7_ilPT18_ili26rocblas_geam_ex_operation_
; %bb.0:
	s_clause 0x1
	s_load_b128 s[16:19], s[0:1], 0x10
	s_load_b128 s[4:7], s[0:1], 0x28
	s_mov_b32 s12, s15
	s_mov_b32 s13, 0
	s_delay_alu instid0(SALU_CYCLE_1)
	s_lshl_b64 s[2:3], s[12:13], 2
	s_waitcnt lgkmcnt(0)
	s_add_u32 s8, s16, s2
	s_addc_u32 s9, s17, s3
	s_mov_b64 s[16:17], 0
	s_load_b32 s15, s[8:9], 0x0
	s_clause 0x1
	s_load_b128 s[8:11], s[0:1], 0x40
	s_load_b64 s[20:21], s[0:1], 0x50
	s_waitcnt lgkmcnt(0)
	v_cmp_eq_f32_e64 s13, s15, 0
	v_cmp_neq_f32_e64 s22, s15, 0
	s_add_u32 s2, s10, s2
	s_addc_u32 s3, s11, s3
	s_mov_b64 s[10:11], 0
	s_and_b32 vcc_lo, exec_lo, s13
	s_cbranch_vccnz .LBB78_2
; %bb.1:
	s_mul_i32 s5, s12, s5
	s_mul_hi_u32 s10, s12, s4
	s_mul_i32 s4, s12, s4
	s_add_i32 s5, s10, s5
	s_delay_alu instid0(SALU_CYCLE_1) | instskip(NEXT) | instid1(SALU_CYCLE_1)
	s_lshl_b64 s[4:5], s[4:5], 2
	s_add_u32 s10, s18, s4
	s_addc_u32 s11, s19, s5
.LBB78_2:
	s_load_b32 s13, s[2:3], 0x0
	v_cndmask_b32_e64 v1, 0, 1, s22
	s_and_not1_b32 vcc_lo, exec_lo, s22
	s_delay_alu instid0(VALU_DEP_1)
	v_cmp_ne_u32_e64 s3, 1, v1
	s_cbranch_vccnz .LBB78_4
; %bb.3:
	s_mul_i32 s2, s12, s9
	s_mul_hi_u32 s4, s12, s8
	s_delay_alu instid0(SALU_CYCLE_1) | instskip(SKIP_1) | instid1(SALU_CYCLE_1)
	s_add_i32 s5, s4, s2
	s_mul_i32 s4, s12, s8
	s_lshl_b64 s[4:5], s[4:5], 2
	s_delay_alu instid0(SALU_CYCLE_1)
	s_add_u32 s16, s6, s4
	s_addc_u32 s17, s7, s5
.LBB78_4:
	s_load_b128 s[4:7], s[0:1], 0x60
	s_waitcnt lgkmcnt(0)
	v_cmp_eq_f32_e64 s2, s13, 0
	s_delay_alu instid0(VALU_DEP_1) | instskip(NEXT) | instid1(SALU_CYCLE_1)
	s_and_b32 s2, exec_lo, s2
	s_mov_b32 vcc_lo, s2
	s_cbranch_vccnz .LBB78_6
; %bb.5:
	s_mul_i32 s5, s12, s5
	s_mul_hi_u32 s8, s12, s4
	s_mul_i32 s4, s12, s4
	s_add_i32 s5, s8, s5
	s_delay_alu instid0(SALU_CYCLE_1) | instskip(NEXT) | instid1(SALU_CYCLE_1)
	s_lshl_b64 s[4:5], s[4:5], 2
	s_add_u32 s4, s20, s4
	s_addc_u32 s5, s21, s5
	s_branch .LBB78_7
.LBB78_6:
	s_mov_b64 s[4:5], 0
.LBB78_7:
	s_clause 0x1
	s_load_b32 s9, s[0:1], 0x0
	s_load_b32 s8, s[0:1], 0x20
	v_and_b32_e32 v52, 0x3ff, v0
	v_bfe_u32 v53, v0, 10, 10
	s_delay_alu instid0(VALU_DEP_1) | instskip(NEXT) | instid1(VALU_DEP_1)
	v_lshl_add_u32 v4, v53, 3, v52
	v_and_b32_e32 v3, 63, v4
	v_lshrrev_b32_e32 v2, 6, v4
	s_waitcnt lgkmcnt(0)
	s_add_i32 s9, s9, -1
	s_delay_alu instid0(SALU_CYCLE_1) | instskip(NEXT) | instid1(SALU_CYCLE_1)
	s_ashr_i32 s18, s9, 31
	s_lshr_b32 s18, s18, 26
	s_delay_alu instid0(SALU_CYCLE_1) | instskip(NEXT) | instid1(SALU_CYCLE_1)
	s_add_i32 s9, s9, s18
	s_ashr_i32 s9, s9, 6
	s_delay_alu instid0(SALU_CYCLE_1) | instskip(SKIP_2) | instid1(VALU_DEP_1)
	s_add_i32 s18, s9, 1
	s_not_b32 s9, s9
	v_cvt_f32_u32_e32 v1, s18
	v_rcp_iflag_f32_e32 v1, v1
	s_waitcnt_depctr 0xfff
	v_mul_f32_e32 v1, 0x4f7ffffe, v1
	s_delay_alu instid0(VALU_DEP_1) | instskip(NEXT) | instid1(VALU_DEP_1)
	v_cvt_u32_f32_e32 v1, v1
	v_readfirstlane_b32 s19, v1
	s_delay_alu instid0(VALU_DEP_1) | instskip(NEXT) | instid1(SALU_CYCLE_1)
	s_mul_i32 s9, s9, s19
	s_mul_hi_u32 s9, s19, s9
	s_delay_alu instid0(SALU_CYCLE_1) | instskip(SKIP_2) | instid1(SALU_CYCLE_1)
	s_add_i32 s19, s19, s9
	s_ashr_i32 s9, s8, 31
	s_mul_hi_u32 s19, s14, s19
	s_mul_i32 s20, s19, s18
	s_add_i32 s21, s19, 1
	s_sub_i32 s20, s14, s20
	s_delay_alu instid0(SALU_CYCLE_1)
	s_sub_i32 s22, s20, s18
	s_cmp_ge_u32 s20, s18
	s_cselect_b32 s19, s21, s19
	s_cselect_b32 s20, s22, s20
	s_add_i32 s21, s19, 1
	s_cmp_ge_u32 s20, s18
	s_cselect_b32 s19, s21, s19
	s_and_b32 vcc_lo, exec_lo, s3
	s_mul_i32 s20, s19, s18
	s_delay_alu instid0(SALU_CYCLE_1) | instskip(NEXT) | instid1(SALU_CYCLE_1)
	s_sub_i32 s18, s14, s20
	s_lshl_b32 s18, s18, 6
	s_delay_alu instid0(SALU_CYCLE_1) | instskip(NEXT) | instid1(VALU_DEP_1)
	v_or_b32_e32 v0, s18, v3
	v_ashrrev_i32_e32 v1, 31, v0
	s_cbranch_vccnz .LBB78_9
; %bb.8:
	v_mad_i64_i32 v[5:6], null, s8, v2, 0
	s_delay_alu instid0(VALU_DEP_2) | instskip(NEXT) | instid1(VALU_DEP_2)
	v_lshlrev_b64 v[7:8], 2, v[0:1]
	v_lshlrev_b64 v[5:6], 2, v[5:6]
	s_delay_alu instid0(VALU_DEP_1) | instskip(NEXT) | instid1(VALU_DEP_2)
	v_add_co_u32 v5, vcc_lo, s10, v5
	v_add_co_ci_u32_e32 v6, vcc_lo, s11, v6, vcc_lo
	s_delay_alu instid0(VALU_DEP_2) | instskip(NEXT) | instid1(VALU_DEP_2)
	v_add_co_u32 v5, vcc_lo, v5, v7
	v_add_co_ci_u32_e32 v6, vcc_lo, v6, v8, vcc_lo
	flat_load_b32 v5, v[5:6]
	s_waitcnt vmcnt(0) lgkmcnt(0)
	v_mul_f32_e32 v8, s15, v5
	s_branch .LBB78_10
.LBB78_9:
	v_mov_b32_e32 v8, 0
.LBB78_10:
	s_load_b32 s21, s[0:1], 0x38
	v_lshrrev_b32_e32 v9, 2, v4
	s_lshl_b32 s19, s19, 7
	v_and_b32_e32 v5, 3, v52
	s_and_b32 vcc_lo, exec_lo, s3
	s_delay_alu instid0(VALU_DEP_2) | instskip(NEXT) | instid1(VALU_DEP_2)
	v_add_nc_u32_e32 v4, s19, v9
	v_lshlrev_b32_e32 v58, 2, v5
	s_delay_alu instid0(VALU_DEP_2)
	v_add_nc_u32_e32 v5, 64, v4
	s_cbranch_vccnz .LBB78_14
; %bb.11:
	s_waitcnt lgkmcnt(0)
	v_mad_i64_i32 v[6:7], null, v4, s21, 0
	s_delay_alu instid0(VALU_DEP_2) | instskip(SKIP_1) | instid1(VALU_DEP_1)
	v_mad_i64_i32 v[10:11], null, v5, s21, 0
	v_add_co_u32 v12, s22, s16, v58
	v_add_co_ci_u32_e64 v13, null, s17, 0, s22
	s_delay_alu instid0(VALU_DEP_4) | instskip(NEXT) | instid1(VALU_DEP_4)
	v_lshlrev_b64 v[6:7], 2, v[6:7]
	v_lshlrev_b64 v[10:11], 2, v[10:11]
	s_delay_alu instid0(VALU_DEP_2) | instskip(NEXT) | instid1(VALU_DEP_3)
	v_add_co_u32 v6, vcc_lo, v12, v6
	v_add_co_ci_u32_e32 v7, vcc_lo, v13, v7, vcc_lo
	s_delay_alu instid0(VALU_DEP_3) | instskip(NEXT) | instid1(VALU_DEP_4)
	v_add_co_u32 v10, vcc_lo, v12, v10
	v_add_co_ci_u32_e32 v11, vcc_lo, v13, v11, vcc_lo
	s_clause 0x1
	flat_load_b32 v6, v[6:7]
	flat_load_b32 v7, v[10:11]
	s_waitcnt vmcnt(0) lgkmcnt(0)
	v_dual_mul_f32 v10, s15, v6 :: v_dual_mul_f32 v11, s15, v7
	s_and_b32 vcc_lo, exec_lo, s3
	s_cbranch_vccnz .LBB78_15
.LBB78_12:
	v_add_nc_u32_e32 v12, 4, v2
	v_lshlrev_b64 v[0:1], 2, v[0:1]
	s_delay_alu instid0(VALU_DEP_2) | instskip(NEXT) | instid1(VALU_DEP_1)
	v_mad_i64_i32 v[6:7], null, s8, v12, 0
	v_lshlrev_b64 v[6:7], 2, v[6:7]
	s_delay_alu instid0(VALU_DEP_1) | instskip(NEXT) | instid1(VALU_DEP_2)
	v_add_co_u32 v6, vcc_lo, s10, v6
	v_add_co_ci_u32_e32 v7, vcc_lo, s11, v7, vcc_lo
	s_delay_alu instid0(VALU_DEP_2) | instskip(NEXT) | instid1(VALU_DEP_2)
	v_add_co_u32 v0, vcc_lo, v6, v0
	v_add_co_ci_u32_e32 v1, vcc_lo, v7, v1, vcc_lo
	flat_load_b32 v0, v[0:1]
	s_waitcnt vmcnt(0) lgkmcnt(0)
	v_mul_f32_e32 v0, s15, v0
	s_and_b32 vcc_lo, exec_lo, s3
	s_cbranch_vccnz .LBB78_16
.LBB78_13:
	s_waitcnt lgkmcnt(0)
	v_mad_i64_i32 v[6:7], null, v4, s21, 0
	v_mad_i64_i32 v[12:13], null, v5, s21, 0
	v_add_co_u32 v1, s22, s16, v58
	s_delay_alu instid0(VALU_DEP_1) | instskip(NEXT) | instid1(VALU_DEP_4)
	v_add_co_ci_u32_e64 v14, null, s17, 0, s22
	v_lshlrev_b64 v[6:7], 2, v[6:7]
	s_delay_alu instid0(VALU_DEP_4) | instskip(NEXT) | instid1(VALU_DEP_2)
	v_lshlrev_b64 v[12:13], 2, v[12:13]
	v_add_co_u32 v6, vcc_lo, v1, v6
	s_delay_alu instid0(VALU_DEP_3) | instskip(NEXT) | instid1(VALU_DEP_3)
	v_add_co_ci_u32_e32 v7, vcc_lo, v14, v7, vcc_lo
	v_add_co_u32 v12, vcc_lo, v1, v12
	s_delay_alu instid0(VALU_DEP_4)
	v_add_co_ci_u32_e32 v13, vcc_lo, v14, v13, vcc_lo
	s_clause 0x1
	flat_load_b32 v1, v[6:7] offset:16
	flat_load_b32 v7, v[12:13] offset:16
	s_waitcnt vmcnt(0) lgkmcnt(0)
	v_dual_mul_f32 v6, s15, v1 :: v_dual_mul_f32 v7, s15, v7
	s_branch .LBB78_17
.LBB78_14:
	v_dual_mov_b32 v10, 0 :: v_dual_mov_b32 v11, 0
	s_and_b32 vcc_lo, exec_lo, s3
	s_cbranch_vccz .LBB78_12
.LBB78_15:
	v_mov_b32_e32 v0, 0
	s_and_b32 vcc_lo, exec_lo, s3
	s_cbranch_vccz .LBB78_13
.LBB78_16:
	v_dual_mov_b32 v6, 0 :: v_dual_mov_b32 v7, 0
.LBB78_17:
	v_lshlrev_b32_e32 v1, 4, v3
	v_lshl_or_b32 v70, v9, 4, v58
	v_lshlrev_b32_e32 v54, 4, v53
	v_lshlrev_b32_e32 v55, 4, v52
	s_load_b32 s22, s[0:1], 0x8
	v_lshl_add_u32 v1, v2, 2, v1
	ds_store_2addr_stride64_b32 v70, v10, v11 offset1:4
	ds_store_b32 v1, v8 offset:4096
	s_waitcnt lgkmcnt(0)
	s_barrier
	buffer_gl0_inv
	ds_load_b128 v[8:11], v54
	ds_load_b128 v[12:15], v55 offset:4096
	ds_load_b128 v[16:19], v55 offset:4224
	;; [unrolled: 1-line block ×11, first 2 shown]
	ds_store_b32 v1, v0 offset:5120
	ds_store_2addr_stride64_b32 v70, v6, v7 offset0:8 offset1:12
	s_waitcnt lgkmcnt(0)
	s_barrier
	buffer_gl0_inv
	v_max_f32_e32 v8, v8, v8
	v_dual_max_f32 v12, v12, v12 :: v_dual_max_f32 v9, v9, v9
	v_dual_max_f32 v13, v13, v13 :: v_dual_max_f32 v16, v16, v16
	;; [unrolled: 1-line block ×7, first 2 shown]
	v_dual_min_f32 v56, v12, v8 :: v_dual_min_f32 v57, v13, v9
	v_dual_min_f32 v63, v16, v8 :: v_dual_min_f32 v64, v17, v9
	;; [unrolled: 1-line block ×3, first 2 shown]
	v_dual_min_f32 v69, v28, v8 :: v_dual_max_f32 v10, v10, v10
	v_dual_min_f32 v71, v29, v9 :: v_dual_max_f32 v36, v36, v36
	v_dual_max_f32 v33, v33, v33 :: v_dual_max_f32 v40, v40, v40
	v_dual_max_f32 v37, v37, v37 :: v_dual_min_f32 v72, v32, v8
	v_dual_max_f32 v11, v11, v11 :: v_dual_max_f32 v44, v44, v44
	v_dual_max_f32 v41, v41, v41 :: v_dual_max_f32 v14, v14, v14
	v_max_f32_e32 v15, v15, v15
	v_dual_max_f32 v19, v19, v19 :: v_dual_max_f32 v22, v22, v22
	v_dual_max_f32 v23, v23, v23 :: v_dual_max_f32 v26, v26, v26
	v_dual_min_f32 v83, v25, v45 :: v_dual_max_f32 v48, v48, v48
	v_max_f32_e32 v49, v49, v49
	v_dual_max_f32 v51, v51, v51 :: v_dual_max_f32 v60, v60, v60
	v_dual_max_f32 v59, v59, v59 :: v_dual_max_f32 v62, v62, v62
	v_dual_min_f32 v67, v24, v8 :: v_dual_min_f32 v68, v25, v9
	v_dual_min_f32 v73, v33, v9 :: v_dual_min_f32 v74, v36, v8
	;; [unrolled: 1-line block ×6, first 2 shown]
	v_dual_min_f32 v82, v24, v44 :: v_dual_max_f32 v27, v27, v27
	v_dual_max_f32 v30, v30, v30 :: v_dual_min_f32 v81, v21, v45
	v_dual_min_f32 v84, v28, v44 :: v_dual_max_f32 v31, v31, v31
	v_dual_max_f32 v34, v34, v34 :: v_dual_min_f32 v85, v32, v44
	v_dual_max_f32 v42, v42, v42 :: v_dual_max_f32 v39, v39, v39
	v_min_f32_e32 v86, v36, v44
	v_dual_min_f32 v44, v40, v44 :: v_dual_max_f32 v43, v43, v43
	v_dual_min_f32 v87, v12, v48 :: v_dual_max_f32 v46, v46, v46
	;; [unrolled: 1-line block ×3, first 2 shown]
	v_min_f32_e32 v124, v24, v48
	v_dual_min_f32 v123, v20, v48 :: v_dual_max_f32 v50, v50, v50
	v_dual_max_f32 v61, v61, v61 :: v_dual_min_f32 v126, v32, v48
	v_dual_min_f32 v125, v28, v48 :: v_dual_min_f32 v88, v33, v45
	v_dual_min_f32 v127, v36, v48 :: v_dual_min_f32 v90, v13, v49
	v_min_f32_e32 v48, v40, v48
	v_dual_min_f32 v12, v12, v59 :: v_dual_min_f32 v89, v37, v45
	v_min_f32_e32 v16, v16, v59
	v_dual_min_f32 v20, v20, v59 :: v_dual_min_f32 v91, v17, v49
	v_dual_min_f32 v24, v24, v59 :: v_dual_min_f32 v129, v25, v49
	;; [unrolled: 1-line block ×3, first 2 shown]
	v_min_f32_e32 v32, v32, v59
	v_dual_min_f32 v36, v36, v59 :: v_dual_min_f32 v13, v13, v60
	v_dual_min_f32 v40, v40, v59 :: v_dual_min_f32 v17, v17, v60
	v_min_f32_e32 v59, v29, v45
	v_min_f32_e32 v45, v41, v45
	v_dual_min_f32 v128, v21, v49 :: v_dual_min_f32 v93, v19, v11
	v_dual_min_f32 v130, v29, v49 :: v_dual_add_f32 v63, 0, v63
	v_dual_min_f32 v132, v37, v49 :: v_dual_min_f32 v95, v23, v11
	v_min_f32_e32 v49, v41, v49
	v_min_f32_e32 v21, v21, v60
	v_dual_min_f32 v25, v25, v60 :: v_dual_min_f32 v92, v14, v10
	v_dual_min_f32 v29, v29, v60 :: v_dual_min_f32 v94, v18, v10
	v_dual_min_f32 v33, v33, v60 :: v_dual_add_f32 v66, 0, v66
	v_min_f32_e32 v41, v41, v60
	v_dual_add_f32 v57, 0, v57 :: v_dual_add_f32 v56, 0, v56
	v_dual_min_f32 v37, v37, v60 :: v_dual_min_f32 v60, v15, v11
	v_dual_add_f32 v64, 0, v64 :: v_dual_add_f32 v119, v94, v63
	v_dual_max_f32 v35, v35, v35 :: v_dual_max_f32 v38, v38, v38
	s_delay_alu instid0(VALU_DEP_3) | instskip(SKIP_1) | instid1(VALU_DEP_4)
	v_add_f32_e32 v120, v60, v57
	v_dual_add_f32 v121, v92, v56 :: v_dual_add_f32 v56, 0, v65
	v_dual_add_f32 v118, v93, v64 :: v_dual_min_f32 v57, v22, v10
	v_add_f32_e32 v116, v95, v66
	v_dual_add_f32 v60, 0, v68 :: v_dual_min_f32 v63, v27, v11
	v_dual_add_f32 v64, 0, v67 :: v_dual_min_f32 v65, v26, v10
	v_add_f32_e32 v66, 0, v71
	v_dual_min_f32 v67, v31, v11 :: v_dual_add_f32 v68, 0, v69
	v_min_f32_e32 v69, v30, v10
	v_add_f32_e32 v117, v57, v56
	v_dual_add_f32 v115, v65, v64 :: v_dual_add_f32 v56, 0, v73
	s_delay_alu instid0(VALU_DEP_3)
	v_dual_add_f32 v112, v67, v66 :: v_dual_add_f32 v113, v69, v68
	v_add_f32_e32 v64, 0, v75
	v_min_f32_e32 v57, v35, v11
	v_dual_min_f32 v65, v39, v11 :: v_dual_add_f32 v66, 0, v74
	v_add_f32_e32 v9, 0, v9
	v_dual_min_f32 v11, v43, v11 :: v_dual_add_f32 v8, 0, v8
	v_dual_add_f32 v114, v63, v60 :: v_dual_min_f32 v63, v34, v10
	v_dual_add_f32 v60, 0, v72 :: v_dual_min_f32 v67, v38, v10
	v_add_f32_e32 v110, v57, v56
	v_add_f32_e32 v108, v65, v64
	v_dual_add_f32 v106, v11, v9 :: v_dual_min_f32 v9, v42, v10
	s_delay_alu instid0(VALU_DEP_4) | instskip(SKIP_4) | instid1(VALU_DEP_3)
	v_dual_add_f32 v111, v63, v60 :: v_dual_add_f32 v10, 0, v77
	v_dual_add_f32 v109, v67, v66 :: v_dual_add_f32 v56, 0, v76
	v_dual_min_f32 v11, v15, v47 :: v_dual_add_f32 v64, 0, v78
	v_dual_min_f32 v57, v14, v46 :: v_dual_add_f32 v60, 0, v79
	v_min_f32_e32 v63, v19, v47
	v_dual_add_f32 v107, v9, v8 :: v_dual_add_f32 v104, v11, v10
	v_dual_add_f32 v8, 0, v81 :: v_dual_min_f32 v65, v18, v46
	s_delay_alu instid0(VALU_DEP_3) | instskip(SKIP_2) | instid1(VALU_DEP_4)
	v_add_f32_e32 v102, v63, v60
	v_dual_min_f32 v9, v23, v47 :: v_dual_add_f32 v10, 0, v80
	v_dual_add_f32 v105, v57, v56 :: v_dual_add_f32 v56, 0, v83
	v_dual_add_f32 v103, v65, v64 :: v_dual_add_f32 v60, 0, v82
	v_dual_min_f32 v11, v22, v46 :: v_dual_min_f32 v64, v31, v47
	s_delay_alu instid0(VALU_DEP_4) | instskip(SKIP_2) | instid1(VALU_DEP_4)
	v_dual_min_f32 v57, v27, v47 :: v_dual_add_f32 v100, v9, v8
	v_dual_add_f32 v59, 0, v59 :: v_dual_add_f32 v8, 0, v84
	v_min_f32_e32 v63, v26, v46
	v_dual_add_f32 v101, v11, v10 :: v_dual_add_f32 v10, 0, v88
	s_delay_alu instid0(VALU_DEP_3) | instskip(NEXT) | instid1(VALU_DEP_3)
	v_dual_add_f32 v96, v64, v59 :: v_dual_min_f32 v9, v30, v46
	v_dual_add_f32 v99, v63, v60 :: v_dual_min_f32 v64, v38, v46
	v_min_f32_e32 v60, v39, v47
	s_delay_alu instid0(VALU_DEP_3) | instskip(SKIP_1) | instid1(VALU_DEP_2)
	v_dual_min_f32 v11, v35, v47 :: v_dual_add_f32 v98, v9, v8
	v_dual_add_f32 v97, v57, v56 :: v_dual_add_f32 v56, 0, v85
	v_dual_add_f32 v59, 0, v89 :: v_dual_add_f32 v94, v11, v10
	v_min_f32_e32 v57, v34, v46
	v_dual_add_f32 v63, 0, v86 :: v_dual_add_f32 v8, 0, v45
	s_delay_alu instid0(VALU_DEP_3) | instskip(SKIP_1) | instid1(VALU_DEP_4)
	v_add_f32_e32 v92, v60, v59
	v_add_f32_e32 v10, 0, v44
	v_dual_add_f32 v95, v57, v56 :: v_dual_add_f32 v44, 0, v90
	s_delay_alu instid0(VALU_DEP_4) | instskip(SKIP_4) | instid1(VALU_DEP_3)
	v_add_f32_e32 v93, v64, v63
	v_dual_min_f32 v11, v42, v46 :: v_dual_add_f32 v46, 0, v87
	v_min_f32_e32 v45, v15, v51
	v_min_f32_e32 v9, v43, v47
	v_dual_min_f32 v47, v14, v50 :: v_dual_add_f32 v56, 0, v91
	v_dual_min_f32 v57, v19, v51 :: v_dual_add_f32 v88, v45, v44
	s_delay_alu instid0(VALU_DEP_3) | instskip(SKIP_1) | instid1(VALU_DEP_3)
	v_add_f32_e32 v90, v9, v8
	v_add_f32_e32 v8, 0, v122
	v_dual_add_f32 v91, v11, v10 :: v_dual_add_f32 v86, v57, v56
	v_dual_add_f32 v89, v47, v46 :: v_dual_add_f32 v10, 0, v128
	v_dual_min_f32 v9, v18, v50 :: v_dual_add_f32 v44, 0, v123
	v_dual_min_f32 v11, v23, v51 :: v_dual_add_f32 v46, 0, v129
	;; [unrolled: 1-line block ×3, first 2 shown]
	v_min_f32_e32 v47, v27, v51
	v_min_f32_e32 v57, v26, v50
	s_delay_alu instid0(VALU_DEP_4) | instskip(SKIP_1) | instid1(VALU_DEP_3)
	v_dual_add_f32 v87, v9, v8 :: v_dual_add_f32 v84, v11, v10
	v_dual_add_f32 v10, 0, v125 :: v_dual_min_f32 v11, v30, v50
	v_dual_add_f32 v83, v57, v56 :: v_dual_add_f32 v8, 0, v130
	v_dual_add_f32 v85, v45, v44 :: v_dual_add_f32 v82, v47, v46
	v_dual_min_f32 v9, v31, v51 :: v_dual_add_f32 v46, 0, v126
	v_add_f32_e32 v44, 0, v131
	v_dual_min_f32 v45, v35, v51 :: v_dual_add_f32 v56, 0, v132
	s_delay_alu instid0(VALU_DEP_3) | instskip(SKIP_2) | instid1(VALU_DEP_3)
	v_dual_add_f32 v80, v9, v8 :: v_dual_min_f32 v57, v39, v51
	v_dual_add_f32 v81, v11, v10 :: v_dual_add_f32 v8, 0, v127
	v_dual_add_f32 v10, 0, v49 :: v_dual_min_f32 v47, v34, v50
	v_add_f32_e32 v76, v57, v56
	v_dual_add_f32 v77, v45, v44 :: v_dual_min_f32 v14, v14, v61
	v_dual_min_f32 v9, v38, v50 :: v_dual_add_f32 v12, 0, v12
	s_delay_alu instid0(VALU_DEP_4) | instskip(NEXT) | instid1(VALU_DEP_2)
	v_dual_add_f32 v79, v47, v46 :: v_dual_add_f32 v44, 0, v48
	v_dual_min_f32 v11, v43, v51 :: v_dual_add_f32 v78, v9, v8
	v_dual_min_f32 v45, v42, v50 :: v_dual_add_f32 v8, 0, v16
	s_delay_alu instid0(VALU_DEP_2) | instskip(SKIP_1) | instid1(VALU_DEP_3)
	v_dual_add_f32 v13, 0, v13 :: v_dual_add_f32 v74, v11, v10
	v_dual_min_f32 v15, v15, v62 :: v_dual_add_f32 v10, 0, v20
	v_dual_add_f32 v75, v45, v44 :: v_dual_min_f32 v18, v18, v61
	v_add_f32_e32 v9, 0, v17
	v_dual_min_f32 v19, v19, v62 :: v_dual_min_f32 v22, v22, v61
	s_delay_alu instid0(VALU_DEP_4)
	v_add_f32_e32 v69, v15, v13
	v_dual_add_f32 v11, 0, v21 :: v_dual_add_f32 v16, 0, v32
	v_dual_add_f32 v13, 0, v25 :: v_dual_add_f32 v20, 0, v36
	v_add_f32_e32 v15, 0, v29
	v_dual_add_f32 v17, 0, v33 :: v_dual_add_f32 v72, v18, v8
	v_dual_add_f32 v21, 0, v37 :: v_dual_min_f32 v8, v27, v62
	v_min_f32_e32 v23, v23, v62
	v_add_f32_e32 v73, v14, v12
	v_dual_add_f32 v14, 0, v28 :: v_dual_add_f32 v25, 0, v41
	v_dual_add_f32 v68, v22, v10 :: v_dual_add_f32 v71, v19, v9
	v_dual_min_f32 v9, v26, v61 :: v_dual_min_f32 v10, v31, v62
	v_add_f32_e32 v12, 0, v24
	v_add_f32_e32 v24, 0, v40
	s_cmp_lt_i32 s22, 9
	s_delay_alu instid0(VALU_DEP_3) | instskip(SKIP_4) | instid1(VALU_DEP_3)
	v_add_f32_e32 v63, v10, v15
	v_min_f32_e32 v10, v38, v61
	v_dual_add_f32 v66, v23, v11 :: v_dual_min_f32 v11, v30, v61
	v_dual_add_f32 v65, v8, v13 :: v_dual_min_f32 v8, v35, v62
	v_add_f32_e32 v67, v9, v12
	v_dual_min_f32 v9, v34, v61 :: v_dual_add_f32 v64, v11, v14
	v_dual_min_f32 v11, v43, v62 :: v_dual_min_f32 v12, v42, v61
	s_delay_alu instid0(VALU_DEP_4) | instskip(SKIP_1) | instid1(VALU_DEP_4)
	v_dual_add_f32 v59, v8, v17 :: v_dual_add_f32 v60, v10, v20
	v_min_f32_e32 v8, v39, v62
	v_add_f32_e32 v62, v9, v16
	s_delay_alu instid0(VALU_DEP_4) | instskip(NEXT) | instid1(VALU_DEP_3)
	v_dual_add_f32 v56, v11, v25 :: v_dual_add_f32 v57, v12, v24
	v_add_f32_e32 v61, v8, v21
	s_cbranch_scc1 .LBB78_31
; %bb.18:
	v_mad_i64_i32 v[6:7], null, s21, v5, 0
	v_lshl_or_b32 v5, s14, 6, v3
	s_lshl_b32 s14, s20, 6
	v_or_b32_e32 v122, 0x1000, v1
	v_add_nc_u32_e32 v124, 0x1400, v1
	v_mad_i64_i32 v[0:1], null, s21, v4, 0
	v_lshlrev_b64 v[3:4], 2, v[6:7]
	v_add_nc_u32_e32 v6, 8, v2
	v_subrev_nc_u32_e32 v5, s14, v5
	v_add_nc_u32_e32 v2, 12, v2
	v_add_nc_u32_e32 v123, 0x1000, v55
	;; [unrolled: 1-line block ×3, first 2 shown]
	v_mad_i64_i32 v[7:8], null, v6, s8, 0
	v_ashrrev_i32_e32 v6, 31, v5
	v_lshlrev_b64 v[0:1], 2, v[0:1]
	v_mad_i64_i32 v[9:10], null, v2, s8, 0
	v_add_co_u32 v128, vcc_lo, s16, v3
	s_delay_alu instid0(VALU_DEP_4) | instskip(SKIP_3) | instid1(VALU_DEP_4)
	v_lshlrev_b64 v[2:3], 2, v[5:6]
	v_add_co_ci_u32_e32 v129, vcc_lo, s17, v4, vcc_lo
	v_add_co_u32 v130, vcc_lo, s16, v0
	v_add_co_ci_u32_e32 v131, vcc_lo, s17, v1, vcc_lo
	v_add_co_u32 v132, vcc_lo, s10, v2
	v_lshlrev_b64 v[48:49], 2, v[7:8]
	v_lshlrev_b64 v[50:51], 2, v[9:10]
	v_lshl_add_u32 v126, v52, 4, 0x1400
	v_lshl_add_u32 v127, v53, 4, 0x800
	v_add_co_ci_u32_e32 v133, vcc_lo, s11, v3, vcc_lo
	s_add_i32 s10, s22, -8
	s_lshl_b64 s[8:9], s[8:9], 5
	s_mov_b32 s11, 0
	s_branch .LBB78_21
.LBB78_19:                              ;   in Loop: Header=BB78_21 Depth=1
	v_add_co_u32 v0, vcc_lo, v130, v58
	v_add_co_ci_u32_e32 v1, vcc_lo, 0, v131, vcc_lo
	v_add_co_u32 v217, vcc_lo, v128, v58
	v_add_co_ci_u32_e32 v218, vcc_lo, 0, v129, vcc_lo
	flat_load_b32 v0, v[0:1] offset:48
	flat_load_b32 v1, v[217:218] offset:48
	s_waitcnt vmcnt(0) lgkmcnt(0)
	v_dual_mul_f32 v0, s15, v0 :: v_dual_mul_f32 v1, s15, v1
.LBB78_20:                              ;   in Loop: Header=BB78_21 Depth=1
	v_dual_add_f32 v40, v40, v120 :: v_dual_add_f32 v29, v29, v117
	v_dual_add_f32 v28, v28, v118 :: v_dual_add_f32 v33, v33, v115
	;; [unrolled: 1-line block ×11, first 2 shown]
	s_delay_alu instid0(VALU_DEP_4)
	v_dual_add_f32 v91, v34, v28 :: v_dual_add_f32 v114, v188, v17
	v_dual_add_f32 v102, v35, v32 :: v_dual_add_f32 v103, v30, v29
	;; [unrolled: 1-line block ×5, first 2 shown]
	ds_load_b128 v[20:23], v54
	ds_load_b128 v[28:31], v123
	v_dual_add_f32 v59, v172, v59 :: v_dual_add_f32 v46, v46, v56
	v_dual_add_f32 v69, v162, v69 :: v_dual_add_f32 v68, v165, v68
	v_dual_add_f32 v67, v167, v67 :: v_dual_add_f32 v64, v169, v64
	v_dual_add_f32 v101, v135, v101 :: v_dual_add_f32 v100, v136, v100
	v_dual_add_f32 v95, v141, v95 :: v_dual_add_f32 v94, v142, v94
	v_dual_add_f32 v93, v143, v93 :: v_dual_add_f32 v4, v4, v92
	v_dual_add_f32 v79, v155, v79 :: v_dual_add_f32 v78, v157, v78
	v_dual_add_f32 v73, v161, v73 :: v_dual_add_f32 v72, v163, v72
	v_dual_add_f32 v71, v164, v71 :: v_dual_add_f32 v66, v166, v66
	v_dual_add_f32 v65, v168, v65 :: v_dual_add_f32 v62, v171, v62
	v_dual_add_f32 v61, v174, v61 :: v_dual_add_f32 v56, v47, v40
	s_waitcnt lgkmcnt(1)
	v_dual_add_f32 v136, v19, v46 :: v_dual_max_f32 v21, v21, v21
	s_waitcnt lgkmcnt(0)
	v_max_f32_e32 v29, v29, v29
	v_dual_add_f32 v97, v138, v97 :: v_dual_add_f32 v96, v140, v96
	v_add_f32_e32 v113, v178, v9
	v_dual_add_f32 v69, v215, v69 :: v_dual_add_f32 v68, v10, v68
	v_dual_add_f32 v67, v11, v67 :: v_dual_max_f32 v20, v20, v20
	ds_load_b128 v[8:11], v123 offset:128
	v_dual_add_f32 v36, v36, v121 :: v_dual_add_f32 v41, v41, v119
	v_dual_add_f32 v87, v147, v87 :: v_dual_add_f32 v86, v148, v86
	;; [unrolled: 1-line block ×5, first 2 shown]
	s_delay_alu instid0(VALU_DEP_4)
	v_dual_add_f32 v119, v194, v5 :: v_dual_add_f32 v86, v205, v86
	v_dual_add_f32 v79, v200, v79 :: v_dual_add_f32 v66, v26, v66
	;; [unrolled: 1-line block ×4, first 2 shown]
	s_waitcnt lgkmcnt(0)
	v_dual_add_f32 v121, v3, v62 :: v_dual_max_f32 v8, v8, v8
	v_dual_add_f32 v7, v7, v43 :: v_dual_min_f32 v138, v29, v21
	v_add_f32_e32 v135, v15, v61
	ds_load_b128 v[2:5], v123 offset:256
	ds_load_b128 v[12:15], v123 offset:384
	;; [unrolled: 1-line block ×5, first 2 shown]
	v_dual_add_f32 v63, v170, v63 :: v_dual_add_f32 v60, v173, v60
	v_dual_add_f32 v57, v38, v36 :: v_dual_add_f32 v104, v39, v37
	;; [unrolled: 1-line block ×3, first 2 shown]
	ds_load_b128 v[36:39], v123 offset:768
	ds_load_b128 v[40:43], v123 offset:896
	v_dual_add_f32 v63, v175, v63 :: v_dual_max_f32 v28, v28, v28
	v_dual_add_f32 v99, v137, v99 :: v_dual_add_f32 v98, v139, v98
	v_min_f32_e32 v139, v8, v20
	v_dual_max_f32 v9, v9, v9 :: v_dual_add_f32 v56, v138, v56
	v_dual_add_f32 v71, v216, v71 :: v_dual_add_f32 v6, v6, v60
	s_waitcnt lgkmcnt(6)
	v_dual_max_f32 v2, v2, v2 :: v_dual_max_f32 v3, v3, v3
	s_waitcnt lgkmcnt(3)
	v_dual_max_f32 v13, v13, v13 :: v_dual_max_f32 v24, v24, v24
	v_min_f32_e32 v137, v28, v20
	s_delay_alu instid0(VALU_DEP_3)
	v_min_f32_e32 v138, v2, v20
	v_add_f32_e32 v92, v139, v92
	v_dual_max_f32 v12, v12, v12 :: v_dual_max_f32 v17, v17, v17
	ds_load_b128 v[44:47], v54 offset:1024
	ds_load_b128 v[59:62], v54 offset:1536
	v_dual_add_f32 v103, v138, v103 :: v_dual_min_f32 v138, v13, v21
	v_add_f32_e32 v57, v137, v57
	v_dual_min_f32 v137, v9, v21 :: v_dual_max_f32 v16, v16, v16
	v_min_f32_e32 v139, v12, v20
	s_delay_alu instid0(VALU_DEP_4) | instskip(SKIP_1) | instid1(VALU_DEP_4)
	v_add_f32_e32 v104, v138, v104
	v_min_f32_e32 v138, v17, v21
	v_add_f32_e32 v91, v137, v91
	s_waitcnt lgkmcnt(3)
	v_dual_min_f32 v137, v3, v21 :: v_dual_max_f32 v36, v36, v36
	v_dual_add_f32 v101, v181, v101 :: v_dual_add_f32 v98, v183, v98
	v_dual_add_f32 v105, v139, v105 :: v_dual_add_f32 v106, v138, v106
	s_delay_alu instid0(VALU_DEP_3)
	v_add_f32_e32 v102, v137, v102
	s_waitcnt lgkmcnt(2)
	v_dual_max_f32 v25, v25, v25 :: v_dual_max_f32 v40, v40, v40
	v_min_f32_e32 v138, v36, v20
	v_min_f32_e32 v137, v16, v20
	v_max_f32_e32 v33, v33, v33
	s_delay_alu instid0(VALU_DEP_4) | instskip(NEXT) | instid1(VALU_DEP_4)
	v_dual_min_f32 v139, v25, v21 :: v_dual_max_f32 v32, v32, v32
	v_add_f32_e32 v138, v138, v111
	s_delay_alu instid0(VALU_DEP_4)
	v_add_f32_e32 v107, v137, v107
	s_waitcnt lgkmcnt(1)
	v_dual_min_f32 v111, v29, v33 :: v_dual_max_f32 v44, v44, v44
	v_min_f32_e32 v137, v24, v20
	v_max_f32_e32 v37, v37, v37
	v_dual_max_f32 v41, v41, v41 :: v_dual_min_f32 v20, v40, v20
	v_add_f32_e32 v108, v139, v108
	v_dual_add_f32 v140, v111, v114 :: v_dual_min_f32 v111, v2, v32
	v_dual_add_f32 v97, v191, v97 :: v_dual_add_f32 v94, v193, v94
	v_dual_add_f32 v96, v192, v96 :: v_dual_add_f32 v109, v137, v109
	v_min_f32_e32 v137, v37, v21
	v_min_f32_e32 v21, v41, v21
	v_add_f32_e32 v101, v111, v101
	v_max_f32_e32 v45, v45, v45
	v_min_f32_e32 v111, v16, v32
	v_add_f32_e32 v20, v20, v113
	v_dual_add_f32 v89, v145, v89 :: v_dual_add_f32 v88, v146, v88
	v_dual_add_f32 v85, v149, v85 :: v_dual_add_f32 v84, v150, v84
	s_delay_alu instid0(VALU_DEP_4) | instskip(SKIP_3) | instid1(VALU_DEP_3)
	v_dual_add_f32 v98, v111, v98 :: v_dual_add_f32 v21, v21, v112
	v_dual_min_f32 v112, v3, v33 :: v_dual_min_f32 v113, v8, v32
	v_dual_add_f32 v99, v182, v99 :: v_dual_add_f32 v90, v203, v90
	v_min_f32_e32 v111, v36, v32
	v_dual_add_f32 v100, v112, v100 :: v_dual_add_f32 v137, v137, v110
	v_min_f32_e32 v110, v28, v32
	v_dual_min_f32 v112, v24, v32 :: v_dual_add_f32 v89, v195, v89
	v_dual_add_f32 v84, v206, v84 :: v_dual_add_f32 v93, v185, v93
	s_delay_alu instid0(VALU_DEP_3)
	v_dual_add_f32 v88, v204, v88 :: v_dual_add_f32 v139, v110, v115
	v_min_f32_e32 v110, v9, v33
	v_add_f32_e32 v141, v113, v117
	v_min_f32_e32 v113, v12, v32
	v_dual_min_f32 v32, v40, v32 :: v_dual_add_f32 v83, v151, v83
	v_add_f32_e32 v82, v152, v82
	v_add_f32_e32 v142, v110, v116
	v_dual_min_f32 v110, v13, v33 :: v_dual_add_f32 v87, v196, v87
	v_dual_add_f32 v81, v153, v81 :: v_dual_add_f32 v80, v154, v80
	s_delay_alu instid0(VALU_DEP_2) | instskip(SKIP_4) | instid1(VALU_DEP_3)
	v_dual_add_f32 v82, v207, v82 :: v_dual_add_f32 v97, v110, v97
	v_add_f32_e32 v32, v32, v119
	v_min_f32_e32 v110, v17, v33
	v_dual_add_f32 v77, v156, v77 :: v_dual_add_f32 v76, v158, v76
	v_dual_add_f32 v85, v197, v85 :: v_dual_add_f32 v80, v208, v80
	v_add_f32_e32 v96, v110, v96
	v_min_f32_e32 v110, v37, v33
	v_add_f32_e32 v99, v113, v99
	v_min_f32_e32 v113, v25, v33
	v_min_f32_e32 v33, v41, v33
	v_dual_add_f32 v83, v198, v83 :: v_dual_add_f32 v76, v213, v76
	v_dual_add_f32 v75, v159, v75 :: v_dual_add_f32 v74, v160, v74
	s_delay_alu instid0(VALU_DEP_3)
	v_add_f32_e32 v33, v33, v90
	v_min_f32_e32 v90, v9, v45
	v_dual_add_f32 v81, v199, v81 :: v_dual_add_f32 v78, v201, v78
	s_waitcnt lgkmcnt(0)
	v_dual_max_f32 v60, v60, v60 :: v_dual_add_f32 v75, v210, v75
	v_add_f32_e32 v72, v212, v72
	v_dual_add_f32 v86, v90, v86 :: v_dual_add_f32 v93, v111, v93
	v_min_f32_e32 v111, v29, v45
	v_add_f32_e32 v95, v112, v95
	v_min_f32_e32 v112, v8, v44
	v_dual_max_f32 v22, v22, v22 :: v_dual_max_f32 v23, v23, v23
	v_max_f32_e32 v30, v30, v30
	s_delay_alu instid0(VALU_DEP_3) | instskip(SKIP_3) | instid1(VALU_DEP_3)
	v_dual_max_f32 v10, v10, v10 :: v_dual_add_f32 v87, v112, v87
	v_dual_min_f32 v112, v12, v44 :: v_dual_add_f32 v143, v110, v118
	v_min_f32_e32 v90, v13, v45
	v_dual_min_f32 v110, v28, v44 :: v_dual_max_f32 v15, v15, v15
	v_dual_add_f32 v83, v112, v83 :: v_dual_min_f32 v112, v25, v45
	s_delay_alu instid0(VALU_DEP_3) | instskip(SKIP_1) | instid1(VALU_DEP_4)
	v_add_f32_e32 v82, v90, v82
	v_min_f32_e32 v90, v17, v45
	v_add_f32_e32 v89, v110, v89
	v_dual_min_f32 v110, v2, v44 :: v_dual_max_f32 v5, v5, v5
	v_max_f32_e32 v4, v4, v4
	s_delay_alu instid0(VALU_DEP_4) | instskip(SKIP_1) | instid1(VALU_DEP_4)
	v_add_f32_e32 v80, v90, v80
	v_min_f32_e32 v90, v37, v45
	v_dual_add_f32 v85, v110, v85 :: v_dual_min_f32 v110, v16, v44
	v_add_f32_e32 v88, v111, v88
	v_min_f32_e32 v111, v3, v45
	s_delay_alu instid0(VALU_DEP_4) | instskip(NEXT) | instid1(VALU_DEP_4)
	v_dual_max_f32 v59, v59, v59 :: v_dual_add_f32 v76, v90, v76
	v_dual_add_f32 v81, v110, v81 :: v_dual_min_f32 v110, v36, v44
	s_delay_alu instid0(VALU_DEP_3) | instskip(SKIP_1) | instid1(VALU_DEP_4)
	v_add_f32_e32 v84, v111, v84
	v_min_f32_e32 v111, v24, v44
	v_dual_min_f32 v17, v17, v60 :: v_dual_min_f32 v24, v24, v59
	v_dual_min_f32 v25, v25, v60 :: v_dual_min_f32 v36, v36, v59
	s_delay_alu instid0(VALU_DEP_3) | instskip(NEXT) | instid1(VALU_DEP_3)
	v_add_f32_e32 v79, v111, v79
	v_dual_min_f32 v37, v37, v60 :: v_dual_add_f32 v24, v24, v121
	s_delay_alu instid0(VALU_DEP_4) | instskip(NEXT) | instid1(VALU_DEP_4)
	v_dual_min_f32 v44, v40, v44 :: v_dual_add_f32 v17, v17, v63
	v_dual_add_f32 v6, v36, v6 :: v_dual_add_f32 v25, v25, v120
	s_delay_alu instid0(VALU_DEP_3) | instskip(SKIP_3) | instid1(VALU_DEP_3)
	v_add_f32_e32 v36, v37, v135
	v_dual_min_f32 v37, v40, v59 :: v_dual_min_f32 v40, v41, v60
	v_max_f32_e32 v31, v31, v31
	v_dual_min_f32 v45, v41, v45 :: v_dual_min_f32 v28, v28, v59
	v_dual_add_f32 v7, v37, v7 :: v_dual_add_f32 v40, v40, v136
	s_delay_alu instid0(VALU_DEP_3) | instskip(SKIP_3) | instid1(VALU_DEP_4)
	v_min_f32_e32 v37, v31, v23
	v_max_f32_e32 v11, v11, v11
	v_min_f32_e32 v41, v30, v22
	v_dual_min_f32 v29, v29, v60 :: v_dual_min_f32 v8, v8, v59
	v_add_f32_e32 v120, v37, v56
	v_dual_min_f32 v56, v15, v23 :: v_dual_min_f32 v37, v10, v22
	v_dual_min_f32 v9, v9, v60 :: v_dual_min_f32 v2, v2, v59
	;; [unrolled: 1-line block ×4, first 2 shown]
	v_dual_min_f32 v59, v11, v23 :: v_dual_max_f32 v14, v14, v14
	v_add_f32_e32 v121, v41, v57
	v_dual_min_f32 v41, v5, v23 :: v_dual_max_f32 v18, v18, v18
	v_dual_max_f32 v19, v19, v19 :: v_dual_add_f32 v114, v56, v104
	v_dual_add_f32 v119, v37, v92 :: v_dual_max_f32 v26, v26, v26
	v_min_f32_e32 v37, v4, v22
	v_dual_add_f32 v77, v209, v77 :: v_dual_add_f32 v74, v214, v74
	v_add_f32_e32 v116, v41, v102
	v_min_f32_e32 v41, v14, v22
	s_delay_alu instid0(VALU_DEP_4) | instskip(SKIP_2) | instid1(VALU_DEP_4)
	v_dual_add_f32 v117, v37, v103 :: v_dual_min_f32 v56, v26, v22
	v_dual_min_f32 v37, v19, v23 :: v_dual_max_f32 v38, v38, v38
	v_dual_add_f32 v77, v112, v77 :: v_dual_add_f32 v78, v110, v78
	v_dual_add_f32 v115, v41, v105 :: v_dual_max_f32 v34, v34, v34
	v_min_f32_e32 v41, v18, v22
	s_delay_alu instid0(VALU_DEP_4) | instskip(SKIP_1) | instid1(VALU_DEP_3)
	v_dual_add_f32 v112, v37, v106 :: v_dual_max_f32 v37, v39, v39
	v_dual_add_f32 v94, v113, v94 :: v_dual_max_f32 v43, v43, v43
	v_add_f32_e32 v113, v41, v107
	v_max_f32_e32 v35, v35, v35
	s_delay_alu instid0(VALU_DEP_4) | instskip(SKIP_3) | instid1(VALU_DEP_3)
	v_min_f32_e32 v41, v37, v23
	v_max_f32_e32 v27, v27, v27
	v_add_f32_e32 v118, v59, v91
	v_dual_add_f32 v44, v44, v75 :: v_dual_add_f32 v45, v45, v74
	v_dual_add_f32 v28, v28, v73 :: v_dual_min_f32 v39, v27, v23
	v_min_f32_e32 v23, v43, v23
	v_dual_add_f32 v3, v3, v66 :: v_dual_add_f32 v12, v12, v67
	v_dual_add_f32 v29, v29, v69 :: v_dual_add_f32 v8, v8, v72
	s_delay_alu instid0(VALU_DEP_4)
	v_add_f32_e32 v110, v39, v108
	v_dual_add_f32 v108, v41, v137 :: v_dual_max_f32 v41, v42, v42
	v_add_f32_e32 v106, v23, v21
	v_min_f32_e32 v21, v11, v35
	v_dual_add_f32 v111, v56, v109 :: v_dual_min_f32 v42, v30, v34
	v_dual_add_f32 v9, v9, v71 :: v_dual_add_f32 v2, v2, v68
	s_delay_alu instid0(VALU_DEP_3) | instskip(SKIP_4) | instid1(VALU_DEP_4)
	v_add_f32_e32 v102, v21, v142
	v_min_f32_e32 v21, v5, v35
	v_min_f32_e32 v39, v38, v22
	;; [unrolled: 1-line block ×3, first 2 shown]
	v_dual_add_f32 v13, v13, v65 :: v_dual_add_f32 v16, v16, v64
	v_add_f32_e32 v100, v21, v100
	v_add_co_u32 v128, vcc_lo, v128, 32
	s_delay_alu instid0(VALU_DEP_4) | instskip(SKIP_4) | instid1(VALU_DEP_4)
	v_add_f32_e32 v107, v22, v20
	v_min_f32_e32 v20, v10, v34
	v_min_f32_e32 v22, v4, v34
	v_add_co_ci_u32_e32 v129, vcc_lo, 0, v129, vcc_lo
	v_add_co_u32 v130, vcc_lo, v130, 32
	v_dual_add_f32 v103, v20, v141 :: v_dual_min_f32 v20, v14, v34
	v_add_co_ci_u32_e32 v131, vcc_lo, 0, v131, vcc_lo
	v_add_co_u32 v132, vcc_lo, v132, s8
	s_delay_alu instid0(VALU_DEP_3) | instskip(SKIP_3) | instid1(VALU_DEP_4)
	v_dual_add_f32 v99, v20, v99 :: v_dual_min_f32 v20, v18, v34
	v_min_f32_e32 v21, v19, v35
	v_min_f32_e32 v23, v15, v35
	v_add_co_ci_u32_e32 v133, vcc_lo, s9, v133, vcc_lo
	v_add_f32_e32 v98, v20, v98
	s_delay_alu instid0(VALU_DEP_4) | instskip(SKIP_4) | instid1(VALU_DEP_3)
	v_add_f32_e32 v96, v21, v96
	v_min_f32_e32 v21, v37, v35
	v_add_f32_e32 v109, v39, v138
	v_dual_min_f32 v39, v31, v35 :: v_dual_min_f32 v20, v38, v34
	s_add_i32 s11, s11, 8
	v_add_f32_e32 v92, v21, v143
	v_max_f32_e32 v21, v47, v47
	v_add_f32_e32 v105, v42, v139
	v_dual_add_f32 v93, v20, v93 :: v_dual_add_f32 v104, v39, v140
	s_cmp_ge_i32 s11, s10
	s_delay_alu instid0(VALU_DEP_3)
	v_min_f32_e32 v20, v31, v21
	v_dual_add_f32 v101, v22, v101 :: v_dual_min_f32 v22, v27, v35
	ds_store_b32 v124, v134
	ds_store_2addr_stride64_b32 v125, v0, v1 offset1:4
	s_waitcnt lgkmcnt(0)
	v_add_f32_e32 v88, v20, v88
	s_barrier
	v_add_f32_e32 v94, v22, v94
	v_dual_max_f32 v22, v46, v46 :: v_dual_add_f32 v97, v23, v97
	v_min_f32_e32 v23, v26, v34
	v_min_f32_e32 v34, v41, v34
	buffer_gl0_inv
	v_min_f32_e32 v20, v10, v22
	v_dual_add_f32 v91, v34, v32 :: v_dual_min_f32 v32, v5, v21
	s_delay_alu instid0(VALU_DEP_2) | instskip(SKIP_1) | instid1(VALU_DEP_3)
	v_dual_add_f32 v87, v20, v87 :: v_dual_min_f32 v20, v14, v22
	v_add_f32_e32 v95, v23, v95
	v_dual_min_f32 v23, v43, v35 :: v_dual_add_f32 v84, v32, v84
	v_min_f32_e32 v32, v18, v22
	v_min_f32_e32 v35, v30, v22
	v_dual_add_f32 v83, v20, v83 :: v_dual_min_f32 v20, v27, v21
	s_delay_alu instid0(VALU_DEP_3) | instskip(NEXT) | instid1(VALU_DEP_2)
	v_dual_add_f32 v81, v32, v81 :: v_dual_max_f32 v32, v62, v62
	v_dual_add_f32 v77, v20, v77 :: v_dual_min_f32 v20, v38, v22
	v_add_f32_e32 v90, v23, v33
	v_min_f32_e32 v23, v11, v21
	v_add_f32_e32 v89, v35, v89
	s_delay_alu instid0(VALU_DEP_4) | instskip(NEXT) | instid1(VALU_DEP_3)
	v_dual_min_f32 v5, v5, v32 :: v_dual_add_f32 v78, v20, v78
	v_add_f32_e32 v86, v23, v86
	s_delay_alu instid0(VALU_DEP_2) | instskip(SKIP_1) | instid1(VALU_DEP_2)
	v_dual_min_f32 v23, v4, v22 :: v_dual_add_f32 v66, v5, v3
	v_min_f32_e32 v3, v15, v32
	v_add_f32_e32 v85, v23, v85
	v_min_f32_e32 v23, v19, v21
	s_delay_alu instid0(VALU_DEP_3) | instskip(SKIP_1) | instid1(VALU_DEP_3)
	v_add_f32_e32 v65, v3, v13
	v_min_f32_e32 v3, v27, v32
	v_dual_add_f32 v80, v23, v80 :: v_dual_min_f32 v23, v37, v21
	s_delay_alu instid0(VALU_DEP_2) | instskip(SKIP_1) | instid1(VALU_DEP_3)
	v_add_f32_e32 v59, v3, v25
	v_min_f32_e32 v3, v37, v32
	v_dual_add_f32 v76, v23, v76 :: v_dual_max_f32 v23, v61, v61
	v_min_f32_e32 v33, v15, v21
	v_min_f32_e32 v11, v11, v32
	s_delay_alu instid0(VALU_DEP_3) | instskip(NEXT) | instid1(VALU_DEP_3)
	v_dual_add_f32 v61, v3, v36 :: v_dual_min_f32 v20, v30, v23
	v_add_f32_e32 v82, v33, v82
	v_dual_min_f32 v33, v26, v22 :: v_dual_min_f32 v4, v4, v23
	s_delay_alu instid0(VALU_DEP_3) | instskip(NEXT) | instid1(VALU_DEP_2)
	v_dual_min_f32 v22, v41, v22 :: v_dual_add_f32 v73, v20, v28
	v_add_f32_e32 v68, v4, v2
	v_min_f32_e32 v4, v19, v32
	s_delay_alu instid0(VALU_DEP_1) | instskip(NEXT) | instid1(VALU_DEP_1)
	v_dual_add_f32 v63, v4, v17 :: v_dual_min_f32 v4, v38, v23
	v_dual_add_f32 v71, v11, v9 :: v_dual_add_f32 v60, v4, v6
	v_min_f32_e32 v10, v10, v23
	v_min_f32_e32 v2, v14, v23
	;; [unrolled: 1-line block ×5, first 2 shown]
	v_add_f32_e32 v75, v22, v44
	v_add_f32_e32 v72, v10, v8
	v_dual_min_f32 v8, v41, v23 :: v_dual_add_f32 v67, v2, v12
	v_add_f32_e32 v64, v5, v16
	v_dual_min_f32 v2, v26, v23 :: v_dual_min_f32 v5, v43, v32
	v_add_f32_e32 v79, v33, v79
	v_add_f32_e32 v74, v21, v45
	s_delay_alu instid0(VALU_DEP_3) | instskip(NEXT) | instid1(VALU_DEP_4)
	v_dual_add_f32 v69, v31, v29 :: v_dual_add_f32 v62, v2, v24
	v_dual_add_f32 v56, v5, v40 :: v_dual_add_f32 v57, v8, v7
	s_cbranch_scc1 .LBB78_31
.LBB78_21:                              ; =>This Inner Loop Header: Depth=1
	v_mov_b32_e32 v134, 0
	s_and_b32 vcc_lo, exec_lo, s3
	s_cbranch_vccnz .LBB78_23
; %bb.22:                               ;   in Loop: Header=BB78_21 Depth=1
	v_add_co_u32 v0, vcc_lo, v132, v48
	v_add_co_ci_u32_e32 v1, vcc_lo, v133, v49, vcc_lo
	flat_load_b32 v0, v[0:1]
	s_waitcnt vmcnt(0) lgkmcnt(0)
	v_mul_f32_e32 v134, s15, v0
.LBB78_23:                              ;   in Loop: Header=BB78_21 Depth=1
	s_and_b32 vcc_lo, exec_lo, s3
	s_cbranch_vccnz .LBB78_25
; %bb.24:                               ;   in Loop: Header=BB78_21 Depth=1
	v_add_co_u32 v0, vcc_lo, v130, v58
	v_add_co_ci_u32_e32 v1, vcc_lo, 0, v131, vcc_lo
	v_add_co_u32 v2, vcc_lo, v128, v58
	v_add_co_ci_u32_e32 v3, vcc_lo, 0, v129, vcc_lo
	flat_load_b32 v0, v[0:1] offset:32
	flat_load_b32 v1, v[2:3] offset:32
	s_waitcnt vmcnt(0) lgkmcnt(0)
	v_dual_mul_f32 v135, s15, v0 :: v_dual_mul_f32 v136, s15, v1
	s_branch .LBB78_26
.LBB78_25:                              ;   in Loop: Header=BB78_21 Depth=1
	v_dual_mov_b32 v135, 0 :: v_dual_mov_b32 v136, 0
.LBB78_26:                              ;   in Loop: Header=BB78_21 Depth=1
	ds_load_b128 v[40:43], v126
	ds_load_b128 v[36:39], v126 offset:128
	ds_load_b128 v[32:35], v126 offset:256
	;; [unrolled: 1-line block ×7, first 2 shown]
	ds_load_b128 v[44:47], v127
	ds_load_b128 v[8:11], v127 offset:512
	ds_load_b128 v[4:7], v127 offset:1024
	;; [unrolled: 1-line block ×3, first 2 shown]
	s_and_b32 vcc_lo, exec_lo, s3
	ds_store_b32 v122, v134
	ds_store_2addr_stride64_b32 v70, v135, v136 offset1:4
	s_waitcnt lgkmcnt(0)
	s_barrier
	buffer_gl0_inv
	s_cbranch_vccnz .LBB78_28
; %bb.27:                               ;   in Loop: Header=BB78_21 Depth=1
	v_add_co_u32 v134, vcc_lo, v132, v50
	v_add_co_ci_u32_e32 v135, vcc_lo, v133, v51, vcc_lo
	flat_load_b32 v134, v[134:135]
	s_waitcnt vmcnt(0) lgkmcnt(0)
	v_mul_f32_e32 v134, s15, v134
	s_branch .LBB78_29
.LBB78_28:                              ;   in Loop: Header=BB78_21 Depth=1
	v_mov_b32_e32 v134, 0
.LBB78_29:                              ;   in Loop: Header=BB78_21 Depth=1
	v_dual_max_f32 v44, v44, v44 :: v_dual_max_f32 v45, v45, v45
	v_dual_max_f32 v161, v40, v40 :: v_dual_max_f32 v162, v41, v41
	v_max_f32_e32 v163, v36, v36
	v_dual_max_f32 v169, v24, v24 :: v_dual_max_f32 v170, v25, v25
	v_max_f32_e32 v173, v16, v16
	v_dual_max_f32 v159, v4, v4 :: v_dual_max_f32 v160, v5, v5
	s_delay_alu instid0(VALU_DEP_4)
	v_dual_min_f32 v40, v162, v45 :: v_dual_min_f32 v41, v163, v44
	v_dual_max_f32 v164, v37, v37 :: v_dual_max_f32 v165, v32, v32
	v_dual_max_f32 v166, v33, v33 :: v_dual_max_f32 v167, v28, v28
	;; [unrolled: 1-line block ×3, first 2 shown]
	v_max_f32_e32 v172, v21, v21
	v_min_f32_e32 v20, v170, v45
	v_dual_max_f32 v174, v17, v17 :: v_dual_max_f32 v175, v12, v12
	v_max_f32_e32 v176, v13, v13
	v_dual_max_f32 v144, v8, v8 :: v_dual_max_f32 v145, v9, v9
	v_dual_min_f32 v157, v173, v159 :: v_dual_max_f32 v0, v0, v0
	v_dual_min_f32 v36, v161, v44 :: v_dual_min_f32 v37, v168, v45
	v_dual_min_f32 v28, v164, v45 :: v_dual_min_f32 v29, v165, v44
	;; [unrolled: 1-line block ×7, first 2 shown]
	v_min_f32_e32 v13, v161, v144
	v_dual_min_f32 v44, v163, v144 :: v_dual_min_f32 v45, v164, v145
	v_dual_min_f32 v135, v165, v144 :: v_dual_min_f32 v136, v166, v145
	v_dual_min_f32 v137, v167, v144 :: v_dual_min_f32 v138, v168, v145
	v_dual_min_f32 v139, v169, v144 :: v_dual_min_f32 v140, v170, v145
	v_dual_min_f32 v141, v171, v144 :: v_dual_min_f32 v142, v172, v145
	v_dual_min_f32 v143, v173, v144 :: v_dual_min_f32 v4, v174, v145
	v_dual_min_f32 v5, v175, v144 :: v_dual_min_f32 v144, v176, v145
	v_dual_min_f32 v145, v161, v159 :: v_dual_min_f32 v146, v162, v160
	v_dual_min_f32 v147, v163, v159 :: v_dual_min_f32 v148, v164, v160
	v_dual_min_f32 v149, v165, v159 :: v_dual_min_f32 v150, v166, v160
	v_dual_min_f32 v151, v167, v159 :: v_dual_min_f32 v152, v168, v160
	v_dual_min_f32 v153, v169, v159 :: v_dual_min_f32 v154, v170, v160
	v_dual_min_f32 v155, v171, v159 :: v_dual_min_f32 v156, v172, v160
	v_dual_max_f32 v1, v1, v1 :: v_dual_min_f32 v158, v174, v160
	v_min_f32_e32 v161, v161, v0
	v_min_f32_e32 v163, v163, v0
	s_delay_alu instid0(VALU_DEP_3)
	v_dual_min_f32 v165, v165, v0 :: v_dual_min_f32 v166, v166, v1
	v_dual_min_f32 v167, v167, v0 :: v_dual_min_f32 v168, v168, v1
	;; [unrolled: 1-line block ×5, first 2 shown]
	v_dual_max_f32 v178, v46, v46 :: v_dual_max_f32 v179, v47, v47
	v_dual_max_f32 v211, v42, v42 :: v_dual_max_f32 v212, v43, v43
	v_dual_max_f32 v216, v38, v38 :: v_dual_min_f32 v43, v175, v0
	v_dual_max_f32 v0, v39, v39 :: v_dual_max_f32 v217, v30, v30
	v_dual_min_f32 v159, v175, v159 :: v_dual_min_f32 v160, v176, v160
	v_min_f32_e32 v162, v162, v1
	v_min_f32_e32 v164, v164, v1
	v_dual_min_f32 v46, v176, v1 :: v_dual_max_f32 v1, v34, v34
	v_dual_min_f32 v42, v216, v178 :: v_dual_max_f32 v175, v35, v35
	v_dual_max_f32 v218, v31, v31 :: v_dual_min_f32 v31, v217, v178
	v_dual_min_f32 v34, v0, v179 :: v_dual_max_f32 v219, v26, v26
	v_dual_max_f32 v220, v27, v27 :: v_dual_max_f32 v221, v22, v22
	v_dual_max_f32 v222, v23, v23 :: v_dual_max_f32 v223, v18, v18
	v_dual_max_f32 v19, v19, v19 :: v_dual_max_f32 v224, v14, v14
	v_dual_max_f32 v225, v15, v15 :: v_dual_max_f32 v10, v10, v10
	v_dual_max_f32 v11, v11, v11 :: v_dual_max_f32 v6, v6, v6
	v_dual_max_f32 v7, v7, v7 :: v_dual_max_f32 v226, v2, v2
	v_max_f32_e32 v227, v3, v3
	v_dual_min_f32 v38, v211, v178 :: v_dual_min_f32 v47, v212, v179
	v_dual_min_f32 v30, v1, v178 :: v_dual_min_f32 v35, v175, v179
	v_dual_min_f32 v39, v218, v179 :: v_dual_min_f32 v18, v219, v178
	v_dual_min_f32 v176, v220, v179 :: v_dual_min_f32 v23, v223, v178
	v_dual_min_f32 v22, v221, v178 :: v_dual_min_f32 v177, v222, v179
	v_dual_min_f32 v186, v19, v179 :: v_dual_min_f32 v181, v1, v10
	v_dual_min_f32 v178, v224, v178 :: v_dual_min_f32 v187, v225, v179
	v_min_f32_e32 v180, v216, v10
	v_dual_min_f32 v179, v211, v10 :: v_dual_min_f32 v188, v212, v11
	v_dual_min_f32 v189, v0, v11 :: v_dual_min_f32 v182, v217, v10
	v_dual_min_f32 v190, v175, v11 :: v_dual_min_f32 v197, v1, v6
	v_dual_min_f32 v191, v218, v11 :: v_dual_min_f32 v184, v221, v10
	v_dual_min_f32 v183, v219, v10 :: v_dual_min_f32 v192, v220, v11
	v_dual_min_f32 v193, v222, v11 :: v_dual_min_f32 v194, v224, v10
	v_dual_min_f32 v185, v223, v10 :: v_dual_min_f32 v204, v212, v7
	v_min_f32_e32 v202, v19, v11
	v_dual_min_f32 v203, v225, v11 :: v_dual_min_f32 v196, v216, v6
	v_dual_min_f32 v195, v211, v6 :: v_dual_min_f32 v208, v220, v7
	v_dual_min_f32 v205, v0, v7 :: v_dual_min_f32 v198, v217, v6
	v_dual_min_f32 v206, v175, v7 :: v_dual_min_f32 v3, v221, v226
	v_dual_min_f32 v207, v218, v7 :: v_dual_min_f32 v200, v221, v6
	v_dual_min_f32 v199, v219, v6 :: v_dual_min_f32 v214, v225, v7
	v_dual_min_f32 v209, v222, v7 :: v_dual_min_f32 v210, v224, v6
	v_min_f32_e32 v201, v223, v6
	v_min_f32_e32 v213, v19, v7
	v_dual_min_f32 v211, v211, v226 :: v_dual_min_f32 v14, v222, v227
	v_dual_min_f32 v215, v212, v227 :: v_dual_min_f32 v10, v1, v226
	v_min_f32_e32 v212, v216, v226
	v_min_f32_e32 v216, v0, v227
	v_dual_min_f32 v26, v175, v227 :: v_dual_min_f32 v7, v224, v226
	v_min_f32_e32 v11, v217, v226
	v_dual_min_f32 v27, v218, v227 :: v_dual_min_f32 v2, v219, v226
	v_dual_min_f32 v175, v220, v227 :: v_dual_min_f32 v6, v223, v226
	v_min_f32_e32 v15, v19, v227
	v_min_f32_e32 v19, v225, v227
	s_and_b32 vcc_lo, exec_lo, s3
	s_cbranch_vccz .LBB78_19
; %bb.30:                               ;   in Loop: Header=BB78_21 Depth=1
	v_dual_mov_b32 v0, 0 :: v_dual_mov_b32 v1, 0
	s_branch .LBB78_20
.LBB78_31:
	s_load_b32 s8, s[0:1], 0x58
	v_add_nc_u32_e32 v48, s19, v53
	ds_load_b128 v[0:3], v55 offset:5120
	ds_load_b128 v[40:43], v54 offset:2048
	v_add_nc_u32_e32 v46, s18, v52
	v_cmp_neq_f32_e64 s9, s13, 0
	v_mov_b32_e32 v52, 0
	v_mov_b32_e32 v50, 0
	s_delay_alu instid0(VALU_DEP_4) | instskip(NEXT) | instid1(VALU_DEP_4)
	v_ashrrev_i32_e32 v47, 31, v46
	s_and_b32 vcc_lo, exec_lo, s9
	s_delay_alu instid0(VALU_DEP_1) | instskip(SKIP_2) | instid1(VALU_DEP_1)
	v_lshlrev_b64 v[44:45], 2, v[46:47]
	s_waitcnt lgkmcnt(0)
	v_mad_i64_i32 v[4:5], null, v48, s8, 0
	v_lshlrev_b64 v[4:5], 2, v[4:5]
	s_delay_alu instid0(VALU_DEP_1) | instskip(NEXT) | instid1(VALU_DEP_1)
	v_add_co_u32 v122, s3, s4, v4
	v_add_co_ci_u32_e64 v123, s3, s5, v5, s3
	s_cbranch_vccz .LBB78_33
; %bb.32:
	s_delay_alu instid0(VALU_DEP_2) | instskip(NEXT) | instid1(VALU_DEP_2)
	v_add_co_u32 v4, vcc_lo, v122, v44
	v_add_co_ci_u32_e32 v5, vcc_lo, v123, v45, vcc_lo
	flat_load_b32 v4, v[4:5]
	s_waitcnt vmcnt(0) lgkmcnt(0)
	v_mul_f32_e32 v50, s13, v4
.LBB78_33:
	s_clause 0x1
	s_load_b64 s[10:11], s[0:1], 0x78
	s_load_b32 s1, s[0:1], 0x70
	v_dual_max_f32 v124, v40, v40 :: v_dual_max_f32 v125, v41, v41
	v_dual_max_f32 v47, v0, v0 :: v_dual_max_f32 v126, v43, v43
	v_max_f32_e32 v49, v1, v1
	v_max_f32_e32 v43, v3, v3
	ds_load_b128 v[36:39], v55 offset:5248
	ds_load_b128 v[32:35], v55 offset:5376
	;; [unrolled: 1-line block ×7, first 2 shown]
	v_min_f32_e32 v0, v47, v124
	ds_load_b128 v[8:11], v54 offset:2560
	ds_load_b128 v[4:7], v54 offset:3072
	v_min_f32_e32 v1, v49, v125
	v_add_f32_e32 v51, v0, v121
	v_max_f32_e32 v121, v42, v42
	s_delay_alu instid0(VALU_DEP_3)
	v_dual_max_f32 v42, v2, v2 :: v_dual_add_f32 v53, v1, v120
	v_min_f32_e32 v55, v43, v126
	ds_load_b128 v[0:3], v54 offset:3584
	s_waitcnt lgkmcnt(0)
	s_mul_i32 s0, s12, s11
	v_min_f32_e32 v58, v42, v121
	v_mad_i64_i32 v[40:41], null, v48, s1, 0
	s_mul_hi_u32 s3, s12, s10
	s_mul_i32 s10, s12, s10
	s_add_i32 s11, s3, s0
	v_add_f32_e32 v55, v55, v53
	v_add_f32_e32 v51, v58, v51
	s_lshl_b64 s[10:11], s[10:11], 2
	s_delay_alu instid0(VALU_DEP_3)
	v_lshlrev_b64 v[40:41], 2, v[40:41]
	v_add_nc_u32_e32 v53, 8, v46
	s_add_u32 s3, s6, s10
	s_addc_u32 s6, s7, s11
	v_add_f32_e32 v51, v51, v55
	v_cndmask_b32_e64 v55, 0, 1, s9
	v_add_co_u32 v120, vcc_lo, s3, v40
	v_ashrrev_i32_e32 v54, 31, v53
	v_add_co_ci_u32_e32 v127, vcc_lo, s6, v41, vcc_lo
	v_add_f32_e32 v58, v51, v50
	s_delay_alu instid0(VALU_DEP_4) | instskip(NEXT) | instid1(VALU_DEP_4)
	v_add_co_u32 v50, vcc_lo, v120, v44
	v_lshlrev_b64 v[40:41], 2, v[53:54]
	v_cmp_ne_u32_e64 s0, 1, v55
	v_add_co_ci_u32_e32 v51, vcc_lo, v127, v45, vcc_lo
	s_and_not1_b32 vcc_lo, exec_lo, s9
	global_store_b32 v[50:51], v58, off
	s_cbranch_vccnz .LBB78_35
; %bb.34:
	v_add_co_u32 v50, vcc_lo, v122, v40
	v_add_co_ci_u32_e32 v51, vcc_lo, v123, v41, vcc_lo
	flat_load_b32 v50, v[50:51]
	s_waitcnt vmcnt(0) lgkmcnt(0)
	v_mul_f32_e32 v52, s13, v50
.LBB78_35:
	v_dual_max_f32 v51, v37, v37 :: v_dual_max_f32 v50, v36, v36
	v_dual_max_f32 v38, v38, v38 :: v_dual_max_f32 v39, v39, v39
	v_mov_b32_e32 v58, 0
	s_delay_alu instid0(VALU_DEP_3) | instskip(NEXT) | instid1(VALU_DEP_3)
	v_dual_min_f32 v36, v51, v125 :: v_dual_min_f32 v37, v50, v124
	v_dual_min_f32 v53, v38, v121 :: v_dual_min_f32 v54, v39, v126
	s_delay_alu instid0(VALU_DEP_2) | instskip(NEXT) | instid1(VALU_DEP_3)
	v_add_f32_e32 v55, v36, v118
	v_dual_add_f32 v37, v37, v119 :: v_dual_add_nc_u32 v36, 16, v46
	v_add_co_u32 v118, vcc_lo, v120, v40
	s_delay_alu instid0(VALU_DEP_2) | instskip(NEXT) | instid1(VALU_DEP_3)
	v_dual_add_f32 v54, v54, v55 :: v_dual_add_f32 v53, v53, v37
	v_ashrrev_i32_e32 v37, 31, v36
	v_add_co_ci_u32_e32 v119, vcc_lo, v127, v41, vcc_lo
	s_and_b32 vcc_lo, exec_lo, s0
	s_delay_alu instid0(VALU_DEP_3) | instskip(NEXT) | instid1(VALU_DEP_3)
	v_dual_add_f32 v53, v53, v54 :: v_dual_mov_b32 v54, 0
	v_lshlrev_b64 v[36:37], 2, v[36:37]
	s_delay_alu instid0(VALU_DEP_2)
	v_add_f32_e32 v52, v53, v52
	global_store_b32 v[118:119], v52, off
	s_cbranch_vccnz .LBB78_37
; %bb.36:
	v_add_co_u32 v52, vcc_lo, v122, v36
	v_add_co_ci_u32_e32 v53, vcc_lo, v123, v37, vcc_lo
	flat_load_b32 v52, v[52:53]
	s_waitcnt vmcnt(0) lgkmcnt(0)
	v_mul_f32_e32 v54, s13, v52
.LBB78_37:
	v_dual_max_f32 v53, v33, v33 :: v_dual_max_f32 v52, v32, v32
	v_dual_max_f32 v34, v34, v34 :: v_dual_max_f32 v35, v35, v35
	s_delay_alu instid0(VALU_DEP_2) | instskip(NEXT) | instid1(VALU_DEP_2)
	v_dual_min_f32 v32, v53, v125 :: v_dual_min_f32 v33, v52, v124
	v_dual_min_f32 v55, v34, v121 :: v_dual_min_f32 v70, v35, v126
	s_delay_alu instid0(VALU_DEP_2) | instskip(SKIP_1) | instid1(VALU_DEP_2)
	v_dual_add_f32 v116, v32, v116 :: v_dual_add_f32 v33, v33, v117
	v_add_nc_u32_e32 v32, 24, v46
	v_dual_add_f32 v70, v70, v116 :: v_dual_add_f32 v55, v55, v33
	s_delay_alu instid0(VALU_DEP_2) | instskip(SKIP_2) | instid1(VALU_DEP_4)
	v_ashrrev_i32_e32 v33, 31, v32
	v_add_co_u32 v116, vcc_lo, v120, v36
	v_add_co_ci_u32_e32 v117, vcc_lo, v127, v37, vcc_lo
	v_add_f32_e32 v55, v55, v70
	s_delay_alu instid0(VALU_DEP_4) | instskip(SKIP_1) | instid1(VALU_DEP_2)
	v_lshlrev_b64 v[32:33], 2, v[32:33]
	s_and_b32 vcc_lo, exec_lo, s0
	v_add_f32_e32 v54, v55, v54
	global_store_b32 v[116:117], v54, off
	s_cbranch_vccnz .LBB78_39
; %bb.38:
	v_add_co_u32 v54, vcc_lo, v122, v32
	v_add_co_ci_u32_e32 v55, vcc_lo, v123, v33, vcc_lo
	flat_load_b32 v54, v[54:55]
	s_waitcnt vmcnt(0) lgkmcnt(0)
	v_mul_f32_e32 v58, s13, v54
.LBB78_39:
	v_dual_max_f32 v55, v29, v29 :: v_dual_max_f32 v54, v28, v28
	v_dual_max_f32 v30, v30, v30 :: v_dual_max_f32 v31, v31, v31
	s_delay_alu instid0(VALU_DEP_2) | instskip(NEXT) | instid1(VALU_DEP_2)
	v_dual_min_f32 v28, v55, v125 :: v_dual_min_f32 v29, v54, v124
	v_min_f32_e32 v70, v30, v121
	s_delay_alu instid0(VALU_DEP_3) | instskip(NEXT) | instid1(VALU_DEP_3)
	v_min_f32_e32 v116, v31, v126
	v_dual_add_f32 v114, v28, v114 :: v_dual_add_f32 v29, v29, v115
	v_dual_mov_b32 v115, 0 :: v_dual_add_nc_u32 v28, 32, v46
	s_delay_alu instid0(VALU_DEP_2) | instskip(NEXT) | instid1(VALU_DEP_3)
	v_add_f32_e32 v114, v116, v114
	v_add_f32_e32 v70, v70, v29
	v_add_co_u32 v116, vcc_lo, v120, v32
	s_delay_alu instid0(VALU_DEP_4) | instskip(SKIP_1) | instid1(VALU_DEP_4)
	v_ashrrev_i32_e32 v29, 31, v28
	v_add_co_ci_u32_e32 v117, vcc_lo, v127, v33, vcc_lo
	v_add_f32_e32 v70, v70, v114
	v_mov_b32_e32 v114, 0
	s_delay_alu instid0(VALU_DEP_4) | instskip(SKIP_1) | instid1(VALU_DEP_3)
	v_lshlrev_b64 v[28:29], 2, v[28:29]
	s_and_b32 vcc_lo, exec_lo, s0
	v_add_f32_e32 v58, v70, v58
	global_store_b32 v[116:117], v58, off
	s_cbranch_vccnz .LBB78_41
; %bb.40:
	v_add_co_u32 v116, vcc_lo, v122, v28
	v_add_co_ci_u32_e32 v117, vcc_lo, v123, v29, vcc_lo
	flat_load_b32 v58, v[116:117]
	s_waitcnt vmcnt(0) lgkmcnt(0)
	v_mul_f32_e32 v114, s13, v58
.LBB78_41:
	v_dual_max_f32 v70, v25, v25 :: v_dual_max_f32 v27, v27, v27
	v_max_f32_e32 v58, v24, v24
	s_delay_alu instid0(VALU_DEP_2) | instskip(NEXT) | instid1(VALU_DEP_2)
	v_dual_min_f32 v24, v70, v125 :: v_dual_min_f32 v117, v27, v126
	v_min_f32_e32 v25, v58, v124
	s_delay_alu instid0(VALU_DEP_2) | instskip(SKIP_1) | instid1(VALU_DEP_3)
	v_add_f32_e32 v112, v24, v112
	v_add_nc_u32_e32 v24, 40, v46
	v_dual_max_f32 v26, v26, v26 :: v_dual_add_f32 v25, v25, v113
	s_delay_alu instid0(VALU_DEP_1) | instskip(NEXT) | instid1(VALU_DEP_1)
	v_min_f32_e32 v116, v26, v121
	v_dual_add_f32 v112, v117, v112 :: v_dual_add_f32 v113, v116, v25
	s_delay_alu instid0(VALU_DEP_4) | instskip(NEXT) | instid1(VALU_DEP_2)
	v_ashrrev_i32_e32 v25, 31, v24
	v_add_f32_e32 v116, v113, v112
	v_add_co_u32 v112, vcc_lo, v120, v28
	s_delay_alu instid0(VALU_DEP_3) | instskip(SKIP_1) | instid1(VALU_DEP_4)
	v_lshlrev_b64 v[24:25], 2, v[24:25]
	v_add_co_ci_u32_e32 v113, vcc_lo, v127, v29, vcc_lo
	v_add_f32_e32 v114, v116, v114
	s_and_b32 vcc_lo, exec_lo, s0
	global_store_b32 v[112:113], v114, off
	s_cbranch_vccnz .LBB78_43
; %bb.42:
	v_add_co_u32 v112, vcc_lo, v122, v24
	v_add_co_ci_u32_e32 v113, vcc_lo, v123, v25, vcc_lo
	flat_load_b32 v112, v[112:113]
	s_waitcnt vmcnt(0) lgkmcnt(0)
	v_mul_f32_e32 v115, s13, v112
.LBB78_43:
	v_dual_max_f32 v113, v21, v21 :: v_dual_max_f32 v112, v20, v20
	v_dual_max_f32 v22, v22, v22 :: v_dual_max_f32 v23, v23, v23
	s_delay_alu instid0(VALU_DEP_2) | instskip(NEXT) | instid1(VALU_DEP_2)
	v_dual_min_f32 v20, v113, v125 :: v_dual_min_f32 v21, v112, v124
	v_min_f32_e32 v114, v22, v121
	s_delay_alu instid0(VALU_DEP_2) | instskip(NEXT) | instid1(VALU_DEP_4)
	v_dual_add_f32 v110, v20, v110 :: v_dual_add_f32 v21, v21, v111
	v_min_f32_e32 v116, v23, v126
	s_delay_alu instid0(VALU_DEP_2) | instskip(NEXT) | instid1(VALU_DEP_2)
	v_dual_add_f32 v111, v114, v21 :: v_dual_add_nc_u32 v20, 48, v46
	v_add_f32_e32 v110, v116, v110
	s_delay_alu instid0(VALU_DEP_2) | instskip(SKIP_1) | instid1(VALU_DEP_3)
	v_ashrrev_i32_e32 v21, 31, v20
	v_mov_b32_e32 v114, 0
	v_add_f32_e32 v116, v111, v110
	v_add_co_u32 v110, vcc_lo, v120, v24
	s_delay_alu instid0(VALU_DEP_4) | instskip(SKIP_1) | instid1(VALU_DEP_4)
	v_lshlrev_b64 v[20:21], 2, v[20:21]
	v_add_co_ci_u32_e32 v111, vcc_lo, v127, v25, vcc_lo
	v_dual_add_f32 v116, v116, v115 :: v_dual_mov_b32 v115, 0
	s_and_b32 vcc_lo, exec_lo, s0
	global_store_b32 v[110:111], v116, off
	s_cbranch_vccnz .LBB78_45
; %bb.44:
	v_add_co_u32 v110, vcc_lo, v122, v20
	v_add_co_ci_u32_e32 v111, vcc_lo, v123, v21, vcc_lo
	flat_load_b32 v110, v[110:111]
	s_waitcnt vmcnt(0) lgkmcnt(0)
	v_mul_f32_e32 v115, s13, v110
.LBB78_45:
	v_dual_max_f32 v111, v17, v17 :: v_dual_max_f32 v110, v16, v16
	v_dual_max_f32 v18, v18, v18 :: v_dual_max_f32 v19, v19, v19
	s_delay_alu instid0(VALU_DEP_2) | instskip(NEXT) | instid1(VALU_DEP_2)
	v_dual_min_f32 v16, v111, v125 :: v_dual_min_f32 v17, v110, v124
	v_dual_min_f32 v116, v18, v121 :: v_dual_min_f32 v117, v19, v126
	s_delay_alu instid0(VALU_DEP_2) | instskip(SKIP_1) | instid1(VALU_DEP_2)
	v_dual_add_f32 v108, v16, v108 :: v_dual_add_f32 v17, v17, v109
	v_add_nc_u32_e32 v16, 56, v46
	v_add_f32_e32 v46, v117, v108
	s_delay_alu instid0(VALU_DEP_3) | instskip(NEXT) | instid1(VALU_DEP_3)
	v_add_f32_e32 v108, v116, v17
	v_ashrrev_i32_e32 v17, 31, v16
	s_delay_alu instid0(VALU_DEP_2) | instskip(SKIP_1) | instid1(VALU_DEP_3)
	v_add_f32_e32 v46, v108, v46
	v_add_co_u32 v108, vcc_lo, v120, v20
	v_lshlrev_b64 v[16:17], 2, v[16:17]
	v_add_co_ci_u32_e32 v109, vcc_lo, v127, v21, vcc_lo
	s_delay_alu instid0(VALU_DEP_4)
	v_add_f32_e32 v46, v46, v115
	s_and_b32 vcc_lo, exec_lo, s0
	global_store_b32 v[108:109], v46, off
	s_cbranch_vccnz .LBB78_47
; %bb.46:
	v_add_co_u32 v108, vcc_lo, v122, v16
	v_add_co_ci_u32_e32 v109, vcc_lo, v123, v17, vcc_lo
	flat_load_b32 v46, v[108:109]
	s_waitcnt vmcnt(0) lgkmcnt(0)
	v_mul_f32_e32 v114, s13, v46
.LBB78_47:
	v_dual_max_f32 v12, v12, v12 :: v_dual_max_f32 v13, v13, v13
	v_dual_max_f32 v14, v14, v14 :: v_dual_add_nc_u32 v115, 32, v48
	s_delay_alu instid0(VALU_DEP_2) | instskip(NEXT) | instid1(VALU_DEP_3)
	v_dual_max_f32 v15, v15, v15 :: v_dual_min_f32 v46, v12, v124
	v_min_f32_e32 v116, v13, v125
	s_delay_alu instid0(VALU_DEP_3) | instskip(NEXT) | instid1(VALU_DEP_4)
	v_min_f32_e32 v117, v14, v121
	v_mad_i64_i32 v[108:109], null, v115, s8, 0
	s_delay_alu instid0(VALU_DEP_4) | instskip(NEXT) | instid1(VALU_DEP_4)
	v_min_f32_e32 v118, v15, v126
	v_add_f32_e32 v116, v116, v106
	v_add_f32_e32 v46, v46, v107
	s_delay_alu instid0(VALU_DEP_4) | instskip(NEXT) | instid1(VALU_DEP_3)
	v_lshlrev_b64 v[106:107], 2, v[108:109]
	v_add_f32_e32 v116, v118, v116
	s_delay_alu instid0(VALU_DEP_3) | instskip(SKIP_2) | instid1(VALU_DEP_3)
	v_add_f32_e32 v46, v117, v46
	v_add_co_u32 v108, vcc_lo, v120, v16
	v_add_co_ci_u32_e32 v109, vcc_lo, v127, v17, vcc_lo
	v_add_f32_e32 v116, v46, v116
	v_add_co_u32 v46, vcc_lo, s4, v106
	v_add_co_ci_u32_e32 v106, vcc_lo, s5, v107, vcc_lo
	s_delay_alu instid0(VALU_DEP_3)
	v_dual_add_f32 v107, v116, v114 :: v_dual_mov_b32 v114, 0
	v_mov_b32_e32 v116, 0
	s_and_b32 vcc_lo, exec_lo, s0
	global_store_b32 v[108:109], v107, off
	s_cbranch_vccnz .LBB78_49
; %bb.48:
	v_add_co_u32 v107, vcc_lo, v46, v44
	v_add_co_ci_u32_e32 v108, vcc_lo, v106, v45, vcc_lo
	flat_load_b32 v107, v[107:108]
	s_waitcnt vmcnt(0) lgkmcnt(0)
	v_mul_f32_e32 v116, s13, v107
.LBB78_49:
	v_dual_max_f32 v107, v8, v8 :: v_dual_max_f32 v108, v9, v9
	v_dual_max_f32 v109, v10, v10 :: v_dual_max_f32 v8, v11, v11
	v_mad_i64_i32 v[9:10], null, v115, s1, 0
	s_delay_alu instid0(VALU_DEP_3) | instskip(NEXT) | instid1(VALU_DEP_4)
	v_min_f32_e32 v117, v49, v108
	v_min_f32_e32 v11, v47, v107
	s_delay_alu instid0(VALU_DEP_4) | instskip(NEXT) | instid1(VALU_DEP_2)
	v_dual_min_f32 v115, v42, v109 :: v_dual_min_f32 v118, v43, v8
	v_dual_add_f32 v104, v117, v104 :: v_dual_add_f32 v11, v11, v105
	v_lshlrev_b64 v[9:10], 2, v[9:10]
	s_delay_alu instid0(VALU_DEP_2) | instskip(NEXT) | instid1(VALU_DEP_2)
	v_dual_add_f32 v104, v118, v104 :: v_dual_add_f32 v11, v115, v11
	v_add_co_u32 v9, vcc_lo, s3, v9
	s_delay_alu instid0(VALU_DEP_3) | instskip(NEXT) | instid1(VALU_DEP_3)
	v_add_co_ci_u32_e32 v10, vcc_lo, s6, v10, vcc_lo
	v_add_f32_e32 v11, v11, v104
	s_delay_alu instid0(VALU_DEP_3) | instskip(NEXT) | instid1(VALU_DEP_3)
	v_add_co_u32 v104, vcc_lo, v9, v44
	v_add_co_ci_u32_e32 v105, vcc_lo, v10, v45, vcc_lo
	s_delay_alu instid0(VALU_DEP_3)
	v_add_f32_e32 v11, v11, v116
	s_and_b32 vcc_lo, exec_lo, s0
	global_store_b32 v[104:105], v11, off
	s_cbranch_vccnz .LBB78_51
; %bb.50:
	v_add_co_u32 v104, vcc_lo, v46, v40
	v_add_co_ci_u32_e32 v105, vcc_lo, v106, v41, vcc_lo
	flat_load_b32 v11, v[104:105]
	s_waitcnt vmcnt(0) lgkmcnt(0)
	v_mul_f32_e32 v114, s13, v11
.LBB78_51:
	v_dual_min_f32 v11, v51, v108 :: v_dual_min_f32 v104, v50, v107
	v_min_f32_e32 v105, v38, v109
	s_delay_alu instid0(VALU_DEP_2) | instskip(SKIP_3) | instid1(VALU_DEP_3)
	v_dual_add_f32 v11, v11, v102 :: v_dual_add_f32 v102, v104, v103
	v_min_f32_e32 v115, v39, v8
	v_add_co_u32 v103, vcc_lo, v9, v40
	v_add_co_ci_u32_e32 v104, vcc_lo, v10, v41, vcc_lo
	v_dual_add_f32 v102, v105, v102 :: v_dual_add_f32 v11, v115, v11
	s_and_b32 vcc_lo, exec_lo, s0
	s_delay_alu instid0(VALU_DEP_1) | instskip(NEXT) | instid1(VALU_DEP_1)
	v_dual_add_f32 v11, v102, v11 :: v_dual_mov_b32 v102, 0
	v_add_f32_e32 v105, v11, v114
	v_mov_b32_e32 v11, 0
	global_store_b32 v[103:104], v105, off
	s_cbranch_vccnz .LBB78_53
; %bb.52:
	v_add_co_u32 v102, vcc_lo, v46, v36
	v_add_co_ci_u32_e32 v103, vcc_lo, v106, v37, vcc_lo
	flat_load_b32 v102, v[102:103]
	s_waitcnt vmcnt(0) lgkmcnt(0)
	v_mul_f32_e32 v102, s13, v102
.LBB78_53:
	v_dual_min_f32 v103, v53, v108 :: v_dual_min_f32 v104, v52, v107
	v_dual_min_f32 v105, v34, v109 :: v_dual_min_f32 v114, v35, v8
	s_delay_alu instid0(VALU_DEP_2) | instskip(NEXT) | instid1(VALU_DEP_1)
	v_dual_add_f32 v100, v103, v100 :: v_dual_add_f32 v101, v104, v101
	v_dual_add_f32 v100, v114, v100 :: v_dual_add_f32 v101, v105, v101
	s_delay_alu instid0(VALU_DEP_1) | instskip(NEXT) | instid1(VALU_DEP_1)
	v_add_f32_e32 v100, v101, v100
	v_add_f32_e32 v102, v100, v102
	v_add_co_u32 v100, vcc_lo, v9, v36
	v_add_co_ci_u32_e32 v101, vcc_lo, v10, v37, vcc_lo
	s_and_b32 vcc_lo, exec_lo, s0
	global_store_b32 v[100:101], v102, off
	s_cbranch_vccnz .LBB78_55
; %bb.54:
	v_add_co_u32 v100, vcc_lo, v46, v32
	v_add_co_ci_u32_e32 v101, vcc_lo, v106, v33, vcc_lo
	flat_load_b32 v11, v[100:101]
	s_waitcnt vmcnt(0) lgkmcnt(0)
	v_mul_f32_e32 v11, s13, v11
.LBB78_55:
	v_dual_min_f32 v100, v55, v108 :: v_dual_min_f32 v101, v54, v107
	v_dual_min_f32 v102, v30, v109 :: v_dual_min_f32 v103, v31, v8
	s_delay_alu instid0(VALU_DEP_2) | instskip(NEXT) | instid1(VALU_DEP_3)
	v_add_f32_e32 v97, v100, v97
	v_add_f32_e32 v99, v101, v99
	s_delay_alu instid0(VALU_DEP_2) | instskip(NEXT) | instid1(VALU_DEP_2)
	v_add_f32_e32 v97, v103, v97
	v_add_f32_e32 v99, v102, v99
	s_delay_alu instid0(VALU_DEP_1) | instskip(SKIP_2) | instid1(VALU_DEP_3)
	v_add_f32_e32 v97, v99, v97
	v_add_co_u32 v99, vcc_lo, v9, v32
	v_add_co_ci_u32_e32 v100, vcc_lo, v10, v33, vcc_lo
	v_add_f32_e32 v101, v97, v11
	v_mov_b32_e32 v11, 0
	v_mov_b32_e32 v97, 0
	s_and_b32 vcc_lo, exec_lo, s0
	global_store_b32 v[99:100], v101, off
	s_cbranch_vccnz .LBB78_57
; %bb.56:
	v_add_co_u32 v99, vcc_lo, v46, v28
	v_add_co_ci_u32_e32 v100, vcc_lo, v106, v29, vcc_lo
	flat_load_b32 v97, v[99:100]
	s_waitcnt vmcnt(0) lgkmcnt(0)
	v_mul_f32_e32 v97, s13, v97
.LBB78_57:
	v_min_f32_e32 v100, v58, v107
	v_min_f32_e32 v99, v70, v108
	v_dual_min_f32 v101, v26, v109 :: v_dual_min_f32 v102, v27, v8
	s_delay_alu instid0(VALU_DEP_3) | instskip(NEXT) | instid1(VALU_DEP_3)
	v_add_f32_e32 v98, v100, v98
	v_add_f32_e32 v96, v99, v96
	s_delay_alu instid0(VALU_DEP_2) | instskip(NEXT) | instid1(VALU_DEP_2)
	v_add_f32_e32 v98, v101, v98
	v_add_f32_e32 v96, v102, v96
	s_delay_alu instid0(VALU_DEP_1) | instskip(NEXT) | instid1(VALU_DEP_1)
	v_add_f32_e32 v96, v98, v96
	v_add_f32_e32 v98, v96, v97
	v_add_co_u32 v96, vcc_lo, v9, v28
	v_add_co_ci_u32_e32 v97, vcc_lo, v10, v29, vcc_lo
	s_and_b32 vcc_lo, exec_lo, s0
	global_store_b32 v[96:97], v98, off
	s_cbranch_vccnz .LBB78_59
; %bb.58:
	v_add_co_u32 v96, vcc_lo, v46, v24
	v_add_co_ci_u32_e32 v97, vcc_lo, v106, v25, vcc_lo
	flat_load_b32 v11, v[96:97]
	s_waitcnt vmcnt(0) lgkmcnt(0)
	v_mul_f32_e32 v11, s13, v11
.LBB78_59:
	v_dual_min_f32 v96, v113, v108 :: v_dual_min_f32 v97, v112, v107
	v_dual_min_f32 v98, v22, v109 :: v_dual_min_f32 v99, v23, v8
	s_delay_alu instid0(VALU_DEP_2) | instskip(NEXT) | instid1(VALU_DEP_1)
	v_dual_add_f32 v94, v96, v94 :: v_dual_add_f32 v95, v97, v95
	v_dual_add_f32 v94, v99, v94 :: v_dual_add_f32 v95, v98, v95
	s_delay_alu instid0(VALU_DEP_1) | instskip(SKIP_2) | instid1(VALU_DEP_3)
	v_add_f32_e32 v94, v95, v94
	v_add_co_u32 v95, vcc_lo, v9, v24
	v_add_co_ci_u32_e32 v96, vcc_lo, v10, v25, vcc_lo
	v_dual_add_f32 v97, v94, v11 :: v_dual_mov_b32 v94, 0
	v_mov_b32_e32 v11, 0
	s_and_b32 vcc_lo, exec_lo, s0
	global_store_b32 v[95:96], v97, off
	s_cbranch_vccnz .LBB78_61
; %bb.60:
	v_add_co_u32 v94, vcc_lo, v46, v20
	v_add_co_ci_u32_e32 v95, vcc_lo, v106, v21, vcc_lo
	flat_load_b32 v94, v[94:95]
	s_waitcnt vmcnt(0) lgkmcnt(0)
	v_mul_f32_e32 v94, s13, v94
.LBB78_61:
	v_dual_min_f32 v95, v111, v108 :: v_dual_min_f32 v96, v110, v107
	v_dual_min_f32 v97, v18, v109 :: v_dual_min_f32 v98, v19, v8
	s_delay_alu instid0(VALU_DEP_2) | instskip(NEXT) | instid1(VALU_DEP_1)
	v_dual_add_f32 v92, v95, v92 :: v_dual_add_f32 v93, v96, v93
	v_dual_add_f32 v92, v98, v92 :: v_dual_add_f32 v93, v97, v93
	s_delay_alu instid0(VALU_DEP_1) | instskip(NEXT) | instid1(VALU_DEP_1)
	v_add_f32_e32 v92, v93, v92
	v_add_f32_e32 v94, v92, v94
	v_add_co_u32 v92, vcc_lo, v9, v20
	v_add_co_ci_u32_e32 v93, vcc_lo, v10, v21, vcc_lo
	s_and_b32 vcc_lo, exec_lo, s0
	global_store_b32 v[92:93], v94, off
	s_cbranch_vccnz .LBB78_63
; %bb.62:
	v_add_co_u32 v92, vcc_lo, v46, v16
	v_add_co_ci_u32_e32 v93, vcc_lo, v106, v17, vcc_lo
	flat_load_b32 v11, v[92:93]
	s_waitcnt vmcnt(0) lgkmcnt(0)
	v_mul_f32_e32 v11, s13, v11
.LBB78_63:
	v_dual_min_f32 v46, v12, v107 :: v_dual_min_f32 v93, v13, v108
	v_add_nc_u32_e32 v92, 64, v48
	v_min_f32_e32 v94, v14, v109
	v_min_f32_e32 v8, v15, v8
	s_delay_alu instid0(VALU_DEP_4) | instskip(NEXT) | instid1(VALU_DEP_4)
	v_dual_add_f32 v46, v46, v91 :: v_dual_add_f32 v93, v93, v90
	v_mad_i64_i32 v[90:91], null, v92, s8, 0
	s_delay_alu instid0(VALU_DEP_2) | instskip(NEXT) | instid1(VALU_DEP_3)
	v_add_f32_e32 v46, v94, v46
	v_add_f32_e32 v8, v8, v93
	v_add_co_u32 v93, vcc_lo, v9, v16
	v_add_co_ci_u32_e32 v94, vcc_lo, v10, v17, vcc_lo
	v_lshlrev_b64 v[90:91], 2, v[90:91]
	s_delay_alu instid0(VALU_DEP_4) | instskip(NEXT) | instid1(VALU_DEP_1)
	v_add_f32_e32 v8, v46, v8
	v_add_f32_e32 v10, v8, v11
	s_delay_alu instid0(VALU_DEP_3) | instskip(NEXT) | instid1(VALU_DEP_4)
	v_add_co_u32 v8, vcc_lo, s4, v90
	v_add_co_ci_u32_e32 v9, vcc_lo, s5, v91, vcc_lo
	v_dual_mov_b32 v90, 0 :: v_dual_mov_b32 v91, 0
	s_and_b32 vcc_lo, exec_lo, s0
	global_store_b32 v[93:94], v10, off
	s_cbranch_vccnz .LBB78_65
; %bb.64:
	v_add_co_u32 v10, vcc_lo, v8, v44
	v_add_co_ci_u32_e32 v11, vcc_lo, v9, v45, vcc_lo
	flat_load_b32 v10, v[10:11]
	s_waitcnt vmcnt(0) lgkmcnt(0)
	v_mul_f32_e32 v91, s13, v10
.LBB78_65:
	v_dual_max_f32 v10, v4, v4 :: v_dual_max_f32 v11, v5, v5
	v_max_f32_e32 v46, v6, v6
	v_mad_i64_i32 v[5:6], null, v92, s1, 0
	v_max_f32_e32 v4, v7, v7
	s_delay_alu instid0(VALU_DEP_4) | instskip(NEXT) | instid1(VALU_DEP_1)
	v_min_f32_e32 v93, v49, v11
	v_dual_min_f32 v7, v47, v10 :: v_dual_add_f32 v88, v93, v88
	s_delay_alu instid0(VALU_DEP_1) | instskip(NEXT) | instid1(VALU_DEP_4)
	v_dual_min_f32 v92, v42, v46 :: v_dual_add_f32 v7, v7, v89
	v_min_f32_e32 v94, v43, v4
	v_lshlrev_b64 v[5:6], 2, v[5:6]
	s_delay_alu instid0(VALU_DEP_2) | instskip(NEXT) | instid1(VALU_DEP_2)
	v_dual_add_f32 v7, v92, v7 :: v_dual_add_f32 v88, v94, v88
	v_add_co_u32 v5, vcc_lo, s3, v5
	s_delay_alu instid0(VALU_DEP_3) | instskip(NEXT) | instid1(VALU_DEP_3)
	v_add_co_ci_u32_e32 v6, vcc_lo, s6, v6, vcc_lo
	v_add_f32_e32 v7, v7, v88
	s_delay_alu instid0(VALU_DEP_3) | instskip(NEXT) | instid1(VALU_DEP_3)
	v_add_co_u32 v88, vcc_lo, v5, v44
	v_add_co_ci_u32_e32 v89, vcc_lo, v6, v45, vcc_lo
	s_delay_alu instid0(VALU_DEP_3)
	v_add_f32_e32 v7, v7, v91
	s_and_b32 vcc_lo, exec_lo, s0
	global_store_b32 v[88:89], v7, off
	s_cbranch_vccnz .LBB78_67
; %bb.66:
	v_add_co_u32 v88, vcc_lo, v8, v40
	v_add_co_ci_u32_e32 v89, vcc_lo, v9, v41, vcc_lo
	flat_load_b32 v7, v[88:89]
	s_waitcnt vmcnt(0) lgkmcnt(0)
	v_mul_f32_e32 v90, s13, v7
.LBB78_67:
	v_dual_min_f32 v7, v51, v11 :: v_dual_min_f32 v88, v50, v10
	v_min_f32_e32 v89, v38, v46
	s_delay_alu instid0(VALU_DEP_2) | instskip(SKIP_3) | instid1(VALU_DEP_3)
	v_dual_add_f32 v7, v7, v86 :: v_dual_add_f32 v86, v88, v87
	v_min_f32_e32 v91, v39, v4
	v_add_co_u32 v87, vcc_lo, v5, v40
	v_add_co_ci_u32_e32 v88, vcc_lo, v6, v41, vcc_lo
	v_dual_add_f32 v86, v89, v86 :: v_dual_add_f32 v7, v91, v7
	s_and_b32 vcc_lo, exec_lo, s0
	s_delay_alu instid0(VALU_DEP_1) | instskip(NEXT) | instid1(VALU_DEP_1)
	v_dual_add_f32 v7, v86, v7 :: v_dual_mov_b32 v86, 0
	v_add_f32_e32 v89, v7, v90
	v_mov_b32_e32 v7, 0
	global_store_b32 v[87:88], v89, off
	s_cbranch_vccnz .LBB78_69
; %bb.68:
	v_add_co_u32 v86, vcc_lo, v8, v36
	v_add_co_ci_u32_e32 v87, vcc_lo, v9, v37, vcc_lo
	flat_load_b32 v86, v[86:87]
	s_waitcnt vmcnt(0) lgkmcnt(0)
	v_mul_f32_e32 v86, s13, v86
.LBB78_69:
	v_dual_min_f32 v87, v53, v11 :: v_dual_min_f32 v88, v52, v10
	v_dual_min_f32 v89, v34, v46 :: v_dual_min_f32 v90, v35, v4
	s_delay_alu instid0(VALU_DEP_2) | instskip(NEXT) | instid1(VALU_DEP_1)
	v_dual_add_f32 v84, v87, v84 :: v_dual_add_f32 v85, v88, v85
	v_dual_add_f32 v84, v90, v84 :: v_dual_add_f32 v85, v89, v85
	s_delay_alu instid0(VALU_DEP_1) | instskip(NEXT) | instid1(VALU_DEP_1)
	v_add_f32_e32 v84, v85, v84
	v_add_f32_e32 v86, v84, v86
	v_add_co_u32 v84, vcc_lo, v5, v36
	v_add_co_ci_u32_e32 v85, vcc_lo, v6, v37, vcc_lo
	s_and_b32 vcc_lo, exec_lo, s0
	global_store_b32 v[84:85], v86, off
	s_cbranch_vccnz .LBB78_71
; %bb.70:
	v_add_co_u32 v84, vcc_lo, v8, v32
	v_add_co_ci_u32_e32 v85, vcc_lo, v9, v33, vcc_lo
	flat_load_b32 v7, v[84:85]
	s_waitcnt vmcnt(0) lgkmcnt(0)
	v_mul_f32_e32 v7, s13, v7
.LBB78_71:
	v_dual_min_f32 v84, v55, v11 :: v_dual_min_f32 v85, v54, v10
	v_dual_min_f32 v86, v30, v46 :: v_dual_min_f32 v87, v31, v4
	s_delay_alu instid0(VALU_DEP_2) | instskip(NEXT) | instid1(VALU_DEP_1)
	v_dual_add_f32 v82, v84, v82 :: v_dual_add_f32 v83, v85, v83
	v_dual_add_f32 v82, v87, v82 :: v_dual_add_f32 v83, v86, v83
	s_delay_alu instid0(VALU_DEP_1) | instskip(SKIP_2) | instid1(VALU_DEP_3)
	v_add_f32_e32 v82, v83, v82
	v_add_co_u32 v83, vcc_lo, v5, v32
	v_add_co_ci_u32_e32 v84, vcc_lo, v6, v33, vcc_lo
	v_dual_add_f32 v85, v82, v7 :: v_dual_mov_b32 v82, 0
	v_mov_b32_e32 v7, 0
	s_and_b32 vcc_lo, exec_lo, s0
	global_store_b32 v[83:84], v85, off
	s_cbranch_vccnz .LBB78_73
; %bb.72:
	v_add_co_u32 v82, vcc_lo, v8, v28
	v_add_co_ci_u32_e32 v83, vcc_lo, v9, v29, vcc_lo
	flat_load_b32 v82, v[82:83]
	s_waitcnt vmcnt(0) lgkmcnt(0)
	v_mul_f32_e32 v82, s13, v82
.LBB78_73:
	v_dual_min_f32 v83, v70, v11 :: v_dual_min_f32 v86, v27, v4
	s_delay_alu instid0(VALU_DEP_1) | instskip(SKIP_1) | instid1(VALU_DEP_1)
	v_dual_min_f32 v85, v26, v46 :: v_dual_add_f32 v80, v83, v80
	v_min_f32_e32 v84, v58, v10
	v_dual_add_f32 v80, v86, v80 :: v_dual_add_f32 v81, v84, v81
	s_delay_alu instid0(VALU_DEP_1) | instskip(NEXT) | instid1(VALU_DEP_1)
	v_add_f32_e32 v81, v85, v81
	v_add_f32_e32 v80, v81, v80
	s_delay_alu instid0(VALU_DEP_1)
	v_add_f32_e32 v82, v80, v82
	v_add_co_u32 v80, vcc_lo, v5, v28
	v_add_co_ci_u32_e32 v81, vcc_lo, v6, v29, vcc_lo
	s_and_b32 vcc_lo, exec_lo, s0
	global_store_b32 v[80:81], v82, off
	s_cbranch_vccnz .LBB78_75
; %bb.74:
	v_add_co_u32 v80, vcc_lo, v8, v24
	v_add_co_ci_u32_e32 v81, vcc_lo, v9, v25, vcc_lo
	flat_load_b32 v7, v[80:81]
	s_waitcnt vmcnt(0) lgkmcnt(0)
	v_mul_f32_e32 v7, s13, v7
.LBB78_75:
	v_dual_min_f32 v80, v113, v11 :: v_dual_min_f32 v81, v112, v10
	v_dual_min_f32 v82, v22, v46 :: v_dual_min_f32 v83, v23, v4
	s_delay_alu instid0(VALU_DEP_2) | instskip(NEXT) | instid1(VALU_DEP_3)
	v_add_f32_e32 v77, v80, v77
	v_add_f32_e32 v79, v81, v79
	s_delay_alu instid0(VALU_DEP_2) | instskip(NEXT) | instid1(VALU_DEP_2)
	v_add_f32_e32 v77, v83, v77
	v_add_f32_e32 v79, v82, v79
	s_delay_alu instid0(VALU_DEP_1) | instskip(SKIP_2) | instid1(VALU_DEP_3)
	v_add_f32_e32 v77, v79, v77
	v_add_co_u32 v79, vcc_lo, v5, v24
	v_add_co_ci_u32_e32 v80, vcc_lo, v6, v25, vcc_lo
	v_add_f32_e32 v81, v77, v7
	v_mov_b32_e32 v7, 0
	v_mov_b32_e32 v77, 0
	s_and_b32 vcc_lo, exec_lo, s0
	global_store_b32 v[79:80], v81, off
	s_cbranch_vccnz .LBB78_77
; %bb.76:
	v_add_co_u32 v79, vcc_lo, v8, v20
	v_add_co_ci_u32_e32 v80, vcc_lo, v9, v21, vcc_lo
	flat_load_b32 v77, v[79:80]
	s_waitcnt vmcnt(0) lgkmcnt(0)
	v_mul_f32_e32 v77, s13, v77
.LBB78_77:
	v_dual_min_f32 v79, v111, v11 :: v_dual_min_f32 v80, v110, v10
	v_dual_min_f32 v81, v18, v46 :: v_dual_min_f32 v82, v19, v4
	s_delay_alu instid0(VALU_DEP_2) | instskip(NEXT) | instid1(VALU_DEP_3)
	v_add_f32_e32 v76, v79, v76
	v_add_f32_e32 v78, v80, v78
	s_delay_alu instid0(VALU_DEP_2) | instskip(NEXT) | instid1(VALU_DEP_2)
	v_add_f32_e32 v76, v82, v76
	v_add_f32_e32 v78, v81, v78
	s_delay_alu instid0(VALU_DEP_1) | instskip(NEXT) | instid1(VALU_DEP_1)
	v_add_f32_e32 v76, v78, v76
	v_add_f32_e32 v78, v76, v77
	v_add_co_u32 v76, vcc_lo, v5, v20
	v_add_co_ci_u32_e32 v77, vcc_lo, v6, v21, vcc_lo
	s_and_b32 vcc_lo, exec_lo, s0
	global_store_b32 v[76:77], v78, off
	s_cbranch_vccnz .LBB78_79
; %bb.78:
	v_add_co_u32 v7, vcc_lo, v8, v16
	v_add_co_ci_u32_e32 v8, vcc_lo, v9, v17, vcc_lo
	flat_load_b32 v7, v[7:8]
	s_waitcnt vmcnt(0) lgkmcnt(0)
	v_mul_f32_e32 v7, s13, v7
.LBB78_79:
	v_dual_min_f32 v8, v12, v10 :: v_dual_add_nc_u32 v9, 0x60, v48
	v_min_f32_e32 v10, v13, v11
	v_min_f32_e32 v46, v14, v46
	;; [unrolled: 1-line block ×3, first 2 shown]
	s_delay_alu instid0(VALU_DEP_4) | instskip(NEXT) | instid1(VALU_DEP_4)
	v_add_f32_e32 v8, v8, v75
	v_add_f32_e32 v48, v10, v74
	v_mad_i64_i32 v[10:11], null, v9, s8, 0
	s_delay_alu instid0(VALU_DEP_3) | instskip(SKIP_1) | instid1(VALU_DEP_4)
	v_add_f32_e32 v8, v46, v8
	v_add_co_u32 v74, vcc_lo, v5, v16
	v_add_f32_e32 v4, v4, v48
	v_add_co_ci_u32_e32 v75, vcc_lo, v6, v17, vcc_lo
	v_lshlrev_b64 v[10:11], 2, v[10:11]
	s_delay_alu instid0(VALU_DEP_3) | instskip(SKIP_1) | instid1(VALU_DEP_2)
	v_add_f32_e32 v4, v8, v4
	v_mov_b32_e32 v8, 0
	v_add_f32_e32 v6, v4, v7
	s_delay_alu instid0(VALU_DEP_4)
	v_add_co_u32 v4, vcc_lo, s4, v10
	v_add_co_ci_u32_e32 v5, vcc_lo, s5, v11, vcc_lo
	v_mov_b32_e32 v10, 0
	s_and_b32 vcc_lo, exec_lo, s0
	global_store_b32 v[74:75], v6, off
	s_cbranch_vccnz .LBB78_81
; %bb.80:
	v_add_co_u32 v6, vcc_lo, v4, v44
	v_add_co_ci_u32_e32 v7, vcc_lo, v5, v45, vcc_lo
	flat_load_b32 v6, v[6:7]
	s_waitcnt vmcnt(0) lgkmcnt(0)
	v_mul_f32_e32 v10, s13, v6
.LBB78_81:
	v_dual_max_f32 v0, v0, v0 :: v_dual_max_f32 v1, v1, v1
	v_dual_max_f32 v2, v2, v2 :: v_dual_max_f32 v3, v3, v3
	v_mad_i64_i32 v[6:7], null, v9, s1, 0
	s_delay_alu instid0(VALU_DEP_3) | instskip(NEXT) | instid1(VALU_DEP_3)
	v_dual_min_f32 v11, v47, v0 :: v_dual_min_f32 v46, v49, v1
	v_dual_min_f32 v9, v42, v2 :: v_dual_min_f32 v42, v43, v3
	s_delay_alu instid0(VALU_DEP_2) | instskip(NEXT) | instid1(VALU_DEP_3)
	v_add_f32_e32 v43, v46, v69
	v_add_f32_e32 v11, v11, v73
	v_lshlrev_b64 v[6:7], 2, v[6:7]
	s_delay_alu instid0(VALU_DEP_3) | instskip(NEXT) | instid1(VALU_DEP_3)
	v_add_f32_e32 v42, v42, v43
	v_add_f32_e32 v9, v9, v11
	s_delay_alu instid0(VALU_DEP_3) | instskip(NEXT) | instid1(VALU_DEP_4)
	v_add_co_u32 v6, vcc_lo, s3, v6
	v_add_co_ci_u32_e32 v7, vcc_lo, s6, v7, vcc_lo
	s_delay_alu instid0(VALU_DEP_3) | instskip(NEXT) | instid1(VALU_DEP_1)
	v_add_f32_e32 v9, v9, v42
	v_add_f32_e32 v11, v9, v10
	s_delay_alu instid0(VALU_DEP_4) | instskip(NEXT) | instid1(VALU_DEP_4)
	v_add_co_u32 v9, vcc_lo, v6, v44
	v_add_co_ci_u32_e32 v10, vcc_lo, v7, v45, vcc_lo
	s_and_b32 vcc_lo, exec_lo, s0
	global_store_b32 v[9:10], v11, off
	s_cbranch_vccnz .LBB78_83
; %bb.82:
	v_add_co_u32 v8, vcc_lo, v4, v40
	v_add_co_ci_u32_e32 v9, vcc_lo, v5, v41, vcc_lo
	flat_load_b32 v8, v[8:9]
	s_waitcnt vmcnt(0) lgkmcnt(0)
	v_mul_f32_e32 v8, s13, v8
.LBB78_83:
	v_dual_min_f32 v9, v51, v1 :: v_dual_min_f32 v10, v50, v0
	v_dual_min_f32 v11, v38, v2 :: v_dual_min_f32 v38, v39, v3
	s_delay_alu instid0(VALU_DEP_2) | instskip(NEXT) | instid1(VALU_DEP_1)
	v_dual_add_f32 v9, v9, v71 :: v_dual_add_f32 v10, v10, v72
	v_dual_add_f32 v9, v38, v9 :: v_dual_add_f32 v10, v11, v10
	s_delay_alu instid0(VALU_DEP_1) | instskip(SKIP_2) | instid1(VALU_DEP_3)
	v_add_f32_e32 v9, v10, v9
	v_add_co_u32 v10, vcc_lo, v6, v40
	v_add_co_ci_u32_e32 v11, vcc_lo, v7, v41, vcc_lo
	v_dual_add_f32 v38, v9, v8 :: v_dual_mov_b32 v9, 0
	v_mov_b32_e32 v8, 0
	s_and_b32 vcc_lo, exec_lo, s0
	global_store_b32 v[10:11], v38, off
	s_cbranch_vccnz .LBB78_85
; %bb.84:
	v_add_co_u32 v9, vcc_lo, v4, v36
	v_add_co_ci_u32_e32 v10, vcc_lo, v5, v37, vcc_lo
	flat_load_b32 v9, v[9:10]
	s_waitcnt vmcnt(0) lgkmcnt(0)
	v_mul_f32_e32 v9, s13, v9
.LBB78_85:
	v_dual_min_f32 v10, v53, v1 :: v_dual_min_f32 v11, v52, v0
	v_dual_min_f32 v34, v34, v2 :: v_dual_min_f32 v35, v35, v3
	s_delay_alu instid0(VALU_DEP_2) | instskip(NEXT) | instid1(VALU_DEP_1)
	v_dual_add_f32 v10, v10, v66 :: v_dual_add_f32 v11, v11, v68
	v_dual_add_f32 v10, v35, v10 :: v_dual_add_f32 v11, v34, v11
	s_delay_alu instid0(VALU_DEP_1) | instskip(NEXT) | instid1(VALU_DEP_1)
	v_add_f32_e32 v10, v11, v10
	v_add_f32_e32 v11, v10, v9
	v_add_co_u32 v9, vcc_lo, v6, v36
	v_add_co_ci_u32_e32 v10, vcc_lo, v7, v37, vcc_lo
	s_and_b32 vcc_lo, exec_lo, s0
	global_store_b32 v[9:10], v11, off
	s_cbranch_vccnz .LBB78_87
; %bb.86:
	v_add_co_u32 v8, vcc_lo, v4, v32
	v_add_co_ci_u32_e32 v9, vcc_lo, v5, v33, vcc_lo
	flat_load_b32 v8, v[8:9]
	s_waitcnt vmcnt(0) lgkmcnt(0)
	v_mul_f32_e32 v8, s13, v8
.LBB78_87:
	v_dual_min_f32 v9, v55, v1 :: v_dual_min_f32 v10, v54, v0
	v_dual_min_f32 v11, v30, v2 :: v_dual_min_f32 v30, v31, v3
	s_delay_alu instid0(VALU_DEP_2) | instskip(NEXT) | instid1(VALU_DEP_1)
	v_dual_add_f32 v9, v9, v65 :: v_dual_add_f32 v10, v10, v67
	v_dual_add_f32 v9, v30, v9 :: v_dual_add_f32 v10, v11, v10
	s_delay_alu instid0(VALU_DEP_1) | instskip(SKIP_2) | instid1(VALU_DEP_3)
	v_add_f32_e32 v9, v10, v9
	v_add_co_u32 v10, vcc_lo, v6, v32
	v_add_co_ci_u32_e32 v11, vcc_lo, v7, v33, vcc_lo
	v_dual_add_f32 v30, v9, v8 :: v_dual_mov_b32 v9, 0
	v_mov_b32_e32 v8, 0
	s_and_b32 vcc_lo, exec_lo, s0
	global_store_b32 v[10:11], v30, off
	s_cbranch_vccnz .LBB78_89
; %bb.88:
	v_add_co_u32 v9, vcc_lo, v4, v28
	v_add_co_ci_u32_e32 v10, vcc_lo, v5, v29, vcc_lo
	flat_load_b32 v9, v[9:10]
	s_waitcnt vmcnt(0) lgkmcnt(0)
	v_mul_f32_e32 v9, s13, v9
.LBB78_89:
	v_dual_min_f32 v10, v70, v1 :: v_dual_min_f32 v27, v27, v3
	s_delay_alu instid0(VALU_DEP_1) | instskip(NEXT) | instid1(VALU_DEP_1)
	v_add_f32_e32 v10, v10, v63
	v_dual_min_f32 v11, v58, v0 :: v_dual_add_f32 v10, v27, v10
	s_delay_alu instid0(VALU_DEP_1) | instskip(NEXT) | instid1(VALU_DEP_1)
	v_dual_min_f32 v26, v26, v2 :: v_dual_add_f32 v11, v11, v64
	v_add_f32_e32 v11, v26, v11
	s_delay_alu instid0(VALU_DEP_1) | instskip(NEXT) | instid1(VALU_DEP_1)
	v_add_f32_e32 v10, v11, v10
	v_add_f32_e32 v11, v10, v9
	v_add_co_u32 v9, vcc_lo, v6, v28
	v_add_co_ci_u32_e32 v10, vcc_lo, v7, v29, vcc_lo
	s_and_b32 vcc_lo, exec_lo, s0
	global_store_b32 v[9:10], v11, off
	s_cbranch_vccnz .LBB78_91
; %bb.90:
	v_add_co_u32 v8, vcc_lo, v4, v24
	v_add_co_ci_u32_e32 v9, vcc_lo, v5, v25, vcc_lo
	flat_load_b32 v8, v[8:9]
	s_waitcnt vmcnt(0) lgkmcnt(0)
	v_mul_f32_e32 v8, s13, v8
.LBB78_91:
	v_dual_min_f32 v9, v113, v1 :: v_dual_min_f32 v10, v112, v0
	v_dual_min_f32 v11, v22, v2 :: v_dual_min_f32 v22, v23, v3
	v_min_f32_e32 v23, v111, v1
	s_delay_alu instid0(VALU_DEP_3) | instskip(NEXT) | instid1(VALU_DEP_4)
	v_dual_add_f32 v9, v9, v59 :: v_dual_min_f32 v26, v110, v0
	v_add_f32_e32 v10, v10, v62
	s_delay_alu instid0(VALU_DEP_3) | instskip(NEXT) | instid1(VALU_DEP_2)
	v_dual_min_f32 v18, v18, v2 :: v_dual_add_f32 v23, v23, v61
	v_dual_add_f32 v9, v22, v9 :: v_dual_add_f32 v10, v11, v10
	v_min_f32_e32 v11, v19, v3
	v_add_f32_e32 v19, v26, v60
	s_delay_alu instid0(VALU_DEP_2) | instskip(NEXT) | instid1(VALU_DEP_2)
	v_dual_add_f32 v22, v10, v9 :: v_dual_add_f32 v11, v11, v23
	v_add_f32_e32 v18, v18, v19
	v_add_co_u32 v9, vcc_lo, v6, v24
	v_add_co_ci_u32_e32 v10, vcc_lo, v7, v25, vcc_lo
	s_delay_alu instid0(VALU_DEP_4) | instskip(NEXT) | instid1(VALU_DEP_4)
	v_add_f32_e32 v19, v22, v8
	v_add_f32_e32 v8, v18, v11
	s_mov_b32 vcc_lo, s2
	global_store_b32 v[9:10], v19, off
	s_cbranch_vccz .LBB78_94
; %bb.92:
	v_add_co_u32 v9, vcc_lo, v6, v20
	v_add_f32_e32 v11, 0, v8
	v_add_co_ci_u32_e32 v10, vcc_lo, v7, v21, vcc_lo
	s_mov_b32 s0, 0
	global_store_b32 v[9:10], v11, off
	s_cbranch_execz .LBB78_95
; %bb.93:
	v_mov_b32_e32 v4, s0
	s_branch .LBB78_96
.LBB78_94:
	s_mov_b32 s0, -1
.LBB78_95:
	v_add_co_u32 v9, vcc_lo, v4, v20
	v_add_co_ci_u32_e32 v10, vcc_lo, v5, v21, vcc_lo
	flat_load_b32 v11, v[9:10]
	v_add_co_u32 v9, vcc_lo, v6, v20
	v_add_co_ci_u32_e32 v10, vcc_lo, v7, v21, vcc_lo
	v_add_co_u32 v4, vcc_lo, v4, v16
	v_add_co_ci_u32_e32 v5, vcc_lo, v5, v17, vcc_lo
	s_waitcnt vmcnt(0) lgkmcnt(0)
	v_fmac_f32_e32 v8, s13, v11
	global_store_b32 v[9:10], v8, off
	flat_load_b32 v4, v[4:5]
	s_waitcnt vmcnt(0) lgkmcnt(0)
	v_mul_f32_e32 v4, s13, v4
.LBB78_96:
	v_dual_min_f32 v1, v13, v1 :: v_dual_min_f32 v0, v12, v0
	v_dual_min_f32 v2, v14, v2 :: v_dual_min_f32 v3, v15, v3
	s_delay_alu instid0(VALU_DEP_2) | instskip(NEXT) | instid1(VALU_DEP_1)
	v_dual_add_f32 v1, v1, v56 :: v_dual_add_f32 v0, v0, v57
	v_dual_add_f32 v1, v3, v1 :: v_dual_add_f32 v0, v2, v0
	s_delay_alu instid0(VALU_DEP_1) | instskip(NEXT) | instid1(VALU_DEP_1)
	v_add_f32_e32 v0, v0, v1
	v_add_f32_e32 v2, v0, v4
	v_add_co_u32 v0, vcc_lo, v6, v16
	v_add_co_ci_u32_e32 v1, vcc_lo, v7, v17, vcc_lo
	global_store_b32 v[0:1], v2, off
	s_nop 0
	s_sendmsg sendmsg(MSG_DEALLOC_VGPRS)
	s_endpgm
	.section	.rodata,"a",@progbits
	.p2align	6, 0x0
	.amdhsa_kernel _ZN12_GLOBAL__N_120geam_min_plus_kernelIf15HIP_vector_typeIfLj2EES2_Li8ELi32ELi64ELi128ELi4ELi64ELi4ELi4ELi64ELc78ELc78ELb0ELb0ELb0EPKfS3_fEEviiiT16_PT17_ilS7_ilS5_S7_ilPT18_ili26rocblas_geam_ex_operation_
		.amdhsa_group_segment_fixed_size 6144
		.amdhsa_private_segment_fixed_size 0
		.amdhsa_kernarg_size 136
		.amdhsa_user_sgpr_count 14
		.amdhsa_user_sgpr_dispatch_ptr 0
		.amdhsa_user_sgpr_queue_ptr 0
		.amdhsa_user_sgpr_kernarg_segment_ptr 1
		.amdhsa_user_sgpr_dispatch_id 0
		.amdhsa_user_sgpr_private_segment_size 0
		.amdhsa_wavefront_size32 1
		.amdhsa_uses_dynamic_stack 0
		.amdhsa_enable_private_segment 0
		.amdhsa_system_sgpr_workgroup_id_x 1
		.amdhsa_system_sgpr_workgroup_id_y 0
		.amdhsa_system_sgpr_workgroup_id_z 1
		.amdhsa_system_sgpr_workgroup_info 0
		.amdhsa_system_vgpr_workitem_id 1
		.amdhsa_next_free_vgpr 228
		.amdhsa_next_free_sgpr 23
		.amdhsa_reserve_vcc 1
		.amdhsa_float_round_mode_32 0
		.amdhsa_float_round_mode_16_64 0
		.amdhsa_float_denorm_mode_32 3
		.amdhsa_float_denorm_mode_16_64 3
		.amdhsa_dx10_clamp 1
		.amdhsa_ieee_mode 1
		.amdhsa_fp16_overflow 0
		.amdhsa_workgroup_processor_mode 1
		.amdhsa_memory_ordered 1
		.amdhsa_forward_progress 0
		.amdhsa_shared_vgpr_count 0
		.amdhsa_exception_fp_ieee_invalid_op 0
		.amdhsa_exception_fp_denorm_src 0
		.amdhsa_exception_fp_ieee_div_zero 0
		.amdhsa_exception_fp_ieee_overflow 0
		.amdhsa_exception_fp_ieee_underflow 0
		.amdhsa_exception_fp_ieee_inexact 0
		.amdhsa_exception_int_div_zero 0
	.end_amdhsa_kernel
	.section	.text._ZN12_GLOBAL__N_120geam_min_plus_kernelIf15HIP_vector_typeIfLj2EES2_Li8ELi32ELi64ELi128ELi4ELi64ELi4ELi4ELi64ELc78ELc78ELb0ELb0ELb0EPKfS3_fEEviiiT16_PT17_ilS7_ilS5_S7_ilPT18_ili26rocblas_geam_ex_operation_,"axG",@progbits,_ZN12_GLOBAL__N_120geam_min_plus_kernelIf15HIP_vector_typeIfLj2EES2_Li8ELi32ELi64ELi128ELi4ELi64ELi4ELi4ELi64ELc78ELc78ELb0ELb0ELb0EPKfS3_fEEviiiT16_PT17_ilS7_ilS5_S7_ilPT18_ili26rocblas_geam_ex_operation_,comdat
.Lfunc_end78:
	.size	_ZN12_GLOBAL__N_120geam_min_plus_kernelIf15HIP_vector_typeIfLj2EES2_Li8ELi32ELi64ELi128ELi4ELi64ELi4ELi4ELi64ELc78ELc78ELb0ELb0ELb0EPKfS3_fEEviiiT16_PT17_ilS7_ilS5_S7_ilPT18_ili26rocblas_geam_ex_operation_, .Lfunc_end78-_ZN12_GLOBAL__N_120geam_min_plus_kernelIf15HIP_vector_typeIfLj2EES2_Li8ELi32ELi64ELi128ELi4ELi64ELi4ELi4ELi64ELc78ELc78ELb0ELb0ELb0EPKfS3_fEEviiiT16_PT17_ilS7_ilS5_S7_ilPT18_ili26rocblas_geam_ex_operation_
                                        ; -- End function
	.section	.AMDGPU.csdata,"",@progbits
; Kernel info:
; codeLenInByte = 10360
; NumSgprs: 25
; NumVgprs: 228
; ScratchSize: 0
; MemoryBound: 0
; FloatMode: 240
; IeeeMode: 1
; LDSByteSize: 6144 bytes/workgroup (compile time only)
; SGPRBlocks: 3
; VGPRBlocks: 28
; NumSGPRsForWavesPerEU: 25
; NumVGPRsForWavesPerEU: 228
; Occupancy: 6
; WaveLimiterHint : 0
; COMPUTE_PGM_RSRC2:SCRATCH_EN: 0
; COMPUTE_PGM_RSRC2:USER_SGPR: 14
; COMPUTE_PGM_RSRC2:TRAP_HANDLER: 0
; COMPUTE_PGM_RSRC2:TGID_X_EN: 1
; COMPUTE_PGM_RSRC2:TGID_Y_EN: 0
; COMPUTE_PGM_RSRC2:TGID_Z_EN: 1
; COMPUTE_PGM_RSRC2:TIDIG_COMP_CNT: 1
	.section	.text._ZN12_GLOBAL__N_120geam_min_plus_kernelIf15HIP_vector_typeIfLj2EES2_Li8ELi32ELi64ELi128ELi4ELi64ELi4ELi4ELi64ELc78ELc78ELb1ELb0ELb0EfKffEEviiiT16_PT17_ilS6_ilS4_S6_ilPT18_ili26rocblas_geam_ex_operation_,"axG",@progbits,_ZN12_GLOBAL__N_120geam_min_plus_kernelIf15HIP_vector_typeIfLj2EES2_Li8ELi32ELi64ELi128ELi4ELi64ELi4ELi4ELi64ELc78ELc78ELb1ELb0ELb0EfKffEEviiiT16_PT17_ilS6_ilS4_S6_ilPT18_ili26rocblas_geam_ex_operation_,comdat
	.globl	_ZN12_GLOBAL__N_120geam_min_plus_kernelIf15HIP_vector_typeIfLj2EES2_Li8ELi32ELi64ELi128ELi4ELi64ELi4ELi4ELi64ELc78ELc78ELb1ELb0ELb0EfKffEEviiiT16_PT17_ilS6_ilS4_S6_ilPT18_ili26rocblas_geam_ex_operation_ ; -- Begin function _ZN12_GLOBAL__N_120geam_min_plus_kernelIf15HIP_vector_typeIfLj2EES2_Li8ELi32ELi64ELi128ELi4ELi64ELi4ELi4ELi64ELc78ELc78ELb1ELb0ELb0EfKffEEviiiT16_PT17_ilS6_ilS4_S6_ilPT18_ili26rocblas_geam_ex_operation_
	.p2align	8
	.type	_ZN12_GLOBAL__N_120geam_min_plus_kernelIf15HIP_vector_typeIfLj2EES2_Li8ELi32ELi64ELi128ELi4ELi64ELi4ELi4ELi64ELc78ELc78ELb1ELb0ELb0EfKffEEviiiT16_PT17_ilS6_ilS4_S6_ilPT18_ili26rocblas_geam_ex_operation_,@function
_ZN12_GLOBAL__N_120geam_min_plus_kernelIf15HIP_vector_typeIfLj2EES2_Li8ELi32ELi64ELi128ELi4ELi64ELi4ELi4ELi64ELc78ELc78ELb1ELb0ELb0EfKffEEviiiT16_PT17_ilS6_ilS4_S6_ilPT18_ili26rocblas_geam_ex_operation_: ; @_ZN12_GLOBAL__N_120geam_min_plus_kernelIf15HIP_vector_typeIfLj2EES2_Li8ELi32ELi64ELi128ELi4ELi64ELi4ELi4ELi64ELc78ELc78ELb1ELb0ELb0EfKffEEviiiT16_PT17_ilS6_ilS4_S6_ilPT18_ili26rocblas_geam_ex_operation_
; %bb.0:
	s_clause 0x1
	s_load_b64 s[8:9], s[0:1], 0x8
	s_load_b128 s[4:7], s[0:1], 0x20
	s_waitcnt lgkmcnt(0)
	v_cmp_eq_f32_e64 s2, s9, 0
	s_delay_alu instid0(VALU_DEP_1)
	s_and_b32 vcc_lo, exec_lo, s2
	s_cbranch_vccnz .LBB79_3
; %bb.1:
	s_load_b64 s[10:11], s[0:1], 0x10
	s_mul_i32 s3, s15, s5
	s_mul_hi_u32 s5, s15, s4
	s_mul_i32 s4, s15, s4
	s_add_i32 s5, s5, s3
	s_delay_alu instid0(SALU_CYCLE_1)
	s_lshl_b64 s[4:5], s[4:5], 2
	s_waitcnt lgkmcnt(0)
	s_add_u32 s10, s10, s4
	s_addc_u32 s11, s11, s5
	s_and_not1_b32 vcc_lo, exec_lo, s2
	s_cbranch_vccnz .LBB79_4
.LBB79_2:
	s_mov_b32 s19, 0
	s_mov_b64 s[12:13], 0
	s_cbranch_execz .LBB79_5
	s_branch .LBB79_6
.LBB79_3:
	s_mov_b64 s[10:11], 0
	s_and_not1_b32 vcc_lo, exec_lo, s2
	s_cbranch_vccz .LBB79_2
.LBB79_4:
	s_mov_b32 s19, -1
                                        ; implicit-def: $sgpr12_sgpr13
.LBB79_5:
	s_load_b64 s[2:3], s[0:1], 0x38
	s_mov_b32 s19, 0
	s_waitcnt lgkmcnt(0)
	s_mul_i32 s3, s15, s3
	s_mul_hi_u32 s4, s15, s2
	s_mul_i32 s2, s15, s2
	s_add_i32 s3, s4, s3
	s_delay_alu instid0(SALU_CYCLE_1) | instskip(NEXT) | instid1(SALU_CYCLE_1)
	s_lshl_b64 s[2:3], s[2:3], 2
	s_add_u32 s12, s6, s2
	s_addc_u32 s13, s7, s3
.LBB79_6:
	s_clause 0x1
	s_load_b32 s18, s[0:1], 0x40
	s_load_b128 s[4:7], s[0:1], 0x58
	s_waitcnt lgkmcnt(0)
	v_cmp_eq_f32_e64 s2, s18, 0
	s_delay_alu instid0(VALU_DEP_1) | instskip(NEXT) | instid1(SALU_CYCLE_1)
	s_and_b32 s2, exec_lo, s2
	s_mov_b32 vcc_lo, s2
	s_cbranch_vccnz .LBB79_8
; %bb.7:
	s_load_b64 s[16:17], s[0:1], 0x48
	s_mul_i32 s3, s15, s5
	s_mul_hi_u32 s5, s15, s4
	s_delay_alu instid0(SALU_CYCLE_1) | instskip(SKIP_3) | instid1(SALU_CYCLE_1)
	s_add_i32 s3, s5, s3
	s_mul_i32 s5, s19, s4
	s_mul_i32 s4, s15, s4
	s_add_i32 s5, s3, s5
	s_lshl_b64 s[4:5], s[4:5], 2
	s_waitcnt lgkmcnt(0)
	s_add_u32 s4, s16, s4
	s_addc_u32 s5, s17, s5
	s_branch .LBB79_9
.LBB79_8:
	s_mov_b64 s[4:5], 0
.LBB79_9:
	s_clause 0x2
	s_load_b32 s3, s[0:1], 0x0
	s_load_b32 s16, s[0:1], 0x18
	;; [unrolled: 1-line block ×3, first 2 shown]
	v_and_b32_e32 v56, 0x3ff, v0
	v_bfe_u32 v57, v0, 10, 10
	s_delay_alu instid0(VALU_DEP_2) | instskip(NEXT) | instid1(VALU_DEP_2)
	v_lshlrev_b32_e32 v59, 4, v56
	v_lshl_add_u32 v0, v57, 3, v56
	v_lshlrev_b32_e32 v58, 4, v57
	v_and_b32_e32 v4, 3, v56
	s_delay_alu instid0(VALU_DEP_3) | instskip(SKIP_2) | instid1(VALU_DEP_4)
	v_lshrrev_b32_e32 v6, 6, v0
	v_and_b32_e32 v13, 63, v0
	v_lshrrev_b32_e32 v14, 2, v0
	v_lshlrev_b32_e32 v60, 2, v4
	s_delay_alu instid0(VALU_DEP_4)
	v_add_nc_u32_e32 v18, 4, v6
	s_waitcnt lgkmcnt(0)
	s_add_i32 s3, s3, -1
	v_mad_i64_i32 v[2:3], null, s16, v6, 0
	s_ashr_i32 s17, s3, 31
	v_lshl_or_b32 v61, v14, 4, v60
	s_lshr_b32 s17, s17, 26
	s_delay_alu instid0(SALU_CYCLE_1) | instskip(NEXT) | instid1(SALU_CYCLE_1)
	s_add_i32 s3, s3, s17
	s_ashr_i32 s3, s3, 6
	s_delay_alu instid0(VALU_DEP_2) | instskip(SKIP_3) | instid1(VALU_DEP_2)
	v_lshlrev_b64 v[2:3], 2, v[2:3]
	s_add_i32 s17, s3, 1
	s_not_b32 s3, s3
	v_cvt_f32_u32_e32 v1, s17
	v_add_co_u32 v2, vcc_lo, s10, v2
	s_delay_alu instid0(VALU_DEP_2) | instskip(SKIP_3) | instid1(VALU_DEP_1)
	v_rcp_iflag_f32_e32 v1, v1
	v_add_co_ci_u32_e32 v3, vcc_lo, s11, v3, vcc_lo
	s_waitcnt_depctr 0xfff
	v_mul_f32_e32 v1, 0x4f7ffffe, v1
	v_cvt_u32_f32_e32 v1, v1
	s_delay_alu instid0(VALU_DEP_1) | instskip(NEXT) | instid1(VALU_DEP_1)
	v_readfirstlane_b32 s20, v1
	s_mul_i32 s3, s3, s20
	s_delay_alu instid0(SALU_CYCLE_1) | instskip(NEXT) | instid1(SALU_CYCLE_1)
	s_mul_hi_u32 s3, s20, s3
	s_add_i32 s20, s20, s3
	s_delay_alu instid0(SALU_CYCLE_1) | instskip(NEXT) | instid1(SALU_CYCLE_1)
	s_mul_hi_u32 s3, s14, s20
	s_mul_i32 s20, s3, s17
	s_add_i32 s21, s3, 1
	s_sub_i32 s20, s14, s20
	s_delay_alu instid0(SALU_CYCLE_1)
	s_sub_i32 s22, s20, s17
	s_cmp_ge_u32 s20, s17
	s_cselect_b32 s3, s21, s3
	s_cselect_b32 s20, s22, s20
	s_add_i32 s21, s3, 1
	s_cmp_ge_u32 s20, s17
	s_cselect_b32 s20, s21, s3
	s_delay_alu instid0(SALU_CYCLE_1)
	s_mul_i32 s3, s20, s17
	v_add_co_u32 v9, s17, s12, v60
	s_sub_i32 s3, s14, s3
	s_lshl_b32 s14, s20, 7
	s_lshl_b32 s3, s3, 6
	v_add_nc_u32_e32 v5, s14, v14
	v_or_b32_e32 v0, s3, v13
	v_add_co_ci_u32_e64 v10, null, s13, 0, s17
	s_cmp_lt_i32 s8, 9
	s_delay_alu instid0(VALU_DEP_3) | instskip(NEXT) | instid1(VALU_DEP_3)
	v_add_nc_u32_e32 v11, 64, v5
	v_ashrrev_i32_e32 v1, 31, v0
	s_delay_alu instid0(VALU_DEP_1) | instskip(NEXT) | instid1(VALU_DEP_1)
	v_lshlrev_b64 v[0:1], 2, v[0:1]
	v_add_co_u32 v2, vcc_lo, v2, v0
	s_delay_alu instid0(VALU_DEP_2) | instskip(SKIP_3) | instid1(VALU_DEP_2)
	v_add_co_ci_u32_e32 v3, vcc_lo, v3, v1, vcc_lo
	flat_load_b32 v15, v[2:3]
	v_mad_i64_i32 v[2:3], null, v5, s9, 0
	v_mad_i64_i32 v[4:5], null, v11, s9, 0
	v_lshlrev_b64 v[2:3], 2, v[2:3]
	s_delay_alu instid0(VALU_DEP_2) | instskip(NEXT) | instid1(VALU_DEP_2)
	v_lshlrev_b64 v[4:5], 2, v[4:5]
	v_add_co_u32 v7, vcc_lo, v9, v2
	s_delay_alu instid0(VALU_DEP_3) | instskip(NEXT) | instid1(VALU_DEP_3)
	v_add_co_ci_u32_e32 v8, vcc_lo, v10, v3, vcc_lo
	v_add_co_u32 v11, vcc_lo, v9, v4
	s_delay_alu instid0(VALU_DEP_4) | instskip(SKIP_4) | instid1(VALU_DEP_1)
	v_add_co_ci_u32_e32 v12, vcc_lo, v10, v5, vcc_lo
	flat_load_b32 v16, v[7:8]
	v_mad_i64_i32 v[9:10], null, s16, v18, 0
	flat_load_b32 v17, v[11:12]
	v_lshlrev_b64 v[9:10], 2, v[9:10]
	v_add_co_u32 v9, vcc_lo, s10, v9
	s_delay_alu instid0(VALU_DEP_2) | instskip(NEXT) | instid1(VALU_DEP_2)
	v_add_co_ci_u32_e32 v10, vcc_lo, s11, v10, vcc_lo
	v_add_co_u32 v9, vcc_lo, v9, v0
	s_delay_alu instid0(VALU_DEP_2)
	v_add_co_ci_u32_e32 v10, vcc_lo, v10, v1, vcc_lo
	flat_load_b32 v10, v[9:10]
	s_clause 0x1
	flat_load_b32 v8, v[7:8] offset:16
	flat_load_b32 v9, v[11:12] offset:16
	v_lshlrev_b32_e32 v7, 4, v13
	s_delay_alu instid0(VALU_DEP_1)
	v_lshl_add_u32 v7, v6, 2, v7
	s_waitcnt vmcnt(5) lgkmcnt(5)
	ds_store_b32 v7, v15 offset:4096
	s_waitcnt vmcnt(3) lgkmcnt(4)
	ds_store_2addr_stride64_b32 v61, v16, v17 offset1:4
	s_waitcnt vmcnt(0) lgkmcnt(0)
	s_barrier
	buffer_gl0_inv
	ds_load_b128 v[11:14], v59 offset:4096
	ds_load_b128 v[15:18], v59 offset:4224
	;; [unrolled: 1-line block ×8, first 2 shown]
	ds_load_b128 v[43:46], v58
	ds_load_b128 v[47:50], v58 offset:512
	ds_load_b128 v[51:54], v58 offset:1024
	;; [unrolled: 1-line block ×3, first 2 shown]
	ds_store_b32 v7, v10 offset:5120
	ds_store_2addr_stride64_b32 v61, v8, v9 offset0:8 offset1:12
	s_waitcnt lgkmcnt(5)
	v_max_f32_e32 v43, v43, v43
	v_dual_max_f32 v19, v19, v19 :: v_dual_max_f32 v20, v20, v20
	v_max_f32_e32 v44, v44, v44
	v_dual_max_f32 v24, v24, v24 :: v_dual_max_f32 v23, v23, v23
	s_delay_alu instid0(VALU_DEP_3) | instskip(NEXT) | instid1(VALU_DEP_3)
	v_min_f32_e32 v69, v19, v43
	v_dual_max_f32 v11, v11, v11 :: v_dual_min_f32 v70, v20, v44
	s_delay_alu instid0(VALU_DEP_3) | instskip(NEXT) | instid1(VALU_DEP_3)
	v_dual_min_f32 v72, v24, v44 :: v_dual_min_f32 v71, v23, v43
	v_dual_add_f32 v69, 0, v69 :: v_dual_max_f32 v28, v28, v28
	s_delay_alu instid0(VALU_DEP_2) | instskip(NEXT) | instid1(VALU_DEP_3)
	v_dual_max_f32 v27, v27, v27 :: v_dual_add_f32 v72, 0, v72
	v_dual_add_f32 v71, 0, v71 :: v_dual_max_f32 v12, v12, v12
	s_delay_alu instid0(VALU_DEP_2) | instskip(SKIP_2) | instid1(VALU_DEP_3)
	v_dual_min_f32 v74, v28, v44 :: v_dual_min_f32 v73, v27, v43
	v_dual_max_f32 v32, v32, v32 :: v_dual_max_f32 v31, v31, v31
	v_dual_max_f32 v15, v15, v15 :: v_dual_max_f32 v16, v16, v16
	v_dual_add_f32 v74, 0, v74 :: v_dual_add_f32 v73, 0, v73
	s_delay_alu instid0(VALU_DEP_3) | instskip(SKIP_1) | instid1(VALU_DEP_2)
	v_dual_min_f32 v76, v32, v44 :: v_dual_min_f32 v75, v31, v43
	v_dual_min_f32 v55, v11, v43 :: v_dual_max_f32 v36, v36, v36
	v_dual_max_f32 v35, v35, v35 :: v_dual_add_f32 v76, 0, v76
	s_delay_alu instid0(VALU_DEP_3) | instskip(NEXT) | instid1(VALU_DEP_2)
	v_dual_add_f32 v75, 0, v75 :: v_dual_min_f32 v66, v12, v44
	v_dual_min_f32 v78, v36, v44 :: v_dual_min_f32 v77, v35, v43
	v_dual_min_f32 v67, v15, v43 :: v_dual_min_f32 v68, v16, v44
	s_waitcnt lgkmcnt(2)
	s_delay_alu instid0(VALU_DEP_2) | instskip(NEXT) | instid1(VALU_DEP_3)
	v_dual_max_f32 v63, v63, v63 :: v_dual_add_f32 v78, 0, v78
	v_dual_add_f32 v77, 0, v77 :: v_dual_max_f32 v40, v40, v40
	v_max_f32_e32 v39, v39, v39
	v_dual_max_f32 v45, v45, v45 :: v_dual_max_f32 v46, v46, v46
	v_dual_max_f32 v13, v13, v13 :: v_dual_max_f32 v14, v14, v14
	s_delay_alu instid0(VALU_DEP_3) | instskip(SKIP_1) | instid1(VALU_DEP_2)
	v_dual_min_f32 v44, v40, v44 :: v_dual_min_f32 v43, v39, v43
	v_dual_max_f32 v48, v48, v48 :: v_dual_max_f32 v47, v47, v47
	v_dual_add_f32 v55, 0, v55 :: v_dual_add_f32 v44, 0, v44
	s_delay_alu instid0(VALU_DEP_2) | instskip(NEXT) | instid1(VALU_DEP_3)
	v_dual_add_f32 v43, 0, v43 :: v_dual_min_f32 v80, v12, v48
	v_min_f32_e32 v79, v11, v47
	v_dual_max_f32 v17, v17, v17 :: v_dual_max_f32 v18, v18, v18
	v_dual_add_f32 v67, 0, v67 :: v_dual_add_f32 v68, 0, v68
	s_delay_alu instid0(VALU_DEP_3) | instskip(SKIP_3) | instid1(VALU_DEP_3)
	v_dual_add_f32 v80, 0, v80 :: v_dual_add_f32 v79, 0, v79
	v_dual_min_f32 v82, v16, v48 :: v_dual_min_f32 v81, v15, v47
	v_dual_min_f32 v84, v20, v48 :: v_dual_min_f32 v83, v19, v47
	v_dual_max_f32 v21, v21, v21 :: v_dual_max_f32 v22, v22, v22
	v_dual_add_f32 v82, 0, v82 :: v_dual_add_f32 v81, 0, v81
	s_delay_alu instid0(VALU_DEP_3) | instskip(SKIP_3) | instid1(VALU_DEP_3)
	v_dual_add_f32 v84, 0, v84 :: v_dual_add_f32 v83, 0, v83
	v_dual_min_f32 v86, v24, v48 :: v_dual_min_f32 v85, v23, v47
	v_dual_min_f32 v88, v28, v48 :: v_dual_min_f32 v87, v27, v47
	v_add_f32_e32 v70, 0, v70
	v_dual_add_f32 v86, 0, v86 :: v_dual_add_f32 v85, 0, v85
	s_delay_alu instid0(VALU_DEP_3) | instskip(SKIP_3) | instid1(VALU_DEP_3)
	v_dual_add_f32 v88, 0, v88 :: v_dual_add_f32 v87, 0, v87
	v_dual_min_f32 v90, v32, v48 :: v_dual_min_f32 v89, v31, v47
	v_dual_max_f32 v25, v25, v25 :: v_dual_max_f32 v26, v26, v26
	v_min_f32_e32 v92, v36, v48
	v_dual_add_f32 v90, 0, v90 :: v_dual_add_f32 v89, 0, v89
	v_dual_min_f32 v91, v35, v47 :: v_dual_min_f32 v48, v40, v48
	s_delay_alu instid0(VALU_DEP_3) | instskip(SKIP_1) | instid1(VALU_DEP_3)
	v_dual_add_f32 v92, 0, v92 :: v_dual_min_f32 v47, v39, v47
	v_dual_max_f32 v29, v29, v29 :: v_dual_max_f32 v30, v30, v30
	v_dual_add_f32 v91, 0, v91 :: v_dual_add_f32 v48, 0, v48
	s_delay_alu instid0(VALU_DEP_3) | instskip(SKIP_3) | instid1(VALU_DEP_3)
	v_dual_add_f32 v47, 0, v47 :: v_dual_max_f32 v52, v52, v52
	v_max_f32_e32 v51, v51, v51
	v_dual_max_f32 v33, v33, v33 :: v_dual_max_f32 v34, v34, v34
	v_dual_max_f32 v37, v37, v37 :: v_dual_max_f32 v38, v38, v38
	v_dual_min_f32 v94, v12, v52 :: v_dual_min_f32 v93, v11, v51
	v_dual_min_f32 v96, v16, v52 :: v_dual_max_f32 v41, v41, v41
	v_max_f32_e32 v42, v42, v42
	s_delay_alu instid0(VALU_DEP_3) | instskip(SKIP_1) | instid1(VALU_DEP_4)
	v_dual_add_f32 v94, 0, v94 :: v_dual_add_f32 v95, 0, v93
	v_min_f32_e32 v93, v15, v51
	v_add_f32_e32 v103, 0, v96
	v_min_f32_e32 v96, v20, v52
	v_add_f32_e32 v66, 0, v66
	s_waitcnt lgkmcnt(0)
	v_dual_add_f32 v102, 0, v93 :: v_dual_min_f32 v93, v19, v51
	s_barrier
	buffer_gl0_inv
	v_max_f32_e32 v62, v62, v62
	v_min_f32_e32 v12, v12, v63
	v_dual_add_f32 v104, 0, v93 :: v_dual_min_f32 v93, v23, v51
	v_add_f32_e32 v105, 0, v96
	s_delay_alu instid0(VALU_DEP_4) | instskip(NEXT) | instid1(VALU_DEP_4)
	v_dual_min_f32 v96, v24, v52 :: v_dual_min_f32 v11, v11, v62
	v_add_f32_e32 v12, 0, v12
	s_delay_alu instid0(VALU_DEP_4) | instskip(NEXT) | instid1(VALU_DEP_3)
	v_dual_add_f32 v108, 0, v93 :: v_dual_min_f32 v93, v27, v51
	v_add_f32_e32 v109, 0, v96
	v_dual_min_f32 v96, v28, v52 :: v_dual_min_f32 v15, v15, v62
	v_min_f32_e32 v16, v16, v63
	s_delay_alu instid0(VALU_DEP_4) | instskip(NEXT) | instid1(VALU_DEP_3)
	v_dual_add_f32 v110, 0, v93 :: v_dual_min_f32 v93, v31, v51
	v_add_f32_e32 v111, 0, v96
	v_dual_min_f32 v96, v32, v52 :: v_dual_min_f32 v19, v19, v62
	v_min_f32_e32 v20, v20, v63
	s_delay_alu instid0(VALU_DEP_4) | instskip(NEXT) | instid1(VALU_DEP_3)
	v_dual_add_f32 v112, 0, v93 :: v_dual_min_f32 v93, v35, v51
	v_add_f32_e32 v113, 0, v96
	v_dual_min_f32 v96, v36, v52 :: v_dual_min_f32 v51, v39, v51
	v_dual_min_f32 v52, v40, v52 :: v_dual_min_f32 v39, v39, v62
	s_delay_alu instid0(VALU_DEP_2)
	v_dual_min_f32 v40, v40, v63 :: v_dual_add_f32 v115, 0, v96
	v_dual_min_f32 v23, v23, v62 :: v_dual_min_f32 v24, v24, v63
	v_dual_min_f32 v27, v27, v62 :: v_dual_min_f32 v28, v28, v63
	;; [unrolled: 1-line block ×4, first 2 shown]
	v_dual_add_f32 v39, 0, v39 :: v_dual_min_f32 v62, v13, v45
	s_delay_alu instid0(VALU_DEP_3) | instskip(NEXT) | instid1(VALU_DEP_3)
	v_dual_add_f32 v31, 0, v31 :: v_dual_add_f32 v114, 0, v93
	v_dual_add_f32 v36, 0, v36 :: v_dual_add_f32 v51, 0, v51
	s_delay_alu instid0(VALU_DEP_3) | instskip(SKIP_3) | instid1(VALU_DEP_3)
	v_dual_add_f32 v52, 0, v52 :: v_dual_add_f32 v137, v62, v55
	v_dual_min_f32 v55, v17, v45 :: v_dual_min_f32 v62, v18, v46
	v_dual_add_f32 v11, 0, v11 :: v_dual_add_f32 v16, 0, v16
	v_dual_add_f32 v15, 0, v15 :: v_dual_add_f32 v20, 0, v20
	;; [unrolled: 1-line block ×3, first 2 shown]
	v_dual_min_f32 v55, v21, v45 :: v_dual_min_f32 v62, v22, v46
	v_dual_add_f32 v19, 0, v19 :: v_dual_add_f32 v24, 0, v24
	v_dual_add_f32 v23, 0, v23 :: v_dual_add_f32 v28, 0, v28
	s_delay_alu instid0(VALU_DEP_3) | instskip(SKIP_3) | instid1(VALU_DEP_3)
	v_dual_add_f32 v132, v62, v70 :: v_dual_add_f32 v133, v55, v69
	v_dual_min_f32 v55, v25, v45 :: v_dual_min_f32 v62, v26, v46
	v_dual_add_f32 v27, 0, v27 :: v_dual_add_f32 v32, 0, v32
	v_dual_add_f32 v35, 0, v35 :: v_dual_add_f32 v40, 0, v40
	;; [unrolled: 1-line block ×3, first 2 shown]
	v_dual_min_f32 v55, v29, v45 :: v_dual_min_f32 v62, v30, v46
	s_delay_alu instid0(VALU_DEP_1) | instskip(SKIP_1) | instid1(VALU_DEP_1)
	v_dual_add_f32 v129, v55, v73 :: v_dual_add_f32 v128, v62, v74
	v_dual_min_f32 v55, v33, v45 :: v_dual_min_f32 v62, v34, v46
	v_dual_add_f32 v127, v55, v75 :: v_dual_add_f32 v126, v62, v76
	v_dual_min_f32 v55, v37, v45 :: v_dual_min_f32 v62, v38, v46
	v_min_f32_e32 v45, v41, v45
	s_delay_alu instid0(VALU_DEP_2) | instskip(NEXT) | instid1(VALU_DEP_2)
	v_dual_add_f32 v125, v55, v77 :: v_dual_add_f32 v124, v62, v78
	v_add_f32_e32 v123, v45, v43
	v_max_f32_e32 v43, v49, v49
	v_min_f32_e32 v63, v14, v46
	v_min_f32_e32 v46, v42, v46
	v_max_f32_e32 v45, v50, v50
	s_delay_alu instid0(VALU_DEP_2) | instskip(NEXT) | instid1(VALU_DEP_2)
	v_add_f32_e32 v122, v46, v44
	v_min_f32_e32 v46, v14, v45
	s_delay_alu instid0(VALU_DEP_1) | instskip(SKIP_1) | instid1(VALU_DEP_1)
	v_add_f32_e32 v120, v46, v80
	v_min_f32_e32 v44, v13, v43
	v_dual_add_f32 v136, v63, v66 :: v_dual_add_f32 v121, v44, v79
	v_min_f32_e32 v44, v17, v43
	s_delay_alu instid0(VALU_DEP_1) | instskip(NEXT) | instid1(VALU_DEP_1)
	v_dual_add_f32 v119, v44, v81 :: v_dual_min_f32 v44, v21, v43
	v_dual_min_f32 v46, v18, v45 :: v_dual_add_f32 v117, v44, v83
	v_min_f32_e32 v44, v25, v43
	s_delay_alu instid0(VALU_DEP_1) | instskip(SKIP_1) | instid1(VALU_DEP_1)
	v_dual_add_f32 v118, v46, v82 :: v_dual_add_f32 v107, v44, v85
	v_min_f32_e32 v44, v29, v43
	v_dual_min_f32 v46, v22, v45 :: v_dual_add_f32 v101, v44, v87
	v_min_f32_e32 v44, v33, v43
	s_delay_alu instid0(VALU_DEP_1) | instskip(SKIP_2) | instid1(VALU_DEP_1)
	v_dual_add_f32 v116, v46, v84 :: v_dual_add_f32 v97, v44, v89
	v_min_f32_e32 v44, v37, v43
	v_dual_min_f32 v46, v26, v45 :: v_dual_min_f32 v43, v41, v43
	v_dual_add_f32 v93, v44, v91 :: v_dual_add_f32 v106, v46, v86
	s_delay_alu instid0(VALU_DEP_2) | instskip(SKIP_2) | instid1(VALU_DEP_3)
	v_dual_min_f32 v46, v30, v45 :: v_dual_add_f32 v89, v43, v47
	v_max_f32_e32 v43, v53, v53
	v_min_f32_e32 v44, v42, v45
	v_add_f32_e32 v100, v46, v88
	s_delay_alu instid0(VALU_DEP_2) | instskip(NEXT) | instid1(VALU_DEP_4)
	v_add_f32_e32 v88, v44, v48
	v_min_f32_e32 v44, v13, v43
	s_delay_alu instid0(VALU_DEP_1) | instskip(SKIP_1) | instid1(VALU_DEP_1)
	v_dual_min_f32 v46, v34, v45 :: v_dual_add_f32 v99, v44, v95
	v_min_f32_e32 v44, v17, v43
	v_dual_add_f32 v95, v44, v102 :: v_dual_min_f32 v44, v21, v43
	s_delay_alu instid0(VALU_DEP_1) | instskip(SKIP_3) | instid1(VALU_DEP_3)
	v_dual_add_f32 v96, v46, v90 :: v_dual_add_f32 v91, v44, v104
	v_min_f32_e32 v44, v25, v43
	v_min_f32_e32 v46, v38, v45
	v_max_f32_e32 v45, v54, v54
	v_dual_add_f32 v87, v44, v108 :: v_dual_min_f32 v44, v29, v43
	s_delay_alu instid0(VALU_DEP_1) | instskip(SKIP_1) | instid1(VALU_DEP_1)
	v_dual_add_f32 v92, v46, v92 :: v_dual_add_f32 v85, v44, v110
	v_min_f32_e32 v44, v33, v43
	v_dual_min_f32 v46, v14, v45 :: v_dual_add_f32 v81, v44, v112
	v_min_f32_e32 v44, v37, v43
	s_delay_alu instid0(VALU_DEP_2) | instskip(NEXT) | instid1(VALU_DEP_2)
	v_dual_min_f32 v43, v41, v43 :: v_dual_add_f32 v98, v46, v94
	v_dual_min_f32 v46, v18, v45 :: v_dual_add_f32 v77, v44, v114
	s_delay_alu instid0(VALU_DEP_2) | instskip(NEXT) | instid1(VALU_DEP_2)
	v_add_f32_e32 v73, v43, v51
	v_dual_max_f32 v43, v64, v64 :: v_dual_add_f32 v94, v46, v103
	v_min_f32_e32 v46, v22, v45
	s_delay_alu instid0(VALU_DEP_2) | instskip(NEXT) | instid1(VALU_DEP_2)
	v_dual_min_f32 v44, v42, v45 :: v_dual_min_f32 v13, v13, v43
	v_add_f32_e32 v90, v46, v105
	s_delay_alu instid0(VALU_DEP_2) | instskip(NEXT) | instid1(VALU_DEP_1)
	v_dual_min_f32 v46, v26, v45 :: v_dual_add_f32 v83, v13, v11
	v_dual_min_f32 v11, v17, v43 :: v_dual_add_f32 v86, v46, v109
	s_delay_alu instid0(VALU_DEP_1) | instskip(SKIP_1) | instid1(VALU_DEP_2)
	v_dual_min_f32 v46, v30, v45 :: v_dual_add_f32 v79, v11, v15
	v_min_f32_e32 v11, v21, v43
	v_add_f32_e32 v84, v46, v111
	s_delay_alu instid0(VALU_DEP_2) | instskip(NEXT) | instid1(VALU_DEP_1)
	v_dual_min_f32 v46, v34, v45 :: v_dual_add_f32 v75, v11, v19
	v_dual_min_f32 v11, v25, v43 :: v_dual_add_f32 v80, v46, v113
	s_delay_alu instid0(VALU_DEP_1) | instskip(SKIP_1) | instid1(VALU_DEP_2)
	v_dual_min_f32 v46, v38, v45 :: v_dual_add_f32 v71, v11, v23
	v_dual_min_f32 v11, v29, v43 :: v_dual_add_f32 v72, v44, v52
	v_add_f32_e32 v76, v46, v115
	s_delay_alu instid0(VALU_DEP_2) | instskip(SKIP_1) | instid1(VALU_DEP_1)
	v_add_f32_e32 v69, v11, v27
	v_min_f32_e32 v11, v33, v43
	v_dual_max_f32 v44, v65, v65 :: v_dual_add_f32 v67, v11, v31
	s_delay_alu instid0(VALU_DEP_1) | instskip(NEXT) | instid1(VALU_DEP_1)
	v_dual_min_f32 v14, v14, v44 :: v_dual_min_f32 v11, v37, v43
	v_add_f32_e32 v82, v14, v12
	s_delay_alu instid0(VALU_DEP_2) | instskip(SKIP_1) | instid1(VALU_DEP_1)
	v_add_f32_e32 v64, v11, v35
	v_dual_min_f32 v11, v41, v43 :: v_dual_min_f32 v12, v18, v44
	v_dual_add_f32 v63, v11, v39 :: v_dual_add_f32 v78, v12, v16
	v_min_f32_e32 v12, v22, v44
	s_delay_alu instid0(VALU_DEP_1) | instskip(SKIP_1) | instid1(VALU_DEP_1)
	v_add_f32_e32 v74, v12, v20
	v_min_f32_e32 v12, v26, v44
	v_add_f32_e32 v70, v12, v24
	v_min_f32_e32 v12, v30, v44
	s_delay_alu instid0(VALU_DEP_1) | instskip(SKIP_1) | instid1(VALU_DEP_1)
	v_add_f32_e32 v68, v12, v28
	v_min_f32_e32 v12, v34, v44
	v_add_f32_e32 v66, v12, v32
	v_min_f32_e32 v12, v38, v44
	s_delay_alu instid0(VALU_DEP_1) | instskip(SKIP_1) | instid1(VALU_DEP_1)
	v_add_f32_e32 v65, v12, v36
	v_min_f32_e32 v12, v42, v44
	v_add_f32_e32 v62, v12, v40
	s_cbranch_scc1 .LBB79_12
; %bb.10:
	v_or_b32_e32 v102, 0x1000, v7
	v_add_nc_u32_e32 v104, 0x1400, v7
	v_add_nc_u32_e32 v7, 8, v6
	;; [unrolled: 1-line block ×3, first 2 shown]
	v_add_co_u32 v108, vcc_lo, s10, v0
	v_add_co_ci_u32_e32 v109, vcc_lo, s11, v1, vcc_lo
	s_delay_alu instid0(VALU_DEP_4) | instskip(NEXT) | instid1(VALU_DEP_4)
	v_mad_i64_i32 v[0:1], null, v7, s16, 0
	v_mad_i64_i32 v[6:7], null, v8, s16, 0
	v_add_co_u32 v112, vcc_lo, s12, v4
	v_add_co_ci_u32_e32 v113, vcc_lo, s13, v5, vcc_lo
	v_add_co_u32 v114, vcc_lo, s12, v2
	v_lshlrev_b64 v[48:49], 2, v[0:1]
	v_lshlrev_b64 v[50:51], 2, v[6:7]
	v_add_nc_u32_e32 v103, 0x1000, v59
	v_add_nc_u32_e32 v105, 0x800, v61
	v_lshl_add_u32 v110, v56, 4, 0x1400
	v_lshl_add_u32 v111, v57, 4, 0x800
	v_add_co_ci_u32_e32 v115, vcc_lo, s13, v3, vcc_lo
	s_ashr_i32 s17, s16, 31
	s_add_i32 s10, s8, -8
	s_lshl_b64 s[8:9], s[16:17], 5
	s_mov_b32 s11, 0
.LBB79_11:                              ; =>This Inner Loop Header: Depth=1
	v_add_co_u32 v0, vcc_lo, v108, v48
	v_add_co_ci_u32_e32 v1, vcc_lo, v109, v49, vcc_lo
	v_add_co_u32 v52, vcc_lo, v114, v60
	v_add_co_ci_u32_e32 v53, vcc_lo, 0, v115, vcc_lo
	v_add_co_u32 v54, vcc_lo, v112, v60
	v_add_co_ci_u32_e32 v55, vcc_lo, 0, v113, vcc_lo
	flat_load_b32 v140, v[0:1]
	flat_load_b32 v138, v[52:53] offset:32
	s_add_i32 s11, s11, 8
	flat_load_b32 v139, v[54:55] offset:32
	ds_load_b128 v[40:43], v110
	ds_load_b128 v[36:39], v110 offset:128
	ds_load_b128 v[32:35], v110 offset:256
	;; [unrolled: 1-line block ×7, first 2 shown]
	ds_load_b128 v[44:47], v111
	ds_load_b128 v[20:23], v111 offset:512
	ds_load_b128 v[4:7], v111 offset:1024
	;; [unrolled: 1-line block ×3, first 2 shown]
	s_cmp_ge_i32 s11, s10
	s_waitcnt vmcnt(2) lgkmcnt(14)
	ds_store_b32 v102, v140
	s_waitcnt vmcnt(0) lgkmcnt(13)
	ds_store_2addr_stride64_b32 v61, v138, v139 offset1:4
	s_waitcnt lgkmcnt(5)
	v_dual_max_f32 v44, v44, v44 :: v_dual_max_f32 v45, v45, v45
	v_dual_max_f32 v143, v40, v40 :: v_dual_max_f32 v144, v41, v41
	v_dual_max_f32 v145, v36, v36 :: v_dual_max_f32 v146, v37, v37
	v_dual_max_f32 v147, v32, v32 :: v_dual_max_f32 v148, v33, v33
	s_delay_alu instid0(VALU_DEP_3) | instskip(NEXT) | instid1(VALU_DEP_3)
	v_dual_min_f32 v40, v143, v44 :: v_dual_min_f32 v41, v144, v45
	v_dual_min_f32 v36, v145, v44 :: v_dual_min_f32 v37, v146, v45
	s_delay_alu instid0(VALU_DEP_3) | instskip(SKIP_1) | instid1(VALU_DEP_4)
	v_dual_min_f32 v32, v147, v44 :: v_dual_min_f32 v33, v148, v45
	v_dual_max_f32 v28, v28, v28 :: v_dual_max_f32 v29, v29, v29
	v_dual_add_f32 v141, v40, v137 :: v_dual_add_f32 v142, v41, v136
	s_delay_alu instid0(VALU_DEP_4) | instskip(NEXT) | instid1(VALU_DEP_4)
	v_dual_add_f32 v136, v36, v135 :: v_dual_add_f32 v137, v37, v134
	v_dual_add_f32 v134, v32, v133 :: v_dual_add_f32 v135, v33, v132
	s_delay_alu instid0(VALU_DEP_4) | instskip(SKIP_2) | instid1(VALU_DEP_3)
	v_dual_min_f32 v32, v28, v44 :: v_dual_min_f32 v33, v29, v45
	v_dual_max_f32 v24, v24, v24 :: v_dual_max_f32 v25, v25, v25
	v_dual_max_f32 v149, v16, v16 :: v_dual_max_f32 v150, v17, v17
	v_dual_add_f32 v132, v32, v131 :: v_dual_add_f32 v133, v33, v130
	s_delay_alu instid0(VALU_DEP_3) | instskip(NEXT) | instid1(VALU_DEP_3)
	v_dual_min_f32 v32, v24, v44 :: v_dual_min_f32 v33, v25, v45
	v_dual_min_f32 v16, v149, v44 :: v_dual_min_f32 v17, v150, v45
	v_dual_max_f32 v12, v12, v12 :: v_dual_max_f32 v13, v13, v13
	v_dual_max_f32 v151, v8, v8 :: v_dual_max_f32 v152, v9, v9
	s_delay_alu instid0(VALU_DEP_4) | instskip(NEXT) | instid1(VALU_DEP_4)
	v_dual_add_f32 v130, v32, v129 :: v_dual_add_f32 v131, v33, v128
	v_dual_add_f32 v128, v16, v127 :: v_dual_add_f32 v129, v17, v126
	s_delay_alu instid0(VALU_DEP_4) | instskip(NEXT) | instid1(VALU_DEP_4)
	v_dual_min_f32 v16, v12, v44 :: v_dual_min_f32 v17, v13, v45
	v_dual_min_f32 v8, v151, v44 :: v_dual_min_f32 v9, v152, v45
	s_waitcnt lgkmcnt(3)
	v_max_f32_e32 v4, v4, v4
	s_delay_alu instid0(VALU_DEP_3) | instskip(NEXT) | instid1(VALU_DEP_3)
	v_dual_add_f32 v126, v16, v125 :: v_dual_add_f32 v127, v17, v124
	v_dual_add_f32 v124, v8, v123 :: v_dual_add_f32 v125, v9, v122
	v_max_f32_e32 v8, v20, v20
	v_max_f32_e32 v16, v21, v21
	v_dual_max_f32 v5, v5, v5 :: v_dual_max_f32 v46, v46, v46
	v_dual_max_f32 v47, v47, v47 :: v_dual_max_f32 v18, v18, v18
	s_delay_alu instid0(VALU_DEP_4) | instskip(SKIP_2) | instid1(VALU_DEP_3)
	v_min_f32_e32 v9, v143, v8
	v_max_f32_e32 v43, v43, v43
	v_dual_max_f32 v31, v31, v31 :: v_dual_max_f32 v10, v10, v10
	v_dual_max_f32 v42, v42, v42 :: v_dual_add_f32 v121, v9, v121
	v_dual_min_f32 v9, v145, v8 :: v_dual_max_f32 v38, v38, v38
	v_max_f32_e32 v30, v30, v30
	v_dual_max_f32 v34, v34, v34 :: v_dual_max_f32 v35, v35, v35
	s_delay_alu instid0(VALU_DEP_3) | instskip(SKIP_3) | instid1(VALU_DEP_3)
	v_dual_max_f32 v14, v14, v14 :: v_dual_add_f32 v119, v9, v119
	v_dual_min_f32 v9, v147, v8 :: v_dual_max_f32 v26, v26, v26
	v_dual_max_f32 v27, v27, v27 :: v_dual_max_f32 v22, v22, v22
	v_max_f32_e32 v19, v19, v19
	v_add_f32_e32 v117, v9, v117
	v_min_f32_e32 v9, v28, v8
	v_max_f32_e32 v15, v15, v15
	v_max_f32_e32 v11, v11, v11
	v_dual_max_f32 v23, v23, v23 :: v_dual_max_f32 v6, v6, v6
	s_delay_alu instid0(VALU_DEP_4)
	v_add_f32_e32 v107, v9, v107
	v_min_f32_e32 v9, v24, v8
	s_waitcnt lgkmcnt(2)
	v_dual_max_f32 v3, v3, v3 :: v_dual_max_f32 v2, v2, v2
	s_waitcnt lgkmcnt(0)
	s_barrier
	v_add_f32_e32 v101, v9, v101
	v_min_f32_e32 v9, v149, v8
	buffer_gl0_inv
	v_add_f32_e32 v97, v9, v97
	v_min_f32_e32 v9, v12, v8
	s_delay_alu instid0(VALU_DEP_1) | instskip(SKIP_1) | instid1(VALU_DEP_1)
	v_dual_min_f32 v8, v151, v8 :: v_dual_add_f32 v93, v9, v93
	v_min_f32_e32 v9, v152, v16
	v_add_f32_e32 v123, v9, v88
	v_min_f32_e32 v9, v144, v5
	s_delay_alu instid0(VALU_DEP_1) | instskip(NEXT) | instid1(VALU_DEP_1)
	v_dual_min_f32 v17, v144, v16 :: v_dual_add_f32 v88, v9, v98
	v_add_f32_e32 v120, v17, v120
	v_min_f32_e32 v17, v146, v16
	s_delay_alu instid0(VALU_DEP_1) | instskip(NEXT) | instid1(VALU_DEP_1)
	v_dual_add_f32 v118, v17, v118 :: v_dual_min_f32 v17, v148, v16
	v_add_f32_e32 v116, v17, v116
	v_min_f32_e32 v17, v29, v16
	s_delay_alu instid0(VALU_DEP_1) | instskip(SKIP_1) | instid1(VALU_DEP_1)
	v_add_f32_e32 v106, v17, v106
	v_min_f32_e32 v17, v25, v16
	v_add_f32_e32 v100, v17, v100
	v_min_f32_e32 v17, v150, v16
	s_delay_alu instid0(VALU_DEP_1) | instskip(SKIP_1) | instid1(VALU_DEP_1)
	v_add_f32_e32 v96, v17, v96
	v_min_f32_e32 v17, v13, v16
	v_add_f32_e32 v122, v17, v92
	v_add_f32_e32 v92, v8, v89
	v_min_f32_e32 v8, v143, v4
	s_delay_alu instid0(VALU_DEP_1) | instskip(SKIP_1) | instid1(VALU_DEP_1)
	v_add_f32_e32 v32, v8, v99
	v_min_f32_e32 v8, v145, v4
	v_dual_add_f32 v33, v8, v95 :: v_dual_min_f32 v8, v147, v4
	s_delay_alu instid0(VALU_DEP_1) | instskip(SKIP_1) | instid1(VALU_DEP_1)
	v_add_f32_e32 v36, v8, v91
	v_min_f32_e32 v8, v28, v4
	v_add_f32_e32 v37, v8, v87
	v_min_f32_e32 v8, v24, v4
	s_delay_alu instid0(VALU_DEP_1) | instskip(SKIP_1) | instid1(VALU_DEP_1)
	v_add_f32_e32 v40, v8, v85
	v_min_f32_e32 v8, v149, v4
	v_add_f32_e32 v41, v8, v81
	v_dual_min_f32 v8, v12, v4 :: v_dual_min_f32 v9, v146, v5
	v_min_f32_e32 v4, v151, v4
	s_delay_alu instid0(VALU_DEP_2) | instskip(SKIP_1) | instid1(VALU_DEP_3)
	v_dual_add_f32 v44, v8, v77 :: v_dual_add_f32 v89, v9, v94
	v_min_f32_e32 v9, v148, v5
	v_add_f32_e32 v45, v4, v73
	v_max_f32_e32 v73, v0, v0
	v_max_f32_e32 v77, v1, v1
	s_delay_alu instid0(VALU_DEP_4) | instskip(NEXT) | instid1(VALU_DEP_3)
	v_add_f32_e32 v90, v9, v90
	v_min_f32_e32 v12, v12, v73
	v_min_f32_e32 v9, v29, v5
	s_delay_alu instid0(VALU_DEP_4) | instskip(SKIP_1) | instid1(VALU_DEP_4)
	v_min_f32_e32 v8, v29, v77
	v_min_f32_e32 v29, v152, v77
	v_add_f32_e32 v12, v12, v64
	s_delay_alu instid0(VALU_DEP_4) | instskip(SKIP_1) | instid1(VALU_DEP_4)
	v_add_f32_e32 v86, v9, v86
	v_min_f32_e32 v9, v25, v5
	v_dual_add_f32 v29, v29, v62 :: v_dual_min_f32 v62, v43, v47
	v_min_f32_e32 v1, v144, v77
	v_min_f32_e32 v4, v146, v77
	s_delay_alu instid0(VALU_DEP_4) | instskip(NEXT) | instid1(VALU_DEP_4)
	v_dual_add_f32 v84, v9, v84 :: v_dual_min_f32 v9, v150, v5
	v_add_f32_e32 v62, v62, v142
	s_delay_alu instid0(VALU_DEP_4) | instskip(NEXT) | instid1(VALU_DEP_3)
	v_add_f32_e32 v16, v1, v82
	v_dual_add_f32 v17, v4, v78 :: v_dual_add_f32 v80, v9, v80
	v_min_f32_e32 v9, v13, v5
	v_min_f32_e32 v5, v152, v5
	;; [unrolled: 1-line block ×3, first 2 shown]
	s_delay_alu instid0(VALU_DEP_3) | instskip(NEXT) | instid1(VALU_DEP_3)
	v_dual_max_f32 v7, v7, v7 :: v_dual_add_f32 v76, v9, v76
	v_dual_add_f32 v72, v5, v72 :: v_dual_min_f32 v5, v148, v77
	v_min_f32_e32 v9, v25, v77
	v_min_f32_e32 v25, v150, v77
	;; [unrolled: 1-line block ×3, first 2 shown]
	s_delay_alu instid0(VALU_DEP_4) | instskip(SKIP_4) | instid1(VALU_DEP_4)
	v_add_f32_e32 v20, v5, v74
	v_min_f32_e32 v1, v145, v73
	v_min_f32_e32 v5, v28, v73
	v_dual_add_f32 v28, v13, v65 :: v_dual_min_f32 v65, v38, v46
	v_dual_min_f32 v13, v151, v73 :: v_dual_min_f32 v74, v18, v46
	v_dual_add_f32 v1, v1, v79 :: v_dual_min_f32 v4, v147, v73
	v_max_f32_e32 v39, v39, v39
	s_delay_alu instid0(VALU_DEP_3) | instskip(SKIP_1) | instid1(VALU_DEP_3)
	v_dual_add_f32 v13, v13, v63 :: v_dual_add_f32 v74, v74, v128
	v_min_f32_e32 v63, v42, v46
	v_dual_add_f32 v21, v8, v70 :: v_dual_min_f32 v64, v39, v47
	v_min_f32_e32 v8, v24, v73
	v_add_f32_e32 v24, v9, v68
	v_min_f32_e32 v9, v149, v73
	v_min_f32_e32 v0, v143, v73
	v_dual_add_f32 v4, v4, v75 :: v_dual_add_f32 v25, v25, v66
	v_dual_add_f32 v65, v65, v136 :: v_dual_min_f32 v70, v27, v47
	v_min_f32_e32 v66, v35, v47
	v_min_f32_e32 v68, v31, v47
	v_min_f32_e32 v73, v19, v47
	v_min_f32_e32 v75, v15, v47
	v_min_f32_e32 v47, v11, v47
	v_dual_add_f32 v9, v9, v67 :: v_dual_add_f32 v64, v64, v137
	v_dual_min_f32 v67, v34, v46 :: v_dual_add_f32 v0, v0, v83
	s_delay_alu instid0(VALU_DEP_3) | instskip(SKIP_4) | instid1(VALU_DEP_4)
	v_add_f32_e32 v78, v47, v125
	v_min_f32_e32 v47, v43, v23
	v_dual_add_f32 v5, v5, v71 :: v_dual_add_f32 v8, v8, v69
	v_min_f32_e32 v71, v26, v46
	v_dual_add_f32 v63, v63, v141 :: v_dual_add_f32 v70, v70, v131
	v_add_f32_e32 v81, v47, v120
	v_dual_min_f32 v47, v39, v23 :: v_dual_add_f32 v68, v68, v133
	v_add_f32_e32 v66, v66, v135
	s_delay_alu instid0(VALU_DEP_2) | instskip(SKIP_1) | instid1(VALU_DEP_1)
	v_add_f32_e32 v82, v47, v118
	v_min_f32_e32 v47, v35, v23
	v_add_f32_e32 v83, v47, v116
	v_min_f32_e32 v47, v31, v23
	s_delay_alu instid0(VALU_DEP_1) | instskip(SKIP_3) | instid1(VALU_DEP_3)
	v_add_f32_e32 v106, v47, v106
	v_min_f32_e32 v47, v27, v23
	v_min_f32_e32 v69, v30, v46
	;; [unrolled: 1-line block ×3, first 2 shown]
	v_add_f32_e32 v100, v47, v100
	s_delay_alu instid0(VALU_DEP_3) | instskip(NEXT) | instid1(VALU_DEP_3)
	v_add_f32_e32 v69, v69, v132
	v_add_f32_e32 v79, v46, v124
	v_min_f32_e32 v46, v42, v22
	v_add_f32_e32 v67, v67, v134
	s_delay_alu instid0(VALU_DEP_2) | instskip(SKIP_1) | instid1(VALU_DEP_1)
	v_dual_min_f32 v47, v19, v23 :: v_dual_add_f32 v120, v46, v121
	v_dual_min_f32 v46, v38, v22 :: v_dual_add_f32 v73, v73, v129
	v_add_f32_e32 v118, v46, v119
	v_min_f32_e32 v46, v34, v22
	s_delay_alu instid0(VALU_DEP_1) | instskip(SKIP_1) | instid1(VALU_DEP_1)
	v_add_f32_e32 v117, v46, v117
	v_dual_min_f32 v46, v30, v22 :: v_dual_add_f32 v75, v75, v127
	v_add_f32_e32 v119, v46, v107
	v_min_f32_e32 v46, v26, v22
	s_delay_alu instid0(VALU_DEP_1) | instskip(SKIP_2) | instid1(VALU_DEP_2)
	v_add_f32_e32 v121, v46, v101
	v_dual_min_f32 v46, v18, v22 :: v_dual_add_f32 v101, v47, v96
	v_min_f32_e32 v47, v15, v23
	v_dual_min_f32 v23, v11, v23 :: v_dual_add_f32 v124, v46, v97
	v_min_f32_e32 v46, v14, v22
	v_min_f32_e32 v22, v10, v22
	s_delay_alu instid0(VALU_DEP_3) | instskip(SKIP_2) | instid1(VALU_DEP_4)
	v_add_f32_e32 v116, v23, v123
	v_min_f32_e32 v23, v43, v7
	v_add_f32_e32 v71, v71, v130
	v_add_f32_e32 v123, v22, v92
	s_delay_alu instid0(VALU_DEP_3) | instskip(SKIP_1) | instid1(VALU_DEP_1)
	v_dual_min_f32 v22, v42, v6 :: v_dual_add_f32 v125, v23, v88
	v_min_f32_e32 v23, v39, v7
	v_add_f32_e32 v127, v23, v89
	v_min_f32_e32 v23, v35, v7
	s_delay_alu instid0(VALU_DEP_1) | instskip(SKIP_1) | instid1(VALU_DEP_1)
	v_add_f32_e32 v129, v23, v90
	v_min_f32_e32 v23, v31, v7
	v_add_f32_e32 v131, v23, v86
	v_min_f32_e32 v23, v27, v7
	s_delay_alu instid0(VALU_DEP_1) | instskip(SKIP_1) | instid1(VALU_DEP_1)
	v_add_f32_e32 v133, v23, v84
	v_min_f32_e32 v23, v19, v7
	v_add_f32_e32 v135, v23, v80
	v_min_f32_e32 v23, v15, v7
	v_min_f32_e32 v7, v11, v7
	s_delay_alu instid0(VALU_DEP_1) | instskip(SKIP_2) | instid1(VALU_DEP_1)
	v_dual_add_f32 v142, v7, v72 :: v_dual_add_f32 v77, v77, v126
	v_add_f32_e32 v126, v22, v32
	v_min_f32_e32 v22, v38, v6
	v_add_f32_e32 v128, v22, v33
	v_min_f32_e32 v22, v34, v6
	s_delay_alu instid0(VALU_DEP_1) | instskip(SKIP_1) | instid1(VALU_DEP_1)
	v_add_f32_e32 v130, v22, v36
	v_min_f32_e32 v22, v30, v6
	v_add_f32_e32 v132, v22, v37
	v_min_f32_e32 v22, v26, v6
	v_dual_add_f32 v107, v47, v122 :: v_dual_add_f32 v122, v46, v93
	s_delay_alu instid0(VALU_DEP_2) | instskip(SKIP_1) | instid1(VALU_DEP_1)
	v_add_f32_e32 v134, v22, v40
	v_min_f32_e32 v22, v18, v6
	v_add_f32_e32 v136, v22, v41
	v_min_f32_e32 v22, v14, v6
	v_min_f32_e32 v6, v10, v6
	s_delay_alu instid0(VALU_DEP_1) | instskip(SKIP_1) | instid1(VALU_DEP_1)
	v_add_f32_e32 v143, v6, v45
	v_min_f32_e32 v6, v42, v2
	v_add_f32_e32 v145, v6, v0
	v_min_f32_e32 v0, v38, v2
	s_delay_alu instid0(VALU_DEP_1) | instskip(SKIP_1) | instid1(VALU_DEP_2)
	v_dual_add_f32 v147, v0, v1 :: v_dual_min_f32 v0, v34, v2
	v_min_f32_e32 v1, v35, v3
	v_add_f32_e32 v149, v0, v4
	s_delay_alu instid0(VALU_DEP_2) | instskip(SKIP_1) | instid1(VALU_DEP_1)
	v_add_f32_e32 v148, v1, v20
	v_dual_min_f32 v0, v30, v2 :: v_dual_min_f32 v1, v31, v3
	v_add_f32_e32 v151, v0, v5
	s_delay_alu instid0(VALU_DEP_2) | instskip(SKIP_1) | instid1(VALU_DEP_1)
	v_add_f32_e32 v150, v1, v21
	v_dual_min_f32 v0, v26, v2 :: v_dual_min_f32 v1, v27, v3
	;; [unrolled: 4-line block ×3, first 2 shown]
	v_add_f32_e32 v155, v0, v9
	s_delay_alu instid0(VALU_DEP_2) | instskip(SKIP_1) | instid1(VALU_DEP_1)
	v_dual_add_f32 v154, v1, v25 :: v_dual_add_f32 v137, v23, v76
	v_min_f32_e32 v0, v14, v2
	v_dual_add_f32 v157, v0, v12 :: v_dual_min_f32 v0, v10, v2
	v_min_f32_e32 v1, v15, v3
	v_min_f32_e32 v7, v43, v3
	s_delay_alu instid0(VALU_DEP_3) | instskip(NEXT) | instid1(VALU_DEP_3)
	v_dual_min_f32 v6, v39, v3 :: v_dual_add_f32 v159, v0, v13
	v_dual_add_f32 v156, v1, v28 :: v_dual_min_f32 v1, v11, v3
	v_add_co_u32 v0, vcc_lo, v108, v50
	v_add_f32_e32 v141, v22, v44
	v_add_f32_e32 v144, v7, v16
	s_delay_alu instid0(VALU_DEP_4)
	v_add_f32_e32 v158, v1, v29
	v_add_co_ci_u32_e32 v1, vcc_lo, v109, v51, vcc_lo
	v_add_f32_e32 v146, v6, v17
	flat_load_b32 v138, v[0:1]
	flat_load_b32 v52, v[52:53] offset:48
	flat_load_b32 v53, v[54:55] offset:48
	ds_load_b128 v[40:43], v103
	ds_load_b128 v[36:39], v103 offset:128
	ds_load_b128 v[32:35], v103 offset:256
	;; [unrolled: 1-line block ×7, first 2 shown]
	ds_load_b128 v[44:47], v58
	ds_load_b128 v[12:15], v58 offset:512
	ds_load_b128 v[4:7], v58 offset:1024
	;; [unrolled: 1-line block ×3, first 2 shown]
	v_add_co_u32 v112, vcc_lo, v112, 32
	v_add_co_ci_u32_e32 v113, vcc_lo, 0, v113, vcc_lo
	v_add_co_u32 v114, vcc_lo, v114, 32
	v_add_co_ci_u32_e32 v115, vcc_lo, 0, v115, vcc_lo
	s_waitcnt lgkmcnt(11)
	v_max_f32_e32 v140, v41, v41
	s_waitcnt lgkmcnt(9)
	v_dual_max_f32 v161, v37, v37 :: v_dual_max_f32 v162, v32, v32
	s_waitcnt lgkmcnt(7)
	v_dual_max_f32 v163, v33, v33 :: v_dual_max_f32 v24, v24, v24
	s_waitcnt lgkmcnt(6)
	v_max_f32_e32 v164, v20, v20
	s_waitcnt lgkmcnt(5)
	v_max_f32_e32 v166, v16, v16
	;; [unrolled: 2-line block ×3, first 2 shown]
	s_waitcnt lgkmcnt(3)
	v_dual_max_f32 v44, v44, v44 :: v_dual_max_f32 v25, v25, v25
	s_waitcnt lgkmcnt(1)
	v_dual_max_f32 v4, v4, v4 :: v_dual_max_f32 v169, v9, v9
	v_max_f32_e32 v28, v28, v28
	s_delay_alu instid0(VALU_DEP_3) | instskip(SKIP_2) | instid1(VALU_DEP_3)
	v_dual_min_f32 v32, v162, v44 :: v_dual_max_f32 v45, v45, v45
	v_dual_min_f32 v20, v164, v44 :: v_dual_max_f32 v29, v29, v29
	v_min_f32_e32 v16, v166, v44
	v_dual_add_f32 v94, v32, v67 :: v_dual_min_f32 v33, v163, v45
	s_delay_alu instid0(VALU_DEP_3) | instskip(SKIP_1) | instid1(VALU_DEP_4)
	v_add_f32_e32 v88, v20, v74
	v_min_f32_e32 v8, v168, v44
	v_add_f32_e32 v86, v16, v77
	v_min_f32_e32 v9, v169, v45
	v_add_f32_e32 v95, v33, v66
	s_delay_alu instid0(VALU_DEP_4) | instskip(SKIP_3) | instid1(VALU_DEP_4)
	v_dual_min_f32 v33, v29, v45 :: v_dual_add_f32 v84, v8, v79
	v_max_f32_e32 v8, v12, v12
	v_max_f32_e32 v12, v13, v13
	;; [unrolled: 1-line block ×3, first 2 shown]
	v_add_f32_e32 v93, v33, v68
	v_min_f32_e32 v33, v25, v45
	v_add_f32_e32 v85, v9, v78
	v_min_f32_e32 v13, v140, v12
	v_dual_min_f32 v21, v165, v45 :: v_dual_max_f32 v160, v36, v36
	s_delay_alu instid0(VALU_DEP_4) | instskip(NEXT) | instid1(VALU_DEP_3)
	v_dual_add_f32 v91, v33, v70 :: v_dual_min_f32 v32, v28, v44
	v_add_f32_e32 v76, v13, v81
	v_min_f32_e32 v13, v161, v12
	v_min_f32_e32 v37, v161, v45
	v_max_f32_e32 v167, v17, v17
	v_add_f32_e32 v92, v32, v69
	s_delay_alu instid0(VALU_DEP_4) | instskip(SKIP_2) | instid1(VALU_DEP_3)
	v_dual_min_f32 v32, v24, v44 :: v_dual_add_f32 v77, v13, v82
	v_min_f32_e32 v13, v163, v12
	v_max_f32_e32 v139, v40, v40
	v_dual_add_f32 v97, v37, v64 :: v_dual_add_f32 v90, v32, v71
	v_max_f32_e32 v5, v5, v5
	s_delay_alu instid0(VALU_DEP_4) | instskip(NEXT) | instid1(VALU_DEP_4)
	v_add_f32_e32 v78, v13, v83
	v_min_f32_e32 v40, v139, v44
	v_min_f32_e32 v9, v139, v8
	v_dual_add_f32 v89, v21, v73 :: v_dual_max_f32 v46, v46, v46
	v_min_f32_e32 v36, v160, v44
	s_delay_alu instid0(VALU_DEP_4) | instskip(NEXT) | instid1(VALU_DEP_4)
	v_dual_add_f32 v98, v40, v63 :: v_dual_min_f32 v13, v29, v12
	v_add_f32_e32 v68, v9, v120
	v_dual_min_f32 v9, v160, v8 :: v_dual_max_f32 v42, v42, v42
	s_delay_alu instid0(VALU_DEP_3) | instskip(SKIP_2) | instid1(VALU_DEP_4)
	v_dual_add_f32 v96, v36, v65 :: v_dual_add_f32 v79, v13, v106
	v_min_f32_e32 v13, v25, v12
	v_min_f32_e32 v41, v140, v45
	v_add_f32_e32 v69, v9, v118
	v_min_f32_e32 v9, v162, v8
	s_delay_alu instid0(VALU_DEP_4) | instskip(NEXT) | instid1(VALU_DEP_4)
	v_dual_max_f32 v43, v43, v43 :: v_dual_add_f32 v80, v13, v100
	v_add_f32_e32 v99, v41, v62
	s_waitcnt lgkmcnt(0)
	v_max_f32_e32 v100, v1, v1
	v_dual_add_f32 v70, v9, v117 :: v_dual_min_f32 v9, v28, v8
	v_dual_max_f32 v38, v38, v38 :: v_dual_max_f32 v47, v47, v47
	s_delay_alu instid0(VALU_DEP_3) | instskip(NEXT) | instid1(VALU_DEP_3)
	v_dual_min_f32 v1, v140, v100 :: v_dual_max_f32 v26, v26, v26
	v_add_f32_e32 v71, v9, v119
	v_dual_min_f32 v9, v24, v8 :: v_dual_max_f32 v14, v14, v14
	s_delay_alu instid0(VALU_DEP_3) | instskip(NEXT) | instid1(VALU_DEP_2)
	v_dual_add_f32 v16, v1, v144 :: v_dual_max_f32 v39, v39, v39
	v_dual_max_f32 v35, v35, v35 :: v_dual_add_f32 v72, v9, v121
	v_dual_min_f32 v9, v164, v8 :: v_dual_max_f32 v34, v34, v34
	v_dual_max_f32 v31, v31, v31 :: v_dual_max_f32 v6, v6, v6
	s_delay_alu instid0(VALU_DEP_2) | instskip(SKIP_3) | instid1(VALU_DEP_3)
	v_dual_max_f32 v30, v30, v30 :: v_dual_add_f32 v73, v9, v124
	v_min_f32_e32 v9, v166, v8
	v_dual_min_f32 v17, v167, v45 :: v_dual_min_f32 v8, v168, v8
	v_min_f32_e32 v13, v165, v12
	v_dual_max_f32 v27, v27, v27 :: v_dual_add_f32 v74, v9, v122
	s_delay_alu instid0(VALU_DEP_3) | instskip(NEXT) | instid1(VALU_DEP_4)
	v_add_f32_e32 v87, v17, v75
	v_dual_add_f32 v75, v8, v123 :: v_dual_min_f32 v8, v139, v4
	v_max_f32_e32 v18, v18, v18
	v_dual_max_f32 v22, v22, v22 :: v_dual_max_f32 v23, v23, v23
	s_delay_alu instid0(VALU_DEP_3) | instskip(SKIP_3) | instid1(VALU_DEP_3)
	v_dual_max_f32 v19, v19, v19 :: v_dual_add_f32 v32, v8, v126
	v_dual_min_f32 v8, v160, v4 :: v_dual_add_f32 v81, v13, v101
	v_dual_min_f32 v101, v43, v47 :: v_dual_max_f32 v10, v10, v10
	v_max_f32_e32 v11, v11, v11
	v_add_f32_e32 v33, v8, v128
	v_min_f32_e32 v8, v162, v4
	v_dual_min_f32 v9, v169, v12 :: v_dual_max_f32 v2, v2, v2
	v_max_f32_e32 v15, v15, v15
	s_delay_alu instid0(VALU_DEP_3) | instskip(NEXT) | instid1(VALU_DEP_3)
	v_dual_max_f32 v3, v3, v3 :: v_dual_add_f32 v36, v8, v130
	v_add_f32_e32 v83, v9, v116
	v_min_f32_e32 v9, v140, v5
	v_dual_min_f32 v8, v28, v4 :: v_dual_max_f32 v7, v7, v7
	v_add_co_u32 v108, vcc_lo, v108, s8
	s_delay_alu instid0(VALU_DEP_3) | instskip(SKIP_1) | instid1(VALU_DEP_4)
	v_add_f32_e32 v54, v9, v125
	v_min_f32_e32 v9, v161, v5
	v_add_f32_e32 v37, v8, v132
	v_min_f32_e32 v8, v24, v4
	v_add_co_ci_u32_e32 v109, vcc_lo, s9, v109, vcc_lo
	s_delay_alu instid0(VALU_DEP_4) | instskip(NEXT) | instid1(VALU_DEP_3)
	v_add_f32_e32 v55, v9, v127
	v_dual_min_f32 v9, v163, v5 :: v_dual_add_f32 v40, v8, v134
	v_min_f32_e32 v8, v164, v4
	s_waitcnt vmcnt(2)
	ds_store_b32 v104, v138
	s_waitcnt vmcnt(0)
	ds_store_2addr_stride64_b32 v105, v52, v53 offset1:4
	v_add_f32_e32 v41, v8, v136
	v_min_f32_e32 v8, v166, v4
	v_min_f32_e32 v4, v168, v4
	v_add_f32_e32 v136, v101, v99
	v_min_f32_e32 v99, v39, v47
	s_waitcnt lgkmcnt(0)
	v_add_f32_e32 v44, v8, v141
	v_dual_add_f32 v45, v4, v143 :: v_dual_min_f32 v8, v29, v100
	v_min_f32_e32 v4, v161, v100
	v_dual_min_f32 v13, v167, v12 :: v_dual_add_f32 v62, v9, v129
	v_min_f32_e32 v9, v29, v5
	v_dual_min_f32 v29, v169, v100 :: v_dual_add_f32 v134, v99, v97
	s_delay_alu instid0(VALU_DEP_3) | instskip(NEXT) | instid1(VALU_DEP_3)
	v_dual_add_f32 v82, v13, v107 :: v_dual_max_f32 v13, v0, v0
	v_add_f32_e32 v63, v9, v131
	v_min_f32_e32 v9, v25, v5
	v_min_f32_e32 v97, v35, v47
	v_dual_add_f32 v17, v4, v146 :: v_dual_min_f32 v12, v165, v100
	s_delay_alu instid0(VALU_DEP_3) | instskip(SKIP_1) | instid1(VALU_DEP_4)
	v_dual_add_f32 v21, v8, v150 :: v_dual_add_f32 v64, v9, v133
	v_min_f32_e32 v9, v165, v5
	v_add_f32_e32 v132, v97, v95
	v_dual_min_f32 v95, v31, v47 :: v_dual_min_f32 v8, v24, v13
	s_delay_alu instid0(VALU_DEP_3) | instskip(SKIP_2) | instid1(VALU_DEP_4)
	v_dual_min_f32 v0, v139, v13 :: v_dual_add_f32 v65, v9, v135
	v_min_f32_e32 v9, v167, v5
	v_min_f32_e32 v5, v169, v5
	v_add_f32_e32 v130, v95, v93
	v_dual_min_f32 v93, v27, v47 :: v_dual_min_f32 v4, v162, v13
	s_delay_alu instid0(VALU_DEP_3) | instskip(NEXT) | instid1(VALU_DEP_2)
	v_dual_add_f32 v0, v0, v145 :: v_dual_add_f32 v67, v5, v142
	v_dual_min_f32 v5, v163, v100 :: v_dual_add_f32 v128, v93, v91
	s_delay_alu instid0(VALU_DEP_3) | instskip(SKIP_1) | instid1(VALU_DEP_3)
	v_dual_min_f32 v91, v23, v47 :: v_dual_add_f32 v4, v4, v149
	v_add_f32_e32 v8, v8, v153
	v_add_f32_e32 v20, v5, v148
	;; [unrolled: 1-line block ×3, first 2 shown]
	v_min_f32_e32 v9, v25, v100
	v_min_f32_e32 v1, v160, v13
	v_dual_min_f32 v5, v28, v13 :: v_dual_min_f32 v28, v167, v100
	v_min_f32_e32 v100, v42, v46
	s_delay_alu instid0(VALU_DEP_4) | instskip(NEXT) | instid1(VALU_DEP_4)
	v_add_f32_e32 v24, v9, v152
	v_add_f32_e32 v1, v1, v147
	v_min_f32_e32 v9, v164, v13
	s_delay_alu instid0(VALU_DEP_4) | instskip(SKIP_3) | instid1(VALU_DEP_3)
	v_dual_add_f32 v126, v91, v89 :: v_dual_add_f32 v137, v100, v98
	v_dual_min_f32 v98, v38, v46 :: v_dual_min_f32 v89, v19, v47
	v_min_f32_e32 v47, v11, v47
	v_dual_add_f32 v25, v12, v154 :: v_dual_min_f32 v12, v166, v13
	v_add_f32_e32 v135, v98, v96
	v_dual_min_f32 v96, v34, v46 :: v_dual_min_f32 v13, v168, v13
	v_add_f32_e32 v124, v89, v87
	v_add_f32_e32 v122, v47, v85
	;; [unrolled: 1-line block ×3, first 2 shown]
	s_delay_alu instid0(VALU_DEP_4)
	v_add_f32_e32 v133, v96, v94
	v_min_f32_e32 v94, v30, v46
	v_add_f32_e32 v28, v28, v156
	s_barrier
	buffer_gl0_inv
	v_add_f32_e32 v131, v94, v92
	v_min_f32_e32 v92, v26, v46
	s_delay_alu instid0(VALU_DEP_1) | instskip(SKIP_1) | instid1(VALU_DEP_1)
	v_add_f32_e32 v129, v92, v90
	v_dual_min_f32 v90, v22, v46 :: v_dual_add_f32 v5, v5, v151
	v_add_f32_e32 v127, v90, v88
	v_dual_min_f32 v88, v18, v46 :: v_dual_add_f32 v9, v9, v155
	v_dual_min_f32 v46, v10, v46 :: v_dual_add_f32 v13, v13, v159
	s_delay_alu instid0(VALU_DEP_1) | instskip(SKIP_1) | instid1(VALU_DEP_1)
	v_add_f32_e32 v123, v46, v84
	v_min_f32_e32 v46, v42, v14
	v_add_f32_e32 v121, v46, v68
	v_min_f32_e32 v46, v38, v14
	s_delay_alu instid0(VALU_DEP_1) | instskip(SKIP_2) | instid1(VALU_DEP_2)
	v_add_f32_e32 v119, v46, v69
	v_dual_min_f32 v46, v34, v14 :: v_dual_min_f32 v47, v43, v15
	v_add_f32_e32 v29, v29, v158
	v_add_f32_e32 v117, v46, v70
	v_min_f32_e32 v46, v30, v14
	s_delay_alu instid0(VALU_DEP_1) | instskip(SKIP_1) | instid1(VALU_DEP_1)
	v_dual_add_f32 v120, v47, v76 :: v_dual_add_f32 v107, v46, v71
	v_dual_min_f32 v46, v26, v14 :: v_dual_min_f32 v47, v39, v15
	v_add_f32_e32 v101, v46, v72
	v_min_f32_e32 v46, v22, v14
	s_delay_alu instid0(VALU_DEP_3) | instskip(NEXT) | instid1(VALU_DEP_2)
	v_add_f32_e32 v118, v47, v77
	v_add_f32_e32 v97, v46, v73
	v_min_f32_e32 v46, v18, v14
	v_dual_min_f32 v14, v10, v14 :: v_dual_min_f32 v47, v35, v15
	s_delay_alu instid0(VALU_DEP_1) | instskip(SKIP_1) | instid1(VALU_DEP_3)
	v_add_f32_e32 v89, v14, v75
	v_min_f32_e32 v14, v42, v6
	v_add_f32_e32 v116, v47, v78
	v_min_f32_e32 v47, v31, v15
	s_delay_alu instid0(VALU_DEP_3) | instskip(SKIP_1) | instid1(VALU_DEP_3)
	v_add_f32_e32 v99, v14, v32
	v_min_f32_e32 v14, v38, v6
	v_add_f32_e32 v106, v47, v79
	v_min_f32_e32 v47, v27, v15
	s_delay_alu instid0(VALU_DEP_3) | instskip(SKIP_1) | instid1(VALU_DEP_3)
	v_add_f32_e32 v95, v14, v33
	v_min_f32_e32 v14, v34, v6
	v_add_f32_e32 v100, v47, v80
	s_delay_alu instid0(VALU_DEP_2) | instskip(SKIP_1) | instid1(VALU_DEP_1)
	v_add_f32_e32 v91, v14, v36
	v_dual_min_f32 v14, v30, v6 :: v_dual_min_f32 v47, v23, v15
	v_add_f32_e32 v87, v14, v37
	v_min_f32_e32 v14, v26, v6
	s_delay_alu instid0(VALU_DEP_1) | instskip(SKIP_1) | instid1(VALU_DEP_1)
	v_dual_add_f32 v96, v47, v81 :: v_dual_add_f32 v85, v14, v40
	v_min_f32_e32 v14, v22, v6
	v_add_f32_e32 v81, v14, v41
	v_min_f32_e32 v14, v18, v6
	v_min_f32_e32 v6, v10, v6
	s_delay_alu instid0(VALU_DEP_2) | instskip(NEXT) | instid1(VALU_DEP_2)
	v_add_f32_e32 v77, v14, v44
	v_add_f32_e32 v73, v6, v45
	v_dual_min_f32 v6, v42, v2 :: v_dual_min_f32 v47, v19, v15
	v_min_f32_e32 v15, v11, v15
	s_delay_alu instid0(VALU_DEP_1) | instskip(NEXT) | instid1(VALU_DEP_3)
	v_dual_add_f32 v125, v88, v86 :: v_dual_add_f32 v88, v15, v83
	v_add_f32_e32 v83, v6, v0
	v_min_f32_e32 v0, v38, v2
	s_delay_alu instid0(VALU_DEP_1) | instskip(SKIP_1) | instid1(VALU_DEP_1)
	v_dual_min_f32 v6, v39, v3 :: v_dual_add_f32 v79, v0, v1
	v_dual_min_f32 v0, v34, v2 :: v_dual_min_f32 v1, v35, v3
	v_dual_add_f32 v78, v6, v17 :: v_dual_add_f32 v75, v0, v4
	v_min_f32_e32 v0, v30, v2
	s_delay_alu instid0(VALU_DEP_1) | instskip(NEXT) | instid1(VALU_DEP_1)
	v_dual_add_f32 v71, v0, v5 :: v_dual_min_f32 v0, v26, v2
	v_dual_add_f32 v92, v47, v82 :: v_dual_add_f32 v69, v0, v8
	v_dual_min_f32 v0, v22, v2 :: v_dual_min_f32 v15, v43, v7
	s_delay_alu instid0(VALU_DEP_1) | instskip(SKIP_1) | instid1(VALU_DEP_1)
	v_add_f32_e32 v98, v15, v54
	v_min_f32_e32 v15, v39, v7
	v_add_f32_e32 v94, v15, v55
	v_min_f32_e32 v15, v35, v7
	s_delay_alu instid0(VALU_DEP_1) | instskip(SKIP_1) | instid1(VALU_DEP_1)
	v_add_f32_e32 v90, v15, v62
	v_min_f32_e32 v15, v31, v7
	v_add_f32_e32 v86, v15, v63
	v_min_f32_e32 v15, v27, v7
	;; [unrolled: 5-line block ×3, first 2 shown]
	v_min_f32_e32 v7, v11, v7
	v_dual_add_f32 v93, v46, v74 :: v_dual_add_f32 v74, v1, v20
	v_min_f32_e32 v1, v31, v3
	s_delay_alu instid0(VALU_DEP_4) | instskip(NEXT) | instid1(VALU_DEP_4)
	v_add_f32_e32 v76, v15, v66
	v_dual_add_f32 v72, v7, v67 :: v_dual_add_f32 v67, v0, v9
	v_min_f32_e32 v0, v18, v2
	s_delay_alu instid0(VALU_DEP_4) | instskip(NEXT) | instid1(VALU_DEP_2)
	v_dual_add_f32 v70, v1, v21 :: v_dual_min_f32 v1, v27, v3
	v_dual_min_f32 v7, v43, v3 :: v_dual_add_f32 v64, v0, v12
	v_min_f32_e32 v0, v10, v2
	s_delay_alu instid0(VALU_DEP_3) | instskip(NEXT) | instid1(VALU_DEP_2)
	v_dual_add_f32 v68, v1, v24 :: v_dual_min_f32 v1, v23, v3
	v_dual_add_f32 v82, v7, v16 :: v_dual_add_f32 v63, v0, v13
	s_delay_alu instid0(VALU_DEP_2) | instskip(NEXT) | instid1(VALU_DEP_1)
	v_dual_add_f32 v66, v1, v25 :: v_dual_min_f32 v1, v19, v3
	v_add_f32_e32 v65, v1, v28
	v_min_f32_e32 v1, v11, v3
	s_delay_alu instid0(VALU_DEP_1)
	v_add_f32_e32 v62, v1, v29
	s_cbranch_scc0 .LBB79_11
.LBB79_12:
	s_load_b32 s8, s[0:1], 0x50
	v_add_nc_u32_e32 v48, s14, v57
	ds_load_b128 v[0:3], v59 offset:5120
	ds_load_b128 v[40:43], v58 offset:2048
	v_add_nc_u32_e32 v46, s3, v56
	v_cmp_neq_f32_e64 s9, s18, 0
	v_mov_b32_e32 v52, 0
	v_mov_b32_e32 v50, 0
	s_delay_alu instid0(VALU_DEP_4) | instskip(NEXT) | instid1(VALU_DEP_4)
	v_ashrrev_i32_e32 v47, 31, v46
	s_and_b32 vcc_lo, exec_lo, s9
	s_delay_alu instid0(VALU_DEP_1) | instskip(SKIP_2) | instid1(VALU_DEP_1)
	v_lshlrev_b64 v[44:45], 2, v[46:47]
	s_waitcnt lgkmcnt(0)
	v_mad_i64_i32 v[4:5], null, v48, s8, 0
	v_lshlrev_b64 v[4:5], 2, v[4:5]
	s_delay_alu instid0(VALU_DEP_1) | instskip(NEXT) | instid1(VALU_DEP_1)
	v_add_co_u32 v102, s3, s4, v4
	v_add_co_ci_u32_e64 v103, s3, s5, v5, s3
	s_cbranch_vccz .LBB79_14
; %bb.13:
	s_delay_alu instid0(VALU_DEP_2) | instskip(NEXT) | instid1(VALU_DEP_2)
	v_add_co_u32 v4, vcc_lo, v102, v44
	v_add_co_ci_u32_e32 v5, vcc_lo, v103, v45, vcc_lo
	flat_load_b32 v4, v[4:5]
	s_waitcnt vmcnt(0) lgkmcnt(0)
	v_mul_f32_e32 v50, s18, v4
.LBB79_14:
	s_clause 0x1
	s_load_b64 s[10:11], s[0:1], 0x70
	s_load_b32 s1, s[0:1], 0x68
	v_dual_max_f32 v104, v40, v40 :: v_dual_max_f32 v105, v41, v41
	v_dual_max_f32 v47, v0, v0 :: v_dual_max_f32 v108, v43, v43
	v_max_f32_e32 v49, v1, v1
	v_max_f32_e32 v43, v3, v3
	;; [unrolled: 1-line block ×4, first 2 shown]
	s_delay_alu instid0(VALU_DEP_4) | instskip(NEXT) | instid1(VALU_DEP_4)
	v_dual_min_f32 v0, v47, v104 :: v_dual_min_f32 v1, v49, v105
	v_min_f32_e32 v54, v43, v108
	ds_load_b128 v[36:39], v59 offset:5248
	ds_load_b128 v[32:35], v59 offset:5376
	;; [unrolled: 1-line block ×7, first 2 shown]
	v_min_f32_e32 v55, v42, v109
	v_add_f32_e32 v51, v0, v137
	v_add_f32_e32 v53, v1, v136
	ds_load_b128 v[8:11], v58 offset:2560
	ds_load_b128 v[4:7], v58 offset:3072
	;; [unrolled: 1-line block ×3, first 2 shown]
	v_add_f32_e32 v51, v55, v51
	s_waitcnt lgkmcnt(0)
	v_mad_i64_i32 v[40:41], null, v48, s1, 0
	s_mul_i32 s0, s15, s11
	s_mul_hi_u32 s3, s15, s10
	s_mul_i32 s11, s19, s10
	s_add_i32 s0, s3, s0
	s_mul_i32 s10, s15, s10
	s_add_i32 s11, s0, s11
	s_delay_alu instid0(VALU_DEP_1)
	v_lshlrev_b64 v[40:41], 2, v[40:41]
	v_dual_add_f32 v56, v54, v53 :: v_dual_add_nc_u32 v53, 8, v46
	s_lshl_b64 s[10:11], s[10:11], 2
	v_cndmask_b32_e64 v55, 0, 1, s9
	s_add_u32 s3, s6, s10
	s_addc_u32 s6, s7, s11
	v_add_f32_e32 v51, v51, v56
	v_add_co_u32 v110, vcc_lo, s3, v40
	v_ashrrev_i32_e32 v54, 31, v53
	v_add_co_ci_u32_e32 v111, vcc_lo, s6, v41, vcc_lo
	s_delay_alu instid0(VALU_DEP_4) | instskip(NEXT) | instid1(VALU_DEP_4)
	v_add_f32_e32 v56, v51, v50
	v_add_co_u32 v50, vcc_lo, v110, v44
	s_delay_alu instid0(VALU_DEP_4)
	v_lshlrev_b64 v[40:41], 2, v[53:54]
	v_cmp_ne_u32_e64 s0, 1, v55
	v_add_co_ci_u32_e32 v51, vcc_lo, v111, v45, vcc_lo
	s_and_not1_b32 vcc_lo, exec_lo, s9
	global_store_b32 v[50:51], v56, off
	s_cbranch_vccnz .LBB79_16
; %bb.15:
	v_add_co_u32 v50, vcc_lo, v102, v40
	v_add_co_ci_u32_e32 v51, vcc_lo, v103, v41, vcc_lo
	flat_load_b32 v50, v[50:51]
	s_waitcnt vmcnt(0) lgkmcnt(0)
	v_mul_f32_e32 v52, s18, v50
.LBB79_16:
	v_dual_max_f32 v51, v37, v37 :: v_dual_max_f32 v50, v36, v36
	v_dual_max_f32 v38, v38, v38 :: v_dual_max_f32 v39, v39, v39
	v_add_co_u32 v57, vcc_lo, v110, v40
	s_delay_alu instid0(VALU_DEP_3) | instskip(NEXT) | instid1(VALU_DEP_3)
	v_dual_min_f32 v36, v51, v105 :: v_dual_min_f32 v37, v50, v104
	v_dual_min_f32 v53, v38, v109 :: v_dual_min_f32 v54, v39, v108
	s_delay_alu instid0(VALU_DEP_2) | instskip(NEXT) | instid1(VALU_DEP_3)
	v_dual_mov_b32 v56, 0 :: v_dual_add_f32 v55, v36, v134
	v_dual_add_f32 v37, v37, v135 :: v_dual_add_nc_u32 v36, 16, v46
	v_add_co_ci_u32_e32 v58, vcc_lo, v111, v41, vcc_lo
	s_delay_alu instid0(VALU_DEP_2) | instskip(NEXT) | instid1(VALU_DEP_3)
	v_dual_add_f32 v54, v54, v55 :: v_dual_add_f32 v53, v53, v37
	v_ashrrev_i32_e32 v37, 31, v36
	s_and_b32 vcc_lo, exec_lo, s0
	s_delay_alu instid0(VALU_DEP_2) | instskip(NEXT) | instid1(VALU_DEP_2)
	v_dual_add_f32 v53, v53, v54 :: v_dual_mov_b32 v54, 0
	v_lshlrev_b64 v[36:37], 2, v[36:37]
	s_delay_alu instid0(VALU_DEP_2)
	v_add_f32_e32 v52, v53, v52
	global_store_b32 v[57:58], v52, off
	s_cbranch_vccnz .LBB79_18
; %bb.17:
	v_add_co_u32 v52, vcc_lo, v102, v36
	v_add_co_ci_u32_e32 v53, vcc_lo, v103, v37, vcc_lo
	flat_load_b32 v52, v[52:53]
	s_waitcnt vmcnt(0) lgkmcnt(0)
	v_mul_f32_e32 v54, s18, v52
.LBB79_18:
	v_dual_max_f32 v53, v33, v33 :: v_dual_max_f32 v52, v32, v32
	v_dual_max_f32 v34, v34, v34 :: v_dual_max_f32 v35, v35, v35
	s_delay_alu instid0(VALU_DEP_2) | instskip(NEXT) | instid1(VALU_DEP_2)
	v_dual_min_f32 v32, v53, v105 :: v_dual_min_f32 v33, v52, v104
	v_min_f32_e32 v55, v34, v109
	s_delay_alu instid0(VALU_DEP_3) | instskip(NEXT) | instid1(VALU_DEP_3)
	v_min_f32_e32 v57, v35, v108
	v_add_f32_e32 v58, v32, v132
	s_delay_alu instid0(VALU_DEP_4) | instskip(NEXT) | instid1(VALU_DEP_2)
	v_dual_add_f32 v33, v33, v133 :: v_dual_add_nc_u32 v32, 24, v46
	v_add_f32_e32 v57, v57, v58
	s_delay_alu instid0(VALU_DEP_2) | instskip(NEXT) | instid1(VALU_DEP_3)
	v_add_f32_e32 v55, v55, v33
	v_ashrrev_i32_e32 v33, 31, v32
	s_delay_alu instid0(VALU_DEP_2) | instskip(SKIP_1) | instid1(VALU_DEP_3)
	v_add_f32_e32 v55, v55, v57
	v_add_co_u32 v57, vcc_lo, v110, v36
	v_lshlrev_b64 v[32:33], 2, v[32:33]
	v_add_co_ci_u32_e32 v58, vcc_lo, v111, v37, vcc_lo
	s_delay_alu instid0(VALU_DEP_4)
	v_add_f32_e32 v54, v55, v54
	s_and_b32 vcc_lo, exec_lo, s0
	global_store_b32 v[57:58], v54, off
	s_cbranch_vccnz .LBB79_20
; %bb.19:
	v_add_co_u32 v54, vcc_lo, v102, v32
	v_add_co_ci_u32_e32 v55, vcc_lo, v103, v33, vcc_lo
	flat_load_b32 v54, v[54:55]
	s_waitcnt vmcnt(0) lgkmcnt(0)
	v_mul_f32_e32 v56, s18, v54
.LBB79_20:
	v_dual_max_f32 v55, v29, v29 :: v_dual_max_f32 v54, v28, v28
	v_dual_max_f32 v30, v30, v30 :: v_dual_max_f32 v31, v31, v31
	v_add_co_u32 v112, vcc_lo, v110, v32
	s_delay_alu instid0(VALU_DEP_3) | instskip(NEXT) | instid1(VALU_DEP_3)
	v_dual_min_f32 v28, v55, v105 :: v_dual_min_f32 v29, v54, v104
	v_dual_min_f32 v57, v30, v109 :: v_dual_min_f32 v58, v31, v108
	s_delay_alu instid0(VALU_DEP_2) | instskip(NEXT) | instid1(VALU_DEP_3)
	v_dual_mov_b32 v60, 0 :: v_dual_add_f32 v59, v28, v130
	v_dual_add_f32 v29, v29, v131 :: v_dual_add_nc_u32 v28, 32, v46
	v_add_co_ci_u32_e32 v113, vcc_lo, v111, v33, vcc_lo
	s_delay_alu instid0(VALU_DEP_2) | instskip(NEXT) | instid1(VALU_DEP_3)
	v_dual_add_f32 v58, v58, v59 :: v_dual_add_f32 v57, v57, v29
	v_ashrrev_i32_e32 v29, 31, v28
	s_and_b32 vcc_lo, exec_lo, s0
	s_delay_alu instid0(VALU_DEP_2) | instskip(NEXT) | instid1(VALU_DEP_2)
	v_dual_add_f32 v57, v57, v58 :: v_dual_mov_b32 v58, 0
	v_lshlrev_b64 v[28:29], 2, v[28:29]
	s_delay_alu instid0(VALU_DEP_2)
	v_add_f32_e32 v56, v57, v56
	global_store_b32 v[112:113], v56, off
	s_cbranch_vccnz .LBB79_22
; %bb.21:
	v_add_co_u32 v56, vcc_lo, v102, v28
	v_add_co_ci_u32_e32 v57, vcc_lo, v103, v29, vcc_lo
	flat_load_b32 v56, v[56:57]
	s_waitcnt vmcnt(0) lgkmcnt(0)
	v_mul_f32_e32 v58, s18, v56
.LBB79_22:
	v_dual_max_f32 v57, v25, v25 :: v_dual_max_f32 v56, v24, v24
	v_dual_max_f32 v26, v26, v26 :: v_dual_max_f32 v27, v27, v27
	s_delay_alu instid0(VALU_DEP_2) | instskip(NEXT) | instid1(VALU_DEP_2)
	v_dual_min_f32 v24, v57, v105 :: v_dual_min_f32 v25, v56, v104
	v_min_f32_e32 v59, v26, v109
	s_delay_alu instid0(VALU_DEP_3) | instskip(NEXT) | instid1(VALU_DEP_3)
	v_min_f32_e32 v61, v27, v108
	v_add_f32_e32 v112, v24, v128
	s_delay_alu instid0(VALU_DEP_4) | instskip(NEXT) | instid1(VALU_DEP_2)
	v_dual_add_f32 v25, v25, v129 :: v_dual_add_nc_u32 v24, 40, v46
	v_add_f32_e32 v61, v61, v112
	v_add_co_u32 v112, vcc_lo, v110, v28
	s_delay_alu instid0(VALU_DEP_3) | instskip(NEXT) | instid1(VALU_DEP_4)
	v_add_f32_e32 v59, v59, v25
	v_ashrrev_i32_e32 v25, 31, v24
	v_add_co_ci_u32_e32 v113, vcc_lo, v111, v29, vcc_lo
	s_and_b32 vcc_lo, exec_lo, s0
	s_delay_alu instid0(VALU_DEP_3) | instskip(NEXT) | instid1(VALU_DEP_3)
	v_add_f32_e32 v59, v59, v61
	v_lshlrev_b64 v[24:25], 2, v[24:25]
	s_delay_alu instid0(VALU_DEP_2)
	v_add_f32_e32 v58, v59, v58
	global_store_b32 v[112:113], v58, off
	s_cbranch_vccnz .LBB79_24
; %bb.23:
	v_add_co_u32 v58, vcc_lo, v102, v24
	v_add_co_ci_u32_e32 v59, vcc_lo, v103, v25, vcc_lo
	flat_load_b32 v58, v[58:59]
	s_waitcnt vmcnt(0) lgkmcnt(0)
	v_mul_f32_e32 v60, s18, v58
.LBB79_24:
	v_dual_max_f32 v59, v21, v21 :: v_dual_max_f32 v58, v20, v20
	v_dual_max_f32 v22, v22, v22 :: v_dual_max_f32 v23, v23, v23
	v_add_co_u32 v114, vcc_lo, v110, v24
	s_delay_alu instid0(VALU_DEP_3) | instskip(NEXT) | instid1(VALU_DEP_3)
	v_dual_min_f32 v20, v59, v105 :: v_dual_min_f32 v21, v58, v104
	v_dual_min_f32 v61, v22, v109 :: v_dual_min_f32 v112, v23, v108
	v_add_co_ci_u32_e32 v115, vcc_lo, v111, v25, vcc_lo
	s_delay_alu instid0(VALU_DEP_3) | instskip(NEXT) | instid1(VALU_DEP_4)
	v_add_f32_e32 v113, v20, v126
	v_dual_add_f32 v21, v21, v127 :: v_dual_add_nc_u32 v20, 48, v46
	s_and_b32 vcc_lo, exec_lo, s0
	s_delay_alu instid0(VALU_DEP_2) | instskip(NEXT) | instid1(VALU_DEP_2)
	v_dual_add_f32 v112, v112, v113 :: v_dual_mov_b32 v113, 0
	v_add_f32_e32 v61, v61, v21
	s_delay_alu instid0(VALU_DEP_3) | instskip(NEXT) | instid1(VALU_DEP_2)
	v_ashrrev_i32_e32 v21, 31, v20
	v_add_f32_e32 v61, v61, v112
	s_delay_alu instid0(VALU_DEP_2) | instskip(SKIP_1) | instid1(VALU_DEP_3)
	v_lshlrev_b64 v[20:21], 2, v[20:21]
	v_mov_b32_e32 v112, 0
	v_add_f32_e32 v60, v61, v60
	global_store_b32 v[114:115], v60, off
	s_cbranch_vccnz .LBB79_26
; %bb.25:
	v_add_co_u32 v60, vcc_lo, v102, v20
	v_add_co_ci_u32_e32 v61, vcc_lo, v103, v21, vcc_lo
	flat_load_b32 v60, v[60:61]
	s_waitcnt vmcnt(0) lgkmcnt(0)
	v_mul_f32_e32 v113, s18, v60
.LBB79_26:
	v_dual_max_f32 v61, v17, v17 :: v_dual_max_f32 v60, v16, v16
	v_dual_max_f32 v18, v18, v18 :: v_dual_max_f32 v19, v19, v19
	s_delay_alu instid0(VALU_DEP_2) | instskip(NEXT) | instid1(VALU_DEP_2)
	v_dual_min_f32 v16, v61, v105 :: v_dual_min_f32 v17, v60, v104
	v_dual_min_f32 v114, v18, v109 :: v_dual_min_f32 v115, v19, v108
	s_delay_alu instid0(VALU_DEP_2) | instskip(SKIP_1) | instid1(VALU_DEP_2)
	v_dual_add_f32 v124, v16, v124 :: v_dual_add_f32 v17, v17, v125
	v_add_nc_u32_e32 v16, 56, v46
	v_add_f32_e32 v46, v115, v124
	s_delay_alu instid0(VALU_DEP_3) | instskip(NEXT) | instid1(VALU_DEP_3)
	v_add_f32_e32 v114, v114, v17
	v_ashrrev_i32_e32 v17, 31, v16
	s_delay_alu instid0(VALU_DEP_2) | instskip(SKIP_1) | instid1(VALU_DEP_3)
	v_add_f32_e32 v46, v114, v46
	v_add_co_u32 v114, vcc_lo, v110, v20
	v_lshlrev_b64 v[16:17], 2, v[16:17]
	v_add_co_ci_u32_e32 v115, vcc_lo, v111, v21, vcc_lo
	s_delay_alu instid0(VALU_DEP_4)
	v_add_f32_e32 v46, v46, v113
	s_and_b32 vcc_lo, exec_lo, s0
	global_store_b32 v[114:115], v46, off
	s_cbranch_vccnz .LBB79_28
; %bb.27:
	v_add_co_u32 v102, vcc_lo, v102, v16
	v_add_co_ci_u32_e32 v103, vcc_lo, v103, v17, vcc_lo
	flat_load_b32 v46, v[102:103]
	s_waitcnt vmcnt(0) lgkmcnt(0)
	v_mul_f32_e32 v112, s18, v46
.LBB79_28:
	v_dual_max_f32 v12, v12, v12 :: v_dual_max_f32 v13, v13, v13
	v_dual_max_f32 v14, v14, v14 :: v_dual_add_nc_u32 v113, 32, v48
	s_delay_alu instid0(VALU_DEP_2) | instskip(NEXT) | instid1(VALU_DEP_3)
	v_dual_max_f32 v15, v15, v15 :: v_dual_min_f32 v46, v12, v104
	v_min_f32_e32 v104, v13, v105
	s_delay_alu instid0(VALU_DEP_3) | instskip(NEXT) | instid1(VALU_DEP_4)
	v_min_f32_e32 v105, v14, v109
	v_mad_i64_i32 v[102:103], null, v113, s8, 0
	s_delay_alu instid0(VALU_DEP_4) | instskip(NEXT) | instid1(VALU_DEP_4)
	v_dual_min_f32 v108, v15, v108 :: v_dual_mov_b32 v109, 0
	v_add_f32_e32 v104, v104, v122
	v_add_f32_e32 v46, v46, v123
	s_delay_alu instid0(VALU_DEP_4) | instskip(NEXT) | instid1(VALU_DEP_3)
	v_lshlrev_b64 v[102:103], 2, v[102:103]
	v_add_f32_e32 v108, v108, v104
	s_delay_alu instid0(VALU_DEP_3) | instskip(SKIP_2) | instid1(VALU_DEP_3)
	v_add_f32_e32 v46, v105, v46
	v_add_co_u32 v104, vcc_lo, v110, v16
	v_add_co_ci_u32_e32 v105, vcc_lo, v111, v17, vcc_lo
	v_add_f32_e32 v108, v46, v108
	v_add_co_u32 v46, vcc_lo, s4, v102
	v_add_co_ci_u32_e32 v102, vcc_lo, s5, v103, vcc_lo
	s_delay_alu instid0(VALU_DEP_3)
	v_dual_add_f32 v103, v108, v112 :: v_dual_mov_b32 v108, 0
	s_and_b32 vcc_lo, exec_lo, s0
	global_store_b32 v[104:105], v103, off
	s_cbranch_vccnz .LBB79_30
; %bb.29:
	v_add_co_u32 v103, vcc_lo, v46, v44
	v_add_co_ci_u32_e32 v104, vcc_lo, v102, v45, vcc_lo
	flat_load_b32 v103, v[103:104]
	s_waitcnt vmcnt(0) lgkmcnt(0)
	v_mul_f32_e32 v109, s18, v103
.LBB79_30:
	v_dual_max_f32 v103, v8, v8 :: v_dual_max_f32 v104, v9, v9
	v_dual_max_f32 v105, v10, v10 :: v_dual_max_f32 v8, v11, v11
	v_mad_i64_i32 v[9:10], null, v113, s1, 0
	s_delay_alu instid0(VALU_DEP_3) | instskip(NEXT) | instid1(VALU_DEP_3)
	v_dual_min_f32 v11, v47, v103 :: v_dual_min_f32 v110, v49, v104
	v_dual_min_f32 v111, v42, v105 :: v_dual_min_f32 v112, v43, v8
	s_delay_alu instid0(VALU_DEP_2) | instskip(NEXT) | instid1(VALU_DEP_4)
	v_dual_add_f32 v11, v11, v121 :: v_dual_add_f32 v110, v110, v120
	v_lshlrev_b64 v[9:10], 2, v[9:10]
	s_delay_alu instid0(VALU_DEP_2) | instskip(NEXT) | instid1(VALU_DEP_2)
	v_dual_add_f32 v11, v111, v11 :: v_dual_add_f32 v110, v112, v110
	v_add_co_u32 v9, vcc_lo, s3, v9
	s_delay_alu instid0(VALU_DEP_3) | instskip(NEXT) | instid1(VALU_DEP_3)
	v_add_co_ci_u32_e32 v10, vcc_lo, s6, v10, vcc_lo
	v_add_f32_e32 v11, v11, v110
	s_delay_alu instid0(VALU_DEP_1) | instskip(NEXT) | instid1(VALU_DEP_4)
	v_add_f32_e32 v11, v11, v109
	v_add_co_u32 v109, vcc_lo, v9, v44
	s_delay_alu instid0(VALU_DEP_4)
	v_add_co_ci_u32_e32 v110, vcc_lo, v10, v45, vcc_lo
	s_and_b32 vcc_lo, exec_lo, s0
	global_store_b32 v[109:110], v11, off
	s_cbranch_vccnz .LBB79_32
; %bb.31:
	v_add_co_u32 v108, vcc_lo, v46, v40
	v_add_co_ci_u32_e32 v109, vcc_lo, v102, v41, vcc_lo
	flat_load_b32 v11, v[108:109]
	s_waitcnt vmcnt(0) lgkmcnt(0)
	v_mul_f32_e32 v108, s18, v11
.LBB79_32:
	v_dual_min_f32 v11, v51, v104 :: v_dual_min_f32 v110, v38, v105
	v_min_f32_e32 v109, v50, v103
	v_min_f32_e32 v111, v39, v8
	s_delay_alu instid0(VALU_DEP_3) | instskip(NEXT) | instid1(VALU_DEP_3)
	v_add_f32_e32 v11, v11, v118
	v_add_f32_e32 v109, v109, v119
	s_delay_alu instid0(VALU_DEP_2) | instskip(NEXT) | instid1(VALU_DEP_2)
	v_add_f32_e32 v11, v111, v11
	v_add_f32_e32 v109, v110, v109
	s_delay_alu instid0(VALU_DEP_1) | instskip(SKIP_2) | instid1(VALU_DEP_3)
	v_add_f32_e32 v11, v109, v11
	v_add_co_u32 v109, vcc_lo, v9, v40
	v_add_co_ci_u32_e32 v110, vcc_lo, v10, v41, vcc_lo
	v_dual_add_f32 v111, v11, v108 :: v_dual_mov_b32 v108, 0
	v_mov_b32_e32 v11, 0
	s_and_b32 vcc_lo, exec_lo, s0
	global_store_b32 v[109:110], v111, off
	s_cbranch_vccnz .LBB79_34
; %bb.33:
	v_add_co_u32 v108, vcc_lo, v46, v36
	v_add_co_ci_u32_e32 v109, vcc_lo, v102, v37, vcc_lo
	flat_load_b32 v108, v[108:109]
	s_waitcnt vmcnt(0) lgkmcnt(0)
	v_mul_f32_e32 v108, s18, v108
.LBB79_34:
	v_dual_min_f32 v109, v53, v104 :: v_dual_min_f32 v110, v52, v103
	v_dual_min_f32 v111, v34, v105 :: v_dual_min_f32 v112, v35, v8
	s_delay_alu instid0(VALU_DEP_2) | instskip(NEXT) | instid1(VALU_DEP_1)
	v_dual_add_f32 v109, v109, v116 :: v_dual_add_f32 v110, v110, v117
	v_dual_add_f32 v109, v112, v109 :: v_dual_add_f32 v110, v111, v110
	s_delay_alu instid0(VALU_DEP_1) | instskip(NEXT) | instid1(VALU_DEP_1)
	v_add_f32_e32 v109, v110, v109
	v_add_f32_e32 v110, v109, v108
	v_add_co_u32 v108, vcc_lo, v9, v36
	v_add_co_ci_u32_e32 v109, vcc_lo, v10, v37, vcc_lo
	s_and_b32 vcc_lo, exec_lo, s0
	global_store_b32 v[108:109], v110, off
	s_cbranch_vccnz .LBB79_36
; %bb.35:
	v_add_co_u32 v108, vcc_lo, v46, v32
	v_add_co_ci_u32_e32 v109, vcc_lo, v102, v33, vcc_lo
	flat_load_b32 v11, v[108:109]
	s_waitcnt vmcnt(0) lgkmcnt(0)
	v_mul_f32_e32 v11, s18, v11
.LBB79_36:
	v_dual_min_f32 v108, v55, v104 :: v_dual_min_f32 v109, v54, v103
	v_dual_min_f32 v110, v30, v105 :: v_dual_min_f32 v111, v31, v8
	s_delay_alu instid0(VALU_DEP_2) | instskip(NEXT) | instid1(VALU_DEP_1)
	v_dual_add_f32 v106, v108, v106 :: v_dual_add_f32 v107, v109, v107
	v_dual_add_f32 v106, v111, v106 :: v_dual_add_f32 v107, v110, v107
	s_delay_alu instid0(VALU_DEP_1) | instskip(SKIP_2) | instid1(VALU_DEP_3)
	v_add_f32_e32 v106, v107, v106
	v_add_co_u32 v107, vcc_lo, v9, v32
	v_add_co_ci_u32_e32 v108, vcc_lo, v10, v33, vcc_lo
	v_dual_add_f32 v109, v106, v11 :: v_dual_mov_b32 v106, 0
	v_mov_b32_e32 v11, 0
	s_and_b32 vcc_lo, exec_lo, s0
	global_store_b32 v[107:108], v109, off
	s_cbranch_vccnz .LBB79_38
; %bb.37:
	v_add_co_u32 v106, vcc_lo, v46, v28
	v_add_co_ci_u32_e32 v107, vcc_lo, v102, v29, vcc_lo
	flat_load_b32 v106, v[106:107]
	s_waitcnt vmcnt(0) lgkmcnt(0)
	v_mul_f32_e32 v106, s18, v106
.LBB79_38:
	v_dual_min_f32 v107, v57, v104 :: v_dual_min_f32 v108, v56, v103
	v_dual_min_f32 v109, v26, v105 :: v_dual_min_f32 v110, v27, v8
	s_delay_alu instid0(VALU_DEP_2) | instskip(NEXT) | instid1(VALU_DEP_1)
	v_dual_add_f32 v100, v107, v100 :: v_dual_add_f32 v101, v108, v101
	v_dual_add_f32 v100, v110, v100 :: v_dual_add_f32 v101, v109, v101
	s_delay_alu instid0(VALU_DEP_1) | instskip(NEXT) | instid1(VALU_DEP_1)
	v_add_f32_e32 v100, v101, v100
	v_add_f32_e32 v106, v100, v106
	v_add_co_u32 v100, vcc_lo, v9, v28
	v_add_co_ci_u32_e32 v101, vcc_lo, v10, v29, vcc_lo
	s_and_b32 vcc_lo, exec_lo, s0
	global_store_b32 v[100:101], v106, off
	s_cbranch_vccnz .LBB79_40
; %bb.39:
	v_add_co_u32 v100, vcc_lo, v46, v24
	v_add_co_ci_u32_e32 v101, vcc_lo, v102, v25, vcc_lo
	flat_load_b32 v11, v[100:101]
	s_waitcnt vmcnt(0) lgkmcnt(0)
	v_mul_f32_e32 v11, s18, v11
.LBB79_40:
	v_dual_min_f32 v100, v59, v104 :: v_dual_min_f32 v101, v58, v103
	v_dual_min_f32 v106, v22, v105 :: v_dual_min_f32 v107, v23, v8
	s_delay_alu instid0(VALU_DEP_2) | instskip(SKIP_2) | instid1(VALU_DEP_3)
	v_dual_add_f32 v96, v100, v96 :: v_dual_add_f32 v97, v101, v97
	v_add_co_u32 v100, vcc_lo, v9, v24
	v_add_co_ci_u32_e32 v101, vcc_lo, v10, v25, vcc_lo
	v_dual_add_f32 v96, v107, v96 :: v_dual_add_f32 v97, v106, v97
	s_and_b32 vcc_lo, exec_lo, s0
	s_delay_alu instid0(VALU_DEP_1) | instskip(NEXT) | instid1(VALU_DEP_1)
	v_add_f32_e32 v96, v97, v96
	v_dual_add_f32 v97, v96, v11 :: v_dual_mov_b32 v96, 0
	v_mov_b32_e32 v11, 0
	global_store_b32 v[100:101], v97, off
	s_cbranch_vccnz .LBB79_42
; %bb.41:
	v_add_co_u32 v96, vcc_lo, v46, v20
	v_add_co_ci_u32_e32 v97, vcc_lo, v102, v21, vcc_lo
	flat_load_b32 v96, v[96:97]
	s_waitcnt vmcnt(0) lgkmcnt(0)
	v_mul_f32_e32 v96, s18, v96
.LBB79_42:
	v_dual_min_f32 v97, v61, v104 :: v_dual_min_f32 v100, v60, v103
	v_dual_min_f32 v101, v18, v105 :: v_dual_min_f32 v106, v19, v8
	s_delay_alu instid0(VALU_DEP_2) | instskip(NEXT) | instid1(VALU_DEP_1)
	v_dual_add_f32 v92, v97, v92 :: v_dual_add_f32 v93, v100, v93
	v_dual_add_f32 v92, v106, v92 :: v_dual_add_f32 v93, v101, v93
	s_delay_alu instid0(VALU_DEP_1) | instskip(NEXT) | instid1(VALU_DEP_1)
	v_add_f32_e32 v92, v93, v92
	v_add_f32_e32 v96, v92, v96
	v_add_co_u32 v92, vcc_lo, v9, v20
	v_add_co_ci_u32_e32 v93, vcc_lo, v10, v21, vcc_lo
	s_and_b32 vcc_lo, exec_lo, s0
	global_store_b32 v[92:93], v96, off
	s_cbranch_vccnz .LBB79_44
; %bb.43:
	v_add_co_u32 v92, vcc_lo, v46, v16
	v_add_co_ci_u32_e32 v93, vcc_lo, v102, v17, vcc_lo
	flat_load_b32 v11, v[92:93]
	s_waitcnt vmcnt(0) lgkmcnt(0)
	v_mul_f32_e32 v11, s18, v11
.LBB79_44:
	v_dual_min_f32 v46, v12, v103 :: v_dual_min_f32 v93, v13, v104
	v_add_nc_u32_e32 v92, 64, v48
	v_min_f32_e32 v96, v14, v105
	v_min_f32_e32 v8, v15, v8
	s_delay_alu instid0(VALU_DEP_4) | instskip(NEXT) | instid1(VALU_DEP_4)
	v_dual_add_f32 v46, v46, v89 :: v_dual_add_f32 v93, v93, v88
	v_mad_i64_i32 v[88:89], null, v92, s8, 0
	s_delay_alu instid0(VALU_DEP_2) | instskip(NEXT) | instid1(VALU_DEP_3)
	v_add_f32_e32 v46, v96, v46
	v_add_f32_e32 v8, v8, v93
	v_add_co_u32 v96, vcc_lo, v9, v16
	v_add_co_ci_u32_e32 v97, vcc_lo, v10, v17, vcc_lo
	v_lshlrev_b64 v[88:89], 2, v[88:89]
	s_delay_alu instid0(VALU_DEP_4) | instskip(NEXT) | instid1(VALU_DEP_1)
	v_add_f32_e32 v8, v46, v8
	v_add_f32_e32 v10, v8, v11
	s_delay_alu instid0(VALU_DEP_3) | instskip(NEXT) | instid1(VALU_DEP_4)
	v_add_co_u32 v8, vcc_lo, s4, v88
	v_add_co_ci_u32_e32 v9, vcc_lo, s5, v89, vcc_lo
	v_dual_mov_b32 v88, 0 :: v_dual_mov_b32 v89, 0
	s_and_b32 vcc_lo, exec_lo, s0
	global_store_b32 v[96:97], v10, off
	s_cbranch_vccnz .LBB79_46
; %bb.45:
	v_add_co_u32 v10, vcc_lo, v8, v44
	v_add_co_ci_u32_e32 v11, vcc_lo, v9, v45, vcc_lo
	flat_load_b32 v10, v[10:11]
	s_waitcnt vmcnt(0) lgkmcnt(0)
	v_mul_f32_e32 v89, s18, v10
.LBB79_46:
	v_dual_max_f32 v10, v4, v4 :: v_dual_max_f32 v11, v5, v5
	v_max_f32_e32 v46, v6, v6
	v_mad_i64_i32 v[5:6], null, v92, s1, 0
	s_delay_alu instid0(VALU_DEP_3) | instskip(SKIP_3) | instid1(VALU_DEP_4)
	v_min_f32_e32 v93, v49, v11
	v_max_f32_e32 v4, v7, v7
	v_min_f32_e32 v7, v47, v10
	v_min_f32_e32 v92, v42, v46
	v_add_f32_e32 v93, v93, v98
	v_lshlrev_b64 v[5:6], 2, v[5:6]
	s_delay_alu instid0(VALU_DEP_4) | instskip(NEXT) | instid1(VALU_DEP_1)
	v_add_f32_e32 v7, v7, v99
	v_dual_min_f32 v96, v43, v4 :: v_dual_add_f32 v7, v92, v7
	s_delay_alu instid0(VALU_DEP_1) | instskip(NEXT) | instid1(VALU_DEP_4)
	v_add_f32_e32 v93, v96, v93
	v_add_co_u32 v5, vcc_lo, s3, v5
	v_add_co_ci_u32_e32 v6, vcc_lo, s6, v6, vcc_lo
	s_delay_alu instid0(VALU_DEP_3) | instskip(NEXT) | instid1(VALU_DEP_3)
	v_add_f32_e32 v7, v7, v93
	v_add_co_u32 v92, vcc_lo, v5, v44
	s_delay_alu instid0(VALU_DEP_3) | instskip(NEXT) | instid1(VALU_DEP_3)
	v_add_co_ci_u32_e32 v93, vcc_lo, v6, v45, vcc_lo
	v_add_f32_e32 v7, v7, v89
	s_and_b32 vcc_lo, exec_lo, s0
	global_store_b32 v[92:93], v7, off
	s_cbranch_vccnz .LBB79_48
; %bb.47:
	v_add_co_u32 v88, vcc_lo, v8, v40
	v_add_co_ci_u32_e32 v89, vcc_lo, v9, v41, vcc_lo
	flat_load_b32 v7, v[88:89]
	s_waitcnt vmcnt(0) lgkmcnt(0)
	v_mul_f32_e32 v88, s18, v7
.LBB79_48:
	v_dual_min_f32 v7, v51, v11 :: v_dual_min_f32 v92, v38, v46
	v_min_f32_e32 v89, v50, v10
	v_min_f32_e32 v93, v39, v4
	s_delay_alu instid0(VALU_DEP_3) | instskip(NEXT) | instid1(VALU_DEP_3)
	v_add_f32_e32 v7, v7, v94
	v_add_f32_e32 v89, v89, v95
	s_delay_alu instid0(VALU_DEP_2) | instskip(NEXT) | instid1(VALU_DEP_2)
	v_add_f32_e32 v7, v93, v7
	v_add_f32_e32 v89, v92, v89
	v_add_co_u32 v92, vcc_lo, v5, v40
	v_add_co_ci_u32_e32 v93, vcc_lo, v6, v41, vcc_lo
	s_delay_alu instid0(VALU_DEP_3) | instskip(SKIP_1) | instid1(VALU_DEP_1)
	v_add_f32_e32 v7, v89, v7
	s_and_b32 vcc_lo, exec_lo, s0
	v_dual_add_f32 v89, v7, v88 :: v_dual_mov_b32 v88, 0
	v_mov_b32_e32 v7, 0
	global_store_b32 v[92:93], v89, off
	s_cbranch_vccnz .LBB79_50
; %bb.49:
	v_add_co_u32 v88, vcc_lo, v8, v36
	v_add_co_ci_u32_e32 v89, vcc_lo, v9, v37, vcc_lo
	flat_load_b32 v88, v[88:89]
	s_waitcnt vmcnt(0) lgkmcnt(0)
	v_mul_f32_e32 v88, s18, v88
.LBB79_50:
	v_dual_min_f32 v89, v53, v11 :: v_dual_min_f32 v92, v52, v10
	v_dual_min_f32 v93, v34, v46 :: v_dual_min_f32 v94, v35, v4
	s_delay_alu instid0(VALU_DEP_2) | instskip(NEXT) | instid1(VALU_DEP_1)
	v_dual_add_f32 v89, v89, v90 :: v_dual_add_f32 v90, v92, v91
	v_dual_add_f32 v89, v94, v89 :: v_dual_add_f32 v90, v93, v90
	s_delay_alu instid0(VALU_DEP_1) | instskip(NEXT) | instid1(VALU_DEP_1)
	v_add_f32_e32 v89, v90, v89
	v_add_f32_e32 v90, v89, v88
	v_add_co_u32 v88, vcc_lo, v5, v36
	v_add_co_ci_u32_e32 v89, vcc_lo, v6, v37, vcc_lo
	s_and_b32 vcc_lo, exec_lo, s0
	global_store_b32 v[88:89], v90, off
	s_cbranch_vccnz .LBB79_52
; %bb.51:
	v_add_co_u32 v88, vcc_lo, v8, v32
	v_add_co_ci_u32_e32 v89, vcc_lo, v9, v33, vcc_lo
	flat_load_b32 v7, v[88:89]
	s_waitcnt vmcnt(0) lgkmcnt(0)
	v_mul_f32_e32 v7, s18, v7
.LBB79_52:
	v_dual_min_f32 v88, v55, v11 :: v_dual_min_f32 v89, v54, v10
	v_dual_min_f32 v90, v30, v46 :: v_dual_min_f32 v91, v31, v4
	s_delay_alu instid0(VALU_DEP_2) | instskip(NEXT) | instid1(VALU_DEP_1)
	v_dual_add_f32 v86, v88, v86 :: v_dual_add_f32 v87, v89, v87
	v_dual_add_f32 v86, v91, v86 :: v_dual_add_f32 v87, v90, v87
	s_delay_alu instid0(VALU_DEP_1) | instskip(SKIP_2) | instid1(VALU_DEP_3)
	v_add_f32_e32 v86, v87, v86
	v_add_co_u32 v87, vcc_lo, v5, v32
	v_add_co_ci_u32_e32 v88, vcc_lo, v6, v33, vcc_lo
	v_dual_add_f32 v89, v86, v7 :: v_dual_mov_b32 v86, 0
	v_mov_b32_e32 v7, 0
	s_and_b32 vcc_lo, exec_lo, s0
	global_store_b32 v[87:88], v89, off
	s_cbranch_vccnz .LBB79_54
; %bb.53:
	v_add_co_u32 v86, vcc_lo, v8, v28
	v_add_co_ci_u32_e32 v87, vcc_lo, v9, v29, vcc_lo
	flat_load_b32 v86, v[86:87]
	s_waitcnt vmcnt(0) lgkmcnt(0)
	v_mul_f32_e32 v86, s18, v86
.LBB79_54:
	v_dual_min_f32 v87, v57, v11 :: v_dual_min_f32 v88, v56, v10
	v_dual_min_f32 v89, v26, v46 :: v_dual_min_f32 v90, v27, v4
	s_delay_alu instid0(VALU_DEP_2) | instskip(NEXT) | instid1(VALU_DEP_1)
	v_dual_add_f32 v84, v87, v84 :: v_dual_add_f32 v85, v88, v85
	v_dual_add_f32 v84, v90, v84 :: v_dual_add_f32 v85, v89, v85
	s_delay_alu instid0(VALU_DEP_1) | instskip(NEXT) | instid1(VALU_DEP_1)
	v_add_f32_e32 v84, v85, v84
	v_add_f32_e32 v86, v84, v86
	v_add_co_u32 v84, vcc_lo, v5, v28
	v_add_co_ci_u32_e32 v85, vcc_lo, v6, v29, vcc_lo
	s_and_b32 vcc_lo, exec_lo, s0
	global_store_b32 v[84:85], v86, off
	s_cbranch_vccnz .LBB79_56
; %bb.55:
	v_add_co_u32 v84, vcc_lo, v8, v24
	v_add_co_ci_u32_e32 v85, vcc_lo, v9, v25, vcc_lo
	flat_load_b32 v7, v[84:85]
	s_waitcnt vmcnt(0) lgkmcnt(0)
	v_mul_f32_e32 v7, s18, v7
.LBB79_56:
	v_dual_min_f32 v84, v59, v11 :: v_dual_min_f32 v85, v58, v10
	v_dual_min_f32 v86, v22, v46 :: v_dual_min_f32 v87, v23, v4
	s_delay_alu instid0(VALU_DEP_2) | instskip(SKIP_2) | instid1(VALU_DEP_3)
	v_dual_add_f32 v80, v84, v80 :: v_dual_add_f32 v81, v85, v81
	v_add_co_u32 v84, vcc_lo, v5, v24
	v_add_co_ci_u32_e32 v85, vcc_lo, v6, v25, vcc_lo
	v_dual_add_f32 v80, v87, v80 :: v_dual_add_f32 v81, v86, v81
	s_and_b32 vcc_lo, exec_lo, s0
	s_delay_alu instid0(VALU_DEP_1) | instskip(NEXT) | instid1(VALU_DEP_1)
	v_add_f32_e32 v80, v81, v80
	v_dual_add_f32 v81, v80, v7 :: v_dual_mov_b32 v80, 0
	v_mov_b32_e32 v7, 0
	global_store_b32 v[84:85], v81, off
	s_cbranch_vccnz .LBB79_58
; %bb.57:
	v_add_co_u32 v80, vcc_lo, v8, v20
	v_add_co_ci_u32_e32 v81, vcc_lo, v9, v21, vcc_lo
	flat_load_b32 v80, v[80:81]
	s_waitcnt vmcnt(0) lgkmcnt(0)
	v_mul_f32_e32 v80, s18, v80
.LBB79_58:
	v_dual_min_f32 v81, v61, v11 :: v_dual_min_f32 v84, v60, v10
	v_dual_min_f32 v85, v18, v46 :: v_dual_min_f32 v86, v19, v4
	s_delay_alu instid0(VALU_DEP_2) | instskip(NEXT) | instid1(VALU_DEP_1)
	v_dual_add_f32 v76, v81, v76 :: v_dual_add_f32 v77, v84, v77
	v_dual_add_f32 v76, v86, v76 :: v_dual_add_f32 v77, v85, v77
	s_delay_alu instid0(VALU_DEP_1) | instskip(NEXT) | instid1(VALU_DEP_1)
	v_add_f32_e32 v76, v77, v76
	v_add_f32_e32 v80, v76, v80
	v_add_co_u32 v76, vcc_lo, v5, v20
	v_add_co_ci_u32_e32 v77, vcc_lo, v6, v21, vcc_lo
	s_and_b32 vcc_lo, exec_lo, s0
	global_store_b32 v[76:77], v80, off
	s_cbranch_vccnz .LBB79_60
; %bb.59:
	v_add_co_u32 v7, vcc_lo, v8, v16
	v_add_co_ci_u32_e32 v8, vcc_lo, v9, v17, vcc_lo
	flat_load_b32 v7, v[7:8]
	s_waitcnt vmcnt(0) lgkmcnt(0)
	v_mul_f32_e32 v7, s18, v7
.LBB79_60:
	v_dual_min_f32 v8, v12, v10 :: v_dual_add_nc_u32 v9, 0x60, v48
	v_min_f32_e32 v10, v13, v11
	v_min_f32_e32 v46, v14, v46
	;; [unrolled: 1-line block ×3, first 2 shown]
	s_delay_alu instid0(VALU_DEP_4) | instskip(NEXT) | instid1(VALU_DEP_4)
	v_add_f32_e32 v8, v8, v73
	v_add_f32_e32 v48, v10, v72
	v_mad_i64_i32 v[10:11], null, v9, s8, 0
	s_delay_alu instid0(VALU_DEP_3) | instskip(SKIP_1) | instid1(VALU_DEP_4)
	v_add_f32_e32 v8, v46, v8
	v_add_co_u32 v72, vcc_lo, v5, v16
	v_add_f32_e32 v4, v4, v48
	v_add_co_ci_u32_e32 v73, vcc_lo, v6, v17, vcc_lo
	v_lshlrev_b64 v[10:11], 2, v[10:11]
	s_delay_alu instid0(VALU_DEP_3) | instskip(SKIP_1) | instid1(VALU_DEP_2)
	v_add_f32_e32 v4, v8, v4
	v_mov_b32_e32 v8, 0
	v_add_f32_e32 v6, v4, v7
	s_delay_alu instid0(VALU_DEP_4)
	v_add_co_u32 v4, vcc_lo, s4, v10
	v_add_co_ci_u32_e32 v5, vcc_lo, s5, v11, vcc_lo
	v_mov_b32_e32 v10, 0
	s_and_b32 vcc_lo, exec_lo, s0
	global_store_b32 v[72:73], v6, off
	s_cbranch_vccnz .LBB79_62
; %bb.61:
	v_add_co_u32 v6, vcc_lo, v4, v44
	v_add_co_ci_u32_e32 v7, vcc_lo, v5, v45, vcc_lo
	flat_load_b32 v6, v[6:7]
	s_waitcnt vmcnt(0) lgkmcnt(0)
	v_mul_f32_e32 v10, s18, v6
.LBB79_62:
	v_dual_max_f32 v0, v0, v0 :: v_dual_max_f32 v1, v1, v1
	v_dual_max_f32 v2, v2, v2 :: v_dual_max_f32 v3, v3, v3
	v_mad_i64_i32 v[6:7], null, v9, s1, 0
	s_delay_alu instid0(VALU_DEP_3) | instskip(NEXT) | instid1(VALU_DEP_3)
	v_dual_min_f32 v11, v47, v0 :: v_dual_min_f32 v46, v49, v1
	v_dual_min_f32 v9, v42, v2 :: v_dual_min_f32 v42, v43, v3
	s_delay_alu instid0(VALU_DEP_2) | instskip(NEXT) | instid1(VALU_DEP_3)
	v_add_f32_e32 v11, v11, v83
	v_add_f32_e32 v43, v46, v82
	v_lshlrev_b64 v[6:7], 2, v[6:7]
	s_delay_alu instid0(VALU_DEP_3) | instskip(NEXT) | instid1(VALU_DEP_3)
	v_add_f32_e32 v9, v9, v11
	v_add_f32_e32 v42, v42, v43
	s_delay_alu instid0(VALU_DEP_3) | instskip(NEXT) | instid1(VALU_DEP_4)
	v_add_co_u32 v6, vcc_lo, s3, v6
	v_add_co_ci_u32_e32 v7, vcc_lo, s6, v7, vcc_lo
	s_delay_alu instid0(VALU_DEP_3) | instskip(NEXT) | instid1(VALU_DEP_1)
	v_add_f32_e32 v9, v9, v42
	v_add_f32_e32 v11, v9, v10
	s_delay_alu instid0(VALU_DEP_4) | instskip(NEXT) | instid1(VALU_DEP_4)
	v_add_co_u32 v9, vcc_lo, v6, v44
	v_add_co_ci_u32_e32 v10, vcc_lo, v7, v45, vcc_lo
	s_and_b32 vcc_lo, exec_lo, s0
	global_store_b32 v[9:10], v11, off
	s_cbranch_vccnz .LBB79_64
; %bb.63:
	v_add_co_u32 v8, vcc_lo, v4, v40
	v_add_co_ci_u32_e32 v9, vcc_lo, v5, v41, vcc_lo
	flat_load_b32 v8, v[8:9]
	s_waitcnt vmcnt(0) lgkmcnt(0)
	v_mul_f32_e32 v8, s18, v8
.LBB79_64:
	v_dual_min_f32 v9, v51, v1 :: v_dual_min_f32 v10, v50, v0
	v_dual_min_f32 v11, v38, v2 :: v_dual_min_f32 v38, v39, v3
	s_delay_alu instid0(VALU_DEP_2) | instskip(NEXT) | instid1(VALU_DEP_1)
	v_dual_add_f32 v9, v9, v78 :: v_dual_add_f32 v10, v10, v79
	v_dual_add_f32 v9, v38, v9 :: v_dual_add_f32 v10, v11, v10
	s_delay_alu instid0(VALU_DEP_1) | instskip(SKIP_2) | instid1(VALU_DEP_3)
	v_add_f32_e32 v9, v10, v9
	v_add_co_u32 v10, vcc_lo, v6, v40
	v_add_co_ci_u32_e32 v11, vcc_lo, v7, v41, vcc_lo
	v_dual_add_f32 v38, v9, v8 :: v_dual_mov_b32 v9, 0
	v_mov_b32_e32 v8, 0
	s_and_b32 vcc_lo, exec_lo, s0
	global_store_b32 v[10:11], v38, off
	s_cbranch_vccnz .LBB79_66
; %bb.65:
	v_add_co_u32 v9, vcc_lo, v4, v36
	v_add_co_ci_u32_e32 v10, vcc_lo, v5, v37, vcc_lo
	flat_load_b32 v9, v[9:10]
	s_waitcnt vmcnt(0) lgkmcnt(0)
	v_mul_f32_e32 v9, s18, v9
.LBB79_66:
	v_dual_min_f32 v10, v53, v1 :: v_dual_min_f32 v11, v52, v0
	v_dual_min_f32 v34, v34, v2 :: v_dual_min_f32 v35, v35, v3
	s_delay_alu instid0(VALU_DEP_2) | instskip(NEXT) | instid1(VALU_DEP_1)
	v_dual_add_f32 v10, v10, v74 :: v_dual_add_f32 v11, v11, v75
	v_dual_add_f32 v10, v35, v10 :: v_dual_add_f32 v11, v34, v11
	s_delay_alu instid0(VALU_DEP_1) | instskip(NEXT) | instid1(VALU_DEP_1)
	v_add_f32_e32 v10, v11, v10
	v_add_f32_e32 v11, v10, v9
	v_add_co_u32 v9, vcc_lo, v6, v36
	v_add_co_ci_u32_e32 v10, vcc_lo, v7, v37, vcc_lo
	s_and_b32 vcc_lo, exec_lo, s0
	global_store_b32 v[9:10], v11, off
	s_cbranch_vccnz .LBB79_68
; %bb.67:
	v_add_co_u32 v8, vcc_lo, v4, v32
	v_add_co_ci_u32_e32 v9, vcc_lo, v5, v33, vcc_lo
	flat_load_b32 v8, v[8:9]
	s_waitcnt vmcnt(0) lgkmcnt(0)
	v_mul_f32_e32 v8, s18, v8
.LBB79_68:
	v_dual_min_f32 v9, v55, v1 :: v_dual_min_f32 v10, v54, v0
	v_dual_min_f32 v11, v30, v2 :: v_dual_min_f32 v30, v31, v3
	s_delay_alu instid0(VALU_DEP_2) | instskip(NEXT) | instid1(VALU_DEP_1)
	v_dual_add_f32 v9, v9, v70 :: v_dual_add_f32 v10, v10, v71
	v_dual_add_f32 v9, v30, v9 :: v_dual_add_f32 v10, v11, v10
	s_delay_alu instid0(VALU_DEP_1) | instskip(SKIP_2) | instid1(VALU_DEP_3)
	v_add_f32_e32 v9, v10, v9
	v_add_co_u32 v10, vcc_lo, v6, v32
	v_add_co_ci_u32_e32 v11, vcc_lo, v7, v33, vcc_lo
	v_dual_add_f32 v30, v9, v8 :: v_dual_mov_b32 v9, 0
	v_mov_b32_e32 v8, 0
	s_and_b32 vcc_lo, exec_lo, s0
	global_store_b32 v[10:11], v30, off
	s_cbranch_vccnz .LBB79_70
; %bb.69:
	v_add_co_u32 v9, vcc_lo, v4, v28
	v_add_co_ci_u32_e32 v10, vcc_lo, v5, v29, vcc_lo
	flat_load_b32 v9, v[9:10]
	s_waitcnt vmcnt(0) lgkmcnt(0)
	v_mul_f32_e32 v9, s18, v9
.LBB79_70:
	v_dual_min_f32 v10, v57, v1 :: v_dual_min_f32 v11, v56, v0
	v_dual_min_f32 v26, v26, v2 :: v_dual_min_f32 v27, v27, v3
	s_delay_alu instid0(VALU_DEP_2) | instskip(NEXT) | instid1(VALU_DEP_1)
	v_dual_add_f32 v10, v10, v68 :: v_dual_add_f32 v11, v11, v69
	v_dual_add_f32 v10, v27, v10 :: v_dual_add_f32 v11, v26, v11
	s_delay_alu instid0(VALU_DEP_1) | instskip(NEXT) | instid1(VALU_DEP_1)
	v_add_f32_e32 v10, v11, v10
	v_add_f32_e32 v11, v10, v9
	v_add_co_u32 v9, vcc_lo, v6, v28
	v_add_co_ci_u32_e32 v10, vcc_lo, v7, v29, vcc_lo
	s_and_b32 vcc_lo, exec_lo, s0
	global_store_b32 v[9:10], v11, off
	s_cbranch_vccnz .LBB79_72
; %bb.71:
	v_add_co_u32 v8, vcc_lo, v4, v24
	v_add_co_ci_u32_e32 v9, vcc_lo, v5, v25, vcc_lo
	flat_load_b32 v8, v[8:9]
	s_waitcnt vmcnt(0) lgkmcnt(0)
	v_mul_f32_e32 v8, s18, v8
.LBB79_72:
	v_dual_min_f32 v9, v59, v1 :: v_dual_min_f32 v10, v58, v0
	v_dual_min_f32 v11, v22, v2 :: v_dual_min_f32 v22, v23, v3
	v_min_f32_e32 v23, v61, v1
	s_delay_alu instid0(VALU_DEP_3) | instskip(NEXT) | instid1(VALU_DEP_4)
	v_dual_add_f32 v9, v9, v66 :: v_dual_min_f32 v26, v60, v0
	v_add_f32_e32 v10, v10, v67
	s_delay_alu instid0(VALU_DEP_3) | instskip(NEXT) | instid1(VALU_DEP_2)
	v_dual_min_f32 v18, v18, v2 :: v_dual_add_f32 v23, v23, v65
	v_dual_add_f32 v9, v22, v9 :: v_dual_add_f32 v10, v11, v10
	v_min_f32_e32 v11, v19, v3
	v_add_f32_e32 v19, v26, v64
	s_delay_alu instid0(VALU_DEP_2) | instskip(NEXT) | instid1(VALU_DEP_2)
	v_dual_add_f32 v22, v10, v9 :: v_dual_add_f32 v11, v11, v23
	v_add_f32_e32 v18, v18, v19
	v_add_co_u32 v9, vcc_lo, v6, v24
	v_add_co_ci_u32_e32 v10, vcc_lo, v7, v25, vcc_lo
	s_delay_alu instid0(VALU_DEP_4) | instskip(NEXT) | instid1(VALU_DEP_4)
	v_add_f32_e32 v19, v22, v8
	v_add_f32_e32 v8, v18, v11
	s_mov_b32 vcc_lo, s2
	global_store_b32 v[9:10], v19, off
	s_cbranch_vccz .LBB79_75
; %bb.73:
	v_add_co_u32 v9, vcc_lo, v6, v20
	v_add_f32_e32 v11, 0, v8
	v_add_co_ci_u32_e32 v10, vcc_lo, v7, v21, vcc_lo
	s_mov_b32 s0, 0
	global_store_b32 v[9:10], v11, off
	s_cbranch_execz .LBB79_76
; %bb.74:
	v_mov_b32_e32 v4, s0
	s_branch .LBB79_77
.LBB79_75:
	s_mov_b32 s0, -1
.LBB79_76:
	v_add_co_u32 v9, vcc_lo, v4, v20
	v_add_co_ci_u32_e32 v10, vcc_lo, v5, v21, vcc_lo
	flat_load_b32 v11, v[9:10]
	v_add_co_u32 v9, vcc_lo, v6, v20
	v_add_co_ci_u32_e32 v10, vcc_lo, v7, v21, vcc_lo
	v_add_co_u32 v4, vcc_lo, v4, v16
	v_add_co_ci_u32_e32 v5, vcc_lo, v5, v17, vcc_lo
	s_waitcnt vmcnt(0) lgkmcnt(0)
	v_fmac_f32_e32 v8, s18, v11
	global_store_b32 v[9:10], v8, off
	flat_load_b32 v4, v[4:5]
	s_waitcnt vmcnt(0) lgkmcnt(0)
	v_mul_f32_e32 v4, s18, v4
.LBB79_77:
	v_dual_min_f32 v1, v13, v1 :: v_dual_min_f32 v0, v12, v0
	v_dual_min_f32 v2, v14, v2 :: v_dual_min_f32 v3, v15, v3
	s_delay_alu instid0(VALU_DEP_2) | instskip(NEXT) | instid1(VALU_DEP_1)
	v_dual_add_f32 v1, v1, v62 :: v_dual_add_f32 v0, v0, v63
	v_dual_add_f32 v1, v3, v1 :: v_dual_add_f32 v0, v2, v0
	s_delay_alu instid0(VALU_DEP_1) | instskip(NEXT) | instid1(VALU_DEP_1)
	v_add_f32_e32 v0, v0, v1
	v_add_f32_e32 v2, v0, v4
	v_add_co_u32 v0, vcc_lo, v6, v16
	v_add_co_ci_u32_e32 v1, vcc_lo, v7, v17, vcc_lo
	global_store_b32 v[0:1], v2, off
	s_nop 0
	s_sendmsg sendmsg(MSG_DEALLOC_VGPRS)
	s_endpgm
	.section	.rodata,"a",@progbits
	.p2align	6, 0x0
	.amdhsa_kernel _ZN12_GLOBAL__N_120geam_min_plus_kernelIf15HIP_vector_typeIfLj2EES2_Li8ELi32ELi64ELi128ELi4ELi64ELi4ELi4ELi64ELc78ELc78ELb1ELb0ELb0EfKffEEviiiT16_PT17_ilS6_ilS4_S6_ilPT18_ili26rocblas_geam_ex_operation_
		.amdhsa_group_segment_fixed_size 6144
		.amdhsa_private_segment_fixed_size 0
		.amdhsa_kernarg_size 128
		.amdhsa_user_sgpr_count 14
		.amdhsa_user_sgpr_dispatch_ptr 0
		.amdhsa_user_sgpr_queue_ptr 0
		.amdhsa_user_sgpr_kernarg_segment_ptr 1
		.amdhsa_user_sgpr_dispatch_id 0
		.amdhsa_user_sgpr_private_segment_size 0
		.amdhsa_wavefront_size32 1
		.amdhsa_uses_dynamic_stack 0
		.amdhsa_enable_private_segment 0
		.amdhsa_system_sgpr_workgroup_id_x 1
		.amdhsa_system_sgpr_workgroup_id_y 0
		.amdhsa_system_sgpr_workgroup_id_z 1
		.amdhsa_system_sgpr_workgroup_info 0
		.amdhsa_system_vgpr_workitem_id 1
		.amdhsa_next_free_vgpr 170
		.amdhsa_next_free_sgpr 23
		.amdhsa_reserve_vcc 1
		.amdhsa_float_round_mode_32 0
		.amdhsa_float_round_mode_16_64 0
		.amdhsa_float_denorm_mode_32 3
		.amdhsa_float_denorm_mode_16_64 3
		.amdhsa_dx10_clamp 1
		.amdhsa_ieee_mode 1
		.amdhsa_fp16_overflow 0
		.amdhsa_workgroup_processor_mode 1
		.amdhsa_memory_ordered 1
		.amdhsa_forward_progress 0
		.amdhsa_shared_vgpr_count 0
		.amdhsa_exception_fp_ieee_invalid_op 0
		.amdhsa_exception_fp_denorm_src 0
		.amdhsa_exception_fp_ieee_div_zero 0
		.amdhsa_exception_fp_ieee_overflow 0
		.amdhsa_exception_fp_ieee_underflow 0
		.amdhsa_exception_fp_ieee_inexact 0
		.amdhsa_exception_int_div_zero 0
	.end_amdhsa_kernel
	.section	.text._ZN12_GLOBAL__N_120geam_min_plus_kernelIf15HIP_vector_typeIfLj2EES2_Li8ELi32ELi64ELi128ELi4ELi64ELi4ELi4ELi64ELc78ELc78ELb1ELb0ELb0EfKffEEviiiT16_PT17_ilS6_ilS4_S6_ilPT18_ili26rocblas_geam_ex_operation_,"axG",@progbits,_ZN12_GLOBAL__N_120geam_min_plus_kernelIf15HIP_vector_typeIfLj2EES2_Li8ELi32ELi64ELi128ELi4ELi64ELi4ELi4ELi64ELc78ELc78ELb1ELb0ELb0EfKffEEviiiT16_PT17_ilS6_ilS4_S6_ilPT18_ili26rocblas_geam_ex_operation_,comdat
.Lfunc_end79:
	.size	_ZN12_GLOBAL__N_120geam_min_plus_kernelIf15HIP_vector_typeIfLj2EES2_Li8ELi32ELi64ELi128ELi4ELi64ELi4ELi4ELi64ELc78ELc78ELb1ELb0ELb0EfKffEEviiiT16_PT17_ilS6_ilS4_S6_ilPT18_ili26rocblas_geam_ex_operation_, .Lfunc_end79-_ZN12_GLOBAL__N_120geam_min_plus_kernelIf15HIP_vector_typeIfLj2EES2_Li8ELi32ELi64ELi128ELi4ELi64ELi4ELi4ELi64ELc78ELc78ELb1ELb0ELb0EfKffEEviiiT16_PT17_ilS6_ilS4_S6_ilPT18_ili26rocblas_geam_ex_operation_
                                        ; -- End function
	.section	.AMDGPU.csdata,"",@progbits
; Kernel info:
; codeLenInByte = 10296
; NumSgprs: 25
; NumVgprs: 170
; ScratchSize: 0
; MemoryBound: 0
; FloatMode: 240
; IeeeMode: 1
; LDSByteSize: 6144 bytes/workgroup (compile time only)
; SGPRBlocks: 3
; VGPRBlocks: 21
; NumSGPRsForWavesPerEU: 25
; NumVGPRsForWavesPerEU: 170
; Occupancy: 8
; WaveLimiterHint : 0
; COMPUTE_PGM_RSRC2:SCRATCH_EN: 0
; COMPUTE_PGM_RSRC2:USER_SGPR: 14
; COMPUTE_PGM_RSRC2:TRAP_HANDLER: 0
; COMPUTE_PGM_RSRC2:TGID_X_EN: 1
; COMPUTE_PGM_RSRC2:TGID_Y_EN: 0
; COMPUTE_PGM_RSRC2:TGID_Z_EN: 1
; COMPUTE_PGM_RSRC2:TIDIG_COMP_CNT: 1
	.section	.text._ZN12_GLOBAL__N_120geam_min_plus_kernelIf15HIP_vector_typeIfLj2EES2_Li8ELi32ELi64ELi128ELi4ELi64ELi4ELi4ELi64ELc78ELc78ELb0ELb0ELb0EfKffEEviiiT16_PT17_ilS6_ilS4_S6_ilPT18_ili26rocblas_geam_ex_operation_,"axG",@progbits,_ZN12_GLOBAL__N_120geam_min_plus_kernelIf15HIP_vector_typeIfLj2EES2_Li8ELi32ELi64ELi128ELi4ELi64ELi4ELi4ELi64ELc78ELc78ELb0ELb0ELb0EfKffEEviiiT16_PT17_ilS6_ilS4_S6_ilPT18_ili26rocblas_geam_ex_operation_,comdat
	.globl	_ZN12_GLOBAL__N_120geam_min_plus_kernelIf15HIP_vector_typeIfLj2EES2_Li8ELi32ELi64ELi128ELi4ELi64ELi4ELi4ELi64ELc78ELc78ELb0ELb0ELb0EfKffEEviiiT16_PT17_ilS6_ilS4_S6_ilPT18_ili26rocblas_geam_ex_operation_ ; -- Begin function _ZN12_GLOBAL__N_120geam_min_plus_kernelIf15HIP_vector_typeIfLj2EES2_Li8ELi32ELi64ELi128ELi4ELi64ELi4ELi4ELi64ELc78ELc78ELb0ELb0ELb0EfKffEEviiiT16_PT17_ilS6_ilS4_S6_ilPT18_ili26rocblas_geam_ex_operation_
	.p2align	8
	.type	_ZN12_GLOBAL__N_120geam_min_plus_kernelIf15HIP_vector_typeIfLj2EES2_Li8ELi32ELi64ELi128ELi4ELi64ELi4ELi4ELi64ELc78ELc78ELb0ELb0ELb0EfKffEEviiiT16_PT17_ilS6_ilS4_S6_ilPT18_ili26rocblas_geam_ex_operation_,@function
_ZN12_GLOBAL__N_120geam_min_plus_kernelIf15HIP_vector_typeIfLj2EES2_Li8ELi32ELi64ELi128ELi4ELi64ELi4ELi4ELi64ELc78ELc78ELb0ELb0ELb0EfKffEEviiiT16_PT17_ilS6_ilS4_S6_ilPT18_ili26rocblas_geam_ex_operation_: ; @_ZN12_GLOBAL__N_120geam_min_plus_kernelIf15HIP_vector_typeIfLj2EES2_Li8ELi32ELi64ELi128ELi4ELi64ELi4ELi4ELi64ELc78ELc78ELb0ELb0ELb0EfKffEEviiiT16_PT17_ilS6_ilS4_S6_ilPT18_ili26rocblas_geam_ex_operation_
; %bb.0:
	s_clause 0x1
	s_load_b64 s[8:9], s[0:1], 0x8
	s_load_b128 s[4:7], s[0:1], 0x20
	s_waitcnt lgkmcnt(0)
	v_cmp_eq_f32_e64 s2, s9, 0
	s_delay_alu instid0(VALU_DEP_1)
	s_and_b32 vcc_lo, exec_lo, s2
	s_cbranch_vccnz .LBB80_3
; %bb.1:
	s_load_b64 s[10:11], s[0:1], 0x10
	s_mul_i32 s3, s15, s5
	s_mul_hi_u32 s5, s15, s4
	s_mul_i32 s4, s15, s4
	s_add_i32 s5, s5, s3
	s_delay_alu instid0(SALU_CYCLE_1)
	s_lshl_b64 s[4:5], s[4:5], 2
	s_waitcnt lgkmcnt(0)
	s_add_u32 s10, s10, s4
	s_addc_u32 s11, s11, s5
	s_and_not1_b32 vcc_lo, exec_lo, s2
	s_cbranch_vccnz .LBB80_4
.LBB80_2:
	s_mov_b32 s19, 0
	s_mov_b64 s[12:13], 0
	s_cbranch_execz .LBB80_5
	s_branch .LBB80_6
.LBB80_3:
	s_mov_b64 s[10:11], 0
	s_and_not1_b32 vcc_lo, exec_lo, s2
	s_cbranch_vccz .LBB80_2
.LBB80_4:
	s_mov_b32 s19, -1
                                        ; implicit-def: $sgpr12_sgpr13
.LBB80_5:
	s_load_b64 s[2:3], s[0:1], 0x38
	s_mov_b32 s19, 0
	s_waitcnt lgkmcnt(0)
	s_mul_i32 s3, s15, s3
	s_mul_hi_u32 s4, s15, s2
	s_mul_i32 s2, s15, s2
	s_add_i32 s3, s4, s3
	s_delay_alu instid0(SALU_CYCLE_1) | instskip(NEXT) | instid1(SALU_CYCLE_1)
	s_lshl_b64 s[2:3], s[2:3], 2
	s_add_u32 s12, s6, s2
	s_addc_u32 s13, s7, s3
.LBB80_6:
	s_clause 0x1
	s_load_b32 s18, s[0:1], 0x40
	s_load_b128 s[4:7], s[0:1], 0x58
	v_cmp_neq_f32_e64 s21, s9, 0
	s_waitcnt lgkmcnt(0)
	v_cmp_eq_f32_e64 s2, s18, 0
	s_delay_alu instid0(VALU_DEP_1) | instskip(NEXT) | instid1(SALU_CYCLE_1)
	s_and_b32 s2, exec_lo, s2
	s_mov_b32 vcc_lo, s2
	s_cbranch_vccnz .LBB80_8
; %bb.7:
	s_load_b64 s[16:17], s[0:1], 0x48
	s_mul_i32 s3, s15, s5
	s_mul_hi_u32 s5, s15, s4
	s_delay_alu instid0(SALU_CYCLE_1) | instskip(SKIP_3) | instid1(SALU_CYCLE_1)
	s_add_i32 s3, s5, s3
	s_mul_i32 s5, s19, s4
	s_mul_i32 s4, s15, s4
	s_add_i32 s5, s3, s5
	s_lshl_b64 s[4:5], s[4:5], 2
	s_waitcnt lgkmcnt(0)
	s_add_u32 s4, s16, s4
	s_addc_u32 s5, s17, s5
	s_branch .LBB80_9
.LBB80_8:
	s_mov_b64 s[4:5], 0
.LBB80_9:
	s_clause 0x1
	s_load_b32 s3, s[0:1], 0x0
	s_load_b32 s16, s[0:1], 0x18
	v_and_b32_e32 v52, 0x3ff, v0
	v_bfe_u32 v53, v0, 10, 10
	s_delay_alu instid0(VALU_DEP_1) | instskip(NEXT) | instid1(VALU_DEP_1)
	v_lshl_add_u32 v4, v53, 3, v52
	v_and_b32_e32 v3, 63, v4
	v_lshrrev_b32_e32 v2, 6, v4
	s_waitcnt lgkmcnt(0)
	s_add_i32 s3, s3, -1
	s_delay_alu instid0(SALU_CYCLE_1) | instskip(NEXT) | instid1(SALU_CYCLE_1)
	s_ashr_i32 s17, s3, 31
	s_lshr_b32 s17, s17, 26
	s_delay_alu instid0(SALU_CYCLE_1) | instskip(NEXT) | instid1(SALU_CYCLE_1)
	s_add_i32 s3, s3, s17
	s_ashr_i32 s3, s3, 6
	s_delay_alu instid0(SALU_CYCLE_1) | instskip(SKIP_2) | instid1(VALU_DEP_1)
	s_add_i32 s20, s3, 1
	s_not_b32 s3, s3
	v_cvt_f32_u32_e32 v1, s20
	v_rcp_iflag_f32_e32 v1, v1
	s_waitcnt_depctr 0xfff
	v_mul_f32_e32 v1, 0x4f7ffffe, v1
	s_delay_alu instid0(VALU_DEP_1) | instskip(NEXT) | instid1(VALU_DEP_1)
	v_cvt_u32_f32_e32 v1, v1
	v_readfirstlane_b32 s17, v1
	v_cndmask_b32_e64 v1, 0, 1, s21
	s_delay_alu instid0(VALU_DEP_2) | instskip(NEXT) | instid1(SALU_CYCLE_1)
	s_mul_i32 s3, s3, s17
	s_mul_hi_u32 s3, s17, s3
	s_delay_alu instid0(SALU_CYCLE_1) | instskip(NEXT) | instid1(SALU_CYCLE_1)
	s_add_i32 s17, s17, s3
	s_mul_hi_u32 s3, s14, s17
	s_ashr_i32 s17, s16, 31
	s_mul_i32 s22, s3, s20
	s_add_i32 s23, s3, 1
	s_sub_i32 s22, s14, s22
	s_delay_alu instid0(SALU_CYCLE_1)
	s_sub_i32 s24, s22, s20
	s_cmp_ge_u32 s22, s20
	s_cselect_b32 s3, s23, s3
	s_cselect_b32 s22, s24, s22
	s_add_i32 s23, s3, 1
	s_cmp_ge_u32 s22, s20
	s_cselect_b32 s24, s23, s3
	s_and_not1_b32 vcc_lo, exec_lo, s21
	s_mul_i32 s22, s24, s20
	s_delay_alu instid0(SALU_CYCLE_1) | instskip(NEXT) | instid1(SALU_CYCLE_1)
	s_sub_i32 s3, s14, s22
	s_lshl_b32 s20, s3, 6
	v_cmp_ne_u32_e64 s3, 1, v1
	v_or_b32_e32 v0, s20, v3
	s_delay_alu instid0(VALU_DEP_1)
	v_ashrrev_i32_e32 v1, 31, v0
	s_cbranch_vccnz .LBB80_11
; %bb.10:
	v_mad_i64_i32 v[5:6], null, s16, v2, 0
	s_delay_alu instid0(VALU_DEP_2) | instskip(NEXT) | instid1(VALU_DEP_2)
	v_lshlrev_b64 v[7:8], 2, v[0:1]
	v_lshlrev_b64 v[5:6], 2, v[5:6]
	s_delay_alu instid0(VALU_DEP_1) | instskip(NEXT) | instid1(VALU_DEP_2)
	v_add_co_u32 v5, vcc_lo, s10, v5
	v_add_co_ci_u32_e32 v6, vcc_lo, s11, v6, vcc_lo
	s_delay_alu instid0(VALU_DEP_2) | instskip(NEXT) | instid1(VALU_DEP_2)
	v_add_co_u32 v5, vcc_lo, v5, v7
	v_add_co_ci_u32_e32 v6, vcc_lo, v6, v8, vcc_lo
	flat_load_b32 v5, v[5:6]
	s_waitcnt vmcnt(0) lgkmcnt(0)
	v_mul_f32_e32 v8, s9, v5
	s_branch .LBB80_12
.LBB80_11:
	v_mov_b32_e32 v8, 0
.LBB80_12:
	s_load_b32 s23, s[0:1], 0x30
	v_lshrrev_b32_e32 v9, 2, v4
	s_lshl_b32 s21, s24, 7
	v_and_b32_e32 v5, 3, v52
	s_and_b32 vcc_lo, exec_lo, s3
	s_delay_alu instid0(VALU_DEP_2) | instskip(NEXT) | instid1(VALU_DEP_2)
	v_add_nc_u32_e32 v4, s21, v9
	v_lshlrev_b32_e32 v58, 2, v5
	s_delay_alu instid0(VALU_DEP_2)
	v_add_nc_u32_e32 v5, 64, v4
	s_cbranch_vccnz .LBB80_16
; %bb.13:
	s_waitcnt lgkmcnt(0)
	v_mad_i64_i32 v[6:7], null, v4, s23, 0
	s_delay_alu instid0(VALU_DEP_2) | instskip(SKIP_1) | instid1(VALU_DEP_1)
	v_mad_i64_i32 v[10:11], null, v5, s23, 0
	v_add_co_u32 v12, s24, s12, v58
	v_add_co_ci_u32_e64 v13, null, s13, 0, s24
	s_delay_alu instid0(VALU_DEP_4) | instskip(NEXT) | instid1(VALU_DEP_4)
	v_lshlrev_b64 v[6:7], 2, v[6:7]
	v_lshlrev_b64 v[10:11], 2, v[10:11]
	s_delay_alu instid0(VALU_DEP_2) | instskip(NEXT) | instid1(VALU_DEP_3)
	v_add_co_u32 v6, vcc_lo, v12, v6
	v_add_co_ci_u32_e32 v7, vcc_lo, v13, v7, vcc_lo
	s_delay_alu instid0(VALU_DEP_3) | instskip(NEXT) | instid1(VALU_DEP_4)
	v_add_co_u32 v10, vcc_lo, v12, v10
	v_add_co_ci_u32_e32 v11, vcc_lo, v13, v11, vcc_lo
	s_clause 0x1
	flat_load_b32 v6, v[6:7]
	flat_load_b32 v7, v[10:11]
	s_waitcnt vmcnt(0) lgkmcnt(0)
	v_dual_mul_f32 v10, s9, v6 :: v_dual_mul_f32 v11, s9, v7
	s_and_b32 vcc_lo, exec_lo, s3
	s_cbranch_vccnz .LBB80_17
.LBB80_14:
	v_add_nc_u32_e32 v12, 4, v2
	v_lshlrev_b64 v[0:1], 2, v[0:1]
	s_delay_alu instid0(VALU_DEP_2) | instskip(NEXT) | instid1(VALU_DEP_1)
	v_mad_i64_i32 v[6:7], null, s16, v12, 0
	v_lshlrev_b64 v[6:7], 2, v[6:7]
	s_delay_alu instid0(VALU_DEP_1) | instskip(NEXT) | instid1(VALU_DEP_2)
	v_add_co_u32 v6, vcc_lo, s10, v6
	v_add_co_ci_u32_e32 v7, vcc_lo, s11, v7, vcc_lo
	s_delay_alu instid0(VALU_DEP_2) | instskip(NEXT) | instid1(VALU_DEP_2)
	v_add_co_u32 v0, vcc_lo, v6, v0
	v_add_co_ci_u32_e32 v1, vcc_lo, v7, v1, vcc_lo
	flat_load_b32 v0, v[0:1]
	s_waitcnt vmcnt(0) lgkmcnt(0)
	v_mul_f32_e32 v0, s9, v0
	s_and_b32 vcc_lo, exec_lo, s3
	s_cbranch_vccnz .LBB80_18
.LBB80_15:
	s_waitcnt lgkmcnt(0)
	v_mad_i64_i32 v[6:7], null, v4, s23, 0
	v_mad_i64_i32 v[12:13], null, v5, s23, 0
	v_add_co_u32 v1, s24, s12, v58
	s_delay_alu instid0(VALU_DEP_1) | instskip(NEXT) | instid1(VALU_DEP_4)
	v_add_co_ci_u32_e64 v14, null, s13, 0, s24
	v_lshlrev_b64 v[6:7], 2, v[6:7]
	s_delay_alu instid0(VALU_DEP_4) | instskip(NEXT) | instid1(VALU_DEP_2)
	v_lshlrev_b64 v[12:13], 2, v[12:13]
	v_add_co_u32 v6, vcc_lo, v1, v6
	s_delay_alu instid0(VALU_DEP_3) | instskip(NEXT) | instid1(VALU_DEP_3)
	v_add_co_ci_u32_e32 v7, vcc_lo, v14, v7, vcc_lo
	v_add_co_u32 v12, vcc_lo, v1, v12
	s_delay_alu instid0(VALU_DEP_4)
	v_add_co_ci_u32_e32 v13, vcc_lo, v14, v13, vcc_lo
	s_clause 0x1
	flat_load_b32 v1, v[6:7] offset:16
	flat_load_b32 v7, v[12:13] offset:16
	s_waitcnt vmcnt(0) lgkmcnt(0)
	v_dual_mul_f32 v6, s9, v1 :: v_dual_mul_f32 v7, s9, v7
	s_branch .LBB80_19
.LBB80_16:
	v_dual_mov_b32 v10, 0 :: v_dual_mov_b32 v11, 0
	s_and_b32 vcc_lo, exec_lo, s3
	s_cbranch_vccz .LBB80_14
.LBB80_17:
	v_mov_b32_e32 v0, 0
	s_and_b32 vcc_lo, exec_lo, s3
	s_cbranch_vccz .LBB80_15
.LBB80_18:
	v_dual_mov_b32 v6, 0 :: v_dual_mov_b32 v7, 0
.LBB80_19:
	v_lshlrev_b32_e32 v1, 4, v3
	v_lshl_or_b32 v72, v9, 4, v58
	v_lshlrev_b32_e32 v54, 4, v53
	v_lshlrev_b32_e32 v55, 4, v52
	s_cmp_lt_i32 s8, 9
	v_lshl_add_u32 v1, v2, 2, v1
	ds_store_2addr_stride64_b32 v72, v10, v11 offset1:4
	ds_store_b32 v1, v8 offset:4096
	s_waitcnt lgkmcnt(0)
	s_barrier
	buffer_gl0_inv
	ds_load_b128 v[8:11], v54
	ds_load_b128 v[12:15], v55 offset:4096
	ds_load_b128 v[16:19], v55 offset:4224
	;; [unrolled: 1-line block ×11, first 2 shown]
	ds_store_b32 v1, v0 offset:5120
	ds_store_2addr_stride64_b32 v72, v6, v7 offset0:8 offset1:12
	s_waitcnt lgkmcnt(0)
	s_barrier
	buffer_gl0_inv
	v_max_f32_e32 v8, v8, v8
	v_dual_max_f32 v12, v12, v12 :: v_dual_max_f32 v9, v9, v9
	v_dual_max_f32 v13, v13, v13 :: v_dual_max_f32 v16, v16, v16
	;; [unrolled: 1-line block ×7, first 2 shown]
	v_dual_min_f32 v56, v12, v8 :: v_dual_min_f32 v57, v13, v9
	v_dual_min_f32 v63, v16, v8 :: v_dual_min_f32 v64, v17, v9
	;; [unrolled: 1-line block ×3, first 2 shown]
	v_dual_max_f32 v33, v33, v33 :: v_dual_max_f32 v36, v36, v36
	v_dual_max_f32 v37, v37, v37 :: v_dual_max_f32 v40, v40, v40
	v_dual_min_f32 v71, v32, v8 :: v_dual_max_f32 v10, v10, v10
	v_dual_max_f32 v11, v11, v11 :: v_dual_max_f32 v44, v44, v44
	v_dual_max_f32 v41, v41, v41 :: v_dual_max_f32 v14, v14, v14
	v_max_f32_e32 v15, v15, v15
	v_dual_max_f32 v19, v19, v19 :: v_dual_max_f32 v22, v22, v22
	v_dual_max_f32 v23, v23, v23 :: v_dual_max_f32 v26, v26, v26
	v_dual_min_f32 v83, v25, v45 :: v_dual_max_f32 v48, v48, v48
	v_max_f32_e32 v49, v49, v49
	v_dual_max_f32 v51, v51, v51 :: v_dual_max_f32 v60, v60, v60
	v_dual_max_f32 v59, v59, v59 :: v_dual_max_f32 v62, v62, v62
	v_dual_min_f32 v67, v24, v8 :: v_dual_min_f32 v68, v25, v9
	v_dual_min_f32 v69, v28, v8 :: v_dual_min_f32 v70, v29, v9
	;; [unrolled: 1-line block ×8, first 2 shown]
	v_min_f32_e32 v84, v28, v44
	v_dual_min_f32 v85, v32, v44 :: v_dual_max_f32 v42, v42, v42
	v_dual_max_f32 v39, v39, v39 :: v_dual_min_f32 v86, v36, v44
	v_dual_min_f32 v44, v40, v44 :: v_dual_max_f32 v43, v43, v43
	v_dual_min_f32 v87, v12, v48 :: v_dual_max_f32 v46, v46, v46
	;; [unrolled: 1-line block ×3, first 2 shown]
	v_min_f32_e32 v124, v24, v48
	v_dual_min_f32 v123, v20, v48 :: v_dual_max_f32 v50, v50, v50
	v_dual_max_f32 v61, v61, v61 :: v_dual_min_f32 v126, v32, v48
	v_dual_min_f32 v125, v28, v48 :: v_dual_min_f32 v88, v33, v45
	v_dual_min_f32 v127, v36, v48 :: v_dual_min_f32 v90, v13, v49
	v_min_f32_e32 v48, v40, v48
	v_dual_min_f32 v12, v12, v59 :: v_dual_min_f32 v89, v37, v45
	v_min_f32_e32 v16, v16, v59
	v_dual_min_f32 v20, v20, v59 :: v_dual_min_f32 v91, v17, v49
	v_dual_min_f32 v24, v24, v59 :: v_dual_min_f32 v129, v25, v49
	;; [unrolled: 1-line block ×3, first 2 shown]
	v_min_f32_e32 v32, v32, v59
	v_dual_min_f32 v36, v36, v59 :: v_dual_min_f32 v13, v13, v60
	v_dual_min_f32 v40, v40, v59 :: v_dual_min_f32 v17, v17, v60
	v_min_f32_e32 v59, v29, v45
	v_min_f32_e32 v45, v41, v45
	v_dual_min_f32 v128, v21, v49 :: v_dual_min_f32 v93, v19, v11
	v_dual_min_f32 v130, v29, v49 :: v_dual_add_f32 v63, 0, v63
	v_dual_min_f32 v132, v37, v49 :: v_dual_min_f32 v95, v23, v11
	v_min_f32_e32 v49, v41, v49
	v_min_f32_e32 v21, v21, v60
	v_dual_min_f32 v25, v25, v60 :: v_dual_min_f32 v92, v14, v10
	v_dual_min_f32 v29, v29, v60 :: v_dual_min_f32 v94, v18, v10
	v_dual_min_f32 v33, v33, v60 :: v_dual_add_f32 v66, 0, v66
	v_min_f32_e32 v41, v41, v60
	v_dual_add_f32 v57, 0, v57 :: v_dual_add_f32 v56, 0, v56
	v_dual_min_f32 v37, v37, v60 :: v_dual_min_f32 v60, v15, v11
	v_dual_add_f32 v64, 0, v64 :: v_dual_add_f32 v119, v94, v63
	v_dual_max_f32 v31, v31, v31 :: v_dual_max_f32 v34, v34, v34
	v_dual_max_f32 v35, v35, v35 :: v_dual_max_f32 v38, v38, v38
	s_delay_alu instid0(VALU_DEP_4)
	v_add_f32_e32 v120, v60, v57
	v_dual_add_f32 v121, v92, v56 :: v_dual_add_f32 v56, 0, v65
	v_dual_add_f32 v118, v93, v64 :: v_dual_min_f32 v57, v22, v10
	v_dual_add_f32 v64, 0, v67 :: v_dual_min_f32 v65, v26, v10
	v_dual_max_f32 v27, v27, v27 :: v_dual_max_f32 v30, v30, v30
	v_add_f32_e32 v116, v95, v66
	v_dual_add_f32 v66, 0, v70 :: v_dual_min_f32 v67, v31, v11
	v_add_f32_e32 v117, v57, v56
	v_dual_add_f32 v115, v65, v64 :: v_dual_add_f32 v56, 0, v73
	v_dual_min_f32 v57, v35, v11 :: v_dual_add_f32 v60, 0, v68
	v_dual_min_f32 v63, v27, v11 :: v_dual_add_f32 v68, 0, v69
	v_min_f32_e32 v69, v30, v10
	v_add_f32_e32 v112, v67, v66
	v_dual_add_f32 v64, 0, v75 :: v_dual_min_f32 v67, v38, v10
	v_dual_add_f32 v66, 0, v74 :: v_dual_min_f32 v65, v39, v11
	v_dual_add_f32 v110, v57, v56 :: v_dual_add_f32 v9, 0, v9
	v_dual_min_f32 v11, v43, v11 :: v_dual_add_f32 v8, 0, v8
	v_dual_add_f32 v114, v63, v60 :: v_dual_min_f32 v63, v34, v10
	v_dual_add_f32 v113, v69, v68 :: v_dual_add_f32 v60, 0, v71
	v_add_f32_e32 v108, v65, v64
	s_delay_alu instid0(VALU_DEP_4) | instskip(SKIP_1) | instid1(VALU_DEP_4)
	v_dual_add_f32 v106, v11, v9 :: v_dual_min_f32 v9, v42, v10
	v_dual_add_f32 v109, v67, v66 :: v_dual_add_f32 v56, 0, v76
	v_dual_add_f32 v111, v63, v60 :: v_dual_add_f32 v10, 0, v77
	v_dual_min_f32 v11, v15, v47 :: v_dual_add_f32 v64, 0, v78
	v_dual_min_f32 v57, v14, v46 :: v_dual_add_f32 v60, 0, v79
	v_min_f32_e32 v63, v19, v47
	s_delay_alu instid0(VALU_DEP_3) | instskip(SKIP_1) | instid1(VALU_DEP_3)
	v_dual_add_f32 v107, v9, v8 :: v_dual_add_f32 v104, v11, v10
	v_dual_add_f32 v8, 0, v81 :: v_dual_min_f32 v65, v18, v46
	v_add_f32_e32 v102, v63, v60
	v_dual_min_f32 v9, v23, v47 :: v_dual_add_f32 v10, 0, v80
	v_dual_add_f32 v105, v57, v56 :: v_dual_add_f32 v56, 0, v83
	s_delay_alu instid0(VALU_DEP_4) | instskip(SKIP_1) | instid1(VALU_DEP_4)
	v_dual_add_f32 v103, v65, v64 :: v_dual_add_f32 v60, 0, v82
	v_dual_min_f32 v11, v22, v46 :: v_dual_min_f32 v64, v31, v47
	v_dual_min_f32 v57, v27, v47 :: v_dual_add_f32 v100, v9, v8
	v_dual_add_f32 v59, 0, v59 :: v_dual_add_f32 v8, 0, v84
	v_min_f32_e32 v63, v26, v46
	s_delay_alu instid0(VALU_DEP_4) | instskip(NEXT) | instid1(VALU_DEP_3)
	v_dual_add_f32 v101, v11, v10 :: v_dual_add_f32 v10, 0, v88
	v_dual_add_f32 v96, v64, v59 :: v_dual_min_f32 v9, v30, v46
	s_delay_alu instid0(VALU_DEP_3) | instskip(SKIP_1) | instid1(VALU_DEP_3)
	v_dual_add_f32 v99, v63, v60 :: v_dual_min_f32 v64, v38, v46
	v_min_f32_e32 v60, v39, v47
	v_dual_min_f32 v11, v35, v47 :: v_dual_add_f32 v98, v9, v8
	v_dual_add_f32 v97, v57, v56 :: v_dual_add_f32 v56, 0, v85
	s_delay_alu instid0(VALU_DEP_2) | instskip(SKIP_2) | instid1(VALU_DEP_3)
	v_dual_add_f32 v59, 0, v89 :: v_dual_add_f32 v94, v11, v10
	v_min_f32_e32 v57, v34, v46
	v_dual_add_f32 v63, 0, v86 :: v_dual_add_f32 v8, 0, v45
	v_add_f32_e32 v92, v60, v59
	v_add_f32_e32 v10, 0, v44
	s_delay_alu instid0(VALU_DEP_4) | instskip(NEXT) | instid1(VALU_DEP_4)
	v_dual_add_f32 v95, v57, v56 :: v_dual_add_f32 v44, 0, v90
	v_add_f32_e32 v93, v64, v63
	v_dual_min_f32 v11, v42, v46 :: v_dual_add_f32 v46, 0, v87
	v_min_f32_e32 v45, v15, v51
	v_min_f32_e32 v9, v43, v47
	v_dual_min_f32 v47, v14, v50 :: v_dual_add_f32 v56, 0, v91
	s_delay_alu instid0(VALU_DEP_3) | instskip(NEXT) | instid1(VALU_DEP_3)
	v_dual_min_f32 v57, v19, v51 :: v_dual_add_f32 v88, v45, v44
	v_add_f32_e32 v90, v9, v8
	v_add_f32_e32 v8, 0, v122
	s_delay_alu instid0(VALU_DEP_3)
	v_dual_add_f32 v91, v11, v10 :: v_dual_add_f32 v86, v57, v56
	v_dual_add_f32 v89, v47, v46 :: v_dual_add_f32 v10, 0, v128
	v_dual_min_f32 v9, v18, v50 :: v_dual_add_f32 v44, 0, v123
	v_dual_min_f32 v11, v23, v51 :: v_dual_add_f32 v46, 0, v129
	;; [unrolled: 1-line block ×3, first 2 shown]
	v_min_f32_e32 v47, v27, v51
	v_min_f32_e32 v57, v26, v50
	s_delay_alu instid0(VALU_DEP_4) | instskip(SKIP_1) | instid1(VALU_DEP_3)
	v_dual_add_f32 v87, v9, v8 :: v_dual_add_f32 v84, v11, v10
	v_dual_add_f32 v10, 0, v125 :: v_dual_min_f32 v11, v30, v50
	v_dual_add_f32 v83, v57, v56 :: v_dual_add_f32 v8, 0, v130
	v_dual_add_f32 v85, v45, v44 :: v_dual_add_f32 v82, v47, v46
	v_dual_min_f32 v9, v31, v51 :: v_dual_add_f32 v46, 0, v126
	v_add_f32_e32 v44, 0, v131
	v_dual_min_f32 v45, v35, v51 :: v_dual_add_f32 v56, 0, v132
	s_delay_alu instid0(VALU_DEP_3) | instskip(SKIP_2) | instid1(VALU_DEP_3)
	v_dual_add_f32 v80, v9, v8 :: v_dual_min_f32 v57, v39, v51
	v_dual_add_f32 v81, v11, v10 :: v_dual_add_f32 v8, 0, v127
	v_dual_add_f32 v10, 0, v49 :: v_dual_min_f32 v47, v34, v50
	v_add_f32_e32 v76, v57, v56
	v_dual_add_f32 v77, v45, v44 :: v_dual_min_f32 v14, v14, v61
	v_dual_min_f32 v9, v38, v50 :: v_dual_add_f32 v12, 0, v12
	s_delay_alu instid0(VALU_DEP_4) | instskip(NEXT) | instid1(VALU_DEP_2)
	v_dual_add_f32 v79, v47, v46 :: v_dual_add_f32 v44, 0, v48
	v_dual_min_f32 v11, v43, v51 :: v_dual_add_f32 v78, v9, v8
	v_dual_min_f32 v45, v42, v50 :: v_dual_add_f32 v8, 0, v16
	s_delay_alu instid0(VALU_DEP_2) | instskip(SKIP_1) | instid1(VALU_DEP_3)
	v_dual_add_f32 v13, 0, v13 :: v_dual_add_f32 v74, v11, v10
	v_dual_min_f32 v15, v15, v62 :: v_dual_add_f32 v10, 0, v20
	v_dual_add_f32 v75, v45, v44 :: v_dual_min_f32 v18, v18, v61
	v_dual_min_f32 v19, v19, v62 :: v_dual_min_f32 v22, v22, v61
	s_delay_alu instid0(VALU_DEP_3)
	v_add_f32_e32 v69, v15, v13
	v_add_f32_e32 v9, 0, v17
	v_dual_add_f32 v11, 0, v21 :: v_dual_add_f32 v16, 0, v32
	v_dual_add_f32 v13, 0, v25 :: v_dual_add_f32 v20, 0, v36
	v_add_f32_e32 v15, 0, v29
	v_add_f32_e32 v21, 0, v37
	v_min_f32_e32 v23, v23, v62
	v_dual_add_f32 v25, 0, v41 :: v_dual_add_f32 v68, v22, v10
	v_dual_add_f32 v71, v18, v8 :: v_dual_min_f32 v10, v31, v62
	v_dual_min_f32 v8, v27, v62 :: v_dual_add_f32 v73, v14, v12
	v_add_f32_e32 v12, 0, v24
	v_add_f32_e32 v14, 0, v28
	;; [unrolled: 1-line block ×3, first 2 shown]
	v_dual_add_f32 v24, 0, v40 :: v_dual_min_f32 v9, v26, v61
	v_add_f32_e32 v63, v10, v15
	v_min_f32_e32 v10, v38, v61
	v_dual_add_f32 v17, 0, v33 :: v_dual_add_f32 v66, v23, v11
	v_min_f32_e32 v11, v30, v61
	v_dual_add_f32 v65, v8, v13 :: v_dual_min_f32 v8, v35, v62
	v_dual_add_f32 v67, v9, v12 :: v_dual_min_f32 v12, v42, v61
	v_min_f32_e32 v9, v34, v61
	s_delay_alu instid0(VALU_DEP_3) | instskip(SKIP_2) | instid1(VALU_DEP_4)
	v_dual_add_f32 v60, v10, v20 :: v_dual_add_f32 v59, v8, v17
	v_min_f32_e32 v8, v39, v62
	v_add_f32_e32 v64, v11, v14
	v_dual_min_f32 v11, v43, v62 :: v_dual_add_f32 v62, v9, v16
	v_add_f32_e32 v57, v12, v24
	s_delay_alu instid0(VALU_DEP_4) | instskip(NEXT) | instid1(VALU_DEP_3)
	v_add_f32_e32 v61, v8, v21
	v_add_f32_e32 v56, v11, v25
	s_cbranch_scc1 .LBB80_33
; %bb.20:
	v_mad_i64_i32 v[6:7], null, s23, v5, 0
	v_lshl_or_b32 v5, s14, 6, v3
	s_lshl_b32 s14, s22, 6
	v_or_b32_e32 v122, 0x1000, v1
	v_add_nc_u32_e32 v124, 0x1400, v1
	v_mad_i64_i32 v[0:1], null, s23, v4, 0
	v_lshlrev_b64 v[3:4], 2, v[6:7]
	v_add_nc_u32_e32 v6, 8, v2
	v_subrev_nc_u32_e32 v5, s14, v5
	v_add_nc_u32_e32 v2, 12, v2
	v_add_nc_u32_e32 v123, 0x1000, v55
	;; [unrolled: 1-line block ×3, first 2 shown]
	v_mad_i64_i32 v[7:8], null, v6, s16, 0
	v_ashrrev_i32_e32 v6, 31, v5
	v_lshlrev_b64 v[0:1], 2, v[0:1]
	v_mad_i64_i32 v[9:10], null, v2, s16, 0
	v_add_co_u32 v128, vcc_lo, s12, v3
	s_delay_alu instid0(VALU_DEP_4) | instskip(SKIP_3) | instid1(VALU_DEP_4)
	v_lshlrev_b64 v[2:3], 2, v[5:6]
	v_add_co_ci_u32_e32 v129, vcc_lo, s13, v4, vcc_lo
	v_add_co_u32 v130, vcc_lo, s12, v0
	v_add_co_ci_u32_e32 v131, vcc_lo, s13, v1, vcc_lo
	v_add_co_u32 v132, vcc_lo, s10, v2
	v_lshlrev_b64 v[48:49], 2, v[7:8]
	v_lshlrev_b64 v[50:51], 2, v[9:10]
	v_lshl_add_u32 v126, v52, 4, 0x1400
	v_lshl_add_u32 v127, v53, 4, 0x800
	v_add_co_ci_u32_e32 v133, vcc_lo, s11, v3, vcc_lo
	s_add_i32 s8, s8, -8
	s_lshl_b64 s[10:11], s[16:17], 5
	s_mov_b32 s12, 0
	s_branch .LBB80_23
.LBB80_21:                              ;   in Loop: Header=BB80_23 Depth=1
	v_add_co_u32 v0, vcc_lo, v130, v58
	v_add_co_ci_u32_e32 v1, vcc_lo, 0, v131, vcc_lo
	v_add_co_u32 v217, vcc_lo, v128, v58
	v_add_co_ci_u32_e32 v218, vcc_lo, 0, v129, vcc_lo
	flat_load_b32 v0, v[0:1] offset:48
	flat_load_b32 v1, v[217:218] offset:48
	s_waitcnt vmcnt(0) lgkmcnt(0)
	v_dual_mul_f32 v0, s9, v0 :: v_dual_mul_f32 v1, s9, v1
.LBB80_22:                              ;   in Loop: Header=BB80_23 Depth=1
	v_dual_add_f32 v40, v40, v120 :: v_dual_add_f32 v29, v29, v117
	v_dual_add_f32 v28, v28, v118 :: v_dual_add_f32 v33, v33, v115
	;; [unrolled: 1-line block ×11, first 2 shown]
	s_delay_alu instid0(VALU_DEP_4)
	v_dual_add_f32 v91, v34, v28 :: v_dual_add_f32 v114, v188, v17
	v_dual_add_f32 v102, v35, v32 :: v_dual_add_f32 v103, v30, v29
	;; [unrolled: 1-line block ×5, first 2 shown]
	ds_load_b128 v[20:23], v54
	ds_load_b128 v[28:31], v123
	v_dual_add_f32 v59, v172, v59 :: v_dual_add_f32 v46, v46, v56
	v_dual_add_f32 v69, v162, v69 :: v_dual_add_f32 v68, v165, v68
	;; [unrolled: 1-line block ×11, first 2 shown]
	s_waitcnt lgkmcnt(1)
	v_dual_add_f32 v136, v19, v46 :: v_dual_max_f32 v21, v21, v21
	s_waitcnt lgkmcnt(0)
	v_max_f32_e32 v29, v29, v29
	v_dual_add_f32 v97, v138, v97 :: v_dual_add_f32 v96, v140, v96
	v_add_f32_e32 v113, v178, v9
	v_dual_add_f32 v69, v215, v69 :: v_dual_add_f32 v68, v10, v68
	v_dual_add_f32 v67, v11, v67 :: v_dual_max_f32 v20, v20, v20
	ds_load_b128 v[8:11], v123 offset:128
	v_dual_add_f32 v36, v36, v121 :: v_dual_add_f32 v41, v41, v119
	v_dual_add_f32 v87, v147, v87 :: v_dual_add_f32 v86, v148, v86
	;; [unrolled: 1-line block ×5, first 2 shown]
	s_delay_alu instid0(VALU_DEP_4)
	v_dual_add_f32 v119, v194, v5 :: v_dual_add_f32 v86, v205, v86
	v_dual_add_f32 v79, v200, v79 :: v_dual_add_f32 v66, v26, v66
	;; [unrolled: 1-line block ×4, first 2 shown]
	s_waitcnt lgkmcnt(0)
	v_dual_add_f32 v121, v3, v62 :: v_dual_max_f32 v8, v8, v8
	v_dual_add_f32 v7, v7, v43 :: v_dual_min_f32 v138, v29, v21
	v_add_f32_e32 v135, v15, v61
	ds_load_b128 v[2:5], v123 offset:256
	ds_load_b128 v[12:15], v123 offset:384
	;; [unrolled: 1-line block ×5, first 2 shown]
	v_dual_add_f32 v63, v170, v63 :: v_dual_add_f32 v60, v173, v60
	v_dual_add_f32 v57, v38, v36 :: v_dual_add_f32 v104, v39, v37
	;; [unrolled: 1-line block ×3, first 2 shown]
	ds_load_b128 v[36:39], v123 offset:768
	ds_load_b128 v[40:43], v123 offset:896
	v_dual_add_f32 v63, v175, v63 :: v_dual_max_f32 v28, v28, v28
	v_dual_add_f32 v99, v137, v99 :: v_dual_add_f32 v98, v139, v98
	v_min_f32_e32 v139, v8, v20
	v_dual_max_f32 v9, v9, v9 :: v_dual_add_f32 v56, v138, v56
	v_dual_add_f32 v71, v212, v71 :: v_dual_add_f32 v6, v6, v60
	s_waitcnt lgkmcnt(6)
	v_dual_max_f32 v2, v2, v2 :: v_dual_max_f32 v3, v3, v3
	s_waitcnt lgkmcnt(3)
	v_dual_max_f32 v13, v13, v13 :: v_dual_max_f32 v24, v24, v24
	v_min_f32_e32 v137, v28, v20
	s_delay_alu instid0(VALU_DEP_3)
	v_min_f32_e32 v138, v2, v20
	v_add_f32_e32 v92, v139, v92
	v_dual_max_f32 v12, v12, v12 :: v_dual_max_f32 v17, v17, v17
	ds_load_b128 v[44:47], v54 offset:1024
	ds_load_b128 v[59:62], v54 offset:1536
	v_dual_add_f32 v103, v138, v103 :: v_dual_min_f32 v138, v13, v21
	v_add_f32_e32 v57, v137, v57
	v_dual_min_f32 v137, v9, v21 :: v_dual_max_f32 v16, v16, v16
	v_min_f32_e32 v139, v12, v20
	s_delay_alu instid0(VALU_DEP_4) | instskip(SKIP_1) | instid1(VALU_DEP_4)
	v_add_f32_e32 v104, v138, v104
	v_min_f32_e32 v138, v17, v21
	v_add_f32_e32 v91, v137, v91
	s_waitcnt lgkmcnt(3)
	v_dual_min_f32 v137, v3, v21 :: v_dual_max_f32 v36, v36, v36
	v_dual_add_f32 v101, v181, v101 :: v_dual_add_f32 v98, v183, v98
	v_dual_add_f32 v105, v139, v105 :: v_dual_add_f32 v106, v138, v106
	s_delay_alu instid0(VALU_DEP_3)
	v_add_f32_e32 v102, v137, v102
	s_waitcnt lgkmcnt(2)
	v_dual_max_f32 v25, v25, v25 :: v_dual_max_f32 v40, v40, v40
	v_min_f32_e32 v138, v36, v20
	v_min_f32_e32 v137, v16, v20
	v_max_f32_e32 v33, v33, v33
	s_delay_alu instid0(VALU_DEP_4) | instskip(NEXT) | instid1(VALU_DEP_4)
	v_dual_min_f32 v139, v25, v21 :: v_dual_max_f32 v32, v32, v32
	v_add_f32_e32 v138, v138, v111
	s_delay_alu instid0(VALU_DEP_4)
	v_add_f32_e32 v107, v137, v107
	s_waitcnt lgkmcnt(1)
	v_dual_min_f32 v111, v29, v33 :: v_dual_max_f32 v44, v44, v44
	v_min_f32_e32 v137, v24, v20
	v_max_f32_e32 v37, v37, v37
	v_dual_max_f32 v41, v41, v41 :: v_dual_min_f32 v20, v40, v20
	v_add_f32_e32 v108, v139, v108
	v_dual_add_f32 v140, v111, v114 :: v_dual_min_f32 v111, v2, v32
	v_dual_add_f32 v97, v191, v97 :: v_dual_add_f32 v94, v193, v94
	v_dual_add_f32 v96, v192, v96 :: v_dual_add_f32 v109, v137, v109
	v_min_f32_e32 v137, v37, v21
	v_min_f32_e32 v21, v41, v21
	v_add_f32_e32 v101, v111, v101
	v_max_f32_e32 v45, v45, v45
	v_min_f32_e32 v111, v16, v32
	v_add_f32_e32 v20, v20, v113
	v_dual_add_f32 v89, v145, v89 :: v_dual_add_f32 v88, v146, v88
	v_dual_add_f32 v85, v149, v85 :: v_dual_add_f32 v84, v150, v84
	s_delay_alu instid0(VALU_DEP_4) | instskip(SKIP_3) | instid1(VALU_DEP_3)
	v_dual_add_f32 v98, v111, v98 :: v_dual_add_f32 v21, v21, v112
	v_dual_min_f32 v112, v3, v33 :: v_dual_min_f32 v113, v8, v32
	v_dual_add_f32 v99, v182, v99 :: v_dual_add_f32 v90, v203, v90
	v_min_f32_e32 v111, v36, v32
	v_dual_add_f32 v100, v112, v100 :: v_dual_add_f32 v137, v137, v110
	v_min_f32_e32 v110, v28, v32
	v_dual_min_f32 v112, v24, v32 :: v_dual_add_f32 v89, v195, v89
	v_dual_add_f32 v84, v206, v84 :: v_dual_add_f32 v93, v185, v93
	s_delay_alu instid0(VALU_DEP_3)
	v_dual_add_f32 v88, v204, v88 :: v_dual_add_f32 v139, v110, v115
	v_min_f32_e32 v110, v9, v33
	v_add_f32_e32 v141, v113, v117
	v_min_f32_e32 v113, v12, v32
	v_dual_min_f32 v32, v40, v32 :: v_dual_add_f32 v83, v151, v83
	v_add_f32_e32 v82, v152, v82
	v_add_f32_e32 v142, v110, v116
	v_dual_min_f32 v110, v13, v33 :: v_dual_add_f32 v87, v196, v87
	v_dual_add_f32 v81, v153, v81 :: v_dual_add_f32 v80, v154, v80
	s_delay_alu instid0(VALU_DEP_2) | instskip(SKIP_4) | instid1(VALU_DEP_3)
	v_dual_add_f32 v82, v207, v82 :: v_dual_add_f32 v97, v110, v97
	v_add_f32_e32 v32, v32, v119
	v_min_f32_e32 v110, v17, v33
	v_dual_add_f32 v77, v156, v77 :: v_dual_add_f32 v76, v158, v76
	v_dual_add_f32 v85, v197, v85 :: v_dual_add_f32 v80, v208, v80
	v_add_f32_e32 v96, v110, v96
	v_min_f32_e32 v110, v37, v33
	v_add_f32_e32 v99, v113, v99
	v_min_f32_e32 v113, v25, v33
	v_min_f32_e32 v33, v41, v33
	v_dual_add_f32 v83, v198, v83 :: v_dual_add_f32 v76, v213, v76
	v_dual_add_f32 v75, v159, v75 :: v_dual_add_f32 v74, v160, v74
	s_delay_alu instid0(VALU_DEP_3)
	v_add_f32_e32 v33, v33, v90
	v_min_f32_e32 v90, v9, v45
	v_dual_add_f32 v81, v199, v81 :: v_dual_add_f32 v78, v201, v78
	s_waitcnt lgkmcnt(0)
	v_dual_max_f32 v60, v60, v60 :: v_dual_add_f32 v75, v210, v75
	v_add_f32_e32 v70, v216, v70
	v_dual_add_f32 v86, v90, v86 :: v_dual_add_f32 v93, v111, v93
	v_min_f32_e32 v111, v29, v45
	v_add_f32_e32 v95, v112, v95
	v_min_f32_e32 v112, v8, v44
	v_dual_max_f32 v22, v22, v22 :: v_dual_max_f32 v23, v23, v23
	v_max_f32_e32 v30, v30, v30
	s_delay_alu instid0(VALU_DEP_3) | instskip(SKIP_3) | instid1(VALU_DEP_3)
	v_dual_max_f32 v10, v10, v10 :: v_dual_add_f32 v87, v112, v87
	v_dual_min_f32 v112, v12, v44 :: v_dual_add_f32 v143, v110, v118
	v_min_f32_e32 v90, v13, v45
	v_dual_min_f32 v110, v28, v44 :: v_dual_max_f32 v15, v15, v15
	v_dual_add_f32 v83, v112, v83 :: v_dual_min_f32 v112, v25, v45
	s_delay_alu instid0(VALU_DEP_3) | instskip(SKIP_1) | instid1(VALU_DEP_4)
	v_add_f32_e32 v82, v90, v82
	v_min_f32_e32 v90, v17, v45
	v_add_f32_e32 v89, v110, v89
	v_dual_min_f32 v110, v2, v44 :: v_dual_max_f32 v5, v5, v5
	v_max_f32_e32 v4, v4, v4
	s_delay_alu instid0(VALU_DEP_4) | instskip(SKIP_1) | instid1(VALU_DEP_4)
	v_add_f32_e32 v80, v90, v80
	v_min_f32_e32 v90, v37, v45
	v_dual_add_f32 v85, v110, v85 :: v_dual_min_f32 v110, v16, v44
	v_add_f32_e32 v88, v111, v88
	v_min_f32_e32 v111, v3, v45
	s_delay_alu instid0(VALU_DEP_4) | instskip(NEXT) | instid1(VALU_DEP_4)
	v_dual_max_f32 v59, v59, v59 :: v_dual_add_f32 v76, v90, v76
	v_dual_add_f32 v81, v110, v81 :: v_dual_min_f32 v110, v36, v44
	s_delay_alu instid0(VALU_DEP_3) | instskip(SKIP_1) | instid1(VALU_DEP_4)
	v_add_f32_e32 v84, v111, v84
	v_min_f32_e32 v111, v24, v44
	v_dual_min_f32 v17, v17, v60 :: v_dual_min_f32 v24, v24, v59
	v_dual_min_f32 v25, v25, v60 :: v_dual_min_f32 v36, v36, v59
	s_delay_alu instid0(VALU_DEP_3) | instskip(NEXT) | instid1(VALU_DEP_3)
	v_add_f32_e32 v79, v111, v79
	v_dual_min_f32 v37, v37, v60 :: v_dual_add_f32 v24, v24, v121
	s_delay_alu instid0(VALU_DEP_4) | instskip(NEXT) | instid1(VALU_DEP_4)
	v_dual_min_f32 v44, v40, v44 :: v_dual_add_f32 v17, v17, v63
	v_dual_add_f32 v6, v36, v6 :: v_dual_add_f32 v25, v25, v120
	s_delay_alu instid0(VALU_DEP_3) | instskip(SKIP_3) | instid1(VALU_DEP_3)
	v_add_f32_e32 v36, v37, v135
	v_dual_min_f32 v37, v40, v59 :: v_dual_min_f32 v40, v41, v60
	v_max_f32_e32 v31, v31, v31
	v_dual_min_f32 v45, v41, v45 :: v_dual_min_f32 v28, v28, v59
	v_dual_add_f32 v7, v37, v7 :: v_dual_add_f32 v40, v40, v136
	s_delay_alu instid0(VALU_DEP_3) | instskip(SKIP_2) | instid1(VALU_DEP_3)
	v_min_f32_e32 v37, v31, v23
	v_dual_min_f32 v29, v29, v60 :: v_dual_min_f32 v8, v8, v59
	v_min_f32_e32 v9, v9, v60
	v_dual_max_f32 v11, v11, v11 :: v_dual_add_f32 v120, v37, v56
	v_dual_min_f32 v41, v30, v22 :: v_dual_min_f32 v56, v15, v23
	v_min_f32_e32 v37, v10, v22
	v_dual_add_f32 v29, v29, v69 :: v_dual_min_f32 v2, v2, v59
	v_dual_add_f32 v8, v8, v71 :: v_dual_add_f32 v9, v9, v70
	v_dual_min_f32 v12, v12, v59 :: v_dual_min_f32 v3, v3, v60
	v_min_f32_e32 v16, v16, v59
	v_dual_min_f32 v59, v11, v23 :: v_dual_max_f32 v14, v14, v14
	v_add_f32_e32 v121, v41, v57
	v_dual_min_f32 v41, v5, v23 :: v_dual_max_f32 v18, v18, v18
	v_dual_max_f32 v19, v19, v19 :: v_dual_add_f32 v114, v56, v104
	v_dual_add_f32 v119, v37, v92 :: v_dual_max_f32 v26, v26, v26
	v_min_f32_e32 v37, v4, v22
	v_dual_add_f32 v77, v209, v77 :: v_dual_add_f32 v74, v214, v74
	v_add_f32_e32 v116, v41, v102
	v_min_f32_e32 v41, v14, v22
	s_delay_alu instid0(VALU_DEP_4) | instskip(SKIP_2) | instid1(VALU_DEP_4)
	v_dual_add_f32 v117, v37, v103 :: v_dual_min_f32 v56, v26, v22
	v_dual_min_f32 v37, v19, v23 :: v_dual_max_f32 v38, v38, v38
	v_dual_add_f32 v77, v112, v77 :: v_dual_add_f32 v78, v110, v78
	v_dual_add_f32 v115, v41, v105 :: v_dual_max_f32 v34, v34, v34
	v_min_f32_e32 v41, v18, v22
	s_delay_alu instid0(VALU_DEP_4) | instskip(SKIP_1) | instid1(VALU_DEP_3)
	v_dual_add_f32 v112, v37, v106 :: v_dual_max_f32 v37, v39, v39
	v_dual_add_f32 v94, v113, v94 :: v_dual_max_f32 v43, v43, v43
	v_add_f32_e32 v113, v41, v107
	v_max_f32_e32 v35, v35, v35
	s_delay_alu instid0(VALU_DEP_4) | instskip(SKIP_3) | instid1(VALU_DEP_3)
	v_min_f32_e32 v41, v37, v23
	v_max_f32_e32 v27, v27, v27
	v_add_f32_e32 v118, v59, v91
	v_dual_add_f32 v44, v44, v75 :: v_dual_add_f32 v45, v45, v74
	v_dual_add_f32 v28, v28, v73 :: v_dual_min_f32 v39, v27, v23
	v_dual_min_f32 v23, v43, v23 :: v_dual_add_f32 v2, v2, v68
	v_add_f32_e32 v3, v3, v66
	v_dual_min_f32 v13, v13, v60 :: v_dual_add_f32 v12, v12, v67
	s_delay_alu instid0(VALU_DEP_4)
	v_add_f32_e32 v110, v39, v108
	v_dual_add_f32 v108, v41, v137 :: v_dual_max_f32 v41, v42, v42
	v_add_f32_e32 v106, v23, v21
	v_min_f32_e32 v21, v11, v35
	v_dual_add_f32 v111, v56, v109 :: v_dual_min_f32 v42, v30, v34
	v_dual_add_f32 v13, v13, v65 :: v_dual_add_f32 v16, v16, v64
	s_delay_alu instid0(VALU_DEP_3) | instskip(SKIP_4) | instid1(VALU_DEP_4)
	v_add_f32_e32 v102, v21, v142
	v_min_f32_e32 v21, v5, v35
	v_min_f32_e32 v39, v38, v22
	;; [unrolled: 1-line block ×3, first 2 shown]
	v_add_co_u32 v128, vcc_lo, v128, 32
	v_add_f32_e32 v100, v21, v100
	v_add_co_ci_u32_e32 v129, vcc_lo, 0, v129, vcc_lo
	s_delay_alu instid0(VALU_DEP_4) | instskip(SKIP_4) | instid1(VALU_DEP_4)
	v_add_f32_e32 v107, v22, v20
	v_min_f32_e32 v20, v10, v34
	v_min_f32_e32 v22, v4, v34
	v_add_co_u32 v130, vcc_lo, v130, 32
	v_add_co_ci_u32_e32 v131, vcc_lo, 0, v131, vcc_lo
	v_dual_add_f32 v103, v20, v141 :: v_dual_min_f32 v20, v14, v34
	v_add_co_u32 v132, vcc_lo, v132, s10
	v_add_co_ci_u32_e32 v133, vcc_lo, s11, v133, vcc_lo
	s_delay_alu instid0(VALU_DEP_3)
	v_dual_add_f32 v99, v20, v99 :: v_dual_min_f32 v20, v18, v34
	v_min_f32_e32 v21, v19, v35
	v_min_f32_e32 v23, v15, v35
	s_add_i32 s12, s12, 8
	ds_store_b32 v124, v134
	ds_store_2addr_stride64_b32 v125, v0, v1 offset1:4
	v_add_f32_e32 v98, v20, v98
	v_add_f32_e32 v96, v21, v96
	v_min_f32_e32 v21, v37, v35
	v_add_f32_e32 v109, v39, v138
	v_dual_min_f32 v39, v31, v35 :: v_dual_min_f32 v20, v38, v34
	s_cmp_ge_i32 s12, s8
	s_delay_alu instid0(VALU_DEP_3) | instskip(SKIP_4) | instid1(VALU_DEP_3)
	v_add_f32_e32 v92, v21, v143
	v_max_f32_e32 v21, v47, v47
	v_add_f32_e32 v105, v42, v139
	v_dual_add_f32 v93, v20, v93 :: v_dual_add_f32 v104, v39, v140
	s_waitcnt lgkmcnt(0)
	v_min_f32_e32 v20, v31, v21
	v_dual_add_f32 v101, v22, v101 :: v_dual_min_f32 v22, v27, v35
	s_barrier
	buffer_gl0_inv
	v_add_f32_e32 v88, v20, v88
	v_add_f32_e32 v94, v22, v94
	v_dual_max_f32 v22, v46, v46 :: v_dual_add_f32 v97, v23, v97
	v_min_f32_e32 v23, v26, v34
	v_min_f32_e32 v34, v41, v34
	s_delay_alu instid0(VALU_DEP_3) | instskip(NEXT) | instid1(VALU_DEP_2)
	v_min_f32_e32 v20, v10, v22
	v_dual_add_f32 v91, v34, v32 :: v_dual_min_f32 v32, v5, v21
	s_delay_alu instid0(VALU_DEP_2) | instskip(SKIP_1) | instid1(VALU_DEP_3)
	v_dual_add_f32 v87, v20, v87 :: v_dual_min_f32 v20, v14, v22
	v_add_f32_e32 v95, v23, v95
	v_dual_min_f32 v23, v43, v35 :: v_dual_add_f32 v84, v32, v84
	v_min_f32_e32 v32, v18, v22
	v_min_f32_e32 v35, v30, v22
	v_dual_add_f32 v83, v20, v83 :: v_dual_min_f32 v20, v27, v21
	s_delay_alu instid0(VALU_DEP_3) | instskip(NEXT) | instid1(VALU_DEP_2)
	v_dual_add_f32 v81, v32, v81 :: v_dual_max_f32 v32, v62, v62
	v_dual_add_f32 v77, v20, v77 :: v_dual_min_f32 v20, v38, v22
	v_add_f32_e32 v90, v23, v33
	v_min_f32_e32 v23, v11, v21
	s_delay_alu instid0(VALU_DEP_4) | instskip(NEXT) | instid1(VALU_DEP_4)
	v_min_f32_e32 v5, v5, v32
	v_dual_add_f32 v89, v35, v89 :: v_dual_add_f32 v78, v20, v78
	s_delay_alu instid0(VALU_DEP_3) | instskip(NEXT) | instid1(VALU_DEP_3)
	v_add_f32_e32 v86, v23, v86
	v_dual_min_f32 v23, v4, v22 :: v_dual_add_f32 v66, v5, v3
	v_min_f32_e32 v3, v15, v32
	s_delay_alu instid0(VALU_DEP_2) | instskip(SKIP_1) | instid1(VALU_DEP_3)
	v_add_f32_e32 v85, v23, v85
	v_min_f32_e32 v23, v19, v21
	v_add_f32_e32 v65, v3, v13
	v_min_f32_e32 v3, v27, v32
	s_delay_alu instid0(VALU_DEP_3) | instskip(NEXT) | instid1(VALU_DEP_2)
	v_dual_add_f32 v80, v23, v80 :: v_dual_min_f32 v23, v37, v21
	v_add_f32_e32 v59, v3, v25
	v_min_f32_e32 v3, v37, v32
	s_delay_alu instid0(VALU_DEP_3) | instskip(SKIP_2) | instid1(VALU_DEP_3)
	v_dual_add_f32 v76, v23, v76 :: v_dual_max_f32 v23, v61, v61
	v_min_f32_e32 v33, v15, v21
	v_min_f32_e32 v11, v11, v32
	v_dual_add_f32 v61, v3, v36 :: v_dual_min_f32 v20, v30, v23
	s_delay_alu instid0(VALU_DEP_3) | instskip(SKIP_1) | instid1(VALU_DEP_3)
	v_add_f32_e32 v82, v33, v82
	v_dual_min_f32 v33, v26, v22 :: v_dual_min_f32 v4, v4, v23
	v_dual_min_f32 v22, v41, v22 :: v_dual_add_f32 v73, v20, v28
	s_delay_alu instid0(VALU_DEP_2) | instskip(SKIP_1) | instid1(VALU_DEP_1)
	v_add_f32_e32 v68, v4, v2
	v_min_f32_e32 v4, v19, v32
	v_dual_add_f32 v63, v4, v17 :: v_dual_min_f32 v4, v38, v23
	v_add_f32_e32 v70, v11, v9
	s_delay_alu instid0(VALU_DEP_2)
	v_add_f32_e32 v60, v4, v6
	v_min_f32_e32 v10, v10, v23
	v_min_f32_e32 v2, v14, v23
	v_min_f32_e32 v5, v18, v23
	v_min_f32_e32 v21, v43, v21
	v_min_f32_e32 v31, v31, v32
	v_add_f32_e32 v75, v22, v44
	v_dual_add_f32 v71, v10, v8 :: v_dual_min_f32 v8, v41, v23
	v_add_f32_e32 v67, v2, v12
	v_add_f32_e32 v64, v5, v16
	v_dual_min_f32 v2, v26, v23 :: v_dual_min_f32 v5, v43, v32
	v_add_f32_e32 v79, v33, v79
	v_add_f32_e32 v74, v21, v45
	s_delay_alu instid0(VALU_DEP_3) | instskip(NEXT) | instid1(VALU_DEP_4)
	v_dual_add_f32 v69, v31, v29 :: v_dual_add_f32 v62, v2, v24
	v_dual_add_f32 v56, v5, v40 :: v_dual_add_f32 v57, v8, v7
	s_cbranch_scc1 .LBB80_33
.LBB80_23:                              ; =>This Inner Loop Header: Depth=1
	v_mov_b32_e32 v134, 0
	s_and_b32 vcc_lo, exec_lo, s3
	s_cbranch_vccnz .LBB80_25
; %bb.24:                               ;   in Loop: Header=BB80_23 Depth=1
	v_add_co_u32 v0, vcc_lo, v132, v48
	v_add_co_ci_u32_e32 v1, vcc_lo, v133, v49, vcc_lo
	flat_load_b32 v0, v[0:1]
	s_waitcnt vmcnt(0) lgkmcnt(0)
	v_mul_f32_e32 v134, s9, v0
.LBB80_25:                              ;   in Loop: Header=BB80_23 Depth=1
	s_and_b32 vcc_lo, exec_lo, s3
	s_cbranch_vccnz .LBB80_27
; %bb.26:                               ;   in Loop: Header=BB80_23 Depth=1
	v_add_co_u32 v0, vcc_lo, v130, v58
	v_add_co_ci_u32_e32 v1, vcc_lo, 0, v131, vcc_lo
	v_add_co_u32 v2, vcc_lo, v128, v58
	v_add_co_ci_u32_e32 v3, vcc_lo, 0, v129, vcc_lo
	flat_load_b32 v0, v[0:1] offset:32
	flat_load_b32 v1, v[2:3] offset:32
	s_waitcnt vmcnt(0) lgkmcnt(0)
	v_dual_mul_f32 v135, s9, v0 :: v_dual_mul_f32 v136, s9, v1
	s_branch .LBB80_28
.LBB80_27:                              ;   in Loop: Header=BB80_23 Depth=1
	v_dual_mov_b32 v135, 0 :: v_dual_mov_b32 v136, 0
.LBB80_28:                              ;   in Loop: Header=BB80_23 Depth=1
	ds_load_b128 v[40:43], v126
	ds_load_b128 v[36:39], v126 offset:128
	ds_load_b128 v[32:35], v126 offset:256
	ds_load_b128 v[28:31], v126 offset:384
	ds_load_b128 v[24:27], v126 offset:512
	ds_load_b128 v[20:23], v126 offset:640
	ds_load_b128 v[16:19], v126 offset:768
	ds_load_b128 v[12:15], v126 offset:896
	ds_load_b128 v[44:47], v127
	ds_load_b128 v[8:11], v127 offset:512
	ds_load_b128 v[4:7], v127 offset:1024
	;; [unrolled: 1-line block ×3, first 2 shown]
	s_and_b32 vcc_lo, exec_lo, s3
	ds_store_b32 v122, v134
	ds_store_2addr_stride64_b32 v72, v135, v136 offset1:4
	s_waitcnt lgkmcnt(0)
	s_barrier
	buffer_gl0_inv
	s_cbranch_vccnz .LBB80_30
; %bb.29:                               ;   in Loop: Header=BB80_23 Depth=1
	v_add_co_u32 v134, vcc_lo, v132, v50
	v_add_co_ci_u32_e32 v135, vcc_lo, v133, v51, vcc_lo
	flat_load_b32 v134, v[134:135]
	s_waitcnt vmcnt(0) lgkmcnt(0)
	v_mul_f32_e32 v134, s9, v134
	s_branch .LBB80_31
.LBB80_30:                              ;   in Loop: Header=BB80_23 Depth=1
	v_mov_b32_e32 v134, 0
.LBB80_31:                              ;   in Loop: Header=BB80_23 Depth=1
	v_dual_max_f32 v44, v44, v44 :: v_dual_max_f32 v45, v45, v45
	v_dual_max_f32 v161, v40, v40 :: v_dual_max_f32 v162, v41, v41
	v_max_f32_e32 v163, v36, v36
	v_dual_max_f32 v169, v24, v24 :: v_dual_max_f32 v170, v25, v25
	v_max_f32_e32 v173, v16, v16
	v_dual_max_f32 v159, v4, v4 :: v_dual_max_f32 v160, v5, v5
	s_delay_alu instid0(VALU_DEP_4)
	v_dual_min_f32 v40, v162, v45 :: v_dual_min_f32 v41, v163, v44
	v_dual_max_f32 v164, v37, v37 :: v_dual_max_f32 v165, v32, v32
	v_dual_max_f32 v166, v33, v33 :: v_dual_max_f32 v167, v28, v28
	;; [unrolled: 1-line block ×3, first 2 shown]
	v_max_f32_e32 v172, v21, v21
	v_min_f32_e32 v20, v170, v45
	v_dual_max_f32 v174, v17, v17 :: v_dual_max_f32 v175, v12, v12
	v_max_f32_e32 v176, v13, v13
	v_dual_max_f32 v144, v8, v8 :: v_dual_max_f32 v145, v9, v9
	v_dual_min_f32 v157, v173, v159 :: v_dual_max_f32 v0, v0, v0
	v_dual_min_f32 v36, v161, v44 :: v_dual_min_f32 v37, v168, v45
	v_dual_min_f32 v28, v164, v45 :: v_dual_min_f32 v29, v165, v44
	;; [unrolled: 1-line block ×7, first 2 shown]
	v_min_f32_e32 v13, v161, v144
	v_dual_min_f32 v44, v163, v144 :: v_dual_min_f32 v45, v164, v145
	v_dual_min_f32 v135, v165, v144 :: v_dual_min_f32 v136, v166, v145
	;; [unrolled: 1-line block ×13, first 2 shown]
	v_dual_max_f32 v1, v1, v1 :: v_dual_min_f32 v158, v174, v160
	v_min_f32_e32 v161, v161, v0
	v_min_f32_e32 v163, v163, v0
	s_delay_alu instid0(VALU_DEP_3)
	v_dual_min_f32 v165, v165, v0 :: v_dual_min_f32 v166, v166, v1
	v_dual_min_f32 v167, v167, v0 :: v_dual_min_f32 v168, v168, v1
	;; [unrolled: 1-line block ×5, first 2 shown]
	v_dual_max_f32 v178, v46, v46 :: v_dual_max_f32 v179, v47, v47
	v_dual_max_f32 v211, v42, v42 :: v_dual_max_f32 v212, v43, v43
	v_dual_max_f32 v216, v38, v38 :: v_dual_min_f32 v43, v175, v0
	v_dual_max_f32 v0, v39, v39 :: v_dual_max_f32 v217, v30, v30
	v_dual_min_f32 v159, v175, v159 :: v_dual_min_f32 v160, v176, v160
	v_min_f32_e32 v162, v162, v1
	v_min_f32_e32 v164, v164, v1
	v_dual_min_f32 v46, v176, v1 :: v_dual_max_f32 v1, v34, v34
	v_dual_min_f32 v42, v216, v178 :: v_dual_max_f32 v175, v35, v35
	v_dual_max_f32 v218, v31, v31 :: v_dual_min_f32 v31, v217, v178
	v_dual_min_f32 v34, v0, v179 :: v_dual_max_f32 v219, v26, v26
	v_dual_max_f32 v220, v27, v27 :: v_dual_max_f32 v221, v22, v22
	v_dual_max_f32 v222, v23, v23 :: v_dual_max_f32 v223, v18, v18
	;; [unrolled: 1-line block ×6, first 2 shown]
	v_max_f32_e32 v227, v3, v3
	v_dual_min_f32 v38, v211, v178 :: v_dual_min_f32 v47, v212, v179
	v_dual_min_f32 v30, v1, v178 :: v_dual_min_f32 v35, v175, v179
	v_dual_min_f32 v39, v218, v179 :: v_dual_min_f32 v18, v219, v178
	v_dual_min_f32 v176, v220, v179 :: v_dual_min_f32 v23, v223, v178
	v_dual_min_f32 v22, v221, v178 :: v_dual_min_f32 v177, v222, v179
	v_dual_min_f32 v186, v19, v179 :: v_dual_min_f32 v181, v1, v10
	v_dual_min_f32 v178, v224, v178 :: v_dual_min_f32 v187, v225, v179
	v_min_f32_e32 v180, v216, v10
	v_dual_min_f32 v179, v211, v10 :: v_dual_min_f32 v188, v212, v11
	v_dual_min_f32 v189, v0, v11 :: v_dual_min_f32 v182, v217, v10
	v_dual_min_f32 v190, v175, v11 :: v_dual_min_f32 v197, v1, v6
	v_dual_min_f32 v191, v218, v11 :: v_dual_min_f32 v184, v221, v10
	v_dual_min_f32 v183, v219, v10 :: v_dual_min_f32 v192, v220, v11
	v_dual_min_f32 v193, v222, v11 :: v_dual_min_f32 v194, v224, v10
	v_dual_min_f32 v185, v223, v10 :: v_dual_min_f32 v204, v212, v7
	v_min_f32_e32 v202, v19, v11
	;; [unrolled: 8-line block ×3, first 2 shown]
	v_min_f32_e32 v213, v19, v7
	v_dual_min_f32 v211, v211, v226 :: v_dual_min_f32 v14, v222, v227
	v_dual_min_f32 v215, v212, v227 :: v_dual_min_f32 v10, v1, v226
	v_min_f32_e32 v212, v216, v226
	v_min_f32_e32 v216, v0, v227
	v_dual_min_f32 v26, v175, v227 :: v_dual_min_f32 v7, v224, v226
	v_min_f32_e32 v11, v217, v226
	v_dual_min_f32 v27, v218, v227 :: v_dual_min_f32 v2, v219, v226
	v_dual_min_f32 v175, v220, v227 :: v_dual_min_f32 v6, v223, v226
	v_min_f32_e32 v15, v19, v227
	v_min_f32_e32 v19, v225, v227
	s_and_b32 vcc_lo, exec_lo, s3
	s_cbranch_vccz .LBB80_21
; %bb.32:                               ;   in Loop: Header=BB80_23 Depth=1
	v_dual_mov_b32 v0, 0 :: v_dual_mov_b32 v1, 0
	s_branch .LBB80_22
.LBB80_33:
	s_load_b32 s8, s[0:1], 0x50
	v_add_nc_u32_e32 v48, s21, v53
	ds_load_b128 v[0:3], v55 offset:5120
	ds_load_b128 v[40:43], v54 offset:2048
	v_add_nc_u32_e32 v46, s20, v52
	v_cmp_neq_f32_e64 s9, s18, 0
	v_mov_b32_e32 v52, 0
	v_mov_b32_e32 v50, 0
	s_delay_alu instid0(VALU_DEP_4) | instskip(NEXT) | instid1(VALU_DEP_4)
	v_ashrrev_i32_e32 v47, 31, v46
	s_and_b32 vcc_lo, exec_lo, s9
	s_delay_alu instid0(VALU_DEP_1) | instskip(SKIP_2) | instid1(VALU_DEP_1)
	v_lshlrev_b64 v[44:45], 2, v[46:47]
	s_waitcnt lgkmcnt(0)
	v_mad_i64_i32 v[4:5], null, v48, s8, 0
	v_lshlrev_b64 v[4:5], 2, v[4:5]
	s_delay_alu instid0(VALU_DEP_1) | instskip(NEXT) | instid1(VALU_DEP_1)
	v_add_co_u32 v122, s3, s4, v4
	v_add_co_ci_u32_e64 v123, s3, s5, v5, s3
	s_cbranch_vccz .LBB80_35
; %bb.34:
	s_delay_alu instid0(VALU_DEP_2) | instskip(NEXT) | instid1(VALU_DEP_2)
	v_add_co_u32 v4, vcc_lo, v122, v44
	v_add_co_ci_u32_e32 v5, vcc_lo, v123, v45, vcc_lo
	flat_load_b32 v4, v[4:5]
	s_waitcnt vmcnt(0) lgkmcnt(0)
	v_mul_f32_e32 v50, s18, v4
.LBB80_35:
	s_clause 0x1
	s_load_b64 s[10:11], s[0:1], 0x70
	s_load_b32 s1, s[0:1], 0x68
	v_dual_max_f32 v124, v40, v40 :: v_dual_max_f32 v125, v41, v41
	v_dual_max_f32 v47, v0, v0 :: v_dual_max_f32 v126, v43, v43
	v_max_f32_e32 v49, v1, v1
	v_max_f32_e32 v43, v3, v3
	ds_load_b128 v[36:39], v55 offset:5248
	ds_load_b128 v[32:35], v55 offset:5376
	;; [unrolled: 1-line block ×7, first 2 shown]
	v_min_f32_e32 v0, v47, v124
	ds_load_b128 v[8:11], v54 offset:2560
	ds_load_b128 v[4:7], v54 offset:3072
	v_min_f32_e32 v1, v49, v125
	v_add_f32_e32 v51, v0, v121
	v_max_f32_e32 v121, v42, v42
	s_delay_alu instid0(VALU_DEP_3)
	v_dual_max_f32 v42, v2, v2 :: v_dual_add_f32 v53, v1, v120
	v_min_f32_e32 v55, v43, v126
	ds_load_b128 v[0:3], v54 offset:3584
	s_waitcnt lgkmcnt(0)
	s_mul_i32 s0, s15, s11
	v_min_f32_e32 v58, v42, v121
	v_mad_i64_i32 v[40:41], null, v48, s1, 0
	s_mul_hi_u32 s3, s15, s10
	s_mul_i32 s11, s19, s10
	s_add_i32 s0, s3, s0
	s_mul_i32 s10, s15, s10
	s_add_i32 s11, s0, s11
	v_add_f32_e32 v55, v55, v53
	s_delay_alu instid0(VALU_DEP_2)
	v_lshlrev_b64 v[40:41], 2, v[40:41]
	v_add_f32_e32 v51, v58, v51
	s_lshl_b64 s[10:11], s[10:11], 2
	v_add_nc_u32_e32 v53, 8, v46
	s_add_u32 s3, s6, s10
	s_addc_u32 s6, s7, s11
	v_add_f32_e32 v51, v51, v55
	v_add_co_u32 v120, vcc_lo, s3, v40
	v_ashrrev_i32_e32 v54, 31, v53
	v_cndmask_b32_e64 v55, 0, 1, s9
	v_add_co_ci_u32_e32 v127, vcc_lo, s6, v41, vcc_lo
	v_add_f32_e32 v58, v51, v50
	v_add_co_u32 v50, vcc_lo, v120, v44
	v_lshlrev_b64 v[40:41], 2, v[53:54]
	v_cmp_ne_u32_e64 s0, 1, v55
	v_add_co_ci_u32_e32 v51, vcc_lo, v127, v45, vcc_lo
	s_and_not1_b32 vcc_lo, exec_lo, s9
	global_store_b32 v[50:51], v58, off
	s_cbranch_vccnz .LBB80_37
; %bb.36:
	v_add_co_u32 v50, vcc_lo, v122, v40
	v_add_co_ci_u32_e32 v51, vcc_lo, v123, v41, vcc_lo
	flat_load_b32 v50, v[50:51]
	s_waitcnt vmcnt(0) lgkmcnt(0)
	v_mul_f32_e32 v52, s18, v50
.LBB80_37:
	v_dual_max_f32 v51, v37, v37 :: v_dual_max_f32 v50, v36, v36
	v_dual_max_f32 v38, v38, v38 :: v_dual_max_f32 v39, v39, v39
	v_mov_b32_e32 v58, 0
	s_delay_alu instid0(VALU_DEP_3) | instskip(NEXT) | instid1(VALU_DEP_3)
	v_dual_min_f32 v36, v51, v125 :: v_dual_min_f32 v37, v50, v124
	v_dual_min_f32 v53, v38, v121 :: v_dual_min_f32 v54, v39, v126
	s_delay_alu instid0(VALU_DEP_2) | instskip(NEXT) | instid1(VALU_DEP_3)
	v_add_f32_e32 v55, v36, v118
	v_dual_add_f32 v37, v37, v119 :: v_dual_add_nc_u32 v36, 16, v46
	v_add_co_u32 v118, vcc_lo, v120, v40
	s_delay_alu instid0(VALU_DEP_2) | instskip(NEXT) | instid1(VALU_DEP_3)
	v_dual_add_f32 v54, v54, v55 :: v_dual_add_f32 v53, v53, v37
	v_ashrrev_i32_e32 v37, 31, v36
	v_add_co_ci_u32_e32 v119, vcc_lo, v127, v41, vcc_lo
	s_and_b32 vcc_lo, exec_lo, s0
	s_delay_alu instid0(VALU_DEP_3) | instskip(NEXT) | instid1(VALU_DEP_3)
	v_dual_add_f32 v53, v53, v54 :: v_dual_mov_b32 v54, 0
	v_lshlrev_b64 v[36:37], 2, v[36:37]
	s_delay_alu instid0(VALU_DEP_2)
	v_add_f32_e32 v52, v53, v52
	global_store_b32 v[118:119], v52, off
	s_cbranch_vccnz .LBB80_39
; %bb.38:
	v_add_co_u32 v52, vcc_lo, v122, v36
	v_add_co_ci_u32_e32 v53, vcc_lo, v123, v37, vcc_lo
	flat_load_b32 v52, v[52:53]
	s_waitcnt vmcnt(0) lgkmcnt(0)
	v_mul_f32_e32 v54, s18, v52
.LBB80_39:
	v_dual_max_f32 v53, v33, v33 :: v_dual_max_f32 v52, v32, v32
	v_dual_max_f32 v34, v34, v34 :: v_dual_max_f32 v35, v35, v35
	s_delay_alu instid0(VALU_DEP_2) | instskip(NEXT) | instid1(VALU_DEP_2)
	v_dual_min_f32 v32, v53, v125 :: v_dual_min_f32 v33, v52, v124
	v_dual_min_f32 v55, v34, v121 :: v_dual_min_f32 v72, v35, v126
	s_delay_alu instid0(VALU_DEP_2) | instskip(SKIP_1) | instid1(VALU_DEP_2)
	v_dual_add_f32 v116, v32, v116 :: v_dual_add_f32 v33, v33, v117
	v_add_nc_u32_e32 v32, 24, v46
	v_dual_add_f32 v72, v72, v116 :: v_dual_add_f32 v55, v55, v33
	s_delay_alu instid0(VALU_DEP_2) | instskip(SKIP_2) | instid1(VALU_DEP_4)
	v_ashrrev_i32_e32 v33, 31, v32
	v_add_co_u32 v116, vcc_lo, v120, v36
	v_add_co_ci_u32_e32 v117, vcc_lo, v127, v37, vcc_lo
	v_add_f32_e32 v55, v55, v72
	s_delay_alu instid0(VALU_DEP_4) | instskip(SKIP_1) | instid1(VALU_DEP_2)
	v_lshlrev_b64 v[32:33], 2, v[32:33]
	s_and_b32 vcc_lo, exec_lo, s0
	v_add_f32_e32 v54, v55, v54
	global_store_b32 v[116:117], v54, off
	s_cbranch_vccnz .LBB80_41
; %bb.40:
	v_add_co_u32 v54, vcc_lo, v122, v32
	v_add_co_ci_u32_e32 v55, vcc_lo, v123, v33, vcc_lo
	flat_load_b32 v54, v[54:55]
	s_waitcnt vmcnt(0) lgkmcnt(0)
	v_mul_f32_e32 v58, s18, v54
.LBB80_41:
	v_dual_max_f32 v55, v29, v29 :: v_dual_max_f32 v54, v28, v28
	v_dual_max_f32 v30, v30, v30 :: v_dual_max_f32 v31, v31, v31
	s_delay_alu instid0(VALU_DEP_2) | instskip(NEXT) | instid1(VALU_DEP_2)
	v_dual_min_f32 v28, v55, v125 :: v_dual_min_f32 v29, v54, v124
	v_min_f32_e32 v72, v30, v121
	s_delay_alu instid0(VALU_DEP_3) | instskip(NEXT) | instid1(VALU_DEP_3)
	v_min_f32_e32 v116, v31, v126
	v_dual_add_f32 v114, v28, v114 :: v_dual_add_f32 v29, v29, v115
	v_dual_mov_b32 v115, 0 :: v_dual_add_nc_u32 v28, 32, v46
	s_delay_alu instid0(VALU_DEP_2) | instskip(NEXT) | instid1(VALU_DEP_3)
	v_add_f32_e32 v114, v116, v114
	v_add_f32_e32 v72, v72, v29
	v_add_co_u32 v116, vcc_lo, v120, v32
	s_delay_alu instid0(VALU_DEP_4) | instskip(SKIP_1) | instid1(VALU_DEP_4)
	v_ashrrev_i32_e32 v29, 31, v28
	v_add_co_ci_u32_e32 v117, vcc_lo, v127, v33, vcc_lo
	v_add_f32_e32 v72, v72, v114
	v_mov_b32_e32 v114, 0
	s_delay_alu instid0(VALU_DEP_4) | instskip(SKIP_1) | instid1(VALU_DEP_3)
	v_lshlrev_b64 v[28:29], 2, v[28:29]
	s_and_b32 vcc_lo, exec_lo, s0
	v_add_f32_e32 v58, v72, v58
	global_store_b32 v[116:117], v58, off
	s_cbranch_vccnz .LBB80_43
; %bb.42:
	v_add_co_u32 v116, vcc_lo, v122, v28
	v_add_co_ci_u32_e32 v117, vcc_lo, v123, v29, vcc_lo
	flat_load_b32 v58, v[116:117]
	s_waitcnt vmcnt(0) lgkmcnt(0)
	v_mul_f32_e32 v114, s18, v58
.LBB80_43:
	v_dual_max_f32 v72, v25, v25 :: v_dual_max_f32 v27, v27, v27
	s_delay_alu instid0(VALU_DEP_1) | instskip(NEXT) | instid1(VALU_DEP_1)
	v_dual_max_f32 v58, v24, v24 :: v_dual_min_f32 v117, v27, v126
	v_dual_min_f32 v24, v72, v125 :: v_dual_min_f32 v25, v58, v124
	v_max_f32_e32 v26, v26, v26
	s_delay_alu instid0(VALU_DEP_2) | instskip(NEXT) | instid1(VALU_DEP_2)
	v_dual_add_f32 v112, v24, v112 :: v_dual_add_f32 v25, v25, v113
	v_min_f32_e32 v116, v26, v121
	v_add_nc_u32_e32 v24, 40, v46
	s_delay_alu instid0(VALU_DEP_2) | instskip(NEXT) | instid1(VALU_DEP_2)
	v_dual_add_f32 v112, v117, v112 :: v_dual_add_f32 v113, v116, v25
	v_ashrrev_i32_e32 v25, 31, v24
	s_delay_alu instid0(VALU_DEP_2) | instskip(SKIP_1) | instid1(VALU_DEP_3)
	v_add_f32_e32 v116, v113, v112
	v_add_co_u32 v112, vcc_lo, v120, v28
	v_lshlrev_b64 v[24:25], 2, v[24:25]
	v_add_co_ci_u32_e32 v113, vcc_lo, v127, v29, vcc_lo
	s_delay_alu instid0(VALU_DEP_4)
	v_add_f32_e32 v114, v116, v114
	s_and_b32 vcc_lo, exec_lo, s0
	global_store_b32 v[112:113], v114, off
	s_cbranch_vccnz .LBB80_45
; %bb.44:
	v_add_co_u32 v112, vcc_lo, v122, v24
	v_add_co_ci_u32_e32 v113, vcc_lo, v123, v25, vcc_lo
	flat_load_b32 v112, v[112:113]
	s_waitcnt vmcnt(0) lgkmcnt(0)
	v_mul_f32_e32 v115, s18, v112
.LBB80_45:
	v_dual_max_f32 v113, v21, v21 :: v_dual_max_f32 v112, v20, v20
	v_dual_max_f32 v22, v22, v22 :: v_dual_max_f32 v23, v23, v23
	s_delay_alu instid0(VALU_DEP_2) | instskip(NEXT) | instid1(VALU_DEP_2)
	v_dual_min_f32 v20, v113, v125 :: v_dual_min_f32 v21, v112, v124
	v_min_f32_e32 v114, v22, v121
	s_delay_alu instid0(VALU_DEP_2) | instskip(NEXT) | instid1(VALU_DEP_4)
	v_dual_add_f32 v110, v20, v110 :: v_dual_add_f32 v21, v21, v111
	v_min_f32_e32 v116, v23, v126
	s_delay_alu instid0(VALU_DEP_2) | instskip(NEXT) | instid1(VALU_DEP_2)
	v_dual_add_f32 v111, v114, v21 :: v_dual_add_nc_u32 v20, 48, v46
	v_add_f32_e32 v110, v116, v110
	s_delay_alu instid0(VALU_DEP_2) | instskip(SKIP_1) | instid1(VALU_DEP_3)
	v_ashrrev_i32_e32 v21, 31, v20
	v_mov_b32_e32 v114, 0
	v_add_f32_e32 v116, v111, v110
	v_add_co_u32 v110, vcc_lo, v120, v24
	s_delay_alu instid0(VALU_DEP_4) | instskip(SKIP_1) | instid1(VALU_DEP_4)
	v_lshlrev_b64 v[20:21], 2, v[20:21]
	v_add_co_ci_u32_e32 v111, vcc_lo, v127, v25, vcc_lo
	v_dual_add_f32 v116, v116, v115 :: v_dual_mov_b32 v115, 0
	s_and_b32 vcc_lo, exec_lo, s0
	global_store_b32 v[110:111], v116, off
	s_cbranch_vccnz .LBB80_47
; %bb.46:
	v_add_co_u32 v110, vcc_lo, v122, v20
	v_add_co_ci_u32_e32 v111, vcc_lo, v123, v21, vcc_lo
	flat_load_b32 v110, v[110:111]
	s_waitcnt vmcnt(0) lgkmcnt(0)
	v_mul_f32_e32 v115, s18, v110
.LBB80_47:
	v_dual_max_f32 v111, v17, v17 :: v_dual_max_f32 v110, v16, v16
	v_dual_max_f32 v18, v18, v18 :: v_dual_max_f32 v19, v19, v19
	s_delay_alu instid0(VALU_DEP_2) | instskip(NEXT) | instid1(VALU_DEP_2)
	v_dual_min_f32 v16, v111, v125 :: v_dual_min_f32 v17, v110, v124
	v_dual_min_f32 v116, v18, v121 :: v_dual_min_f32 v117, v19, v126
	s_delay_alu instid0(VALU_DEP_2) | instskip(SKIP_1) | instid1(VALU_DEP_2)
	v_dual_add_f32 v108, v16, v108 :: v_dual_add_f32 v17, v17, v109
	v_add_nc_u32_e32 v16, 56, v46
	v_add_f32_e32 v46, v117, v108
	s_delay_alu instid0(VALU_DEP_3) | instskip(NEXT) | instid1(VALU_DEP_3)
	v_add_f32_e32 v108, v116, v17
	v_ashrrev_i32_e32 v17, 31, v16
	s_delay_alu instid0(VALU_DEP_2) | instskip(SKIP_1) | instid1(VALU_DEP_3)
	v_add_f32_e32 v46, v108, v46
	v_add_co_u32 v108, vcc_lo, v120, v20
	v_lshlrev_b64 v[16:17], 2, v[16:17]
	v_add_co_ci_u32_e32 v109, vcc_lo, v127, v21, vcc_lo
	s_delay_alu instid0(VALU_DEP_4)
	v_add_f32_e32 v46, v46, v115
	s_and_b32 vcc_lo, exec_lo, s0
	global_store_b32 v[108:109], v46, off
	s_cbranch_vccnz .LBB80_49
; %bb.48:
	v_add_co_u32 v108, vcc_lo, v122, v16
	v_add_co_ci_u32_e32 v109, vcc_lo, v123, v17, vcc_lo
	flat_load_b32 v46, v[108:109]
	s_waitcnt vmcnt(0) lgkmcnt(0)
	v_mul_f32_e32 v114, s18, v46
.LBB80_49:
	v_dual_max_f32 v12, v12, v12 :: v_dual_max_f32 v13, v13, v13
	v_dual_max_f32 v14, v14, v14 :: v_dual_add_nc_u32 v115, 32, v48
	s_delay_alu instid0(VALU_DEP_2) | instskip(NEXT) | instid1(VALU_DEP_3)
	v_dual_max_f32 v15, v15, v15 :: v_dual_min_f32 v46, v12, v124
	v_min_f32_e32 v116, v13, v125
	s_delay_alu instid0(VALU_DEP_3) | instskip(NEXT) | instid1(VALU_DEP_4)
	v_min_f32_e32 v117, v14, v121
	v_mad_i64_i32 v[108:109], null, v115, s8, 0
	s_delay_alu instid0(VALU_DEP_4) | instskip(NEXT) | instid1(VALU_DEP_4)
	v_min_f32_e32 v118, v15, v126
	v_add_f32_e32 v116, v116, v106
	v_add_f32_e32 v46, v46, v107
	s_delay_alu instid0(VALU_DEP_4) | instskip(NEXT) | instid1(VALU_DEP_3)
	v_lshlrev_b64 v[106:107], 2, v[108:109]
	v_add_f32_e32 v116, v118, v116
	s_delay_alu instid0(VALU_DEP_3) | instskip(SKIP_2) | instid1(VALU_DEP_3)
	v_add_f32_e32 v46, v117, v46
	v_add_co_u32 v108, vcc_lo, v120, v16
	v_add_co_ci_u32_e32 v109, vcc_lo, v127, v17, vcc_lo
	v_add_f32_e32 v116, v46, v116
	v_add_co_u32 v46, vcc_lo, s4, v106
	v_add_co_ci_u32_e32 v106, vcc_lo, s5, v107, vcc_lo
	s_delay_alu instid0(VALU_DEP_3)
	v_dual_add_f32 v107, v116, v114 :: v_dual_mov_b32 v114, 0
	v_mov_b32_e32 v116, 0
	s_and_b32 vcc_lo, exec_lo, s0
	global_store_b32 v[108:109], v107, off
	s_cbranch_vccnz .LBB80_51
; %bb.50:
	v_add_co_u32 v107, vcc_lo, v46, v44
	v_add_co_ci_u32_e32 v108, vcc_lo, v106, v45, vcc_lo
	flat_load_b32 v107, v[107:108]
	s_waitcnt vmcnt(0) lgkmcnt(0)
	v_mul_f32_e32 v116, s18, v107
.LBB80_51:
	v_dual_max_f32 v107, v8, v8 :: v_dual_max_f32 v108, v9, v9
	v_dual_max_f32 v109, v10, v10 :: v_dual_max_f32 v8, v11, v11
	v_mad_i64_i32 v[9:10], null, v115, s1, 0
	s_delay_alu instid0(VALU_DEP_3) | instskip(NEXT) | instid1(VALU_DEP_4)
	v_min_f32_e32 v117, v49, v108
	v_min_f32_e32 v11, v47, v107
	s_delay_alu instid0(VALU_DEP_4) | instskip(NEXT) | instid1(VALU_DEP_2)
	v_dual_min_f32 v115, v42, v109 :: v_dual_min_f32 v118, v43, v8
	v_dual_add_f32 v104, v117, v104 :: v_dual_add_f32 v11, v11, v105
	v_lshlrev_b64 v[9:10], 2, v[9:10]
	s_delay_alu instid0(VALU_DEP_2) | instskip(NEXT) | instid1(VALU_DEP_2)
	v_dual_add_f32 v104, v118, v104 :: v_dual_add_f32 v11, v115, v11
	v_add_co_u32 v9, vcc_lo, s3, v9
	s_delay_alu instid0(VALU_DEP_3) | instskip(NEXT) | instid1(VALU_DEP_3)
	v_add_co_ci_u32_e32 v10, vcc_lo, s6, v10, vcc_lo
	v_add_f32_e32 v11, v11, v104
	s_delay_alu instid0(VALU_DEP_3) | instskip(NEXT) | instid1(VALU_DEP_3)
	v_add_co_u32 v104, vcc_lo, v9, v44
	v_add_co_ci_u32_e32 v105, vcc_lo, v10, v45, vcc_lo
	s_delay_alu instid0(VALU_DEP_3)
	v_add_f32_e32 v11, v11, v116
	s_and_b32 vcc_lo, exec_lo, s0
	global_store_b32 v[104:105], v11, off
	s_cbranch_vccnz .LBB80_53
; %bb.52:
	v_add_co_u32 v104, vcc_lo, v46, v40
	v_add_co_ci_u32_e32 v105, vcc_lo, v106, v41, vcc_lo
	flat_load_b32 v11, v[104:105]
	s_waitcnt vmcnt(0) lgkmcnt(0)
	v_mul_f32_e32 v114, s18, v11
.LBB80_53:
	v_dual_min_f32 v11, v51, v108 :: v_dual_min_f32 v104, v50, v107
	v_min_f32_e32 v105, v38, v109
	s_delay_alu instid0(VALU_DEP_2) | instskip(SKIP_3) | instid1(VALU_DEP_3)
	v_dual_add_f32 v11, v11, v102 :: v_dual_add_f32 v102, v104, v103
	v_min_f32_e32 v115, v39, v8
	v_add_co_u32 v103, vcc_lo, v9, v40
	v_add_co_ci_u32_e32 v104, vcc_lo, v10, v41, vcc_lo
	v_dual_add_f32 v102, v105, v102 :: v_dual_add_f32 v11, v115, v11
	s_and_b32 vcc_lo, exec_lo, s0
	s_delay_alu instid0(VALU_DEP_1) | instskip(NEXT) | instid1(VALU_DEP_1)
	v_dual_add_f32 v11, v102, v11 :: v_dual_mov_b32 v102, 0
	v_add_f32_e32 v105, v11, v114
	v_mov_b32_e32 v11, 0
	global_store_b32 v[103:104], v105, off
	s_cbranch_vccnz .LBB80_55
; %bb.54:
	v_add_co_u32 v102, vcc_lo, v46, v36
	v_add_co_ci_u32_e32 v103, vcc_lo, v106, v37, vcc_lo
	flat_load_b32 v102, v[102:103]
	s_waitcnt vmcnt(0) lgkmcnt(0)
	v_mul_f32_e32 v102, s18, v102
.LBB80_55:
	v_dual_min_f32 v103, v53, v108 :: v_dual_min_f32 v104, v52, v107
	v_dual_min_f32 v105, v34, v109 :: v_dual_min_f32 v114, v35, v8
	s_delay_alu instid0(VALU_DEP_2) | instskip(NEXT) | instid1(VALU_DEP_1)
	v_dual_add_f32 v100, v103, v100 :: v_dual_add_f32 v101, v104, v101
	v_dual_add_f32 v100, v114, v100 :: v_dual_add_f32 v101, v105, v101
	s_delay_alu instid0(VALU_DEP_1) | instskip(NEXT) | instid1(VALU_DEP_1)
	v_add_f32_e32 v100, v101, v100
	v_add_f32_e32 v102, v100, v102
	v_add_co_u32 v100, vcc_lo, v9, v36
	v_add_co_ci_u32_e32 v101, vcc_lo, v10, v37, vcc_lo
	s_and_b32 vcc_lo, exec_lo, s0
	global_store_b32 v[100:101], v102, off
	s_cbranch_vccnz .LBB80_57
; %bb.56:
	v_add_co_u32 v100, vcc_lo, v46, v32
	v_add_co_ci_u32_e32 v101, vcc_lo, v106, v33, vcc_lo
	flat_load_b32 v11, v[100:101]
	s_waitcnt vmcnt(0) lgkmcnt(0)
	v_mul_f32_e32 v11, s18, v11
.LBB80_57:
	v_dual_min_f32 v100, v55, v108 :: v_dual_min_f32 v101, v54, v107
	v_dual_min_f32 v102, v30, v109 :: v_dual_min_f32 v103, v31, v8
	s_delay_alu instid0(VALU_DEP_2) | instskip(NEXT) | instid1(VALU_DEP_3)
	v_add_f32_e32 v97, v100, v97
	v_add_f32_e32 v99, v101, v99
	s_delay_alu instid0(VALU_DEP_2) | instskip(NEXT) | instid1(VALU_DEP_2)
	v_add_f32_e32 v97, v103, v97
	v_add_f32_e32 v99, v102, v99
	s_delay_alu instid0(VALU_DEP_1) | instskip(SKIP_2) | instid1(VALU_DEP_3)
	v_add_f32_e32 v97, v99, v97
	v_add_co_u32 v99, vcc_lo, v9, v32
	v_add_co_ci_u32_e32 v100, vcc_lo, v10, v33, vcc_lo
	v_add_f32_e32 v101, v97, v11
	v_mov_b32_e32 v11, 0
	v_mov_b32_e32 v97, 0
	s_and_b32 vcc_lo, exec_lo, s0
	global_store_b32 v[99:100], v101, off
	s_cbranch_vccnz .LBB80_59
; %bb.58:
	v_add_co_u32 v99, vcc_lo, v46, v28
	v_add_co_ci_u32_e32 v100, vcc_lo, v106, v29, vcc_lo
	flat_load_b32 v97, v[99:100]
	s_waitcnt vmcnt(0) lgkmcnt(0)
	v_mul_f32_e32 v97, s18, v97
.LBB80_59:
	v_dual_min_f32 v99, v72, v108 :: v_dual_min_f32 v100, v58, v107
	v_dual_min_f32 v101, v26, v109 :: v_dual_min_f32 v102, v27, v8
	s_delay_alu instid0(VALU_DEP_2) | instskip(NEXT) | instid1(VALU_DEP_3)
	v_add_f32_e32 v96, v99, v96
	v_add_f32_e32 v98, v100, v98
	s_delay_alu instid0(VALU_DEP_2) | instskip(NEXT) | instid1(VALU_DEP_2)
	v_add_f32_e32 v96, v102, v96
	v_add_f32_e32 v98, v101, v98
	s_delay_alu instid0(VALU_DEP_1) | instskip(NEXT) | instid1(VALU_DEP_1)
	v_add_f32_e32 v96, v98, v96
	v_add_f32_e32 v98, v96, v97
	v_add_co_u32 v96, vcc_lo, v9, v28
	v_add_co_ci_u32_e32 v97, vcc_lo, v10, v29, vcc_lo
	s_and_b32 vcc_lo, exec_lo, s0
	global_store_b32 v[96:97], v98, off
	s_cbranch_vccnz .LBB80_61
; %bb.60:
	v_add_co_u32 v96, vcc_lo, v46, v24
	v_add_co_ci_u32_e32 v97, vcc_lo, v106, v25, vcc_lo
	flat_load_b32 v11, v[96:97]
	s_waitcnt vmcnt(0) lgkmcnt(0)
	v_mul_f32_e32 v11, s18, v11
.LBB80_61:
	v_dual_min_f32 v96, v113, v108 :: v_dual_min_f32 v97, v112, v107
	v_dual_min_f32 v98, v22, v109 :: v_dual_min_f32 v99, v23, v8
	s_delay_alu instid0(VALU_DEP_2) | instskip(NEXT) | instid1(VALU_DEP_1)
	v_dual_add_f32 v94, v96, v94 :: v_dual_add_f32 v95, v97, v95
	v_dual_add_f32 v94, v99, v94 :: v_dual_add_f32 v95, v98, v95
	s_delay_alu instid0(VALU_DEP_1) | instskip(SKIP_2) | instid1(VALU_DEP_3)
	v_add_f32_e32 v94, v95, v94
	v_add_co_u32 v95, vcc_lo, v9, v24
	v_add_co_ci_u32_e32 v96, vcc_lo, v10, v25, vcc_lo
	v_dual_add_f32 v97, v94, v11 :: v_dual_mov_b32 v94, 0
	v_mov_b32_e32 v11, 0
	s_and_b32 vcc_lo, exec_lo, s0
	global_store_b32 v[95:96], v97, off
	s_cbranch_vccnz .LBB80_63
; %bb.62:
	v_add_co_u32 v94, vcc_lo, v46, v20
	v_add_co_ci_u32_e32 v95, vcc_lo, v106, v21, vcc_lo
	flat_load_b32 v94, v[94:95]
	s_waitcnt vmcnt(0) lgkmcnt(0)
	v_mul_f32_e32 v94, s18, v94
.LBB80_63:
	v_dual_min_f32 v95, v111, v108 :: v_dual_min_f32 v96, v110, v107
	v_dual_min_f32 v97, v18, v109 :: v_dual_min_f32 v98, v19, v8
	s_delay_alu instid0(VALU_DEP_2) | instskip(NEXT) | instid1(VALU_DEP_1)
	v_dual_add_f32 v92, v95, v92 :: v_dual_add_f32 v93, v96, v93
	v_dual_add_f32 v92, v98, v92 :: v_dual_add_f32 v93, v97, v93
	s_delay_alu instid0(VALU_DEP_1) | instskip(NEXT) | instid1(VALU_DEP_1)
	v_add_f32_e32 v92, v93, v92
	v_add_f32_e32 v94, v92, v94
	v_add_co_u32 v92, vcc_lo, v9, v20
	v_add_co_ci_u32_e32 v93, vcc_lo, v10, v21, vcc_lo
	s_and_b32 vcc_lo, exec_lo, s0
	global_store_b32 v[92:93], v94, off
	s_cbranch_vccnz .LBB80_65
; %bb.64:
	v_add_co_u32 v92, vcc_lo, v46, v16
	v_add_co_ci_u32_e32 v93, vcc_lo, v106, v17, vcc_lo
	flat_load_b32 v11, v[92:93]
	s_waitcnt vmcnt(0) lgkmcnt(0)
	v_mul_f32_e32 v11, s18, v11
.LBB80_65:
	v_dual_min_f32 v46, v12, v107 :: v_dual_min_f32 v93, v13, v108
	v_add_nc_u32_e32 v92, 64, v48
	v_min_f32_e32 v94, v14, v109
	v_min_f32_e32 v8, v15, v8
	s_delay_alu instid0(VALU_DEP_4) | instskip(NEXT) | instid1(VALU_DEP_4)
	v_dual_add_f32 v46, v46, v91 :: v_dual_add_f32 v93, v93, v90
	v_mad_i64_i32 v[90:91], null, v92, s8, 0
	s_delay_alu instid0(VALU_DEP_2) | instskip(NEXT) | instid1(VALU_DEP_3)
	v_add_f32_e32 v46, v94, v46
	v_add_f32_e32 v8, v8, v93
	v_add_co_u32 v93, vcc_lo, v9, v16
	v_add_co_ci_u32_e32 v94, vcc_lo, v10, v17, vcc_lo
	v_lshlrev_b64 v[90:91], 2, v[90:91]
	s_delay_alu instid0(VALU_DEP_4) | instskip(NEXT) | instid1(VALU_DEP_1)
	v_add_f32_e32 v8, v46, v8
	v_add_f32_e32 v10, v8, v11
	s_delay_alu instid0(VALU_DEP_3) | instskip(NEXT) | instid1(VALU_DEP_4)
	v_add_co_u32 v8, vcc_lo, s4, v90
	v_add_co_ci_u32_e32 v9, vcc_lo, s5, v91, vcc_lo
	v_dual_mov_b32 v90, 0 :: v_dual_mov_b32 v91, 0
	s_and_b32 vcc_lo, exec_lo, s0
	global_store_b32 v[93:94], v10, off
	s_cbranch_vccnz .LBB80_67
; %bb.66:
	v_add_co_u32 v10, vcc_lo, v8, v44
	v_add_co_ci_u32_e32 v11, vcc_lo, v9, v45, vcc_lo
	flat_load_b32 v10, v[10:11]
	s_waitcnt vmcnt(0) lgkmcnt(0)
	v_mul_f32_e32 v91, s18, v10
.LBB80_67:
	v_dual_max_f32 v10, v4, v4 :: v_dual_max_f32 v11, v5, v5
	v_max_f32_e32 v46, v6, v6
	v_mad_i64_i32 v[5:6], null, v92, s1, 0
	v_max_f32_e32 v4, v7, v7
	s_delay_alu instid0(VALU_DEP_4) | instskip(NEXT) | instid1(VALU_DEP_1)
	v_min_f32_e32 v93, v49, v11
	v_dual_min_f32 v7, v47, v10 :: v_dual_add_f32 v88, v93, v88
	s_delay_alu instid0(VALU_DEP_1) | instskip(NEXT) | instid1(VALU_DEP_4)
	v_dual_min_f32 v92, v42, v46 :: v_dual_add_f32 v7, v7, v89
	v_min_f32_e32 v94, v43, v4
	v_lshlrev_b64 v[5:6], 2, v[5:6]
	s_delay_alu instid0(VALU_DEP_2) | instskip(NEXT) | instid1(VALU_DEP_2)
	v_dual_add_f32 v7, v92, v7 :: v_dual_add_f32 v88, v94, v88
	v_add_co_u32 v5, vcc_lo, s3, v5
	s_delay_alu instid0(VALU_DEP_3) | instskip(NEXT) | instid1(VALU_DEP_3)
	v_add_co_ci_u32_e32 v6, vcc_lo, s6, v6, vcc_lo
	v_add_f32_e32 v7, v7, v88
	s_delay_alu instid0(VALU_DEP_3) | instskip(NEXT) | instid1(VALU_DEP_3)
	v_add_co_u32 v88, vcc_lo, v5, v44
	v_add_co_ci_u32_e32 v89, vcc_lo, v6, v45, vcc_lo
	s_delay_alu instid0(VALU_DEP_3)
	v_add_f32_e32 v7, v7, v91
	s_and_b32 vcc_lo, exec_lo, s0
	global_store_b32 v[88:89], v7, off
	s_cbranch_vccnz .LBB80_69
; %bb.68:
	v_add_co_u32 v88, vcc_lo, v8, v40
	v_add_co_ci_u32_e32 v89, vcc_lo, v9, v41, vcc_lo
	flat_load_b32 v7, v[88:89]
	s_waitcnt vmcnt(0) lgkmcnt(0)
	v_mul_f32_e32 v90, s18, v7
.LBB80_69:
	v_dual_min_f32 v7, v51, v11 :: v_dual_min_f32 v88, v50, v10
	v_min_f32_e32 v89, v38, v46
	s_delay_alu instid0(VALU_DEP_2) | instskip(SKIP_3) | instid1(VALU_DEP_3)
	v_dual_add_f32 v7, v7, v86 :: v_dual_add_f32 v86, v88, v87
	v_min_f32_e32 v91, v39, v4
	v_add_co_u32 v87, vcc_lo, v5, v40
	v_add_co_ci_u32_e32 v88, vcc_lo, v6, v41, vcc_lo
	v_dual_add_f32 v86, v89, v86 :: v_dual_add_f32 v7, v91, v7
	s_and_b32 vcc_lo, exec_lo, s0
	s_delay_alu instid0(VALU_DEP_1) | instskip(NEXT) | instid1(VALU_DEP_1)
	v_dual_add_f32 v7, v86, v7 :: v_dual_mov_b32 v86, 0
	v_add_f32_e32 v89, v7, v90
	v_mov_b32_e32 v7, 0
	global_store_b32 v[87:88], v89, off
	s_cbranch_vccnz .LBB80_71
; %bb.70:
	v_add_co_u32 v86, vcc_lo, v8, v36
	v_add_co_ci_u32_e32 v87, vcc_lo, v9, v37, vcc_lo
	flat_load_b32 v86, v[86:87]
	s_waitcnt vmcnt(0) lgkmcnt(0)
	v_mul_f32_e32 v86, s18, v86
.LBB80_71:
	v_dual_min_f32 v87, v53, v11 :: v_dual_min_f32 v88, v52, v10
	v_dual_min_f32 v89, v34, v46 :: v_dual_min_f32 v90, v35, v4
	s_delay_alu instid0(VALU_DEP_2) | instskip(NEXT) | instid1(VALU_DEP_1)
	v_dual_add_f32 v84, v87, v84 :: v_dual_add_f32 v85, v88, v85
	v_dual_add_f32 v84, v90, v84 :: v_dual_add_f32 v85, v89, v85
	s_delay_alu instid0(VALU_DEP_1) | instskip(NEXT) | instid1(VALU_DEP_1)
	v_add_f32_e32 v84, v85, v84
	v_add_f32_e32 v86, v84, v86
	v_add_co_u32 v84, vcc_lo, v5, v36
	v_add_co_ci_u32_e32 v85, vcc_lo, v6, v37, vcc_lo
	s_and_b32 vcc_lo, exec_lo, s0
	global_store_b32 v[84:85], v86, off
	s_cbranch_vccnz .LBB80_73
; %bb.72:
	v_add_co_u32 v84, vcc_lo, v8, v32
	v_add_co_ci_u32_e32 v85, vcc_lo, v9, v33, vcc_lo
	flat_load_b32 v7, v[84:85]
	s_waitcnt vmcnt(0) lgkmcnt(0)
	v_mul_f32_e32 v7, s18, v7
.LBB80_73:
	v_dual_min_f32 v84, v55, v11 :: v_dual_min_f32 v85, v54, v10
	v_dual_min_f32 v86, v30, v46 :: v_dual_min_f32 v87, v31, v4
	s_delay_alu instid0(VALU_DEP_2) | instskip(NEXT) | instid1(VALU_DEP_1)
	v_dual_add_f32 v82, v84, v82 :: v_dual_add_f32 v83, v85, v83
	v_dual_add_f32 v82, v87, v82 :: v_dual_add_f32 v83, v86, v83
	s_delay_alu instid0(VALU_DEP_1) | instskip(SKIP_2) | instid1(VALU_DEP_3)
	v_add_f32_e32 v82, v83, v82
	v_add_co_u32 v83, vcc_lo, v5, v32
	v_add_co_ci_u32_e32 v84, vcc_lo, v6, v33, vcc_lo
	v_dual_add_f32 v85, v82, v7 :: v_dual_mov_b32 v82, 0
	v_mov_b32_e32 v7, 0
	s_and_b32 vcc_lo, exec_lo, s0
	global_store_b32 v[83:84], v85, off
	s_cbranch_vccnz .LBB80_75
; %bb.74:
	v_add_co_u32 v82, vcc_lo, v8, v28
	v_add_co_ci_u32_e32 v83, vcc_lo, v9, v29, vcc_lo
	flat_load_b32 v82, v[82:83]
	s_waitcnt vmcnt(0) lgkmcnt(0)
	v_mul_f32_e32 v82, s18, v82
.LBB80_75:
	v_dual_min_f32 v83, v72, v11 :: v_dual_min_f32 v84, v58, v10
	v_dual_min_f32 v85, v26, v46 :: v_dual_min_f32 v86, v27, v4
	s_delay_alu instid0(VALU_DEP_2) | instskip(NEXT) | instid1(VALU_DEP_1)
	v_dual_add_f32 v80, v83, v80 :: v_dual_add_f32 v81, v84, v81
	v_dual_add_f32 v80, v86, v80 :: v_dual_add_f32 v81, v85, v81
	s_delay_alu instid0(VALU_DEP_1) | instskip(NEXT) | instid1(VALU_DEP_1)
	v_add_f32_e32 v80, v81, v80
	v_add_f32_e32 v82, v80, v82
	v_add_co_u32 v80, vcc_lo, v5, v28
	v_add_co_ci_u32_e32 v81, vcc_lo, v6, v29, vcc_lo
	s_and_b32 vcc_lo, exec_lo, s0
	global_store_b32 v[80:81], v82, off
	s_cbranch_vccnz .LBB80_77
; %bb.76:
	v_add_co_u32 v80, vcc_lo, v8, v24
	v_add_co_ci_u32_e32 v81, vcc_lo, v9, v25, vcc_lo
	flat_load_b32 v7, v[80:81]
	s_waitcnt vmcnt(0) lgkmcnt(0)
	v_mul_f32_e32 v7, s18, v7
.LBB80_77:
	v_dual_min_f32 v80, v113, v11 :: v_dual_min_f32 v81, v112, v10
	v_dual_min_f32 v82, v22, v46 :: v_dual_min_f32 v83, v23, v4
	s_delay_alu instid0(VALU_DEP_2) | instskip(NEXT) | instid1(VALU_DEP_3)
	v_add_f32_e32 v77, v80, v77
	v_add_f32_e32 v79, v81, v79
	s_delay_alu instid0(VALU_DEP_2) | instskip(NEXT) | instid1(VALU_DEP_2)
	v_add_f32_e32 v77, v83, v77
	v_add_f32_e32 v79, v82, v79
	s_delay_alu instid0(VALU_DEP_1) | instskip(SKIP_2) | instid1(VALU_DEP_3)
	v_add_f32_e32 v77, v79, v77
	v_add_co_u32 v79, vcc_lo, v5, v24
	v_add_co_ci_u32_e32 v80, vcc_lo, v6, v25, vcc_lo
	v_add_f32_e32 v81, v77, v7
	v_mov_b32_e32 v7, 0
	v_mov_b32_e32 v77, 0
	s_and_b32 vcc_lo, exec_lo, s0
	global_store_b32 v[79:80], v81, off
	s_cbranch_vccnz .LBB80_79
; %bb.78:
	v_add_co_u32 v79, vcc_lo, v8, v20
	v_add_co_ci_u32_e32 v80, vcc_lo, v9, v21, vcc_lo
	flat_load_b32 v77, v[79:80]
	s_waitcnt vmcnt(0) lgkmcnt(0)
	v_mul_f32_e32 v77, s18, v77
.LBB80_79:
	v_dual_min_f32 v79, v111, v11 :: v_dual_min_f32 v80, v110, v10
	v_dual_min_f32 v81, v18, v46 :: v_dual_min_f32 v82, v19, v4
	s_delay_alu instid0(VALU_DEP_2) | instskip(NEXT) | instid1(VALU_DEP_3)
	v_add_f32_e32 v76, v79, v76
	v_add_f32_e32 v78, v80, v78
	s_delay_alu instid0(VALU_DEP_2) | instskip(NEXT) | instid1(VALU_DEP_2)
	v_add_f32_e32 v76, v82, v76
	v_add_f32_e32 v78, v81, v78
	s_delay_alu instid0(VALU_DEP_1) | instskip(NEXT) | instid1(VALU_DEP_1)
	v_add_f32_e32 v76, v78, v76
	v_add_f32_e32 v78, v76, v77
	v_add_co_u32 v76, vcc_lo, v5, v20
	v_add_co_ci_u32_e32 v77, vcc_lo, v6, v21, vcc_lo
	s_and_b32 vcc_lo, exec_lo, s0
	global_store_b32 v[76:77], v78, off
	s_cbranch_vccnz .LBB80_81
; %bb.80:
	v_add_co_u32 v7, vcc_lo, v8, v16
	v_add_co_ci_u32_e32 v8, vcc_lo, v9, v17, vcc_lo
	flat_load_b32 v7, v[7:8]
	s_waitcnt vmcnt(0) lgkmcnt(0)
	v_mul_f32_e32 v7, s18, v7
.LBB80_81:
	v_dual_min_f32 v8, v12, v10 :: v_dual_add_nc_u32 v9, 0x60, v48
	v_min_f32_e32 v10, v13, v11
	v_min_f32_e32 v46, v14, v46
	;; [unrolled: 1-line block ×3, first 2 shown]
	s_delay_alu instid0(VALU_DEP_4) | instskip(NEXT) | instid1(VALU_DEP_4)
	v_add_f32_e32 v8, v8, v75
	v_add_f32_e32 v48, v10, v74
	v_mad_i64_i32 v[10:11], null, v9, s8, 0
	s_delay_alu instid0(VALU_DEP_3) | instskip(SKIP_1) | instid1(VALU_DEP_4)
	v_add_f32_e32 v8, v46, v8
	v_add_co_u32 v74, vcc_lo, v5, v16
	v_add_f32_e32 v4, v4, v48
	v_add_co_ci_u32_e32 v75, vcc_lo, v6, v17, vcc_lo
	v_lshlrev_b64 v[10:11], 2, v[10:11]
	s_delay_alu instid0(VALU_DEP_3) | instskip(SKIP_1) | instid1(VALU_DEP_2)
	v_add_f32_e32 v4, v8, v4
	v_mov_b32_e32 v8, 0
	v_add_f32_e32 v6, v4, v7
	s_delay_alu instid0(VALU_DEP_4)
	v_add_co_u32 v4, vcc_lo, s4, v10
	v_add_co_ci_u32_e32 v5, vcc_lo, s5, v11, vcc_lo
	v_mov_b32_e32 v10, 0
	s_and_b32 vcc_lo, exec_lo, s0
	global_store_b32 v[74:75], v6, off
	s_cbranch_vccnz .LBB80_83
; %bb.82:
	v_add_co_u32 v6, vcc_lo, v4, v44
	v_add_co_ci_u32_e32 v7, vcc_lo, v5, v45, vcc_lo
	flat_load_b32 v6, v[6:7]
	s_waitcnt vmcnt(0) lgkmcnt(0)
	v_mul_f32_e32 v10, s18, v6
.LBB80_83:
	v_dual_max_f32 v0, v0, v0 :: v_dual_max_f32 v1, v1, v1
	v_dual_max_f32 v2, v2, v2 :: v_dual_max_f32 v3, v3, v3
	v_mad_i64_i32 v[6:7], null, v9, s1, 0
	s_delay_alu instid0(VALU_DEP_3) | instskip(NEXT) | instid1(VALU_DEP_3)
	v_dual_min_f32 v11, v47, v0 :: v_dual_min_f32 v46, v49, v1
	v_dual_min_f32 v9, v42, v2 :: v_dual_min_f32 v42, v43, v3
	s_delay_alu instid0(VALU_DEP_2) | instskip(NEXT) | instid1(VALU_DEP_3)
	v_add_f32_e32 v43, v46, v69
	v_add_f32_e32 v11, v11, v73
	v_lshlrev_b64 v[6:7], 2, v[6:7]
	s_delay_alu instid0(VALU_DEP_3) | instskip(NEXT) | instid1(VALU_DEP_3)
	v_add_f32_e32 v42, v42, v43
	v_add_f32_e32 v9, v9, v11
	s_delay_alu instid0(VALU_DEP_3) | instskip(NEXT) | instid1(VALU_DEP_4)
	v_add_co_u32 v6, vcc_lo, s3, v6
	v_add_co_ci_u32_e32 v7, vcc_lo, s6, v7, vcc_lo
	s_delay_alu instid0(VALU_DEP_3) | instskip(NEXT) | instid1(VALU_DEP_1)
	v_add_f32_e32 v9, v9, v42
	v_add_f32_e32 v11, v9, v10
	s_delay_alu instid0(VALU_DEP_4) | instskip(NEXT) | instid1(VALU_DEP_4)
	v_add_co_u32 v9, vcc_lo, v6, v44
	v_add_co_ci_u32_e32 v10, vcc_lo, v7, v45, vcc_lo
	s_and_b32 vcc_lo, exec_lo, s0
	global_store_b32 v[9:10], v11, off
	s_cbranch_vccnz .LBB80_85
; %bb.84:
	v_add_co_u32 v8, vcc_lo, v4, v40
	v_add_co_ci_u32_e32 v9, vcc_lo, v5, v41, vcc_lo
	flat_load_b32 v8, v[8:9]
	s_waitcnt vmcnt(0) lgkmcnt(0)
	v_mul_f32_e32 v8, s18, v8
.LBB80_85:
	v_dual_min_f32 v9, v51, v1 :: v_dual_min_f32 v10, v50, v0
	v_dual_min_f32 v11, v38, v2 :: v_dual_min_f32 v38, v39, v3
	s_delay_alu instid0(VALU_DEP_2) | instskip(NEXT) | instid1(VALU_DEP_1)
	v_dual_add_f32 v9, v9, v70 :: v_dual_add_f32 v10, v10, v71
	v_dual_add_f32 v9, v38, v9 :: v_dual_add_f32 v10, v11, v10
	s_delay_alu instid0(VALU_DEP_1) | instskip(SKIP_2) | instid1(VALU_DEP_3)
	v_add_f32_e32 v9, v10, v9
	v_add_co_u32 v10, vcc_lo, v6, v40
	v_add_co_ci_u32_e32 v11, vcc_lo, v7, v41, vcc_lo
	v_dual_add_f32 v38, v9, v8 :: v_dual_mov_b32 v9, 0
	v_mov_b32_e32 v8, 0
	s_and_b32 vcc_lo, exec_lo, s0
	global_store_b32 v[10:11], v38, off
	s_cbranch_vccnz .LBB80_87
; %bb.86:
	v_add_co_u32 v9, vcc_lo, v4, v36
	v_add_co_ci_u32_e32 v10, vcc_lo, v5, v37, vcc_lo
	flat_load_b32 v9, v[9:10]
	s_waitcnt vmcnt(0) lgkmcnt(0)
	v_mul_f32_e32 v9, s18, v9
.LBB80_87:
	v_dual_min_f32 v10, v53, v1 :: v_dual_min_f32 v11, v52, v0
	v_dual_min_f32 v34, v34, v2 :: v_dual_min_f32 v35, v35, v3
	s_delay_alu instid0(VALU_DEP_2) | instskip(NEXT) | instid1(VALU_DEP_1)
	v_dual_add_f32 v10, v10, v66 :: v_dual_add_f32 v11, v11, v68
	v_dual_add_f32 v10, v35, v10 :: v_dual_add_f32 v11, v34, v11
	s_delay_alu instid0(VALU_DEP_1) | instskip(NEXT) | instid1(VALU_DEP_1)
	v_add_f32_e32 v10, v11, v10
	v_add_f32_e32 v11, v10, v9
	v_add_co_u32 v9, vcc_lo, v6, v36
	v_add_co_ci_u32_e32 v10, vcc_lo, v7, v37, vcc_lo
	s_and_b32 vcc_lo, exec_lo, s0
	global_store_b32 v[9:10], v11, off
	s_cbranch_vccnz .LBB80_89
; %bb.88:
	v_add_co_u32 v8, vcc_lo, v4, v32
	v_add_co_ci_u32_e32 v9, vcc_lo, v5, v33, vcc_lo
	flat_load_b32 v8, v[8:9]
	s_waitcnt vmcnt(0) lgkmcnt(0)
	v_mul_f32_e32 v8, s18, v8
.LBB80_89:
	v_dual_min_f32 v9, v55, v1 :: v_dual_min_f32 v10, v54, v0
	v_dual_min_f32 v11, v30, v2 :: v_dual_min_f32 v30, v31, v3
	s_delay_alu instid0(VALU_DEP_2) | instskip(NEXT) | instid1(VALU_DEP_1)
	v_dual_add_f32 v9, v9, v65 :: v_dual_add_f32 v10, v10, v67
	v_dual_add_f32 v9, v30, v9 :: v_dual_add_f32 v10, v11, v10
	s_delay_alu instid0(VALU_DEP_1) | instskip(SKIP_2) | instid1(VALU_DEP_3)
	v_add_f32_e32 v9, v10, v9
	v_add_co_u32 v10, vcc_lo, v6, v32
	v_add_co_ci_u32_e32 v11, vcc_lo, v7, v33, vcc_lo
	v_dual_add_f32 v30, v9, v8 :: v_dual_mov_b32 v9, 0
	v_mov_b32_e32 v8, 0
	s_and_b32 vcc_lo, exec_lo, s0
	global_store_b32 v[10:11], v30, off
	s_cbranch_vccnz .LBB80_91
; %bb.90:
	v_add_co_u32 v9, vcc_lo, v4, v28
	v_add_co_ci_u32_e32 v10, vcc_lo, v5, v29, vcc_lo
	flat_load_b32 v9, v[9:10]
	s_waitcnt vmcnt(0) lgkmcnt(0)
	v_mul_f32_e32 v9, s18, v9
.LBB80_91:
	v_dual_min_f32 v10, v72, v1 :: v_dual_min_f32 v11, v58, v0
	v_dual_min_f32 v26, v26, v2 :: v_dual_min_f32 v27, v27, v3
	s_delay_alu instid0(VALU_DEP_2) | instskip(NEXT) | instid1(VALU_DEP_1)
	v_dual_add_f32 v10, v10, v63 :: v_dual_add_f32 v11, v11, v64
	v_dual_add_f32 v10, v27, v10 :: v_dual_add_f32 v11, v26, v11
	s_delay_alu instid0(VALU_DEP_1) | instskip(NEXT) | instid1(VALU_DEP_1)
	v_add_f32_e32 v10, v11, v10
	v_add_f32_e32 v11, v10, v9
	v_add_co_u32 v9, vcc_lo, v6, v28
	v_add_co_ci_u32_e32 v10, vcc_lo, v7, v29, vcc_lo
	s_and_b32 vcc_lo, exec_lo, s0
	global_store_b32 v[9:10], v11, off
	s_cbranch_vccnz .LBB80_93
; %bb.92:
	v_add_co_u32 v8, vcc_lo, v4, v24
	v_add_co_ci_u32_e32 v9, vcc_lo, v5, v25, vcc_lo
	flat_load_b32 v8, v[8:9]
	s_waitcnt vmcnt(0) lgkmcnt(0)
	v_mul_f32_e32 v8, s18, v8
.LBB80_93:
	v_dual_min_f32 v9, v113, v1 :: v_dual_min_f32 v10, v112, v0
	v_dual_min_f32 v11, v22, v2 :: v_dual_min_f32 v22, v23, v3
	v_min_f32_e32 v23, v111, v1
	s_delay_alu instid0(VALU_DEP_3) | instskip(NEXT) | instid1(VALU_DEP_4)
	v_dual_add_f32 v9, v9, v59 :: v_dual_min_f32 v26, v110, v0
	v_add_f32_e32 v10, v10, v62
	s_delay_alu instid0(VALU_DEP_3) | instskip(NEXT) | instid1(VALU_DEP_2)
	v_dual_min_f32 v18, v18, v2 :: v_dual_add_f32 v23, v23, v61
	v_dual_add_f32 v9, v22, v9 :: v_dual_add_f32 v10, v11, v10
	v_min_f32_e32 v11, v19, v3
	v_add_f32_e32 v19, v26, v60
	s_delay_alu instid0(VALU_DEP_2) | instskip(NEXT) | instid1(VALU_DEP_2)
	v_dual_add_f32 v22, v10, v9 :: v_dual_add_f32 v11, v11, v23
	v_add_f32_e32 v18, v18, v19
	v_add_co_u32 v9, vcc_lo, v6, v24
	v_add_co_ci_u32_e32 v10, vcc_lo, v7, v25, vcc_lo
	s_delay_alu instid0(VALU_DEP_4) | instskip(NEXT) | instid1(VALU_DEP_4)
	v_add_f32_e32 v19, v22, v8
	v_add_f32_e32 v8, v18, v11
	s_mov_b32 vcc_lo, s2
	global_store_b32 v[9:10], v19, off
	s_cbranch_vccz .LBB80_96
; %bb.94:
	v_add_co_u32 v9, vcc_lo, v6, v20
	v_add_f32_e32 v11, 0, v8
	v_add_co_ci_u32_e32 v10, vcc_lo, v7, v21, vcc_lo
	s_mov_b32 s0, 0
	global_store_b32 v[9:10], v11, off
	s_cbranch_execz .LBB80_97
; %bb.95:
	v_mov_b32_e32 v4, s0
	s_branch .LBB80_98
.LBB80_96:
	s_mov_b32 s0, -1
.LBB80_97:
	v_add_co_u32 v9, vcc_lo, v4, v20
	v_add_co_ci_u32_e32 v10, vcc_lo, v5, v21, vcc_lo
	flat_load_b32 v11, v[9:10]
	v_add_co_u32 v9, vcc_lo, v6, v20
	v_add_co_ci_u32_e32 v10, vcc_lo, v7, v21, vcc_lo
	v_add_co_u32 v4, vcc_lo, v4, v16
	v_add_co_ci_u32_e32 v5, vcc_lo, v5, v17, vcc_lo
	s_waitcnt vmcnt(0) lgkmcnt(0)
	v_fmac_f32_e32 v8, s18, v11
	global_store_b32 v[9:10], v8, off
	flat_load_b32 v4, v[4:5]
	s_waitcnt vmcnt(0) lgkmcnt(0)
	v_mul_f32_e32 v4, s18, v4
.LBB80_98:
	v_dual_min_f32 v1, v13, v1 :: v_dual_min_f32 v0, v12, v0
	v_dual_min_f32 v2, v14, v2 :: v_dual_min_f32 v3, v15, v3
	s_delay_alu instid0(VALU_DEP_2) | instskip(NEXT) | instid1(VALU_DEP_1)
	v_dual_add_f32 v1, v1, v56 :: v_dual_add_f32 v0, v0, v57
	v_dual_add_f32 v1, v3, v1 :: v_dual_add_f32 v0, v2, v0
	s_delay_alu instid0(VALU_DEP_1) | instskip(NEXT) | instid1(VALU_DEP_1)
	v_add_f32_e32 v0, v0, v1
	v_add_f32_e32 v2, v0, v4
	v_add_co_u32 v0, vcc_lo, v6, v16
	v_add_co_ci_u32_e32 v1, vcc_lo, v7, v17, vcc_lo
	global_store_b32 v[0:1], v2, off
	s_nop 0
	s_sendmsg sendmsg(MSG_DEALLOC_VGPRS)
	s_endpgm
	.section	.rodata,"a",@progbits
	.p2align	6, 0x0
	.amdhsa_kernel _ZN12_GLOBAL__N_120geam_min_plus_kernelIf15HIP_vector_typeIfLj2EES2_Li8ELi32ELi64ELi128ELi4ELi64ELi4ELi4ELi64ELc78ELc78ELb0ELb0ELb0EfKffEEviiiT16_PT17_ilS6_ilS4_S6_ilPT18_ili26rocblas_geam_ex_operation_
		.amdhsa_group_segment_fixed_size 6144
		.amdhsa_private_segment_fixed_size 0
		.amdhsa_kernarg_size 128
		.amdhsa_user_sgpr_count 14
		.amdhsa_user_sgpr_dispatch_ptr 0
		.amdhsa_user_sgpr_queue_ptr 0
		.amdhsa_user_sgpr_kernarg_segment_ptr 1
		.amdhsa_user_sgpr_dispatch_id 0
		.amdhsa_user_sgpr_private_segment_size 0
		.amdhsa_wavefront_size32 1
		.amdhsa_uses_dynamic_stack 0
		.amdhsa_enable_private_segment 0
		.amdhsa_system_sgpr_workgroup_id_x 1
		.amdhsa_system_sgpr_workgroup_id_y 0
		.amdhsa_system_sgpr_workgroup_id_z 1
		.amdhsa_system_sgpr_workgroup_info 0
		.amdhsa_system_vgpr_workitem_id 1
		.amdhsa_next_free_vgpr 228
		.amdhsa_next_free_sgpr 25
		.amdhsa_reserve_vcc 1
		.amdhsa_float_round_mode_32 0
		.amdhsa_float_round_mode_16_64 0
		.amdhsa_float_denorm_mode_32 3
		.amdhsa_float_denorm_mode_16_64 3
		.amdhsa_dx10_clamp 1
		.amdhsa_ieee_mode 1
		.amdhsa_fp16_overflow 0
		.amdhsa_workgroup_processor_mode 1
		.amdhsa_memory_ordered 1
		.amdhsa_forward_progress 0
		.amdhsa_shared_vgpr_count 0
		.amdhsa_exception_fp_ieee_invalid_op 0
		.amdhsa_exception_fp_denorm_src 0
		.amdhsa_exception_fp_ieee_div_zero 0
		.amdhsa_exception_fp_ieee_overflow 0
		.amdhsa_exception_fp_ieee_underflow 0
		.amdhsa_exception_fp_ieee_inexact 0
		.amdhsa_exception_int_div_zero 0
	.end_amdhsa_kernel
	.section	.text._ZN12_GLOBAL__N_120geam_min_plus_kernelIf15HIP_vector_typeIfLj2EES2_Li8ELi32ELi64ELi128ELi4ELi64ELi4ELi4ELi64ELc78ELc78ELb0ELb0ELb0EfKffEEviiiT16_PT17_ilS6_ilS4_S6_ilPT18_ili26rocblas_geam_ex_operation_,"axG",@progbits,_ZN12_GLOBAL__N_120geam_min_plus_kernelIf15HIP_vector_typeIfLj2EES2_Li8ELi32ELi64ELi128ELi4ELi64ELi4ELi4ELi64ELc78ELc78ELb0ELb0ELb0EfKffEEviiiT16_PT17_ilS6_ilS4_S6_ilPT18_ili26rocblas_geam_ex_operation_,comdat
.Lfunc_end80:
	.size	_ZN12_GLOBAL__N_120geam_min_plus_kernelIf15HIP_vector_typeIfLj2EES2_Li8ELi32ELi64ELi128ELi4ELi64ELi4ELi4ELi64ELc78ELc78ELb0ELb0ELb0EfKffEEviiiT16_PT17_ilS6_ilS4_S6_ilPT18_ili26rocblas_geam_ex_operation_, .Lfunc_end80-_ZN12_GLOBAL__N_120geam_min_plus_kernelIf15HIP_vector_typeIfLj2EES2_Li8ELi32ELi64ELi128ELi4ELi64ELi4ELi4ELi64ELc78ELc78ELb0ELb0ELb0EfKffEEviiiT16_PT17_ilS6_ilS4_S6_ilPT18_ili26rocblas_geam_ex_operation_
                                        ; -- End function
	.section	.AMDGPU.csdata,"",@progbits
; Kernel info:
; codeLenInByte = 10356
; NumSgprs: 27
; NumVgprs: 228
; ScratchSize: 0
; MemoryBound: 0
; FloatMode: 240
; IeeeMode: 1
; LDSByteSize: 6144 bytes/workgroup (compile time only)
; SGPRBlocks: 3
; VGPRBlocks: 28
; NumSGPRsForWavesPerEU: 27
; NumVGPRsForWavesPerEU: 228
; Occupancy: 6
; WaveLimiterHint : 0
; COMPUTE_PGM_RSRC2:SCRATCH_EN: 0
; COMPUTE_PGM_RSRC2:USER_SGPR: 14
; COMPUTE_PGM_RSRC2:TRAP_HANDLER: 0
; COMPUTE_PGM_RSRC2:TGID_X_EN: 1
; COMPUTE_PGM_RSRC2:TGID_Y_EN: 0
; COMPUTE_PGM_RSRC2:TGID_Z_EN: 1
; COMPUTE_PGM_RSRC2:TIDIG_COMP_CNT: 1
	.section	.text._ZN12_GLOBAL__N_120geam_min_plus_kernelIf15HIP_vector_typeIfLj2EES2_Li8ELi32ELi64ELi128ELi4ELi64ELi4ELi4ELi64ELc78ELc78ELb0ELb1ELb0EPKfS3_fEEviiiT16_PT17_ilS7_ilS5_S7_ilPT18_ili26rocblas_geam_ex_operation_,"axG",@progbits,_ZN12_GLOBAL__N_120geam_min_plus_kernelIf15HIP_vector_typeIfLj2EES2_Li8ELi32ELi64ELi128ELi4ELi64ELi4ELi4ELi64ELc78ELc78ELb0ELb1ELb0EPKfS3_fEEviiiT16_PT17_ilS7_ilS5_S7_ilPT18_ili26rocblas_geam_ex_operation_,comdat
	.globl	_ZN12_GLOBAL__N_120geam_min_plus_kernelIf15HIP_vector_typeIfLj2EES2_Li8ELi32ELi64ELi128ELi4ELi64ELi4ELi4ELi64ELc78ELc78ELb0ELb1ELb0EPKfS3_fEEviiiT16_PT17_ilS7_ilS5_S7_ilPT18_ili26rocblas_geam_ex_operation_ ; -- Begin function _ZN12_GLOBAL__N_120geam_min_plus_kernelIf15HIP_vector_typeIfLj2EES2_Li8ELi32ELi64ELi128ELi4ELi64ELi4ELi4ELi64ELc78ELc78ELb0ELb1ELb0EPKfS3_fEEviiiT16_PT17_ilS7_ilS5_S7_ilPT18_ili26rocblas_geam_ex_operation_
	.p2align	8
	.type	_ZN12_GLOBAL__N_120geam_min_plus_kernelIf15HIP_vector_typeIfLj2EES2_Li8ELi32ELi64ELi128ELi4ELi64ELi4ELi4ELi64ELc78ELc78ELb0ELb1ELb0EPKfS3_fEEviiiT16_PT17_ilS7_ilS5_S7_ilPT18_ili26rocblas_geam_ex_operation_,@function
_ZN12_GLOBAL__N_120geam_min_plus_kernelIf15HIP_vector_typeIfLj2EES2_Li8ELi32ELi64ELi128ELi4ELi64ELi4ELi4ELi64ELc78ELc78ELb0ELb1ELb0EPKfS3_fEEviiiT16_PT17_ilS7_ilS5_S7_ilPT18_ili26rocblas_geam_ex_operation_: ; @_ZN12_GLOBAL__N_120geam_min_plus_kernelIf15HIP_vector_typeIfLj2EES2_Li8ELi32ELi64ELi128ELi4ELi64ELi4ELi4ELi64ELc78ELc78ELb0ELb1ELb0EPKfS3_fEEviiiT16_PT17_ilS7_ilS5_S7_ilPT18_ili26rocblas_geam_ex_operation_
; %bb.0:
	s_clause 0x1
	s_load_b128 s[16:19], s[0:1], 0x10
	s_load_b128 s[4:7], s[0:1], 0x28
	s_mov_b32 s12, s15
	s_mov_b32 s13, 0
	s_mov_b64 s[22:23], 0
	s_lshl_b64 s[20:21], s[12:13], 2
	s_waitcnt lgkmcnt(0)
	s_add_u32 s2, s16, s20
	s_addc_u32 s3, s17, s21
	s_load_b32 s15, s[2:3], 0x0
	s_clause 0x1
	s_load_b128 s[8:11], s[0:1], 0x40
	s_load_b64 s[2:3], s[0:1], 0x50
	s_waitcnt lgkmcnt(0)
	v_cmp_eq_f32_e64 s13, s15, 0
	v_cmp_neq_f32_e64 s24, s15, 0
	s_add_u32 s10, s10, s20
	s_addc_u32 s11, s11, s21
	s_mov_b64 s[20:21], 0
	s_and_b32 vcc_lo, exec_lo, s13
	s_cbranch_vccnz .LBB81_2
; %bb.1:
	s_mul_i32 s5, s12, s5
	s_mul_hi_u32 s13, s12, s4
	s_mul_i32 s4, s12, s4
	s_add_i32 s5, s13, s5
	s_delay_alu instid0(SALU_CYCLE_1) | instskip(NEXT) | instid1(SALU_CYCLE_1)
	s_lshl_b64 s[4:5], s[4:5], 2
	s_add_u32 s22, s18, s4
	s_addc_u32 s23, s19, s5
.LBB81_2:
	s_load_b32 s13, s[10:11], 0x0
	s_and_not1_b32 vcc_lo, exec_lo, s24
	s_cbranch_vccnz .LBB81_4
; %bb.3:
	s_mul_i32 s4, s12, s9
	s_mul_hi_u32 s5, s12, s8
	s_delay_alu instid0(SALU_CYCLE_1) | instskip(SKIP_1) | instid1(SALU_CYCLE_1)
	s_add_i32 s5, s5, s4
	s_mul_i32 s4, s12, s8
	s_lshl_b64 s[4:5], s[4:5], 2
	s_delay_alu instid0(SALU_CYCLE_1)
	s_add_u32 s20, s6, s4
	s_addc_u32 s21, s7, s5
.LBB81_4:
	s_load_b128 s[4:7], s[0:1], 0x60
	s_waitcnt lgkmcnt(0)
	v_cmp_eq_f32_e64 s8, s13, 0
	v_cmp_neq_f32_e64 s9, s13, 0
	s_delay_alu instid0(VALU_DEP_2)
	s_and_b32 vcc_lo, exec_lo, s8
	s_cbranch_vccnz .LBB81_6
; %bb.5:
	s_mul_i32 s5, s12, s5
	s_mul_hi_u32 s8, s12, s4
	s_mul_i32 s4, s12, s4
	s_add_i32 s5, s8, s5
	s_delay_alu instid0(SALU_CYCLE_1) | instskip(NEXT) | instid1(SALU_CYCLE_1)
	s_lshl_b64 s[4:5], s[4:5], 2
	s_add_u32 s10, s2, s4
	s_addc_u32 s11, s3, s5
	s_branch .LBB81_7
.LBB81_6:
	s_mov_b64 s[10:11], 0
.LBB81_7:
	s_clause 0x1
	s_load_b128 s[16:19], s[0:1], 0x0
	s_load_b32 s4, s[0:1], 0x20
	v_dual_mov_b32 v9, 0 :: v_dual_and_b32 v56, 0x3ff, v0
	v_bfe_u32 v57, v0, 10, 10
	v_mov_b32_e32 v8, 0
	s_delay_alu instid0(VALU_DEP_2) | instskip(NEXT) | instid1(VALU_DEP_1)
	v_lshl_add_u32 v2, v57, 3, v56
	v_and_b32_e32 v7, 63, v2
	v_lshrrev_b32_e32 v58, 6, v2
	s_waitcnt lgkmcnt(0)
	s_add_i32 s2, s16, -1
	s_ashr_i32 s5, s4, 31
	s_ashr_i32 s3, s2, 31
	s_delay_alu instid0(SALU_CYCLE_1) | instskip(NEXT) | instid1(SALU_CYCLE_1)
	s_lshr_b32 s3, s3, 26
	s_add_i32 s2, s2, s3
	s_delay_alu instid0(SALU_CYCLE_1) | instskip(NEXT) | instid1(SALU_CYCLE_1)
	s_ashr_i32 s2, s2, 6
	s_add_i32 s8, s2, 1
	s_not_b32 s2, s2
	v_cvt_f32_u32_e32 v1, s8
	s_delay_alu instid0(VALU_DEP_1) | instskip(SKIP_2) | instid1(VALU_DEP_1)
	v_rcp_iflag_f32_e32 v1, v1
	s_waitcnt_depctr 0xfff
	v_mul_f32_e32 v1, 0x4f7ffffe, v1
	v_cvt_u32_f32_e32 v1, v1
	s_delay_alu instid0(VALU_DEP_1) | instskip(NEXT) | instid1(VALU_DEP_1)
	v_readfirstlane_b32 s3, v1
	s_mul_i32 s2, s2, s3
	s_delay_alu instid0(SALU_CYCLE_1) | instskip(NEXT) | instid1(SALU_CYCLE_1)
	s_mul_hi_u32 s2, s3, s2
	s_add_i32 s3, s3, s2
	s_delay_alu instid0(SALU_CYCLE_1) | instskip(NEXT) | instid1(SALU_CYCLE_1)
	s_mul_hi_u32 s2, s14, s3
	s_mul_i32 s3, s2, s8
	s_add_i32 s19, s2, 1
	s_sub_i32 s3, s14, s3
	s_delay_alu instid0(SALU_CYCLE_1)
	s_sub_i32 s25, s3, s8
	s_cmp_ge_u32 s3, s8
	s_cselect_b32 s2, s19, s2
	s_cselect_b32 s3, s25, s3
	s_add_i32 s19, s2, 1
	s_cmp_ge_u32 s3, s8
	s_cselect_b32 s3, s19, s2
	s_delay_alu instid0(SALU_CYCLE_1) | instskip(NEXT) | instid1(SALU_CYCLE_1)
	s_mul_i32 s2, s3, s8
	s_sub_i32 s2, s14, s2
	s_delay_alu instid0(SALU_CYCLE_1) | instskip(SKIP_2) | instid1(VALU_DEP_1)
	s_lshl_b32 s8, s2, 6
	v_cmp_gt_i32_e64 s2, s18, v58
	v_or_b32_e32 v0, s8, v7
	v_cmp_gt_i32_e32 vcc_lo, s16, v0
	v_ashrrev_i32_e32 v1, 31, v0
	s_delay_alu instid0(VALU_DEP_4) | instskip(NEXT) | instid1(SALU_CYCLE_1)
	s_and_b32 s2, s2, vcc_lo
	s_and_b32 s2, s24, s2
	s_delay_alu instid0(SALU_CYCLE_1)
	s_and_saveexec_b32 s14, s2
	s_cbranch_execz .LBB81_9
; %bb.8:
	v_mad_i64_i32 v[3:4], null, s4, v58, 0
	v_lshlrev_b64 v[5:6], 2, v[0:1]
	s_delay_alu instid0(VALU_DEP_2) | instskip(NEXT) | instid1(VALU_DEP_1)
	v_lshlrev_b64 v[3:4], 2, v[3:4]
	v_add_co_u32 v3, s2, s22, v3
	s_delay_alu instid0(VALU_DEP_1) | instskip(NEXT) | instid1(VALU_DEP_2)
	v_add_co_ci_u32_e64 v4, s2, s23, v4, s2
	v_add_co_u32 v3, s2, v3, v5
	s_delay_alu instid0(VALU_DEP_1)
	v_add_co_ci_u32_e64 v4, s2, v4, v6, s2
	flat_load_b32 v3, v[3:4]
	s_waitcnt vmcnt(0) lgkmcnt(0)
	v_mul_f32_e32 v9, s15, v3
.LBB81_9:
	s_or_b32 exec_lo, exec_lo, s14
	v_and_b32_e32 v59, 3, v56
	s_add_i32 s19, s18, -1
	v_lshrrev_b32_e32 v10, 2, v2
	s_load_b32 s28, s[0:1], 0x38
	s_lshl_b32 s14, s3, 7
	v_min_i32_e32 v3, s19, v59
	s_xor_b32 s26, s24, -1
	v_add_nc_u32_e32 v2, s14, v10
	v_cmp_le_i32_e64 s2, s18, v59
	s_delay_alu instid0(VALU_DEP_3) | instskip(NEXT) | instid1(VALU_DEP_3)
	v_ashrrev_i32_e32 v4, 31, v3
	v_cmp_le_i32_e64 s3, s17, v2
	s_delay_alu instid0(VALU_DEP_2) | instskip(NEXT) | instid1(VALU_DEP_2)
	v_lshlrev_b64 v[3:4], 2, v[3:4]
	s_or_b32 s25, s3, s26
	s_delay_alu instid0(VALU_DEP_1) | instskip(NEXT) | instid1(VALU_DEP_1)
	v_add_co_u32 v5, s3, s20, v3
	v_add_co_ci_u32_e64 v6, s3, s21, v4, s3
	s_or_b32 s3, s2, s25
	s_delay_alu instid0(SALU_CYCLE_1) | instskip(NEXT) | instid1(SALU_CYCLE_1)
	s_xor_b32 s3, s3, -1
	s_and_saveexec_b32 s27, s3
	s_cbranch_execz .LBB81_11
; %bb.10:
	s_waitcnt lgkmcnt(0)
	v_mad_i64_i32 v[3:4], null, v2, s28, 0
	s_delay_alu instid0(VALU_DEP_1) | instskip(NEXT) | instid1(VALU_DEP_1)
	v_lshlrev_b64 v[3:4], 2, v[3:4]
	v_add_co_u32 v3, s3, v5, v3
	s_delay_alu instid0(VALU_DEP_1)
	v_add_co_ci_u32_e64 v4, s3, v6, v4, s3
	flat_load_b32 v3, v[3:4]
	s_waitcnt vmcnt(0) lgkmcnt(0)
	v_mul_f32_e32 v8, s15, v3
.LBB81_11:
	s_or_b32 exec_lo, exec_lo, s27
	v_dual_mov_b32 v4, 0 :: v_dual_add_nc_u32 v3, 64, v2
	v_mov_b32_e32 v11, 0
	s_delay_alu instid0(VALU_DEP_2) | instskip(NEXT) | instid1(VALU_DEP_1)
	v_cmp_le_i32_e64 s3, s17, v3
	s_or_b32 s26, s3, s26
	s_delay_alu instid0(SALU_CYCLE_1) | instskip(NEXT) | instid1(SALU_CYCLE_1)
	s_or_b32 s2, s2, s26
	s_xor_b32 s2, s2, -1
	s_delay_alu instid0(SALU_CYCLE_1)
	s_and_saveexec_b32 s3, s2
	s_cbranch_execz .LBB81_13
; %bb.12:
	s_waitcnt lgkmcnt(0)
	v_mad_i64_i32 v[11:12], null, v3, s28, 0
	s_delay_alu instid0(VALU_DEP_1) | instskip(NEXT) | instid1(VALU_DEP_1)
	v_lshlrev_b64 v[11:12], 2, v[11:12]
	v_add_co_u32 v5, s2, v5, v11
	s_delay_alu instid0(VALU_DEP_1)
	v_add_co_ci_u32_e64 v6, s2, v6, v12, s2
	flat_load_b32 v5, v[5:6]
	s_waitcnt vmcnt(0) lgkmcnt(0)
	v_mul_f32_e32 v11, s15, v5
.LBB81_13:
	s_or_b32 exec_lo, exec_lo, s3
	v_add_nc_u32_e32 v5, 4, v58
	s_delay_alu instid0(VALU_DEP_1) | instskip(NEXT) | instid1(VALU_DEP_1)
	v_cmp_gt_i32_e64 s2, s18, v5
	s_and_b32 s2, vcc_lo, s2
	s_delay_alu instid0(SALU_CYCLE_1) | instskip(NEXT) | instid1(SALU_CYCLE_1)
	s_and_b32 s2, s24, s2
	s_and_saveexec_b32 s3, s2
	s_cbranch_execz .LBB81_15
; %bb.14:
	v_mad_u64_u32 v[12:13], null, s4, v5, 0
	s_delay_alu instid0(VALU_DEP_1) | instskip(NEXT) | instid1(VALU_DEP_1)
	v_mov_b32_e32 v4, v13
	v_mad_u64_u32 v[13:14], null, s5, v5, v[4:5]
	s_delay_alu instid0(VALU_DEP_1) | instskip(SKIP_1) | instid1(VALU_DEP_2)
	v_lshlrev_b64 v[4:5], 2, v[12:13]
	v_lshlrev_b64 v[12:13], 2, v[0:1]
	v_add_co_u32 v4, s2, s22, v4
	s_delay_alu instid0(VALU_DEP_1) | instskip(NEXT) | instid1(VALU_DEP_2)
	v_add_co_ci_u32_e64 v5, s2, s23, v5, s2
	v_add_co_u32 v4, s2, v4, v12
	s_delay_alu instid0(VALU_DEP_1)
	v_add_co_ci_u32_e64 v5, s2, v5, v13, s2
	flat_load_b32 v4, v[4:5]
	s_waitcnt vmcnt(0) lgkmcnt(0)
	v_mul_f32_e32 v4, s15, v4
.LBB81_15:
	s_or_b32 exec_lo, exec_lo, s3
	v_or_b32_e32 v14, 4, v59
	s_delay_alu instid0(VALU_DEP_1) | instskip(SKIP_1) | instid1(VALU_DEP_2)
	v_min_i32_e32 v5, s19, v14
	v_cmp_le_i32_e64 s2, s18, v14
	v_ashrrev_i32_e32 v6, 31, v5
	s_delay_alu instid0(VALU_DEP_1) | instskip(SKIP_1) | instid1(VALU_DEP_2)
	v_lshlrev_b64 v[12:13], 2, v[5:6]
	v_dual_mov_b32 v5, 0 :: v_dual_mov_b32 v6, 0
	v_add_co_u32 v12, s3, s20, v12
	s_delay_alu instid0(VALU_DEP_1) | instskip(SKIP_1) | instid1(SALU_CYCLE_1)
	v_add_co_ci_u32_e64 v13, s3, s21, v13, s3
	s_or_b32 s3, s2, s25
	s_xor_b32 s3, s3, -1
	s_delay_alu instid0(SALU_CYCLE_1)
	s_and_saveexec_b32 s27, s3
	s_cbranch_execz .LBB81_17
; %bb.16:
	s_waitcnt lgkmcnt(0)
	v_mad_i64_i32 v[14:15], null, v2, s28, 0
	s_delay_alu instid0(VALU_DEP_1) | instskip(NEXT) | instid1(VALU_DEP_1)
	v_lshlrev_b64 v[14:15], 2, v[14:15]
	v_add_co_u32 v14, s3, v12, v14
	s_delay_alu instid0(VALU_DEP_1)
	v_add_co_ci_u32_e64 v15, s3, v13, v15, s3
	flat_load_b32 v6, v[14:15]
	s_waitcnt vmcnt(0) lgkmcnt(0)
	v_mul_f32_e32 v6, s15, v6
.LBB81_17:
	s_or_b32 exec_lo, exec_lo, s27
	s_or_b32 s2, s2, s26
	s_delay_alu instid0(SALU_CYCLE_1) | instskip(NEXT) | instid1(SALU_CYCLE_1)
	s_xor_b32 s2, s2, -1
	s_and_saveexec_b32 s3, s2
	s_cbranch_execz .LBB81_19
; %bb.18:
	s_waitcnt lgkmcnt(0)
	v_mad_i64_i32 v[14:15], null, v3, s28, 0
	s_delay_alu instid0(VALU_DEP_1) | instskip(NEXT) | instid1(VALU_DEP_1)
	v_lshlrev_b64 v[14:15], 2, v[14:15]
	v_add_co_u32 v12, s2, v12, v14
	s_delay_alu instid0(VALU_DEP_1)
	v_add_co_ci_u32_e64 v13, s2, v13, v15, s2
	flat_load_b32 v5, v[12:13]
	s_waitcnt vmcnt(0) lgkmcnt(0)
	v_mul_f32_e32 v5, s15, v5
.LBB81_19:
	s_or_b32 exec_lo, exec_lo, s3
	v_lshlrev_b32_e32 v7, 4, v7
	v_lshlrev_b32_e32 v12, 2, v59
	;; [unrolled: 1-line block ×4, first 2 shown]
	s_mov_b32 s27, 0
	v_lshl_add_u32 v7, v58, 2, v7
	v_lshl_or_b32 v62, v10, 4, v12
	s_cmp_lt_i32 s18, 9
	ds_store_b32 v7, v9 offset:4096
	ds_store_2addr_stride64_b32 v62, v8, v11 offset1:4
	s_waitcnt lgkmcnt(0)
	s_barrier
	buffer_gl0_inv
	ds_load_b128 v[8:11], v61
	ds_load_b128 v[12:15], v60 offset:4096
	ds_load_b128 v[16:19], v60 offset:4224
	;; [unrolled: 1-line block ×11, first 2 shown]
	ds_store_b32 v7, v4 offset:5120
	ds_store_2addr_stride64_b32 v62, v6, v5 offset0:8 offset1:12
	s_waitcnt lgkmcnt(0)
	s_barrier
	buffer_gl0_inv
	v_dual_max_f32 v8, v8, v8 :: v_dual_max_f32 v13, v13, v13
	v_dual_max_f32 v12, v12, v12 :: v_dual_max_f32 v9, v9, v9
	;; [unrolled: 1-line block ×9, first 2 shown]
	v_max_f32_e32 v44, v44, v44
	v_dual_min_f32 v63, v12, v8 :: v_dual_min_f32 v64, v13, v9
	v_dual_min_f32 v65, v16, v8 :: v_dual_min_f32 v66, v17, v9
	v_dual_min_f32 v67, v20, v8 :: v_dual_min_f32 v68, v21, v9
	v_dual_min_f32 v69, v24, v8 :: v_dual_min_f32 v70, v25, v9
	v_dual_min_f32 v71, v28, v8 :: v_dual_min_f32 v72, v29, v9
	v_dual_min_f32 v73, v32, v8 :: v_dual_min_f32 v74, v33, v9
	v_dual_min_f32 v75, v36, v8 :: v_dual_min_f32 v76, v37, v9
	v_dual_min_f32 v8, v40, v8 :: v_dual_max_f32 v11, v11, v11
	v_dual_max_f32 v10, v10, v10 :: v_dual_max_f32 v45, v45, v45
	v_dual_min_f32 v9, v41, v9 :: v_dual_max_f32 v14, v14, v14
	v_max_f32_e32 v15, v15, v15
	s_delay_alu instid0(VALU_DEP_3)
	v_dual_min_f32 v77, v12, v44 :: v_dual_min_f32 v78, v13, v45
	v_dual_max_f32 v18, v18, v18 :: v_dual_max_f32 v19, v19, v19
	v_dual_min_f32 v79, v16, v44 :: v_dual_min_f32 v80, v17, v45
	v_dual_min_f32 v81, v20, v44 :: v_dual_min_f32 v82, v21, v45
	;; [unrolled: 1-line block ×4, first 2 shown]
	v_dual_min_f32 v87, v32, v44 :: v_dual_max_f32 v38, v38, v38
	v_dual_max_f32 v48, v48, v48 :: v_dual_max_f32 v39, v39, v39
	v_dual_min_f32 v88, v36, v44 :: v_dual_max_f32 v43, v43, v43
	v_dual_min_f32 v44, v40, v44 :: v_dual_max_f32 v49, v49, v49
	v_dual_max_f32 v51, v51, v51 :: v_dual_max_f32 v52, v52, v52
	v_dual_max_f32 v53, v53, v53 :: v_dual_max_f32 v54, v54, v54
	;; [unrolled: 1-line block ×5, first 2 shown]
	v_dual_min_f32 v89, v12, v48 :: v_dual_max_f32 v42, v42, v42
	v_dual_min_f32 v90, v16, v48 :: v_dual_max_f32 v47, v47, v47
	v_dual_max_f32 v46, v46, v46 :: v_dual_min_f32 v91, v20, v48
	v_dual_min_f32 v101, v24, v48 :: v_dual_max_f32 v50, v50, v50
	v_dual_max_f32 v55, v55, v55 :: v_dual_min_f32 v130, v36, v48
	v_min_f32_e32 v117, v28, v48
	v_dual_min_f32 v129, v32, v48 :: v_dual_min_f32 v92, v37, v45
	v_min_f32_e32 v48, v40, v48
	v_dual_min_f32 v12, v12, v52 :: v_dual_min_f32 v93, v13, v49
	v_dual_min_f32 v16, v16, v52 :: v_dual_min_f32 v95, v21, v49
	;; [unrolled: 1-line block ×4, first 2 shown]
	v_min_f32_e32 v28, v28, v52
	v_dual_min_f32 v32, v32, v52 :: v_dual_min_f32 v13, v13, v53
	v_min_f32_e32 v36, v36, v52
	v_dual_min_f32 v40, v40, v52 :: v_dual_min_f32 v21, v21, v53
	v_min_f32_e32 v52, v33, v45
	v_dual_min_f32 v94, v17, v49 :: v_dual_add_f32 v63, 0, v63
	v_dual_min_f32 v132, v29, v49 :: v_dual_min_f32 v97, v14, v10
	v_dual_min_f32 v134, v37, v49 :: v_dual_min_f32 v99, v18, v10
	v_dual_min_f32 v25, v25, v53 :: v_dual_add_f32 v64, 0, v64
	v_dual_min_f32 v29, v29, v53 :: v_dual_min_f32 v96, v15, v11
	v_dual_min_f32 v33, v33, v53 :: v_dual_add_f32 v66, 0, v66
	v_dual_min_f32 v37, v37, v53 :: v_dual_min_f32 v98, v19, v11
	s_delay_alu instid0(VALU_DEP_3)
	v_dual_add_f32 v65, 0, v65 :: v_dual_add_f32 v128, v64, v96
	v_dual_max_f32 v34, v34, v34 :: v_dual_max_f32 v35, v35, v35
	v_min_f32_e32 v45, v41, v45
	v_min_f32_e32 v49, v41, v49
	;; [unrolled: 1-line block ×3, first 2 shown]
	v_dual_min_f32 v41, v41, v53 :: v_dual_add_f32 v64, 0, v67
	v_dual_add_f32 v127, v63, v97 :: v_dual_add_f32 v126, v65, v99
	v_add_f32_e32 v125, v66, v98
	v_dual_add_f32 v53, 0, v68 :: v_dual_add_f32 v66, 0, v70
	v_dual_min_f32 v63, v23, v11 :: v_dual_add_f32 v70, 0, v72
	v_dual_min_f32 v65, v22, v10 :: v_dual_min_f32 v72, v31, v11
	v_dual_min_f32 v67, v27, v11 :: v_dual_add_f32 v68, 0, v69
	s_delay_alu instid0(VALU_DEP_2) | instskip(NEXT) | instid1(VALU_DEP_2)
	v_dual_min_f32 v69, v26, v10 :: v_dual_add_f32 v124, v64, v65
	v_dual_add_f32 v64, 0, v74 :: v_dual_add_f32 v121, v66, v67
	v_dual_add_f32 v66, 0, v73 :: v_dual_add_f32 v123, v53, v63
	s_delay_alu instid0(VALU_DEP_3) | instskip(SKIP_4) | instid1(VALU_DEP_3)
	v_dual_add_f32 v122, v68, v69 :: v_dual_add_f32 v53, 0, v71
	v_dual_add_f32 v68, 0, v76 :: v_dual_min_f32 v69, v39, v11
	v_dual_add_f32 v8, 0, v8 :: v_dual_min_f32 v65, v35, v11
	v_dual_add_f32 v119, v70, v72 :: v_dual_add_f32 v70, 0, v75
	v_min_f32_e32 v63, v30, v10
	v_dual_min_f32 v71, v38, v10 :: v_dual_add_f32 v118, v64, v65
	v_min_f32_e32 v67, v34, v10
	v_dual_add_f32 v9, 0, v9 :: v_dual_min_f32 v10, v42, v10
	v_min_f32_e32 v11, v43, v11
	v_add_f32_e32 v120, v53, v63
	s_delay_alu instid0(VALU_DEP_4) | instskip(NEXT) | instid1(VALU_DEP_4)
	v_dual_add_f32 v63, v66, v67 :: v_dual_add_f32 v64, v68, v69
	v_add_f32_e32 v116, v8, v10
	v_dual_add_f32 v53, 0, v78 :: v_dual_min_f32 v66, v15, v47
	v_add_f32_e32 v65, v70, v71
	v_dual_add_f32 v67, 0, v77 :: v_dual_add_f32 v8, 0, v79
	v_dual_min_f32 v68, v14, v46 :: v_dual_add_f32 v69, 0, v80
	v_add_f32_e32 v10, 0, v82
	v_min_f32_e32 v70, v19, v47
	v_add_f32_e32 v115, v9, v11
	v_min_f32_e32 v9, v18, v46
	v_dual_min_f32 v11, v23, v47 :: v_dual_add_f32 v114, v53, v66
	v_add_f32_e32 v113, v67, v68
	v_dual_add_f32 v111, v69, v70 :: v_dual_min_f32 v68, v27, v47
	s_delay_alu instid0(VALU_DEP_3)
	v_dual_add_f32 v53, 0, v81 :: v_dual_add_f32 v110, v10, v11
	v_dual_min_f32 v66, v22, v46 :: v_dual_add_f32 v69, 0, v83
	v_min_f32_e32 v70, v26, v46
	v_add_f32_e32 v10, 0, v85
	v_add_f32_e32 v112, v8, v9
	v_dual_add_f32 v8, 0, v86 :: v_dual_add_f32 v67, 0, v84
	s_delay_alu instid0(VALU_DEP_4) | instskip(SKIP_2) | instid1(VALU_DEP_4)
	v_add_f32_e32 v108, v69, v70
	v_dual_add_f32 v109, v53, v66 :: v_dual_add_f32 v52, 0, v52
	v_min_f32_e32 v9, v31, v47
	v_dual_add_f32 v107, v67, v68 :: v_dual_add_f32 v66, 0, v87
	v_dual_add_f32 v68, 0, v92 :: v_dual_min_f32 v69, v39, v47
	v_min_f32_e32 v53, v35, v47
	v_dual_min_f32 v67, v34, v46 :: v_dual_add_f32 v44, 0, v44
	s_delay_alu instid0(VALU_DEP_3) | instskip(NEXT) | instid1(VALU_DEP_3)
	v_dual_add_f32 v100, v68, v69 :: v_dual_min_f32 v11, v30, v46
	v_add_f32_e32 v104, v52, v53
	v_dual_add_f32 v105, v8, v9 :: v_dual_add_f32 v8, 0, v88
	v_min_f32_e32 v9, v38, v46
	s_delay_alu instid0(VALU_DEP_4) | instskip(SKIP_4) | instid1(VALU_DEP_2)
	v_add_f32_e32 v106, v10, v11
	v_dual_add_f32 v103, v66, v67 :: v_dual_add_f32 v10, 0, v45
	v_dual_min_f32 v11, v43, v47 :: v_dual_add_f32 v52, 0, v89
	v_dual_min_f32 v45, v42, v46 :: v_dual_add_f32 v46, 0, v93
	v_dual_add_f32 v102, v8, v9 :: v_dual_min_f32 v47, v15, v51
	v_dual_min_f32 v53, v14, v50 :: v_dual_add_f32 v98, v44, v45
	v_add_f32_e32 v44, 0, v95
	v_add_f32_e32 v99, v10, v11
	s_delay_alu instid0(VALU_DEP_4) | instskip(SKIP_2) | instid1(VALU_DEP_2)
	v_dual_add_f32 v97, v46, v47 :: v_dual_add_f32 v8, 0, v94
	v_dual_min_f32 v9, v19, v51 :: v_dual_add_f32 v10, 0, v90
	v_dual_min_f32 v11, v18, v50 :: v_dual_add_f32 v46, 0, v91
	;; [unrolled: 1-line block ×4, first 2 shown]
	v_add_f32_e32 v52, 0, v131
	s_delay_alu instid0(VALU_DEP_3) | instskip(SKIP_1) | instid1(VALU_DEP_4)
	v_dual_min_f32 v53, v27, v51 :: v_dual_add_f32 v92, v44, v45
	v_add_f32_e32 v95, v10, v11
	v_dual_add_f32 v93, v46, v47 :: v_dual_add_f32 v8, 0, v101
	v_dual_min_f32 v9, v26, v50 :: v_dual_add_f32 v10, 0, v132
	v_dual_min_f32 v11, v31, v51 :: v_dual_add_f32 v44, 0, v117
	;; [unrolled: 1-line block ×4, first 2 shown]
	v_dual_add_f32 v52, 0, v129 :: v_dual_min_f32 v53, v34, v50
	s_delay_alu instid0(VALU_DEP_3) | instskip(SKIP_1) | instid1(VALU_DEP_3)
	v_add_f32_e32 v88, v44, v45
	v_dual_add_f32 v91, v8, v9 :: v_dual_add_f32 v8, 0, v134
	v_dual_add_f32 v89, v10, v11 :: v_dual_add_f32 v86, v52, v53
	;; [unrolled: 1-line block ×3, first 2 shown]
	v_dual_min_f32 v9, v39, v51 :: v_dual_add_f32 v44, 0, v49
	v_dual_min_f32 v11, v38, v50 :: v_dual_add_f32 v46, 0, v48
	s_delay_alu instid0(VALU_DEP_2) | instskip(SKIP_2) | instid1(VALU_DEP_4)
	v_dual_min_f32 v45, v43, v51 :: v_dual_add_f32 v84, v8, v9
	v_add_f32_e32 v13, 0, v13
	v_dual_min_f32 v15, v15, v55 :: v_dual_add_f32 v8, 0, v12
	v_dual_add_f32 v85, v10, v11 :: v_dual_add_f32 v10, 0, v17
	v_dual_add_f32 v11, 0, v20 :: v_dual_min_f32 v14, v14, v54
	s_delay_alu instid0(VALU_DEP_3)
	v_dual_min_f32 v47, v42, v50 :: v_dual_add_f32 v80, v13, v15
	v_dual_add_f32 v9, 0, v16 :: v_dual_add_f32 v12, 0, v21
	v_dual_add_f32 v13, 0, v24 :: v_dual_min_f32 v18, v18, v54
	v_dual_add_f32 v15, 0, v25 :: v_dual_add_f32 v20, 0, v32
	v_add_f32_e32 v25, 0, v37
	v_min_f32_e32 v19, v19, v55
	v_add_f32_e32 v81, v8, v14
	v_dual_min_f32 v8, v22, v54 :: v_dual_add_f32 v83, v44, v45
	v_dual_add_f32 v16, 0, v28 :: v_dual_add_f32 v17, 0, v29
	v_dual_add_f32 v24, 0, v36 :: v_dual_add_f32 v29, 0, v41
	v_dual_add_f32 v78, v9, v18 :: v_dual_min_f32 v23, v23, v55
	v_min_f32_e32 v9, v27, v55
	v_dual_add_f32 v77, v11, v8 :: v_dual_min_f32 v8, v26, v54
	v_add_f32_e32 v79, v10, v19
	v_dual_min_f32 v10, v31, v55 :: v_dual_add_f32 v21, 0, v33
	v_dual_add_f32 v28, 0, v40 :: v_dual_min_f32 v11, v30, v54
	s_delay_alu instid0(VALU_DEP_2) | instskip(SKIP_4) | instid1(VALU_DEP_4)
	v_dual_add_f32 v82, v46, v47 :: v_dual_add_f32 v73, v17, v10
	v_min_f32_e32 v10, v38, v54
	v_add_f32_e32 v74, v15, v9
	v_min_f32_e32 v9, v35, v55
	v_dual_add_f32 v75, v13, v8 :: v_dual_min_f32 v8, v34, v54
	v_add_f32_e32 v68, v24, v10
	v_add_f32_e32 v76, v12, v23
	;; [unrolled: 1-line block ×3, first 2 shown]
	v_dual_min_f32 v11, v43, v55 :: v_dual_min_f32 v12, v42, v54
	v_dual_add_f32 v70, v21, v9 :: v_dual_min_f32 v9, v39, v55
	v_add_f32_e32 v71, v20, v8
	s_delay_alu instid0(VALU_DEP_3) | instskip(NEXT) | instid1(VALU_DEP_3)
	v_dual_add_f32 v67, v29, v11 :: v_dual_add_f32 v66, v28, v12
	v_add_f32_e32 v69, v25, v9
	s_cbranch_scc1 .LBB81_34
; %bb.20:
	v_add_nc_u32_e32 v8, 12, v58
	v_add_nc_u32_e32 v10, 8, v58
	v_or_b32_e32 v101, 0x1000, v7
	v_add_nc_u32_e32 v129, 0x1400, v7
	v_mad_i64_i32 v[4:5], null, v2, s28, 0
	v_mad_i64_i32 v[6:7], null, v8, s4, 0
	v_mad_i64_i32 v[8:9], null, v10, s4, 0
	v_mad_i64_i32 v[10:11], null, v3, s28, 0
	v_lshlrev_b64 v[0:1], 2, v[0:1]
	v_lshlrev_b64 v[52:53], 2, v[4:5]
	;; [unrolled: 1-line block ×3, first 2 shown]
	v_add_nc_u32_e32 v117, 0x1000, v60
	v_lshlrev_b64 v[50:51], 2, v[8:9]
	v_add_nc_u32_e32 v130, 0x800, v62
	v_add_co_u32 v131, s2, s22, v0
	v_lshlrev_b64 v[54:55], 2, v[10:11]
	v_add_co_ci_u32_e64 v132, s2, s23, v1, s2
	v_lshl_add_u32 v133, v56, 4, 0x1400
	v_lshl_add_u32 v134, v57, 4, 0x800
	s_add_i32 s22, s18, -8
	s_lshl_b64 s[4:5], s[4:5], 5
	s_branch .LBB81_22
.LBB81_21:                              ;   in Loop: Header=BB81_22 Depth=1
	s_or_b32 exec_lo, exec_lo, s3
	v_dual_add_f32 v40, v128, v40 :: v_dual_add_f32 v33, v122, v33
	v_dual_add_f32 v28, v125, v28 :: v_dual_add_f32 v29, v124, v29
	v_dual_add_f32 v16, v120, v16 :: v_dual_add_f32 v21, v63, v21
	v_dual_add_f32 v20, v119, v20 :: v_dual_add_f32 v25, v65, v25
	v_dual_add_f32 v8, v64, v8 :: v_dual_add_f32 v13, v113, v13
	v_dual_add_f32 v24, v118, v24 :: v_dual_add_f32 v9, v116, v9
	v_dual_add_f32 v12, v115, v12 :: v_dual_add_f32 v17, v114, v17
	v_dual_add_f32 v44, v112, v44 :: v_dual_add_f32 v45, v111, v45
	v_dual_add_f32 v63, v109, v140 :: v_dual_add_f32 v64, v110, v141
	v_dual_add_f32 v103, v103, v146 :: v_dual_add_f32 v4, v100, v4
	v_dual_add_f32 v1, v82, v1 :: v_dual_add_f32 v82, v83, v163
	v_dual_add_f32 v43, v66, v43 :: v_dual_add_f32 v46, v67, v46
	v_dual_add_f32 v66, v40, v47 :: v_dual_add_f32 v113, v21, v22
	v_dual_add_f32 v83, v28, v34 :: v_dual_add_f32 v118, v9, v181
	v_dual_add_f32 v100, v29, v30 :: v_dual_add_f32 v63, v63, v184
	v_dual_add_f32 v109, v33, v31 :: v_dual_add_f32 v112, v24, v180
	v_add_f32_e32 v110, v20, v179
	v_dual_add_f32 v114, v8, v189 :: v_dual_add_f32 v115, v25, v23
	ds_load_b128 v[20:23], v61
	ds_load_b128 v[28:31], v117
	v_dual_add_f32 v5, v98, v5 :: v_dual_add_f32 v96, v96, v150
	v_dual_add_f32 v86, v86, v160 :: v_dual_add_f32 v87, v87, v161
	;; [unrolled: 1-line block ×15, first 2 shown]
	s_delay_alu instid0(VALU_DEP_3)
	v_dual_add_f32 v111, v16, v18 :: v_dual_add_f32 v102, v102, v188
	v_dual_add_f32 v116, v12, v190 :: v_dual_add_f32 v119, v17, v191
	;; [unrolled: 1-line block ×11, first 2 shown]
	ds_load_b128 v[8:11], v117 offset:128
	v_dual_add_f32 v72, v72, v2 :: v_dual_add_f32 v69, v69, v15
	s_waitcnt lgkmcnt(2)
	v_dual_add_f32 v70, v70, v14 :: v_dual_max_f32 v21, v21, v21
	v_dual_add_f32 v68, v68, v6 :: v_dual_add_f32 v127, v46, v19
	s_waitcnt lgkmcnt(1)
	v_dual_add_f32 v128, v43, v7 :: v_dual_max_f32 v29, v29, v29
	ds_load_b128 v[0:3], v117 offset:256
	ds_load_b128 v[4:7], v117 offset:384
	;; [unrolled: 1-line block ×5, first 2 shown]
	v_dual_add_f32 v65, v108, v142 :: v_dual_add_f32 v106, v106, v144
	v_dual_add_f32 v67, v36, v38 :: v_dual_add_f32 v108, v37, v39
	;; [unrolled: 1-line block ×3, first 2 shown]
	ds_load_b128 v[32:35], v117 offset:768
	ds_load_b128 v[36:39], v117 offset:896
	v_dual_max_f32 v20, v20, v20 :: v_dual_min_f32 v139, v29, v21
	s_waitcnt lgkmcnt(7)
	v_dual_max_f32 v28, v28, v28 :: v_dual_max_f32 v9, v9, v9
	v_dual_add_f32 v121, v45, v192 :: v_dual_add_f32 v122, v44, v183
	s_delay_alu instid0(VALU_DEP_2)
	v_dual_add_f32 v107, v107, v194 :: v_dual_min_f32 v138, v28, v20
	s_waitcnt lgkmcnt(6)
	v_dual_max_f32 v1, v1, v1 :: v_dual_max_f32 v0, v0, v0
	s_waitcnt lgkmcnt(5)
	v_dual_max_f32 v5, v5, v5 :: v_dual_add_f32 v66, v66, v139
	v_max_f32_e32 v4, v4, v4
	s_waitcnt lgkmcnt(4)
	v_dual_max_f32 v12, v12, v12 :: v_dual_max_f32 v13, v13, v13
	v_min_f32_e32 v139, v0, v20
	v_dual_max_f32 v8, v8, v8 :: v_dual_add_f32 v67, v67, v138
	s_waitcnt lgkmcnt(1)
	v_max_f32_e32 v32, v32, v32
	v_min_f32_e32 v138, v9, v21
	v_dual_add_f32 v100, v100, v139 :: v_dual_min_f32 v139, v5, v21
	v_max_f32_e32 v17, v17, v17
	v_max_f32_e32 v33, v33, v33
	;; [unrolled: 1-line block ×3, first 2 shown]
	ds_load_b128 v[40:43], v61 offset:1024
	ds_load_b128 v[44:47], v61 offset:1536
	v_dual_add_f32 v108, v108, v139 :: v_dual_min_f32 v139, v13, v21
	v_dual_add_f32 v105, v105, v145 :: v_dual_add_f32 v104, v104, v147
	s_waitcnt lgkmcnt(2)
	v_dual_max_f32 v36, v36, v36 :: v_dual_max_f32 v37, v37, v37
	s_delay_alu instid0(VALU_DEP_3) | instskip(SKIP_3) | instid1(VALU_DEP_3)
	v_dual_add_f32 v110, v110, v139 :: v_dual_min_f32 v139, v32, v20
	v_dual_min_f32 v140, v8, v20 :: v_dual_add_f32 v83, v83, v138
	v_min_f32_e32 v138, v1, v21
	v_dual_add_f32 v64, v64, v193 :: v_dual_add_f32 v105, v105, v195
	v_dual_add_f32 v115, v115, v139 :: v_dual_add_f32 v84, v84, v140
	s_delay_alu instid0(VALU_DEP_3) | instskip(SKIP_3) | instid1(VALU_DEP_4)
	v_dual_add_f32 v99, v99, v138 :: v_dual_min_f32 v140, v4, v20
	v_min_f32_e32 v138, v12, v20
	v_dual_max_f32 v16, v16, v16 :: v_dual_min_f32 v139, v29, v25
	v_max_f32_e32 v24, v24, v24
	v_add_f32_e32 v109, v109, v140
	s_delay_alu instid0(VALU_DEP_3) | instskip(NEXT) | instid1(VALU_DEP_4)
	v_dual_add_f32 v111, v111, v138 :: v_dual_min_f32 v138, v16, v20
	v_dual_min_f32 v140, v17, v21 :: v_dual_add_f32 v139, v119, v139
	v_min_f32_e32 v119, v1, v25
	v_dual_add_f32 v91, v91, v156 :: v_dual_add_f32 v90, v90, v157
	s_delay_alu instid0(VALU_DEP_3) | instskip(NEXT) | instid1(VALU_DEP_3)
	v_dual_add_f32 v113, v113, v138 :: v_dual_add_f32 v112, v112, v140
	v_dual_min_f32 v138, v33, v21 :: v_dual_add_f32 v143, v64, v119
	v_min_f32_e32 v21, v37, v21
	v_dual_add_f32 v65, v65, v185 :: v_dual_add_f32 v106, v106, v186
	s_delay_alu instid0(VALU_DEP_3)
	v_add_f32_e32 v114, v114, v138
	s_waitcnt lgkmcnt(1)
	v_dual_min_f32 v138, v28, v24 :: v_dual_max_f32 v41, v41, v41
	v_add_f32_e32 v21, v116, v21
	v_min_f32_e32 v116, v9, v25
	v_dual_add_f32 v94, v94, v208 :: v_dual_add_f32 v91, v91, v201
	s_delay_alu instid0(VALU_DEP_4) | instskip(SKIP_1) | instid1(VALU_DEP_4)
	v_add_f32_e32 v138, v120, v138
	v_min_f32_e32 v120, v4, v24
	v_add_f32_e32 v141, v121, v116
	v_min_f32_e32 v116, v5, v25
	v_min_f32_e32 v64, v13, v25
	v_max_f32_e32 v40, v40, v40
	v_add_f32_e32 v144, v65, v120
	v_min_f32_e32 v65, v16, v24
	v_min_f32_e32 v20, v36, v20
	v_add_f32_e32 v107, v107, v116
	v_add_f32_e32 v105, v105, v64
	v_min_f32_e32 v64, v33, v25
	v_min_f32_e32 v116, v17, v25
	v_dual_add_f32 v103, v103, v65 :: v_dual_add_f32 v20, v118, v20
	v_dual_min_f32 v25, v37, v25 :: v_dual_min_f32 v118, v8, v24
	v_dual_add_f32 v93, v93, v154 :: v_dual_add_f32 v92, v92, v155
	s_delay_alu instid0(VALU_DEP_2) | instskip(NEXT) | instid1(VALU_DEP_3)
	v_dual_add_f32 v96, v96, v198 :: v_dual_add_f32 v25, v98, v25
	v_add_f32_e32 v140, v122, v118
	v_min_f32_e32 v118, v0, v24
	v_dual_add_f32 v104, v104, v196 :: v_dual_add_f32 v97, v97, v207
	v_dual_add_f32 v93, v93, v200 :: v_dual_add_f32 v88, v88, v158
	s_delay_alu instid0(VALU_DEP_3) | instskip(SKIP_4) | instid1(VALU_DEP_3)
	v_dual_add_f32 v89, v89, v159 :: v_dual_add_f32 v142, v63, v118
	v_dual_min_f32 v63, v12, v24 :: v_dual_add_f32 v90, v90, v210
	v_add_f32_e32 v87, v87, v212
	v_add_f32_e32 v145, v123, v64
	s_waitcnt lgkmcnt(0)
	v_dual_max_f32 v45, v45, v45 :: v_dual_add_f32 v106, v106, v63
	v_min_f32_e32 v63, v32, v24
	v_dual_max_f32 v23, v23, v23 :: v_dual_add_f32 v92, v92, v209
	v_dual_add_f32 v89, v89, v211 :: v_dual_min_f32 v24, v36, v24
	s_delay_alu instid0(VALU_DEP_3) | instskip(SKIP_3) | instid1(VALU_DEP_4)
	v_dual_add_f32 v102, v102, v63 :: v_dual_min_f32 v63, v28, v40
	v_max_f32_e32 v44, v44, v44
	v_dual_add_f32 v88, v88, v202 :: v_dual_add_f32 v85, v85, v204
	v_add_f32_e32 v104, v104, v116
	v_dual_add_f32 v96, v96, v63 :: v_dual_min_f32 v63, v9, v41
	v_dual_add_f32 v82, v82, v217 :: v_dual_add_f32 v81, v81, v214
	v_max_f32_e32 v11, v11, v11
	s_delay_alu instid0(VALU_DEP_3) | instskip(SKIP_3) | instid1(VALU_DEP_3)
	v_dual_min_f32 v9, v9, v45 :: v_dual_add_f32 v94, v94, v63
	v_dual_min_f32 v63, v5, v41 :: v_dual_min_f32 v98, v4, v40
	v_dual_min_f32 v65, v8, v40 :: v_dual_max_f32 v22, v22, v22
	v_max_f32_e32 v3, v3, v3
	v_dual_add_f32 v90, v90, v63 :: v_dual_add_f32 v91, v91, v98
	v_min_f32_e32 v98, v17, v41
	v_min_f32_e32 v64, v29, v41
	v_dual_min_f32 v63, v13, v41 :: v_dual_add_f32 v24, v124, v24
	v_add_f32_e32 v95, v95, v65
	s_delay_alu instid0(VALU_DEP_4) | instskip(NEXT) | instid1(VALU_DEP_4)
	v_add_f32_e32 v87, v87, v98
	v_add_f32_e32 v97, v97, v64
	s_delay_alu instid0(VALU_DEP_4)
	v_dual_add_f32 v89, v89, v63 :: v_dual_min_f32 v64, v0, v40
	v_min_f32_e32 v63, v33, v41
	v_min_f32_e32 v65, v1, v41
	v_dual_min_f32 v1, v1, v45 :: v_dual_min_f32 v8, v8, v44
	v_min_f32_e32 v13, v13, v45
	v_add_f32_e32 v93, v93, v64
	v_dual_min_f32 v64, v12, v40 :: v_dual_min_f32 v41, v37, v41
	v_dual_min_f32 v0, v0, v44 :: v_dual_min_f32 v33, v33, v45
	s_delay_alu instid0(VALU_DEP_4) | instskip(SKIP_1) | instid1(VALU_DEP_4)
	v_dual_min_f32 v4, v4, v44 :: v_dual_add_f32 v13, v73, v13
	v_min_f32_e32 v12, v12, v44
	v_dual_add_f32 v88, v88, v64 :: v_dual_add_f32 v41, v82, v41
	v_min_f32_e32 v64, v32, v40
	s_delay_alu instid0(VALU_DEP_4) | instskip(SKIP_2) | instid1(VALU_DEP_4)
	v_dual_add_f32 v4, v75, v4 :: v_dual_min_f32 v37, v37, v45
	v_dual_min_f32 v32, v32, v44 :: v_dual_add_f32 v33, v69, v33
	v_add_f32_e32 v12, v72, v12
	v_dual_add_f32 v92, v92, v65 :: v_dual_add_f32 v85, v85, v64
	v_min_f32_e32 v65, v16, v40
	v_dual_min_f32 v40, v36, v40 :: v_dual_add_f32 v9, v79, v9
	v_min_f32_e32 v29, v29, v45
	v_dual_add_f32 v146, v125, v63 :: v_dual_add_f32 v37, v127, v37
	v_dual_add_f32 v32, v68, v32 :: v_dual_min_f32 v63, v11, v23
	v_max_f32_e32 v30, v30, v30
	v_dual_add_f32 v40, v126, v40 :: v_dual_min_f32 v5, v5, v45
	v_dual_add_f32 v8, v78, v8 :: v_dual_min_f32 v17, v17, v45
	s_delay_alu instid0(VALU_DEP_4) | instskip(NEXT) | instid1(VALU_DEP_4)
	v_dual_add_f32 v125, v83, v63 :: v_dual_min_f32 v16, v16, v44
	v_min_f32_e32 v45, v30, v22
	v_dual_add_f32 v86, v86, v65 :: v_dual_max_f32 v31, v31, v31
	v_min_f32_e32 v36, v36, v44
	s_delay_alu instid0(VALU_DEP_3) | instskip(SKIP_3) | instid1(VALU_DEP_3)
	v_dual_max_f32 v10, v10, v10 :: v_dual_add_f32 v127, v67, v45
	v_dual_min_f32 v45, v3, v23 :: v_dual_max_f32 v6, v6, v6
	v_dual_min_f32 v28, v28, v44 :: v_dual_add_f32 v5, v74, v5
	v_add_f32_e32 v16, v71, v16
	v_dual_max_f32 v2, v2, v2 :: v_dual_add_f32 v123, v99, v45
	s_delay_alu instid0(VALU_DEP_4) | instskip(SKIP_3) | instid1(VALU_DEP_3)
	v_min_f32_e32 v45, v6, v22
	v_max_f32_e32 v14, v14, v14
	v_min_f32_e32 v44, v31, v23
	v_dual_add_f32 v36, v128, v36 :: v_dual_max_f32 v7, v7, v7
	v_dual_add_f32 v122, v109, v45 :: v_dual_min_f32 v45, v14, v22
	s_delay_alu instid0(VALU_DEP_3) | instskip(SKIP_3) | instid1(VALU_DEP_3)
	v_add_f32_e32 v128, v66, v44
	v_dual_min_f32 v44, v10, v22 :: v_dual_max_f32 v15, v15, v15
	v_max_f32_e32 v35, v35, v35
	v_min_f32_e32 v63, v7, v23
	v_dual_max_f32 v19, v19, v19 :: v_dual_add_f32 v126, v84, v44
	v_min_f32_e32 v44, v2, v22
	v_max_f32_e32 v18, v18, v18
	v_add_f32_e32 v120, v111, v45
	v_dual_min_f32 v45, v35, v23 :: v_dual_max_f32 v26, v26, v26
	s_delay_alu instid0(VALU_DEP_4)
	v_add_f32_e32 v124, v100, v44
	v_min_f32_e32 v44, v15, v23
	v_add_f32_e32 v121, v108, v63
	v_min_f32_e32 v63, v18, v22
	v_dual_max_f32 v34, v34, v34 :: v_dual_max_f32 v39, v39, v39
	v_add_f32_e32 v64, v114, v45
	v_min_f32_e32 v45, v30, v26
	v_dual_add_f32 v119, v110, v44 :: v_dual_min_f32 v44, v19, v23
	v_add_f32_e32 v63, v113, v63
	v_max_f32_e32 v27, v27, v27
	s_delay_alu instid0(VALU_DEP_4)
	v_add_f32_e32 v113, v138, v45
	v_max_f32_e32 v38, v38, v38
	v_add_f32_e32 v118, v112, v44
	v_dual_min_f32 v44, v34, v22 :: v_dual_min_f32 v23, v39, v23
	v_dual_add_f32 v29, v80, v29 :: v_dual_add_f32 v28, v81, v28
	v_add_f32_e32 v1, v76, v1
	s_delay_alu instid0(VALU_DEP_3) | instskip(NEXT) | instid1(VALU_DEP_4)
	v_add_f32_e32 v65, v115, v44
	v_add_f32_e32 v115, v21, v23
	v_dual_min_f32 v21, v11, v27 :: v_dual_min_f32 v22, v38, v22
	v_dual_min_f32 v23, v7, v27 :: v_dual_add_f32 v0, v77, v0
	v_add_f32_e32 v17, v70, v17
	s_delay_alu instid0(VALU_DEP_3) | instskip(NEXT) | instid1(VALU_DEP_4)
	v_add_f32_e32 v111, v141, v21
	v_dual_min_f32 v21, v3, v27 :: v_dual_add_f32 v116, v20, v22
	s_delay_alu instid0(VALU_DEP_4) | instskip(SKIP_1) | instid1(VALU_DEP_3)
	v_dual_min_f32 v20, v10, v26 :: v_dual_add_f32 v107, v107, v23
	v_min_f32_e32 v22, v2, v26
	v_add_f32_e32 v110, v143, v21
	v_min_f32_e32 v21, v15, v27
	v_min_f32_e32 v44, v31, v27
	v_add_f32_e32 v112, v140, v20
	v_min_f32_e32 v20, v6, v26
	v_add_f32_e32 v109, v142, v22
	s_delay_alu instid0(VALU_DEP_4) | instskip(SKIP_1) | instid1(VALU_DEP_4)
	v_dual_min_f32 v23, v18, v26 :: v_dual_add_f32 v114, v139, v44
	v_add_f32_e32 v105, v105, v21
	v_dual_min_f32 v21, v35, v27 :: v_dual_add_f32 v108, v144, v20
	s_delay_alu instid0(VALU_DEP_3) | instskip(NEXT) | instid1(VALU_DEP_2)
	v_dual_add_f32 v103, v103, v23 :: v_dual_min_f32 v20, v14, v26
	v_dual_min_f32 v23, v39, v27 :: v_dual_add_f32 v100, v145, v21
	v_max_f32_e32 v21, v43, v43
	v_add_co_u32 v131, s2, v131, s4
	s_delay_alu instid0(VALU_DEP_4) | instskip(NEXT) | instid1(VALU_DEP_4)
	v_add_f32_e32 v106, v106, v20
	v_dual_min_f32 v20, v34, v26 :: v_dual_add_f32 v99, v25, v23
	s_delay_alu instid0(VALU_DEP_4) | instskip(SKIP_2) | instid1(VALU_DEP_4)
	v_min_f32_e32 v23, v11, v21
	v_min_f32_e32 v25, v7, v21
	v_add_co_ci_u32_e64 v132, s2, s5, v132, s2
	v_add_f32_e32 v102, v102, v20
	v_min_f32_e32 v20, v31, v21
	v_min_f32_e32 v22, v19, v27
	v_add_f32_e32 v94, v94, v23
	v_add_f32_e32 v90, v90, v25
	s_add_i32 s27, s27, 8
	s_delay_alu instid0(VALU_DEP_3)
	v_dual_add_f32 v97, v97, v20 :: v_dual_add_f32 v104, v104, v22
	v_max_f32_e32 v22, v42, v42
	s_cmp_ge_i32 s27, s22
	ds_store_b32 v129, v135
	ds_store_2addr_stride64_b32 v130, v137, v136 offset1:4
	s_waitcnt lgkmcnt(0)
	s_barrier
	v_min_f32_e32 v20, v10, v22
	v_min_f32_e32 v26, v38, v26
	;; [unrolled: 1-line block ×5, first 2 shown]
	s_delay_alu instid0(VALU_DEP_4) | instskip(NEXT) | instid1(VALU_DEP_4)
	v_dual_add_f32 v95, v95, v20 :: v_dual_add_f32 v98, v24, v26
	v_add_f32_e32 v93, v93, v23
	v_min_f32_e32 v23, v15, v21
	v_min_f32_e32 v24, v3, v21
	buffer_gl0_inv
	v_add_f32_e32 v89, v89, v23
	v_min_f32_e32 v23, v35, v21
	s_delay_alu instid0(VALU_DEP_1) | instskip(SKIP_2) | instid1(VALU_DEP_1)
	v_add_f32_e32 v84, v146, v23
	v_dual_max_f32 v23, v46, v46 :: v_dual_add_f32 v92, v92, v24
	v_min_f32_e32 v24, v14, v22
	v_add_f32_e32 v88, v88, v24
	v_max_f32_e32 v24, v47, v47
	v_min_f32_e32 v20, v6, v22
	v_add_f32_e32 v86, v86, v25
	s_delay_alu instid0(VALU_DEP_3) | instskip(NEXT) | instid1(VALU_DEP_3)
	v_dual_min_f32 v2, v2, v23 :: v_dual_min_f32 v25, v31, v24
	v_dual_add_f32 v96, v96, v27 :: v_dual_add_f32 v91, v91, v20
	v_min_f32_e32 v11, v11, v24
	v_min_f32_e32 v20, v19, v21
	;; [unrolled: 1-line block ×3, first 2 shown]
	v_dual_add_f32 v77, v0, v2 :: v_dual_min_f32 v0, v6, v23
	s_delay_alu instid0(VALU_DEP_4) | instskip(NEXT) | instid1(VALU_DEP_4)
	v_add_f32_e32 v79, v9, v11
	v_dual_add_f32 v87, v87, v20 :: v_dual_min_f32 v20, v34, v22
	s_delay_alu instid0(VALU_DEP_3) | instskip(SKIP_2) | instid1(VALU_DEP_4)
	v_dual_add_f32 v80, v29, v25 :: v_dual_add_f32 v75, v4, v0
	v_min_f32_e32 v0, v18, v23
	v_add_f32_e32 v76, v1, v3
	v_dual_add_f32 v85, v85, v20 :: v_dual_min_f32 v20, v30, v23
	v_min_f32_e32 v3, v14, v23
	v_dual_min_f32 v21, v39, v21 :: v_dual_min_f32 v4, v38, v23
	v_add_f32_e32 v71, v16, v0
	s_delay_alu instid0(VALU_DEP_4) | instskip(SKIP_4) | instid1(VALU_DEP_4)
	v_dual_add_f32 v81, v28, v20 :: v_dual_min_f32 v22, v38, v22
	v_min_f32_e32 v1, v7, v24
	v_min_f32_e32 v2, v15, v24
	;; [unrolled: 1-line block ×3, first 2 shown]
	v_dual_add_f32 v72, v12, v3 :: v_dual_min_f32 v3, v39, v24
	v_add_f32_e32 v74, v5, v1
	s_delay_alu instid0(VALU_DEP_4) | instskip(SKIP_3) | instid1(VALU_DEP_3)
	v_add_f32_e32 v73, v13, v2
	v_dual_min_f32 v1, v19, v24 :: v_dual_add_f32 v82, v40, v22
	v_add_f32_e32 v78, v8, v10
	v_dual_min_f32 v2, v34, v23 :: v_dual_add_f32 v83, v41, v21
	v_dual_add_f32 v70, v17, v1 :: v_dual_min_f32 v1, v35, v24
	s_delay_alu instid0(VALU_DEP_2) | instskip(NEXT) | instid1(VALU_DEP_2)
	v_dual_add_f32 v67, v37, v3 :: v_dual_add_f32 v68, v32, v2
	v_dual_add_f32 v66, v36, v4 :: v_dual_add_f32 v69, v33, v1
	s_cbranch_scc1 .LBB81_34
.LBB81_22:                              ; =>This Inner Loop Header: Depth=1
	v_dual_mov_b32 v138, 0 :: v_dual_add_nc_u32 v137, s27, v58
	s_delay_alu instid0(VALU_DEP_1) | instskip(NEXT) | instid1(VALU_DEP_1)
	v_dual_mov_b32 v139, 0 :: v_dual_add_nc_u32 v0, 8, v137
	v_cmp_gt_i32_e64 s2, s18, v0
	s_delay_alu instid0(VALU_DEP_1) | instskip(NEXT) | instid1(SALU_CYCLE_1)
	s_and_b32 s2, vcc_lo, s2
	s_and_b32 s2, s24, s2
	s_delay_alu instid0(SALU_CYCLE_1)
	s_and_saveexec_b32 s3, s2
	s_cbranch_execz .LBB81_24
; %bb.23:                               ;   in Loop: Header=BB81_22 Depth=1
	v_add_co_u32 v0, s2, v131, v50
	s_delay_alu instid0(VALU_DEP_1)
	v_add_co_ci_u32_e64 v1, s2, v132, v51, s2
	flat_load_b32 v0, v[0:1]
	s_waitcnt vmcnt(0) lgkmcnt(0)
	v_mul_f32_e32 v139, s15, v0
.LBB81_24:                              ;   in Loop: Header=BB81_22 Depth=1
	s_or_b32 exec_lo, exec_lo, s3
	v_add_nc_u32_e32 v136, s27, v59
	s_delay_alu instid0(VALU_DEP_1) | instskip(NEXT) | instid1(VALU_DEP_1)
	v_add_nc_u32_e32 v2, 8, v136
	v_min_i32_e32 v0, s19, v2
	v_cmp_le_i32_e64 s2, s18, v2
	s_delay_alu instid0(VALU_DEP_2) | instskip(NEXT) | instid1(VALU_DEP_1)
	v_ashrrev_i32_e32 v1, 31, v0
	v_lshlrev_b64 v[0:1], 2, v[0:1]
	s_delay_alu instid0(VALU_DEP_1) | instskip(NEXT) | instid1(VALU_DEP_1)
	v_add_co_u32 v0, s3, s20, v0
	v_add_co_ci_u32_e64 v1, s3, s21, v1, s3
	s_or_b32 s3, s25, s2
	s_delay_alu instid0(SALU_CYCLE_1) | instskip(NEXT) | instid1(SALU_CYCLE_1)
	s_xor_b32 s3, s3, -1
	s_and_saveexec_b32 s23, s3
	s_cbranch_execz .LBB81_26
; %bb.25:                               ;   in Loop: Header=BB81_22 Depth=1
	v_add_co_u32 v2, s3, v0, v52
	s_delay_alu instid0(VALU_DEP_1)
	v_add_co_ci_u32_e64 v3, s3, v1, v53, s3
	flat_load_b32 v2, v[2:3]
	s_waitcnt vmcnt(0) lgkmcnt(0)
	v_mul_f32_e32 v138, s15, v2
.LBB81_26:                              ;   in Loop: Header=BB81_22 Depth=1
	s_or_b32 exec_lo, exec_lo, s23
	v_dual_mov_b32 v135, 0 :: v_dual_mov_b32 v140, 0
	s_or_b32 s2, s26, s2
	s_delay_alu instid0(SALU_CYCLE_1) | instskip(NEXT) | instid1(SALU_CYCLE_1)
	s_xor_b32 s2, s2, -1
	s_and_saveexec_b32 s3, s2
	s_cbranch_execz .LBB81_28
; %bb.27:                               ;   in Loop: Header=BB81_22 Depth=1
	v_add_co_u32 v0, s2, v0, v54
	s_delay_alu instid0(VALU_DEP_1)
	v_add_co_ci_u32_e64 v1, s2, v1, v55, s2
	flat_load_b32 v0, v[0:1]
	s_waitcnt vmcnt(0) lgkmcnt(0)
	v_mul_f32_e32 v140, s15, v0
.LBB81_28:                              ;   in Loop: Header=BB81_22 Depth=1
	s_or_b32 exec_lo, exec_lo, s3
	ds_load_b128 v[40:43], v133
	ds_load_b128 v[36:39], v133 offset:128
	ds_load_b128 v[32:35], v133 offset:256
	;; [unrolled: 1-line block ×7, first 2 shown]
	ds_load_b128 v[44:47], v134
	ds_load_b128 v[8:11], v134 offset:512
	ds_load_b128 v[4:7], v134 offset:1024
	ds_load_b128 v[0:3], v134 offset:1536
	v_add_nc_u32_e32 v137, 12, v137
	ds_store_b32 v101, v139
	ds_store_2addr_stride64_b32 v62, v138, v140 offset1:4
	s_waitcnt lgkmcnt(0)
	s_barrier
	buffer_gl0_inv
	v_cmp_gt_i32_e64 s2, s18, v137
	s_delay_alu instid0(VALU_DEP_1) | instskip(NEXT) | instid1(SALU_CYCLE_1)
	s_and_b32 s2, vcc_lo, s2
	s_and_b32 s2, s24, s2
	s_delay_alu instid0(SALU_CYCLE_1)
	s_and_saveexec_b32 s3, s2
	s_cbranch_execz .LBB81_30
; %bb.29:                               ;   in Loop: Header=BB81_22 Depth=1
	v_add_co_u32 v137, s2, v131, v48
	s_delay_alu instid0(VALU_DEP_1)
	v_add_co_ci_u32_e64 v138, s2, v132, v49, s2
	flat_load_b32 v135, v[137:138]
	s_waitcnt vmcnt(0) lgkmcnt(0)
	v_mul_f32_e32 v135, s15, v135
.LBB81_30:                              ;   in Loop: Header=BB81_22 Depth=1
	s_or_b32 exec_lo, exec_lo, s3
	v_add_nc_u32_e32 v140, 12, v136
	s_delay_alu instid0(VALU_DEP_1) | instskip(NEXT) | instid1(VALU_DEP_1)
	v_min_i32_e32 v136, s19, v140
	v_ashrrev_i32_e32 v137, 31, v136
	s_delay_alu instid0(VALU_DEP_1) | instskip(SKIP_3) | instid1(VALU_DEP_4)
	v_lshlrev_b64 v[138:139], 2, v[136:137]
	v_mov_b32_e32 v137, 0
	v_cmp_le_i32_e64 s2, s18, v140
	v_mov_b32_e32 v136, 0
	v_add_co_u32 v138, s3, s20, v138
	s_delay_alu instid0(VALU_DEP_1) | instskip(NEXT) | instid1(VALU_DEP_4)
	v_add_co_ci_u32_e64 v139, s3, s21, v139, s3
	s_or_b32 s3, s25, s2
	s_delay_alu instid0(SALU_CYCLE_1) | instskip(NEXT) | instid1(SALU_CYCLE_1)
	s_xor_b32 s3, s3, -1
	s_and_saveexec_b32 s23, s3
	s_cbranch_execz .LBB81_32
; %bb.31:                               ;   in Loop: Header=BB81_22 Depth=1
	v_add_co_u32 v140, s3, v138, v52
	s_delay_alu instid0(VALU_DEP_1)
	v_add_co_ci_u32_e64 v141, s3, v139, v53, s3
	flat_load_b32 v137, v[140:141]
	s_waitcnt vmcnt(0) lgkmcnt(0)
	v_mul_f32_e32 v137, s15, v137
.LBB81_32:                              ;   in Loop: Header=BB81_22 Depth=1
	s_or_b32 exec_lo, exec_lo, s23
	v_dual_max_f32 v174, v20, v20 :: v_dual_max_f32 v175, v21, v21
	v_dual_max_f32 v149, v8, v8 :: v_dual_max_f32 v150, v9, v9
	;; [unrolled: 1-line block ×6, first 2 shown]
	s_delay_alu instid0(VALU_DEP_3)
	v_dual_max_f32 v178, v12, v12 :: v_dual_min_f32 v17, v165, v150
	v_dual_min_f32 v146, v174, v149 :: v_dual_max_f32 v163, v4, v4
	v_dual_max_f32 v180, v5, v5 :: v_dual_max_f32 v181, v0, v0
	v_dual_max_f32 v183, v46, v46 :: v_dual_max_f32 v184, v47, v47
	v_dual_max_f32 v228, v18, v18 :: v_dual_max_f32 v19, v19, v19
	v_dual_min_f32 v16, v172, v44 :: v_dual_max_f32 v179, v13, v13
	v_dual_min_f32 v8, v177, v45 :: v_dual_min_f32 v9, v178, v44
	v_min_f32_e32 v5, v178, v149
	v_dual_max_f32 v182, v1, v1 :: v_dual_min_f32 v1, v178, v163
	v_dual_max_f32 v214, v42, v42 :: v_dual_max_f32 v215, v43, v43
	v_max_f32_e32 v219, v38, v38
	s_delay_alu instid0(VALU_DEP_3)
	v_dual_min_f32 v43, v178, v181 :: v_dual_min_f32 v46, v179, v182
	v_max_f32_e32 v178, v39, v39
	v_dual_max_f32 v222, v30, v30 :: v_dual_max_f32 v223, v31, v31
	v_dual_max_f32 v224, v26, v26 :: v_dual_max_f32 v227, v23, v23
	v_dual_min_f32 v23, v228, v183 :: v_dual_max_f32 v10, v10, v10
	v_dual_max_f32 v166, v36, v36 :: v_dual_max_f32 v167, v37, v37
	v_dual_min_f32 v36, v164, v44 :: v_dual_max_f32 v169, v33, v33
	v_dual_max_f32 v168, v32, v32 :: v_dual_max_f32 v171, v29, v29
	v_max_f32_e32 v170, v28, v28
	v_dual_max_f32 v220, v34, v34 :: v_dual_max_f32 v221, v35, v35
	v_dual_min_f32 v34, v178, v184 :: v_dual_max_f32 v225, v27, v27
	v_max_f32_e32 v226, v22, v22
	v_dual_min_f32 v18, v224, v183 :: v_dual_max_f32 v229, v14, v14
	v_dual_max_f32 v230, v15, v15 :: v_dual_min_f32 v185, v222, v10
	v_dual_max_f32 v11, v11, v11 :: v_dual_max_f32 v6, v6, v6
	v_max_f32_e32 v7, v7, v7
	v_dual_max_f32 v231, v2, v2 :: v_dual_max_f32 v232, v3, v3
	v_dual_min_f32 v40, v165, v45 :: v_dual_min_f32 v41, v166, v44
	v_dual_min_f32 v28, v167, v45 :: v_dual_min_f32 v29, v168, v44
	v_min_f32_e32 v37, v171, v45
	v_dual_min_f32 v32, v169, v45 :: v_dual_min_f32 v33, v170, v44
	v_dual_min_f32 v20, v173, v45 :: v_dual_min_f32 v21, v174, v44
	;; [unrolled: 1-line block ×16, first 2 shown]
	v_min_f32_e32 v162, v176, v163
	v_dual_min_f32 v0, v177, v180 :: v_dual_min_f32 v167, v167, v182
	v_dual_min_f32 v163, v179, v180 :: v_dual_min_f32 v164, v164, v181
	v_dual_min_f32 v165, v165, v182 :: v_dual_min_f32 v166, v166, v181
	v_dual_min_f32 v168, v168, v181 :: v_dual_min_f32 v169, v169, v182
	v_dual_min_f32 v170, v170, v181 :: v_dual_min_f32 v171, v171, v182
	v_dual_min_f32 v172, v172, v181 :: v_dual_min_f32 v173, v173, v182
	v_dual_min_f32 v174, v174, v181 :: v_dual_min_f32 v175, v175, v182
	v_dual_min_f32 v176, v176, v181 :: v_dual_min_f32 v177, v177, v182
	v_dual_min_f32 v38, v214, v183 :: v_dual_min_f32 v47, v215, v184
	v_dual_min_f32 v42, v219, v183 :: v_dual_min_f32 v35, v221, v184
	v_dual_min_f32 v30, v220, v183 :: v_dual_min_f32 v39, v223, v184
	v_dual_min_f32 v31, v222, v183 :: v_dual_min_f32 v180, v227, v184
	v_dual_min_f32 v179, v225, v184 :: v_dual_min_f32 v22, v226, v183
	v_min_f32_e32 v189, v19, v184
	v_dual_min_f32 v181, v229, v183 :: v_dual_min_f32 v182, v214, v10
	v_dual_min_f32 v190, v230, v184 :: v_dual_min_f32 v191, v215, v11
	v_min_f32_e32 v184, v220, v10
	v_dual_min_f32 v183, v219, v10 :: v_dual_min_f32 v192, v178, v11
	v_dual_min_f32 v193, v221, v11 :: v_dual_min_f32 v186, v224, v10
	;; [unrolled: 1-line block ×13, first 2 shown]
	v_min_f32_e32 v216, v19, v7
	v_dual_min_f32 v217, v230, v7 :: v_dual_min_f32 v218, v215, v232
	v_dual_min_f32 v214, v214, v231 :: v_dual_min_f32 v27, v223, v232
	;; [unrolled: 1-line block ×4, first 2 shown]
	v_min_f32_e32 v15, v19, v232
	v_dual_min_f32 v11, v222, v231 :: v_dual_min_f32 v178, v225, v232
	v_dual_min_f32 v2, v224, v231 :: v_dual_min_f32 v19, v230, v232
	v_dual_min_f32 v3, v226, v231 :: v_dual_min_f32 v14, v227, v232
	v_min_f32_e32 v6, v228, v231
	v_min_f32_e32 v7, v229, v231
	s_or_b32 s2, s26, s2
	s_delay_alu instid0(SALU_CYCLE_1) | instskip(NEXT) | instid1(SALU_CYCLE_1)
	s_xor_b32 s2, s2, -1
	s_and_saveexec_b32 s3, s2
	s_cbranch_execz .LBB81_21
; %bb.33:                               ;   in Loop: Header=BB81_22 Depth=1
	v_add_co_u32 v138, s2, v138, v54
	s_delay_alu instid0(VALU_DEP_1)
	v_add_co_ci_u32_e64 v139, s2, v139, v55, s2
	flat_load_b32 v136, v[138:139]
	s_waitcnt vmcnt(0) lgkmcnt(0)
	v_mul_f32_e32 v136, s15, v136
	s_branch .LBB81_21
.LBB81_34:
	s_clause 0x2
	s_load_b64 s[2:3], s[0:1], 0x78
	s_load_b32 s18, s[0:1], 0x58
	s_load_b32 s15, s[0:1], 0x70
	v_add_nc_u32_e32 v117, s14, v57
	ds_load_b128 v[32:35], v60 offset:5120
	ds_load_b128 v[28:31], v60 offset:5248
	;; [unrolled: 1-line block ×12, first 2 shown]
	v_add_nc_u32_e32 v48, s8, v56
	v_cndmask_b32_e64 v101, 0, 1, s9
	v_cmp_gt_i32_e64 s8, s17, v117
	s_waitcnt lgkmcnt(0)
	s_mul_i32 s1, s12, s3
	v_mad_i64_i32 v[49:50], null, v117, s18, 0
	v_mad_i64_i32 v[51:52], null, v117, s15, 0
	s_mul_hi_u32 s3, s12, s2
	s_mul_i32 s0, s12, s2
	s_add_i32 s1, s3, s1
	s_delay_alu instid0(SALU_CYCLE_1) | instskip(NEXT) | instid1(VALU_DEP_2)
	s_lshl_b64 s[0:1], s[0:1], 2
	v_lshlrev_b64 v[49:50], 2, v[49:50]
	s_delay_alu instid0(VALU_DEP_2) | instskip(SKIP_3) | instid1(VALU_DEP_3)
	v_lshlrev_b64 v[51:52], 2, v[51:52]
	s_add_u32 s12, s6, s0
	s_addc_u32 s14, s7, s1
	v_cmp_gt_i32_e64 s0, s16, v48
	v_add_co_u32 v131, vcc_lo, s10, v49
	v_add_co_ci_u32_e32 v132, vcc_lo, s11, v50, vcc_lo
	v_add_co_u32 v129, vcc_lo, s12, v51
	v_add_co_ci_u32_e32 v130, vcc_lo, s14, v52, vcc_lo
	v_ashrrev_i32_e32 v49, 31, v48
	s_and_b32 s2, s0, s8
	s_delay_alu instid0(SALU_CYCLE_1)
	s_and_saveexec_b32 s1, s2
	s_cbranch_execz .LBB81_39
; %bb.35:
	s_delay_alu instid0(VALU_DEP_1)
	v_lshlrev_b64 v[50:51], 2, v[48:49]
	s_and_not1_b32 vcc_lo, exec_lo, s9
	s_cbranch_vccnz .LBB81_37
; %bb.36:
	s_delay_alu instid0(VALU_DEP_1) | instskip(NEXT) | instid1(VALU_DEP_2)
	v_add_co_u32 v52, vcc_lo, v131, v50
	v_add_co_ci_u32_e32 v53, vcc_lo, v132, v51, vcc_lo
	flat_load_b32 v52, v[52:53]
	s_waitcnt vmcnt(0) lgkmcnt(0)
	v_mul_f32_e32 v52, s13, v52
	s_branch .LBB81_38
.LBB81_37:
	v_mov_b32_e32 v52, 0
.LBB81_38:
	v_dual_max_f32 v53, v45, v45 :: v_dual_max_f32 v56, v32, v32
	v_dual_max_f32 v54, v33, v33 :: v_dual_max_f32 v55, v44, v44
	v_dual_max_f32 v57, v46, v46 :: v_dual_max_f32 v58, v47, v47
	v_max_f32_e32 v59, v35, v35
	s_delay_alu instid0(VALU_DEP_3) | instskip(NEXT) | instid1(VALU_DEP_4)
	v_min_f32_e32 v53, v54, v53
	v_dual_max_f32 v54, v34, v34 :: v_dual_min_f32 v55, v56, v55
	v_add_co_u32 v50, vcc_lo, v129, v50
	v_add_co_ci_u32_e32 v51, vcc_lo, v130, v51, vcc_lo
	s_delay_alu instid0(VALU_DEP_3) | instskip(SKIP_2) | instid1(VALU_DEP_1)
	v_min_f32_e32 v54, v54, v57
	v_min_f32_e32 v56, v59, v58
	v_add_f32_e32 v55, v127, v55
	v_dual_add_f32 v53, v128, v53 :: v_dual_add_f32 v54, v55, v54
	s_delay_alu instid0(VALU_DEP_1) | instskip(NEXT) | instid1(VALU_DEP_1)
	v_add_f32_e32 v53, v53, v56
	v_add_f32_e32 v53, v54, v53
	s_delay_alu instid0(VALU_DEP_1)
	v_add_f32_e32 v52, v53, v52
	global_store_b32 v[50:51], v52, off
.LBB81_39:
	s_or_b32 exec_lo, exec_lo, s1
	v_add_nc_u32_e32 v50, 8, v48
	s_delay_alu instid0(VALU_DEP_1) | instskip(SKIP_1) | instid1(VALU_DEP_2)
	v_cmp_gt_i32_e64 s1, s16, v50
	v_ashrrev_i32_e32 v51, 31, v50
	s_and_b32 s3, s1, s8
	s_delay_alu instid0(SALU_CYCLE_1)
	s_and_saveexec_b32 s2, s3
	s_cbranch_execz .LBB81_44
; %bb.40:
	v_cmp_ne_u32_e32 vcc_lo, 1, v101
	v_lshlrev_b64 v[52:53], 2, v[50:51]
	s_cbranch_vccnz .LBB81_42
; %bb.41:
	s_delay_alu instid0(VALU_DEP_1) | instskip(NEXT) | instid1(VALU_DEP_2)
	v_add_co_u32 v54, vcc_lo, v131, v52
	v_add_co_ci_u32_e32 v55, vcc_lo, v132, v53, vcc_lo
	flat_load_b32 v54, v[54:55]
	s_waitcnt vmcnt(0) lgkmcnt(0)
	v_mul_f32_e32 v54, s13, v54
	s_branch .LBB81_43
.LBB81_42:
	v_mov_b32_e32 v54, 0
.LBB81_43:
	v_dual_max_f32 v55, v45, v45 :: v_dual_max_f32 v58, v28, v28
	v_dual_max_f32 v56, v29, v29 :: v_dual_max_f32 v57, v44, v44
	;; [unrolled: 1-line block ×3, first 2 shown]
	v_add_co_u32 v52, vcc_lo, v129, v52
	s_delay_alu instid0(VALU_DEP_3) | instskip(NEXT) | instid1(VALU_DEP_4)
	v_dual_min_f32 v55, v56, v55 :: v_dual_max_f32 v56, v30, v30
	v_min_f32_e32 v57, v58, v57
	v_add_co_ci_u32_e32 v53, vcc_lo, v130, v53, vcc_lo
	s_delay_alu instid0(VALU_DEP_3) | instskip(NEXT) | instid1(VALU_DEP_3)
	v_add_f32_e32 v55, v125, v55
	v_dual_min_f32 v56, v56, v59 :: v_dual_add_f32 v57, v126, v57
	s_delay_alu instid0(VALU_DEP_1) | instskip(NEXT) | instid1(VALU_DEP_1)
	v_dual_max_f32 v61, v31, v31 :: v_dual_add_f32 v56, v57, v56
	v_min_f32_e32 v58, v61, v60
	s_delay_alu instid0(VALU_DEP_1) | instskip(NEXT) | instid1(VALU_DEP_1)
	v_add_f32_e32 v55, v55, v58
	v_add_f32_e32 v55, v56, v55
	s_delay_alu instid0(VALU_DEP_1)
	v_add_f32_e32 v54, v55, v54
	global_store_b32 v[52:53], v54, off
.LBB81_44:
	s_or_b32 exec_lo, exec_lo, s2
	v_add_nc_u32_e32 v52, 16, v48
	s_delay_alu instid0(VALU_DEP_1) | instskip(SKIP_1) | instid1(VALU_DEP_2)
	v_cmp_gt_i32_e64 s2, s16, v52
	v_ashrrev_i32_e32 v53, 31, v52
	s_and_b32 s4, s2, s8
	s_delay_alu instid0(SALU_CYCLE_1)
	s_and_saveexec_b32 s3, s4
	s_cbranch_execz .LBB81_49
; %bb.45:
	v_cmp_ne_u32_e32 vcc_lo, 1, v101
	v_lshlrev_b64 v[54:55], 2, v[52:53]
	s_cbranch_vccnz .LBB81_47
; %bb.46:
	s_delay_alu instid0(VALU_DEP_1) | instskip(NEXT) | instid1(VALU_DEP_2)
	v_add_co_u32 v56, vcc_lo, v131, v54
	v_add_co_ci_u32_e32 v57, vcc_lo, v132, v55, vcc_lo
	flat_load_b32 v56, v[56:57]
	s_waitcnt vmcnt(0) lgkmcnt(0)
	v_mul_f32_e32 v56, s13, v56
	s_branch .LBB81_48
.LBB81_47:
	v_mov_b32_e32 v56, 0
.LBB81_48:
	v_dual_max_f32 v57, v45, v45 :: v_dual_max_f32 v60, v24, v24
	v_dual_max_f32 v58, v25, v25 :: v_dual_max_f32 v59, v44, v44
	;; [unrolled: 1-line block ×3, first 2 shown]
	v_max_f32_e32 v125, v27, v27
	s_delay_alu instid0(VALU_DEP_3) | instskip(NEXT) | instid1(VALU_DEP_4)
	v_min_f32_e32 v57, v58, v57
	v_dual_max_f32 v58, v26, v26 :: v_dual_min_f32 v59, v60, v59
	v_add_co_u32 v54, vcc_lo, v129, v54
	v_add_co_ci_u32_e32 v55, vcc_lo, v130, v55, vcc_lo
	s_delay_alu instid0(VALU_DEP_3) | instskip(SKIP_2) | instid1(VALU_DEP_1)
	v_min_f32_e32 v58, v58, v61
	v_dual_min_f32 v60, v125, v62 :: v_dual_add_f32 v57, v123, v57
	v_add_f32_e32 v59, v124, v59
	v_dual_add_f32 v57, v57, v60 :: v_dual_add_f32 v58, v59, v58
	s_delay_alu instid0(VALU_DEP_1) | instskip(NEXT) | instid1(VALU_DEP_1)
	v_add_f32_e32 v57, v58, v57
	v_add_f32_e32 v56, v57, v56
	global_store_b32 v[54:55], v56, off
.LBB81_49:
	s_or_b32 exec_lo, exec_lo, s3
	v_add_nc_u32_e32 v54, 24, v48
	s_delay_alu instid0(VALU_DEP_1) | instskip(SKIP_1) | instid1(VALU_DEP_2)
	v_cmp_gt_i32_e64 s3, s16, v54
	v_ashrrev_i32_e32 v55, 31, v54
	s_and_b32 s5, s3, s8
	s_delay_alu instid0(SALU_CYCLE_1)
	s_and_saveexec_b32 s4, s5
	s_cbranch_execz .LBB81_54
; %bb.50:
	v_cmp_ne_u32_e32 vcc_lo, 1, v101
	v_lshlrev_b64 v[56:57], 2, v[54:55]
	s_cbranch_vccnz .LBB81_52
; %bb.51:
	s_delay_alu instid0(VALU_DEP_1) | instskip(NEXT) | instid1(VALU_DEP_2)
	v_add_co_u32 v58, vcc_lo, v131, v56
	v_add_co_ci_u32_e32 v59, vcc_lo, v132, v57, vcc_lo
	flat_load_b32 v58, v[58:59]
	s_waitcnt vmcnt(0) lgkmcnt(0)
	v_mul_f32_e32 v58, s13, v58
	s_branch .LBB81_53
.LBB81_52:
	v_mov_b32_e32 v58, 0
.LBB81_53:
	v_dual_max_f32 v59, v45, v45 :: v_dual_max_f32 v62, v20, v20
	v_dual_max_f32 v60, v21, v21 :: v_dual_max_f32 v61, v44, v44
	;; [unrolled: 1-line block ×3, first 2 shown]
	v_add_co_u32 v56, vcc_lo, v129, v56
	s_delay_alu instid0(VALU_DEP_3) | instskip(NEXT) | instid1(VALU_DEP_4)
	v_dual_min_f32 v59, v60, v59 :: v_dual_max_f32 v60, v22, v22
	v_min_f32_e32 v61, v62, v61
	v_add_co_ci_u32_e32 v57, vcc_lo, v130, v57, vcc_lo
	s_delay_alu instid0(VALU_DEP_3) | instskip(NEXT) | instid1(VALU_DEP_3)
	v_add_f32_e32 v59, v121, v59
	v_dual_min_f32 v60, v60, v123 :: v_dual_add_f32 v61, v122, v61
	s_delay_alu instid0(VALU_DEP_1) | instskip(NEXT) | instid1(VALU_DEP_1)
	v_dual_max_f32 v125, v23, v23 :: v_dual_add_f32 v60, v61, v60
	v_min_f32_e32 v62, v125, v124
	s_delay_alu instid0(VALU_DEP_1) | instskip(NEXT) | instid1(VALU_DEP_1)
	v_add_f32_e32 v59, v59, v62
	v_add_f32_e32 v59, v60, v59
	s_delay_alu instid0(VALU_DEP_1)
	v_add_f32_e32 v58, v59, v58
	global_store_b32 v[56:57], v58, off
.LBB81_54:
	s_or_b32 exec_lo, exec_lo, s4
	v_add_nc_u32_e32 v56, 32, v48
	s_delay_alu instid0(VALU_DEP_1) | instskip(SKIP_1) | instid1(VALU_DEP_2)
	v_cmp_gt_i32_e64 s4, s16, v56
	v_ashrrev_i32_e32 v57, 31, v56
	s_and_b32 s6, s4, s8
	s_delay_alu instid0(SALU_CYCLE_1)
	s_and_saveexec_b32 s5, s6
	s_cbranch_execz .LBB81_59
; %bb.55:
	v_cmp_ne_u32_e32 vcc_lo, 1, v101
	v_lshlrev_b64 v[58:59], 2, v[56:57]
	s_cbranch_vccnz .LBB81_57
; %bb.56:
	s_delay_alu instid0(VALU_DEP_1) | instskip(NEXT) | instid1(VALU_DEP_2)
	v_add_co_u32 v60, vcc_lo, v131, v58
	v_add_co_ci_u32_e32 v61, vcc_lo, v132, v59, vcc_lo
	flat_load_b32 v60, v[60:61]
	s_waitcnt vmcnt(0) lgkmcnt(0)
	v_mul_f32_e32 v60, s13, v60
	s_branch .LBB81_58
.LBB81_57:
	v_mov_b32_e32 v60, 0
.LBB81_58:
	v_dual_max_f32 v61, v45, v45 :: v_dual_max_f32 v122, v16, v16
	v_dual_max_f32 v62, v17, v17 :: v_dual_max_f32 v121, v44, v44
	;; [unrolled: 1-line block ×3, first 2 shown]
	v_add_co_u32 v58, vcc_lo, v129, v58
	s_delay_alu instid0(VALU_DEP_3) | instskip(SKIP_1) | instid1(VALU_DEP_2)
	v_min_f32_e32 v121, v122, v121
	v_add_co_ci_u32_e32 v59, vcc_lo, v130, v59, vcc_lo
	v_dual_max_f32 v125, v19, v19 :: v_dual_add_f32 v120, v120, v121
	v_min_f32_e32 v61, v62, v61
	v_max_f32_e32 v62, v18, v18
	s_delay_alu instid0(VALU_DEP_1) | instskip(NEXT) | instid1(VALU_DEP_1)
	v_min_f32_e32 v62, v62, v123
	v_dual_add_f32 v62, v120, v62 :: v_dual_add_f32 v61, v119, v61
	v_min_f32_e32 v119, v125, v124
	s_delay_alu instid0(VALU_DEP_1) | instskip(NEXT) | instid1(VALU_DEP_1)
	v_add_f32_e32 v61, v61, v119
	v_add_f32_e32 v61, v62, v61
	s_delay_alu instid0(VALU_DEP_1)
	v_add_f32_e32 v60, v61, v60
	global_store_b32 v[58:59], v60, off
.LBB81_59:
	s_or_b32 exec_lo, exec_lo, s5
	v_add_nc_u32_e32 v58, 40, v48
	s_delay_alu instid0(VALU_DEP_1) | instskip(SKIP_1) | instid1(VALU_DEP_2)
	v_cmp_gt_i32_e64 s5, s16, v58
	v_ashrrev_i32_e32 v59, 31, v58
	s_and_b32 s7, s5, s8
	s_delay_alu instid0(SALU_CYCLE_1)
	s_and_saveexec_b32 s6, s7
	s_cbranch_execz .LBB81_64
; %bb.60:
	v_cmp_ne_u32_e32 vcc_lo, 1, v101
	v_lshlrev_b64 v[60:61], 2, v[58:59]
	s_cbranch_vccnz .LBB81_62
; %bb.61:
	s_delay_alu instid0(VALU_DEP_1) | instskip(NEXT) | instid1(VALU_DEP_2)
	v_add_co_u32 v119, vcc_lo, v131, v60
	v_add_co_ci_u32_e32 v120, vcc_lo, v132, v61, vcc_lo
	flat_load_b32 v62, v[119:120]
	s_waitcnt vmcnt(0) lgkmcnt(0)
	v_mul_f32_e32 v62, s13, v62
	s_branch .LBB81_63
.LBB81_62:
	v_mov_b32_e32 v62, 0
.LBB81_63:
	v_dual_max_f32 v119, v45, v45 :: v_dual_max_f32 v122, v12, v12
	v_dual_max_f32 v120, v13, v13 :: v_dual_max_f32 v121, v44, v44
	;; [unrolled: 1-line block ×3, first 2 shown]
	v_add_co_u32 v60, vcc_lo, v129, v60
	s_delay_alu instid0(VALU_DEP_3) | instskip(SKIP_1) | instid1(VALU_DEP_2)
	v_dual_min_f32 v119, v120, v119 :: v_dual_max_f32 v120, v14, v14
	v_add_co_ci_u32_e32 v61, vcc_lo, v130, v61, vcc_lo
	v_add_f32_e32 v118, v118, v119
	v_max_f32_e32 v125, v15, v15
	v_min_f32_e32 v121, v122, v121
	s_delay_alu instid0(VALU_DEP_2) | instskip(NEXT) | instid1(VALU_DEP_1)
	v_dual_min_f32 v119, v120, v123 :: v_dual_min_f32 v120, v125, v124
	v_dual_add_f32 v63, v63, v121 :: v_dual_add_f32 v118, v118, v120
	s_delay_alu instid0(VALU_DEP_1) | instskip(NEXT) | instid1(VALU_DEP_1)
	v_add_f32_e32 v63, v63, v119
	v_add_f32_e32 v63, v63, v118
	s_delay_alu instid0(VALU_DEP_1)
	v_add_f32_e32 v62, v63, v62
	global_store_b32 v[60:61], v62, off
.LBB81_64:
	s_or_b32 exec_lo, exec_lo, s6
	v_add_nc_u32_e32 v60, 48, v48
	s_delay_alu instid0(VALU_DEP_1) | instskip(SKIP_1) | instid1(VALU_DEP_2)
	v_cmp_gt_i32_e64 s6, s16, v60
	v_ashrrev_i32_e32 v61, 31, v60
	s_and_b32 s9, s6, s8
	s_delay_alu instid0(SALU_CYCLE_1)
	s_and_saveexec_b32 s7, s9
	s_cbranch_execz .LBB81_69
; %bb.65:
	v_cmp_ne_u32_e32 vcc_lo, 1, v101
	v_lshlrev_b64 v[62:63], 2, v[60:61]
	s_cbranch_vccnz .LBB81_67
; %bb.66:
	s_delay_alu instid0(VALU_DEP_1) | instskip(NEXT) | instid1(VALU_DEP_2)
	v_add_co_u32 v118, vcc_lo, v131, v62
	v_add_co_ci_u32_e32 v119, vcc_lo, v132, v63, vcc_lo
	flat_load_b32 v118, v[118:119]
	s_waitcnt vmcnt(0) lgkmcnt(0)
	v_mul_f32_e32 v118, s13, v118
	s_branch .LBB81_68
.LBB81_67:
	v_mov_b32_e32 v118, 0
.LBB81_68:
	v_dual_max_f32 v119, v45, v45 :: v_dual_max_f32 v122, v8, v8
	v_dual_max_f32 v120, v9, v9 :: v_dual_max_f32 v121, v44, v44
	;; [unrolled: 1-line block ×3, first 2 shown]
	v_add_co_u32 v62, vcc_lo, v129, v62
	s_delay_alu instid0(VALU_DEP_3) | instskip(NEXT) | instid1(VALU_DEP_4)
	v_dual_min_f32 v119, v120, v119 :: v_dual_max_f32 v120, v10, v10
	v_min_f32_e32 v121, v122, v121
	v_add_co_ci_u32_e32 v63, vcc_lo, v130, v63, vcc_lo
	s_delay_alu instid0(VALU_DEP_3) | instskip(SKIP_3) | instid1(VALU_DEP_3)
	v_add_f32_e32 v64, v64, v119
	v_max_f32_e32 v125, v11, v11
	v_min_f32_e32 v119, v120, v123
	v_add_f32_e32 v65, v65, v121
	v_min_f32_e32 v120, v125, v124
	s_delay_alu instid0(VALU_DEP_1) | instskip(NEXT) | instid1(VALU_DEP_1)
	v_dual_add_f32 v65, v65, v119 :: v_dual_add_f32 v64, v64, v120
	v_add_f32_e32 v64, v65, v64
	s_delay_alu instid0(VALU_DEP_1)
	v_add_f32_e32 v64, v64, v118
	global_store_b32 v[62:63], v64, off
.LBB81_69:
	s_or_b32 exec_lo, exec_lo, s7
	v_add_nc_u32_e32 v62, 56, v48
	s_delay_alu instid0(VALU_DEP_1) | instskip(SKIP_1) | instid1(VALU_DEP_2)
	v_cmp_gt_i32_e64 s7, s16, v62
	v_ashrrev_i32_e32 v63, 31, v62
	s_and_b32 s9, s7, s8
	s_delay_alu instid0(SALU_CYCLE_1)
	s_and_saveexec_b32 s8, s9
	s_cbranch_execz .LBB81_74
; %bb.70:
	v_cmp_ne_u32_e32 vcc_lo, 1, v101
	v_lshlrev_b64 v[64:65], 2, v[62:63]
	s_cbranch_vccnz .LBB81_72
; %bb.71:
	s_delay_alu instid0(VALU_DEP_1) | instskip(NEXT) | instid1(VALU_DEP_2)
	v_add_co_u32 v118, vcc_lo, v131, v64
	v_add_co_ci_u32_e32 v119, vcc_lo, v132, v65, vcc_lo
	flat_load_b32 v118, v[118:119]
	s_waitcnt vmcnt(0) lgkmcnt(0)
	v_mul_f32_e32 v118, s13, v118
	s_branch .LBB81_73
.LBB81_72:
	v_mov_b32_e32 v118, 0
.LBB81_73:
	v_dual_max_f32 v45, v45, v45 :: v_dual_max_f32 v44, v44, v44
	v_dual_max_f32 v119, v1, v1 :: v_dual_max_f32 v120, v0, v0
	s_delay_alu instid0(VALU_DEP_1) | instskip(NEXT) | instid1(VALU_DEP_2)
	v_dual_max_f32 v46, v46, v46 :: v_dual_min_f32 v45, v119, v45
	v_dual_max_f32 v119, v2, v2 :: v_dual_min_f32 v44, v120, v44
	v_max_f32_e32 v47, v47, v47
	s_delay_alu instid0(VALU_DEP_2) | instskip(NEXT) | instid1(VALU_DEP_3)
	v_dual_add_f32 v45, v115, v45 :: v_dual_add_f32 v44, v116, v44
	v_min_f32_e32 v46, v119, v46
	s_delay_alu instid0(VALU_DEP_1) | instskip(NEXT) | instid1(VALU_DEP_1)
	v_dual_max_f32 v121, v3, v3 :: v_dual_add_f32 v44, v44, v46
	v_min_f32_e32 v47, v121, v47
	s_delay_alu instid0(VALU_DEP_1) | instskip(NEXT) | instid1(VALU_DEP_1)
	v_add_f32_e32 v45, v45, v47
	v_add_f32_e32 v44, v44, v45
	s_delay_alu instid0(VALU_DEP_1)
	v_add_f32_e32 v46, v44, v118
	v_add_co_u32 v44, vcc_lo, v129, v64
	v_add_co_ci_u32_e32 v45, vcc_lo, v130, v65, vcc_lo
	global_store_b32 v[44:45], v46, off
.LBB81_74:
	s_or_b32 exec_lo, exec_lo, s8
	v_add_nc_u32_e32 v64, 32, v117
	s_delay_alu instid0(VALU_DEP_1) | instskip(SKIP_2) | instid1(VALU_DEP_3)
	v_mad_i64_i32 v[44:45], null, v64, s18, 0
	v_mad_i64_i32 v[46:47], null, v64, s15, 0
	v_cmp_gt_i32_e64 s8, s17, v64
	v_lshlrev_b64 v[44:45], 2, v[44:45]
	s_delay_alu instid0(VALU_DEP_2) | instskip(NEXT) | instid1(VALU_DEP_3)
	s_and_b32 s16, s0, s8
	v_lshlrev_b64 v[46:47], 2, v[46:47]
	s_delay_alu instid0(VALU_DEP_2) | instskip(NEXT) | instid1(VALU_DEP_3)
	v_add_co_u32 v64, vcc_lo, s10, v44
	v_add_co_ci_u32_e32 v65, vcc_lo, s11, v45, vcc_lo
	s_delay_alu instid0(VALU_DEP_3) | instskip(NEXT) | instid1(VALU_DEP_4)
	v_add_co_u32 v46, vcc_lo, s12, v46
	v_add_co_ci_u32_e32 v47, vcc_lo, s14, v47, vcc_lo
	s_and_saveexec_b32 s9, s16
	s_cbranch_execnz .LBB81_82
; %bb.75:
	s_or_b32 exec_lo, exec_lo, s9
	s_and_b32 s16, s1, s8
	s_delay_alu instid0(SALU_CYCLE_1)
	s_and_saveexec_b32 s9, s16
	s_cbranch_execnz .LBB81_86
.LBB81_76:
	s_or_b32 exec_lo, exec_lo, s9
	s_and_b32 s16, s2, s8
	s_delay_alu instid0(SALU_CYCLE_1)
	s_and_saveexec_b32 s9, s16
	s_cbranch_execnz .LBB81_90
.LBB81_77:
	s_or_b32 exec_lo, exec_lo, s9
	s_and_b32 s16, s3, s8
	s_delay_alu instid0(SALU_CYCLE_1)
	s_and_saveexec_b32 s9, s16
	s_cbranch_execnz .LBB81_94
.LBB81_78:
	s_or_b32 exec_lo, exec_lo, s9
	s_and_b32 s16, s4, s8
	s_delay_alu instid0(SALU_CYCLE_1)
	s_and_saveexec_b32 s9, s16
	s_cbranch_execnz .LBB81_98
.LBB81_79:
	s_or_b32 exec_lo, exec_lo, s9
	s_and_b32 s16, s5, s8
	s_delay_alu instid0(SALU_CYCLE_1)
	s_and_saveexec_b32 s9, s16
	s_cbranch_execnz .LBB81_102
.LBB81_80:
	s_or_b32 exec_lo, exec_lo, s9
	s_and_b32 s16, s6, s8
	s_delay_alu instid0(SALU_CYCLE_1)
	s_and_saveexec_b32 s9, s16
	s_cbranch_execnz .LBB81_106
.LBB81_81:
	s_or_b32 exec_lo, exec_lo, s9
	s_and_b32 s9, s7, s8
	s_delay_alu instid0(SALU_CYCLE_1)
	s_and_saveexec_b32 s8, s9
	s_cbranch_execnz .LBB81_110
	s_branch .LBB81_114
.LBB81_82:
	v_cmp_ne_u32_e32 vcc_lo, 1, v101
	v_lshlrev_b64 v[44:45], 2, v[48:49]
	s_cbranch_vccnz .LBB81_84
; %bb.83:
	s_delay_alu instid0(VALU_DEP_1) | instskip(NEXT) | instid1(VALU_DEP_2)
	v_add_co_u32 v115, vcc_lo, v64, v44
	v_add_co_ci_u32_e32 v116, vcc_lo, v65, v45, vcc_lo
	flat_load_b32 v115, v[115:116]
	s_waitcnt vmcnt(0) lgkmcnt(0)
	v_mul_f32_e32 v115, s13, v115
	s_branch .LBB81_85
.LBB81_84:
	v_mov_b32_e32 v115, 0
.LBB81_85:
	v_dual_max_f32 v116, v41, v41 :: v_dual_max_f32 v119, v40, v40
	v_dual_max_f32 v118, v33, v33 :: v_dual_max_f32 v121, v42, v42
	;; [unrolled: 1-line block ×3, first 2 shown]
	v_add_co_u32 v44, vcc_lo, v46, v44
	s_delay_alu instid0(VALU_DEP_2) | instskip(SKIP_2) | instid1(VALU_DEP_3)
	v_dual_min_f32 v116, v118, v116 :: v_dual_min_f32 v119, v120, v119
	v_max_f32_e32 v118, v34, v34
	v_add_co_ci_u32_e32 v45, vcc_lo, v47, v45, vcc_lo
	v_dual_add_f32 v114, v114, v116 :: v_dual_add_f32 v113, v113, v119
	s_delay_alu instid0(VALU_DEP_3) | instskip(NEXT) | instid1(VALU_DEP_1)
	v_min_f32_e32 v116, v118, v121
	v_dual_max_f32 v122, v43, v43 :: v_dual_add_f32 v113, v113, v116
	s_delay_alu instid0(VALU_DEP_1) | instskip(NEXT) | instid1(VALU_DEP_1)
	v_min_f32_e32 v118, v123, v122
	v_add_f32_e32 v114, v114, v118
	s_delay_alu instid0(VALU_DEP_1) | instskip(NEXT) | instid1(VALU_DEP_1)
	v_add_f32_e32 v113, v113, v114
	v_add_f32_e32 v113, v113, v115
	global_store_b32 v[44:45], v113, off
	s_or_b32 exec_lo, exec_lo, s9
	s_and_b32 s16, s1, s8
	s_delay_alu instid0(SALU_CYCLE_1)
	s_and_saveexec_b32 s9, s16
	s_cbranch_execz .LBB81_76
.LBB81_86:
	v_cmp_ne_u32_e32 vcc_lo, 1, v101
	v_lshlrev_b64 v[44:45], 2, v[50:51]
	s_cbranch_vccnz .LBB81_88
; %bb.87:
	s_delay_alu instid0(VALU_DEP_1) | instskip(NEXT) | instid1(VALU_DEP_2)
	v_add_co_u32 v113, vcc_lo, v64, v44
	v_add_co_ci_u32_e32 v114, vcc_lo, v65, v45, vcc_lo
	flat_load_b32 v113, v[113:114]
	s_waitcnt vmcnt(0) lgkmcnt(0)
	v_mul_f32_e32 v113, s13, v113
	s_branch .LBB81_89
.LBB81_88:
	v_mov_b32_e32 v113, 0
.LBB81_89:
	v_dual_max_f32 v114, v41, v41 :: v_dual_max_f32 v119, v42, v42
	v_dual_max_f32 v115, v29, v29 :: v_dual_max_f32 v116, v40, v40
	v_max_f32_e32 v118, v28, v28
	v_max_f32_e32 v120, v43, v43
	;; [unrolled: 1-line block ×3, first 2 shown]
	s_delay_alu instid0(VALU_DEP_4) | instskip(SKIP_3) | instid1(VALU_DEP_4)
	v_min_f32_e32 v114, v115, v114
	v_max_f32_e32 v115, v30, v30
	v_min_f32_e32 v116, v118, v116
	v_add_co_u32 v44, vcc_lo, v46, v44
	v_add_f32_e32 v111, v111, v114
	s_delay_alu instid0(VALU_DEP_4) | instskip(NEXT) | instid1(VALU_DEP_4)
	v_min_f32_e32 v114, v115, v119
	v_add_f32_e32 v112, v112, v116
	v_min_f32_e32 v115, v121, v120
	v_add_co_ci_u32_e32 v45, vcc_lo, v47, v45, vcc_lo
	s_delay_alu instid0(VALU_DEP_2) | instskip(NEXT) | instid1(VALU_DEP_1)
	v_dual_add_f32 v112, v112, v114 :: v_dual_add_f32 v111, v111, v115
	v_add_f32_e32 v111, v112, v111
	s_delay_alu instid0(VALU_DEP_1) | instskip(SKIP_3) | instid1(SALU_CYCLE_1)
	v_add_f32_e32 v111, v111, v113
	global_store_b32 v[44:45], v111, off
	s_or_b32 exec_lo, exec_lo, s9
	s_and_b32 s16, s2, s8
	s_and_saveexec_b32 s9, s16
	s_cbranch_execz .LBB81_77
.LBB81_90:
	v_cmp_ne_u32_e32 vcc_lo, 1, v101
	v_lshlrev_b64 v[44:45], 2, v[52:53]
	s_cbranch_vccnz .LBB81_92
; %bb.91:
	s_delay_alu instid0(VALU_DEP_1) | instskip(NEXT) | instid1(VALU_DEP_2)
	v_add_co_u32 v111, vcc_lo, v64, v44
	v_add_co_ci_u32_e32 v112, vcc_lo, v65, v45, vcc_lo
	flat_load_b32 v111, v[111:112]
	s_waitcnt vmcnt(0) lgkmcnt(0)
	v_mul_f32_e32 v111, s13, v111
	s_branch .LBB81_93
.LBB81_92:
	v_mov_b32_e32 v111, 0
.LBB81_93:
	v_dual_max_f32 v112, v41, v41 :: v_dual_max_f32 v115, v24, v24
	v_dual_max_f32 v113, v25, v25 :: v_dual_max_f32 v114, v40, v40
	;; [unrolled: 1-line block ×3, first 2 shown]
	v_add_co_u32 v44, vcc_lo, v46, v44
	s_delay_alu instid0(VALU_DEP_3) | instskip(SKIP_1) | instid1(VALU_DEP_2)
	v_dual_min_f32 v112, v113, v112 :: v_dual_max_f32 v113, v26, v26
	v_add_co_ci_u32_e32 v45, vcc_lo, v47, v45, vcc_lo
	v_add_f32_e32 v110, v110, v112
	s_delay_alu instid0(VALU_DEP_3) | instskip(SKIP_1) | instid1(VALU_DEP_1)
	v_min_f32_e32 v112, v113, v116
	v_min_f32_e32 v114, v115, v114
	v_dual_max_f32 v118, v43, v43 :: v_dual_add_f32 v109, v109, v114
	s_delay_alu instid0(VALU_DEP_1) | instskip(NEXT) | instid1(VALU_DEP_1)
	v_min_f32_e32 v113, v119, v118
	v_dual_add_f32 v109, v109, v112 :: v_dual_add_f32 v110, v110, v113
	s_delay_alu instid0(VALU_DEP_1) | instskip(NEXT) | instid1(VALU_DEP_1)
	v_add_f32_e32 v109, v109, v110
	v_add_f32_e32 v109, v109, v111
	global_store_b32 v[44:45], v109, off
	s_or_b32 exec_lo, exec_lo, s9
	s_and_b32 s16, s3, s8
	s_delay_alu instid0(SALU_CYCLE_1)
	s_and_saveexec_b32 s9, s16
	s_cbranch_execz .LBB81_78
.LBB81_94:
	v_cmp_ne_u32_e32 vcc_lo, 1, v101
	v_lshlrev_b64 v[44:45], 2, v[54:55]
	s_cbranch_vccnz .LBB81_96
; %bb.95:
	s_delay_alu instid0(VALU_DEP_1) | instskip(NEXT) | instid1(VALU_DEP_2)
	v_add_co_u32 v109, vcc_lo, v64, v44
	v_add_co_ci_u32_e32 v110, vcc_lo, v65, v45, vcc_lo
	flat_load_b32 v109, v[109:110]
	s_waitcnt vmcnt(0) lgkmcnt(0)
	v_mul_f32_e32 v109, s13, v109
	s_branch .LBB81_97
.LBB81_96:
	v_mov_b32_e32 v109, 0
.LBB81_97:
	v_dual_max_f32 v110, v41, v41 :: v_dual_max_f32 v113, v20, v20
	v_dual_max_f32 v111, v21, v21 :: v_dual_max_f32 v112, v40, v40
	;; [unrolled: 1-line block ×3, first 2 shown]
	v_max_f32_e32 v116, v23, v23
	s_delay_alu instid0(VALU_DEP_3) | instskip(NEXT) | instid1(VALU_DEP_4)
	v_min_f32_e32 v110, v111, v110
	v_dual_max_f32 v111, v22, v22 :: v_dual_min_f32 v112, v113, v112
	v_add_co_u32 v44, vcc_lo, v46, v44
	s_delay_alu instid0(VALU_DEP_3) | instskip(NEXT) | instid1(VALU_DEP_3)
	v_add_f32_e32 v107, v107, v110
	v_dual_min_f32 v110, v111, v114 :: v_dual_min_f32 v111, v116, v115
	s_delay_alu instid0(VALU_DEP_4) | instskip(SKIP_1) | instid1(VALU_DEP_2)
	v_add_f32_e32 v108, v108, v112
	v_add_co_ci_u32_e32 v45, vcc_lo, v47, v45, vcc_lo
	v_dual_add_f32 v107, v107, v111 :: v_dual_add_f32 v108, v108, v110
	s_delay_alu instid0(VALU_DEP_1) | instskip(NEXT) | instid1(VALU_DEP_1)
	v_add_f32_e32 v107, v108, v107
	v_add_f32_e32 v107, v107, v109
	global_store_b32 v[44:45], v107, off
	s_or_b32 exec_lo, exec_lo, s9
	s_and_b32 s16, s4, s8
	s_delay_alu instid0(SALU_CYCLE_1)
	s_and_saveexec_b32 s9, s16
	s_cbranch_execz .LBB81_79
.LBB81_98:
	v_cmp_ne_u32_e32 vcc_lo, 1, v101
	v_lshlrev_b64 v[44:45], 2, v[56:57]
	s_cbranch_vccnz .LBB81_100
; %bb.99:
	s_delay_alu instid0(VALU_DEP_1) | instskip(NEXT) | instid1(VALU_DEP_2)
	v_add_co_u32 v107, vcc_lo, v64, v44
	v_add_co_ci_u32_e32 v108, vcc_lo, v65, v45, vcc_lo
	flat_load_b32 v107, v[107:108]
	s_waitcnt vmcnt(0) lgkmcnt(0)
	v_mul_f32_e32 v107, s13, v107
	s_branch .LBB81_101
.LBB81_100:
	v_mov_b32_e32 v107, 0
.LBB81_101:
	v_dual_max_f32 v108, v41, v41 :: v_dual_max_f32 v111, v16, v16
	v_dual_max_f32 v109, v17, v17 :: v_dual_max_f32 v110, v40, v40
	;; [unrolled: 1-line block ×3, first 2 shown]
	v_add_co_u32 v44, vcc_lo, v46, v44
	s_delay_alu instid0(VALU_DEP_3) | instskip(SKIP_2) | instid1(VALU_DEP_3)
	v_dual_min_f32 v108, v109, v108 :: v_dual_max_f32 v109, v18, v18
	v_max_f32_e32 v114, v19, v19
	v_add_co_ci_u32_e32 v45, vcc_lo, v47, v45, vcc_lo
	v_dual_add_f32 v105, v105, v108 :: v_dual_min_f32 v110, v111, v110
	s_delay_alu instid0(VALU_DEP_3) | instskip(NEXT) | instid1(VALU_DEP_1)
	v_dual_min_f32 v108, v109, v112 :: v_dual_min_f32 v109, v114, v113
	v_dual_add_f32 v106, v106, v110 :: v_dual_add_f32 v105, v105, v109
	s_delay_alu instid0(VALU_DEP_1) | instskip(NEXT) | instid1(VALU_DEP_1)
	v_add_f32_e32 v106, v106, v108
	v_add_f32_e32 v105, v106, v105
	s_delay_alu instid0(VALU_DEP_1) | instskip(SKIP_3) | instid1(SALU_CYCLE_1)
	v_add_f32_e32 v105, v105, v107
	global_store_b32 v[44:45], v105, off
	s_or_b32 exec_lo, exec_lo, s9
	s_and_b32 s16, s5, s8
	s_and_saveexec_b32 s9, s16
	s_cbranch_execz .LBB81_80
.LBB81_102:
	v_cmp_ne_u32_e32 vcc_lo, 1, v101
	v_lshlrev_b64 v[44:45], 2, v[58:59]
	s_cbranch_vccnz .LBB81_104
; %bb.103:
	s_delay_alu instid0(VALU_DEP_1) | instskip(NEXT) | instid1(VALU_DEP_2)
	v_add_co_u32 v105, vcc_lo, v64, v44
	v_add_co_ci_u32_e32 v106, vcc_lo, v65, v45, vcc_lo
	flat_load_b32 v105, v[105:106]
	s_waitcnt vmcnt(0) lgkmcnt(0)
	v_mul_f32_e32 v105, s13, v105
	s_branch .LBB81_105
.LBB81_104:
	v_mov_b32_e32 v105, 0
.LBB81_105:
	v_dual_max_f32 v106, v41, v41 :: v_dual_max_f32 v109, v12, v12
	v_dual_max_f32 v107, v13, v13 :: v_dual_max_f32 v108, v40, v40
	v_dual_max_f32 v110, v42, v42 :: v_dual_max_f32 v111, v43, v43
	v_max_f32_e32 v112, v15, v15
	s_delay_alu instid0(VALU_DEP_3) | instskip(NEXT) | instid1(VALU_DEP_4)
	v_min_f32_e32 v106, v107, v106
	v_dual_max_f32 v107, v14, v14 :: v_dual_min_f32 v108, v109, v108
	v_add_co_u32 v44, vcc_lo, v46, v44
	s_delay_alu instid0(VALU_DEP_3) | instskip(NEXT) | instid1(VALU_DEP_3)
	v_add_f32_e32 v104, v104, v106
	v_min_f32_e32 v106, v107, v110
	s_delay_alu instid0(VALU_DEP_4) | instskip(SKIP_2) | instid1(VALU_DEP_2)
	v_add_f32_e32 v103, v103, v108
	v_min_f32_e32 v107, v112, v111
	v_add_co_ci_u32_e32 v45, vcc_lo, v47, v45, vcc_lo
	v_dual_add_f32 v103, v103, v106 :: v_dual_add_f32 v104, v104, v107
	s_delay_alu instid0(VALU_DEP_1) | instskip(NEXT) | instid1(VALU_DEP_1)
	v_add_f32_e32 v103, v103, v104
	v_add_f32_e32 v103, v103, v105
	global_store_b32 v[44:45], v103, off
	s_or_b32 exec_lo, exec_lo, s9
	s_and_b32 s16, s6, s8
	s_delay_alu instid0(SALU_CYCLE_1)
	s_and_saveexec_b32 s9, s16
	s_cbranch_execz .LBB81_81
.LBB81_106:
	v_cmp_ne_u32_e32 vcc_lo, 1, v101
	v_lshlrev_b64 v[44:45], 2, v[60:61]
	s_cbranch_vccnz .LBB81_108
; %bb.107:
	s_delay_alu instid0(VALU_DEP_1) | instskip(NEXT) | instid1(VALU_DEP_2)
	v_add_co_u32 v103, vcc_lo, v64, v44
	v_add_co_ci_u32_e32 v104, vcc_lo, v65, v45, vcc_lo
	flat_load_b32 v103, v[103:104]
	s_waitcnt vmcnt(0) lgkmcnt(0)
	v_mul_f32_e32 v103, s13, v103
	s_branch .LBB81_109
.LBB81_108:
	v_mov_b32_e32 v103, 0
.LBB81_109:
	v_dual_max_f32 v104, v41, v41 :: v_dual_max_f32 v107, v8, v8
	v_dual_max_f32 v105, v9, v9 :: v_dual_max_f32 v106, v40, v40
	;; [unrolled: 1-line block ×3, first 2 shown]
	v_max_f32_e32 v110, v11, v11
	s_delay_alu instid0(VALU_DEP_3) | instskip(NEXT) | instid1(VALU_DEP_4)
	v_dual_min_f32 v104, v105, v104 :: v_dual_max_f32 v105, v10, v10
	v_min_f32_e32 v106, v107, v106
	v_add_co_u32 v44, vcc_lo, v46, v44
	s_delay_alu instid0(VALU_DEP_3) | instskip(NEXT) | instid1(VALU_DEP_4)
	v_add_f32_e32 v100, v100, v104
	v_dual_min_f32 v104, v105, v108 :: v_dual_min_f32 v105, v110, v109
	s_delay_alu instid0(VALU_DEP_4) | instskip(SKIP_1) | instid1(VALU_DEP_3)
	v_add_f32_e32 v102, v102, v106
	v_add_co_ci_u32_e32 v45, vcc_lo, v47, v45, vcc_lo
	v_add_f32_e32 v100, v100, v105
	s_delay_alu instid0(VALU_DEP_3) | instskip(NEXT) | instid1(VALU_DEP_1)
	v_add_f32_e32 v102, v102, v104
	v_add_f32_e32 v100, v102, v100
	s_delay_alu instid0(VALU_DEP_1) | instskip(SKIP_3) | instid1(SALU_CYCLE_1)
	v_add_f32_e32 v100, v100, v103
	global_store_b32 v[44:45], v100, off
	s_or_b32 exec_lo, exec_lo, s9
	s_and_b32 s9, s7, s8
	s_and_saveexec_b32 s8, s9
	s_cbranch_execz .LBB81_114
.LBB81_110:
	v_cmp_ne_u32_e32 vcc_lo, 1, v101
	v_lshlrev_b64 v[44:45], 2, v[62:63]
	s_cbranch_vccnz .LBB81_112
; %bb.111:
	s_delay_alu instid0(VALU_DEP_1) | instskip(NEXT) | instid1(VALU_DEP_2)
	v_add_co_u32 v64, vcc_lo, v64, v44
	v_add_co_ci_u32_e32 v65, vcc_lo, v65, v45, vcc_lo
	flat_load_b32 v64, v[64:65]
	s_waitcnt vmcnt(0) lgkmcnt(0)
	v_mul_f32_e32 v64, s13, v64
	s_branch .LBB81_113
.LBB81_112:
	v_mov_b32_e32 v64, 0
.LBB81_113:
	v_dual_max_f32 v41, v41, v41 :: v_dual_max_f32 v40, v40, v40
	v_dual_max_f32 v65, v1, v1 :: v_dual_max_f32 v100, v0, v0
	;; [unrolled: 1-line block ×3, first 2 shown]
	s_delay_alu instid0(VALU_DEP_2) | instskip(NEXT) | instid1(VALU_DEP_3)
	v_dual_max_f32 v102, v3, v3 :: v_dual_min_f32 v41, v65, v41
	v_dual_min_f32 v40, v100, v40 :: v_dual_max_f32 v65, v2, v2
	s_delay_alu instid0(VALU_DEP_1) | instskip(NEXT) | instid1(VALU_DEP_2)
	v_dual_add_f32 v41, v99, v41 :: v_dual_min_f32 v42, v65, v42
	v_add_f32_e32 v40, v98, v40
	s_delay_alu instid0(VALU_DEP_1) | instskip(NEXT) | instid1(VALU_DEP_1)
	v_dual_min_f32 v43, v102, v43 :: v_dual_add_f32 v40, v40, v42
	v_add_f32_e32 v41, v41, v43
	s_delay_alu instid0(VALU_DEP_1) | instskip(NEXT) | instid1(VALU_DEP_1)
	v_add_f32_e32 v40, v40, v41
	v_add_f32_e32 v42, v40, v64
	v_add_co_u32 v40, vcc_lo, v46, v44
	v_add_co_ci_u32_e32 v41, vcc_lo, v47, v45, vcc_lo
	global_store_b32 v[40:41], v42, off
.LBB81_114:
	s_or_b32 exec_lo, exec_lo, s8
	v_add_nc_u32_e32 v44, 64, v117
	s_delay_alu instid0(VALU_DEP_1) | instskip(SKIP_2) | instid1(VALU_DEP_3)
	v_mad_i64_i32 v[40:41], null, v44, s18, 0
	v_mad_i64_i32 v[42:43], null, v44, s15, 0
	v_cmp_gt_i32_e64 s8, s17, v44
	v_lshlrev_b64 v[40:41], 2, v[40:41]
	s_delay_alu instid0(VALU_DEP_2) | instskip(NEXT) | instid1(VALU_DEP_3)
	s_and_b32 s16, s0, s8
	v_lshlrev_b64 v[42:43], 2, v[42:43]
	s_delay_alu instid0(VALU_DEP_2) | instskip(NEXT) | instid1(VALU_DEP_3)
	v_add_co_u32 v44, vcc_lo, s10, v40
	v_add_co_ci_u32_e32 v45, vcc_lo, s11, v41, vcc_lo
	s_delay_alu instid0(VALU_DEP_3) | instskip(NEXT) | instid1(VALU_DEP_4)
	v_add_co_u32 v42, vcc_lo, s12, v42
	v_add_co_ci_u32_e32 v43, vcc_lo, s14, v43, vcc_lo
	s_and_saveexec_b32 s9, s16
	s_cbranch_execnz .LBB81_122
; %bb.115:
	s_or_b32 exec_lo, exec_lo, s9
	s_and_b32 s16, s1, s8
	s_delay_alu instid0(SALU_CYCLE_1)
	s_and_saveexec_b32 s9, s16
	s_cbranch_execnz .LBB81_126
.LBB81_116:
	s_or_b32 exec_lo, exec_lo, s9
	s_and_b32 s16, s2, s8
	s_delay_alu instid0(SALU_CYCLE_1)
	s_and_saveexec_b32 s9, s16
	s_cbranch_execnz .LBB81_130
.LBB81_117:
	s_or_b32 exec_lo, exec_lo, s9
	s_and_b32 s16, s3, s8
	s_delay_alu instid0(SALU_CYCLE_1)
	s_and_saveexec_b32 s9, s16
	s_cbranch_execnz .LBB81_134
.LBB81_118:
	s_or_b32 exec_lo, exec_lo, s9
	s_and_b32 s16, s4, s8
	s_delay_alu instid0(SALU_CYCLE_1)
	s_and_saveexec_b32 s9, s16
	s_cbranch_execnz .LBB81_138
.LBB81_119:
	s_or_b32 exec_lo, exec_lo, s9
	s_and_b32 s16, s5, s8
	s_delay_alu instid0(SALU_CYCLE_1)
	s_and_saveexec_b32 s9, s16
	s_cbranch_execnz .LBB81_142
.LBB81_120:
	s_or_b32 exec_lo, exec_lo, s9
	s_and_b32 s16, s6, s8
	s_delay_alu instid0(SALU_CYCLE_1)
	s_and_saveexec_b32 s9, s16
	s_cbranch_execnz .LBB81_146
.LBB81_121:
	s_or_b32 exec_lo, exec_lo, s9
	s_and_b32 s9, s7, s8
	s_delay_alu instid0(SALU_CYCLE_1)
	s_and_saveexec_b32 s8, s9
	s_cbranch_execnz .LBB81_150
	s_branch .LBB81_154
.LBB81_122:
	v_cmp_ne_u32_e32 vcc_lo, 1, v101
	v_lshlrev_b64 v[40:41], 2, v[48:49]
	s_cbranch_vccnz .LBB81_124
; %bb.123:
	s_delay_alu instid0(VALU_DEP_1) | instskip(NEXT) | instid1(VALU_DEP_2)
	v_add_co_u32 v46, vcc_lo, v44, v40
	v_add_co_ci_u32_e32 v47, vcc_lo, v45, v41, vcc_lo
	flat_load_b32 v46, v[46:47]
	s_waitcnt vmcnt(0) lgkmcnt(0)
	v_mul_f32_e32 v46, s13, v46
	s_branch .LBB81_125
.LBB81_124:
	v_mov_b32_e32 v46, 0
.LBB81_125:
	v_dual_max_f32 v47, v37, v37 :: v_dual_max_f32 v98, v32, v32
	v_dual_max_f32 v64, v33, v33 :: v_dual_max_f32 v65, v36, v36
	;; [unrolled: 1-line block ×3, first 2 shown]
	v_max_f32_e32 v102, v35, v35
	s_delay_alu instid0(VALU_DEP_3) | instskip(NEXT) | instid1(VALU_DEP_4)
	v_dual_min_f32 v47, v64, v47 :: v_dual_max_f32 v64, v34, v34
	v_min_f32_e32 v65, v98, v65
	v_add_co_u32 v40, vcc_lo, v42, v40
	s_delay_alu instid0(VALU_DEP_3) | instskip(NEXT) | instid1(VALU_DEP_4)
	v_add_f32_e32 v47, v97, v47
	v_dual_min_f32 v64, v64, v99 :: v_dual_min_f32 v97, v102, v100
	s_delay_alu instid0(VALU_DEP_4) | instskip(SKIP_1) | instid1(VALU_DEP_2)
	v_add_f32_e32 v65, v96, v65
	v_add_co_ci_u32_e32 v41, vcc_lo, v43, v41, vcc_lo
	v_dual_add_f32 v47, v47, v97 :: v_dual_add_f32 v64, v65, v64
	s_delay_alu instid0(VALU_DEP_1) | instskip(NEXT) | instid1(VALU_DEP_1)
	v_add_f32_e32 v47, v64, v47
	v_add_f32_e32 v46, v47, v46
	global_store_b32 v[40:41], v46, off
	s_or_b32 exec_lo, exec_lo, s9
	s_and_b32 s16, s1, s8
	s_delay_alu instid0(SALU_CYCLE_1)
	s_and_saveexec_b32 s9, s16
	s_cbranch_execz .LBB81_116
.LBB81_126:
	v_cmp_ne_u32_e32 vcc_lo, 1, v101
	v_lshlrev_b64 v[40:41], 2, v[50:51]
	s_cbranch_vccnz .LBB81_128
; %bb.127:
	s_delay_alu instid0(VALU_DEP_1) | instskip(NEXT) | instid1(VALU_DEP_2)
	v_add_co_u32 v46, vcc_lo, v44, v40
	v_add_co_ci_u32_e32 v47, vcc_lo, v45, v41, vcc_lo
	flat_load_b32 v46, v[46:47]
	s_waitcnt vmcnt(0) lgkmcnt(0)
	v_mul_f32_e32 v46, s13, v46
	s_branch .LBB81_129
.LBB81_128:
	v_mov_b32_e32 v46, 0
.LBB81_129:
	v_dual_max_f32 v47, v37, v37 :: v_dual_max_f32 v96, v28, v28
	v_dual_max_f32 v64, v29, v29 :: v_dual_max_f32 v65, v36, v36
	;; [unrolled: 1-line block ×3, first 2 shown]
	v_add_co_u32 v40, vcc_lo, v42, v40
	s_delay_alu instid0(VALU_DEP_3) | instskip(SKIP_2) | instid1(VALU_DEP_3)
	v_dual_min_f32 v47, v64, v47 :: v_dual_max_f32 v64, v30, v30
	v_max_f32_e32 v99, v31, v31
	v_add_co_ci_u32_e32 v41, vcc_lo, v43, v41, vcc_lo
	v_min_f32_e32 v64, v64, v97
	v_min_f32_e32 v65, v96, v65
	s_delay_alu instid0(VALU_DEP_4) | instskip(NEXT) | instid1(VALU_DEP_2)
	v_dual_add_f32 v47, v94, v47 :: v_dual_min_f32 v94, v99, v98
	v_add_f32_e32 v65, v95, v65
	s_delay_alu instid0(VALU_DEP_1) | instskip(NEXT) | instid1(VALU_DEP_1)
	v_dual_add_f32 v64, v65, v64 :: v_dual_add_f32 v47, v47, v94
	v_add_f32_e32 v47, v64, v47
	s_delay_alu instid0(VALU_DEP_1) | instskip(SKIP_3) | instid1(SALU_CYCLE_1)
	v_add_f32_e32 v46, v47, v46
	global_store_b32 v[40:41], v46, off
	s_or_b32 exec_lo, exec_lo, s9
	s_and_b32 s16, s2, s8
	s_and_saveexec_b32 s9, s16
	s_cbranch_execz .LBB81_117
.LBB81_130:
	v_cmp_ne_u32_e32 vcc_lo, 1, v101
	v_lshlrev_b64 v[40:41], 2, v[52:53]
	s_cbranch_vccnz .LBB81_132
; %bb.131:
	s_delay_alu instid0(VALU_DEP_1) | instskip(NEXT) | instid1(VALU_DEP_2)
	v_add_co_u32 v46, vcc_lo, v44, v40
	v_add_co_ci_u32_e32 v47, vcc_lo, v45, v41, vcc_lo
	flat_load_b32 v46, v[46:47]
	s_waitcnt vmcnt(0) lgkmcnt(0)
	v_mul_f32_e32 v46, s13, v46
	s_branch .LBB81_133
.LBB81_132:
	v_mov_b32_e32 v46, 0
.LBB81_133:
	v_dual_max_f32 v47, v37, v37 :: v_dual_max_f32 v94, v24, v24
	v_dual_max_f32 v64, v25, v25 :: v_dual_max_f32 v65, v36, v36
	;; [unrolled: 1-line block ×3, first 2 shown]
	v_add_co_u32 v40, vcc_lo, v42, v40
	s_delay_alu instid0(VALU_DEP_3) | instskip(NEXT) | instid1(VALU_DEP_4)
	v_dual_min_f32 v47, v64, v47 :: v_dual_max_f32 v64, v26, v26
	v_min_f32_e32 v65, v94, v65
	v_add_co_ci_u32_e32 v41, vcc_lo, v43, v41, vcc_lo
	s_delay_alu instid0(VALU_DEP_2) | instskip(NEXT) | instid1(VALU_DEP_1)
	v_dual_min_f32 v64, v64, v95 :: v_dual_add_f32 v65, v93, v65
	v_dual_max_f32 v97, v27, v27 :: v_dual_add_f32 v64, v65, v64
	s_delay_alu instid0(VALU_DEP_1) | instskip(NEXT) | instid1(VALU_DEP_1)
	v_dual_add_f32 v47, v92, v47 :: v_dual_min_f32 v92, v97, v96
	v_add_f32_e32 v47, v47, v92
	s_delay_alu instid0(VALU_DEP_1) | instskip(NEXT) | instid1(VALU_DEP_1)
	v_add_f32_e32 v47, v64, v47
	v_add_f32_e32 v46, v47, v46
	global_store_b32 v[40:41], v46, off
	s_or_b32 exec_lo, exec_lo, s9
	s_and_b32 s16, s3, s8
	s_delay_alu instid0(SALU_CYCLE_1)
	s_and_saveexec_b32 s9, s16
	s_cbranch_execz .LBB81_118
.LBB81_134:
	v_cmp_ne_u32_e32 vcc_lo, 1, v101
	v_lshlrev_b64 v[40:41], 2, v[54:55]
	s_cbranch_vccnz .LBB81_136
; %bb.135:
	s_delay_alu instid0(VALU_DEP_1) | instskip(NEXT) | instid1(VALU_DEP_2)
	v_add_co_u32 v46, vcc_lo, v44, v40
	v_add_co_ci_u32_e32 v47, vcc_lo, v45, v41, vcc_lo
	flat_load_b32 v46, v[46:47]
	s_waitcnt vmcnt(0) lgkmcnt(0)
	v_mul_f32_e32 v46, s13, v46
	s_branch .LBB81_137
.LBB81_136:
	v_mov_b32_e32 v46, 0
.LBB81_137:
	v_dual_max_f32 v47, v37, v37 :: v_dual_max_f32 v92, v20, v20
	v_dual_max_f32 v64, v21, v21 :: v_dual_max_f32 v65, v36, v36
	;; [unrolled: 1-line block ×3, first 2 shown]
	v_add_co_u32 v40, vcc_lo, v42, v40
	s_delay_alu instid0(VALU_DEP_3) | instskip(SKIP_2) | instid1(VALU_DEP_3)
	v_dual_min_f32 v47, v64, v47 :: v_dual_max_f32 v64, v22, v22
	v_max_f32_e32 v95, v23, v23
	v_add_co_ci_u32_e32 v41, vcc_lo, v43, v41, vcc_lo
	v_min_f32_e32 v64, v64, v93
	v_min_f32_e32 v65, v92, v65
	s_delay_alu instid0(VALU_DEP_4) | instskip(NEXT) | instid1(VALU_DEP_2)
	v_dual_add_f32 v47, v90, v47 :: v_dual_min_f32 v90, v95, v94
	v_add_f32_e32 v65, v91, v65
	s_delay_alu instid0(VALU_DEP_1) | instskip(NEXT) | instid1(VALU_DEP_1)
	v_dual_add_f32 v64, v65, v64 :: v_dual_add_f32 v47, v47, v90
	v_add_f32_e32 v47, v64, v47
	s_delay_alu instid0(VALU_DEP_1) | instskip(SKIP_3) | instid1(SALU_CYCLE_1)
	v_add_f32_e32 v46, v47, v46
	global_store_b32 v[40:41], v46, off
	s_or_b32 exec_lo, exec_lo, s9
	s_and_b32 s16, s4, s8
	s_and_saveexec_b32 s9, s16
	s_cbranch_execz .LBB81_119
.LBB81_138:
	v_cmp_ne_u32_e32 vcc_lo, 1, v101
	v_lshlrev_b64 v[40:41], 2, v[56:57]
	s_cbranch_vccnz .LBB81_140
; %bb.139:
	s_delay_alu instid0(VALU_DEP_1) | instskip(NEXT) | instid1(VALU_DEP_2)
	v_add_co_u32 v46, vcc_lo, v44, v40
	v_add_co_ci_u32_e32 v47, vcc_lo, v45, v41, vcc_lo
	flat_load_b32 v46, v[46:47]
	s_waitcnt vmcnt(0) lgkmcnt(0)
	v_mul_f32_e32 v46, s13, v46
	s_branch .LBB81_141
.LBB81_140:
	v_mov_b32_e32 v46, 0
.LBB81_141:
	v_dual_max_f32 v47, v37, v37 :: v_dual_max_f32 v90, v16, v16
	v_dual_max_f32 v64, v17, v17 :: v_dual_max_f32 v65, v36, v36
	;; [unrolled: 1-line block ×3, first 2 shown]
	v_add_co_u32 v40, vcc_lo, v42, v40
	s_delay_alu instid0(VALU_DEP_3) | instskip(NEXT) | instid1(VALU_DEP_4)
	v_dual_min_f32 v47, v64, v47 :: v_dual_max_f32 v64, v18, v18
	v_min_f32_e32 v65, v90, v65
	v_add_co_ci_u32_e32 v41, vcc_lo, v43, v41, vcc_lo
	s_delay_alu instid0(VALU_DEP_3) | instskip(NEXT) | instid1(VALU_DEP_4)
	v_add_f32_e32 v47, v89, v47
	v_min_f32_e32 v64, v64, v91
	s_delay_alu instid0(VALU_DEP_4) | instskip(NEXT) | instid1(VALU_DEP_1)
	v_add_f32_e32 v65, v88, v65
	v_dual_max_f32 v93, v19, v19 :: v_dual_add_f32 v64, v65, v64
	s_delay_alu instid0(VALU_DEP_1) | instskip(NEXT) | instid1(VALU_DEP_1)
	v_min_f32_e32 v89, v93, v92
	v_add_f32_e32 v47, v47, v89
	s_delay_alu instid0(VALU_DEP_1) | instskip(NEXT) | instid1(VALU_DEP_1)
	v_add_f32_e32 v47, v64, v47
	v_add_f32_e32 v46, v47, v46
	global_store_b32 v[40:41], v46, off
	s_or_b32 exec_lo, exec_lo, s9
	s_and_b32 s16, s5, s8
	s_delay_alu instid0(SALU_CYCLE_1)
	s_and_saveexec_b32 s9, s16
	s_cbranch_execz .LBB81_120
.LBB81_142:
	v_cmp_ne_u32_e32 vcc_lo, 1, v101
	v_lshlrev_b64 v[40:41], 2, v[58:59]
	s_cbranch_vccnz .LBB81_144
; %bb.143:
	s_delay_alu instid0(VALU_DEP_1) | instskip(NEXT) | instid1(VALU_DEP_2)
	v_add_co_u32 v46, vcc_lo, v44, v40
	v_add_co_ci_u32_e32 v47, vcc_lo, v45, v41, vcc_lo
	flat_load_b32 v46, v[46:47]
	s_waitcnt vmcnt(0) lgkmcnt(0)
	v_mul_f32_e32 v46, s13, v46
	s_branch .LBB81_145
.LBB81_144:
	v_mov_b32_e32 v46, 0
.LBB81_145:
	v_dual_max_f32 v47, v37, v37 :: v_dual_max_f32 v88, v12, v12
	v_dual_max_f32 v64, v13, v13 :: v_dual_max_f32 v65, v36, v36
	v_dual_max_f32 v89, v38, v38 :: v_dual_max_f32 v90, v39, v39
	v_add_co_u32 v40, vcc_lo, v42, v40
	s_delay_alu instid0(VALU_DEP_3) | instskip(SKIP_3) | instid1(VALU_DEP_4)
	v_dual_min_f32 v47, v64, v47 :: v_dual_max_f32 v64, v14, v14
	v_max_f32_e32 v91, v15, v15
	v_min_f32_e32 v65, v88, v65
	v_add_co_ci_u32_e32 v41, vcc_lo, v43, v41, vcc_lo
	v_min_f32_e32 v64, v64, v89
	s_delay_alu instid0(VALU_DEP_3) | instskip(SKIP_1) | instid1(VALU_DEP_2)
	v_add_f32_e32 v65, v86, v65
	v_add_f32_e32 v47, v87, v47
	v_dual_min_f32 v87, v91, v90 :: v_dual_add_f32 v64, v65, v64
	s_delay_alu instid0(VALU_DEP_1) | instskip(NEXT) | instid1(VALU_DEP_1)
	v_add_f32_e32 v47, v47, v87
	v_add_f32_e32 v47, v64, v47
	s_delay_alu instid0(VALU_DEP_1) | instskip(SKIP_3) | instid1(SALU_CYCLE_1)
	v_add_f32_e32 v46, v47, v46
	global_store_b32 v[40:41], v46, off
	s_or_b32 exec_lo, exec_lo, s9
	s_and_b32 s16, s6, s8
	s_and_saveexec_b32 s9, s16
	s_cbranch_execz .LBB81_121
.LBB81_146:
	v_cmp_ne_u32_e32 vcc_lo, 1, v101
	v_lshlrev_b64 v[40:41], 2, v[60:61]
	s_cbranch_vccnz .LBB81_148
; %bb.147:
	s_delay_alu instid0(VALU_DEP_1) | instskip(NEXT) | instid1(VALU_DEP_2)
	v_add_co_u32 v46, vcc_lo, v44, v40
	v_add_co_ci_u32_e32 v47, vcc_lo, v45, v41, vcc_lo
	flat_load_b32 v46, v[46:47]
	s_waitcnt vmcnt(0) lgkmcnt(0)
	v_mul_f32_e32 v46, s13, v46
	s_branch .LBB81_149
.LBB81_148:
	v_mov_b32_e32 v46, 0
.LBB81_149:
	v_dual_max_f32 v47, v37, v37 :: v_dual_max_f32 v86, v8, v8
	v_dual_max_f32 v64, v9, v9 :: v_dual_max_f32 v65, v36, v36
	;; [unrolled: 1-line block ×3, first 2 shown]
	v_add_co_u32 v40, vcc_lo, v42, v40
	s_delay_alu instid0(VALU_DEP_3) | instskip(NEXT) | instid1(VALU_DEP_4)
	v_dual_min_f32 v47, v64, v47 :: v_dual_max_f32 v64, v10, v10
	v_min_f32_e32 v65, v86, v65
	v_add_co_ci_u32_e32 v41, vcc_lo, v43, v41, vcc_lo
	s_delay_alu instid0(VALU_DEP_2) | instskip(NEXT) | instid1(VALU_DEP_1)
	v_dual_min_f32 v64, v64, v87 :: v_dual_add_f32 v65, v85, v65
	v_dual_max_f32 v89, v11, v11 :: v_dual_add_f32 v64, v65, v64
	s_delay_alu instid0(VALU_DEP_1) | instskip(NEXT) | instid1(VALU_DEP_1)
	v_dual_add_f32 v47, v84, v47 :: v_dual_min_f32 v84, v89, v88
	v_add_f32_e32 v47, v47, v84
	s_delay_alu instid0(VALU_DEP_1) | instskip(NEXT) | instid1(VALU_DEP_1)
	v_add_f32_e32 v47, v64, v47
	v_add_f32_e32 v46, v47, v46
	global_store_b32 v[40:41], v46, off
	s_or_b32 exec_lo, exec_lo, s9
	s_and_b32 s9, s7, s8
	s_delay_alu instid0(SALU_CYCLE_1)
	s_and_saveexec_b32 s8, s9
	s_cbranch_execz .LBB81_154
.LBB81_150:
	v_cmp_ne_u32_e32 vcc_lo, 1, v101
	v_lshlrev_b64 v[40:41], 2, v[62:63]
	s_cbranch_vccnz .LBB81_152
; %bb.151:
	s_delay_alu instid0(VALU_DEP_1) | instskip(NEXT) | instid1(VALU_DEP_2)
	v_add_co_u32 v44, vcc_lo, v44, v40
	v_add_co_ci_u32_e32 v45, vcc_lo, v45, v41, vcc_lo
	flat_load_b32 v44, v[44:45]
	s_waitcnt vmcnt(0) lgkmcnt(0)
	v_mul_f32_e32 v44, s13, v44
	s_branch .LBB81_153
.LBB81_152:
	v_mov_b32_e32 v44, 0
.LBB81_153:
	v_dual_max_f32 v37, v37, v37 :: v_dual_max_f32 v36, v36, v36
	v_dual_max_f32 v45, v1, v1 :: v_dual_max_f32 v46, v0, v0
	;; [unrolled: 1-line block ×3, first 2 shown]
	s_delay_alu instid0(VALU_DEP_2) | instskip(SKIP_1) | instid1(VALU_DEP_2)
	v_dual_min_f32 v37, v45, v37 :: v_dual_min_f32 v36, v46, v36
	v_max_f32_e32 v47, v3, v3
	v_dual_add_f32 v37, v83, v37 :: v_dual_add_f32 v36, v82, v36
	s_delay_alu instid0(VALU_DEP_2) | instskip(NEXT) | instid1(VALU_DEP_1)
	v_min_f32_e32 v39, v47, v39
	v_add_f32_e32 v37, v37, v39
	v_max_f32_e32 v45, v2, v2
	s_delay_alu instid0(VALU_DEP_1) | instskip(NEXT) | instid1(VALU_DEP_1)
	v_min_f32_e32 v38, v45, v38
	v_add_f32_e32 v36, v36, v38
	s_delay_alu instid0(VALU_DEP_1) | instskip(NEXT) | instid1(VALU_DEP_1)
	v_add_f32_e32 v36, v36, v37
	v_add_f32_e32 v38, v36, v44
	v_add_co_u32 v36, vcc_lo, v42, v40
	v_add_co_ci_u32_e32 v37, vcc_lo, v43, v41, vcc_lo
	global_store_b32 v[36:37], v38, off
.LBB81_154:
	s_or_b32 exec_lo, exec_lo, s8
	v_add_nc_u32_e32 v40, 0x60, v117
	s_delay_alu instid0(VALU_DEP_1) | instskip(SKIP_2) | instid1(VALU_DEP_3)
	v_mad_i64_i32 v[36:37], null, v40, s18, 0
	v_mad_i64_i32 v[38:39], null, v40, s15, 0
	v_cmp_gt_i32_e64 s8, s17, v40
	v_lshlrev_b64 v[36:37], 2, v[36:37]
	s_delay_alu instid0(VALU_DEP_2) | instskip(NEXT) | instid1(VALU_DEP_3)
	s_and_b32 s9, s0, s8
	v_lshlrev_b64 v[38:39], 2, v[38:39]
	s_delay_alu instid0(VALU_DEP_2) | instskip(NEXT) | instid1(VALU_DEP_3)
	v_add_co_u32 v40, vcc_lo, s10, v36
	v_add_co_ci_u32_e32 v41, vcc_lo, s11, v37, vcc_lo
	s_delay_alu instid0(VALU_DEP_3) | instskip(NEXT) | instid1(VALU_DEP_4)
	v_add_co_u32 v38, vcc_lo, s12, v38
	v_add_co_ci_u32_e32 v39, vcc_lo, s14, v39, vcc_lo
	s_and_saveexec_b32 s0, s9
	s_cbranch_execnz .LBB81_163
; %bb.155:
	s_or_b32 exec_lo, exec_lo, s0
	s_and_b32 s1, s1, s8
	s_delay_alu instid0(SALU_CYCLE_1)
	s_and_saveexec_b32 s0, s1
	s_cbranch_execnz .LBB81_167
.LBB81_156:
	s_or_b32 exec_lo, exec_lo, s0
	s_and_b32 s1, s2, s8
	s_delay_alu instid0(SALU_CYCLE_1)
	s_and_saveexec_b32 s0, s1
	s_cbranch_execnz .LBB81_171
.LBB81_157:
	s_or_b32 exec_lo, exec_lo, s0
	s_and_b32 s1, s3, s8
	s_delay_alu instid0(SALU_CYCLE_1)
	s_and_saveexec_b32 s0, s1
	s_cbranch_execnz .LBB81_175
.LBB81_158:
	s_or_b32 exec_lo, exec_lo, s0
	s_and_b32 s1, s4, s8
	s_delay_alu instid0(SALU_CYCLE_1)
	s_and_saveexec_b32 s0, s1
	s_cbranch_execnz .LBB81_179
.LBB81_159:
	s_or_b32 exec_lo, exec_lo, s0
	s_and_b32 s1, s5, s8
	s_delay_alu instid0(SALU_CYCLE_1)
	s_and_saveexec_b32 s0, s1
	s_cbranch_execnz .LBB81_183
.LBB81_160:
	s_or_b32 exec_lo, exec_lo, s0
	s_and_b32 s1, s6, s8
	s_delay_alu instid0(SALU_CYCLE_1)
	s_and_saveexec_b32 s0, s1
	s_cbranch_execnz .LBB81_187
.LBB81_161:
	s_or_b32 exec_lo, exec_lo, s0
	s_and_b32 s0, s7, s8
	s_delay_alu instid0(SALU_CYCLE_1)
	s_and_saveexec_b32 s1, s0
	s_cbranch_execnz .LBB81_191
.LBB81_162:
	s_nop 0
	s_sendmsg sendmsg(MSG_DEALLOC_VGPRS)
	s_endpgm
.LBB81_163:
	v_cmp_ne_u32_e32 vcc_lo, 1, v101
	v_lshlrev_b64 v[36:37], 2, v[48:49]
	s_cbranch_vccnz .LBB81_165
; %bb.164:
	s_delay_alu instid0(VALU_DEP_1) | instskip(NEXT) | instid1(VALU_DEP_2)
	v_add_co_u32 v42, vcc_lo, v40, v36
	v_add_co_ci_u32_e32 v43, vcc_lo, v41, v37, vcc_lo
	flat_load_b32 v42, v[42:43]
	s_waitcnt vmcnt(0) lgkmcnt(0)
	v_mul_f32_e32 v42, s13, v42
	s_branch .LBB81_166
.LBB81_165:
	v_mov_b32_e32 v42, 0
.LBB81_166:
	v_dual_max_f32 v43, v5, v5 :: v_dual_max_f32 v44, v4, v4
	v_dual_max_f32 v33, v33, v33 :: v_dual_max_f32 v32, v32, v32
	v_max_f32_e32 v45, v6, v6
	s_delay_alu instid0(VALU_DEP_2) | instskip(NEXT) | instid1(VALU_DEP_3)
	v_dual_max_f32 v34, v34, v34 :: v_dual_min_f32 v33, v33, v43
	v_dual_min_f32 v32, v32, v44 :: v_dual_max_f32 v43, v7, v7
	s_delay_alu instid0(VALU_DEP_2) | instskip(NEXT) | instid1(VALU_DEP_2)
	v_dual_min_f32 v34, v34, v45 :: v_dual_max_f32 v35, v35, v35
	v_dual_add_f32 v33, v80, v33 :: v_dual_add_f32 v32, v81, v32
	s_delay_alu instid0(VALU_DEP_1) | instskip(NEXT) | instid1(VALU_DEP_1)
	v_dual_min_f32 v35, v35, v43 :: v_dual_add_f32 v32, v32, v34
	v_add_f32_e32 v33, v33, v35
	s_delay_alu instid0(VALU_DEP_1) | instskip(NEXT) | instid1(VALU_DEP_1)
	v_add_f32_e32 v32, v32, v33
	v_add_f32_e32 v34, v32, v42
	v_add_co_u32 v32, vcc_lo, v38, v36
	v_add_co_ci_u32_e32 v33, vcc_lo, v39, v37, vcc_lo
	global_store_b32 v[32:33], v34, off
	s_or_b32 exec_lo, exec_lo, s0
	s_and_b32 s1, s1, s8
	s_delay_alu instid0(SALU_CYCLE_1)
	s_and_saveexec_b32 s0, s1
	s_cbranch_execz .LBB81_156
.LBB81_167:
	v_cmp_ne_u32_e32 vcc_lo, 1, v101
	v_lshlrev_b64 v[32:33], 2, v[50:51]
	s_cbranch_vccnz .LBB81_169
; %bb.168:
	s_delay_alu instid0(VALU_DEP_1) | instskip(NEXT) | instid1(VALU_DEP_2)
	v_add_co_u32 v34, vcc_lo, v40, v32
	v_add_co_ci_u32_e32 v35, vcc_lo, v41, v33, vcc_lo
	flat_load_b32 v34, v[34:35]
	s_waitcnt vmcnt(0) lgkmcnt(0)
	v_mul_f32_e32 v34, s13, v34
	s_branch .LBB81_170
.LBB81_169:
	v_mov_b32_e32 v34, 0
.LBB81_170:
	v_dual_max_f32 v35, v5, v5 :: v_dual_max_f32 v36, v4, v4
	v_dual_max_f32 v29, v29, v29 :: v_dual_max_f32 v28, v28, v28
	v_max_f32_e32 v37, v6, v6
	s_delay_alu instid0(VALU_DEP_2) | instskip(NEXT) | instid1(VALU_DEP_3)
	v_dual_max_f32 v30, v30, v30 :: v_dual_min_f32 v29, v29, v35
	v_dual_min_f32 v28, v28, v36 :: v_dual_max_f32 v35, v7, v7
	s_delay_alu instid0(VALU_DEP_2) | instskip(NEXT) | instid1(VALU_DEP_2)
	v_dual_min_f32 v30, v30, v37 :: v_dual_max_f32 v31, v31, v31
	v_dual_add_f32 v28, v78, v28 :: v_dual_add_f32 v29, v79, v29
	s_delay_alu instid0(VALU_DEP_1) | instskip(NEXT) | instid1(VALU_DEP_1)
	v_dual_add_f32 v28, v28, v30 :: v_dual_min_f32 v31, v31, v35
	v_add_f32_e32 v29, v29, v31
	s_delay_alu instid0(VALU_DEP_1) | instskip(NEXT) | instid1(VALU_DEP_1)
	v_add_f32_e32 v28, v28, v29
	v_add_f32_e32 v30, v28, v34
	v_add_co_u32 v28, vcc_lo, v38, v32
	v_add_co_ci_u32_e32 v29, vcc_lo, v39, v33, vcc_lo
	global_store_b32 v[28:29], v30, off
	s_or_b32 exec_lo, exec_lo, s0
	s_and_b32 s1, s2, s8
	s_delay_alu instid0(SALU_CYCLE_1)
	s_and_saveexec_b32 s0, s1
	s_cbranch_execz .LBB81_157
.LBB81_171:
	v_cmp_ne_u32_e32 vcc_lo, 1, v101
	v_lshlrev_b64 v[28:29], 2, v[52:53]
	s_cbranch_vccnz .LBB81_173
; %bb.172:
	s_delay_alu instid0(VALU_DEP_1) | instskip(NEXT) | instid1(VALU_DEP_2)
	v_add_co_u32 v30, vcc_lo, v40, v28
	v_add_co_ci_u32_e32 v31, vcc_lo, v41, v29, vcc_lo
	flat_load_b32 v30, v[30:31]
	s_waitcnt vmcnt(0) lgkmcnt(0)
	v_mul_f32_e32 v30, s13, v30
	s_branch .LBB81_174
.LBB81_173:
	v_mov_b32_e32 v30, 0
.LBB81_174:
	v_dual_max_f32 v31, v5, v5 :: v_dual_max_f32 v32, v4, v4
	v_dual_max_f32 v25, v25, v25 :: v_dual_max_f32 v24, v24, v24
	v_max_f32_e32 v33, v6, v6
	s_delay_alu instid0(VALU_DEP_2) | instskip(NEXT) | instid1(VALU_DEP_3)
	v_dual_max_f32 v26, v26, v26 :: v_dual_min_f32 v25, v25, v31
	v_dual_min_f32 v24, v24, v32 :: v_dual_max_f32 v31, v7, v7
	s_delay_alu instid0(VALU_DEP_2) | instskip(NEXT) | instid1(VALU_DEP_2)
	v_dual_min_f32 v26, v26, v33 :: v_dual_max_f32 v27, v27, v27
	v_dual_add_f32 v25, v76, v25 :: v_dual_add_f32 v24, v77, v24
	s_delay_alu instid0(VALU_DEP_1) | instskip(NEXT) | instid1(VALU_DEP_1)
	v_dual_min_f32 v27, v27, v31 :: v_dual_add_f32 v24, v24, v26
	v_add_f32_e32 v25, v25, v27
	s_delay_alu instid0(VALU_DEP_1) | instskip(NEXT) | instid1(VALU_DEP_1)
	v_add_f32_e32 v24, v24, v25
	v_add_f32_e32 v26, v24, v30
	v_add_co_u32 v24, vcc_lo, v38, v28
	v_add_co_ci_u32_e32 v25, vcc_lo, v39, v29, vcc_lo
	global_store_b32 v[24:25], v26, off
	s_or_b32 exec_lo, exec_lo, s0
	s_and_b32 s1, s3, s8
	s_delay_alu instid0(SALU_CYCLE_1)
	s_and_saveexec_b32 s0, s1
	s_cbranch_execz .LBB81_158
.LBB81_175:
	v_cmp_ne_u32_e32 vcc_lo, 1, v101
	v_lshlrev_b64 v[24:25], 2, v[54:55]
	s_cbranch_vccnz .LBB81_177
; %bb.176:
	s_delay_alu instid0(VALU_DEP_1) | instskip(NEXT) | instid1(VALU_DEP_2)
	v_add_co_u32 v26, vcc_lo, v40, v24
	v_add_co_ci_u32_e32 v27, vcc_lo, v41, v25, vcc_lo
	flat_load_b32 v26, v[26:27]
	s_waitcnt vmcnt(0) lgkmcnt(0)
	v_mul_f32_e32 v26, s13, v26
	s_branch .LBB81_178
.LBB81_177:
	v_mov_b32_e32 v26, 0
.LBB81_178:
	v_dual_max_f32 v27, v5, v5 :: v_dual_max_f32 v28, v4, v4
	v_dual_max_f32 v21, v21, v21 :: v_dual_max_f32 v20, v20, v20
	v_max_f32_e32 v29, v6, v6
	s_delay_alu instid0(VALU_DEP_2) | instskip(NEXT) | instid1(VALU_DEP_3)
	v_dual_max_f32 v22, v22, v22 :: v_dual_min_f32 v21, v21, v27
	v_dual_min_f32 v20, v20, v28 :: v_dual_max_f32 v27, v7, v7
	s_delay_alu instid0(VALU_DEP_2) | instskip(NEXT) | instid1(VALU_DEP_2)
	v_min_f32_e32 v22, v22, v29
	v_dual_add_f32 v21, v74, v21 :: v_dual_add_f32 v20, v75, v20
	s_delay_alu instid0(VALU_DEP_1) | instskip(NEXT) | instid1(VALU_DEP_1)
	v_dual_max_f32 v23, v23, v23 :: v_dual_add_f32 v20, v20, v22
	v_min_f32_e32 v23, v23, v27
	s_delay_alu instid0(VALU_DEP_1) | instskip(NEXT) | instid1(VALU_DEP_1)
	v_add_f32_e32 v21, v21, v23
	v_add_f32_e32 v20, v20, v21
	s_delay_alu instid0(VALU_DEP_1)
	v_add_f32_e32 v22, v20, v26
	v_add_co_u32 v20, vcc_lo, v38, v24
	v_add_co_ci_u32_e32 v21, vcc_lo, v39, v25, vcc_lo
	global_store_b32 v[20:21], v22, off
	s_or_b32 exec_lo, exec_lo, s0
	s_and_b32 s1, s4, s8
	s_delay_alu instid0(SALU_CYCLE_1)
	s_and_saveexec_b32 s0, s1
	s_cbranch_execz .LBB81_159
.LBB81_179:
	v_cmp_ne_u32_e32 vcc_lo, 1, v101
	v_lshlrev_b64 v[20:21], 2, v[56:57]
	s_cbranch_vccnz .LBB81_181
; %bb.180:
	s_delay_alu instid0(VALU_DEP_1) | instskip(NEXT) | instid1(VALU_DEP_2)
	v_add_co_u32 v22, vcc_lo, v40, v20
	v_add_co_ci_u32_e32 v23, vcc_lo, v41, v21, vcc_lo
	flat_load_b32 v22, v[22:23]
	s_waitcnt vmcnt(0) lgkmcnt(0)
	v_mul_f32_e32 v22, s13, v22
	s_branch .LBB81_182
.LBB81_181:
	v_mov_b32_e32 v22, 0
.LBB81_182:
	v_dual_max_f32 v23, v5, v5 :: v_dual_max_f32 v24, v4, v4
	v_dual_max_f32 v17, v17, v17 :: v_dual_max_f32 v16, v16, v16
	v_max_f32_e32 v25, v6, v6
	s_delay_alu instid0(VALU_DEP_2) | instskip(NEXT) | instid1(VALU_DEP_3)
	v_dual_max_f32 v18, v18, v18 :: v_dual_min_f32 v17, v17, v23
	v_dual_min_f32 v16, v16, v24 :: v_dual_max_f32 v23, v7, v7
	s_delay_alu instid0(VALU_DEP_2) | instskip(NEXT) | instid1(VALU_DEP_2)
	v_dual_min_f32 v18, v18, v25 :: v_dual_max_f32 v19, v19, v19
	v_dual_add_f32 v16, v72, v16 :: v_dual_add_f32 v17, v73, v17
	s_delay_alu instid0(VALU_DEP_1) | instskip(NEXT) | instid1(VALU_DEP_1)
	v_dual_add_f32 v16, v16, v18 :: v_dual_min_f32 v19, v19, v23
	v_add_f32_e32 v17, v17, v19
	s_delay_alu instid0(VALU_DEP_1) | instskip(NEXT) | instid1(VALU_DEP_1)
	v_add_f32_e32 v16, v16, v17
	v_add_f32_e32 v18, v16, v22
	v_add_co_u32 v16, vcc_lo, v38, v20
	v_add_co_ci_u32_e32 v17, vcc_lo, v39, v21, vcc_lo
	global_store_b32 v[16:17], v18, off
	s_or_b32 exec_lo, exec_lo, s0
	s_and_b32 s1, s5, s8
	s_delay_alu instid0(SALU_CYCLE_1)
	s_and_saveexec_b32 s0, s1
	s_cbranch_execz .LBB81_160
.LBB81_183:
	v_cmp_ne_u32_e32 vcc_lo, 1, v101
	v_lshlrev_b64 v[16:17], 2, v[58:59]
	s_cbranch_vccnz .LBB81_185
; %bb.184:
	s_delay_alu instid0(VALU_DEP_1) | instskip(NEXT) | instid1(VALU_DEP_2)
	v_add_co_u32 v18, vcc_lo, v40, v16
	v_add_co_ci_u32_e32 v19, vcc_lo, v41, v17, vcc_lo
	flat_load_b32 v18, v[18:19]
	s_waitcnt vmcnt(0) lgkmcnt(0)
	v_mul_f32_e32 v18, s13, v18
	s_branch .LBB81_186
.LBB81_185:
	v_mov_b32_e32 v18, 0
.LBB81_186:
	v_dual_max_f32 v19, v5, v5 :: v_dual_max_f32 v20, v4, v4
	v_dual_max_f32 v13, v13, v13 :: v_dual_max_f32 v12, v12, v12
	v_max_f32_e32 v21, v6, v6
	s_delay_alu instid0(VALU_DEP_2) | instskip(NEXT) | instid1(VALU_DEP_3)
	v_dual_max_f32 v14, v14, v14 :: v_dual_min_f32 v13, v13, v19
	v_dual_min_f32 v12, v12, v20 :: v_dual_max_f32 v19, v7, v7
	s_delay_alu instid0(VALU_DEP_2) | instskip(NEXT) | instid1(VALU_DEP_2)
	v_min_f32_e32 v14, v14, v21
	v_dual_add_f32 v13, v70, v13 :: v_dual_add_f32 v12, v71, v12
	s_delay_alu instid0(VALU_DEP_1) | instskip(NEXT) | instid1(VALU_DEP_1)
	v_dual_max_f32 v15, v15, v15 :: v_dual_add_f32 v12, v12, v14
	v_min_f32_e32 v15, v15, v19
	s_delay_alu instid0(VALU_DEP_1) | instskip(NEXT) | instid1(VALU_DEP_1)
	v_add_f32_e32 v13, v13, v15
	v_add_f32_e32 v12, v12, v13
	s_delay_alu instid0(VALU_DEP_1)
	v_add_f32_e32 v14, v12, v18
	v_add_co_u32 v12, vcc_lo, v38, v16
	v_add_co_ci_u32_e32 v13, vcc_lo, v39, v17, vcc_lo
	global_store_b32 v[12:13], v14, off
	s_or_b32 exec_lo, exec_lo, s0
	s_and_b32 s1, s6, s8
	s_delay_alu instid0(SALU_CYCLE_1)
	s_and_saveexec_b32 s0, s1
	s_cbranch_execz .LBB81_161
.LBB81_187:
	v_cmp_ne_u32_e32 vcc_lo, 1, v101
	v_lshlrev_b64 v[12:13], 2, v[60:61]
	s_cbranch_vccnz .LBB81_189
; %bb.188:
	s_delay_alu instid0(VALU_DEP_1) | instskip(NEXT) | instid1(VALU_DEP_2)
	v_add_co_u32 v14, vcc_lo, v40, v12
	v_add_co_ci_u32_e32 v15, vcc_lo, v41, v13, vcc_lo
	flat_load_b32 v14, v[14:15]
	s_waitcnt vmcnt(0) lgkmcnt(0)
	v_mul_f32_e32 v14, s13, v14
	s_branch .LBB81_190
.LBB81_189:
	v_mov_b32_e32 v14, 0
.LBB81_190:
	v_dual_max_f32 v15, v5, v5 :: v_dual_max_f32 v16, v4, v4
	v_dual_max_f32 v9, v9, v9 :: v_dual_max_f32 v8, v8, v8
	v_max_f32_e32 v17, v6, v6
	s_delay_alu instid0(VALU_DEP_2) | instskip(NEXT) | instid1(VALU_DEP_3)
	v_dual_max_f32 v10, v10, v10 :: v_dual_min_f32 v9, v9, v15
	v_dual_min_f32 v8, v8, v16 :: v_dual_max_f32 v15, v7, v7
	s_delay_alu instid0(VALU_DEP_2) | instskip(NEXT) | instid1(VALU_DEP_2)
	v_dual_min_f32 v10, v10, v17 :: v_dual_max_f32 v11, v11, v11
	v_dual_add_f32 v8, v68, v8 :: v_dual_add_f32 v9, v69, v9
	s_delay_alu instid0(VALU_DEP_1) | instskip(NEXT) | instid1(VALU_DEP_1)
	v_dual_add_f32 v8, v8, v10 :: v_dual_min_f32 v11, v11, v15
	v_add_f32_e32 v9, v9, v11
	s_delay_alu instid0(VALU_DEP_1) | instskip(NEXT) | instid1(VALU_DEP_1)
	v_add_f32_e32 v8, v8, v9
	v_add_f32_e32 v10, v8, v14
	v_add_co_u32 v8, vcc_lo, v38, v12
	v_add_co_ci_u32_e32 v9, vcc_lo, v39, v13, vcc_lo
	global_store_b32 v[8:9], v10, off
	s_or_b32 exec_lo, exec_lo, s0
	s_and_b32 s0, s7, s8
	s_delay_alu instid0(SALU_CYCLE_1)
	s_and_saveexec_b32 s1, s0
	s_cbranch_execz .LBB81_162
.LBB81_191:
	v_cmp_ne_u32_e32 vcc_lo, 1, v101
	v_lshlrev_b64 v[8:9], 2, v[62:63]
	s_cbranch_vccnz .LBB81_193
; %bb.192:
	s_delay_alu instid0(VALU_DEP_1) | instskip(NEXT) | instid1(VALU_DEP_2)
	v_add_co_u32 v10, vcc_lo, v40, v8
	v_add_co_ci_u32_e32 v11, vcc_lo, v41, v9, vcc_lo
	flat_load_b32 v10, v[10:11]
	s_waitcnt vmcnt(0) lgkmcnt(0)
	v_mul_f32_e32 v10, s13, v10
	s_branch .LBB81_194
.LBB81_193:
	v_mov_b32_e32 v10, 0
.LBB81_194:
	v_dual_max_f32 v5, v5, v5 :: v_dual_max_f32 v4, v4, v4
	v_dual_max_f32 v1, v1, v1 :: v_dual_max_f32 v0, v0, v0
	v_max_f32_e32 v6, v6, v6
	v_dual_max_f32 v2, v2, v2 :: v_dual_max_f32 v3, v3, v3
	s_delay_alu instid0(VALU_DEP_3) | instskip(NEXT) | instid1(VALU_DEP_2)
	v_dual_min_f32 v1, v1, v5 :: v_dual_min_f32 v0, v0, v4
	v_dual_max_f32 v5, v7, v7 :: v_dual_min_f32 v2, v2, v6
	s_delay_alu instid0(VALU_DEP_2) | instskip(NEXT) | instid1(VALU_DEP_1)
	v_dual_add_f32 v1, v67, v1 :: v_dual_add_f32 v0, v66, v0
	v_dual_min_f32 v3, v3, v5 :: v_dual_add_f32 v0, v0, v2
	s_delay_alu instid0(VALU_DEP_1) | instskip(NEXT) | instid1(VALU_DEP_1)
	v_add_f32_e32 v1, v1, v3
	v_add_f32_e32 v0, v0, v1
	s_delay_alu instid0(VALU_DEP_1)
	v_add_f32_e32 v2, v0, v10
	v_add_co_u32 v0, vcc_lo, v38, v8
	v_add_co_ci_u32_e32 v1, vcc_lo, v39, v9, vcc_lo
	global_store_b32 v[0:1], v2, off
	s_nop 0
	s_sendmsg sendmsg(MSG_DEALLOC_VGPRS)
	s_endpgm
	.section	.rodata,"a",@progbits
	.p2align	6, 0x0
	.amdhsa_kernel _ZN12_GLOBAL__N_120geam_min_plus_kernelIf15HIP_vector_typeIfLj2EES2_Li8ELi32ELi64ELi128ELi4ELi64ELi4ELi4ELi64ELc78ELc78ELb0ELb1ELb0EPKfS3_fEEviiiT16_PT17_ilS7_ilS5_S7_ilPT18_ili26rocblas_geam_ex_operation_
		.amdhsa_group_segment_fixed_size 6144
		.amdhsa_private_segment_fixed_size 0
		.amdhsa_kernarg_size 136
		.amdhsa_user_sgpr_count 14
		.amdhsa_user_sgpr_dispatch_ptr 0
		.amdhsa_user_sgpr_queue_ptr 0
		.amdhsa_user_sgpr_kernarg_segment_ptr 1
		.amdhsa_user_sgpr_dispatch_id 0
		.amdhsa_user_sgpr_private_segment_size 0
		.amdhsa_wavefront_size32 1
		.amdhsa_uses_dynamic_stack 0
		.amdhsa_enable_private_segment 0
		.amdhsa_system_sgpr_workgroup_id_x 1
		.amdhsa_system_sgpr_workgroup_id_y 0
		.amdhsa_system_sgpr_workgroup_id_z 1
		.amdhsa_system_sgpr_workgroup_info 0
		.amdhsa_system_vgpr_workitem_id 1
		.amdhsa_next_free_vgpr 233
		.amdhsa_next_free_sgpr 29
		.amdhsa_reserve_vcc 1
		.amdhsa_float_round_mode_32 0
		.amdhsa_float_round_mode_16_64 0
		.amdhsa_float_denorm_mode_32 3
		.amdhsa_float_denorm_mode_16_64 3
		.amdhsa_dx10_clamp 1
		.amdhsa_ieee_mode 1
		.amdhsa_fp16_overflow 0
		.amdhsa_workgroup_processor_mode 1
		.amdhsa_memory_ordered 1
		.amdhsa_forward_progress 0
		.amdhsa_shared_vgpr_count 0
		.amdhsa_exception_fp_ieee_invalid_op 0
		.amdhsa_exception_fp_denorm_src 0
		.amdhsa_exception_fp_ieee_div_zero 0
		.amdhsa_exception_fp_ieee_overflow 0
		.amdhsa_exception_fp_ieee_underflow 0
		.amdhsa_exception_fp_ieee_inexact 0
		.amdhsa_exception_int_div_zero 0
	.end_amdhsa_kernel
	.section	.text._ZN12_GLOBAL__N_120geam_min_plus_kernelIf15HIP_vector_typeIfLj2EES2_Li8ELi32ELi64ELi128ELi4ELi64ELi4ELi4ELi64ELc78ELc78ELb0ELb1ELb0EPKfS3_fEEviiiT16_PT17_ilS7_ilS5_S7_ilPT18_ili26rocblas_geam_ex_operation_,"axG",@progbits,_ZN12_GLOBAL__N_120geam_min_plus_kernelIf15HIP_vector_typeIfLj2EES2_Li8ELi32ELi64ELi128ELi4ELi64ELi4ELi4ELi64ELc78ELc78ELb0ELb1ELb0EPKfS3_fEEviiiT16_PT17_ilS7_ilS5_S7_ilPT18_ili26rocblas_geam_ex_operation_,comdat
.Lfunc_end81:
	.size	_ZN12_GLOBAL__N_120geam_min_plus_kernelIf15HIP_vector_typeIfLj2EES2_Li8ELi32ELi64ELi128ELi4ELi64ELi4ELi4ELi64ELc78ELc78ELb0ELb1ELb0EPKfS3_fEEviiiT16_PT17_ilS7_ilS5_S7_ilPT18_ili26rocblas_geam_ex_operation_, .Lfunc_end81-_ZN12_GLOBAL__N_120geam_min_plus_kernelIf15HIP_vector_typeIfLj2EES2_Li8ELi32ELi64ELi128ELi4ELi64ELi4ELi4ELi64ELc78ELc78ELb0ELb1ELb0EPKfS3_fEEviiiT16_PT17_ilS7_ilS5_S7_ilPT18_ili26rocblas_geam_ex_operation_
                                        ; -- End function
	.section	.AMDGPU.csdata,"",@progbits
; Kernel info:
; codeLenInByte = 13400
; NumSgprs: 31
; NumVgprs: 233
; ScratchSize: 0
; MemoryBound: 0
; FloatMode: 240
; IeeeMode: 1
; LDSByteSize: 6144 bytes/workgroup (compile time only)
; SGPRBlocks: 3
; VGPRBlocks: 29
; NumSGPRsForWavesPerEU: 31
; NumVGPRsForWavesPerEU: 233
; Occupancy: 6
; WaveLimiterHint : 0
; COMPUTE_PGM_RSRC2:SCRATCH_EN: 0
; COMPUTE_PGM_RSRC2:USER_SGPR: 14
; COMPUTE_PGM_RSRC2:TRAP_HANDLER: 0
; COMPUTE_PGM_RSRC2:TGID_X_EN: 1
; COMPUTE_PGM_RSRC2:TGID_Y_EN: 0
; COMPUTE_PGM_RSRC2:TGID_Z_EN: 1
; COMPUTE_PGM_RSRC2:TIDIG_COMP_CNT: 1
	.section	.text._ZN12_GLOBAL__N_120geam_min_plus_kernelIf15HIP_vector_typeIfLj2EES2_Li8ELi32ELi64ELi128ELi4ELi64ELi4ELi4ELi64ELc78ELc78ELb1ELb1ELb0EfKffEEviiiT16_PT17_ilS6_ilS4_S6_ilPT18_ili26rocblas_geam_ex_operation_,"axG",@progbits,_ZN12_GLOBAL__N_120geam_min_plus_kernelIf15HIP_vector_typeIfLj2EES2_Li8ELi32ELi64ELi128ELi4ELi64ELi4ELi4ELi64ELc78ELc78ELb1ELb1ELb0EfKffEEviiiT16_PT17_ilS6_ilS4_S6_ilPT18_ili26rocblas_geam_ex_operation_,comdat
	.globl	_ZN12_GLOBAL__N_120geam_min_plus_kernelIf15HIP_vector_typeIfLj2EES2_Li8ELi32ELi64ELi128ELi4ELi64ELi4ELi4ELi64ELc78ELc78ELb1ELb1ELb0EfKffEEviiiT16_PT17_ilS6_ilS4_S6_ilPT18_ili26rocblas_geam_ex_operation_ ; -- Begin function _ZN12_GLOBAL__N_120geam_min_plus_kernelIf15HIP_vector_typeIfLj2EES2_Li8ELi32ELi64ELi128ELi4ELi64ELi4ELi4ELi64ELc78ELc78ELb1ELb1ELb0EfKffEEviiiT16_PT17_ilS6_ilS4_S6_ilPT18_ili26rocblas_geam_ex_operation_
	.p2align	8
	.type	_ZN12_GLOBAL__N_120geam_min_plus_kernelIf15HIP_vector_typeIfLj2EES2_Li8ELi32ELi64ELi128ELi4ELi64ELi4ELi4ELi64ELc78ELc78ELb1ELb1ELb0EfKffEEviiiT16_PT17_ilS6_ilS4_S6_ilPT18_ili26rocblas_geam_ex_operation_,@function
_ZN12_GLOBAL__N_120geam_min_plus_kernelIf15HIP_vector_typeIfLj2EES2_Li8ELi32ELi64ELi128ELi4ELi64ELi4ELi4ELi64ELc78ELc78ELb1ELb1ELb0EfKffEEviiiT16_PT17_ilS6_ilS4_S6_ilPT18_ili26rocblas_geam_ex_operation_: ; @_ZN12_GLOBAL__N_120geam_min_plus_kernelIf15HIP_vector_typeIfLj2EES2_Li8ELi32ELi64ELi128ELi4ELi64ELi4ELi4ELi64ELc78ELc78ELb1ELb1ELb0EfKffEEviiiT16_PT17_ilS6_ilS4_S6_ilPT18_ili26rocblas_geam_ex_operation_
; %bb.0:
	s_clause 0x1
	s_load_b128 s[16:19], s[0:1], 0x0
	s_load_b128 s[4:7], s[0:1], 0x20
	s_waitcnt lgkmcnt(0)
	v_cmp_eq_f32_e64 s2, s19, 0
	s_delay_alu instid0(VALU_DEP_1)
	s_and_b32 vcc_lo, exec_lo, s2
	s_cbranch_vccnz .LBB82_3
; %bb.1:
	s_load_b64 s[8:9], s[0:1], 0x10
	s_mul_i32 s3, s15, s5
	s_mul_hi_u32 s5, s15, s4
	s_mul_i32 s4, s15, s4
	s_add_i32 s5, s5, s3
	s_delay_alu instid0(SALU_CYCLE_1)
	s_lshl_b64 s[4:5], s[4:5], 2
	s_waitcnt lgkmcnt(0)
	s_add_u32 s12, s8, s4
	s_addc_u32 s13, s9, s5
	s_and_not1_b32 vcc_lo, exec_lo, s2
	s_cbranch_vccnz .LBB82_4
.LBB82_2:
	s_mov_b32 s23, 0
	s_mov_b64 s[8:9], 0
	s_cbranch_execz .LBB82_5
	s_branch .LBB82_6
.LBB82_3:
	s_mov_b64 s[12:13], 0
	s_and_not1_b32 vcc_lo, exec_lo, s2
	s_cbranch_vccz .LBB82_2
.LBB82_4:
	s_mov_b32 s23, -1
                                        ; implicit-def: $sgpr8_sgpr9
.LBB82_5:
	s_load_b64 s[2:3], s[0:1], 0x38
	s_mov_b32 s23, 0
	s_waitcnt lgkmcnt(0)
	s_mul_i32 s3, s15, s3
	s_mul_hi_u32 s4, s15, s2
	s_mul_i32 s2, s15, s2
	s_add_i32 s3, s4, s3
	s_delay_alu instid0(SALU_CYCLE_1) | instskip(NEXT) | instid1(SALU_CYCLE_1)
	s_lshl_b64 s[2:3], s[2:3], 2
	s_add_u32 s8, s6, s2
	s_addc_u32 s9, s7, s3
.LBB82_6:
	s_clause 0x1
	s_load_b32 s19, s[0:1], 0x40
	s_load_b128 s[4:7], s[0:1], 0x58
	s_waitcnt lgkmcnt(0)
	v_cmp_eq_f32_e64 s2, s19, 0
	v_cmp_neq_f32_e64 s22, s19, 0
	s_delay_alu instid0(VALU_DEP_2)
	s_and_b32 vcc_lo, exec_lo, s2
	s_cbranch_vccnz .LBB82_8
; %bb.7:
	s_load_b64 s[2:3], s[0:1], 0x48
	s_mul_i32 s5, s15, s5
	s_mul_hi_u32 s10, s15, s4
	s_delay_alu instid0(SALU_CYCLE_1) | instskip(SKIP_3) | instid1(SALU_CYCLE_1)
	s_add_i32 s5, s10, s5
	s_mul_i32 s10, s23, s4
	s_mul_i32 s4, s15, s4
	s_add_i32 s5, s5, s10
	s_lshl_b64 s[4:5], s[4:5], 2
	s_waitcnt lgkmcnt(0)
	s_add_u32 s10, s2, s4
	s_addc_u32 s11, s3, s5
	s_branch .LBB82_9
.LBB82_8:
	s_mov_b64 s[10:11], 0
.LBB82_9:
	s_add_i32 s2, s16, -1
	s_load_b32 s20, s[0:1], 0x18
	s_ashr_i32 s3, s2, 31
	v_dual_mov_b32 v9, 0 :: v_dual_and_b32 v52, 0x3ff, v0
	s_lshr_b32 s3, s3, 26
	v_bfe_u32 v53, v0, 10, 10
	s_add_i32 s2, s2, s3
	v_mov_b32_e32 v8, 0
	s_ashr_i32 s2, s2, 6
	s_delay_alu instid0(SALU_CYCLE_1) | instskip(SKIP_3) | instid1(VALU_DEP_2)
	s_add_i32 s3, s2, 1
	s_not_b32 s2, s2
	v_cvt_f32_u32_e32 v1, s3
	v_lshl_add_u32 v2, v53, 3, v52
	v_rcp_iflag_f32_e32 v1, v1
	s_delay_alu instid0(VALU_DEP_1) | instskip(SKIP_3) | instid1(VALU_DEP_1)
	v_and_b32_e32 v7, 63, v2
	v_lshrrev_b32_e32 v54, 6, v2
	s_waitcnt lgkmcnt(0)
	s_ashr_i32 s21, s20, 31
	v_cmp_gt_i32_e32 vcc_lo, s18, v54
	s_waitcnt_depctr 0xfff
	v_mul_f32_e32 v1, 0x4f7ffffe, v1
	s_delay_alu instid0(VALU_DEP_1) | instskip(NEXT) | instid1(VALU_DEP_1)
	v_cvt_u32_f32_e32 v1, v1
	v_readfirstlane_b32 s4, v1
	s_delay_alu instid0(VALU_DEP_1) | instskip(NEXT) | instid1(SALU_CYCLE_1)
	s_mul_i32 s2, s2, s4
	s_mul_hi_u32 s2, s4, s2
	s_delay_alu instid0(SALU_CYCLE_1) | instskip(NEXT) | instid1(SALU_CYCLE_1)
	s_add_i32 s4, s4, s2
	s_mul_hi_u32 s2, s14, s4
	s_delay_alu instid0(SALU_CYCLE_1) | instskip(SKIP_2) | instid1(SALU_CYCLE_1)
	s_mul_i32 s4, s2, s3
	s_add_i32 s5, s2, 1
	s_sub_i32 s4, s14, s4
	s_sub_i32 s24, s4, s3
	s_cmp_ge_u32 s4, s3
	s_cselect_b32 s2, s5, s2
	s_cselect_b32 s4, s24, s4
	s_add_i32 s5, s2, 1
	s_cmp_ge_u32 s4, s3
	s_cselect_b32 s4, s5, s2
	s_delay_alu instid0(SALU_CYCLE_1) | instskip(NEXT) | instid1(SALU_CYCLE_1)
	s_mul_i32 s2, s4, s3
	s_sub_i32 s2, s14, s2
	s_delay_alu instid0(SALU_CYCLE_1) | instskip(NEXT) | instid1(SALU_CYCLE_1)
	s_lshl_b32 s5, s2, 6
	v_or_b32_e32 v0, s5, v7
	s_delay_alu instid0(VALU_DEP_1) | instskip(SKIP_2) | instid1(VALU_DEP_3)
	v_cmp_gt_i32_e64 s2, s16, v0
	v_cmp_le_i32_e64 s3, s16, v0
	v_ashrrev_i32_e32 v1, 31, v0
	s_and_b32 s14, vcc_lo, s2
	s_delay_alu instid0(SALU_CYCLE_1)
	s_and_saveexec_b32 s2, s14
	s_cbranch_execz .LBB82_11
; %bb.10:
	v_mad_i64_i32 v[3:4], null, s20, v54, 0
	v_lshlrev_b64 v[5:6], 2, v[0:1]
	s_delay_alu instid0(VALU_DEP_2) | instskip(NEXT) | instid1(VALU_DEP_1)
	v_lshlrev_b64 v[3:4], 2, v[3:4]
	v_add_co_u32 v3, vcc_lo, s12, v3
	s_delay_alu instid0(VALU_DEP_2) | instskip(NEXT) | instid1(VALU_DEP_2)
	v_add_co_ci_u32_e32 v4, vcc_lo, s13, v4, vcc_lo
	v_add_co_u32 v3, vcc_lo, v3, v5
	s_delay_alu instid0(VALU_DEP_2)
	v_add_co_ci_u32_e32 v4, vcc_lo, v4, v6, vcc_lo
	flat_load_b32 v9, v[3:4]
.LBB82_11:
	s_or_b32 exec_lo, exec_lo, s2
	s_load_b32 s26, s[0:1], 0x30
	v_lshrrev_b32_e32 v10, 2, v2
	v_and_b32_e32 v55, 3, v52
	s_lshl_b32 s14, s4, 7
	s_delay_alu instid0(VALU_DEP_2) | instid1(SALU_CYCLE_1)
	v_add_nc_u32_e32 v2, s14, v10
	s_delay_alu instid0(VALU_DEP_2) | instskip(SKIP_1) | instid1(VALU_DEP_3)
	v_lshlrev_b32_e32 v56, 2, v55
	v_cmp_le_i32_e64 s4, s18, v55
	v_cmp_le_i32_e32 vcc_lo, s17, v2
	s_delay_alu instid0(VALU_DEP_3) | instskip(NEXT) | instid1(VALU_DEP_1)
	v_add_co_u32 v11, s2, s8, v56
	v_add_co_ci_u32_e64 v12, null, s9, 0, s2
	s_delay_alu instid0(VALU_DEP_4) | instskip(NEXT) | instid1(SALU_CYCLE_1)
	s_or_b32 s2, s4, vcc_lo
	s_xor_b32 s2, s2, -1
	s_delay_alu instid0(SALU_CYCLE_1)
	s_and_saveexec_b32 s24, s2
	s_cbranch_execz .LBB82_13
; %bb.12:
	s_waitcnt lgkmcnt(0)
	v_mad_i64_i32 v[3:4], null, v2, s26, 0
	s_delay_alu instid0(VALU_DEP_1) | instskip(NEXT) | instid1(VALU_DEP_1)
	v_lshlrev_b64 v[3:4], 2, v[3:4]
	v_add_co_u32 v3, s2, v11, v3
	s_delay_alu instid0(VALU_DEP_1)
	v_add_co_ci_u32_e64 v4, s2, v12, v4, s2
	flat_load_b32 v8, v[3:4]
.LBB82_13:
	s_or_b32 exec_lo, exec_lo, s24
	v_dual_mov_b32 v4, 0 :: v_dual_add_nc_u32 v3, 64, v2
	v_mov_b32_e32 v13, 0
	s_delay_alu instid0(VALU_DEP_2) | instskip(NEXT) | instid1(VALU_DEP_1)
	v_cmp_le_i32_e64 s2, s17, v3
	s_or_b32 s4, s4, s2
	s_delay_alu instid0(SALU_CYCLE_1) | instskip(NEXT) | instid1(SALU_CYCLE_1)
	s_xor_b32 s4, s4, -1
	s_and_saveexec_b32 s24, s4
	s_cbranch_execz .LBB82_15
; %bb.14:
	s_waitcnt lgkmcnt(0)
	v_mad_i64_i32 v[5:6], null, v3, s26, 0
	s_delay_alu instid0(VALU_DEP_1) | instskip(NEXT) | instid1(VALU_DEP_1)
	v_lshlrev_b64 v[5:6], 2, v[5:6]
	v_add_co_u32 v5, s4, v11, v5
	s_delay_alu instid0(VALU_DEP_1)
	v_add_co_ci_u32_e64 v6, s4, v12, v6, s4
	flat_load_b32 v13, v[5:6]
.LBB82_15:
	s_or_b32 exec_lo, exec_lo, s24
	v_add_nc_u32_e32 v5, 4, v54
	s_xor_b32 s24, s3, -1
	s_delay_alu instid0(VALU_DEP_1) | instskip(NEXT) | instid1(VALU_DEP_1)
	v_cmp_gt_i32_e64 s4, s18, v5
	s_and_b32 s3, s24, s4
	s_delay_alu instid0(SALU_CYCLE_1)
	s_and_saveexec_b32 s4, s3
	s_cbranch_execz .LBB82_17
; %bb.16:
	v_mad_u64_u32 v[14:15], null, s20, v5, 0
	s_delay_alu instid0(VALU_DEP_1) | instskip(NEXT) | instid1(VALU_DEP_1)
	v_mov_b32_e32 v4, v15
	v_mad_u64_u32 v[15:16], null, s21, v5, v[4:5]
	s_delay_alu instid0(VALU_DEP_1) | instskip(SKIP_1) | instid1(VALU_DEP_2)
	v_lshlrev_b64 v[4:5], 2, v[14:15]
	v_lshlrev_b64 v[14:15], 2, v[0:1]
	v_add_co_u32 v4, s3, s12, v4
	s_delay_alu instid0(VALU_DEP_1) | instskip(NEXT) | instid1(VALU_DEP_2)
	v_add_co_ci_u32_e64 v5, s3, s13, v5, s3
	v_add_co_u32 v4, s3, v4, v14
	s_delay_alu instid0(VALU_DEP_1)
	v_add_co_ci_u32_e64 v5, s3, v5, v15, s3
	flat_load_b32 v4, v[4:5]
.LBB82_17:
	s_or_b32 exec_lo, exec_lo, s4
	v_or_b32_e32 v5, 4, v55
	v_mov_b32_e32 v6, 0
	s_delay_alu instid0(VALU_DEP_2) | instskip(SKIP_1) | instid1(VALU_DEP_2)
	v_cmp_le_i32_e64 s3, s18, v5
	v_mov_b32_e32 v5, 0
	s_or_b32 s4, s3, vcc_lo
	s_delay_alu instid0(SALU_CYCLE_1) | instskip(NEXT) | instid1(SALU_CYCLE_1)
	s_xor_b32 s4, s4, -1
	s_and_saveexec_b32 s25, s4
	s_cbranch_execz .LBB82_19
; %bb.18:
	s_waitcnt lgkmcnt(0)
	v_mad_i64_i32 v[14:15], null, v2, s26, 0
	s_delay_alu instid0(VALU_DEP_1) | instskip(NEXT) | instid1(VALU_DEP_1)
	v_lshlrev_b64 v[14:15], 2, v[14:15]
	v_add_co_u32 v14, s4, v11, v14
	s_delay_alu instid0(VALU_DEP_1)
	v_add_co_ci_u32_e64 v15, s4, v12, v15, s4
	flat_load_b32 v6, v[14:15] offset:16
.LBB82_19:
	s_or_b32 exec_lo, exec_lo, s25
	s_or_b32 s3, s3, s2
	s_delay_alu instid0(SALU_CYCLE_1) | instskip(NEXT) | instid1(SALU_CYCLE_1)
	s_xor_b32 s3, s3, -1
	s_and_saveexec_b32 s4, s3
	s_cbranch_execz .LBB82_21
; %bb.20:
	s_waitcnt lgkmcnt(0)
	v_mad_i64_i32 v[14:15], null, v3, s26, 0
	s_delay_alu instid0(VALU_DEP_1) | instskip(NEXT) | instid1(VALU_DEP_1)
	v_lshlrev_b64 v[14:15], 2, v[14:15]
	v_add_co_u32 v11, s3, v11, v14
	s_delay_alu instid0(VALU_DEP_1)
	v_add_co_ci_u32_e64 v12, s3, v12, v15, s3
	flat_load_b32 v5, v[11:12] offset:16
.LBB82_21:
	s_or_b32 exec_lo, exec_lo, s4
	v_lshlrev_b32_e32 v7, 4, v7
	v_lshl_or_b32 v59, v10, 4, v56
	v_lshlrev_b32_e32 v58, 4, v53
	v_lshlrev_b32_e32 v57, 4, v52
	s_mov_b32 s25, 0
	v_lshl_add_u32 v7, v54, 2, v7
	s_cmp_lt_i32 s18, 9
	s_waitcnt vmcnt(0) lgkmcnt(0)
	ds_store_2addr_stride64_b32 v59, v8, v13 offset1:4
	ds_store_b32 v7, v9 offset:4096
	s_waitcnt lgkmcnt(0)
	s_barrier
	buffer_gl0_inv
	ds_load_b128 v[8:11], v58
	ds_load_b128 v[12:15], v57 offset:4096
	ds_load_b128 v[16:19], v57 offset:4224
	;; [unrolled: 1-line block ×11, first 2 shown]
	ds_store_b32 v7, v4 offset:5120
	ds_store_2addr_stride64_b32 v59, v6, v5 offset0:8 offset1:12
	s_waitcnt lgkmcnt(0)
	s_barrier
	buffer_gl0_inv
	v_max_f32_e32 v10, v10, v10
	v_max_f32_e32 v8, v8, v8
	v_dual_max_f32 v12, v12, v12 :: v_dual_max_f32 v9, v9, v9
	v_dual_max_f32 v17, v17, v17 :: v_dual_max_f32 v20, v20, v20
	;; [unrolled: 1-line block ×5, first 2 shown]
	s_delay_alu instid0(VALU_DEP_4) | instskip(NEXT) | instid1(VALU_DEP_4)
	v_dual_min_f32 v68, v20, v8 :: v_dual_max_f32 v25, v25, v25
	v_dual_min_f32 v73, v29, v9 :: v_dual_max_f32 v32, v32, v32
	v_dual_max_f32 v33, v33, v33 :: v_dual_max_f32 v36, v36, v36
	v_dual_max_f32 v37, v37, v37 :: v_dual_max_f32 v40, v40, v40
	v_dual_min_f32 v64, v12, v8 :: v_dual_min_f32 v65, v13, v9
	v_dual_min_f32 v66, v16, v8 :: v_dual_min_f32 v67, v17, v9
	;; [unrolled: 1-line block ×6, first 2 shown]
	v_dual_min_f32 v8, v40, v8 :: v_dual_max_f32 v41, v41, v41
	v_dual_max_f32 v44, v44, v44 :: v_dual_max_f32 v45, v45, v45
	v_dual_max_f32 v48, v48, v48 :: v_dual_max_f32 v39, v39, v39
	v_max_f32_e32 v11, v11, v11
	s_delay_alu instid0(VALU_DEP_4) | instskip(NEXT) | instid1(VALU_DEP_4)
	v_dual_min_f32 v9, v41, v9 :: v_dual_max_f32 v14, v14, v14
	v_dual_max_f32 v15, v15, v15 :: v_dual_min_f32 v78, v12, v44
	v_dual_min_f32 v79, v13, v45 :: v_dual_max_f32 v18, v18, v18
	v_dual_max_f32 v19, v19, v19 :: v_dual_min_f32 v80, v16, v44
	v_dual_min_f32 v90, v12, v48 :: v_dual_max_f32 v49, v49, v49
	v_dual_max_f32 v60, v60, v60 :: v_dual_max_f32 v61, v61, v61
	v_dual_min_f32 v81, v17, v45 :: v_dual_max_f32 v22, v22, v22
	v_dual_max_f32 v23, v23, v23 :: v_dual_min_f32 v82, v20, v44
	v_dual_min_f32 v83, v21, v45 :: v_dual_max_f32 v26, v26, v26
	v_dual_max_f32 v27, v27, v27 :: v_dual_min_f32 v84, v24, v44
	;; [unrolled: 2-line block ×4, first 2 shown]
	v_dual_max_f32 v38, v38, v38 :: v_dual_min_f32 v89, v36, v44
	v_dual_min_f32 v44, v40, v44 :: v_dual_max_f32 v43, v43, v43
	v_dual_max_f32 v42, v42, v42 :: v_dual_min_f32 v91, v16, v48
	v_dual_min_f32 v92, v20, v48 :: v_dual_max_f32 v51, v51, v51
	v_dual_min_f32 v101, v24, v48 :: v_dual_max_f32 v50, v50, v50
	v_dual_max_f32 v117, v62, v62 :: v_dual_max_f32 v126, v63, v63
	v_dual_min_f32 v127, v28, v48 :: v_dual_min_f32 v94, v37, v45
	v_dual_min_f32 v128, v32, v48 :: v_dual_min_f32 v93, v33, v45
	;; [unrolled: 1-line block ×8, first 2 shown]
	v_min_f32_e32 v28, v28, v60
	v_dual_min_f32 v32, v32, v60 :: v_dual_min_f32 v13, v13, v61
	v_dual_min_f32 v36, v36, v60 :: v_dual_min_f32 v17, v17, v61
	;; [unrolled: 1-line block ×3, first 2 shown]
	v_dual_min_f32 v132, v25, v49 :: v_dual_add_f32 v63, 0, v64
	v_min_f32_e32 v134, v33, v49
	v_dual_min_f32 v25, v25, v61 :: v_dual_min_f32 v62, v15, v11
	v_dual_min_f32 v29, v29, v61 :: v_dual_min_f32 v64, v14, v10
	v_dual_min_f32 v33, v33, v61 :: v_dual_add_f32 v66, 0, v66
	v_dual_min_f32 v37, v37, v61 :: v_dual_min_f32 v96, v18, v10
	v_dual_add_f32 v60, 0, v65 :: v_dual_add_f32 v65, 0, v67
	v_min_f32_e32 v67, v19, v11
	v_min_f32_e32 v49, v41, v49
	v_dual_min_f32 v41, v41, v61 :: v_dual_add_f32 v124, v63, v64
	s_delay_alu instid0(VALU_DEP_3)
	v_dual_add_f32 v125, v60, v62 :: v_dual_add_f32 v122, v65, v67
	v_dual_add_f32 v123, v66, v96 :: v_dual_add_f32 v60, 0, v69
	v_dual_min_f32 v61, v23, v11 :: v_dual_add_f32 v62, 0, v68
	v_dual_min_f32 v63, v22, v10 :: v_dual_add_f32 v64, 0, v71
	;; [unrolled: 1-line block ×4, first 2 shown]
	s_delay_alu instid0(VALU_DEP_4) | instskip(SKIP_1) | instid1(VALU_DEP_4)
	v_dual_min_f32 v69, v31, v11 :: v_dual_add_f32 v120, v60, v61
	v_dual_max_f32 v46, v46, v46 :: v_dual_max_f32 v47, v47, v47
	v_dual_add_f32 v121, v62, v63 :: v_dual_add_f32 v118, v64, v65
	s_delay_alu instid0(VALU_DEP_3)
	v_dual_add_f32 v119, v66, v67 :: v_dual_add_f32 v60, v68, v69
	v_dual_add_f32 v61, 0, v72 :: v_dual_min_f32 v62, v30, v10
	v_dual_add_f32 v63, 0, v75 :: v_dual_min_f32 v66, v34, v10
	v_dual_min_f32 v64, v35, v11 :: v_dual_add_f32 v65, 0, v74
	v_dual_add_f32 v67, 0, v77 :: v_dual_min_f32 v68, v39, v11
	v_dual_add_f32 v69, 0, v76 :: v_dual_min_f32 v70, v38, v10
	v_add_f32_e32 v61, v61, v62
	s_delay_alu instid0(VALU_DEP_4) | instskip(NEXT) | instid1(VALU_DEP_3)
	v_dual_add_f32 v63, v63, v64 :: v_dual_add_f32 v62, v65, v66
	v_dual_add_f32 v64, v67, v68 :: v_dual_add_f32 v65, v69, v70
	;; [unrolled: 1-line block ×3, first 2 shown]
	v_dual_min_f32 v10, v42, v10 :: v_dual_min_f32 v11, v43, v11
	v_add_f32_e32 v68, 0, v78
	v_dual_add_f32 v66, 0, v79 :: v_dual_min_f32 v69, v14, v46
	v_dual_min_f32 v67, v15, v47 :: v_dual_add_f32 v70, 0, v81
	s_delay_alu instid0(VALU_DEP_4) | instskip(SKIP_1) | instid1(VALU_DEP_3)
	v_dual_min_f32 v71, v19, v47 :: v_dual_add_f32 v116, v8, v10
	v_dual_add_f32 v115, v9, v11 :: v_dual_add_f32 v8, 0, v80
	v_dual_add_f32 v114, v66, v67 :: v_dual_add_f32 v113, v68, v69
	s_delay_alu instid0(VALU_DEP_3) | instskip(SKIP_3) | instid1(VALU_DEP_3)
	v_dual_add_f32 v111, v70, v71 :: v_dual_add_f32 v66, 0, v82
	v_dual_min_f32 v9, v18, v46 :: v_dual_add_f32 v10, 0, v83
	v_dual_min_f32 v11, v23, v47 :: v_dual_add_f32 v68, 0, v85
	;; [unrolled: 1-line block ×5, first 2 shown]
	s_delay_alu instid0(VALU_DEP_2) | instskip(NEXT) | instid1(VALU_DEP_4)
	v_dual_add_f32 v110, v10, v11 :: v_dual_add_f32 v107, v68, v69
	v_dual_add_f32 v109, v66, v67 :: v_dual_add_f32 v10, 0, v86
	v_dual_min_f32 v9, v31, v47 :: v_dual_add_f32 v66, 0, v93
	v_dual_min_f32 v11, v30, v46 :: v_dual_add_f32 v68, 0, v88
	s_delay_alu instid0(VALU_DEP_2)
	v_dual_add_f32 v108, v70, v71 :: v_dual_add_f32 v105, v8, v9
	v_dual_min_f32 v67, v35, v47 :: v_dual_add_f32 v70, 0, v94
	v_dual_min_f32 v69, v34, v46 :: v_dual_add_f32 v8, 0, v89
	v_min_f32_e32 v71, v39, v47
	v_add_f32_e32 v106, v10, v11
	v_dual_min_f32 v9, v38, v46 :: v_dual_add_f32 v44, 0, v44
	v_dual_add_f32 v10, 0, v45 :: v_dual_min_f32 v11, v43, v47
	v_dual_min_f32 v45, v42, v46 :: v_dual_add_f32 v46, 0, v95
	s_delay_alu instid0(VALU_DEP_3) | instskip(SKIP_1) | instid1(VALU_DEP_2)
	v_dual_min_f32 v47, v15, v51 :: v_dual_add_f32 v102, v8, v9
	v_dual_add_f32 v8, 0, v130 :: v_dual_min_f32 v9, v19, v51
	v_dual_add_f32 v98, v44, v45 :: v_dual_add_f32 v97, v46, v47
	v_dual_add_f32 v44, 0, v131 :: v_dual_min_f32 v47, v22, v50
	v_dual_min_f32 v45, v23, v51 :: v_dual_add_f32 v46, 0, v92
	s_delay_alu instid0(VALU_DEP_4)
	v_add_f32_e32 v94, v8, v9
	v_dual_add_f32 v8, 0, v101 :: v_dual_min_f32 v9, v26, v50
	v_add_f32_e32 v104, v66, v67
	v_add_f32_e32 v66, 0, v90
	v_min_f32_e32 v67, v14, v50
	v_add_f32_e32 v99, v10, v11
	v_dual_add_f32 v10, 0, v91 :: v_dual_min_f32 v11, v18, v50
	v_dual_add_f32 v93, v46, v47 :: v_dual_add_f32 v46, 0, v134
	s_delay_alu instid0(VALU_DEP_4) | instskip(NEXT) | instid1(VALU_DEP_3)
	v_dual_add_f32 v96, v66, v67 :: v_dual_min_f32 v15, v15, v126
	v_dual_add_f32 v66, 0, v132 :: v_dual_add_f32 v95, v10, v11
	v_dual_add_f32 v10, 0, v133 :: v_dual_min_f32 v67, v27, v51
	v_dual_add_f32 v92, v44, v45 :: v_dual_min_f32 v11, v31, v51
	;; [unrolled: 1-line block ×3, first 2 shown]
	v_min_f32_e32 v47, v35, v51
	v_dual_add_f32 v91, v8, v9 :: v_dual_add_f32 v8, 0, v135
	s_delay_alu instid0(VALU_DEP_3) | instskip(NEXT) | instid1(VALU_DEP_3)
	v_dual_min_f32 v9, v39, v51 :: v_dual_add_f32 v88, v44, v45
	v_dual_add_f32 v87, v46, v47 :: v_dual_add_f32 v44, 0, v49
	v_min_f32_e32 v45, v43, v51
	v_add_f32_e32 v90, v66, v67
	v_dual_add_f32 v66, 0, v128 :: v_dual_min_f32 v67, v34, v50
	v_dual_add_f32 v89, v10, v11 :: v_dual_add_f32 v10, 0, v129
	v_dual_add_f32 v46, 0, v48 :: v_dual_min_f32 v11, v38, v50
	v_add_f32_e32 v84, v8, v9
	v_dual_min_f32 v14, v14, v117 :: v_dual_min_f32 v19, v19, v126
	v_dual_add_f32 v100, v70, v71 :: v_dual_add_f32 v13, 0, v13
	s_delay_alu instid0(VALU_DEP_4) | instskip(SKIP_1) | instid1(VALU_DEP_3)
	v_dual_add_f32 v85, v10, v11 :: v_dual_add_f32 v10, 0, v17
	v_dual_add_f32 v86, v66, v67 :: v_dual_add_f32 v9, 0, v16
	v_dual_min_f32 v47, v42, v50 :: v_dual_add_f32 v80, v13, v15
	v_add_f32_e32 v8, 0, v12
	v_dual_add_f32 v12, 0, v21 :: v_dual_add_f32 v13, 0, v24
	v_add_f32_e32 v17, 0, v29
	v_dual_min_f32 v18, v18, v117 :: v_dual_min_f32 v23, v23, v126
	v_dual_add_f32 v79, v10, v19 :: v_dual_min_f32 v10, v31, v126
	v_dual_add_f32 v82, v46, v47 :: v_dual_add_f32 v11, 0, v20
	v_dual_add_f32 v15, 0, v25 :: v_dual_add_f32 v16, 0, v28
	;; [unrolled: 1-line block ×4, first 2 shown]
	v_add_f32_e32 v78, v9, v18
	v_dual_add_f32 v81, v8, v14 :: v_dual_min_f32 v8, v22, v117
	v_dual_add_f32 v76, v12, v23 :: v_dual_min_f32 v9, v27, v126
	;; [unrolled: 1-line block ×3, first 2 shown]
	v_add_f32_e32 v103, v68, v69
	s_delay_alu instid0(VALU_DEP_4) | instskip(NEXT) | instid1(VALU_DEP_3)
	v_dual_add_f32 v77, v11, v8 :: v_dual_min_f32 v8, v26, v117
	v_dual_min_f32 v11, v30, v117 :: v_dual_add_f32 v68, v24, v10
	v_add_f32_e32 v74, v15, v9
	v_min_f32_e32 v9, v35, v126
	v_dual_add_f32 v25, 0, v37 :: v_dual_add_f32 v28, 0, v40
	s_delay_alu instid0(VALU_DEP_4) | instskip(SKIP_1) | instid1(VALU_DEP_4)
	v_dual_add_f32 v75, v13, v8 :: v_dual_add_f32 v72, v16, v11
	v_min_f32_e32 v8, v34, v117
	v_dual_add_f32 v70, v21, v9 :: v_dual_min_f32 v9, v39, v126
	v_dual_min_f32 v11, v43, v126 :: v_dual_min_f32 v12, v42, v117
	s_delay_alu instid0(VALU_DEP_3) | instskip(SKIP_1) | instid1(VALU_DEP_4)
	v_add_f32_e32 v71, v20, v8
	v_add_f32_e32 v83, v44, v45
	;; [unrolled: 1-line block ×3, first 2 shown]
	s_delay_alu instid0(VALU_DEP_4)
	v_dual_add_f32 v67, v29, v11 :: v_dual_add_f32 v66, v28, v12
	s_cbranch_scc1 .LBB82_36
; %bb.22:
	v_lshlrev_b64 v[0:1], 2, v[0:1]
	v_mad_i64_i32 v[4:5], null, s26, v2, 0
	v_add_nc_u32_e32 v6, 12, v54
	v_add_nc_u32_e32 v8, 8, v54
	v_or_b32_e32 v101, 0x1000, v7
	v_add_co_u32 v128, s3, s12, v0
	s_delay_alu instid0(VALU_DEP_1)
	v_add_co_ci_u32_e64 v129, s3, s13, v1, s3
	v_mad_i64_i32 v[0:1], null, s26, v3, 0
	v_lshlrev_b64 v[2:3], 2, v[4:5]
	v_add_nc_u32_e32 v126, 0x1400, v7
	v_mad_i64_i32 v[4:5], null, v6, s20, 0
	v_mad_i64_i32 v[6:7], null, v8, s20, 0
	v_lshlrev_b64 v[0:1], 2, v[0:1]
	v_add_co_u32 v132, s3, s8, v2
	s_delay_alu instid0(VALU_DEP_1) | instskip(SKIP_1) | instid1(VALU_DEP_4)
	v_add_co_ci_u32_e64 v133, s3, s9, v3, s3
	v_lshlrev_b64 v[48:49], 2, v[4:5]
	v_add_co_u32 v134, s3, s8, v0
	v_lshlrev_b64 v[50:51], 2, v[6:7]
	v_add_nc_u32_e32 v117, 0x1000, v57
	v_add_nc_u32_e32 v127, 0x800, v59
	v_lshl_add_u32 v130, v52, 4, 0x1400
	v_lshl_add_u32 v131, v53, 4, 0x800
	v_add_co_ci_u32_e64 v135, s3, s9, v1, s3
	s_add_i32 s12, s18, -8
	s_lshl_b64 s[8:9], s[20:21], 5
	s_branch .LBB82_24
.LBB82_23:                              ;   in Loop: Header=BB82_24 Depth=1
	s_or_b32 exec_lo, exec_lo, s4
	v_dual_add_f32 v40, v125, v40 :: v_dual_add_f32 v33, v119, v33
	v_dual_add_f32 v28, v122, v28 :: v_dual_add_f32 v29, v121, v29
	v_dual_add_f32 v32, v120, v32 :: v_dual_add_f32 v37, v118, v37
	v_dual_add_f32 v16, v61, v16 :: v_dual_add_f32 v21, v62, v21
	v_dual_add_f32 v20, v60, v20 :: v_dual_add_f32 v25, v65, v25
	v_dual_add_f32 v24, v63, v24 :: v_dual_add_f32 v9, v116, v9
	v_dual_add_f32 v8, v64, v8 :: v_dual_add_f32 v13, v113, v13
	v_dual_add_f32 v12, v115, v12 :: v_dual_add_f32 v17, v114, v17
	v_dual_add_f32 v44, v112, v44 :: v_dual_add_f32 v45, v111, v45
	v_dual_add_f32 v60, v109, v138 :: v_dual_add_f32 v61, v110, v139
	v_dual_add_f32 v62, v108, v140 :: v_dual_add_f32 v63, v107, v141
	v_dual_add_f32 v64, v106, v142 :: v_dual_add_f32 v65, v105, v143
	v_dual_add_f32 v4, v100, v4 :: v_dual_add_f32 v5, v98, v5
	v_dual_add_f32 v1, v84, v1 :: v_dual_add_f32 v74, v74, v170
	v_dual_add_f32 v80, v80, v164 :: v_dual_add_f32 v79, v79, v166
	v_dual_add_f32 v78, v78, v165 :: v_dual_add_f32 v77, v77, v167
	v_dual_add_f32 v76, v76, v168 :: v_dual_add_f32 v75, v75, v169
	v_dual_add_f32 v84, v28, v34 :: v_dual_add_f32 v107, v33, v31
	v_dual_add_f32 v100, v32, v35 :: v_dual_add_f32 v105, v29, v30
	v_dual_add_f32 v108, v20, v178 :: v_dual_add_f32 v113, v25, v23
	v_dual_add_f32 v110, v24, v179 :: v_dual_add_f32 v111, v21, v22
	ds_load_b128 v[20:23], v58
	ds_load_b128 v[28:31], v117
	v_dual_add_f32 v112, v8, v188 :: v_dual_add_f32 v119, v45, v191
	v_dual_add_f32 v114, v12, v189 :: v_dual_add_f32 v115, v9, v180
	;; [unrolled: 1-line block ×4, first 2 shown]
	ds_load_b128 v[8:11], v117 offset:128
	v_dual_add_f32 v92, v92, v153 :: v_dual_add_f32 v87, v87, v159
	v_dual_add_f32 v72, v72, v171 :: v_dual_add_f32 v73, v73, v172
	;; [unrolled: 1-line block ×9, first 2 shown]
	s_delay_alu instid0(VALU_DEP_3)
	v_dual_add_f32 v121, v4, v204 :: v_dual_add_f32 v102, v102, v187
	v_dual_add_f32 v92, v92, v208 :: v_dual_add_f32 v123, v1, v215
	;; [unrolled: 1-line block ×3, first 2 shown]
	s_waitcnt lgkmcnt(2)
	v_dual_add_f32 v74, v74, v27 :: v_dual_max_f32 v21, v21, v21
	v_dual_add_f32 v72, v72, v2 :: v_dual_add_f32 v71, v71, v3
	v_dual_add_f32 v70, v70, v14 :: v_dual_add_f32 v69, v69, v15
	s_waitcnt lgkmcnt(1)
	v_dual_add_f32 v124, v46, v19 :: v_dual_max_f32 v29, v29, v29
	ds_load_b128 v[1:4], v117 offset:256
	ds_load_b128 v[12:15], v117 offset:384
	;; [unrolled: 1-line block ×5, first 2 shown]
	v_dual_add_f32 v67, v36, v38 :: v_dual_add_f32 v106, v37, v39
	s_waitcnt lgkmcnt(5)
	v_dual_max_f32 v20, v20, v20 :: v_dual_max_f32 v9, v9, v9
	v_max_f32_e32 v28, v28, v28
	v_dual_max_f32 v139, v8, v8 :: v_dual_min_f32 v140, v29, v21
	v_dual_add_f32 v98, v99, v147 :: v_dual_add_f32 v93, v93, v152
	s_delay_alu instid0(VALU_DEP_3) | instskip(NEXT) | instid1(VALU_DEP_3)
	v_min_f32_e32 v138, v28, v20
	v_dual_min_f32 v141, v139, v20 :: v_dual_add_f32 v66, v40, v47
	v_add_f32_e32 v99, v41, v42
	v_dual_add_f32 v68, v68, v6 :: v_dual_add_f32 v125, v43, v7
	s_waitcnt lgkmcnt(4)
	v_max_f32_e32 v1, v1, v1
	v_dual_add_f32 v67, v67, v138 :: v_dual_min_f32 v138, v9, v21
	s_waitcnt lgkmcnt(3)
	v_dual_max_f32 v2, v2, v2 :: v_dual_max_f32 v13, v13, v13
	v_max_f32_e32 v12, v12, v12
	ds_load_b128 v[36:39], v117 offset:768
	ds_load_b128 v[40:43], v117 offset:896
	v_add_f32_e32 v84, v84, v138
	v_min_f32_e32 v138, v2, v21
	v_dual_add_f32 v66, v66, v140 :: v_dual_add_f32 v99, v99, v141
	v_min_f32_e32 v141, v12, v20
	s_waitcnt lgkmcnt(4)
	v_dual_max_f32 v16, v16, v16 :: v_dual_max_f32 v17, v17, v17
	s_waitcnt lgkmcnt(3)
	v_dual_add_f32 v100, v100, v138 :: v_dual_max_f32 v25, v25, v25
	s_delay_alu instid0(VALU_DEP_2) | instskip(SKIP_2) | instid1(VALU_DEP_3)
	v_dual_add_f32 v107, v107, v141 :: v_dual_min_f32 v138, v16, v20
	s_waitcnt lgkmcnt(2)
	v_dual_max_f32 v33, v33, v33 :: v_dual_max_f32 v32, v32, v32
	v_dual_min_f32 v141, v25, v21 :: v_dual_max_f32 v24, v24, v24
	s_delay_alu instid0(VALU_DEP_3)
	v_add_f32_e32 v109, v109, v138
	v_dual_add_f32 v103, v103, v144 :: v_dual_add_f32 v104, v104, v145
	s_waitcnt lgkmcnt(0)
	v_dual_max_f32 v36, v36, v36 :: v_dual_max_f32 v41, v41, v41
	v_min_f32_e32 v138, v24, v20
	v_min_f32_e32 v140, v1, v20
	v_dual_max_f32 v37, v37, v37 :: v_dual_add_f32 v96, v96, v148
	v_add_f32_e32 v95, v95, v150
	s_delay_alu instid0(VALU_DEP_4) | instskip(NEXT) | instid1(VALU_DEP_4)
	v_add_f32_e32 v111, v111, v138
	v_add_f32_e32 v105, v105, v140
	v_min_f32_e32 v140, v13, v21
	v_min_f32_e32 v138, v37, v21
	v_dual_add_f32 v62, v62, v184 :: v_dual_add_f32 v103, v103, v186
	v_dual_add_f32 v104, v104, v195 :: v_dual_add_f32 v95, v95, v198
	s_delay_alu instid0(VALU_DEP_4) | instskip(SKIP_4) | instid1(VALU_DEP_4)
	v_add_f32_e32 v106, v106, v140
	v_min_f32_e32 v140, v17, v21
	v_min_f32_e32 v21, v41, v21
	v_dual_add_f32 v122, v5, v196 :: v_dual_add_f32 v87, v87, v211
	v_dual_add_f32 v120, v44, v182 :: v_dual_add_f32 v61, v61, v192
	v_add_f32_e32 v108, v108, v140
	s_delay_alu instid0(VALU_DEP_4)
	v_dual_min_f32 v140, v36, v20 :: v_dual_add_f32 v21, v114, v21
	v_add_f32_e32 v110, v110, v141
	ds_load_b128 v[5:8], v58 offset:1024
	ds_load_b128 v[44:47], v58 offset:1536
	v_dual_add_f32 v94, v94, v151 :: v_dual_add_f32 v91, v91, v154
	v_add_f32_e32 v113, v113, v140
	v_min_f32_e32 v140, v29, v33
	v_dual_add_f32 v60, v60, v183 :: v_dual_add_f32 v65, v65, v194
	s_delay_alu instid0(VALU_DEP_4) | instskip(NEXT) | instid1(VALU_DEP_3)
	v_dual_add_f32 v96, v96, v197 :: v_dual_add_f32 v91, v91, v200
	v_add_f32_e32 v114, v116, v140
	v_min_f32_e32 v116, v9, v33
	v_dual_add_f32 v64, v64, v185 :: v_dual_add_f32 v97, v97, v206
	v_dual_add_f32 v98, v98, v205 :: v_dual_add_f32 v93, v93, v199
	s_delay_alu instid0(VALU_DEP_3) | instskip(SKIP_3) | instid1(VALU_DEP_3)
	v_dual_add_f32 v141, v119, v116 :: v_dual_min_f32 v116, v13, v33
	v_dual_add_f32 v88, v88, v156 :: v_dual_add_f32 v83, v83, v162
	s_waitcnt lgkmcnt(1)
	v_dual_max_f32 v5, v5, v5 :: v_dual_max_f32 v6, v6, v6
	v_dual_add_f32 v145, v63, v116 :: v_dual_add_f32 v112, v112, v138
	v_dual_min_f32 v138, v28, v32 :: v_dual_min_f32 v63, v25, v33
	v_dual_add_f32 v90, v90, v155 :: v_dual_add_f32 v89, v89, v157
	v_dual_add_f32 v86, v86, v158 :: v_dual_add_f32 v85, v85, v160
	s_delay_alu instid0(VALU_DEP_3) | instskip(SKIP_4) | instid1(VALU_DEP_3)
	v_add_f32_e32 v138, v118, v138
	v_min_f32_e32 v118, v2, v33
	v_max_f32_e32 v40, v40, v40
	v_dual_add_f32 v82, v82, v161 :: v_dual_add_f32 v81, v81, v163
	v_dual_add_f32 v88, v88, v201 :: v_dual_add_f32 v83, v83, v216
	v_dual_add_f32 v143, v61, v118 :: v_dual_min_f32 v20, v40, v20
	v_min_f32_e32 v61, v17, v33
	v_dual_add_f32 v90, v90, v209 :: v_dual_add_f32 v85, v85, v203
	v_dual_add_f32 v86, v86, v202 :: v_dual_add_f32 v81, v81, v213
	s_delay_alu instid0(VALU_DEP_4)
	v_add_f32_e32 v20, v115, v20
	v_min_f32_e32 v115, v139, v32
	v_add_f32_e32 v147, v65, v61
	v_min_f32_e32 v61, v37, v33
	v_min_f32_e32 v33, v41, v33
	s_waitcnt lgkmcnt(0)
	v_dual_max_f32 v45, v45, v45 :: v_dual_add_f32 v140, v120, v115
	v_min_f32_e32 v115, v1, v32
	s_delay_alu instid0(VALU_DEP_3) | instskip(SKIP_1) | instid1(VALU_DEP_3)
	v_dual_min_f32 v120, v12, v32 :: v_dual_add_f32 v33, v98, v33
	v_add_f32_e32 v148, v121, v61
	v_dual_min_f32 v61, v29, v6 :: v_dual_add_f32 v142, v60, v115
	s_delay_alu instid0(VALU_DEP_3) | instskip(SKIP_2) | instid1(VALU_DEP_4)
	v_add_f32_e32 v144, v62, v120
	v_max_f32_e32 v44, v44, v44
	v_dual_add_f32 v94, v94, v207 :: v_dual_add_f32 v89, v89, v210
	v_add_f32_e32 v97, v97, v61
	v_dual_min_f32 v61, v1, v5 :: v_dual_min_f32 v60, v16, v32
	s_delay_alu instid0(VALU_DEP_4) | instskip(SKIP_1) | instid1(VALU_DEP_3)
	v_min_f32_e32 v1, v1, v44
	v_dual_add_f32 v82, v82, v212 :: v_dual_add_f32 v79, v79, v218
	v_add_f32_e32 v93, v93, v61
	v_min_f32_e32 v61, v16, v5
	v_min_f32_e32 v62, v24, v32
	v_max_f32_e32 v22, v22, v22
	v_dual_max_f32 v30, v30, v30 :: v_dual_min_f32 v29, v29, v45
	s_delay_alu instid0(VALU_DEP_4) | instskip(SKIP_4) | instid1(VALU_DEP_2)
	v_dual_add_f32 v88, v88, v61 :: v_dual_max_f32 v31, v31, v31
	v_min_f32_e32 v61, v36, v5
	v_add_f32_e32 v146, v64, v60
	v_dual_min_f32 v60, v36, v32 :: v_dual_max_f32 v23, v23, v23
	v_dual_max_f32 v11, v11, v11 :: v_dual_max_f32 v4, v4, v4
	v_dual_max_f32 v35, v35, v35 :: v_dual_add_f32 v102, v102, v60
	v_min_f32_e32 v60, v28, v5
	v_dual_max_f32 v14, v14, v14 :: v_dual_max_f32 v15, v15, v15
	v_dual_max_f32 v19, v19, v19 :: v_dual_max_f32 v18, v18, v18
	s_delay_alu instid0(VALU_DEP_3) | instskip(SKIP_3) | instid1(VALU_DEP_2)
	v_add_f32_e32 v96, v96, v60
	v_min_f32_e32 v60, v9, v6
	v_dual_min_f32 v9, v9, v45 :: v_dual_max_f32 v10, v10, v10
	v_dual_max_f32 v43, v43, v43 :: v_dual_max_f32 v8, v8, v8
	v_dual_add_f32 v94, v94, v60 :: v_dual_add_f32 v9, v79, v9
	v_min_f32_e32 v60, v13, v6
	v_dual_min_f32 v13, v13, v45 :: v_dual_min_f32 v28, v28, v44
	v_min_f32_e32 v16, v16, v44
	v_dual_min_f32 v36, v36, v44 :: v_dual_max_f32 v27, v27, v27
	s_delay_alu instid0(VALU_DEP_3)
	v_add_f32_e32 v13, v74, v13
	v_add_f32_e32 v90, v90, v60
	v_min_f32_e32 v60, v17, v6
	v_add_f32_e32 v104, v104, v63
	v_min_f32_e32 v63, v12, v5
	v_dual_min_f32 v12, v12, v44 :: v_dual_min_f32 v17, v17, v45
	v_add_f32_e32 v16, v72, v16
	s_delay_alu instid0(VALU_DEP_3)
	v_dual_max_f32 v34, v34, v34 :: v_dual_add_f32 v91, v91, v63
	v_min_f32_e32 v63, v25, v6
	v_add_f32_e32 v103, v103, v62
	v_min_f32_e32 v62, v139, v5
	v_min_f32_e32 v25, v25, v45
	v_dual_add_f32 v28, v81, v28 :: v_dual_max_f32 v3, v3, v3
	v_dual_add_f32 v36, v68, v36 :: v_dual_max_f32 v39, v39, v39
	s_delay_alu instid0(VALU_DEP_4) | instskip(SKIP_4) | instid1(VALU_DEP_4)
	v_add_f32_e32 v95, v95, v62
	v_dual_min_f32 v62, v2, v6 :: v_dual_add_f32 v29, v80, v29
	v_add_f32_e32 v25, v70, v25
	v_add_f32_e32 v89, v89, v60
	v_min_f32_e32 v60, v37, v6
	v_dual_add_f32 v92, v92, v62 :: v_dual_add_f32 v1, v77, v1
	v_min_f32_e32 v62, v24, v5
	v_min_f32_e32 v5, v40, v5
	;; [unrolled: 1-line block ×3, first 2 shown]
	v_dual_add_f32 v149, v123, v60 :: v_dual_min_f32 v6, v41, v6
	v_dual_min_f32 v60, v139, v44 :: v_dual_min_f32 v37, v37, v45
	s_delay_alu instid0(VALU_DEP_4) | instskip(NEXT) | instid1(VALU_DEP_4)
	v_add_f32_e32 v5, v82, v5
	v_add_f32_e32 v32, v122, v32
	v_min_f32_e32 v2, v2, v45
	v_min_f32_e32 v41, v41, v45
	v_dual_min_f32 v45, v30, v22 :: v_dual_add_f32 v12, v75, v12
	v_dual_add_f32 v86, v86, v62 :: v_dual_add_f32 v85, v85, v61
	s_delay_alu instid0(VALU_DEP_3) | instskip(NEXT) | instid1(VALU_DEP_3)
	v_add_f32_e32 v41, v124, v41
	v_dual_add_f32 v124, v67, v45 :: v_dual_min_f32 v45, v4, v23
	v_dual_add_f32 v78, v78, v60 :: v_dual_add_f32 v37, v69, v37
	v_min_f32_e32 v60, v11, v23
	v_max_f32_e32 v26, v26, v26
	s_delay_alu instid0(VALU_DEP_4) | instskip(SKIP_1) | instid1(VALU_DEP_4)
	v_dual_add_f32 v120, v100, v45 :: v_dual_min_f32 v45, v14, v22
	v_min_f32_e32 v24, v24, v44
	v_add_f32_e32 v122, v84, v60
	v_min_f32_e32 v60, v15, v23
	v_max_f32_e32 v7, v7, v7
	v_add_f32_e32 v119, v107, v45
	v_dual_add_f32 v24, v71, v24 :: v_dual_min_f32 v45, v18, v22
	v_min_f32_e32 v40, v40, v44
	v_min_f32_e32 v44, v31, v23
	v_add_f32_e32 v2, v76, v2
	s_delay_alu instid0(VALU_DEP_4) | instskip(NEXT) | instid1(VALU_DEP_4)
	v_dual_add_f32 v118, v106, v60 :: v_dual_add_f32 v61, v109, v45
	v_dual_add_f32 v40, v125, v40 :: v_dual_min_f32 v45, v39, v23
	s_delay_alu instid0(VALU_DEP_4) | instskip(SKIP_2) | instid1(VALU_DEP_4)
	v_add_f32_e32 v125, v66, v44
	v_dual_min_f32 v44, v10, v22 :: v_dual_add_f32 v87, v87, v63
	v_max_f32_e32 v38, v38, v38
	v_add_f32_e32 v64, v112, v45
	s_delay_alu instid0(VALU_DEP_3) | instskip(SKIP_4) | instid1(VALU_DEP_4)
	v_dual_max_f32 v42, v42, v42 :: v_dual_add_f32 v123, v99, v44
	v_min_f32_e32 v44, v3, v22
	v_min_f32_e32 v62, v26, v22
	v_dual_add_f32 v6, v83, v6 :: v_dual_add_f32 v17, v73, v17
	v_add_co_u32 v132, s3, v132, 32
	v_dual_add_f32 v121, v105, v44 :: v_dual_min_f32 v44, v19, v23
	s_delay_alu instid0(VALU_DEP_4) | instskip(SKIP_2) | instid1(VALU_DEP_4)
	v_add_f32_e32 v62, v111, v62
	v_add_co_ci_u32_e64 v133, s3, 0, v133, s3
	v_add_co_u32 v134, s3, v134, 32
	v_add_f32_e32 v60, v108, v44
	v_min_f32_e32 v44, v27, v23
	v_min_f32_e32 v23, v43, v23
	v_add_co_ci_u32_e64 v135, s3, 0, v135, s3
	v_add_co_u32 v128, s3, v128, s8
	s_delay_alu instid0(VALU_DEP_3) | instskip(SKIP_4) | instid1(VALU_DEP_4)
	v_add_f32_e32 v115, v21, v23
	v_min_f32_e32 v21, v11, v35
	v_add_f32_e32 v63, v110, v44
	v_min_f32_e32 v23, v15, v35
	v_add_co_ci_u32_e64 v129, s3, s9, v129, s3
	v_add_f32_e32 v111, v141, v21
	v_min_f32_e32 v21, v4, v35
	s_delay_alu instid0(VALU_DEP_4)
	v_add_f32_e32 v107, v145, v23
	s_add_i32 s25, s25, 8
	s_waitcnt vmcnt(0)
	ds_store_b32 v126, v137
	ds_store_2addr_stride64_b32 v127, v136, v0 offset1:4
	s_cmp_ge_i32 s25, s12
	v_add_f32_e32 v110, v143, v21
	v_min_f32_e32 v21, v19, v35
	s_waitcnt lgkmcnt(0)
	s_barrier
	buffer_gl0_inv
	v_add_f32_e32 v105, v147, v21
	v_min_f32_e32 v21, v39, v35
	s_delay_alu instid0(VALU_DEP_1) | instskip(NEXT) | instid1(VALU_DEP_1)
	v_dual_add_f32 v100, v148, v21 :: v_dual_min_f32 v21, v43, v35
	v_add_f32_e32 v99, v33, v21
	v_min_f32_e32 v21, v11, v8
	v_min_f32_e32 v23, v26, v34
	;; [unrolled: 1-line block ×5, first 2 shown]
	s_delay_alu instid0(VALU_DEP_4) | instskip(NEXT) | instid1(VALU_DEP_3)
	v_dual_add_f32 v94, v94, v21 :: v_dual_add_f32 v103, v103, v23
	v_dual_min_f32 v23, v30, v7 :: v_dual_add_f32 v116, v20, v22
	v_dual_min_f32 v21, v3, v7 :: v_dual_min_f32 v20, v10, v34
	v_min_f32_e32 v22, v3, v34
	s_delay_alu instid0(VALU_DEP_3) | instskip(SKIP_1) | instid1(VALU_DEP_4)
	v_dual_add_f32 v96, v96, v23 :: v_dual_min_f32 v23, v15, v8
	v_dual_add_f32 v65, v113, v44 :: v_dual_min_f32 v44, v31, v35
	v_dual_add_f32 v93, v93, v21 :: v_dual_add_f32 v112, v140, v20
	s_delay_alu instid0(VALU_DEP_3) | instskip(SKIP_4) | instid1(VALU_DEP_3)
	v_add_f32_e32 v90, v90, v23
	v_min_f32_e32 v23, v26, v7
	v_dual_add_f32 v109, v142, v22 :: v_dual_min_f32 v22, v27, v35
	v_dual_min_f32 v20, v14, v34 :: v_dual_min_f32 v21, v19, v8
	v_add_f32_e32 v114, v114, v44
	v_dual_add_f32 v113, v138, v45 :: v_dual_add_f32 v104, v104, v22
	s_delay_alu instid0(VALU_DEP_3) | instskip(NEXT) | instid1(VALU_DEP_1)
	v_dual_min_f32 v22, v42, v34 :: v_dual_add_f32 v89, v89, v21
	v_dual_min_f32 v21, v39, v8 :: v_dual_add_f32 v98, v32, v22
	v_min_f32_e32 v22, v4, v8
	s_delay_alu instid0(VALU_DEP_2) | instskip(NEXT) | instid1(VALU_DEP_2)
	v_dual_add_f32 v84, v149, v21 :: v_dual_max_f32 v21, v46, v46
	v_add_f32_e32 v92, v92, v22
	s_delay_alu instid0(VALU_DEP_2) | instskip(NEXT) | instid1(VALU_DEP_1)
	v_dual_min_f32 v22, v18, v7 :: v_dual_min_f32 v3, v3, v21
	v_add_f32_e32 v88, v88, v22
	v_max_f32_e32 v22, v47, v47
	v_add_f32_e32 v108, v144, v20
	s_delay_alu instid0(VALU_DEP_4) | instskip(SKIP_1) | instid1(VALU_DEP_4)
	v_dual_min_f32 v20, v18, v34 :: v_dual_add_f32 v77, v1, v3
	v_min_f32_e32 v1, v14, v21
	v_min_f32_e32 v3, v19, v22
	v_min_f32_e32 v4, v4, v22
	s_delay_alu instid0(VALU_DEP_4) | instskip(NEXT) | instid1(VALU_DEP_4)
	v_add_f32_e32 v106, v146, v20
	v_dual_min_f32 v20, v38, v34 :: v_dual_add_f32 v75, v12, v1
	s_delay_alu instid0(VALU_DEP_3) | instskip(SKIP_1) | instid1(VALU_DEP_3)
	v_dual_add_f32 v73, v17, v3 :: v_dual_add_f32 v76, v2, v4
	v_min_f32_e32 v2, v15, v22
	v_add_f32_e32 v102, v102, v20
	v_dual_min_f32 v20, v31, v8 :: v_dual_min_f32 v3, v38, v21
	v_min_f32_e32 v4, v18, v21
	s_delay_alu instid0(VALU_DEP_4) | instskip(NEXT) | instid1(VALU_DEP_3)
	v_add_f32_e32 v74, v13, v2
	v_dual_min_f32 v2, v27, v22 :: v_dual_add_f32 v97, v97, v20
	v_min_f32_e32 v20, v10, v7
	s_delay_alu instid0(VALU_DEP_4) | instskip(NEXT) | instid1(VALU_DEP_3)
	v_dual_add_f32 v72, v16, v4 :: v_dual_min_f32 v1, v26, v21
	v_add_f32_e32 v70, v25, v2
	v_min_f32_e32 v2, v39, v22
	s_delay_alu instid0(VALU_DEP_4) | instskip(SKIP_3) | instid1(VALU_DEP_4)
	v_dual_add_f32 v95, v95, v20 :: v_dual_min_f32 v20, v14, v7
	v_min_f32_e32 v4, v43, v22
	v_dual_add_f32 v86, v86, v23 :: v_dual_min_f32 v23, v31, v22
	v_add_f32_e32 v71, v24, v1
	v_add_f32_e32 v91, v91, v20
	s_delay_alu instid0(VALU_DEP_4) | instskip(SKIP_3) | instid1(VALU_DEP_3)
	v_add_f32_e32 v67, v41, v4
	v_min_f32_e32 v20, v27, v8
	v_add_f32_e32 v80, v29, v23
	v_dual_add_f32 v69, v37, v2 :: v_dual_add_f32 v68, v36, v3
	v_dual_add_f32 v87, v87, v20 :: v_dual_min_f32 v20, v38, v7
	v_min_f32_e32 v7, v42, v7
	s_delay_alu instid0(VALU_DEP_2) | instskip(NEXT) | instid1(VALU_DEP_2)
	v_add_f32_e32 v85, v85, v20
	v_dual_add_f32 v82, v5, v7 :: v_dual_min_f32 v5, v30, v21
	v_dual_min_f32 v8, v43, v8 :: v_dual_min_f32 v7, v10, v21
	s_delay_alu instid0(VALU_DEP_2) | instskip(NEXT) | instid1(VALU_DEP_2)
	v_add_f32_e32 v81, v28, v5
	v_dual_add_f32 v83, v6, v8 :: v_dual_min_f32 v6, v11, v22
	v_min_f32_e32 v5, v42, v21
	s_delay_alu instid0(VALU_DEP_2) | instskip(NEXT) | instid1(VALU_DEP_2)
	v_dual_add_f32 v78, v78, v7 :: v_dual_add_f32 v79, v9, v6
	v_add_f32_e32 v66, v40, v5
	s_cbranch_scc1 .LBB82_36
.LBB82_24:                              ; =>This Inner Loop Header: Depth=1
	v_dual_mov_b32 v137, 0 :: v_dual_add_nc_u32 v136, s25, v54
	s_delay_alu instid0(VALU_DEP_1) | instskip(NEXT) | instid1(VALU_DEP_1)
	v_add_nc_u32_e32 v0, 8, v136
	v_cmp_gt_i32_e64 s3, s18, v0
	s_delay_alu instid0(VALU_DEP_1) | instskip(NEXT) | instid1(SALU_CYCLE_1)
	s_and_b32 s3, s24, s3
	s_and_saveexec_b32 s4, s3
	s_cbranch_execz .LBB82_26
; %bb.25:                               ;   in Loop: Header=BB82_24 Depth=1
	v_add_co_u32 v0, s3, v128, v50
	s_delay_alu instid0(VALU_DEP_1)
	v_add_co_ci_u32_e64 v1, s3, v129, v51, s3
	flat_load_b32 v137, v[0:1]
.LBB82_26:                              ;   in Loop: Header=BB82_24 Depth=1
	s_or_b32 exec_lo, exec_lo, s4
	v_dual_mov_b32 v139, 0 :: v_dual_add_nc_u32 v138, s25, v55
	v_mov_b32_e32 v140, 0
	s_delay_alu instid0(VALU_DEP_2) | instskip(NEXT) | instid1(VALU_DEP_1)
	v_add_nc_u32_e32 v0, 8, v138
	v_cmp_le_i32_e64 s3, s18, v0
	s_delay_alu instid0(VALU_DEP_1) | instskip(NEXT) | instid1(SALU_CYCLE_1)
	s_or_b32 s4, vcc_lo, s3
	s_xor_b32 s4, s4, -1
	s_delay_alu instid0(SALU_CYCLE_1)
	s_and_saveexec_b32 s13, s4
	s_cbranch_execz .LBB82_28
; %bb.27:                               ;   in Loop: Header=BB82_24 Depth=1
	v_add_co_u32 v0, s4, v132, v56
	s_delay_alu instid0(VALU_DEP_1)
	v_add_co_ci_u32_e64 v1, s4, 0, v133, s4
	flat_load_b32 v140, v[0:1] offset:32
.LBB82_28:                              ;   in Loop: Header=BB82_24 Depth=1
	s_or_b32 exec_lo, exec_lo, s13
	s_or_b32 s3, s2, s3
	s_delay_alu instid0(SALU_CYCLE_1) | instskip(NEXT) | instid1(SALU_CYCLE_1)
	s_xor_b32 s3, s3, -1
	s_and_saveexec_b32 s4, s3
	s_cbranch_execz .LBB82_30
; %bb.29:                               ;   in Loop: Header=BB82_24 Depth=1
	v_add_co_u32 v0, s3, v134, v56
	s_delay_alu instid0(VALU_DEP_1)
	v_add_co_ci_u32_e64 v1, s3, 0, v135, s3
	flat_load_b32 v139, v[0:1] offset:32
.LBB82_30:                              ;   in Loop: Header=BB82_24 Depth=1
	s_or_b32 exec_lo, exec_lo, s4
	ds_load_b128 v[40:43], v130
	ds_load_b128 v[36:39], v130 offset:128
	ds_load_b128 v[32:35], v130 offset:256
	;; [unrolled: 1-line block ×7, first 2 shown]
	ds_load_b128 v[44:47], v131
	ds_load_b128 v[8:11], v131 offset:512
	ds_load_b128 v[4:7], v131 offset:1024
	;; [unrolled: 1-line block ×3, first 2 shown]
	v_add_nc_u32_e32 v136, 12, v136
	s_waitcnt vmcnt(0) lgkmcnt(12)
	ds_store_b32 v101, v137
	ds_store_2addr_stride64_b32 v59, v140, v139 offset1:4
	v_mov_b32_e32 v137, 0
	s_waitcnt lgkmcnt(0)
	s_barrier
	v_cmp_gt_i32_e64 s3, s18, v136
	v_mov_b32_e32 v136, 0
	buffer_gl0_inv
	s_and_b32 s3, s24, s3
	s_delay_alu instid0(SALU_CYCLE_1)
	s_and_saveexec_b32 s4, s3
	s_cbranch_execz .LBB82_32
; %bb.31:                               ;   in Loop: Header=BB82_24 Depth=1
	v_add_co_u32 v139, s3, v128, v48
	s_delay_alu instid0(VALU_DEP_1)
	v_add_co_ci_u32_e64 v140, s3, v129, v49, s3
	flat_load_b32 v137, v[139:140]
.LBB82_32:                              ;   in Loop: Header=BB82_24 Depth=1
	s_or_b32 exec_lo, exec_lo, s4
	v_add_nc_u32_e32 v138, 12, v138
	s_delay_alu instid0(VALU_DEP_1) | instskip(NEXT) | instid1(VALU_DEP_1)
	v_cmp_le_i32_e64 s3, s18, v138
	s_or_b32 s4, vcc_lo, s3
	s_delay_alu instid0(SALU_CYCLE_1) | instskip(NEXT) | instid1(SALU_CYCLE_1)
	s_xor_b32 s4, s4, -1
	s_and_saveexec_b32 s13, s4
	s_cbranch_execz .LBB82_34
; %bb.33:                               ;   in Loop: Header=BB82_24 Depth=1
	v_add_co_u32 v138, s4, v132, v56
	s_delay_alu instid0(VALU_DEP_1)
	v_add_co_ci_u32_e64 v139, s4, 0, v133, s4
	flat_load_b32 v136, v[138:139] offset:48
.LBB82_34:                              ;   in Loop: Header=BB82_24 Depth=1
	s_or_b32 exec_lo, exec_lo, s13
	v_dual_max_f32 v44, v44, v44 :: v_dual_max_f32 v45, v45, v45
	v_dual_max_f32 v173, v20, v20 :: v_dual_max_f32 v174, v21, v21
	v_max_f32_e32 v175, v16, v16
	v_dual_max_f32 v163, v40, v40 :: v_dual_max_f32 v164, v41, v41
	v_dual_max_f32 v165, v36, v36 :: v_dual_max_f32 v166, v37, v37
	;; [unrolled: 1-line block ×5, first 2 shown]
	v_dual_min_f32 v24, v174, v45 :: v_dual_min_f32 v25, v175, v44
	v_dual_max_f32 v176, v17, v17 :: v_dual_max_f32 v177, v12, v12
	v_dual_max_f32 v178, v13, v13 :: v_dual_max_f32 v147, v8, v8
	;; [unrolled: 1-line block ×3, first 2 shown]
	v_max_f32_e32 v162, v5, v5
	v_dual_max_f32 v0, v0, v0 :: v_dual_max_f32 v179, v1, v1
	v_dual_max_f32 v180, v46, v46 :: v_dual_max_f32 v181, v47, v47
	;; [unrolled: 1-line block ×3, first 2 shown]
	v_dual_min_f32 v36, v163, v44 :: v_dual_min_f32 v37, v170, v45
	v_dual_min_f32 v40, v164, v45 :: v_dual_min_f32 v41, v165, v44
	;; [unrolled: 1-line block ×30, first 2 shown]
	v_dual_max_f32 v213, v42, v42 :: v_dual_max_f32 v214, v43, v43
	v_dual_max_f32 v218, v38, v38 :: v_dual_min_f32 v43, v177, v0
	v_dual_max_f32 v0, v39, v39 :: v_dual_max_f32 v177, v34, v34
	v_dual_min_f32 v31, v220, v180 :: v_dual_max_f32 v222, v26, v26
	v_dual_min_f32 v39, v221, v181 :: v_dual_max_f32 v224, v22, v22
	s_delay_alu instid0(VALU_DEP_4) | instskip(NEXT) | instid1(VALU_DEP_4)
	v_dual_min_f32 v42, v218, v180 :: v_dual_max_f32 v219, v35, v35
	v_dual_min_f32 v34, v0, v181 :: v_dual_max_f32 v223, v27, v27
	;; [unrolled: 1-line block ×3, first 2 shown]
	v_max_f32_e32 v226, v18, v18
	v_dual_min_f32 v18, v222, v180 :: v_dual_max_f32 v19, v19, v19
	v_dual_min_f32 v22, v224, v180 :: v_dual_max_f32 v227, v14, v14
	v_dual_max_f32 v10, v10, v10 :: v_dual_max_f32 v11, v11, v11
	v_max_f32_e32 v228, v15, v15
	v_dual_min_f32 v46, v178, v179 :: v_dual_min_f32 v35, v219, v181
	v_dual_min_f32 v38, v213, v180 :: v_dual_min_f32 v47, v214, v181
	v_min_f32_e32 v179, v225, v181
	v_dual_min_f32 v178, v223, v181 :: v_dual_min_f32 v23, v226, v180
	v_dual_min_f32 v188, v19, v181 :: v_dual_min_f32 v191, v0, v11
	;; [unrolled: 1-line block ×3, first 2 shown]
	v_min_f32_e32 v181, v213, v10
	v_dual_min_f32 v186, v224, v10 :: v_dual_max_f32 v7, v7, v7
	v_dual_max_f32 v6, v6, v6 :: v_dual_min_f32 v205, v228, v11
	v_dual_max_f32 v229, v2, v2 :: v_dual_max_f32 v230, v3, v3
	v_dual_min_f32 v190, v214, v11 :: v_dual_min_f32 v183, v177, v10
	v_dual_min_f32 v182, v218, v10 :: v_dual_min_f32 v193, v221, v11
	v_dual_min_f32 v192, v219, v11 :: v_dual_min_f32 v185, v222, v10
	v_dual_min_f32 v184, v220, v10 :: v_dual_min_f32 v195, v225, v11
	v_dual_min_f32 v194, v223, v11 :: v_dual_min_f32 v187, v226, v10
	v_dual_min_f32 v204, v19, v11 :: v_dual_min_f32 v197, v213, v6
	v_dual_min_f32 v196, v227, v10 :: v_dual_min_f32 v207, v0, v7
	v_dual_min_f32 v206, v214, v7 :: v_dual_min_f32 v199, v177, v6
	v_dual_min_f32 v198, v218, v6 :: v_dual_min_f32 v209, v221, v7
	v_dual_min_f32 v208, v219, v7 :: v_dual_min_f32 v201, v222, v6
	v_dual_min_f32 v200, v220, v6 :: v_dual_min_f32 v211, v225, v7
	v_dual_min_f32 v210, v223, v7 :: v_dual_min_f32 v203, v226, v6
	v_dual_min_f32 v202, v224, v6 :: v_dual_min_f32 v215, v19, v7
	v_dual_min_f32 v212, v227, v6 :: v_dual_min_f32 v213, v213, v229
	v_dual_min_f32 v216, v228, v7 :: v_dual_min_f32 v217, v214, v230
	v_dual_min_f32 v214, v218, v229 :: v_dual_min_f32 v27, v221, v230
	v_dual_min_f32 v218, v0, v230 :: v_dual_min_f32 v7, v227, v229
	v_dual_min_f32 v10, v177, v229 :: v_dual_min_f32 v177, v223, v230
	v_dual_min_f32 v26, v219, v230 :: v_dual_min_f32 v11, v220, v229
	v_dual_min_f32 v2, v222, v229 :: v_dual_min_f32 v15, v19, v230
	v_dual_min_f32 v3, v224, v229 :: v_dual_min_f32 v14, v225, v230
	v_dual_min_f32 v6, v226, v229 :: v_dual_min_f32 v19, v228, v230
	v_mov_b32_e32 v0, 0
	s_or_b32 s3, s2, s3
	s_delay_alu instid0(SALU_CYCLE_1) | instskip(NEXT) | instid1(SALU_CYCLE_1)
	s_xor_b32 s3, s3, -1
	s_and_saveexec_b32 s4, s3
	s_cbranch_execz .LBB82_23
; %bb.35:                               ;   in Loop: Header=BB82_24 Depth=1
	v_add_co_u32 v219, s3, v134, v56
	s_delay_alu instid0(VALU_DEP_1)
	v_add_co_ci_u32_e64 v220, s3, 0, v135, s3
	flat_load_b32 v0, v[219:220] offset:48
	s_branch .LBB82_23
.LBB82_36:
	s_clause 0x2
	s_load_b64 s[2:3], s[0:1], 0x70
	s_load_b32 s12, s[0:1], 0x50
	s_load_b32 s9, s[0:1], 0x68
	ds_load_b128 v[32:35], v57 offset:5120
	ds_load_b128 v[28:31], v57 offset:5248
	;; [unrolled: 1-line block ×12, first 2 shown]
	v_add_nc_u32_e32 v117, s14, v53
	v_add_nc_u32_e32 v48, s5, v52
	v_cndmask_b32_e64 v101, 0, 1, s22
	s_delay_alu instid0(VALU_DEP_3)
	v_cmp_gt_i32_e64 s8, s17, v117
	s_waitcnt lgkmcnt(0)
	s_mul_i32 s0, s15, s3
	v_mad_i64_i32 v[49:50], null, v117, s12, 0
	v_mad_i64_i32 v[53:54], null, v117, s9, 0
	s_mul_hi_u32 s1, s15, s2
	s_mul_i32 s3, s23, s2
	s_add_i32 s1, s1, s0
	s_mul_i32 s0, s15, s2
	s_delay_alu instid0(VALU_DEP_2) | instskip(SKIP_1) | instid1(VALU_DEP_2)
	v_lshlrev_b64 v[49:50], 2, v[49:50]
	s_add_i32 s1, s1, s3
	v_lshlrev_b64 v[51:52], 2, v[53:54]
	s_lshl_b64 s[0:1], s[0:1], 2
	s_delay_alu instid0(SALU_CYCLE_1) | instskip(NEXT) | instid1(VALU_DEP_2)
	s_add_u32 s13, s6, s0
	v_add_co_u32 v128, vcc_lo, s10, v49
	v_add_co_ci_u32_e32 v129, vcc_lo, s11, v50, vcc_lo
	s_addc_u32 s14, s7, s1
	v_add_co_u32 v126, vcc_lo, s13, v51
	v_cmp_gt_i32_e64 s0, s16, v48
	v_add_co_ci_u32_e32 v127, vcc_lo, s14, v52, vcc_lo
	v_ashrrev_i32_e32 v49, 31, v48
	s_delay_alu instid0(VALU_DEP_3) | instskip(NEXT) | instid1(SALU_CYCLE_1)
	s_and_b32 s2, s0, s8
	s_and_saveexec_b32 s1, s2
	s_cbranch_execz .LBB82_41
; %bb.37:
	s_delay_alu instid0(VALU_DEP_1)
	v_lshlrev_b64 v[50:51], 2, v[48:49]
	s_and_not1_b32 vcc_lo, exec_lo, s22
	s_cbranch_vccnz .LBB82_39
; %bb.38:
	s_delay_alu instid0(VALU_DEP_1) | instskip(NEXT) | instid1(VALU_DEP_2)
	v_add_co_u32 v52, vcc_lo, v128, v50
	v_add_co_ci_u32_e32 v53, vcc_lo, v129, v51, vcc_lo
	flat_load_b32 v52, v[52:53]
	s_waitcnt vmcnt(0) lgkmcnt(0)
	v_mul_f32_e32 v52, s19, v52
	s_branch .LBB82_40
.LBB82_39:
	v_mov_b32_e32 v52, 0
.LBB82_40:
	v_dual_max_f32 v53, v45, v45 :: v_dual_max_f32 v56, v32, v32
	v_dual_max_f32 v54, v33, v33 :: v_dual_max_f32 v55, v44, v44
	;; [unrolled: 1-line block ×3, first 2 shown]
	v_max_f32_e32 v59, v35, v35
	s_delay_alu instid0(VALU_DEP_3) | instskip(NEXT) | instid1(VALU_DEP_4)
	v_min_f32_e32 v53, v54, v53
	v_dual_max_f32 v54, v34, v34 :: v_dual_min_f32 v55, v56, v55
	v_add_co_u32 v50, vcc_lo, v126, v50
	v_add_co_ci_u32_e32 v51, vcc_lo, v127, v51, vcc_lo
	s_delay_alu instid0(VALU_DEP_3) | instskip(NEXT) | instid1(VALU_DEP_4)
	v_min_f32_e32 v54, v54, v57
	v_dual_min_f32 v56, v59, v58 :: v_dual_add_f32 v55, v124, v55
	s_delay_alu instid0(VALU_DEP_1) | instskip(NEXT) | instid1(VALU_DEP_1)
	v_dual_add_f32 v53, v125, v53 :: v_dual_add_f32 v54, v55, v54
	v_add_f32_e32 v53, v53, v56
	s_delay_alu instid0(VALU_DEP_1) | instskip(NEXT) | instid1(VALU_DEP_1)
	v_add_f32_e32 v53, v54, v53
	v_add_f32_e32 v52, v53, v52
	global_store_b32 v[50:51], v52, off
.LBB82_41:
	s_or_b32 exec_lo, exec_lo, s1
	v_add_nc_u32_e32 v50, 8, v48
	s_delay_alu instid0(VALU_DEP_1) | instskip(SKIP_1) | instid1(VALU_DEP_2)
	v_cmp_gt_i32_e64 s1, s16, v50
	v_ashrrev_i32_e32 v51, 31, v50
	s_and_b32 s3, s1, s8
	s_delay_alu instid0(SALU_CYCLE_1)
	s_and_saveexec_b32 s2, s3
	s_cbranch_execz .LBB82_46
; %bb.42:
	v_cmp_ne_u32_e32 vcc_lo, 1, v101
	v_lshlrev_b64 v[52:53], 2, v[50:51]
	s_cbranch_vccnz .LBB82_44
; %bb.43:
	s_delay_alu instid0(VALU_DEP_1) | instskip(NEXT) | instid1(VALU_DEP_2)
	v_add_co_u32 v54, vcc_lo, v128, v52
	v_add_co_ci_u32_e32 v55, vcc_lo, v129, v53, vcc_lo
	flat_load_b32 v54, v[54:55]
	s_waitcnt vmcnt(0) lgkmcnt(0)
	v_mul_f32_e32 v54, s19, v54
	s_branch .LBB82_45
.LBB82_44:
	v_mov_b32_e32 v54, 0
.LBB82_45:
	v_dual_max_f32 v55, v45, v45 :: v_dual_max_f32 v58, v28, v28
	v_dual_max_f32 v56, v29, v29 :: v_dual_max_f32 v57, v44, v44
	;; [unrolled: 1-line block ×3, first 2 shown]
	v_add_co_u32 v52, vcc_lo, v126, v52
	s_delay_alu instid0(VALU_DEP_3) | instskip(NEXT) | instid1(VALU_DEP_4)
	v_dual_min_f32 v55, v56, v55 :: v_dual_max_f32 v56, v30, v30
	v_min_f32_e32 v57, v58, v57
	v_add_co_ci_u32_e32 v53, vcc_lo, v127, v53, vcc_lo
	s_delay_alu instid0(VALU_DEP_2) | instskip(NEXT) | instid1(VALU_DEP_1)
	v_dual_min_f32 v56, v56, v59 :: v_dual_add_f32 v57, v123, v57
	v_dual_max_f32 v125, v31, v31 :: v_dual_add_f32 v56, v57, v56
	s_delay_alu instid0(VALU_DEP_1) | instskip(NEXT) | instid1(VALU_DEP_1)
	v_dual_add_f32 v55, v122, v55 :: v_dual_min_f32 v58, v125, v124
	v_add_f32_e32 v55, v55, v58
	s_delay_alu instid0(VALU_DEP_1) | instskip(NEXT) | instid1(VALU_DEP_1)
	v_add_f32_e32 v55, v56, v55
	v_add_f32_e32 v54, v55, v54
	global_store_b32 v[52:53], v54, off
.LBB82_46:
	s_or_b32 exec_lo, exec_lo, s2
	v_add_nc_u32_e32 v52, 16, v48
	s_delay_alu instid0(VALU_DEP_1) | instskip(SKIP_1) | instid1(VALU_DEP_2)
	v_cmp_gt_i32_e64 s2, s16, v52
	v_ashrrev_i32_e32 v53, 31, v52
	s_and_b32 s4, s2, s8
	s_delay_alu instid0(SALU_CYCLE_1)
	s_and_saveexec_b32 s3, s4
	s_cbranch_execz .LBB82_51
; %bb.47:
	v_cmp_ne_u32_e32 vcc_lo, 1, v101
	v_lshlrev_b64 v[54:55], 2, v[52:53]
	s_cbranch_vccnz .LBB82_49
; %bb.48:
	s_delay_alu instid0(VALU_DEP_1) | instskip(NEXT) | instid1(VALU_DEP_2)
	v_add_co_u32 v56, vcc_lo, v128, v54
	v_add_co_ci_u32_e32 v57, vcc_lo, v129, v55, vcc_lo
	flat_load_b32 v56, v[56:57]
	s_waitcnt vmcnt(0) lgkmcnt(0)
	v_mul_f32_e32 v56, s19, v56
	s_branch .LBB82_50
.LBB82_49:
	v_mov_b32_e32 v56, 0
.LBB82_50:
	v_dual_max_f32 v57, v45, v45 :: v_dual_max_f32 v122, v24, v24
	v_dual_max_f32 v58, v25, v25 :: v_dual_max_f32 v59, v44, v44
	;; [unrolled: 1-line block ×3, first 2 shown]
	v_max_f32_e32 v125, v27, v27
	s_delay_alu instid0(VALU_DEP_3) | instskip(SKIP_3) | instid1(VALU_DEP_4)
	v_min_f32_e32 v57, v58, v57
	v_max_f32_e32 v58, v26, v26
	v_min_f32_e32 v59, v122, v59
	v_add_co_u32 v54, vcc_lo, v126, v54
	v_dual_add_f32 v57, v120, v57 :: v_dual_min_f32 v120, v125, v124
	s_delay_alu instid0(VALU_DEP_4) | instskip(NEXT) | instid1(VALU_DEP_4)
	v_min_f32_e32 v58, v58, v123
	v_add_f32_e32 v59, v121, v59
	v_add_co_ci_u32_e32 v55, vcc_lo, v127, v55, vcc_lo
	s_delay_alu instid0(VALU_DEP_2) | instskip(NEXT) | instid1(VALU_DEP_1)
	v_dual_add_f32 v57, v57, v120 :: v_dual_add_f32 v58, v59, v58
	v_add_f32_e32 v57, v58, v57
	s_delay_alu instid0(VALU_DEP_1)
	v_add_f32_e32 v56, v57, v56
	global_store_b32 v[54:55], v56, off
.LBB82_51:
	s_or_b32 exec_lo, exec_lo, s3
	v_add_nc_u32_e32 v54, 24, v48
	s_delay_alu instid0(VALU_DEP_1) | instskip(SKIP_1) | instid1(VALU_DEP_2)
	v_cmp_gt_i32_e64 s3, s16, v54
	v_ashrrev_i32_e32 v55, 31, v54
	s_and_b32 s5, s3, s8
	s_delay_alu instid0(SALU_CYCLE_1)
	s_and_saveexec_b32 s4, s5
	s_cbranch_execz .LBB82_56
; %bb.52:
	v_cmp_ne_u32_e32 vcc_lo, 1, v101
	v_lshlrev_b64 v[56:57], 2, v[54:55]
	s_cbranch_vccnz .LBB82_54
; %bb.53:
	s_delay_alu instid0(VALU_DEP_1) | instskip(NEXT) | instid1(VALU_DEP_2)
	v_add_co_u32 v58, vcc_lo, v128, v56
	v_add_co_ci_u32_e32 v59, vcc_lo, v129, v57, vcc_lo
	flat_load_b32 v58, v[58:59]
	s_waitcnt vmcnt(0) lgkmcnt(0)
	v_mul_f32_e32 v58, s19, v58
	s_branch .LBB82_55
.LBB82_54:
	v_mov_b32_e32 v58, 0
.LBB82_55:
	v_dual_max_f32 v59, v45, v45 :: v_dual_max_f32 v122, v20, v20
	v_dual_max_f32 v120, v21, v21 :: v_dual_max_f32 v121, v44, v44
	v_dual_max_f32 v123, v46, v46 :: v_dual_max_f32 v124, v47, v47
	v_max_f32_e32 v125, v23, v23
	s_delay_alu instid0(VALU_DEP_3) | instskip(NEXT) | instid1(VALU_DEP_4)
	v_dual_min_f32 v59, v120, v59 :: v_dual_max_f32 v120, v22, v22
	v_min_f32_e32 v121, v122, v121
	v_add_co_u32 v56, vcc_lo, v126, v56
	s_delay_alu instid0(VALU_DEP_3) | instskip(NEXT) | instid1(VALU_DEP_4)
	v_add_f32_e32 v59, v118, v59
	v_min_f32_e32 v118, v120, v123
	s_delay_alu instid0(VALU_DEP_4) | instskip(SKIP_1) | instid1(VALU_DEP_2)
	v_dual_min_f32 v120, v125, v124 :: v_dual_add_f32 v119, v119, v121
	v_add_co_ci_u32_e32 v57, vcc_lo, v127, v57, vcc_lo
	v_add_f32_e32 v59, v59, v120
	s_delay_alu instid0(VALU_DEP_3) | instskip(NEXT) | instid1(VALU_DEP_1)
	v_add_f32_e32 v118, v119, v118
	v_add_f32_e32 v59, v118, v59
	s_delay_alu instid0(VALU_DEP_1)
	v_add_f32_e32 v58, v59, v58
	global_store_b32 v[56:57], v58, off
.LBB82_56:
	s_or_b32 exec_lo, exec_lo, s4
	v_add_nc_u32_e32 v56, 32, v48
	s_delay_alu instid0(VALU_DEP_1) | instskip(SKIP_1) | instid1(VALU_DEP_2)
	v_cmp_gt_i32_e64 s4, s16, v56
	v_ashrrev_i32_e32 v57, 31, v56
	s_and_b32 s6, s4, s8
	s_delay_alu instid0(SALU_CYCLE_1)
	s_and_saveexec_b32 s5, s6
	s_cbranch_execz .LBB82_61
; %bb.57:
	v_cmp_ne_u32_e32 vcc_lo, 1, v101
	v_lshlrev_b64 v[58:59], 2, v[56:57]
	s_cbranch_vccnz .LBB82_59
; %bb.58:
	s_delay_alu instid0(VALU_DEP_1) | instskip(NEXT) | instid1(VALU_DEP_2)
	v_add_co_u32 v118, vcc_lo, v128, v58
	v_add_co_ci_u32_e32 v119, vcc_lo, v129, v59, vcc_lo
	flat_load_b32 v118, v[118:119]
	s_waitcnt vmcnt(0) lgkmcnt(0)
	v_mul_f32_e32 v118, s19, v118
	s_branch .LBB82_60
.LBB82_59:
	v_mov_b32_e32 v118, 0
.LBB82_60:
	v_dual_max_f32 v119, v45, v45 :: v_dual_max_f32 v122, v16, v16
	v_dual_max_f32 v120, v17, v17 :: v_dual_max_f32 v121, v44, v44
	;; [unrolled: 1-line block ×3, first 2 shown]
	v_add_co_u32 v58, vcc_lo, v126, v58
	s_delay_alu instid0(VALU_DEP_3) | instskip(NEXT) | instid1(VALU_DEP_4)
	v_dual_min_f32 v119, v120, v119 :: v_dual_max_f32 v120, v18, v18
	v_min_f32_e32 v121, v122, v121
	v_add_co_ci_u32_e32 v59, vcc_lo, v127, v59, vcc_lo
	s_delay_alu instid0(VALU_DEP_3) | instskip(SKIP_3) | instid1(VALU_DEP_3)
	v_add_f32_e32 v60, v60, v119
	v_max_f32_e32 v125, v19, v19
	v_min_f32_e32 v119, v120, v123
	v_add_f32_e32 v61, v61, v121
	v_min_f32_e32 v120, v125, v124
	s_delay_alu instid0(VALU_DEP_1) | instskip(NEXT) | instid1(VALU_DEP_1)
	v_dual_add_f32 v61, v61, v119 :: v_dual_add_f32 v60, v60, v120
	v_add_f32_e32 v60, v61, v60
	s_delay_alu instid0(VALU_DEP_1)
	v_add_f32_e32 v60, v60, v118
	global_store_b32 v[58:59], v60, off
.LBB82_61:
	s_or_b32 exec_lo, exec_lo, s5
	v_add_nc_u32_e32 v58, 40, v48
	s_delay_alu instid0(VALU_DEP_1) | instskip(SKIP_1) | instid1(VALU_DEP_2)
	v_cmp_gt_i32_e64 s5, s16, v58
	v_ashrrev_i32_e32 v59, 31, v58
	s_and_b32 s7, s5, s8
	s_delay_alu instid0(SALU_CYCLE_1)
	s_and_saveexec_b32 s6, s7
	s_cbranch_execz .LBB82_66
; %bb.62:
	v_cmp_ne_u32_e32 vcc_lo, 1, v101
	v_lshlrev_b64 v[60:61], 2, v[58:59]
	s_cbranch_vccnz .LBB82_64
; %bb.63:
	s_delay_alu instid0(VALU_DEP_1) | instskip(NEXT) | instid1(VALU_DEP_2)
	v_add_co_u32 v118, vcc_lo, v128, v60
	v_add_co_ci_u32_e32 v119, vcc_lo, v129, v61, vcc_lo
	flat_load_b32 v118, v[118:119]
	s_waitcnt vmcnt(0) lgkmcnt(0)
	v_mul_f32_e32 v118, s19, v118
	s_branch .LBB82_65
.LBB82_64:
	v_mov_b32_e32 v118, 0
.LBB82_65:
	v_dual_max_f32 v119, v45, v45 :: v_dual_max_f32 v122, v12, v12
	v_dual_max_f32 v120, v13, v13 :: v_dual_max_f32 v121, v44, v44
	;; [unrolled: 1-line block ×3, first 2 shown]
	v_add_co_u32 v60, vcc_lo, v126, v60
	s_delay_alu instid0(VALU_DEP_3) | instskip(NEXT) | instid1(VALU_DEP_4)
	v_dual_min_f32 v119, v120, v119 :: v_dual_max_f32 v120, v14, v14
	v_min_f32_e32 v121, v122, v121
	v_max_f32_e32 v125, v15, v15
	v_add_co_ci_u32_e32 v61, vcc_lo, v127, v61, vcc_lo
	s_delay_alu instid0(VALU_DEP_4) | instskip(NEXT) | instid1(VALU_DEP_4)
	v_add_f32_e32 v63, v63, v119
	v_dual_min_f32 v119, v120, v123 :: v_dual_add_f32 v62, v62, v121
	s_delay_alu instid0(VALU_DEP_4) | instskip(NEXT) | instid1(VALU_DEP_1)
	v_min_f32_e32 v120, v125, v124
	v_dual_add_f32 v62, v62, v119 :: v_dual_add_f32 v63, v63, v120
	s_delay_alu instid0(VALU_DEP_1) | instskip(NEXT) | instid1(VALU_DEP_1)
	v_add_f32_e32 v62, v62, v63
	v_add_f32_e32 v62, v62, v118
	global_store_b32 v[60:61], v62, off
.LBB82_66:
	s_or_b32 exec_lo, exec_lo, s6
	v_add_nc_u32_e32 v60, 48, v48
	s_delay_alu instid0(VALU_DEP_1) | instskip(SKIP_1) | instid1(VALU_DEP_2)
	v_cmp_gt_i32_e64 s6, s16, v60
	v_ashrrev_i32_e32 v61, 31, v60
	s_and_b32 s15, s6, s8
	s_delay_alu instid0(SALU_CYCLE_1)
	s_and_saveexec_b32 s7, s15
	s_cbranch_execz .LBB82_71
; %bb.67:
	v_cmp_ne_u32_e32 vcc_lo, 1, v101
	v_lshlrev_b64 v[62:63], 2, v[60:61]
	s_cbranch_vccnz .LBB82_69
; %bb.68:
	s_delay_alu instid0(VALU_DEP_1) | instskip(NEXT) | instid1(VALU_DEP_2)
	v_add_co_u32 v118, vcc_lo, v128, v62
	v_add_co_ci_u32_e32 v119, vcc_lo, v129, v63, vcc_lo
	flat_load_b32 v118, v[118:119]
	s_waitcnt vmcnt(0) lgkmcnt(0)
	v_mul_f32_e32 v118, s19, v118
	s_branch .LBB82_70
.LBB82_69:
	v_mov_b32_e32 v118, 0
.LBB82_70:
	v_dual_max_f32 v119, v45, v45 :: v_dual_max_f32 v122, v8, v8
	v_dual_max_f32 v120, v9, v9 :: v_dual_max_f32 v121, v44, v44
	;; [unrolled: 1-line block ×3, first 2 shown]
	v_add_co_u32 v62, vcc_lo, v126, v62
	s_delay_alu instid0(VALU_DEP_3) | instskip(NEXT) | instid1(VALU_DEP_4)
	v_dual_min_f32 v119, v120, v119 :: v_dual_max_f32 v120, v10, v10
	v_min_f32_e32 v121, v122, v121
	v_add_co_ci_u32_e32 v63, vcc_lo, v127, v63, vcc_lo
	s_delay_alu instid0(VALU_DEP_3) | instskip(SKIP_3) | instid1(VALU_DEP_3)
	v_add_f32_e32 v64, v64, v119
	v_max_f32_e32 v125, v11, v11
	v_min_f32_e32 v119, v120, v123
	v_add_f32_e32 v65, v65, v121
	v_min_f32_e32 v120, v125, v124
	s_delay_alu instid0(VALU_DEP_1) | instskip(NEXT) | instid1(VALU_DEP_1)
	v_dual_add_f32 v65, v65, v119 :: v_dual_add_f32 v64, v64, v120
	v_add_f32_e32 v64, v65, v64
	s_delay_alu instid0(VALU_DEP_1)
	v_add_f32_e32 v64, v64, v118
	global_store_b32 v[62:63], v64, off
.LBB82_71:
	s_or_b32 exec_lo, exec_lo, s7
	v_add_nc_u32_e32 v62, 56, v48
	s_delay_alu instid0(VALU_DEP_1) | instskip(SKIP_1) | instid1(VALU_DEP_2)
	v_cmp_gt_i32_e64 s7, s16, v62
	v_ashrrev_i32_e32 v63, 31, v62
	s_and_b32 s15, s7, s8
	s_delay_alu instid0(SALU_CYCLE_1)
	s_and_saveexec_b32 s8, s15
	s_cbranch_execz .LBB82_76
; %bb.72:
	v_cmp_ne_u32_e32 vcc_lo, 1, v101
	v_lshlrev_b64 v[64:65], 2, v[62:63]
	s_cbranch_vccnz .LBB82_74
; %bb.73:
	s_delay_alu instid0(VALU_DEP_1) | instskip(NEXT) | instid1(VALU_DEP_2)
	v_add_co_u32 v118, vcc_lo, v128, v64
	v_add_co_ci_u32_e32 v119, vcc_lo, v129, v65, vcc_lo
	flat_load_b32 v118, v[118:119]
	s_waitcnt vmcnt(0) lgkmcnt(0)
	v_mul_f32_e32 v118, s19, v118
	s_branch .LBB82_75
.LBB82_74:
	v_mov_b32_e32 v118, 0
.LBB82_75:
	v_dual_max_f32 v45, v45, v45 :: v_dual_max_f32 v44, v44, v44
	v_dual_max_f32 v119, v1, v1 :: v_dual_max_f32 v120, v0, v0
	s_delay_alu instid0(VALU_DEP_1) | instskip(NEXT) | instid1(VALU_DEP_2)
	v_dual_max_f32 v46, v46, v46 :: v_dual_min_f32 v45, v119, v45
	v_dual_max_f32 v119, v2, v2 :: v_dual_min_f32 v44, v120, v44
	v_max_f32_e32 v47, v47, v47
	s_delay_alu instid0(VALU_DEP_2) | instskip(NEXT) | instid1(VALU_DEP_3)
	v_dual_add_f32 v45, v115, v45 :: v_dual_add_f32 v44, v116, v44
	v_min_f32_e32 v46, v119, v46
	s_delay_alu instid0(VALU_DEP_1) | instskip(NEXT) | instid1(VALU_DEP_1)
	v_dual_max_f32 v121, v3, v3 :: v_dual_add_f32 v44, v44, v46
	v_min_f32_e32 v47, v121, v47
	s_delay_alu instid0(VALU_DEP_1) | instskip(NEXT) | instid1(VALU_DEP_1)
	v_add_f32_e32 v45, v45, v47
	v_add_f32_e32 v44, v44, v45
	s_delay_alu instid0(VALU_DEP_1)
	v_add_f32_e32 v46, v44, v118
	v_add_co_u32 v44, vcc_lo, v126, v64
	v_add_co_ci_u32_e32 v45, vcc_lo, v127, v65, vcc_lo
	global_store_b32 v[44:45], v46, off
.LBB82_76:
	s_or_b32 exec_lo, exec_lo, s8
	v_add_nc_u32_e32 v64, 32, v117
	s_delay_alu instid0(VALU_DEP_1) | instskip(SKIP_2) | instid1(VALU_DEP_3)
	v_mad_i64_i32 v[44:45], null, v64, s12, 0
	v_mad_i64_i32 v[46:47], null, v64, s9, 0
	v_cmp_gt_i32_e64 s8, s17, v64
	v_lshlrev_b64 v[44:45], 2, v[44:45]
	s_delay_alu instid0(VALU_DEP_2) | instskip(NEXT) | instid1(VALU_DEP_3)
	s_and_b32 s16, s0, s8
	v_lshlrev_b64 v[46:47], 2, v[46:47]
	s_delay_alu instid0(VALU_DEP_2) | instskip(NEXT) | instid1(VALU_DEP_3)
	v_add_co_u32 v64, vcc_lo, s10, v44
	v_add_co_ci_u32_e32 v65, vcc_lo, s11, v45, vcc_lo
	s_delay_alu instid0(VALU_DEP_3) | instskip(NEXT) | instid1(VALU_DEP_4)
	v_add_co_u32 v46, vcc_lo, s13, v46
	v_add_co_ci_u32_e32 v47, vcc_lo, s14, v47, vcc_lo
	s_and_saveexec_b32 s15, s16
	s_cbranch_execnz .LBB82_84
; %bb.77:
	s_or_b32 exec_lo, exec_lo, s15
	s_and_b32 s16, s1, s8
	s_delay_alu instid0(SALU_CYCLE_1)
	s_and_saveexec_b32 s15, s16
	s_cbranch_execnz .LBB82_88
.LBB82_78:
	s_or_b32 exec_lo, exec_lo, s15
	s_and_b32 s16, s2, s8
	s_delay_alu instid0(SALU_CYCLE_1)
	s_and_saveexec_b32 s15, s16
	s_cbranch_execnz .LBB82_92
.LBB82_79:
	s_or_b32 exec_lo, exec_lo, s15
	s_and_b32 s16, s3, s8
	s_delay_alu instid0(SALU_CYCLE_1)
	s_and_saveexec_b32 s15, s16
	s_cbranch_execnz .LBB82_96
.LBB82_80:
	s_or_b32 exec_lo, exec_lo, s15
	s_and_b32 s16, s4, s8
	s_delay_alu instid0(SALU_CYCLE_1)
	s_and_saveexec_b32 s15, s16
	s_cbranch_execnz .LBB82_100
.LBB82_81:
	s_or_b32 exec_lo, exec_lo, s15
	s_and_b32 s16, s5, s8
	s_delay_alu instid0(SALU_CYCLE_1)
	s_and_saveexec_b32 s15, s16
	s_cbranch_execnz .LBB82_104
.LBB82_82:
	s_or_b32 exec_lo, exec_lo, s15
	s_and_b32 s16, s6, s8
	s_delay_alu instid0(SALU_CYCLE_1)
	s_and_saveexec_b32 s15, s16
	s_cbranch_execnz .LBB82_108
.LBB82_83:
	s_or_b32 exec_lo, exec_lo, s15
	s_and_b32 s15, s7, s8
	s_delay_alu instid0(SALU_CYCLE_1)
	s_and_saveexec_b32 s8, s15
	s_cbranch_execnz .LBB82_112
	s_branch .LBB82_116
.LBB82_84:
	v_cmp_ne_u32_e32 vcc_lo, 1, v101
	v_lshlrev_b64 v[44:45], 2, v[48:49]
	s_cbranch_vccnz .LBB82_86
; %bb.85:
	s_delay_alu instid0(VALU_DEP_1) | instskip(NEXT) | instid1(VALU_DEP_2)
	v_add_co_u32 v115, vcc_lo, v64, v44
	v_add_co_ci_u32_e32 v116, vcc_lo, v65, v45, vcc_lo
	flat_load_b32 v115, v[115:116]
	s_waitcnt vmcnt(0) lgkmcnt(0)
	v_mul_f32_e32 v115, s19, v115
	s_branch .LBB82_87
.LBB82_86:
	v_mov_b32_e32 v115, 0
.LBB82_87:
	v_dual_max_f32 v116, v41, v41 :: v_dual_max_f32 v119, v40, v40
	v_dual_max_f32 v118, v33, v33 :: v_dual_max_f32 v121, v42, v42
	;; [unrolled: 1-line block ×3, first 2 shown]
	v_add_co_u32 v44, vcc_lo, v46, v44
	s_delay_alu instid0(VALU_DEP_2) | instskip(SKIP_2) | instid1(VALU_DEP_3)
	v_dual_min_f32 v116, v118, v116 :: v_dual_min_f32 v119, v120, v119
	v_max_f32_e32 v118, v34, v34
	v_add_co_ci_u32_e32 v45, vcc_lo, v47, v45, vcc_lo
	v_dual_add_f32 v114, v114, v116 :: v_dual_add_f32 v113, v113, v119
	s_delay_alu instid0(VALU_DEP_3) | instskip(NEXT) | instid1(VALU_DEP_1)
	v_min_f32_e32 v116, v118, v121
	v_dual_max_f32 v122, v43, v43 :: v_dual_add_f32 v113, v113, v116
	s_delay_alu instid0(VALU_DEP_1) | instskip(NEXT) | instid1(VALU_DEP_1)
	v_min_f32_e32 v118, v123, v122
	v_add_f32_e32 v114, v114, v118
	s_delay_alu instid0(VALU_DEP_1) | instskip(NEXT) | instid1(VALU_DEP_1)
	v_add_f32_e32 v113, v113, v114
	v_add_f32_e32 v113, v113, v115
	global_store_b32 v[44:45], v113, off
	s_or_b32 exec_lo, exec_lo, s15
	s_and_b32 s16, s1, s8
	s_delay_alu instid0(SALU_CYCLE_1)
	s_and_saveexec_b32 s15, s16
	s_cbranch_execz .LBB82_78
.LBB82_88:
	v_cmp_ne_u32_e32 vcc_lo, 1, v101
	v_lshlrev_b64 v[44:45], 2, v[50:51]
	s_cbranch_vccnz .LBB82_90
; %bb.89:
	s_delay_alu instid0(VALU_DEP_1) | instskip(NEXT) | instid1(VALU_DEP_2)
	v_add_co_u32 v113, vcc_lo, v64, v44
	v_add_co_ci_u32_e32 v114, vcc_lo, v65, v45, vcc_lo
	flat_load_b32 v113, v[113:114]
	s_waitcnt vmcnt(0) lgkmcnt(0)
	v_mul_f32_e32 v113, s19, v113
	s_branch .LBB82_91
.LBB82_90:
	v_mov_b32_e32 v113, 0
.LBB82_91:
	v_dual_max_f32 v114, v41, v41 :: v_dual_max_f32 v119, v42, v42
	v_dual_max_f32 v115, v29, v29 :: v_dual_max_f32 v116, v40, v40
	v_max_f32_e32 v118, v28, v28
	v_max_f32_e32 v120, v43, v43
	;; [unrolled: 1-line block ×3, first 2 shown]
	s_delay_alu instid0(VALU_DEP_4) | instskip(SKIP_3) | instid1(VALU_DEP_4)
	v_min_f32_e32 v114, v115, v114
	v_max_f32_e32 v115, v30, v30
	v_min_f32_e32 v116, v118, v116
	v_add_co_u32 v44, vcc_lo, v46, v44
	v_add_f32_e32 v111, v111, v114
	s_delay_alu instid0(VALU_DEP_4) | instskip(NEXT) | instid1(VALU_DEP_4)
	v_min_f32_e32 v114, v115, v119
	v_add_f32_e32 v112, v112, v116
	v_min_f32_e32 v115, v121, v120
	v_add_co_ci_u32_e32 v45, vcc_lo, v47, v45, vcc_lo
	s_delay_alu instid0(VALU_DEP_2) | instskip(NEXT) | instid1(VALU_DEP_1)
	v_dual_add_f32 v112, v112, v114 :: v_dual_add_f32 v111, v111, v115
	v_add_f32_e32 v111, v112, v111
	s_delay_alu instid0(VALU_DEP_1) | instskip(SKIP_3) | instid1(SALU_CYCLE_1)
	v_add_f32_e32 v111, v111, v113
	global_store_b32 v[44:45], v111, off
	s_or_b32 exec_lo, exec_lo, s15
	s_and_b32 s16, s2, s8
	s_and_saveexec_b32 s15, s16
	s_cbranch_execz .LBB82_79
.LBB82_92:
	v_cmp_ne_u32_e32 vcc_lo, 1, v101
	v_lshlrev_b64 v[44:45], 2, v[52:53]
	s_cbranch_vccnz .LBB82_94
; %bb.93:
	s_delay_alu instid0(VALU_DEP_1) | instskip(NEXT) | instid1(VALU_DEP_2)
	v_add_co_u32 v111, vcc_lo, v64, v44
	v_add_co_ci_u32_e32 v112, vcc_lo, v65, v45, vcc_lo
	flat_load_b32 v111, v[111:112]
	s_waitcnt vmcnt(0) lgkmcnt(0)
	v_mul_f32_e32 v111, s19, v111
	s_branch .LBB82_95
.LBB82_94:
	v_mov_b32_e32 v111, 0
.LBB82_95:
	v_dual_max_f32 v112, v41, v41 :: v_dual_max_f32 v115, v24, v24
	v_dual_max_f32 v113, v25, v25 :: v_dual_max_f32 v114, v40, v40
	;; [unrolled: 1-line block ×3, first 2 shown]
	v_add_co_u32 v44, vcc_lo, v46, v44
	s_delay_alu instid0(VALU_DEP_3) | instskip(SKIP_1) | instid1(VALU_DEP_2)
	v_dual_min_f32 v112, v113, v112 :: v_dual_max_f32 v113, v26, v26
	v_add_co_ci_u32_e32 v45, vcc_lo, v47, v45, vcc_lo
	v_add_f32_e32 v110, v110, v112
	s_delay_alu instid0(VALU_DEP_3) | instskip(SKIP_1) | instid1(VALU_DEP_1)
	v_min_f32_e32 v112, v113, v116
	v_min_f32_e32 v114, v115, v114
	v_dual_max_f32 v118, v43, v43 :: v_dual_add_f32 v109, v109, v114
	s_delay_alu instid0(VALU_DEP_1) | instskip(NEXT) | instid1(VALU_DEP_1)
	v_min_f32_e32 v113, v119, v118
	v_dual_add_f32 v109, v109, v112 :: v_dual_add_f32 v110, v110, v113
	s_delay_alu instid0(VALU_DEP_1) | instskip(NEXT) | instid1(VALU_DEP_1)
	v_add_f32_e32 v109, v109, v110
	v_add_f32_e32 v109, v109, v111
	global_store_b32 v[44:45], v109, off
	s_or_b32 exec_lo, exec_lo, s15
	s_and_b32 s16, s3, s8
	s_delay_alu instid0(SALU_CYCLE_1)
	s_and_saveexec_b32 s15, s16
	s_cbranch_execz .LBB82_80
.LBB82_96:
	v_cmp_ne_u32_e32 vcc_lo, 1, v101
	v_lshlrev_b64 v[44:45], 2, v[54:55]
	s_cbranch_vccnz .LBB82_98
; %bb.97:
	s_delay_alu instid0(VALU_DEP_1) | instskip(NEXT) | instid1(VALU_DEP_2)
	v_add_co_u32 v109, vcc_lo, v64, v44
	v_add_co_ci_u32_e32 v110, vcc_lo, v65, v45, vcc_lo
	flat_load_b32 v109, v[109:110]
	s_waitcnt vmcnt(0) lgkmcnt(0)
	v_mul_f32_e32 v109, s19, v109
	s_branch .LBB82_99
.LBB82_98:
	v_mov_b32_e32 v109, 0
.LBB82_99:
	v_dual_max_f32 v110, v41, v41 :: v_dual_max_f32 v113, v20, v20
	v_dual_max_f32 v111, v21, v21 :: v_dual_max_f32 v112, v40, v40
	v_dual_max_f32 v114, v42, v42 :: v_dual_max_f32 v115, v43, v43
	v_max_f32_e32 v116, v23, v23
	s_delay_alu instid0(VALU_DEP_3) | instskip(NEXT) | instid1(VALU_DEP_4)
	v_min_f32_e32 v110, v111, v110
	v_dual_max_f32 v111, v22, v22 :: v_dual_min_f32 v112, v113, v112
	v_add_co_u32 v44, vcc_lo, v46, v44
	s_delay_alu instid0(VALU_DEP_3) | instskip(NEXT) | instid1(VALU_DEP_3)
	v_add_f32_e32 v107, v107, v110
	v_dual_min_f32 v110, v111, v114 :: v_dual_min_f32 v111, v116, v115
	s_delay_alu instid0(VALU_DEP_4) | instskip(SKIP_1) | instid1(VALU_DEP_2)
	v_add_f32_e32 v108, v108, v112
	v_add_co_ci_u32_e32 v45, vcc_lo, v47, v45, vcc_lo
	v_dual_add_f32 v107, v107, v111 :: v_dual_add_f32 v108, v108, v110
	s_delay_alu instid0(VALU_DEP_1) | instskip(NEXT) | instid1(VALU_DEP_1)
	v_add_f32_e32 v107, v108, v107
	v_add_f32_e32 v107, v107, v109
	global_store_b32 v[44:45], v107, off
	s_or_b32 exec_lo, exec_lo, s15
	s_and_b32 s16, s4, s8
	s_delay_alu instid0(SALU_CYCLE_1)
	s_and_saveexec_b32 s15, s16
	s_cbranch_execz .LBB82_81
.LBB82_100:
	v_cmp_ne_u32_e32 vcc_lo, 1, v101
	v_lshlrev_b64 v[44:45], 2, v[56:57]
	s_cbranch_vccnz .LBB82_102
; %bb.101:
	s_delay_alu instid0(VALU_DEP_1) | instskip(NEXT) | instid1(VALU_DEP_2)
	v_add_co_u32 v107, vcc_lo, v64, v44
	v_add_co_ci_u32_e32 v108, vcc_lo, v65, v45, vcc_lo
	flat_load_b32 v107, v[107:108]
	s_waitcnt vmcnt(0) lgkmcnt(0)
	v_mul_f32_e32 v107, s19, v107
	s_branch .LBB82_103
.LBB82_102:
	v_mov_b32_e32 v107, 0
.LBB82_103:
	v_dual_max_f32 v108, v41, v41 :: v_dual_max_f32 v111, v16, v16
	v_dual_max_f32 v109, v17, v17 :: v_dual_max_f32 v110, v40, v40
	;; [unrolled: 1-line block ×3, first 2 shown]
	v_add_co_u32 v44, vcc_lo, v46, v44
	s_delay_alu instid0(VALU_DEP_3) | instskip(SKIP_2) | instid1(VALU_DEP_3)
	v_dual_min_f32 v108, v109, v108 :: v_dual_max_f32 v109, v18, v18
	v_max_f32_e32 v114, v19, v19
	v_add_co_ci_u32_e32 v45, vcc_lo, v47, v45, vcc_lo
	v_dual_add_f32 v105, v105, v108 :: v_dual_min_f32 v110, v111, v110
	s_delay_alu instid0(VALU_DEP_3) | instskip(NEXT) | instid1(VALU_DEP_1)
	v_dual_min_f32 v108, v109, v112 :: v_dual_min_f32 v109, v114, v113
	v_dual_add_f32 v106, v106, v110 :: v_dual_add_f32 v105, v105, v109
	s_delay_alu instid0(VALU_DEP_1) | instskip(NEXT) | instid1(VALU_DEP_1)
	v_add_f32_e32 v106, v106, v108
	v_add_f32_e32 v105, v106, v105
	s_delay_alu instid0(VALU_DEP_1) | instskip(SKIP_3) | instid1(SALU_CYCLE_1)
	v_add_f32_e32 v105, v105, v107
	global_store_b32 v[44:45], v105, off
	s_or_b32 exec_lo, exec_lo, s15
	s_and_b32 s16, s5, s8
	s_and_saveexec_b32 s15, s16
	s_cbranch_execz .LBB82_82
.LBB82_104:
	v_cmp_ne_u32_e32 vcc_lo, 1, v101
	v_lshlrev_b64 v[44:45], 2, v[58:59]
	s_cbranch_vccnz .LBB82_106
; %bb.105:
	s_delay_alu instid0(VALU_DEP_1) | instskip(NEXT) | instid1(VALU_DEP_2)
	v_add_co_u32 v105, vcc_lo, v64, v44
	v_add_co_ci_u32_e32 v106, vcc_lo, v65, v45, vcc_lo
	flat_load_b32 v105, v[105:106]
	s_waitcnt vmcnt(0) lgkmcnt(0)
	v_mul_f32_e32 v105, s19, v105
	s_branch .LBB82_107
.LBB82_106:
	v_mov_b32_e32 v105, 0
.LBB82_107:
	v_dual_max_f32 v106, v41, v41 :: v_dual_max_f32 v109, v12, v12
	v_dual_max_f32 v107, v13, v13 :: v_dual_max_f32 v108, v40, v40
	;; [unrolled: 1-line block ×3, first 2 shown]
	v_max_f32_e32 v112, v15, v15
	s_delay_alu instid0(VALU_DEP_3) | instskip(NEXT) | instid1(VALU_DEP_4)
	v_min_f32_e32 v106, v107, v106
	v_dual_max_f32 v107, v14, v14 :: v_dual_min_f32 v108, v109, v108
	v_add_co_u32 v44, vcc_lo, v46, v44
	s_delay_alu instid0(VALU_DEP_3) | instskip(NEXT) | instid1(VALU_DEP_3)
	v_add_f32_e32 v104, v104, v106
	v_min_f32_e32 v106, v107, v110
	s_delay_alu instid0(VALU_DEP_4) | instskip(SKIP_2) | instid1(VALU_DEP_2)
	v_add_f32_e32 v103, v103, v108
	v_min_f32_e32 v107, v112, v111
	v_add_co_ci_u32_e32 v45, vcc_lo, v47, v45, vcc_lo
	v_dual_add_f32 v103, v103, v106 :: v_dual_add_f32 v104, v104, v107
	s_delay_alu instid0(VALU_DEP_1) | instskip(NEXT) | instid1(VALU_DEP_1)
	v_add_f32_e32 v103, v103, v104
	v_add_f32_e32 v103, v103, v105
	global_store_b32 v[44:45], v103, off
	s_or_b32 exec_lo, exec_lo, s15
	s_and_b32 s16, s6, s8
	s_delay_alu instid0(SALU_CYCLE_1)
	s_and_saveexec_b32 s15, s16
	s_cbranch_execz .LBB82_83
.LBB82_108:
	v_cmp_ne_u32_e32 vcc_lo, 1, v101
	v_lshlrev_b64 v[44:45], 2, v[60:61]
	s_cbranch_vccnz .LBB82_110
; %bb.109:
	s_delay_alu instid0(VALU_DEP_1) | instskip(NEXT) | instid1(VALU_DEP_2)
	v_add_co_u32 v103, vcc_lo, v64, v44
	v_add_co_ci_u32_e32 v104, vcc_lo, v65, v45, vcc_lo
	flat_load_b32 v103, v[103:104]
	s_waitcnt vmcnt(0) lgkmcnt(0)
	v_mul_f32_e32 v103, s19, v103
	s_branch .LBB82_111
.LBB82_110:
	v_mov_b32_e32 v103, 0
.LBB82_111:
	v_dual_max_f32 v104, v41, v41 :: v_dual_max_f32 v107, v8, v8
	v_dual_max_f32 v105, v9, v9 :: v_dual_max_f32 v106, v40, v40
	;; [unrolled: 1-line block ×3, first 2 shown]
	v_max_f32_e32 v110, v11, v11
	s_delay_alu instid0(VALU_DEP_3) | instskip(NEXT) | instid1(VALU_DEP_4)
	v_dual_min_f32 v104, v105, v104 :: v_dual_max_f32 v105, v10, v10
	v_min_f32_e32 v106, v107, v106
	v_add_co_u32 v44, vcc_lo, v46, v44
	s_delay_alu instid0(VALU_DEP_3) | instskip(NEXT) | instid1(VALU_DEP_4)
	v_add_f32_e32 v100, v100, v104
	v_dual_min_f32 v104, v105, v108 :: v_dual_min_f32 v105, v110, v109
	s_delay_alu instid0(VALU_DEP_4) | instskip(SKIP_1) | instid1(VALU_DEP_3)
	v_add_f32_e32 v102, v102, v106
	v_add_co_ci_u32_e32 v45, vcc_lo, v47, v45, vcc_lo
	v_add_f32_e32 v100, v100, v105
	s_delay_alu instid0(VALU_DEP_3) | instskip(NEXT) | instid1(VALU_DEP_1)
	v_add_f32_e32 v102, v102, v104
	v_add_f32_e32 v100, v102, v100
	s_delay_alu instid0(VALU_DEP_1) | instskip(SKIP_3) | instid1(SALU_CYCLE_1)
	v_add_f32_e32 v100, v100, v103
	global_store_b32 v[44:45], v100, off
	s_or_b32 exec_lo, exec_lo, s15
	s_and_b32 s15, s7, s8
	s_and_saveexec_b32 s8, s15
	s_cbranch_execz .LBB82_116
.LBB82_112:
	v_cmp_ne_u32_e32 vcc_lo, 1, v101
	v_lshlrev_b64 v[44:45], 2, v[62:63]
	s_cbranch_vccnz .LBB82_114
; %bb.113:
	s_delay_alu instid0(VALU_DEP_1) | instskip(NEXT) | instid1(VALU_DEP_2)
	v_add_co_u32 v64, vcc_lo, v64, v44
	v_add_co_ci_u32_e32 v65, vcc_lo, v65, v45, vcc_lo
	flat_load_b32 v64, v[64:65]
	s_waitcnt vmcnt(0) lgkmcnt(0)
	v_mul_f32_e32 v64, s19, v64
	s_branch .LBB82_115
.LBB82_114:
	v_mov_b32_e32 v64, 0
.LBB82_115:
	v_dual_max_f32 v41, v41, v41 :: v_dual_max_f32 v40, v40, v40
	v_dual_max_f32 v65, v1, v1 :: v_dual_max_f32 v100, v0, v0
	;; [unrolled: 1-line block ×3, first 2 shown]
	s_delay_alu instid0(VALU_DEP_2) | instskip(NEXT) | instid1(VALU_DEP_3)
	v_dual_max_f32 v102, v3, v3 :: v_dual_min_f32 v41, v65, v41
	v_dual_min_f32 v40, v100, v40 :: v_dual_max_f32 v65, v2, v2
	s_delay_alu instid0(VALU_DEP_1) | instskip(NEXT) | instid1(VALU_DEP_2)
	v_dual_add_f32 v41, v99, v41 :: v_dual_min_f32 v42, v65, v42
	v_add_f32_e32 v40, v98, v40
	s_delay_alu instid0(VALU_DEP_1) | instskip(NEXT) | instid1(VALU_DEP_1)
	v_dual_min_f32 v43, v102, v43 :: v_dual_add_f32 v40, v40, v42
	v_add_f32_e32 v41, v41, v43
	s_delay_alu instid0(VALU_DEP_1) | instskip(NEXT) | instid1(VALU_DEP_1)
	v_add_f32_e32 v40, v40, v41
	v_add_f32_e32 v42, v40, v64
	v_add_co_u32 v40, vcc_lo, v46, v44
	v_add_co_ci_u32_e32 v41, vcc_lo, v47, v45, vcc_lo
	global_store_b32 v[40:41], v42, off
.LBB82_116:
	s_or_b32 exec_lo, exec_lo, s8
	v_add_nc_u32_e32 v44, 64, v117
	s_delay_alu instid0(VALU_DEP_1) | instskip(SKIP_2) | instid1(VALU_DEP_3)
	v_mad_i64_i32 v[40:41], null, v44, s12, 0
	v_mad_i64_i32 v[42:43], null, v44, s9, 0
	v_cmp_gt_i32_e64 s8, s17, v44
	v_lshlrev_b64 v[40:41], 2, v[40:41]
	s_delay_alu instid0(VALU_DEP_2) | instskip(NEXT) | instid1(VALU_DEP_3)
	s_and_b32 s16, s0, s8
	v_lshlrev_b64 v[42:43], 2, v[42:43]
	s_delay_alu instid0(VALU_DEP_2) | instskip(NEXT) | instid1(VALU_DEP_3)
	v_add_co_u32 v44, vcc_lo, s10, v40
	v_add_co_ci_u32_e32 v45, vcc_lo, s11, v41, vcc_lo
	s_delay_alu instid0(VALU_DEP_3) | instskip(NEXT) | instid1(VALU_DEP_4)
	v_add_co_u32 v42, vcc_lo, s13, v42
	v_add_co_ci_u32_e32 v43, vcc_lo, s14, v43, vcc_lo
	s_and_saveexec_b32 s15, s16
	s_cbranch_execnz .LBB82_124
; %bb.117:
	s_or_b32 exec_lo, exec_lo, s15
	s_and_b32 s16, s1, s8
	s_delay_alu instid0(SALU_CYCLE_1)
	s_and_saveexec_b32 s15, s16
	s_cbranch_execnz .LBB82_128
.LBB82_118:
	s_or_b32 exec_lo, exec_lo, s15
	s_and_b32 s16, s2, s8
	s_delay_alu instid0(SALU_CYCLE_1)
	s_and_saveexec_b32 s15, s16
	s_cbranch_execnz .LBB82_132
.LBB82_119:
	s_or_b32 exec_lo, exec_lo, s15
	s_and_b32 s16, s3, s8
	s_delay_alu instid0(SALU_CYCLE_1)
	s_and_saveexec_b32 s15, s16
	s_cbranch_execnz .LBB82_136
.LBB82_120:
	s_or_b32 exec_lo, exec_lo, s15
	s_and_b32 s16, s4, s8
	s_delay_alu instid0(SALU_CYCLE_1)
	s_and_saveexec_b32 s15, s16
	s_cbranch_execnz .LBB82_140
.LBB82_121:
	s_or_b32 exec_lo, exec_lo, s15
	s_and_b32 s16, s5, s8
	s_delay_alu instid0(SALU_CYCLE_1)
	s_and_saveexec_b32 s15, s16
	s_cbranch_execnz .LBB82_144
.LBB82_122:
	s_or_b32 exec_lo, exec_lo, s15
	s_and_b32 s16, s6, s8
	s_delay_alu instid0(SALU_CYCLE_1)
	s_and_saveexec_b32 s15, s16
	s_cbranch_execnz .LBB82_148
.LBB82_123:
	s_or_b32 exec_lo, exec_lo, s15
	s_and_b32 s15, s7, s8
	s_delay_alu instid0(SALU_CYCLE_1)
	s_and_saveexec_b32 s8, s15
	s_cbranch_execnz .LBB82_152
	s_branch .LBB82_156
.LBB82_124:
	v_cmp_ne_u32_e32 vcc_lo, 1, v101
	v_lshlrev_b64 v[40:41], 2, v[48:49]
	s_cbranch_vccnz .LBB82_126
; %bb.125:
	s_delay_alu instid0(VALU_DEP_1) | instskip(NEXT) | instid1(VALU_DEP_2)
	v_add_co_u32 v46, vcc_lo, v44, v40
	v_add_co_ci_u32_e32 v47, vcc_lo, v45, v41, vcc_lo
	flat_load_b32 v46, v[46:47]
	s_waitcnt vmcnt(0) lgkmcnt(0)
	v_mul_f32_e32 v46, s19, v46
	s_branch .LBB82_127
.LBB82_126:
	v_mov_b32_e32 v46, 0
.LBB82_127:
	v_dual_max_f32 v47, v37, v37 :: v_dual_max_f32 v98, v32, v32
	v_dual_max_f32 v64, v33, v33 :: v_dual_max_f32 v65, v36, v36
	;; [unrolled: 1-line block ×3, first 2 shown]
	v_max_f32_e32 v102, v35, v35
	s_delay_alu instid0(VALU_DEP_3) | instskip(NEXT) | instid1(VALU_DEP_4)
	v_dual_min_f32 v47, v64, v47 :: v_dual_max_f32 v64, v34, v34
	v_min_f32_e32 v65, v98, v65
	v_add_co_u32 v40, vcc_lo, v42, v40
	s_delay_alu instid0(VALU_DEP_3) | instskip(NEXT) | instid1(VALU_DEP_4)
	v_add_f32_e32 v47, v97, v47
	v_dual_min_f32 v64, v64, v99 :: v_dual_min_f32 v97, v102, v100
	s_delay_alu instid0(VALU_DEP_4) | instskip(SKIP_1) | instid1(VALU_DEP_2)
	v_add_f32_e32 v65, v96, v65
	v_add_co_ci_u32_e32 v41, vcc_lo, v43, v41, vcc_lo
	v_dual_add_f32 v47, v47, v97 :: v_dual_add_f32 v64, v65, v64
	s_delay_alu instid0(VALU_DEP_1) | instskip(NEXT) | instid1(VALU_DEP_1)
	v_add_f32_e32 v47, v64, v47
	v_add_f32_e32 v46, v47, v46
	global_store_b32 v[40:41], v46, off
	s_or_b32 exec_lo, exec_lo, s15
	s_and_b32 s16, s1, s8
	s_delay_alu instid0(SALU_CYCLE_1)
	s_and_saveexec_b32 s15, s16
	s_cbranch_execz .LBB82_118
.LBB82_128:
	v_cmp_ne_u32_e32 vcc_lo, 1, v101
	v_lshlrev_b64 v[40:41], 2, v[50:51]
	s_cbranch_vccnz .LBB82_130
; %bb.129:
	s_delay_alu instid0(VALU_DEP_1) | instskip(NEXT) | instid1(VALU_DEP_2)
	v_add_co_u32 v46, vcc_lo, v44, v40
	v_add_co_ci_u32_e32 v47, vcc_lo, v45, v41, vcc_lo
	flat_load_b32 v46, v[46:47]
	s_waitcnt vmcnt(0) lgkmcnt(0)
	v_mul_f32_e32 v46, s19, v46
	s_branch .LBB82_131
.LBB82_130:
	v_mov_b32_e32 v46, 0
.LBB82_131:
	v_dual_max_f32 v47, v37, v37 :: v_dual_max_f32 v96, v28, v28
	v_dual_max_f32 v64, v29, v29 :: v_dual_max_f32 v65, v36, v36
	v_dual_max_f32 v97, v38, v38 :: v_dual_max_f32 v98, v39, v39
	v_add_co_u32 v40, vcc_lo, v42, v40
	s_delay_alu instid0(VALU_DEP_3) | instskip(SKIP_2) | instid1(VALU_DEP_3)
	v_dual_min_f32 v47, v64, v47 :: v_dual_max_f32 v64, v30, v30
	v_max_f32_e32 v99, v31, v31
	v_add_co_ci_u32_e32 v41, vcc_lo, v43, v41, vcc_lo
	v_min_f32_e32 v64, v64, v97
	v_min_f32_e32 v65, v96, v65
	s_delay_alu instid0(VALU_DEP_4) | instskip(NEXT) | instid1(VALU_DEP_2)
	v_dual_add_f32 v47, v94, v47 :: v_dual_min_f32 v94, v99, v98
	v_add_f32_e32 v65, v95, v65
	s_delay_alu instid0(VALU_DEP_1) | instskip(NEXT) | instid1(VALU_DEP_1)
	v_dual_add_f32 v64, v65, v64 :: v_dual_add_f32 v47, v47, v94
	v_add_f32_e32 v47, v64, v47
	s_delay_alu instid0(VALU_DEP_1) | instskip(SKIP_3) | instid1(SALU_CYCLE_1)
	v_add_f32_e32 v46, v47, v46
	global_store_b32 v[40:41], v46, off
	s_or_b32 exec_lo, exec_lo, s15
	s_and_b32 s16, s2, s8
	s_and_saveexec_b32 s15, s16
	s_cbranch_execz .LBB82_119
.LBB82_132:
	v_cmp_ne_u32_e32 vcc_lo, 1, v101
	v_lshlrev_b64 v[40:41], 2, v[52:53]
	s_cbranch_vccnz .LBB82_134
; %bb.133:
	s_delay_alu instid0(VALU_DEP_1) | instskip(NEXT) | instid1(VALU_DEP_2)
	v_add_co_u32 v46, vcc_lo, v44, v40
	v_add_co_ci_u32_e32 v47, vcc_lo, v45, v41, vcc_lo
	flat_load_b32 v46, v[46:47]
	s_waitcnt vmcnt(0) lgkmcnt(0)
	v_mul_f32_e32 v46, s19, v46
	s_branch .LBB82_135
.LBB82_134:
	v_mov_b32_e32 v46, 0
.LBB82_135:
	v_dual_max_f32 v47, v37, v37 :: v_dual_max_f32 v94, v24, v24
	v_dual_max_f32 v64, v25, v25 :: v_dual_max_f32 v65, v36, v36
	;; [unrolled: 1-line block ×3, first 2 shown]
	v_add_co_u32 v40, vcc_lo, v42, v40
	s_delay_alu instid0(VALU_DEP_3) | instskip(NEXT) | instid1(VALU_DEP_4)
	v_dual_min_f32 v47, v64, v47 :: v_dual_max_f32 v64, v26, v26
	v_min_f32_e32 v65, v94, v65
	v_add_co_ci_u32_e32 v41, vcc_lo, v43, v41, vcc_lo
	s_delay_alu instid0(VALU_DEP_2) | instskip(NEXT) | instid1(VALU_DEP_1)
	v_dual_min_f32 v64, v64, v95 :: v_dual_add_f32 v65, v93, v65
	v_dual_max_f32 v97, v27, v27 :: v_dual_add_f32 v64, v65, v64
	s_delay_alu instid0(VALU_DEP_1) | instskip(NEXT) | instid1(VALU_DEP_1)
	v_dual_add_f32 v47, v92, v47 :: v_dual_min_f32 v92, v97, v96
	v_add_f32_e32 v47, v47, v92
	s_delay_alu instid0(VALU_DEP_1) | instskip(NEXT) | instid1(VALU_DEP_1)
	v_add_f32_e32 v47, v64, v47
	v_add_f32_e32 v46, v47, v46
	global_store_b32 v[40:41], v46, off
	s_or_b32 exec_lo, exec_lo, s15
	s_and_b32 s16, s3, s8
	s_delay_alu instid0(SALU_CYCLE_1)
	s_and_saveexec_b32 s15, s16
	s_cbranch_execz .LBB82_120
.LBB82_136:
	v_cmp_ne_u32_e32 vcc_lo, 1, v101
	v_lshlrev_b64 v[40:41], 2, v[54:55]
	s_cbranch_vccnz .LBB82_138
; %bb.137:
	s_delay_alu instid0(VALU_DEP_1) | instskip(NEXT) | instid1(VALU_DEP_2)
	v_add_co_u32 v46, vcc_lo, v44, v40
	v_add_co_ci_u32_e32 v47, vcc_lo, v45, v41, vcc_lo
	flat_load_b32 v46, v[46:47]
	s_waitcnt vmcnt(0) lgkmcnt(0)
	v_mul_f32_e32 v46, s19, v46
	s_branch .LBB82_139
.LBB82_138:
	v_mov_b32_e32 v46, 0
.LBB82_139:
	v_dual_max_f32 v47, v37, v37 :: v_dual_max_f32 v92, v20, v20
	v_dual_max_f32 v64, v21, v21 :: v_dual_max_f32 v65, v36, v36
	;; [unrolled: 1-line block ×3, first 2 shown]
	v_add_co_u32 v40, vcc_lo, v42, v40
	s_delay_alu instid0(VALU_DEP_3) | instskip(SKIP_2) | instid1(VALU_DEP_3)
	v_dual_min_f32 v47, v64, v47 :: v_dual_max_f32 v64, v22, v22
	v_max_f32_e32 v95, v23, v23
	v_add_co_ci_u32_e32 v41, vcc_lo, v43, v41, vcc_lo
	v_min_f32_e32 v64, v64, v93
	v_min_f32_e32 v65, v92, v65
	s_delay_alu instid0(VALU_DEP_4) | instskip(NEXT) | instid1(VALU_DEP_2)
	v_dual_add_f32 v47, v90, v47 :: v_dual_min_f32 v90, v95, v94
	v_add_f32_e32 v65, v91, v65
	s_delay_alu instid0(VALU_DEP_1) | instskip(NEXT) | instid1(VALU_DEP_1)
	v_dual_add_f32 v64, v65, v64 :: v_dual_add_f32 v47, v47, v90
	v_add_f32_e32 v47, v64, v47
	s_delay_alu instid0(VALU_DEP_1) | instskip(SKIP_3) | instid1(SALU_CYCLE_1)
	v_add_f32_e32 v46, v47, v46
	global_store_b32 v[40:41], v46, off
	s_or_b32 exec_lo, exec_lo, s15
	s_and_b32 s16, s4, s8
	s_and_saveexec_b32 s15, s16
	s_cbranch_execz .LBB82_121
.LBB82_140:
	v_cmp_ne_u32_e32 vcc_lo, 1, v101
	v_lshlrev_b64 v[40:41], 2, v[56:57]
	s_cbranch_vccnz .LBB82_142
; %bb.141:
	s_delay_alu instid0(VALU_DEP_1) | instskip(NEXT) | instid1(VALU_DEP_2)
	v_add_co_u32 v46, vcc_lo, v44, v40
	v_add_co_ci_u32_e32 v47, vcc_lo, v45, v41, vcc_lo
	flat_load_b32 v46, v[46:47]
	s_waitcnt vmcnt(0) lgkmcnt(0)
	v_mul_f32_e32 v46, s19, v46
	s_branch .LBB82_143
.LBB82_142:
	v_mov_b32_e32 v46, 0
.LBB82_143:
	v_dual_max_f32 v47, v37, v37 :: v_dual_max_f32 v90, v16, v16
	v_dual_max_f32 v64, v17, v17 :: v_dual_max_f32 v65, v36, v36
	;; [unrolled: 1-line block ×3, first 2 shown]
	v_add_co_u32 v40, vcc_lo, v42, v40
	s_delay_alu instid0(VALU_DEP_3) | instskip(NEXT) | instid1(VALU_DEP_4)
	v_dual_min_f32 v47, v64, v47 :: v_dual_max_f32 v64, v18, v18
	v_min_f32_e32 v65, v90, v65
	v_add_co_ci_u32_e32 v41, vcc_lo, v43, v41, vcc_lo
	s_delay_alu instid0(VALU_DEP_3) | instskip(NEXT) | instid1(VALU_DEP_4)
	v_add_f32_e32 v47, v89, v47
	v_min_f32_e32 v64, v64, v91
	s_delay_alu instid0(VALU_DEP_4) | instskip(NEXT) | instid1(VALU_DEP_1)
	v_add_f32_e32 v65, v88, v65
	v_dual_max_f32 v93, v19, v19 :: v_dual_add_f32 v64, v65, v64
	s_delay_alu instid0(VALU_DEP_1) | instskip(NEXT) | instid1(VALU_DEP_1)
	v_min_f32_e32 v89, v93, v92
	v_add_f32_e32 v47, v47, v89
	s_delay_alu instid0(VALU_DEP_1) | instskip(NEXT) | instid1(VALU_DEP_1)
	v_add_f32_e32 v47, v64, v47
	v_add_f32_e32 v46, v47, v46
	global_store_b32 v[40:41], v46, off
	s_or_b32 exec_lo, exec_lo, s15
	s_and_b32 s16, s5, s8
	s_delay_alu instid0(SALU_CYCLE_1)
	s_and_saveexec_b32 s15, s16
	s_cbranch_execz .LBB82_122
.LBB82_144:
	v_cmp_ne_u32_e32 vcc_lo, 1, v101
	v_lshlrev_b64 v[40:41], 2, v[58:59]
	s_cbranch_vccnz .LBB82_146
; %bb.145:
	s_delay_alu instid0(VALU_DEP_1) | instskip(NEXT) | instid1(VALU_DEP_2)
	v_add_co_u32 v46, vcc_lo, v44, v40
	v_add_co_ci_u32_e32 v47, vcc_lo, v45, v41, vcc_lo
	flat_load_b32 v46, v[46:47]
	s_waitcnt vmcnt(0) lgkmcnt(0)
	v_mul_f32_e32 v46, s19, v46
	s_branch .LBB82_147
.LBB82_146:
	v_mov_b32_e32 v46, 0
.LBB82_147:
	v_dual_max_f32 v47, v37, v37 :: v_dual_max_f32 v88, v12, v12
	v_dual_max_f32 v64, v13, v13 :: v_dual_max_f32 v65, v36, v36
	;; [unrolled: 1-line block ×3, first 2 shown]
	v_add_co_u32 v40, vcc_lo, v42, v40
	s_delay_alu instid0(VALU_DEP_3) | instskip(SKIP_3) | instid1(VALU_DEP_4)
	v_dual_min_f32 v47, v64, v47 :: v_dual_max_f32 v64, v14, v14
	v_max_f32_e32 v91, v15, v15
	v_min_f32_e32 v65, v88, v65
	v_add_co_ci_u32_e32 v41, vcc_lo, v43, v41, vcc_lo
	v_min_f32_e32 v64, v64, v89
	s_delay_alu instid0(VALU_DEP_3) | instskip(SKIP_1) | instid1(VALU_DEP_2)
	v_add_f32_e32 v65, v86, v65
	v_add_f32_e32 v47, v87, v47
	v_dual_min_f32 v87, v91, v90 :: v_dual_add_f32 v64, v65, v64
	s_delay_alu instid0(VALU_DEP_1) | instskip(NEXT) | instid1(VALU_DEP_1)
	v_add_f32_e32 v47, v47, v87
	v_add_f32_e32 v47, v64, v47
	s_delay_alu instid0(VALU_DEP_1) | instskip(SKIP_3) | instid1(SALU_CYCLE_1)
	v_add_f32_e32 v46, v47, v46
	global_store_b32 v[40:41], v46, off
	s_or_b32 exec_lo, exec_lo, s15
	s_and_b32 s16, s6, s8
	s_and_saveexec_b32 s15, s16
	s_cbranch_execz .LBB82_123
.LBB82_148:
	v_cmp_ne_u32_e32 vcc_lo, 1, v101
	v_lshlrev_b64 v[40:41], 2, v[60:61]
	s_cbranch_vccnz .LBB82_150
; %bb.149:
	s_delay_alu instid0(VALU_DEP_1) | instskip(NEXT) | instid1(VALU_DEP_2)
	v_add_co_u32 v46, vcc_lo, v44, v40
	v_add_co_ci_u32_e32 v47, vcc_lo, v45, v41, vcc_lo
	flat_load_b32 v46, v[46:47]
	s_waitcnt vmcnt(0) lgkmcnt(0)
	v_mul_f32_e32 v46, s19, v46
	s_branch .LBB82_151
.LBB82_150:
	v_mov_b32_e32 v46, 0
.LBB82_151:
	v_dual_max_f32 v47, v37, v37 :: v_dual_max_f32 v86, v8, v8
	v_dual_max_f32 v64, v9, v9 :: v_dual_max_f32 v65, v36, v36
	;; [unrolled: 1-line block ×3, first 2 shown]
	v_add_co_u32 v40, vcc_lo, v42, v40
	s_delay_alu instid0(VALU_DEP_3) | instskip(NEXT) | instid1(VALU_DEP_4)
	v_dual_min_f32 v47, v64, v47 :: v_dual_max_f32 v64, v10, v10
	v_min_f32_e32 v65, v86, v65
	v_add_co_ci_u32_e32 v41, vcc_lo, v43, v41, vcc_lo
	s_delay_alu instid0(VALU_DEP_2) | instskip(NEXT) | instid1(VALU_DEP_1)
	v_dual_min_f32 v64, v64, v87 :: v_dual_add_f32 v65, v85, v65
	v_dual_max_f32 v89, v11, v11 :: v_dual_add_f32 v64, v65, v64
	s_delay_alu instid0(VALU_DEP_1) | instskip(NEXT) | instid1(VALU_DEP_1)
	v_dual_add_f32 v47, v84, v47 :: v_dual_min_f32 v84, v89, v88
	v_add_f32_e32 v47, v47, v84
	s_delay_alu instid0(VALU_DEP_1) | instskip(NEXT) | instid1(VALU_DEP_1)
	v_add_f32_e32 v47, v64, v47
	v_add_f32_e32 v46, v47, v46
	global_store_b32 v[40:41], v46, off
	s_or_b32 exec_lo, exec_lo, s15
	s_and_b32 s15, s7, s8
	s_delay_alu instid0(SALU_CYCLE_1)
	s_and_saveexec_b32 s8, s15
	s_cbranch_execz .LBB82_156
.LBB82_152:
	v_cmp_ne_u32_e32 vcc_lo, 1, v101
	v_lshlrev_b64 v[40:41], 2, v[62:63]
	s_cbranch_vccnz .LBB82_154
; %bb.153:
	s_delay_alu instid0(VALU_DEP_1) | instskip(NEXT) | instid1(VALU_DEP_2)
	v_add_co_u32 v44, vcc_lo, v44, v40
	v_add_co_ci_u32_e32 v45, vcc_lo, v45, v41, vcc_lo
	flat_load_b32 v44, v[44:45]
	s_waitcnt vmcnt(0) lgkmcnt(0)
	v_mul_f32_e32 v44, s19, v44
	s_branch .LBB82_155
.LBB82_154:
	v_mov_b32_e32 v44, 0
.LBB82_155:
	v_dual_max_f32 v37, v37, v37 :: v_dual_max_f32 v36, v36, v36
	v_dual_max_f32 v45, v1, v1 :: v_dual_max_f32 v46, v0, v0
	;; [unrolled: 1-line block ×3, first 2 shown]
	s_delay_alu instid0(VALU_DEP_2) | instskip(SKIP_1) | instid1(VALU_DEP_2)
	v_dual_min_f32 v37, v45, v37 :: v_dual_min_f32 v36, v46, v36
	v_max_f32_e32 v47, v3, v3
	v_dual_add_f32 v37, v83, v37 :: v_dual_add_f32 v36, v82, v36
	s_delay_alu instid0(VALU_DEP_2) | instskip(NEXT) | instid1(VALU_DEP_1)
	v_min_f32_e32 v39, v47, v39
	v_add_f32_e32 v37, v37, v39
	v_max_f32_e32 v45, v2, v2
	s_delay_alu instid0(VALU_DEP_1) | instskip(NEXT) | instid1(VALU_DEP_1)
	v_min_f32_e32 v38, v45, v38
	v_add_f32_e32 v36, v36, v38
	s_delay_alu instid0(VALU_DEP_1) | instskip(NEXT) | instid1(VALU_DEP_1)
	v_add_f32_e32 v36, v36, v37
	v_add_f32_e32 v38, v36, v44
	v_add_co_u32 v36, vcc_lo, v42, v40
	v_add_co_ci_u32_e32 v37, vcc_lo, v43, v41, vcc_lo
	global_store_b32 v[36:37], v38, off
.LBB82_156:
	s_or_b32 exec_lo, exec_lo, s8
	v_add_nc_u32_e32 v40, 0x60, v117
	s_delay_alu instid0(VALU_DEP_1) | instskip(SKIP_2) | instid1(VALU_DEP_3)
	v_mad_i64_i32 v[36:37], null, v40, s12, 0
	v_mad_i64_i32 v[38:39], null, v40, s9, 0
	v_cmp_gt_i32_e64 s8, s17, v40
	v_lshlrev_b64 v[36:37], 2, v[36:37]
	s_delay_alu instid0(VALU_DEP_2) | instskip(NEXT) | instid1(VALU_DEP_3)
	s_and_b32 s9, s0, s8
	v_lshlrev_b64 v[38:39], 2, v[38:39]
	s_delay_alu instid0(VALU_DEP_2) | instskip(NEXT) | instid1(VALU_DEP_3)
	v_add_co_u32 v40, vcc_lo, s10, v36
	v_add_co_ci_u32_e32 v41, vcc_lo, s11, v37, vcc_lo
	s_delay_alu instid0(VALU_DEP_3) | instskip(NEXT) | instid1(VALU_DEP_4)
	v_add_co_u32 v38, vcc_lo, s13, v38
	v_add_co_ci_u32_e32 v39, vcc_lo, s14, v39, vcc_lo
	s_and_saveexec_b32 s0, s9
	s_cbranch_execnz .LBB82_165
; %bb.157:
	s_or_b32 exec_lo, exec_lo, s0
	s_and_b32 s1, s1, s8
	s_delay_alu instid0(SALU_CYCLE_1)
	s_and_saveexec_b32 s0, s1
	s_cbranch_execnz .LBB82_169
.LBB82_158:
	s_or_b32 exec_lo, exec_lo, s0
	s_and_b32 s1, s2, s8
	s_delay_alu instid0(SALU_CYCLE_1)
	s_and_saveexec_b32 s0, s1
	s_cbranch_execnz .LBB82_173
.LBB82_159:
	s_or_b32 exec_lo, exec_lo, s0
	s_and_b32 s1, s3, s8
	s_delay_alu instid0(SALU_CYCLE_1)
	s_and_saveexec_b32 s0, s1
	s_cbranch_execnz .LBB82_177
.LBB82_160:
	s_or_b32 exec_lo, exec_lo, s0
	s_and_b32 s1, s4, s8
	s_delay_alu instid0(SALU_CYCLE_1)
	s_and_saveexec_b32 s0, s1
	s_cbranch_execnz .LBB82_181
.LBB82_161:
	s_or_b32 exec_lo, exec_lo, s0
	s_and_b32 s1, s5, s8
	s_delay_alu instid0(SALU_CYCLE_1)
	s_and_saveexec_b32 s0, s1
	s_cbranch_execnz .LBB82_185
.LBB82_162:
	s_or_b32 exec_lo, exec_lo, s0
	s_and_b32 s1, s6, s8
	s_delay_alu instid0(SALU_CYCLE_1)
	s_and_saveexec_b32 s0, s1
	s_cbranch_execnz .LBB82_189
.LBB82_163:
	s_or_b32 exec_lo, exec_lo, s0
	s_and_b32 s0, s7, s8
	s_delay_alu instid0(SALU_CYCLE_1)
	s_and_saveexec_b32 s1, s0
	s_cbranch_execnz .LBB82_193
.LBB82_164:
	s_nop 0
	s_sendmsg sendmsg(MSG_DEALLOC_VGPRS)
	s_endpgm
.LBB82_165:
	v_cmp_ne_u32_e32 vcc_lo, 1, v101
	v_lshlrev_b64 v[36:37], 2, v[48:49]
	s_cbranch_vccnz .LBB82_167
; %bb.166:
	s_delay_alu instid0(VALU_DEP_1) | instskip(NEXT) | instid1(VALU_DEP_2)
	v_add_co_u32 v42, vcc_lo, v40, v36
	v_add_co_ci_u32_e32 v43, vcc_lo, v41, v37, vcc_lo
	flat_load_b32 v42, v[42:43]
	s_waitcnt vmcnt(0) lgkmcnt(0)
	v_mul_f32_e32 v42, s19, v42
	s_branch .LBB82_168
.LBB82_167:
	v_mov_b32_e32 v42, 0
.LBB82_168:
	v_dual_max_f32 v43, v5, v5 :: v_dual_max_f32 v44, v4, v4
	v_dual_max_f32 v33, v33, v33 :: v_dual_max_f32 v32, v32, v32
	v_max_f32_e32 v45, v6, v6
	s_delay_alu instid0(VALU_DEP_2) | instskip(NEXT) | instid1(VALU_DEP_3)
	v_dual_max_f32 v34, v34, v34 :: v_dual_min_f32 v33, v33, v43
	v_dual_min_f32 v32, v32, v44 :: v_dual_max_f32 v43, v7, v7
	s_delay_alu instid0(VALU_DEP_2) | instskip(NEXT) | instid1(VALU_DEP_2)
	v_dual_min_f32 v34, v34, v45 :: v_dual_max_f32 v35, v35, v35
	v_dual_add_f32 v33, v80, v33 :: v_dual_add_f32 v32, v81, v32
	s_delay_alu instid0(VALU_DEP_1) | instskip(NEXT) | instid1(VALU_DEP_1)
	v_dual_min_f32 v35, v35, v43 :: v_dual_add_f32 v32, v32, v34
	v_add_f32_e32 v33, v33, v35
	s_delay_alu instid0(VALU_DEP_1) | instskip(NEXT) | instid1(VALU_DEP_1)
	v_add_f32_e32 v32, v32, v33
	v_add_f32_e32 v34, v32, v42
	v_add_co_u32 v32, vcc_lo, v38, v36
	v_add_co_ci_u32_e32 v33, vcc_lo, v39, v37, vcc_lo
	global_store_b32 v[32:33], v34, off
	s_or_b32 exec_lo, exec_lo, s0
	s_and_b32 s1, s1, s8
	s_delay_alu instid0(SALU_CYCLE_1)
	s_and_saveexec_b32 s0, s1
	s_cbranch_execz .LBB82_158
.LBB82_169:
	v_cmp_ne_u32_e32 vcc_lo, 1, v101
	v_lshlrev_b64 v[32:33], 2, v[50:51]
	s_cbranch_vccnz .LBB82_171
; %bb.170:
	s_delay_alu instid0(VALU_DEP_1) | instskip(NEXT) | instid1(VALU_DEP_2)
	v_add_co_u32 v34, vcc_lo, v40, v32
	v_add_co_ci_u32_e32 v35, vcc_lo, v41, v33, vcc_lo
	flat_load_b32 v34, v[34:35]
	s_waitcnt vmcnt(0) lgkmcnt(0)
	v_mul_f32_e32 v34, s19, v34
	s_branch .LBB82_172
.LBB82_171:
	v_mov_b32_e32 v34, 0
.LBB82_172:
	v_dual_max_f32 v35, v5, v5 :: v_dual_max_f32 v36, v4, v4
	v_dual_max_f32 v29, v29, v29 :: v_dual_max_f32 v28, v28, v28
	v_max_f32_e32 v37, v6, v6
	s_delay_alu instid0(VALU_DEP_2) | instskip(NEXT) | instid1(VALU_DEP_3)
	v_dual_max_f32 v30, v30, v30 :: v_dual_min_f32 v29, v29, v35
	v_dual_min_f32 v28, v28, v36 :: v_dual_max_f32 v35, v7, v7
	s_delay_alu instid0(VALU_DEP_2) | instskip(NEXT) | instid1(VALU_DEP_2)
	v_dual_min_f32 v30, v30, v37 :: v_dual_max_f32 v31, v31, v31
	v_dual_add_f32 v28, v78, v28 :: v_dual_add_f32 v29, v79, v29
	s_delay_alu instid0(VALU_DEP_1) | instskip(NEXT) | instid1(VALU_DEP_1)
	v_dual_add_f32 v28, v28, v30 :: v_dual_min_f32 v31, v31, v35
	v_add_f32_e32 v29, v29, v31
	s_delay_alu instid0(VALU_DEP_1) | instskip(NEXT) | instid1(VALU_DEP_1)
	v_add_f32_e32 v28, v28, v29
	v_add_f32_e32 v30, v28, v34
	v_add_co_u32 v28, vcc_lo, v38, v32
	v_add_co_ci_u32_e32 v29, vcc_lo, v39, v33, vcc_lo
	global_store_b32 v[28:29], v30, off
	s_or_b32 exec_lo, exec_lo, s0
	s_and_b32 s1, s2, s8
	s_delay_alu instid0(SALU_CYCLE_1)
	s_and_saveexec_b32 s0, s1
	s_cbranch_execz .LBB82_159
.LBB82_173:
	v_cmp_ne_u32_e32 vcc_lo, 1, v101
	v_lshlrev_b64 v[28:29], 2, v[52:53]
	s_cbranch_vccnz .LBB82_175
; %bb.174:
	s_delay_alu instid0(VALU_DEP_1) | instskip(NEXT) | instid1(VALU_DEP_2)
	v_add_co_u32 v30, vcc_lo, v40, v28
	v_add_co_ci_u32_e32 v31, vcc_lo, v41, v29, vcc_lo
	flat_load_b32 v30, v[30:31]
	s_waitcnt vmcnt(0) lgkmcnt(0)
	v_mul_f32_e32 v30, s19, v30
	s_branch .LBB82_176
.LBB82_175:
	v_mov_b32_e32 v30, 0
.LBB82_176:
	v_dual_max_f32 v31, v5, v5 :: v_dual_max_f32 v32, v4, v4
	v_dual_max_f32 v25, v25, v25 :: v_dual_max_f32 v24, v24, v24
	v_max_f32_e32 v33, v6, v6
	s_delay_alu instid0(VALU_DEP_2) | instskip(NEXT) | instid1(VALU_DEP_3)
	v_dual_max_f32 v26, v26, v26 :: v_dual_min_f32 v25, v25, v31
	v_dual_min_f32 v24, v24, v32 :: v_dual_max_f32 v31, v7, v7
	s_delay_alu instid0(VALU_DEP_2) | instskip(NEXT) | instid1(VALU_DEP_2)
	v_dual_min_f32 v26, v26, v33 :: v_dual_max_f32 v27, v27, v27
	v_dual_add_f32 v25, v76, v25 :: v_dual_add_f32 v24, v77, v24
	s_delay_alu instid0(VALU_DEP_1) | instskip(NEXT) | instid1(VALU_DEP_1)
	v_dual_min_f32 v27, v27, v31 :: v_dual_add_f32 v24, v24, v26
	v_add_f32_e32 v25, v25, v27
	s_delay_alu instid0(VALU_DEP_1) | instskip(NEXT) | instid1(VALU_DEP_1)
	v_add_f32_e32 v24, v24, v25
	v_add_f32_e32 v26, v24, v30
	v_add_co_u32 v24, vcc_lo, v38, v28
	v_add_co_ci_u32_e32 v25, vcc_lo, v39, v29, vcc_lo
	global_store_b32 v[24:25], v26, off
	s_or_b32 exec_lo, exec_lo, s0
	s_and_b32 s1, s3, s8
	s_delay_alu instid0(SALU_CYCLE_1)
	s_and_saveexec_b32 s0, s1
	s_cbranch_execz .LBB82_160
.LBB82_177:
	v_cmp_ne_u32_e32 vcc_lo, 1, v101
	v_lshlrev_b64 v[24:25], 2, v[54:55]
	s_cbranch_vccnz .LBB82_179
; %bb.178:
	s_delay_alu instid0(VALU_DEP_1) | instskip(NEXT) | instid1(VALU_DEP_2)
	v_add_co_u32 v26, vcc_lo, v40, v24
	v_add_co_ci_u32_e32 v27, vcc_lo, v41, v25, vcc_lo
	flat_load_b32 v26, v[26:27]
	s_waitcnt vmcnt(0) lgkmcnt(0)
	v_mul_f32_e32 v26, s19, v26
	s_branch .LBB82_180
.LBB82_179:
	v_mov_b32_e32 v26, 0
.LBB82_180:
	v_dual_max_f32 v27, v5, v5 :: v_dual_max_f32 v28, v4, v4
	v_dual_max_f32 v21, v21, v21 :: v_dual_max_f32 v20, v20, v20
	v_max_f32_e32 v29, v6, v6
	s_delay_alu instid0(VALU_DEP_2) | instskip(NEXT) | instid1(VALU_DEP_3)
	v_dual_max_f32 v22, v22, v22 :: v_dual_min_f32 v21, v21, v27
	v_dual_min_f32 v20, v20, v28 :: v_dual_max_f32 v27, v7, v7
	s_delay_alu instid0(VALU_DEP_2) | instskip(NEXT) | instid1(VALU_DEP_2)
	v_min_f32_e32 v22, v22, v29
	v_dual_add_f32 v21, v74, v21 :: v_dual_add_f32 v20, v75, v20
	s_delay_alu instid0(VALU_DEP_1) | instskip(NEXT) | instid1(VALU_DEP_1)
	v_dual_max_f32 v23, v23, v23 :: v_dual_add_f32 v20, v20, v22
	v_min_f32_e32 v23, v23, v27
	s_delay_alu instid0(VALU_DEP_1) | instskip(NEXT) | instid1(VALU_DEP_1)
	v_add_f32_e32 v21, v21, v23
	v_add_f32_e32 v20, v20, v21
	s_delay_alu instid0(VALU_DEP_1)
	v_add_f32_e32 v22, v20, v26
	v_add_co_u32 v20, vcc_lo, v38, v24
	v_add_co_ci_u32_e32 v21, vcc_lo, v39, v25, vcc_lo
	global_store_b32 v[20:21], v22, off
	s_or_b32 exec_lo, exec_lo, s0
	s_and_b32 s1, s4, s8
	s_delay_alu instid0(SALU_CYCLE_1)
	s_and_saveexec_b32 s0, s1
	s_cbranch_execz .LBB82_161
.LBB82_181:
	v_cmp_ne_u32_e32 vcc_lo, 1, v101
	v_lshlrev_b64 v[20:21], 2, v[56:57]
	s_cbranch_vccnz .LBB82_183
; %bb.182:
	s_delay_alu instid0(VALU_DEP_1) | instskip(NEXT) | instid1(VALU_DEP_2)
	v_add_co_u32 v22, vcc_lo, v40, v20
	v_add_co_ci_u32_e32 v23, vcc_lo, v41, v21, vcc_lo
	flat_load_b32 v22, v[22:23]
	s_waitcnt vmcnt(0) lgkmcnt(0)
	v_mul_f32_e32 v22, s19, v22
	s_branch .LBB82_184
.LBB82_183:
	v_mov_b32_e32 v22, 0
.LBB82_184:
	v_dual_max_f32 v23, v5, v5 :: v_dual_max_f32 v24, v4, v4
	v_dual_max_f32 v17, v17, v17 :: v_dual_max_f32 v16, v16, v16
	v_max_f32_e32 v25, v6, v6
	s_delay_alu instid0(VALU_DEP_2) | instskip(NEXT) | instid1(VALU_DEP_3)
	v_dual_max_f32 v18, v18, v18 :: v_dual_min_f32 v17, v17, v23
	v_dual_min_f32 v16, v16, v24 :: v_dual_max_f32 v23, v7, v7
	s_delay_alu instid0(VALU_DEP_2) | instskip(NEXT) | instid1(VALU_DEP_2)
	v_dual_min_f32 v18, v18, v25 :: v_dual_max_f32 v19, v19, v19
	v_dual_add_f32 v16, v72, v16 :: v_dual_add_f32 v17, v73, v17
	s_delay_alu instid0(VALU_DEP_1) | instskip(NEXT) | instid1(VALU_DEP_1)
	v_dual_add_f32 v16, v16, v18 :: v_dual_min_f32 v19, v19, v23
	v_add_f32_e32 v17, v17, v19
	s_delay_alu instid0(VALU_DEP_1) | instskip(NEXT) | instid1(VALU_DEP_1)
	v_add_f32_e32 v16, v16, v17
	v_add_f32_e32 v18, v16, v22
	v_add_co_u32 v16, vcc_lo, v38, v20
	v_add_co_ci_u32_e32 v17, vcc_lo, v39, v21, vcc_lo
	global_store_b32 v[16:17], v18, off
	s_or_b32 exec_lo, exec_lo, s0
	s_and_b32 s1, s5, s8
	s_delay_alu instid0(SALU_CYCLE_1)
	s_and_saveexec_b32 s0, s1
	s_cbranch_execz .LBB82_162
.LBB82_185:
	v_cmp_ne_u32_e32 vcc_lo, 1, v101
	v_lshlrev_b64 v[16:17], 2, v[58:59]
	s_cbranch_vccnz .LBB82_187
; %bb.186:
	s_delay_alu instid0(VALU_DEP_1) | instskip(NEXT) | instid1(VALU_DEP_2)
	v_add_co_u32 v18, vcc_lo, v40, v16
	v_add_co_ci_u32_e32 v19, vcc_lo, v41, v17, vcc_lo
	flat_load_b32 v18, v[18:19]
	s_waitcnt vmcnt(0) lgkmcnt(0)
	v_mul_f32_e32 v18, s19, v18
	s_branch .LBB82_188
.LBB82_187:
	v_mov_b32_e32 v18, 0
.LBB82_188:
	v_dual_max_f32 v19, v5, v5 :: v_dual_max_f32 v20, v4, v4
	v_dual_max_f32 v13, v13, v13 :: v_dual_max_f32 v12, v12, v12
	v_max_f32_e32 v21, v6, v6
	s_delay_alu instid0(VALU_DEP_2) | instskip(NEXT) | instid1(VALU_DEP_3)
	v_dual_max_f32 v14, v14, v14 :: v_dual_min_f32 v13, v13, v19
	v_dual_min_f32 v12, v12, v20 :: v_dual_max_f32 v19, v7, v7
	s_delay_alu instid0(VALU_DEP_2) | instskip(NEXT) | instid1(VALU_DEP_2)
	v_min_f32_e32 v14, v14, v21
	v_dual_add_f32 v13, v70, v13 :: v_dual_add_f32 v12, v71, v12
	s_delay_alu instid0(VALU_DEP_1) | instskip(NEXT) | instid1(VALU_DEP_1)
	v_dual_max_f32 v15, v15, v15 :: v_dual_add_f32 v12, v12, v14
	v_min_f32_e32 v15, v15, v19
	s_delay_alu instid0(VALU_DEP_1) | instskip(NEXT) | instid1(VALU_DEP_1)
	v_add_f32_e32 v13, v13, v15
	v_add_f32_e32 v12, v12, v13
	s_delay_alu instid0(VALU_DEP_1)
	v_add_f32_e32 v14, v12, v18
	v_add_co_u32 v12, vcc_lo, v38, v16
	v_add_co_ci_u32_e32 v13, vcc_lo, v39, v17, vcc_lo
	global_store_b32 v[12:13], v14, off
	s_or_b32 exec_lo, exec_lo, s0
	s_and_b32 s1, s6, s8
	s_delay_alu instid0(SALU_CYCLE_1)
	s_and_saveexec_b32 s0, s1
	s_cbranch_execz .LBB82_163
.LBB82_189:
	v_cmp_ne_u32_e32 vcc_lo, 1, v101
	v_lshlrev_b64 v[12:13], 2, v[60:61]
	s_cbranch_vccnz .LBB82_191
; %bb.190:
	s_delay_alu instid0(VALU_DEP_1) | instskip(NEXT) | instid1(VALU_DEP_2)
	v_add_co_u32 v14, vcc_lo, v40, v12
	v_add_co_ci_u32_e32 v15, vcc_lo, v41, v13, vcc_lo
	flat_load_b32 v14, v[14:15]
	s_waitcnt vmcnt(0) lgkmcnt(0)
	v_mul_f32_e32 v14, s19, v14
	s_branch .LBB82_192
.LBB82_191:
	v_mov_b32_e32 v14, 0
.LBB82_192:
	v_dual_max_f32 v15, v5, v5 :: v_dual_max_f32 v16, v4, v4
	v_dual_max_f32 v9, v9, v9 :: v_dual_max_f32 v8, v8, v8
	v_max_f32_e32 v17, v6, v6
	s_delay_alu instid0(VALU_DEP_2) | instskip(NEXT) | instid1(VALU_DEP_3)
	v_dual_max_f32 v10, v10, v10 :: v_dual_min_f32 v9, v9, v15
	v_dual_min_f32 v8, v8, v16 :: v_dual_max_f32 v15, v7, v7
	s_delay_alu instid0(VALU_DEP_2) | instskip(NEXT) | instid1(VALU_DEP_2)
	v_dual_min_f32 v10, v10, v17 :: v_dual_max_f32 v11, v11, v11
	v_dual_add_f32 v8, v68, v8 :: v_dual_add_f32 v9, v69, v9
	s_delay_alu instid0(VALU_DEP_1) | instskip(NEXT) | instid1(VALU_DEP_1)
	v_dual_add_f32 v8, v8, v10 :: v_dual_min_f32 v11, v11, v15
	v_add_f32_e32 v9, v9, v11
	s_delay_alu instid0(VALU_DEP_1) | instskip(NEXT) | instid1(VALU_DEP_1)
	v_add_f32_e32 v8, v8, v9
	v_add_f32_e32 v10, v8, v14
	v_add_co_u32 v8, vcc_lo, v38, v12
	v_add_co_ci_u32_e32 v9, vcc_lo, v39, v13, vcc_lo
	global_store_b32 v[8:9], v10, off
	s_or_b32 exec_lo, exec_lo, s0
	s_and_b32 s0, s7, s8
	s_delay_alu instid0(SALU_CYCLE_1)
	s_and_saveexec_b32 s1, s0
	s_cbranch_execz .LBB82_164
.LBB82_193:
	v_cmp_ne_u32_e32 vcc_lo, 1, v101
	v_lshlrev_b64 v[8:9], 2, v[62:63]
	s_cbranch_vccnz .LBB82_195
; %bb.194:
	s_delay_alu instid0(VALU_DEP_1) | instskip(NEXT) | instid1(VALU_DEP_2)
	v_add_co_u32 v10, vcc_lo, v40, v8
	v_add_co_ci_u32_e32 v11, vcc_lo, v41, v9, vcc_lo
	flat_load_b32 v10, v[10:11]
	s_waitcnt vmcnt(0) lgkmcnt(0)
	v_mul_f32_e32 v10, s19, v10
	s_branch .LBB82_196
.LBB82_195:
	v_mov_b32_e32 v10, 0
.LBB82_196:
	v_dual_max_f32 v5, v5, v5 :: v_dual_max_f32 v4, v4, v4
	v_dual_max_f32 v1, v1, v1 :: v_dual_max_f32 v0, v0, v0
	v_max_f32_e32 v6, v6, v6
	v_dual_max_f32 v2, v2, v2 :: v_dual_max_f32 v3, v3, v3
	s_delay_alu instid0(VALU_DEP_3) | instskip(NEXT) | instid1(VALU_DEP_2)
	v_dual_min_f32 v1, v1, v5 :: v_dual_min_f32 v0, v0, v4
	v_dual_max_f32 v5, v7, v7 :: v_dual_min_f32 v2, v2, v6
	s_delay_alu instid0(VALU_DEP_2) | instskip(NEXT) | instid1(VALU_DEP_1)
	v_dual_add_f32 v1, v67, v1 :: v_dual_add_f32 v0, v66, v0
	v_dual_min_f32 v3, v3, v5 :: v_dual_add_f32 v0, v0, v2
	s_delay_alu instid0(VALU_DEP_1) | instskip(NEXT) | instid1(VALU_DEP_1)
	v_add_f32_e32 v1, v1, v3
	v_add_f32_e32 v0, v0, v1
	s_delay_alu instid0(VALU_DEP_1)
	v_add_f32_e32 v2, v0, v10
	v_add_co_u32 v0, vcc_lo, v38, v8
	v_add_co_ci_u32_e32 v1, vcc_lo, v39, v9, vcc_lo
	global_store_b32 v[0:1], v2, off
	s_nop 0
	s_sendmsg sendmsg(MSG_DEALLOC_VGPRS)
	s_endpgm
	.section	.rodata,"a",@progbits
	.p2align	6, 0x0
	.amdhsa_kernel _ZN12_GLOBAL__N_120geam_min_plus_kernelIf15HIP_vector_typeIfLj2EES2_Li8ELi32ELi64ELi128ELi4ELi64ELi4ELi4ELi64ELc78ELc78ELb1ELb1ELb0EfKffEEviiiT16_PT17_ilS6_ilS4_S6_ilPT18_ili26rocblas_geam_ex_operation_
		.amdhsa_group_segment_fixed_size 6144
		.amdhsa_private_segment_fixed_size 0
		.amdhsa_kernarg_size 128
		.amdhsa_user_sgpr_count 14
		.amdhsa_user_sgpr_dispatch_ptr 0
		.amdhsa_user_sgpr_queue_ptr 0
		.amdhsa_user_sgpr_kernarg_segment_ptr 1
		.amdhsa_user_sgpr_dispatch_id 0
		.amdhsa_user_sgpr_private_segment_size 0
		.amdhsa_wavefront_size32 1
		.amdhsa_uses_dynamic_stack 0
		.amdhsa_enable_private_segment 0
		.amdhsa_system_sgpr_workgroup_id_x 1
		.amdhsa_system_sgpr_workgroup_id_y 0
		.amdhsa_system_sgpr_workgroup_id_z 1
		.amdhsa_system_sgpr_workgroup_info 0
		.amdhsa_system_vgpr_workitem_id 1
		.amdhsa_next_free_vgpr 231
		.amdhsa_next_free_sgpr 27
		.amdhsa_reserve_vcc 1
		.amdhsa_float_round_mode_32 0
		.amdhsa_float_round_mode_16_64 0
		.amdhsa_float_denorm_mode_32 3
		.amdhsa_float_denorm_mode_16_64 3
		.amdhsa_dx10_clamp 1
		.amdhsa_ieee_mode 1
		.amdhsa_fp16_overflow 0
		.amdhsa_workgroup_processor_mode 1
		.amdhsa_memory_ordered 1
		.amdhsa_forward_progress 0
		.amdhsa_shared_vgpr_count 0
		.amdhsa_exception_fp_ieee_invalid_op 0
		.amdhsa_exception_fp_denorm_src 0
		.amdhsa_exception_fp_ieee_div_zero 0
		.amdhsa_exception_fp_ieee_overflow 0
		.amdhsa_exception_fp_ieee_underflow 0
		.amdhsa_exception_fp_ieee_inexact 0
		.amdhsa_exception_int_div_zero 0
	.end_amdhsa_kernel
	.section	.text._ZN12_GLOBAL__N_120geam_min_plus_kernelIf15HIP_vector_typeIfLj2EES2_Li8ELi32ELi64ELi128ELi4ELi64ELi4ELi4ELi64ELc78ELc78ELb1ELb1ELb0EfKffEEviiiT16_PT17_ilS6_ilS4_S6_ilPT18_ili26rocblas_geam_ex_operation_,"axG",@progbits,_ZN12_GLOBAL__N_120geam_min_plus_kernelIf15HIP_vector_typeIfLj2EES2_Li8ELi32ELi64ELi128ELi4ELi64ELi4ELi4ELi64ELc78ELc78ELb1ELb1ELb0EfKffEEviiiT16_PT17_ilS6_ilS4_S6_ilPT18_ili26rocblas_geam_ex_operation_,comdat
.Lfunc_end82:
	.size	_ZN12_GLOBAL__N_120geam_min_plus_kernelIf15HIP_vector_typeIfLj2EES2_Li8ELi32ELi64ELi128ELi4ELi64ELi4ELi4ELi64ELc78ELc78ELb1ELb1ELb0EfKffEEviiiT16_PT17_ilS6_ilS4_S6_ilPT18_ili26rocblas_geam_ex_operation_, .Lfunc_end82-_ZN12_GLOBAL__N_120geam_min_plus_kernelIf15HIP_vector_typeIfLj2EES2_Li8ELi32ELi64ELi128ELi4ELi64ELi4ELi4ELi64ELc78ELc78ELb1ELb1ELb0EfKffEEviiiT16_PT17_ilS6_ilS4_S6_ilPT18_ili26rocblas_geam_ex_operation_
                                        ; -- End function
	.section	.AMDGPU.csdata,"",@progbits
; Kernel info:
; codeLenInByte = 13256
; NumSgprs: 29
; NumVgprs: 231
; ScratchSize: 0
; MemoryBound: 0
; FloatMode: 240
; IeeeMode: 1
; LDSByteSize: 6144 bytes/workgroup (compile time only)
; SGPRBlocks: 3
; VGPRBlocks: 28
; NumSGPRsForWavesPerEU: 29
; NumVGPRsForWavesPerEU: 231
; Occupancy: 6
; WaveLimiterHint : 0
; COMPUTE_PGM_RSRC2:SCRATCH_EN: 0
; COMPUTE_PGM_RSRC2:USER_SGPR: 14
; COMPUTE_PGM_RSRC2:TRAP_HANDLER: 0
; COMPUTE_PGM_RSRC2:TGID_X_EN: 1
; COMPUTE_PGM_RSRC2:TGID_Y_EN: 0
; COMPUTE_PGM_RSRC2:TGID_Z_EN: 1
; COMPUTE_PGM_RSRC2:TIDIG_COMP_CNT: 1
	.section	.text._ZN12_GLOBAL__N_120geam_min_plus_kernelIf15HIP_vector_typeIfLj2EES2_Li8ELi32ELi64ELi128ELi4ELi64ELi4ELi4ELi64ELc78ELc78ELb0ELb1ELb0EfKffEEviiiT16_PT17_ilS6_ilS4_S6_ilPT18_ili26rocblas_geam_ex_operation_,"axG",@progbits,_ZN12_GLOBAL__N_120geam_min_plus_kernelIf15HIP_vector_typeIfLj2EES2_Li8ELi32ELi64ELi128ELi4ELi64ELi4ELi4ELi64ELc78ELc78ELb0ELb1ELb0EfKffEEviiiT16_PT17_ilS6_ilS4_S6_ilPT18_ili26rocblas_geam_ex_operation_,comdat
	.globl	_ZN12_GLOBAL__N_120geam_min_plus_kernelIf15HIP_vector_typeIfLj2EES2_Li8ELi32ELi64ELi128ELi4ELi64ELi4ELi4ELi64ELc78ELc78ELb0ELb1ELb0EfKffEEviiiT16_PT17_ilS6_ilS4_S6_ilPT18_ili26rocblas_geam_ex_operation_ ; -- Begin function _ZN12_GLOBAL__N_120geam_min_plus_kernelIf15HIP_vector_typeIfLj2EES2_Li8ELi32ELi64ELi128ELi4ELi64ELi4ELi4ELi64ELc78ELc78ELb0ELb1ELb0EfKffEEviiiT16_PT17_ilS6_ilS4_S6_ilPT18_ili26rocblas_geam_ex_operation_
	.p2align	8
	.type	_ZN12_GLOBAL__N_120geam_min_plus_kernelIf15HIP_vector_typeIfLj2EES2_Li8ELi32ELi64ELi128ELi4ELi64ELi4ELi4ELi64ELc78ELc78ELb0ELb1ELb0EfKffEEviiiT16_PT17_ilS6_ilS4_S6_ilPT18_ili26rocblas_geam_ex_operation_,@function
_ZN12_GLOBAL__N_120geam_min_plus_kernelIf15HIP_vector_typeIfLj2EES2_Li8ELi32ELi64ELi128ELi4ELi64ELi4ELi4ELi64ELc78ELc78ELb0ELb1ELb0EfKffEEviiiT16_PT17_ilS6_ilS4_S6_ilPT18_ili26rocblas_geam_ex_operation_: ; @_ZN12_GLOBAL__N_120geam_min_plus_kernelIf15HIP_vector_typeIfLj2EES2_Li8ELi32ELi64ELi128ELi4ELi64ELi4ELi4ELi64ELc78ELc78ELb0ELb1ELb0EfKffEEviiiT16_PT17_ilS6_ilS4_S6_ilPT18_ili26rocblas_geam_ex_operation_
; %bb.0:
	s_clause 0x1
	s_load_b128 s[16:19], s[0:1], 0x0
	s_load_b128 s[4:7], s[0:1], 0x20
	s_waitcnt lgkmcnt(0)
	v_cmp_eq_f32_e64 s2, s19, 0
	v_cmp_neq_f32_e64 s23, s19, 0
	s_delay_alu instid0(VALU_DEP_2)
	s_and_b32 vcc_lo, exec_lo, s2
	s_cbranch_vccnz .LBB83_3
; %bb.1:
	s_load_b64 s[8:9], s[0:1], 0x10
	s_mul_i32 s3, s15, s5
	s_mul_hi_u32 s5, s15, s4
	s_mul_i32 s4, s15, s4
	s_add_i32 s5, s5, s3
	s_delay_alu instid0(SALU_CYCLE_1)
	s_lshl_b64 s[4:5], s[4:5], 2
	s_waitcnt lgkmcnt(0)
	s_add_u32 s12, s8, s4
	s_addc_u32 s13, s9, s5
	s_and_not1_b32 vcc_lo, exec_lo, s2
	s_cbranch_vccnz .LBB83_4
.LBB83_2:
	s_mov_b32 s22, 0
	s_mov_b64 s[8:9], 0
	s_cbranch_execz .LBB83_5
	s_branch .LBB83_6
.LBB83_3:
	s_mov_b64 s[12:13], 0
	s_and_not1_b32 vcc_lo, exec_lo, s2
	s_cbranch_vccz .LBB83_2
.LBB83_4:
	s_mov_b32 s22, -1
                                        ; implicit-def: $sgpr8_sgpr9
.LBB83_5:
	s_load_b64 s[2:3], s[0:1], 0x38
	s_mov_b32 s22, 0
	s_waitcnt lgkmcnt(0)
	s_mul_i32 s3, s15, s3
	s_mul_hi_u32 s4, s15, s2
	s_mul_i32 s2, s15, s2
	s_add_i32 s3, s4, s3
	s_delay_alu instid0(SALU_CYCLE_1) | instskip(NEXT) | instid1(SALU_CYCLE_1)
	s_lshl_b64 s[2:3], s[2:3], 2
	s_add_u32 s8, s6, s2
	s_addc_u32 s9, s7, s3
.LBB83_6:
	s_clause 0x1
	s_load_b32 s20, s[0:1], 0x40
	s_load_b128 s[4:7], s[0:1], 0x58
	s_waitcnt lgkmcnt(0)
	v_cmp_eq_f32_e64 s2, s20, 0
	v_cmp_neq_f32_e64 s21, s20, 0
	s_delay_alu instid0(VALU_DEP_2)
	s_and_b32 vcc_lo, exec_lo, s2
	s_cbranch_vccnz .LBB83_8
; %bb.7:
	s_load_b64 s[2:3], s[0:1], 0x48
	s_mul_i32 s5, s15, s5
	s_mul_hi_u32 s10, s15, s4
	s_delay_alu instid0(SALU_CYCLE_1) | instskip(SKIP_3) | instid1(SALU_CYCLE_1)
	s_add_i32 s5, s10, s5
	s_mul_i32 s10, s22, s4
	s_mul_i32 s4, s15, s4
	s_add_i32 s5, s5, s10
	s_lshl_b64 s[4:5], s[4:5], 2
	s_waitcnt lgkmcnt(0)
	s_add_u32 s10, s2, s4
	s_addc_u32 s11, s3, s5
	s_branch .LBB83_9
.LBB83_8:
	s_mov_b64 s[10:11], 0
.LBB83_9:
	s_add_i32 s2, s16, -1
	s_load_b32 s4, s[0:1], 0x18
	s_ashr_i32 s3, s2, 31
	v_dual_mov_b32 v9, 0 :: v_dual_and_b32 v56, 0x3ff, v0
	s_lshr_b32 s3, s3, 26
	v_bfe_u32 v57, v0, 10, 10
	s_add_i32 s2, s2, s3
	v_mov_b32_e32 v8, 0
	s_ashr_i32 s2, s2, 6
	s_delay_alu instid0(SALU_CYCLE_1) | instskip(SKIP_3) | instid1(VALU_DEP_2)
	s_add_i32 s24, s2, 1
	s_not_b32 s2, s2
	v_cvt_f32_u32_e32 v1, s24
	v_lshl_add_u32 v2, v57, 3, v56
	v_rcp_iflag_f32_e32 v1, v1
	s_delay_alu instid0(VALU_DEP_1)
	v_and_b32_e32 v7, 63, v2
	v_lshrrev_b32_e32 v58, 6, v2
	s_waitcnt lgkmcnt(0)
	s_ashr_i32 s5, s4, 31
	s_waitcnt_depctr 0xfff
	v_mul_f32_e32 v1, 0x4f7ffffe, v1
	s_delay_alu instid0(VALU_DEP_1) | instskip(NEXT) | instid1(VALU_DEP_1)
	v_cvt_u32_f32_e32 v1, v1
	v_readfirstlane_b32 s3, v1
	s_delay_alu instid0(VALU_DEP_1) | instskip(NEXT) | instid1(SALU_CYCLE_1)
	s_mul_i32 s2, s2, s3
	s_mul_hi_u32 s2, s3, s2
	s_delay_alu instid0(SALU_CYCLE_1) | instskip(NEXT) | instid1(SALU_CYCLE_1)
	s_add_i32 s3, s3, s2
	s_mul_hi_u32 s2, s14, s3
	s_delay_alu instid0(SALU_CYCLE_1) | instskip(SKIP_2) | instid1(SALU_CYCLE_1)
	s_mul_i32 s3, s2, s24
	s_add_i32 s25, s2, 1
	s_sub_i32 s3, s14, s3
	s_sub_i32 s26, s3, s24
	s_cmp_ge_u32 s3, s24
	s_cselect_b32 s2, s25, s2
	s_cselect_b32 s3, s26, s3
	s_add_i32 s25, s2, 1
	s_cmp_ge_u32 s3, s24
	s_cselect_b32 s3, s25, s2
	s_delay_alu instid0(SALU_CYCLE_1) | instskip(NEXT) | instid1(SALU_CYCLE_1)
	s_mul_i32 s2, s3, s24
	s_sub_i32 s2, s14, s2
	s_delay_alu instid0(SALU_CYCLE_1) | instskip(SKIP_2) | instid1(VALU_DEP_1)
	s_lshl_b32 s14, s2, 6
	v_cmp_gt_i32_e64 s2, s18, v58
	v_or_b32_e32 v0, s14, v7
	v_cmp_gt_i32_e32 vcc_lo, s16, v0
	v_ashrrev_i32_e32 v1, 31, v0
	s_delay_alu instid0(VALU_DEP_4) | instskip(NEXT) | instid1(SALU_CYCLE_1)
	s_and_b32 s2, s2, vcc_lo
	s_and_b32 s2, s23, s2
	s_delay_alu instid0(SALU_CYCLE_1)
	s_and_saveexec_b32 s24, s2
	s_cbranch_execz .LBB83_11
; %bb.10:
	v_mad_i64_i32 v[3:4], null, s4, v58, 0
	v_lshlrev_b64 v[5:6], 2, v[0:1]
	s_delay_alu instid0(VALU_DEP_2) | instskip(NEXT) | instid1(VALU_DEP_1)
	v_lshlrev_b64 v[3:4], 2, v[3:4]
	v_add_co_u32 v3, s2, s12, v3
	s_delay_alu instid0(VALU_DEP_1) | instskip(NEXT) | instid1(VALU_DEP_2)
	v_add_co_ci_u32_e64 v4, s2, s13, v4, s2
	v_add_co_u32 v3, s2, v3, v5
	s_delay_alu instid0(VALU_DEP_1)
	v_add_co_ci_u32_e64 v4, s2, v4, v6, s2
	flat_load_b32 v3, v[3:4]
	s_waitcnt vmcnt(0) lgkmcnt(0)
	v_mul_f32_e32 v9, s19, v3
.LBB83_11:
	s_or_b32 exec_lo, exec_lo, s24
	v_and_b32_e32 v59, 3, v56
	s_add_i32 s25, s18, -1
	v_lshrrev_b32_e32 v10, 2, v2
	s_load_b32 s29, s[0:1], 0x30
	s_lshl_b32 s24, s3, 7
	v_min_i32_e32 v3, s25, v59
	s_xor_b32 s27, s23, -1
	v_add_nc_u32_e32 v2, s24, v10
	v_cmp_le_i32_e64 s2, s18, v59
	s_delay_alu instid0(VALU_DEP_3) | instskip(NEXT) | instid1(VALU_DEP_3)
	v_ashrrev_i32_e32 v4, 31, v3
	v_cmp_le_i32_e64 s3, s17, v2
	s_delay_alu instid0(VALU_DEP_2) | instskip(NEXT) | instid1(VALU_DEP_2)
	v_lshlrev_b64 v[3:4], 2, v[3:4]
	s_or_b32 s26, s3, s27
	s_delay_alu instid0(VALU_DEP_1) | instskip(NEXT) | instid1(VALU_DEP_1)
	v_add_co_u32 v5, s3, s8, v3
	v_add_co_ci_u32_e64 v6, s3, s9, v4, s3
	s_or_b32 s3, s2, s26
	s_delay_alu instid0(SALU_CYCLE_1) | instskip(NEXT) | instid1(SALU_CYCLE_1)
	s_xor_b32 s3, s3, -1
	s_and_saveexec_b32 s28, s3
	s_cbranch_execz .LBB83_13
; %bb.12:
	s_waitcnt lgkmcnt(0)
	v_mad_i64_i32 v[3:4], null, v2, s29, 0
	s_delay_alu instid0(VALU_DEP_1) | instskip(NEXT) | instid1(VALU_DEP_1)
	v_lshlrev_b64 v[3:4], 2, v[3:4]
	v_add_co_u32 v3, s3, v5, v3
	s_delay_alu instid0(VALU_DEP_1)
	v_add_co_ci_u32_e64 v4, s3, v6, v4, s3
	flat_load_b32 v3, v[3:4]
	s_waitcnt vmcnt(0) lgkmcnt(0)
	v_mul_f32_e32 v8, s19, v3
.LBB83_13:
	s_or_b32 exec_lo, exec_lo, s28
	v_dual_mov_b32 v4, 0 :: v_dual_add_nc_u32 v3, 64, v2
	v_mov_b32_e32 v11, 0
	s_delay_alu instid0(VALU_DEP_2) | instskip(NEXT) | instid1(VALU_DEP_1)
	v_cmp_le_i32_e64 s3, s17, v3
	s_or_b32 s27, s3, s27
	s_delay_alu instid0(SALU_CYCLE_1) | instskip(NEXT) | instid1(SALU_CYCLE_1)
	s_or_b32 s2, s2, s27
	s_xor_b32 s2, s2, -1
	s_delay_alu instid0(SALU_CYCLE_1)
	s_and_saveexec_b32 s3, s2
	s_cbranch_execz .LBB83_15
; %bb.14:
	s_waitcnt lgkmcnt(0)
	v_mad_i64_i32 v[11:12], null, v3, s29, 0
	s_delay_alu instid0(VALU_DEP_1) | instskip(NEXT) | instid1(VALU_DEP_1)
	v_lshlrev_b64 v[11:12], 2, v[11:12]
	v_add_co_u32 v5, s2, v5, v11
	s_delay_alu instid0(VALU_DEP_1)
	v_add_co_ci_u32_e64 v6, s2, v6, v12, s2
	flat_load_b32 v5, v[5:6]
	s_waitcnt vmcnt(0) lgkmcnt(0)
	v_mul_f32_e32 v11, s19, v5
.LBB83_15:
	s_or_b32 exec_lo, exec_lo, s3
	v_add_nc_u32_e32 v5, 4, v58
	s_delay_alu instid0(VALU_DEP_1) | instskip(NEXT) | instid1(VALU_DEP_1)
	v_cmp_gt_i32_e64 s2, s18, v5
	s_and_b32 s2, vcc_lo, s2
	s_delay_alu instid0(SALU_CYCLE_1) | instskip(NEXT) | instid1(SALU_CYCLE_1)
	s_and_b32 s2, s23, s2
	s_and_saveexec_b32 s3, s2
	s_cbranch_execz .LBB83_17
; %bb.16:
	v_mad_u64_u32 v[12:13], null, s4, v5, 0
	s_delay_alu instid0(VALU_DEP_1) | instskip(NEXT) | instid1(VALU_DEP_1)
	v_mov_b32_e32 v4, v13
	v_mad_u64_u32 v[13:14], null, s5, v5, v[4:5]
	s_delay_alu instid0(VALU_DEP_1) | instskip(SKIP_1) | instid1(VALU_DEP_2)
	v_lshlrev_b64 v[4:5], 2, v[12:13]
	v_lshlrev_b64 v[12:13], 2, v[0:1]
	v_add_co_u32 v4, s2, s12, v4
	s_delay_alu instid0(VALU_DEP_1) | instskip(NEXT) | instid1(VALU_DEP_2)
	v_add_co_ci_u32_e64 v5, s2, s13, v5, s2
	v_add_co_u32 v4, s2, v4, v12
	s_delay_alu instid0(VALU_DEP_1)
	v_add_co_ci_u32_e64 v5, s2, v5, v13, s2
	flat_load_b32 v4, v[4:5]
	s_waitcnt vmcnt(0) lgkmcnt(0)
	v_mul_f32_e32 v4, s19, v4
.LBB83_17:
	s_or_b32 exec_lo, exec_lo, s3
	v_or_b32_e32 v14, 4, v59
	s_delay_alu instid0(VALU_DEP_1) | instskip(SKIP_1) | instid1(VALU_DEP_2)
	v_min_i32_e32 v5, s25, v14
	v_cmp_le_i32_e64 s2, s18, v14
	v_ashrrev_i32_e32 v6, 31, v5
	s_delay_alu instid0(VALU_DEP_1) | instskip(SKIP_1) | instid1(VALU_DEP_2)
	v_lshlrev_b64 v[12:13], 2, v[5:6]
	v_dual_mov_b32 v5, 0 :: v_dual_mov_b32 v6, 0
	v_add_co_u32 v12, s3, s8, v12
	s_delay_alu instid0(VALU_DEP_1) | instskip(SKIP_1) | instid1(SALU_CYCLE_1)
	v_add_co_ci_u32_e64 v13, s3, s9, v13, s3
	s_or_b32 s3, s2, s26
	s_xor_b32 s3, s3, -1
	s_delay_alu instid0(SALU_CYCLE_1)
	s_and_saveexec_b32 s28, s3
	s_cbranch_execz .LBB83_19
; %bb.18:
	s_waitcnt lgkmcnt(0)
	v_mad_i64_i32 v[14:15], null, v2, s29, 0
	s_delay_alu instid0(VALU_DEP_1) | instskip(NEXT) | instid1(VALU_DEP_1)
	v_lshlrev_b64 v[14:15], 2, v[14:15]
	v_add_co_u32 v14, s3, v12, v14
	s_delay_alu instid0(VALU_DEP_1)
	v_add_co_ci_u32_e64 v15, s3, v13, v15, s3
	flat_load_b32 v6, v[14:15]
	s_waitcnt vmcnt(0) lgkmcnt(0)
	v_mul_f32_e32 v6, s19, v6
.LBB83_19:
	s_or_b32 exec_lo, exec_lo, s28
	s_or_b32 s2, s2, s27
	s_delay_alu instid0(SALU_CYCLE_1) | instskip(NEXT) | instid1(SALU_CYCLE_1)
	s_xor_b32 s2, s2, -1
	s_and_saveexec_b32 s3, s2
	s_cbranch_execz .LBB83_21
; %bb.20:
	s_waitcnt lgkmcnt(0)
	v_mad_i64_i32 v[14:15], null, v3, s29, 0
	s_delay_alu instid0(VALU_DEP_1) | instskip(NEXT) | instid1(VALU_DEP_1)
	v_lshlrev_b64 v[14:15], 2, v[14:15]
	v_add_co_u32 v12, s2, v12, v14
	s_delay_alu instid0(VALU_DEP_1)
	v_add_co_ci_u32_e64 v13, s2, v13, v15, s2
	flat_load_b32 v5, v[12:13]
	s_waitcnt vmcnt(0) lgkmcnt(0)
	v_mul_f32_e32 v5, s19, v5
.LBB83_21:
	s_or_b32 exec_lo, exec_lo, s3
	v_lshlrev_b32_e32 v7, 4, v7
	v_lshlrev_b32_e32 v12, 2, v59
	;; [unrolled: 1-line block ×4, first 2 shown]
	s_mov_b32 s28, 0
	v_lshl_add_u32 v7, v58, 2, v7
	v_lshl_or_b32 v62, v10, 4, v12
	s_cmp_lt_i32 s18, 9
	ds_store_b32 v7, v9 offset:4096
	ds_store_2addr_stride64_b32 v62, v8, v11 offset1:4
	s_waitcnt lgkmcnt(0)
	s_barrier
	buffer_gl0_inv
	ds_load_b128 v[8:11], v61
	ds_load_b128 v[12:15], v60 offset:4096
	ds_load_b128 v[16:19], v60 offset:4224
	;; [unrolled: 1-line block ×11, first 2 shown]
	ds_store_b32 v7, v4 offset:5120
	ds_store_2addr_stride64_b32 v62, v6, v5 offset0:8 offset1:12
	s_waitcnt lgkmcnt(0)
	s_barrier
	buffer_gl0_inv
	v_dual_max_f32 v8, v8, v8 :: v_dual_max_f32 v13, v13, v13
	v_dual_max_f32 v12, v12, v12 :: v_dual_max_f32 v9, v9, v9
	;; [unrolled: 1-line block ×9, first 2 shown]
	v_max_f32_e32 v44, v44, v44
	v_dual_min_f32 v63, v12, v8 :: v_dual_min_f32 v64, v13, v9
	v_dual_min_f32 v65, v16, v8 :: v_dual_min_f32 v66, v17, v9
	;; [unrolled: 1-line block ×7, first 2 shown]
	v_dual_min_f32 v8, v40, v8 :: v_dual_max_f32 v11, v11, v11
	v_dual_max_f32 v10, v10, v10 :: v_dual_max_f32 v45, v45, v45
	v_dual_min_f32 v9, v41, v9 :: v_dual_max_f32 v14, v14, v14
	v_max_f32_e32 v15, v15, v15
	s_delay_alu instid0(VALU_DEP_3)
	v_dual_min_f32 v77, v12, v44 :: v_dual_min_f32 v78, v13, v45
	v_dual_max_f32 v18, v18, v18 :: v_dual_max_f32 v19, v19, v19
	v_dual_min_f32 v79, v16, v44 :: v_dual_min_f32 v80, v17, v45
	v_dual_min_f32 v81, v20, v44 :: v_dual_min_f32 v82, v21, v45
	;; [unrolled: 1-line block ×4, first 2 shown]
	v_dual_min_f32 v87, v32, v44 :: v_dual_max_f32 v38, v38, v38
	v_dual_max_f32 v48, v48, v48 :: v_dual_max_f32 v39, v39, v39
	v_dual_min_f32 v88, v36, v44 :: v_dual_max_f32 v43, v43, v43
	v_dual_min_f32 v44, v40, v44 :: v_dual_max_f32 v49, v49, v49
	v_dual_max_f32 v51, v51, v51 :: v_dual_max_f32 v52, v52, v52
	v_dual_max_f32 v53, v53, v53 :: v_dual_max_f32 v54, v54, v54
	v_dual_max_f32 v22, v22, v22 :: v_dual_max_f32 v23, v23, v23
	v_dual_max_f32 v26, v26, v26 :: v_dual_max_f32 v27, v27, v27
	v_dual_max_f32 v30, v30, v30 :: v_dual_max_f32 v31, v31, v31
	v_dual_min_f32 v89, v12, v48 :: v_dual_max_f32 v42, v42, v42
	v_dual_min_f32 v90, v16, v48 :: v_dual_max_f32 v47, v47, v47
	v_dual_max_f32 v46, v46, v46 :: v_dual_min_f32 v91, v20, v48
	v_dual_min_f32 v101, v24, v48 :: v_dual_max_f32 v50, v50, v50
	v_dual_max_f32 v55, v55, v55 :: v_dual_min_f32 v130, v36, v48
	v_min_f32_e32 v117, v28, v48
	v_dual_min_f32 v129, v32, v48 :: v_dual_min_f32 v92, v37, v45
	v_min_f32_e32 v48, v40, v48
	v_dual_min_f32 v12, v12, v52 :: v_dual_min_f32 v93, v13, v49
	v_dual_min_f32 v16, v16, v52 :: v_dual_min_f32 v95, v21, v49
	;; [unrolled: 1-line block ×4, first 2 shown]
	v_min_f32_e32 v28, v28, v52
	v_dual_min_f32 v32, v32, v52 :: v_dual_min_f32 v13, v13, v53
	v_min_f32_e32 v36, v36, v52
	v_dual_min_f32 v40, v40, v52 :: v_dual_min_f32 v21, v21, v53
	v_min_f32_e32 v52, v33, v45
	v_dual_min_f32 v94, v17, v49 :: v_dual_add_f32 v63, 0, v63
	v_dual_min_f32 v132, v29, v49 :: v_dual_min_f32 v97, v14, v10
	v_dual_min_f32 v134, v37, v49 :: v_dual_min_f32 v99, v18, v10
	v_dual_min_f32 v25, v25, v53 :: v_dual_add_f32 v64, 0, v64
	v_dual_min_f32 v29, v29, v53 :: v_dual_min_f32 v96, v15, v11
	v_dual_min_f32 v33, v33, v53 :: v_dual_add_f32 v66, 0, v66
	v_dual_min_f32 v37, v37, v53 :: v_dual_min_f32 v98, v19, v11
	s_delay_alu instid0(VALU_DEP_3)
	v_dual_add_f32 v65, 0, v65 :: v_dual_add_f32 v128, v64, v96
	v_dual_max_f32 v34, v34, v34 :: v_dual_max_f32 v35, v35, v35
	v_min_f32_e32 v45, v41, v45
	v_min_f32_e32 v49, v41, v49
	;; [unrolled: 1-line block ×3, first 2 shown]
	v_dual_min_f32 v41, v41, v53 :: v_dual_add_f32 v64, 0, v67
	v_dual_add_f32 v127, v63, v97 :: v_dual_add_f32 v126, v65, v99
	v_add_f32_e32 v125, v66, v98
	v_dual_add_f32 v53, 0, v68 :: v_dual_add_f32 v66, 0, v70
	v_dual_min_f32 v63, v23, v11 :: v_dual_add_f32 v70, 0, v72
	v_dual_min_f32 v65, v22, v10 :: v_dual_min_f32 v72, v31, v11
	v_dual_min_f32 v67, v27, v11 :: v_dual_add_f32 v68, 0, v69
	s_delay_alu instid0(VALU_DEP_2) | instskip(NEXT) | instid1(VALU_DEP_2)
	v_dual_min_f32 v69, v26, v10 :: v_dual_add_f32 v124, v64, v65
	v_dual_add_f32 v64, 0, v74 :: v_dual_add_f32 v121, v66, v67
	v_dual_add_f32 v66, 0, v73 :: v_dual_add_f32 v123, v53, v63
	s_delay_alu instid0(VALU_DEP_3) | instskip(SKIP_4) | instid1(VALU_DEP_3)
	v_dual_add_f32 v122, v68, v69 :: v_dual_add_f32 v53, 0, v71
	v_dual_add_f32 v68, 0, v76 :: v_dual_min_f32 v69, v39, v11
	v_dual_add_f32 v8, 0, v8 :: v_dual_min_f32 v65, v35, v11
	v_dual_add_f32 v119, v70, v72 :: v_dual_add_f32 v70, 0, v75
	v_min_f32_e32 v63, v30, v10
	v_dual_min_f32 v71, v38, v10 :: v_dual_add_f32 v118, v64, v65
	v_min_f32_e32 v67, v34, v10
	v_dual_add_f32 v9, 0, v9 :: v_dual_min_f32 v10, v42, v10
	v_min_f32_e32 v11, v43, v11
	v_add_f32_e32 v120, v53, v63
	s_delay_alu instid0(VALU_DEP_4) | instskip(NEXT) | instid1(VALU_DEP_4)
	v_dual_add_f32 v63, v66, v67 :: v_dual_add_f32 v64, v68, v69
	v_add_f32_e32 v116, v8, v10
	v_dual_add_f32 v53, 0, v78 :: v_dual_min_f32 v66, v15, v47
	v_add_f32_e32 v65, v70, v71
	v_dual_add_f32 v67, 0, v77 :: v_dual_add_f32 v8, 0, v79
	v_dual_min_f32 v68, v14, v46 :: v_dual_add_f32 v69, 0, v80
	v_add_f32_e32 v10, 0, v82
	v_min_f32_e32 v70, v19, v47
	v_add_f32_e32 v115, v9, v11
	v_min_f32_e32 v9, v18, v46
	v_dual_min_f32 v11, v23, v47 :: v_dual_add_f32 v114, v53, v66
	v_add_f32_e32 v113, v67, v68
	v_dual_add_f32 v111, v69, v70 :: v_dual_min_f32 v68, v27, v47
	s_delay_alu instid0(VALU_DEP_3)
	v_dual_add_f32 v53, 0, v81 :: v_dual_add_f32 v110, v10, v11
	v_dual_min_f32 v66, v22, v46 :: v_dual_add_f32 v69, 0, v83
	v_min_f32_e32 v70, v26, v46
	v_add_f32_e32 v10, 0, v85
	v_add_f32_e32 v112, v8, v9
	v_dual_add_f32 v8, 0, v86 :: v_dual_add_f32 v67, 0, v84
	s_delay_alu instid0(VALU_DEP_4) | instskip(SKIP_2) | instid1(VALU_DEP_4)
	v_add_f32_e32 v108, v69, v70
	v_dual_add_f32 v109, v53, v66 :: v_dual_add_f32 v52, 0, v52
	v_min_f32_e32 v9, v31, v47
	v_dual_add_f32 v107, v67, v68 :: v_dual_add_f32 v66, 0, v87
	v_dual_add_f32 v68, 0, v92 :: v_dual_min_f32 v69, v39, v47
	v_min_f32_e32 v53, v35, v47
	v_dual_min_f32 v67, v34, v46 :: v_dual_add_f32 v44, 0, v44
	s_delay_alu instid0(VALU_DEP_3) | instskip(NEXT) | instid1(VALU_DEP_3)
	v_dual_add_f32 v100, v68, v69 :: v_dual_min_f32 v11, v30, v46
	v_add_f32_e32 v104, v52, v53
	v_dual_add_f32 v105, v8, v9 :: v_dual_add_f32 v8, 0, v88
	v_min_f32_e32 v9, v38, v46
	s_delay_alu instid0(VALU_DEP_4) | instskip(SKIP_4) | instid1(VALU_DEP_2)
	v_add_f32_e32 v106, v10, v11
	v_dual_add_f32 v103, v66, v67 :: v_dual_add_f32 v10, 0, v45
	v_dual_min_f32 v11, v43, v47 :: v_dual_add_f32 v52, 0, v89
	v_dual_min_f32 v45, v42, v46 :: v_dual_add_f32 v46, 0, v93
	v_dual_add_f32 v102, v8, v9 :: v_dual_min_f32 v47, v15, v51
	v_dual_min_f32 v53, v14, v50 :: v_dual_add_f32 v98, v44, v45
	v_add_f32_e32 v44, 0, v95
	v_add_f32_e32 v99, v10, v11
	s_delay_alu instid0(VALU_DEP_4) | instskip(SKIP_2) | instid1(VALU_DEP_2)
	v_dual_add_f32 v97, v46, v47 :: v_dual_add_f32 v8, 0, v94
	v_dual_min_f32 v9, v19, v51 :: v_dual_add_f32 v10, 0, v90
	v_dual_min_f32 v11, v18, v50 :: v_dual_add_f32 v46, 0, v91
	;; [unrolled: 1-line block ×4, first 2 shown]
	v_add_f32_e32 v52, 0, v131
	s_delay_alu instid0(VALU_DEP_3) | instskip(SKIP_1) | instid1(VALU_DEP_4)
	v_dual_min_f32 v53, v27, v51 :: v_dual_add_f32 v92, v44, v45
	v_add_f32_e32 v95, v10, v11
	v_dual_add_f32 v93, v46, v47 :: v_dual_add_f32 v8, 0, v101
	v_dual_min_f32 v9, v26, v50 :: v_dual_add_f32 v10, 0, v132
	v_dual_min_f32 v11, v31, v51 :: v_dual_add_f32 v44, 0, v117
	;; [unrolled: 1-line block ×4, first 2 shown]
	v_dual_add_f32 v52, 0, v129 :: v_dual_min_f32 v53, v34, v50
	s_delay_alu instid0(VALU_DEP_3) | instskip(SKIP_1) | instid1(VALU_DEP_3)
	v_add_f32_e32 v88, v44, v45
	v_dual_add_f32 v91, v8, v9 :: v_dual_add_f32 v8, 0, v134
	v_dual_add_f32 v89, v10, v11 :: v_dual_add_f32 v86, v52, v53
	;; [unrolled: 1-line block ×3, first 2 shown]
	v_dual_min_f32 v9, v39, v51 :: v_dual_add_f32 v44, 0, v49
	v_dual_min_f32 v11, v38, v50 :: v_dual_add_f32 v46, 0, v48
	s_delay_alu instid0(VALU_DEP_2) | instskip(SKIP_2) | instid1(VALU_DEP_4)
	v_dual_min_f32 v45, v43, v51 :: v_dual_add_f32 v84, v8, v9
	v_add_f32_e32 v13, 0, v13
	v_dual_min_f32 v15, v15, v55 :: v_dual_add_f32 v8, 0, v12
	v_dual_add_f32 v85, v10, v11 :: v_dual_add_f32 v10, 0, v17
	v_dual_add_f32 v11, 0, v20 :: v_dual_min_f32 v14, v14, v54
	s_delay_alu instid0(VALU_DEP_3)
	v_dual_min_f32 v47, v42, v50 :: v_dual_add_f32 v80, v13, v15
	v_dual_add_f32 v9, 0, v16 :: v_dual_add_f32 v12, 0, v21
	v_dual_add_f32 v13, 0, v24 :: v_dual_min_f32 v18, v18, v54
	v_dual_add_f32 v15, 0, v25 :: v_dual_add_f32 v20, 0, v32
	v_add_f32_e32 v25, 0, v37
	v_min_f32_e32 v19, v19, v55
	v_add_f32_e32 v81, v8, v14
	v_dual_min_f32 v8, v22, v54 :: v_dual_add_f32 v83, v44, v45
	v_dual_add_f32 v16, 0, v28 :: v_dual_add_f32 v17, 0, v29
	v_dual_add_f32 v24, 0, v36 :: v_dual_add_f32 v29, 0, v41
	v_dual_add_f32 v78, v9, v18 :: v_dual_min_f32 v23, v23, v55
	v_min_f32_e32 v9, v27, v55
	v_dual_add_f32 v77, v11, v8 :: v_dual_min_f32 v8, v26, v54
	v_add_f32_e32 v79, v10, v19
	v_dual_min_f32 v10, v31, v55 :: v_dual_add_f32 v21, 0, v33
	v_dual_add_f32 v28, 0, v40 :: v_dual_min_f32 v11, v30, v54
	s_delay_alu instid0(VALU_DEP_2) | instskip(SKIP_4) | instid1(VALU_DEP_4)
	v_dual_add_f32 v82, v46, v47 :: v_dual_add_f32 v73, v17, v10
	v_min_f32_e32 v10, v38, v54
	v_add_f32_e32 v74, v15, v9
	v_min_f32_e32 v9, v35, v55
	v_dual_add_f32 v75, v13, v8 :: v_dual_min_f32 v8, v34, v54
	v_add_f32_e32 v68, v24, v10
	v_add_f32_e32 v76, v12, v23
	;; [unrolled: 1-line block ×3, first 2 shown]
	v_dual_min_f32 v11, v43, v55 :: v_dual_min_f32 v12, v42, v54
	v_dual_add_f32 v70, v21, v9 :: v_dual_min_f32 v9, v39, v55
	v_add_f32_e32 v71, v20, v8
	s_delay_alu instid0(VALU_DEP_3) | instskip(NEXT) | instid1(VALU_DEP_3)
	v_dual_add_f32 v67, v29, v11 :: v_dual_add_f32 v66, v28, v12
	v_add_f32_e32 v69, v25, v9
	s_cbranch_scc1 .LBB83_36
; %bb.22:
	v_add_nc_u32_e32 v8, 12, v58
	v_add_nc_u32_e32 v10, 8, v58
	v_or_b32_e32 v101, 0x1000, v7
	v_add_nc_u32_e32 v129, 0x1400, v7
	v_mad_i64_i32 v[4:5], null, v2, s29, 0
	v_mad_i64_i32 v[6:7], null, v8, s4, 0
	;; [unrolled: 1-line block ×4, first 2 shown]
	v_lshlrev_b64 v[0:1], 2, v[0:1]
	v_lshlrev_b64 v[52:53], 2, v[4:5]
	;; [unrolled: 1-line block ×3, first 2 shown]
	v_add_nc_u32_e32 v117, 0x1000, v60
	v_lshlrev_b64 v[50:51], 2, v[8:9]
	v_add_nc_u32_e32 v130, 0x800, v62
	v_add_co_u32 v131, s2, s12, v0
	v_lshlrev_b64 v[54:55], 2, v[10:11]
	v_add_co_ci_u32_e64 v132, s2, s13, v1, s2
	v_lshl_add_u32 v133, v56, 4, 0x1400
	v_lshl_add_u32 v134, v57, 4, 0x800
	s_add_i32 s12, s18, -8
	s_lshl_b64 s[4:5], s[4:5], 5
	s_branch .LBB83_24
.LBB83_23:                              ;   in Loop: Header=BB83_24 Depth=1
	s_or_b32 exec_lo, exec_lo, s3
	v_dual_add_f32 v40, v128, v40 :: v_dual_add_f32 v33, v122, v33
	v_dual_add_f32 v28, v125, v28 :: v_dual_add_f32 v29, v124, v29
	;; [unrolled: 1-line block ×16, first 2 shown]
	v_add_f32_e32 v110, v20, v179
	v_dual_add_f32 v114, v8, v189 :: v_dual_add_f32 v115, v25, v23
	ds_load_b128 v[20:23], v61
	ds_load_b128 v[28:31], v117
	v_dual_add_f32 v5, v98, v5 :: v_dual_add_f32 v96, v96, v150
	v_dual_add_f32 v86, v86, v160 :: v_dual_add_f32 v87, v87, v161
	;; [unrolled: 1-line block ×15, first 2 shown]
	s_delay_alu instid0(VALU_DEP_3)
	v_dual_add_f32 v111, v16, v18 :: v_dual_add_f32 v102, v102, v188
	v_dual_add_f32 v116, v12, v190 :: v_dual_add_f32 v119, v17, v191
	;; [unrolled: 1-line block ×11, first 2 shown]
	ds_load_b128 v[8:11], v117 offset:128
	v_dual_add_f32 v72, v72, v2 :: v_dual_add_f32 v69, v69, v15
	s_waitcnt lgkmcnt(2)
	v_dual_add_f32 v70, v70, v14 :: v_dual_max_f32 v21, v21, v21
	v_dual_add_f32 v68, v68, v6 :: v_dual_add_f32 v127, v46, v19
	s_waitcnt lgkmcnt(1)
	v_dual_add_f32 v128, v43, v7 :: v_dual_max_f32 v29, v29, v29
	ds_load_b128 v[0:3], v117 offset:256
	ds_load_b128 v[4:7], v117 offset:384
	;; [unrolled: 1-line block ×5, first 2 shown]
	v_dual_add_f32 v65, v108, v142 :: v_dual_add_f32 v106, v106, v144
	v_dual_add_f32 v67, v36, v38 :: v_dual_add_f32 v108, v37, v39
	;; [unrolled: 1-line block ×3, first 2 shown]
	ds_load_b128 v[32:35], v117 offset:768
	ds_load_b128 v[36:39], v117 offset:896
	v_dual_max_f32 v20, v20, v20 :: v_dual_min_f32 v139, v29, v21
	s_waitcnt lgkmcnt(7)
	v_dual_max_f32 v28, v28, v28 :: v_dual_max_f32 v9, v9, v9
	v_dual_add_f32 v121, v45, v192 :: v_dual_add_f32 v122, v44, v183
	s_delay_alu instid0(VALU_DEP_2)
	v_dual_add_f32 v107, v107, v194 :: v_dual_min_f32 v138, v28, v20
	s_waitcnt lgkmcnt(6)
	v_dual_max_f32 v1, v1, v1 :: v_dual_max_f32 v0, v0, v0
	s_waitcnt lgkmcnt(5)
	v_dual_max_f32 v5, v5, v5 :: v_dual_add_f32 v66, v66, v139
	v_max_f32_e32 v4, v4, v4
	s_waitcnt lgkmcnt(4)
	v_dual_max_f32 v12, v12, v12 :: v_dual_max_f32 v13, v13, v13
	v_min_f32_e32 v139, v0, v20
	v_dual_max_f32 v8, v8, v8 :: v_dual_add_f32 v67, v67, v138
	s_waitcnt lgkmcnt(1)
	v_max_f32_e32 v32, v32, v32
	v_min_f32_e32 v138, v9, v21
	v_dual_add_f32 v100, v100, v139 :: v_dual_min_f32 v139, v5, v21
	v_max_f32_e32 v17, v17, v17
	v_max_f32_e32 v33, v33, v33
	;; [unrolled: 1-line block ×3, first 2 shown]
	ds_load_b128 v[40:43], v61 offset:1024
	ds_load_b128 v[44:47], v61 offset:1536
	v_dual_add_f32 v108, v108, v139 :: v_dual_min_f32 v139, v13, v21
	v_dual_add_f32 v105, v105, v145 :: v_dual_add_f32 v104, v104, v147
	s_waitcnt lgkmcnt(2)
	v_dual_max_f32 v36, v36, v36 :: v_dual_max_f32 v37, v37, v37
	s_delay_alu instid0(VALU_DEP_3) | instskip(SKIP_3) | instid1(VALU_DEP_3)
	v_dual_add_f32 v110, v110, v139 :: v_dual_min_f32 v139, v32, v20
	v_dual_min_f32 v140, v8, v20 :: v_dual_add_f32 v83, v83, v138
	v_min_f32_e32 v138, v1, v21
	v_dual_add_f32 v64, v64, v193 :: v_dual_add_f32 v105, v105, v195
	v_dual_add_f32 v115, v115, v139 :: v_dual_add_f32 v84, v84, v140
	s_delay_alu instid0(VALU_DEP_3) | instskip(SKIP_3) | instid1(VALU_DEP_4)
	v_dual_add_f32 v99, v99, v138 :: v_dual_min_f32 v140, v4, v20
	v_min_f32_e32 v138, v12, v20
	v_dual_max_f32 v16, v16, v16 :: v_dual_min_f32 v139, v29, v25
	v_max_f32_e32 v24, v24, v24
	v_add_f32_e32 v109, v109, v140
	s_delay_alu instid0(VALU_DEP_3) | instskip(NEXT) | instid1(VALU_DEP_4)
	v_dual_add_f32 v111, v111, v138 :: v_dual_min_f32 v138, v16, v20
	v_dual_min_f32 v140, v17, v21 :: v_dual_add_f32 v139, v119, v139
	v_min_f32_e32 v119, v1, v25
	v_dual_add_f32 v91, v91, v156 :: v_dual_add_f32 v90, v90, v157
	s_delay_alu instid0(VALU_DEP_3) | instskip(NEXT) | instid1(VALU_DEP_3)
	v_dual_add_f32 v113, v113, v138 :: v_dual_add_f32 v112, v112, v140
	v_dual_min_f32 v138, v33, v21 :: v_dual_add_f32 v143, v64, v119
	v_min_f32_e32 v21, v37, v21
	v_dual_add_f32 v65, v65, v185 :: v_dual_add_f32 v106, v106, v186
	s_delay_alu instid0(VALU_DEP_3)
	v_add_f32_e32 v114, v114, v138
	s_waitcnt lgkmcnt(1)
	v_dual_min_f32 v138, v28, v24 :: v_dual_max_f32 v41, v41, v41
	v_add_f32_e32 v21, v116, v21
	v_min_f32_e32 v116, v9, v25
	v_dual_add_f32 v94, v94, v208 :: v_dual_add_f32 v91, v91, v201
	s_delay_alu instid0(VALU_DEP_4) | instskip(SKIP_1) | instid1(VALU_DEP_4)
	v_add_f32_e32 v138, v120, v138
	v_min_f32_e32 v120, v4, v24
	v_add_f32_e32 v141, v121, v116
	v_min_f32_e32 v116, v5, v25
	v_min_f32_e32 v64, v13, v25
	v_max_f32_e32 v40, v40, v40
	v_add_f32_e32 v144, v65, v120
	v_min_f32_e32 v65, v16, v24
	v_min_f32_e32 v20, v36, v20
	v_add_f32_e32 v107, v107, v116
	v_add_f32_e32 v105, v105, v64
	v_min_f32_e32 v64, v33, v25
	v_min_f32_e32 v116, v17, v25
	v_dual_add_f32 v103, v103, v65 :: v_dual_add_f32 v20, v118, v20
	v_dual_min_f32 v25, v37, v25 :: v_dual_min_f32 v118, v8, v24
	v_dual_add_f32 v93, v93, v154 :: v_dual_add_f32 v92, v92, v155
	s_delay_alu instid0(VALU_DEP_2) | instskip(NEXT) | instid1(VALU_DEP_3)
	v_dual_add_f32 v96, v96, v198 :: v_dual_add_f32 v25, v98, v25
	v_add_f32_e32 v140, v122, v118
	v_min_f32_e32 v118, v0, v24
	v_dual_add_f32 v104, v104, v196 :: v_dual_add_f32 v97, v97, v207
	v_dual_add_f32 v93, v93, v200 :: v_dual_add_f32 v88, v88, v158
	s_delay_alu instid0(VALU_DEP_3) | instskip(SKIP_4) | instid1(VALU_DEP_3)
	v_dual_add_f32 v89, v89, v159 :: v_dual_add_f32 v142, v63, v118
	v_dual_min_f32 v63, v12, v24 :: v_dual_add_f32 v90, v90, v210
	v_add_f32_e32 v87, v87, v212
	v_add_f32_e32 v145, v123, v64
	s_waitcnt lgkmcnt(0)
	v_dual_max_f32 v45, v45, v45 :: v_dual_add_f32 v106, v106, v63
	v_min_f32_e32 v63, v32, v24
	v_dual_max_f32 v23, v23, v23 :: v_dual_add_f32 v92, v92, v209
	v_dual_add_f32 v89, v89, v211 :: v_dual_min_f32 v24, v36, v24
	s_delay_alu instid0(VALU_DEP_3) | instskip(SKIP_3) | instid1(VALU_DEP_4)
	v_dual_add_f32 v102, v102, v63 :: v_dual_min_f32 v63, v28, v40
	v_max_f32_e32 v44, v44, v44
	v_dual_add_f32 v88, v88, v202 :: v_dual_add_f32 v85, v85, v204
	v_add_f32_e32 v104, v104, v116
	v_dual_add_f32 v96, v96, v63 :: v_dual_min_f32 v63, v9, v41
	v_dual_add_f32 v82, v82, v217 :: v_dual_add_f32 v81, v81, v214
	v_max_f32_e32 v11, v11, v11
	s_delay_alu instid0(VALU_DEP_3) | instskip(SKIP_3) | instid1(VALU_DEP_3)
	v_dual_min_f32 v9, v9, v45 :: v_dual_add_f32 v94, v94, v63
	v_dual_min_f32 v63, v5, v41 :: v_dual_min_f32 v98, v4, v40
	v_dual_min_f32 v65, v8, v40 :: v_dual_max_f32 v22, v22, v22
	v_max_f32_e32 v3, v3, v3
	v_dual_add_f32 v90, v90, v63 :: v_dual_add_f32 v91, v91, v98
	v_min_f32_e32 v98, v17, v41
	v_min_f32_e32 v64, v29, v41
	v_dual_min_f32 v63, v13, v41 :: v_dual_add_f32 v24, v124, v24
	v_add_f32_e32 v95, v95, v65
	s_delay_alu instid0(VALU_DEP_4) | instskip(NEXT) | instid1(VALU_DEP_4)
	v_add_f32_e32 v87, v87, v98
	v_add_f32_e32 v97, v97, v64
	s_delay_alu instid0(VALU_DEP_4)
	v_dual_add_f32 v89, v89, v63 :: v_dual_min_f32 v64, v0, v40
	v_min_f32_e32 v63, v33, v41
	v_min_f32_e32 v65, v1, v41
	v_dual_min_f32 v1, v1, v45 :: v_dual_min_f32 v8, v8, v44
	v_min_f32_e32 v13, v13, v45
	v_add_f32_e32 v93, v93, v64
	v_dual_min_f32 v64, v12, v40 :: v_dual_min_f32 v41, v37, v41
	v_dual_min_f32 v0, v0, v44 :: v_dual_min_f32 v33, v33, v45
	s_delay_alu instid0(VALU_DEP_4) | instskip(SKIP_1) | instid1(VALU_DEP_4)
	v_dual_min_f32 v4, v4, v44 :: v_dual_add_f32 v13, v73, v13
	v_min_f32_e32 v12, v12, v44
	v_dual_add_f32 v88, v88, v64 :: v_dual_add_f32 v41, v82, v41
	v_min_f32_e32 v64, v32, v40
	s_delay_alu instid0(VALU_DEP_4) | instskip(SKIP_2) | instid1(VALU_DEP_4)
	v_dual_add_f32 v4, v75, v4 :: v_dual_min_f32 v37, v37, v45
	v_dual_min_f32 v32, v32, v44 :: v_dual_add_f32 v33, v69, v33
	v_add_f32_e32 v12, v72, v12
	v_dual_add_f32 v92, v92, v65 :: v_dual_add_f32 v85, v85, v64
	v_min_f32_e32 v65, v16, v40
	v_dual_min_f32 v40, v36, v40 :: v_dual_add_f32 v9, v79, v9
	v_min_f32_e32 v29, v29, v45
	v_dual_add_f32 v146, v125, v63 :: v_dual_add_f32 v37, v127, v37
	v_dual_add_f32 v32, v68, v32 :: v_dual_min_f32 v63, v11, v23
	v_max_f32_e32 v30, v30, v30
	v_dual_add_f32 v40, v126, v40 :: v_dual_min_f32 v5, v5, v45
	v_dual_add_f32 v8, v78, v8 :: v_dual_min_f32 v17, v17, v45
	s_delay_alu instid0(VALU_DEP_4) | instskip(NEXT) | instid1(VALU_DEP_4)
	v_dual_add_f32 v125, v83, v63 :: v_dual_min_f32 v16, v16, v44
	v_min_f32_e32 v45, v30, v22
	v_dual_add_f32 v86, v86, v65 :: v_dual_max_f32 v31, v31, v31
	v_min_f32_e32 v36, v36, v44
	s_delay_alu instid0(VALU_DEP_3) | instskip(SKIP_3) | instid1(VALU_DEP_3)
	v_dual_max_f32 v10, v10, v10 :: v_dual_add_f32 v127, v67, v45
	v_dual_min_f32 v45, v3, v23 :: v_dual_max_f32 v6, v6, v6
	v_dual_min_f32 v28, v28, v44 :: v_dual_add_f32 v5, v74, v5
	v_add_f32_e32 v16, v71, v16
	v_dual_max_f32 v2, v2, v2 :: v_dual_add_f32 v123, v99, v45
	s_delay_alu instid0(VALU_DEP_4) | instskip(SKIP_3) | instid1(VALU_DEP_3)
	v_min_f32_e32 v45, v6, v22
	v_max_f32_e32 v14, v14, v14
	v_min_f32_e32 v44, v31, v23
	v_dual_add_f32 v36, v128, v36 :: v_dual_max_f32 v7, v7, v7
	v_dual_add_f32 v122, v109, v45 :: v_dual_min_f32 v45, v14, v22
	s_delay_alu instid0(VALU_DEP_3) | instskip(SKIP_3) | instid1(VALU_DEP_3)
	v_add_f32_e32 v128, v66, v44
	v_dual_min_f32 v44, v10, v22 :: v_dual_max_f32 v15, v15, v15
	v_max_f32_e32 v35, v35, v35
	v_min_f32_e32 v63, v7, v23
	v_dual_max_f32 v19, v19, v19 :: v_dual_add_f32 v126, v84, v44
	v_min_f32_e32 v44, v2, v22
	v_max_f32_e32 v18, v18, v18
	v_add_f32_e32 v120, v111, v45
	v_dual_min_f32 v45, v35, v23 :: v_dual_max_f32 v26, v26, v26
	s_delay_alu instid0(VALU_DEP_4)
	v_add_f32_e32 v124, v100, v44
	v_min_f32_e32 v44, v15, v23
	v_add_f32_e32 v121, v108, v63
	v_min_f32_e32 v63, v18, v22
	v_dual_max_f32 v34, v34, v34 :: v_dual_max_f32 v39, v39, v39
	v_add_f32_e32 v64, v114, v45
	v_min_f32_e32 v45, v30, v26
	v_dual_add_f32 v119, v110, v44 :: v_dual_min_f32 v44, v19, v23
	v_add_f32_e32 v63, v113, v63
	v_max_f32_e32 v27, v27, v27
	s_delay_alu instid0(VALU_DEP_4)
	v_add_f32_e32 v113, v138, v45
	v_max_f32_e32 v38, v38, v38
	v_add_f32_e32 v118, v112, v44
	v_dual_min_f32 v44, v34, v22 :: v_dual_min_f32 v23, v39, v23
	v_dual_add_f32 v29, v80, v29 :: v_dual_add_f32 v28, v81, v28
	v_add_f32_e32 v1, v76, v1
	s_delay_alu instid0(VALU_DEP_3) | instskip(NEXT) | instid1(VALU_DEP_4)
	v_add_f32_e32 v65, v115, v44
	v_add_f32_e32 v115, v21, v23
	v_dual_min_f32 v21, v11, v27 :: v_dual_min_f32 v22, v38, v22
	v_dual_min_f32 v23, v7, v27 :: v_dual_add_f32 v0, v77, v0
	v_add_f32_e32 v17, v70, v17
	s_delay_alu instid0(VALU_DEP_3) | instskip(NEXT) | instid1(VALU_DEP_4)
	v_add_f32_e32 v111, v141, v21
	v_dual_min_f32 v21, v3, v27 :: v_dual_add_f32 v116, v20, v22
	s_delay_alu instid0(VALU_DEP_4) | instskip(SKIP_1) | instid1(VALU_DEP_3)
	v_dual_min_f32 v20, v10, v26 :: v_dual_add_f32 v107, v107, v23
	v_min_f32_e32 v22, v2, v26
	v_add_f32_e32 v110, v143, v21
	v_min_f32_e32 v21, v15, v27
	v_min_f32_e32 v44, v31, v27
	v_add_f32_e32 v112, v140, v20
	v_min_f32_e32 v20, v6, v26
	v_add_f32_e32 v109, v142, v22
	s_delay_alu instid0(VALU_DEP_4) | instskip(SKIP_1) | instid1(VALU_DEP_4)
	v_dual_min_f32 v23, v18, v26 :: v_dual_add_f32 v114, v139, v44
	v_add_f32_e32 v105, v105, v21
	v_dual_min_f32 v21, v35, v27 :: v_dual_add_f32 v108, v144, v20
	s_delay_alu instid0(VALU_DEP_3) | instskip(NEXT) | instid1(VALU_DEP_2)
	v_dual_add_f32 v103, v103, v23 :: v_dual_min_f32 v20, v14, v26
	v_dual_min_f32 v23, v39, v27 :: v_dual_add_f32 v100, v145, v21
	v_max_f32_e32 v21, v43, v43
	v_add_co_u32 v131, s2, v131, s4
	s_delay_alu instid0(VALU_DEP_4) | instskip(NEXT) | instid1(VALU_DEP_4)
	v_add_f32_e32 v106, v106, v20
	v_dual_min_f32 v20, v34, v26 :: v_dual_add_f32 v99, v25, v23
	s_delay_alu instid0(VALU_DEP_4) | instskip(SKIP_2) | instid1(VALU_DEP_4)
	v_min_f32_e32 v23, v11, v21
	v_min_f32_e32 v25, v7, v21
	v_add_co_ci_u32_e64 v132, s2, s5, v132, s2
	v_add_f32_e32 v102, v102, v20
	v_min_f32_e32 v20, v31, v21
	v_min_f32_e32 v22, v19, v27
	v_add_f32_e32 v94, v94, v23
	v_add_f32_e32 v90, v90, v25
	s_add_i32 s28, s28, 8
	s_delay_alu instid0(VALU_DEP_3)
	v_dual_add_f32 v97, v97, v20 :: v_dual_add_f32 v104, v104, v22
	v_max_f32_e32 v22, v42, v42
	s_cmp_ge_i32 s28, s12
	ds_store_b32 v129, v135
	ds_store_2addr_stride64_b32 v130, v137, v136 offset1:4
	s_waitcnt lgkmcnt(0)
	s_barrier
	v_min_f32_e32 v20, v10, v22
	v_min_f32_e32 v26, v38, v26
	;; [unrolled: 1-line block ×5, first 2 shown]
	s_delay_alu instid0(VALU_DEP_4) | instskip(NEXT) | instid1(VALU_DEP_4)
	v_dual_add_f32 v95, v95, v20 :: v_dual_add_f32 v98, v24, v26
	v_add_f32_e32 v93, v93, v23
	v_min_f32_e32 v23, v15, v21
	v_min_f32_e32 v24, v3, v21
	buffer_gl0_inv
	v_add_f32_e32 v89, v89, v23
	v_min_f32_e32 v23, v35, v21
	s_delay_alu instid0(VALU_DEP_1) | instskip(SKIP_2) | instid1(VALU_DEP_1)
	v_add_f32_e32 v84, v146, v23
	v_dual_max_f32 v23, v46, v46 :: v_dual_add_f32 v92, v92, v24
	v_min_f32_e32 v24, v14, v22
	v_add_f32_e32 v88, v88, v24
	v_max_f32_e32 v24, v47, v47
	v_min_f32_e32 v20, v6, v22
	v_add_f32_e32 v86, v86, v25
	s_delay_alu instid0(VALU_DEP_3) | instskip(NEXT) | instid1(VALU_DEP_3)
	v_dual_min_f32 v2, v2, v23 :: v_dual_min_f32 v25, v31, v24
	v_dual_add_f32 v96, v96, v27 :: v_dual_add_f32 v91, v91, v20
	v_min_f32_e32 v11, v11, v24
	v_min_f32_e32 v20, v19, v21
	;; [unrolled: 1-line block ×3, first 2 shown]
	v_dual_add_f32 v77, v0, v2 :: v_dual_min_f32 v0, v6, v23
	s_delay_alu instid0(VALU_DEP_4) | instskip(NEXT) | instid1(VALU_DEP_4)
	v_add_f32_e32 v79, v9, v11
	v_dual_add_f32 v87, v87, v20 :: v_dual_min_f32 v20, v34, v22
	s_delay_alu instid0(VALU_DEP_3) | instskip(SKIP_2) | instid1(VALU_DEP_4)
	v_dual_add_f32 v80, v29, v25 :: v_dual_add_f32 v75, v4, v0
	v_min_f32_e32 v0, v18, v23
	v_add_f32_e32 v76, v1, v3
	v_dual_add_f32 v85, v85, v20 :: v_dual_min_f32 v20, v30, v23
	v_min_f32_e32 v3, v14, v23
	v_dual_min_f32 v21, v39, v21 :: v_dual_min_f32 v4, v38, v23
	v_add_f32_e32 v71, v16, v0
	s_delay_alu instid0(VALU_DEP_4) | instskip(SKIP_4) | instid1(VALU_DEP_4)
	v_dual_add_f32 v81, v28, v20 :: v_dual_min_f32 v22, v38, v22
	v_min_f32_e32 v1, v7, v24
	v_min_f32_e32 v2, v15, v24
	v_min_f32_e32 v10, v10, v23
	v_dual_add_f32 v72, v12, v3 :: v_dual_min_f32 v3, v39, v24
	v_add_f32_e32 v74, v5, v1
	s_delay_alu instid0(VALU_DEP_4) | instskip(SKIP_3) | instid1(VALU_DEP_3)
	v_add_f32_e32 v73, v13, v2
	v_dual_min_f32 v1, v19, v24 :: v_dual_add_f32 v82, v40, v22
	v_add_f32_e32 v78, v8, v10
	v_dual_min_f32 v2, v34, v23 :: v_dual_add_f32 v83, v41, v21
	v_dual_add_f32 v70, v17, v1 :: v_dual_min_f32 v1, v35, v24
	s_delay_alu instid0(VALU_DEP_2) | instskip(NEXT) | instid1(VALU_DEP_2)
	v_dual_add_f32 v67, v37, v3 :: v_dual_add_f32 v68, v32, v2
	v_dual_add_f32 v66, v36, v4 :: v_dual_add_f32 v69, v33, v1
	s_cbranch_scc1 .LBB83_36
.LBB83_24:                              ; =>This Inner Loop Header: Depth=1
	v_dual_mov_b32 v138, 0 :: v_dual_add_nc_u32 v137, s28, v58
	s_delay_alu instid0(VALU_DEP_1) | instskip(NEXT) | instid1(VALU_DEP_1)
	v_dual_mov_b32 v139, 0 :: v_dual_add_nc_u32 v0, 8, v137
	v_cmp_gt_i32_e64 s2, s18, v0
	s_delay_alu instid0(VALU_DEP_1) | instskip(NEXT) | instid1(SALU_CYCLE_1)
	s_and_b32 s2, vcc_lo, s2
	s_and_b32 s2, s23, s2
	s_delay_alu instid0(SALU_CYCLE_1)
	s_and_saveexec_b32 s3, s2
	s_cbranch_execz .LBB83_26
; %bb.25:                               ;   in Loop: Header=BB83_24 Depth=1
	v_add_co_u32 v0, s2, v131, v50
	s_delay_alu instid0(VALU_DEP_1)
	v_add_co_ci_u32_e64 v1, s2, v132, v51, s2
	flat_load_b32 v0, v[0:1]
	s_waitcnt vmcnt(0) lgkmcnt(0)
	v_mul_f32_e32 v139, s19, v0
.LBB83_26:                              ;   in Loop: Header=BB83_24 Depth=1
	s_or_b32 exec_lo, exec_lo, s3
	v_add_nc_u32_e32 v136, s28, v59
	s_delay_alu instid0(VALU_DEP_1) | instskip(NEXT) | instid1(VALU_DEP_1)
	v_add_nc_u32_e32 v2, 8, v136
	v_min_i32_e32 v0, s25, v2
	v_cmp_le_i32_e64 s2, s18, v2
	s_delay_alu instid0(VALU_DEP_2) | instskip(NEXT) | instid1(VALU_DEP_1)
	v_ashrrev_i32_e32 v1, 31, v0
	v_lshlrev_b64 v[0:1], 2, v[0:1]
	s_delay_alu instid0(VALU_DEP_1) | instskip(NEXT) | instid1(VALU_DEP_1)
	v_add_co_u32 v0, s3, s8, v0
	v_add_co_ci_u32_e64 v1, s3, s9, v1, s3
	s_or_b32 s3, s26, s2
	s_delay_alu instid0(SALU_CYCLE_1) | instskip(NEXT) | instid1(SALU_CYCLE_1)
	s_xor_b32 s3, s3, -1
	s_and_saveexec_b32 s13, s3
	s_cbranch_execz .LBB83_28
; %bb.27:                               ;   in Loop: Header=BB83_24 Depth=1
	v_add_co_u32 v2, s3, v0, v52
	s_delay_alu instid0(VALU_DEP_1)
	v_add_co_ci_u32_e64 v3, s3, v1, v53, s3
	flat_load_b32 v2, v[2:3]
	s_waitcnt vmcnt(0) lgkmcnt(0)
	v_mul_f32_e32 v138, s19, v2
.LBB83_28:                              ;   in Loop: Header=BB83_24 Depth=1
	s_or_b32 exec_lo, exec_lo, s13
	v_dual_mov_b32 v135, 0 :: v_dual_mov_b32 v140, 0
	s_or_b32 s2, s27, s2
	s_delay_alu instid0(SALU_CYCLE_1) | instskip(NEXT) | instid1(SALU_CYCLE_1)
	s_xor_b32 s2, s2, -1
	s_and_saveexec_b32 s3, s2
	s_cbranch_execz .LBB83_30
; %bb.29:                               ;   in Loop: Header=BB83_24 Depth=1
	v_add_co_u32 v0, s2, v0, v54
	s_delay_alu instid0(VALU_DEP_1)
	v_add_co_ci_u32_e64 v1, s2, v1, v55, s2
	flat_load_b32 v0, v[0:1]
	s_waitcnt vmcnt(0) lgkmcnt(0)
	v_mul_f32_e32 v140, s19, v0
.LBB83_30:                              ;   in Loop: Header=BB83_24 Depth=1
	s_or_b32 exec_lo, exec_lo, s3
	ds_load_b128 v[40:43], v133
	ds_load_b128 v[36:39], v133 offset:128
	ds_load_b128 v[32:35], v133 offset:256
	;; [unrolled: 1-line block ×7, first 2 shown]
	ds_load_b128 v[44:47], v134
	ds_load_b128 v[8:11], v134 offset:512
	ds_load_b128 v[4:7], v134 offset:1024
	;; [unrolled: 1-line block ×3, first 2 shown]
	v_add_nc_u32_e32 v137, 12, v137
	ds_store_b32 v101, v139
	ds_store_2addr_stride64_b32 v62, v138, v140 offset1:4
	s_waitcnt lgkmcnt(0)
	s_barrier
	buffer_gl0_inv
	v_cmp_gt_i32_e64 s2, s18, v137
	s_delay_alu instid0(VALU_DEP_1) | instskip(NEXT) | instid1(SALU_CYCLE_1)
	s_and_b32 s2, vcc_lo, s2
	s_and_b32 s2, s23, s2
	s_delay_alu instid0(SALU_CYCLE_1)
	s_and_saveexec_b32 s3, s2
	s_cbranch_execz .LBB83_32
; %bb.31:                               ;   in Loop: Header=BB83_24 Depth=1
	v_add_co_u32 v137, s2, v131, v48
	s_delay_alu instid0(VALU_DEP_1)
	v_add_co_ci_u32_e64 v138, s2, v132, v49, s2
	flat_load_b32 v135, v[137:138]
	s_waitcnt vmcnt(0) lgkmcnt(0)
	v_mul_f32_e32 v135, s19, v135
.LBB83_32:                              ;   in Loop: Header=BB83_24 Depth=1
	s_or_b32 exec_lo, exec_lo, s3
	v_add_nc_u32_e32 v140, 12, v136
	s_delay_alu instid0(VALU_DEP_1) | instskip(NEXT) | instid1(VALU_DEP_1)
	v_min_i32_e32 v136, s25, v140
	v_ashrrev_i32_e32 v137, 31, v136
	s_delay_alu instid0(VALU_DEP_1) | instskip(SKIP_3) | instid1(VALU_DEP_4)
	v_lshlrev_b64 v[138:139], 2, v[136:137]
	v_mov_b32_e32 v137, 0
	v_cmp_le_i32_e64 s2, s18, v140
	v_mov_b32_e32 v136, 0
	v_add_co_u32 v138, s3, s8, v138
	s_delay_alu instid0(VALU_DEP_1) | instskip(NEXT) | instid1(VALU_DEP_4)
	v_add_co_ci_u32_e64 v139, s3, s9, v139, s3
	s_or_b32 s3, s26, s2
	s_delay_alu instid0(SALU_CYCLE_1) | instskip(NEXT) | instid1(SALU_CYCLE_1)
	s_xor_b32 s3, s3, -1
	s_and_saveexec_b32 s13, s3
	s_cbranch_execz .LBB83_34
; %bb.33:                               ;   in Loop: Header=BB83_24 Depth=1
	v_add_co_u32 v140, s3, v138, v52
	s_delay_alu instid0(VALU_DEP_1)
	v_add_co_ci_u32_e64 v141, s3, v139, v53, s3
	flat_load_b32 v137, v[140:141]
	s_waitcnt vmcnt(0) lgkmcnt(0)
	v_mul_f32_e32 v137, s19, v137
.LBB83_34:                              ;   in Loop: Header=BB83_24 Depth=1
	s_or_b32 exec_lo, exec_lo, s13
	v_dual_max_f32 v174, v20, v20 :: v_dual_max_f32 v175, v21, v21
	v_dual_max_f32 v149, v8, v8 :: v_dual_max_f32 v150, v9, v9
	;; [unrolled: 1-line block ×6, first 2 shown]
	s_delay_alu instid0(VALU_DEP_3)
	v_dual_max_f32 v178, v12, v12 :: v_dual_min_f32 v17, v165, v150
	v_dual_min_f32 v146, v174, v149 :: v_dual_max_f32 v163, v4, v4
	v_dual_max_f32 v180, v5, v5 :: v_dual_max_f32 v181, v0, v0
	v_dual_max_f32 v183, v46, v46 :: v_dual_max_f32 v184, v47, v47
	;; [unrolled: 1-line block ×3, first 2 shown]
	v_dual_min_f32 v16, v172, v44 :: v_dual_max_f32 v179, v13, v13
	v_dual_min_f32 v8, v177, v45 :: v_dual_min_f32 v9, v178, v44
	v_min_f32_e32 v5, v178, v149
	v_dual_max_f32 v182, v1, v1 :: v_dual_min_f32 v1, v178, v163
	v_dual_max_f32 v214, v42, v42 :: v_dual_max_f32 v215, v43, v43
	v_max_f32_e32 v219, v38, v38
	s_delay_alu instid0(VALU_DEP_3)
	v_dual_min_f32 v43, v178, v181 :: v_dual_min_f32 v46, v179, v182
	v_max_f32_e32 v178, v39, v39
	v_dual_max_f32 v222, v30, v30 :: v_dual_max_f32 v223, v31, v31
	v_dual_max_f32 v224, v26, v26 :: v_dual_max_f32 v227, v23, v23
	v_dual_min_f32 v23, v228, v183 :: v_dual_max_f32 v10, v10, v10
	v_dual_max_f32 v166, v36, v36 :: v_dual_max_f32 v167, v37, v37
	v_dual_min_f32 v36, v164, v44 :: v_dual_max_f32 v169, v33, v33
	v_dual_max_f32 v168, v32, v32 :: v_dual_max_f32 v171, v29, v29
	v_max_f32_e32 v170, v28, v28
	v_dual_max_f32 v220, v34, v34 :: v_dual_max_f32 v221, v35, v35
	v_dual_min_f32 v34, v178, v184 :: v_dual_max_f32 v225, v27, v27
	v_max_f32_e32 v226, v22, v22
	v_dual_min_f32 v18, v224, v183 :: v_dual_max_f32 v229, v14, v14
	v_dual_max_f32 v230, v15, v15 :: v_dual_min_f32 v185, v222, v10
	v_dual_max_f32 v11, v11, v11 :: v_dual_max_f32 v6, v6, v6
	v_max_f32_e32 v7, v7, v7
	v_dual_max_f32 v231, v2, v2 :: v_dual_max_f32 v232, v3, v3
	v_dual_min_f32 v40, v165, v45 :: v_dual_min_f32 v41, v166, v44
	v_dual_min_f32 v28, v167, v45 :: v_dual_min_f32 v29, v168, v44
	v_min_f32_e32 v37, v171, v45
	v_dual_min_f32 v32, v169, v45 :: v_dual_min_f32 v33, v170, v44
	v_dual_min_f32 v20, v173, v45 :: v_dual_min_f32 v21, v174, v44
	;; [unrolled: 1-line block ×16, first 2 shown]
	v_min_f32_e32 v162, v176, v163
	v_dual_min_f32 v0, v177, v180 :: v_dual_min_f32 v167, v167, v182
	v_dual_min_f32 v163, v179, v180 :: v_dual_min_f32 v164, v164, v181
	;; [unrolled: 1-line block ×13, first 2 shown]
	v_min_f32_e32 v189, v19, v184
	v_dual_min_f32 v181, v229, v183 :: v_dual_min_f32 v182, v214, v10
	v_dual_min_f32 v190, v230, v184 :: v_dual_min_f32 v191, v215, v11
	v_min_f32_e32 v184, v220, v10
	v_dual_min_f32 v183, v219, v10 :: v_dual_min_f32 v192, v178, v11
	v_dual_min_f32 v193, v221, v11 :: v_dual_min_f32 v186, v224, v10
	;; [unrolled: 1-line block ×13, first 2 shown]
	v_min_f32_e32 v216, v19, v7
	v_dual_min_f32 v217, v230, v7 :: v_dual_min_f32 v218, v215, v232
	v_dual_min_f32 v214, v214, v231 :: v_dual_min_f32 v27, v223, v232
	;; [unrolled: 1-line block ×4, first 2 shown]
	v_min_f32_e32 v15, v19, v232
	v_dual_min_f32 v11, v222, v231 :: v_dual_min_f32 v178, v225, v232
	v_dual_min_f32 v2, v224, v231 :: v_dual_min_f32 v19, v230, v232
	;; [unrolled: 1-line block ×3, first 2 shown]
	v_min_f32_e32 v6, v228, v231
	v_min_f32_e32 v7, v229, v231
	s_or_b32 s2, s27, s2
	s_delay_alu instid0(SALU_CYCLE_1) | instskip(NEXT) | instid1(SALU_CYCLE_1)
	s_xor_b32 s2, s2, -1
	s_and_saveexec_b32 s3, s2
	s_cbranch_execz .LBB83_23
; %bb.35:                               ;   in Loop: Header=BB83_24 Depth=1
	v_add_co_u32 v138, s2, v138, v54
	s_delay_alu instid0(VALU_DEP_1)
	v_add_co_ci_u32_e64 v139, s2, v139, v55, s2
	flat_load_b32 v136, v[138:139]
	s_waitcnt vmcnt(0) lgkmcnt(0)
	v_mul_f32_e32 v136, s19, v136
	s_branch .LBB83_23
.LBB83_36:
	s_clause 0x2
	s_load_b64 s[2:3], s[0:1], 0x70
	s_load_b32 s12, s[0:1], 0x50
	s_load_b32 s9, s[0:1], 0x68
	ds_load_b128 v[32:35], v60 offset:5120
	ds_load_b128 v[28:31], v60 offset:5248
	ds_load_b128 v[24:27], v60 offset:5376
	ds_load_b128 v[20:23], v60 offset:5504
	ds_load_b128 v[16:19], v60 offset:5632
	ds_load_b128 v[12:15], v60 offset:5760
	ds_load_b128 v[8:11], v60 offset:5888
	ds_load_b128 v[0:3], v60 offset:6016
	ds_load_b128 v[44:47], v61 offset:2048
	ds_load_b128 v[40:43], v61 offset:2560
	ds_load_b128 v[36:39], v61 offset:3072
	ds_load_b128 v[4:7], v61 offset:3584
	v_add_nc_u32_e32 v117, s24, v57
	v_add_nc_u32_e32 v48, s14, v56
	v_cndmask_b32_e64 v101, 0, 1, s21
	s_delay_alu instid0(VALU_DEP_3)
	v_cmp_gt_i32_e64 s8, s17, v117
	s_waitcnt lgkmcnt(0)
	s_mul_i32 s0, s15, s3
	v_mad_i64_i32 v[49:50], null, v117, s12, 0
	v_mad_i64_i32 v[51:52], null, v117, s9, 0
	s_mul_hi_u32 s1, s15, s2
	s_mul_i32 s3, s22, s2
	s_add_i32 s1, s1, s0
	s_mul_i32 s0, s15, s2
	s_delay_alu instid0(VALU_DEP_2) | instskip(SKIP_1) | instid1(VALU_DEP_2)
	v_lshlrev_b64 v[49:50], 2, v[49:50]
	s_add_i32 s1, s1, s3
	v_lshlrev_b64 v[51:52], 2, v[51:52]
	s_lshl_b64 s[0:1], s[0:1], 2
	s_delay_alu instid0(SALU_CYCLE_1) | instskip(NEXT) | instid1(VALU_DEP_2)
	s_add_u32 s13, s6, s0
	v_add_co_u32 v131, vcc_lo, s10, v49
	v_add_co_ci_u32_e32 v132, vcc_lo, s11, v50, vcc_lo
	s_addc_u32 s14, s7, s1
	v_add_co_u32 v129, vcc_lo, s13, v51
	v_cmp_gt_i32_e64 s0, s16, v48
	v_add_co_ci_u32_e32 v130, vcc_lo, s14, v52, vcc_lo
	v_ashrrev_i32_e32 v49, 31, v48
	s_delay_alu instid0(VALU_DEP_3) | instskip(NEXT) | instid1(SALU_CYCLE_1)
	s_and_b32 s2, s0, s8
	s_and_saveexec_b32 s1, s2
	s_cbranch_execz .LBB83_41
; %bb.37:
	s_delay_alu instid0(VALU_DEP_1)
	v_lshlrev_b64 v[50:51], 2, v[48:49]
	s_and_not1_b32 vcc_lo, exec_lo, s21
	s_cbranch_vccnz .LBB83_39
; %bb.38:
	s_delay_alu instid0(VALU_DEP_1) | instskip(NEXT) | instid1(VALU_DEP_2)
	v_add_co_u32 v52, vcc_lo, v131, v50
	v_add_co_ci_u32_e32 v53, vcc_lo, v132, v51, vcc_lo
	flat_load_b32 v52, v[52:53]
	s_waitcnt vmcnt(0) lgkmcnt(0)
	v_mul_f32_e32 v52, s20, v52
	s_branch .LBB83_40
.LBB83_39:
	v_mov_b32_e32 v52, 0
.LBB83_40:
	v_dual_max_f32 v53, v45, v45 :: v_dual_max_f32 v56, v32, v32
	v_dual_max_f32 v54, v33, v33 :: v_dual_max_f32 v55, v44, v44
	;; [unrolled: 1-line block ×3, first 2 shown]
	v_max_f32_e32 v59, v35, v35
	s_delay_alu instid0(VALU_DEP_3) | instskip(NEXT) | instid1(VALU_DEP_4)
	v_min_f32_e32 v53, v54, v53
	v_dual_max_f32 v54, v34, v34 :: v_dual_min_f32 v55, v56, v55
	v_add_co_u32 v50, vcc_lo, v129, v50
	v_add_co_ci_u32_e32 v51, vcc_lo, v130, v51, vcc_lo
	s_delay_alu instid0(VALU_DEP_3) | instskip(SKIP_2) | instid1(VALU_DEP_1)
	v_min_f32_e32 v54, v54, v57
	v_min_f32_e32 v56, v59, v58
	v_add_f32_e32 v55, v127, v55
	v_dual_add_f32 v53, v128, v53 :: v_dual_add_f32 v54, v55, v54
	s_delay_alu instid0(VALU_DEP_1) | instskip(NEXT) | instid1(VALU_DEP_1)
	v_add_f32_e32 v53, v53, v56
	v_add_f32_e32 v53, v54, v53
	s_delay_alu instid0(VALU_DEP_1)
	v_add_f32_e32 v52, v53, v52
	global_store_b32 v[50:51], v52, off
.LBB83_41:
	s_or_b32 exec_lo, exec_lo, s1
	v_add_nc_u32_e32 v50, 8, v48
	s_delay_alu instid0(VALU_DEP_1) | instskip(SKIP_1) | instid1(VALU_DEP_2)
	v_cmp_gt_i32_e64 s1, s16, v50
	v_ashrrev_i32_e32 v51, 31, v50
	s_and_b32 s3, s1, s8
	s_delay_alu instid0(SALU_CYCLE_1)
	s_and_saveexec_b32 s2, s3
	s_cbranch_execz .LBB83_46
; %bb.42:
	v_cmp_ne_u32_e32 vcc_lo, 1, v101
	v_lshlrev_b64 v[52:53], 2, v[50:51]
	s_cbranch_vccnz .LBB83_44
; %bb.43:
	s_delay_alu instid0(VALU_DEP_1) | instskip(NEXT) | instid1(VALU_DEP_2)
	v_add_co_u32 v54, vcc_lo, v131, v52
	v_add_co_ci_u32_e32 v55, vcc_lo, v132, v53, vcc_lo
	flat_load_b32 v54, v[54:55]
	s_waitcnt vmcnt(0) lgkmcnt(0)
	v_mul_f32_e32 v54, s20, v54
	s_branch .LBB83_45
.LBB83_44:
	v_mov_b32_e32 v54, 0
.LBB83_45:
	v_dual_max_f32 v55, v45, v45 :: v_dual_max_f32 v58, v28, v28
	v_dual_max_f32 v56, v29, v29 :: v_dual_max_f32 v57, v44, v44
	;; [unrolled: 1-line block ×3, first 2 shown]
	v_add_co_u32 v52, vcc_lo, v129, v52
	s_delay_alu instid0(VALU_DEP_3) | instskip(NEXT) | instid1(VALU_DEP_4)
	v_dual_min_f32 v55, v56, v55 :: v_dual_max_f32 v56, v30, v30
	v_min_f32_e32 v57, v58, v57
	v_add_co_ci_u32_e32 v53, vcc_lo, v130, v53, vcc_lo
	s_delay_alu instid0(VALU_DEP_3) | instskip(NEXT) | instid1(VALU_DEP_3)
	v_add_f32_e32 v55, v125, v55
	v_dual_min_f32 v56, v56, v59 :: v_dual_add_f32 v57, v126, v57
	s_delay_alu instid0(VALU_DEP_1) | instskip(NEXT) | instid1(VALU_DEP_1)
	v_dual_max_f32 v61, v31, v31 :: v_dual_add_f32 v56, v57, v56
	v_min_f32_e32 v58, v61, v60
	s_delay_alu instid0(VALU_DEP_1) | instskip(NEXT) | instid1(VALU_DEP_1)
	v_add_f32_e32 v55, v55, v58
	v_add_f32_e32 v55, v56, v55
	s_delay_alu instid0(VALU_DEP_1)
	v_add_f32_e32 v54, v55, v54
	global_store_b32 v[52:53], v54, off
.LBB83_46:
	s_or_b32 exec_lo, exec_lo, s2
	v_add_nc_u32_e32 v52, 16, v48
	s_delay_alu instid0(VALU_DEP_1) | instskip(SKIP_1) | instid1(VALU_DEP_2)
	v_cmp_gt_i32_e64 s2, s16, v52
	v_ashrrev_i32_e32 v53, 31, v52
	s_and_b32 s4, s2, s8
	s_delay_alu instid0(SALU_CYCLE_1)
	s_and_saveexec_b32 s3, s4
	s_cbranch_execz .LBB83_51
; %bb.47:
	v_cmp_ne_u32_e32 vcc_lo, 1, v101
	v_lshlrev_b64 v[54:55], 2, v[52:53]
	s_cbranch_vccnz .LBB83_49
; %bb.48:
	s_delay_alu instid0(VALU_DEP_1) | instskip(NEXT) | instid1(VALU_DEP_2)
	v_add_co_u32 v56, vcc_lo, v131, v54
	v_add_co_ci_u32_e32 v57, vcc_lo, v132, v55, vcc_lo
	flat_load_b32 v56, v[56:57]
	s_waitcnt vmcnt(0) lgkmcnt(0)
	v_mul_f32_e32 v56, s20, v56
	s_branch .LBB83_50
.LBB83_49:
	v_mov_b32_e32 v56, 0
.LBB83_50:
	v_dual_max_f32 v57, v45, v45 :: v_dual_max_f32 v60, v24, v24
	v_dual_max_f32 v58, v25, v25 :: v_dual_max_f32 v59, v44, v44
	;; [unrolled: 1-line block ×3, first 2 shown]
	v_max_f32_e32 v125, v27, v27
	s_delay_alu instid0(VALU_DEP_3) | instskip(NEXT) | instid1(VALU_DEP_4)
	v_min_f32_e32 v57, v58, v57
	v_dual_max_f32 v58, v26, v26 :: v_dual_min_f32 v59, v60, v59
	v_add_co_u32 v54, vcc_lo, v129, v54
	v_add_co_ci_u32_e32 v55, vcc_lo, v130, v55, vcc_lo
	s_delay_alu instid0(VALU_DEP_3) | instskip(SKIP_2) | instid1(VALU_DEP_1)
	v_min_f32_e32 v58, v58, v61
	v_dual_min_f32 v60, v125, v62 :: v_dual_add_f32 v57, v123, v57
	v_add_f32_e32 v59, v124, v59
	v_dual_add_f32 v57, v57, v60 :: v_dual_add_f32 v58, v59, v58
	s_delay_alu instid0(VALU_DEP_1) | instskip(NEXT) | instid1(VALU_DEP_1)
	v_add_f32_e32 v57, v58, v57
	v_add_f32_e32 v56, v57, v56
	global_store_b32 v[54:55], v56, off
.LBB83_51:
	s_or_b32 exec_lo, exec_lo, s3
	v_add_nc_u32_e32 v54, 24, v48
	s_delay_alu instid0(VALU_DEP_1) | instskip(SKIP_1) | instid1(VALU_DEP_2)
	v_cmp_gt_i32_e64 s3, s16, v54
	v_ashrrev_i32_e32 v55, 31, v54
	s_and_b32 s5, s3, s8
	s_delay_alu instid0(SALU_CYCLE_1)
	s_and_saveexec_b32 s4, s5
	s_cbranch_execz .LBB83_56
; %bb.52:
	v_cmp_ne_u32_e32 vcc_lo, 1, v101
	v_lshlrev_b64 v[56:57], 2, v[54:55]
	s_cbranch_vccnz .LBB83_54
; %bb.53:
	s_delay_alu instid0(VALU_DEP_1) | instskip(NEXT) | instid1(VALU_DEP_2)
	v_add_co_u32 v58, vcc_lo, v131, v56
	v_add_co_ci_u32_e32 v59, vcc_lo, v132, v57, vcc_lo
	flat_load_b32 v58, v[58:59]
	s_waitcnt vmcnt(0) lgkmcnt(0)
	v_mul_f32_e32 v58, s20, v58
	s_branch .LBB83_55
.LBB83_54:
	v_mov_b32_e32 v58, 0
.LBB83_55:
	v_dual_max_f32 v59, v45, v45 :: v_dual_max_f32 v62, v20, v20
	v_dual_max_f32 v60, v21, v21 :: v_dual_max_f32 v61, v44, v44
	;; [unrolled: 1-line block ×3, first 2 shown]
	v_add_co_u32 v56, vcc_lo, v129, v56
	s_delay_alu instid0(VALU_DEP_3) | instskip(NEXT) | instid1(VALU_DEP_4)
	v_dual_min_f32 v59, v60, v59 :: v_dual_max_f32 v60, v22, v22
	v_min_f32_e32 v61, v62, v61
	v_add_co_ci_u32_e32 v57, vcc_lo, v130, v57, vcc_lo
	s_delay_alu instid0(VALU_DEP_3) | instskip(NEXT) | instid1(VALU_DEP_3)
	v_add_f32_e32 v59, v121, v59
	v_dual_min_f32 v60, v60, v123 :: v_dual_add_f32 v61, v122, v61
	s_delay_alu instid0(VALU_DEP_1) | instskip(NEXT) | instid1(VALU_DEP_1)
	v_dual_max_f32 v125, v23, v23 :: v_dual_add_f32 v60, v61, v60
	v_min_f32_e32 v62, v125, v124
	s_delay_alu instid0(VALU_DEP_1) | instskip(NEXT) | instid1(VALU_DEP_1)
	v_add_f32_e32 v59, v59, v62
	v_add_f32_e32 v59, v60, v59
	s_delay_alu instid0(VALU_DEP_1)
	v_add_f32_e32 v58, v59, v58
	global_store_b32 v[56:57], v58, off
.LBB83_56:
	s_or_b32 exec_lo, exec_lo, s4
	v_add_nc_u32_e32 v56, 32, v48
	s_delay_alu instid0(VALU_DEP_1) | instskip(SKIP_1) | instid1(VALU_DEP_2)
	v_cmp_gt_i32_e64 s4, s16, v56
	v_ashrrev_i32_e32 v57, 31, v56
	s_and_b32 s6, s4, s8
	s_delay_alu instid0(SALU_CYCLE_1)
	s_and_saveexec_b32 s5, s6
	s_cbranch_execz .LBB83_61
; %bb.57:
	v_cmp_ne_u32_e32 vcc_lo, 1, v101
	v_lshlrev_b64 v[58:59], 2, v[56:57]
	s_cbranch_vccnz .LBB83_59
; %bb.58:
	s_delay_alu instid0(VALU_DEP_1) | instskip(NEXT) | instid1(VALU_DEP_2)
	v_add_co_u32 v60, vcc_lo, v131, v58
	v_add_co_ci_u32_e32 v61, vcc_lo, v132, v59, vcc_lo
	flat_load_b32 v60, v[60:61]
	s_waitcnt vmcnt(0) lgkmcnt(0)
	v_mul_f32_e32 v60, s20, v60
	s_branch .LBB83_60
.LBB83_59:
	v_mov_b32_e32 v60, 0
.LBB83_60:
	v_dual_max_f32 v61, v45, v45 :: v_dual_max_f32 v122, v16, v16
	v_dual_max_f32 v62, v17, v17 :: v_dual_max_f32 v121, v44, v44
	;; [unrolled: 1-line block ×3, first 2 shown]
	v_add_co_u32 v58, vcc_lo, v129, v58
	s_delay_alu instid0(VALU_DEP_3) | instskip(SKIP_1) | instid1(VALU_DEP_2)
	v_min_f32_e32 v121, v122, v121
	v_add_co_ci_u32_e32 v59, vcc_lo, v130, v59, vcc_lo
	v_dual_max_f32 v125, v19, v19 :: v_dual_add_f32 v120, v120, v121
	v_min_f32_e32 v61, v62, v61
	v_max_f32_e32 v62, v18, v18
	s_delay_alu instid0(VALU_DEP_1) | instskip(NEXT) | instid1(VALU_DEP_1)
	v_min_f32_e32 v62, v62, v123
	v_dual_add_f32 v62, v120, v62 :: v_dual_add_f32 v61, v119, v61
	v_min_f32_e32 v119, v125, v124
	s_delay_alu instid0(VALU_DEP_1) | instskip(NEXT) | instid1(VALU_DEP_1)
	v_add_f32_e32 v61, v61, v119
	v_add_f32_e32 v61, v62, v61
	s_delay_alu instid0(VALU_DEP_1)
	v_add_f32_e32 v60, v61, v60
	global_store_b32 v[58:59], v60, off
.LBB83_61:
	s_or_b32 exec_lo, exec_lo, s5
	v_add_nc_u32_e32 v58, 40, v48
	s_delay_alu instid0(VALU_DEP_1) | instskip(SKIP_1) | instid1(VALU_DEP_2)
	v_cmp_gt_i32_e64 s5, s16, v58
	v_ashrrev_i32_e32 v59, 31, v58
	s_and_b32 s7, s5, s8
	s_delay_alu instid0(SALU_CYCLE_1)
	s_and_saveexec_b32 s6, s7
	s_cbranch_execz .LBB83_66
; %bb.62:
	v_cmp_ne_u32_e32 vcc_lo, 1, v101
	v_lshlrev_b64 v[60:61], 2, v[58:59]
	s_cbranch_vccnz .LBB83_64
; %bb.63:
	s_delay_alu instid0(VALU_DEP_1) | instskip(NEXT) | instid1(VALU_DEP_2)
	v_add_co_u32 v119, vcc_lo, v131, v60
	v_add_co_ci_u32_e32 v120, vcc_lo, v132, v61, vcc_lo
	flat_load_b32 v62, v[119:120]
	s_waitcnt vmcnt(0) lgkmcnt(0)
	v_mul_f32_e32 v62, s20, v62
	s_branch .LBB83_65
.LBB83_64:
	v_mov_b32_e32 v62, 0
.LBB83_65:
	v_dual_max_f32 v119, v45, v45 :: v_dual_max_f32 v122, v12, v12
	v_dual_max_f32 v120, v13, v13 :: v_dual_max_f32 v121, v44, v44
	;; [unrolled: 1-line block ×3, first 2 shown]
	v_add_co_u32 v60, vcc_lo, v129, v60
	s_delay_alu instid0(VALU_DEP_3) | instskip(SKIP_1) | instid1(VALU_DEP_2)
	v_dual_min_f32 v119, v120, v119 :: v_dual_max_f32 v120, v14, v14
	v_add_co_ci_u32_e32 v61, vcc_lo, v130, v61, vcc_lo
	v_add_f32_e32 v118, v118, v119
	v_max_f32_e32 v125, v15, v15
	v_min_f32_e32 v121, v122, v121
	s_delay_alu instid0(VALU_DEP_2) | instskip(NEXT) | instid1(VALU_DEP_1)
	v_dual_min_f32 v119, v120, v123 :: v_dual_min_f32 v120, v125, v124
	v_dual_add_f32 v63, v63, v121 :: v_dual_add_f32 v118, v118, v120
	s_delay_alu instid0(VALU_DEP_1) | instskip(NEXT) | instid1(VALU_DEP_1)
	v_add_f32_e32 v63, v63, v119
	v_add_f32_e32 v63, v63, v118
	s_delay_alu instid0(VALU_DEP_1)
	v_add_f32_e32 v62, v63, v62
	global_store_b32 v[60:61], v62, off
.LBB83_66:
	s_or_b32 exec_lo, exec_lo, s6
	v_add_nc_u32_e32 v60, 48, v48
	s_delay_alu instid0(VALU_DEP_1) | instskip(SKIP_1) | instid1(VALU_DEP_2)
	v_cmp_gt_i32_e64 s6, s16, v60
	v_ashrrev_i32_e32 v61, 31, v60
	s_and_b32 s15, s6, s8
	s_delay_alu instid0(SALU_CYCLE_1)
	s_and_saveexec_b32 s7, s15
	s_cbranch_execz .LBB83_71
; %bb.67:
	v_cmp_ne_u32_e32 vcc_lo, 1, v101
	v_lshlrev_b64 v[62:63], 2, v[60:61]
	s_cbranch_vccnz .LBB83_69
; %bb.68:
	s_delay_alu instid0(VALU_DEP_1) | instskip(NEXT) | instid1(VALU_DEP_2)
	v_add_co_u32 v118, vcc_lo, v131, v62
	v_add_co_ci_u32_e32 v119, vcc_lo, v132, v63, vcc_lo
	flat_load_b32 v118, v[118:119]
	s_waitcnt vmcnt(0) lgkmcnt(0)
	v_mul_f32_e32 v118, s20, v118
	s_branch .LBB83_70
.LBB83_69:
	v_mov_b32_e32 v118, 0
.LBB83_70:
	v_dual_max_f32 v119, v45, v45 :: v_dual_max_f32 v122, v8, v8
	v_dual_max_f32 v120, v9, v9 :: v_dual_max_f32 v121, v44, v44
	;; [unrolled: 1-line block ×3, first 2 shown]
	v_add_co_u32 v62, vcc_lo, v129, v62
	s_delay_alu instid0(VALU_DEP_3) | instskip(NEXT) | instid1(VALU_DEP_4)
	v_dual_min_f32 v119, v120, v119 :: v_dual_max_f32 v120, v10, v10
	v_min_f32_e32 v121, v122, v121
	v_add_co_ci_u32_e32 v63, vcc_lo, v130, v63, vcc_lo
	s_delay_alu instid0(VALU_DEP_3) | instskip(SKIP_3) | instid1(VALU_DEP_3)
	v_add_f32_e32 v64, v64, v119
	v_max_f32_e32 v125, v11, v11
	v_min_f32_e32 v119, v120, v123
	v_add_f32_e32 v65, v65, v121
	v_min_f32_e32 v120, v125, v124
	s_delay_alu instid0(VALU_DEP_1) | instskip(NEXT) | instid1(VALU_DEP_1)
	v_dual_add_f32 v65, v65, v119 :: v_dual_add_f32 v64, v64, v120
	v_add_f32_e32 v64, v65, v64
	s_delay_alu instid0(VALU_DEP_1)
	v_add_f32_e32 v64, v64, v118
	global_store_b32 v[62:63], v64, off
.LBB83_71:
	s_or_b32 exec_lo, exec_lo, s7
	v_add_nc_u32_e32 v62, 56, v48
	s_delay_alu instid0(VALU_DEP_1) | instskip(SKIP_1) | instid1(VALU_DEP_2)
	v_cmp_gt_i32_e64 s7, s16, v62
	v_ashrrev_i32_e32 v63, 31, v62
	s_and_b32 s15, s7, s8
	s_delay_alu instid0(SALU_CYCLE_1)
	s_and_saveexec_b32 s8, s15
	s_cbranch_execz .LBB83_76
; %bb.72:
	v_cmp_ne_u32_e32 vcc_lo, 1, v101
	v_lshlrev_b64 v[64:65], 2, v[62:63]
	s_cbranch_vccnz .LBB83_74
; %bb.73:
	s_delay_alu instid0(VALU_DEP_1) | instskip(NEXT) | instid1(VALU_DEP_2)
	v_add_co_u32 v118, vcc_lo, v131, v64
	v_add_co_ci_u32_e32 v119, vcc_lo, v132, v65, vcc_lo
	flat_load_b32 v118, v[118:119]
	s_waitcnt vmcnt(0) lgkmcnt(0)
	v_mul_f32_e32 v118, s20, v118
	s_branch .LBB83_75
.LBB83_74:
	v_mov_b32_e32 v118, 0
.LBB83_75:
	v_dual_max_f32 v45, v45, v45 :: v_dual_max_f32 v44, v44, v44
	v_dual_max_f32 v119, v1, v1 :: v_dual_max_f32 v120, v0, v0
	s_delay_alu instid0(VALU_DEP_1) | instskip(NEXT) | instid1(VALU_DEP_2)
	v_dual_max_f32 v46, v46, v46 :: v_dual_min_f32 v45, v119, v45
	v_dual_max_f32 v119, v2, v2 :: v_dual_min_f32 v44, v120, v44
	v_max_f32_e32 v47, v47, v47
	s_delay_alu instid0(VALU_DEP_2) | instskip(NEXT) | instid1(VALU_DEP_3)
	v_dual_add_f32 v45, v115, v45 :: v_dual_add_f32 v44, v116, v44
	v_min_f32_e32 v46, v119, v46
	s_delay_alu instid0(VALU_DEP_1) | instskip(NEXT) | instid1(VALU_DEP_1)
	v_dual_max_f32 v121, v3, v3 :: v_dual_add_f32 v44, v44, v46
	v_min_f32_e32 v47, v121, v47
	s_delay_alu instid0(VALU_DEP_1) | instskip(NEXT) | instid1(VALU_DEP_1)
	v_add_f32_e32 v45, v45, v47
	v_add_f32_e32 v44, v44, v45
	s_delay_alu instid0(VALU_DEP_1)
	v_add_f32_e32 v46, v44, v118
	v_add_co_u32 v44, vcc_lo, v129, v64
	v_add_co_ci_u32_e32 v45, vcc_lo, v130, v65, vcc_lo
	global_store_b32 v[44:45], v46, off
.LBB83_76:
	s_or_b32 exec_lo, exec_lo, s8
	v_add_nc_u32_e32 v64, 32, v117
	s_delay_alu instid0(VALU_DEP_1) | instskip(SKIP_2) | instid1(VALU_DEP_3)
	v_mad_i64_i32 v[44:45], null, v64, s12, 0
	v_mad_i64_i32 v[46:47], null, v64, s9, 0
	v_cmp_gt_i32_e64 s8, s17, v64
	v_lshlrev_b64 v[44:45], 2, v[44:45]
	s_delay_alu instid0(VALU_DEP_2) | instskip(NEXT) | instid1(VALU_DEP_3)
	s_and_b32 s16, s0, s8
	v_lshlrev_b64 v[46:47], 2, v[46:47]
	s_delay_alu instid0(VALU_DEP_2) | instskip(NEXT) | instid1(VALU_DEP_3)
	v_add_co_u32 v64, vcc_lo, s10, v44
	v_add_co_ci_u32_e32 v65, vcc_lo, s11, v45, vcc_lo
	s_delay_alu instid0(VALU_DEP_3) | instskip(NEXT) | instid1(VALU_DEP_4)
	v_add_co_u32 v46, vcc_lo, s13, v46
	v_add_co_ci_u32_e32 v47, vcc_lo, s14, v47, vcc_lo
	s_and_saveexec_b32 s15, s16
	s_cbranch_execnz .LBB83_84
; %bb.77:
	s_or_b32 exec_lo, exec_lo, s15
	s_and_b32 s16, s1, s8
	s_delay_alu instid0(SALU_CYCLE_1)
	s_and_saveexec_b32 s15, s16
	s_cbranch_execnz .LBB83_88
.LBB83_78:
	s_or_b32 exec_lo, exec_lo, s15
	s_and_b32 s16, s2, s8
	s_delay_alu instid0(SALU_CYCLE_1)
	s_and_saveexec_b32 s15, s16
	s_cbranch_execnz .LBB83_92
.LBB83_79:
	s_or_b32 exec_lo, exec_lo, s15
	s_and_b32 s16, s3, s8
	s_delay_alu instid0(SALU_CYCLE_1)
	s_and_saveexec_b32 s15, s16
	s_cbranch_execnz .LBB83_96
.LBB83_80:
	s_or_b32 exec_lo, exec_lo, s15
	s_and_b32 s16, s4, s8
	s_delay_alu instid0(SALU_CYCLE_1)
	s_and_saveexec_b32 s15, s16
	s_cbranch_execnz .LBB83_100
.LBB83_81:
	s_or_b32 exec_lo, exec_lo, s15
	s_and_b32 s16, s5, s8
	s_delay_alu instid0(SALU_CYCLE_1)
	s_and_saveexec_b32 s15, s16
	s_cbranch_execnz .LBB83_104
.LBB83_82:
	s_or_b32 exec_lo, exec_lo, s15
	s_and_b32 s16, s6, s8
	s_delay_alu instid0(SALU_CYCLE_1)
	s_and_saveexec_b32 s15, s16
	s_cbranch_execnz .LBB83_108
.LBB83_83:
	s_or_b32 exec_lo, exec_lo, s15
	s_and_b32 s15, s7, s8
	s_delay_alu instid0(SALU_CYCLE_1)
	s_and_saveexec_b32 s8, s15
	s_cbranch_execnz .LBB83_112
	s_branch .LBB83_116
.LBB83_84:
	v_cmp_ne_u32_e32 vcc_lo, 1, v101
	v_lshlrev_b64 v[44:45], 2, v[48:49]
	s_cbranch_vccnz .LBB83_86
; %bb.85:
	s_delay_alu instid0(VALU_DEP_1) | instskip(NEXT) | instid1(VALU_DEP_2)
	v_add_co_u32 v115, vcc_lo, v64, v44
	v_add_co_ci_u32_e32 v116, vcc_lo, v65, v45, vcc_lo
	flat_load_b32 v115, v[115:116]
	s_waitcnt vmcnt(0) lgkmcnt(0)
	v_mul_f32_e32 v115, s20, v115
	s_branch .LBB83_87
.LBB83_86:
	v_mov_b32_e32 v115, 0
.LBB83_87:
	v_dual_max_f32 v116, v41, v41 :: v_dual_max_f32 v119, v40, v40
	v_dual_max_f32 v118, v33, v33 :: v_dual_max_f32 v121, v42, v42
	;; [unrolled: 1-line block ×3, first 2 shown]
	v_add_co_u32 v44, vcc_lo, v46, v44
	s_delay_alu instid0(VALU_DEP_2) | instskip(SKIP_2) | instid1(VALU_DEP_3)
	v_dual_min_f32 v116, v118, v116 :: v_dual_min_f32 v119, v120, v119
	v_max_f32_e32 v118, v34, v34
	v_add_co_ci_u32_e32 v45, vcc_lo, v47, v45, vcc_lo
	v_dual_add_f32 v114, v114, v116 :: v_dual_add_f32 v113, v113, v119
	s_delay_alu instid0(VALU_DEP_3) | instskip(NEXT) | instid1(VALU_DEP_1)
	v_min_f32_e32 v116, v118, v121
	v_dual_max_f32 v122, v43, v43 :: v_dual_add_f32 v113, v113, v116
	s_delay_alu instid0(VALU_DEP_1) | instskip(NEXT) | instid1(VALU_DEP_1)
	v_min_f32_e32 v118, v123, v122
	v_add_f32_e32 v114, v114, v118
	s_delay_alu instid0(VALU_DEP_1) | instskip(NEXT) | instid1(VALU_DEP_1)
	v_add_f32_e32 v113, v113, v114
	v_add_f32_e32 v113, v113, v115
	global_store_b32 v[44:45], v113, off
	s_or_b32 exec_lo, exec_lo, s15
	s_and_b32 s16, s1, s8
	s_delay_alu instid0(SALU_CYCLE_1)
	s_and_saveexec_b32 s15, s16
	s_cbranch_execz .LBB83_78
.LBB83_88:
	v_cmp_ne_u32_e32 vcc_lo, 1, v101
	v_lshlrev_b64 v[44:45], 2, v[50:51]
	s_cbranch_vccnz .LBB83_90
; %bb.89:
	s_delay_alu instid0(VALU_DEP_1) | instskip(NEXT) | instid1(VALU_DEP_2)
	v_add_co_u32 v113, vcc_lo, v64, v44
	v_add_co_ci_u32_e32 v114, vcc_lo, v65, v45, vcc_lo
	flat_load_b32 v113, v[113:114]
	s_waitcnt vmcnt(0) lgkmcnt(0)
	v_mul_f32_e32 v113, s20, v113
	s_branch .LBB83_91
.LBB83_90:
	v_mov_b32_e32 v113, 0
.LBB83_91:
	v_dual_max_f32 v114, v41, v41 :: v_dual_max_f32 v119, v42, v42
	v_dual_max_f32 v115, v29, v29 :: v_dual_max_f32 v116, v40, v40
	v_max_f32_e32 v118, v28, v28
	v_max_f32_e32 v120, v43, v43
	;; [unrolled: 1-line block ×3, first 2 shown]
	s_delay_alu instid0(VALU_DEP_4) | instskip(SKIP_3) | instid1(VALU_DEP_4)
	v_min_f32_e32 v114, v115, v114
	v_max_f32_e32 v115, v30, v30
	v_min_f32_e32 v116, v118, v116
	v_add_co_u32 v44, vcc_lo, v46, v44
	v_add_f32_e32 v111, v111, v114
	s_delay_alu instid0(VALU_DEP_4) | instskip(NEXT) | instid1(VALU_DEP_4)
	v_min_f32_e32 v114, v115, v119
	v_add_f32_e32 v112, v112, v116
	v_min_f32_e32 v115, v121, v120
	v_add_co_ci_u32_e32 v45, vcc_lo, v47, v45, vcc_lo
	s_delay_alu instid0(VALU_DEP_2) | instskip(NEXT) | instid1(VALU_DEP_1)
	v_dual_add_f32 v112, v112, v114 :: v_dual_add_f32 v111, v111, v115
	v_add_f32_e32 v111, v112, v111
	s_delay_alu instid0(VALU_DEP_1) | instskip(SKIP_3) | instid1(SALU_CYCLE_1)
	v_add_f32_e32 v111, v111, v113
	global_store_b32 v[44:45], v111, off
	s_or_b32 exec_lo, exec_lo, s15
	s_and_b32 s16, s2, s8
	s_and_saveexec_b32 s15, s16
	s_cbranch_execz .LBB83_79
.LBB83_92:
	v_cmp_ne_u32_e32 vcc_lo, 1, v101
	v_lshlrev_b64 v[44:45], 2, v[52:53]
	s_cbranch_vccnz .LBB83_94
; %bb.93:
	s_delay_alu instid0(VALU_DEP_1) | instskip(NEXT) | instid1(VALU_DEP_2)
	v_add_co_u32 v111, vcc_lo, v64, v44
	v_add_co_ci_u32_e32 v112, vcc_lo, v65, v45, vcc_lo
	flat_load_b32 v111, v[111:112]
	s_waitcnt vmcnt(0) lgkmcnt(0)
	v_mul_f32_e32 v111, s20, v111
	s_branch .LBB83_95
.LBB83_94:
	v_mov_b32_e32 v111, 0
.LBB83_95:
	v_dual_max_f32 v112, v41, v41 :: v_dual_max_f32 v115, v24, v24
	v_dual_max_f32 v113, v25, v25 :: v_dual_max_f32 v114, v40, v40
	v_dual_max_f32 v116, v42, v42 :: v_dual_max_f32 v119, v27, v27
	v_add_co_u32 v44, vcc_lo, v46, v44
	s_delay_alu instid0(VALU_DEP_3) | instskip(SKIP_1) | instid1(VALU_DEP_2)
	v_dual_min_f32 v112, v113, v112 :: v_dual_max_f32 v113, v26, v26
	v_add_co_ci_u32_e32 v45, vcc_lo, v47, v45, vcc_lo
	v_add_f32_e32 v110, v110, v112
	s_delay_alu instid0(VALU_DEP_3) | instskip(SKIP_1) | instid1(VALU_DEP_1)
	v_min_f32_e32 v112, v113, v116
	v_min_f32_e32 v114, v115, v114
	v_dual_max_f32 v118, v43, v43 :: v_dual_add_f32 v109, v109, v114
	s_delay_alu instid0(VALU_DEP_1) | instskip(NEXT) | instid1(VALU_DEP_1)
	v_min_f32_e32 v113, v119, v118
	v_dual_add_f32 v109, v109, v112 :: v_dual_add_f32 v110, v110, v113
	s_delay_alu instid0(VALU_DEP_1) | instskip(NEXT) | instid1(VALU_DEP_1)
	v_add_f32_e32 v109, v109, v110
	v_add_f32_e32 v109, v109, v111
	global_store_b32 v[44:45], v109, off
	s_or_b32 exec_lo, exec_lo, s15
	s_and_b32 s16, s3, s8
	s_delay_alu instid0(SALU_CYCLE_1)
	s_and_saveexec_b32 s15, s16
	s_cbranch_execz .LBB83_80
.LBB83_96:
	v_cmp_ne_u32_e32 vcc_lo, 1, v101
	v_lshlrev_b64 v[44:45], 2, v[54:55]
	s_cbranch_vccnz .LBB83_98
; %bb.97:
	s_delay_alu instid0(VALU_DEP_1) | instskip(NEXT) | instid1(VALU_DEP_2)
	v_add_co_u32 v109, vcc_lo, v64, v44
	v_add_co_ci_u32_e32 v110, vcc_lo, v65, v45, vcc_lo
	flat_load_b32 v109, v[109:110]
	s_waitcnt vmcnt(0) lgkmcnt(0)
	v_mul_f32_e32 v109, s20, v109
	s_branch .LBB83_99
.LBB83_98:
	v_mov_b32_e32 v109, 0
.LBB83_99:
	v_dual_max_f32 v110, v41, v41 :: v_dual_max_f32 v113, v20, v20
	v_dual_max_f32 v111, v21, v21 :: v_dual_max_f32 v112, v40, v40
	;; [unrolled: 1-line block ×3, first 2 shown]
	v_max_f32_e32 v116, v23, v23
	s_delay_alu instid0(VALU_DEP_3) | instskip(NEXT) | instid1(VALU_DEP_4)
	v_min_f32_e32 v110, v111, v110
	v_dual_max_f32 v111, v22, v22 :: v_dual_min_f32 v112, v113, v112
	v_add_co_u32 v44, vcc_lo, v46, v44
	s_delay_alu instid0(VALU_DEP_3) | instskip(NEXT) | instid1(VALU_DEP_3)
	v_add_f32_e32 v107, v107, v110
	v_dual_min_f32 v110, v111, v114 :: v_dual_min_f32 v111, v116, v115
	s_delay_alu instid0(VALU_DEP_4) | instskip(SKIP_1) | instid1(VALU_DEP_2)
	v_add_f32_e32 v108, v108, v112
	v_add_co_ci_u32_e32 v45, vcc_lo, v47, v45, vcc_lo
	v_dual_add_f32 v107, v107, v111 :: v_dual_add_f32 v108, v108, v110
	s_delay_alu instid0(VALU_DEP_1) | instskip(NEXT) | instid1(VALU_DEP_1)
	v_add_f32_e32 v107, v108, v107
	v_add_f32_e32 v107, v107, v109
	global_store_b32 v[44:45], v107, off
	s_or_b32 exec_lo, exec_lo, s15
	s_and_b32 s16, s4, s8
	s_delay_alu instid0(SALU_CYCLE_1)
	s_and_saveexec_b32 s15, s16
	s_cbranch_execz .LBB83_81
.LBB83_100:
	v_cmp_ne_u32_e32 vcc_lo, 1, v101
	v_lshlrev_b64 v[44:45], 2, v[56:57]
	s_cbranch_vccnz .LBB83_102
; %bb.101:
	s_delay_alu instid0(VALU_DEP_1) | instskip(NEXT) | instid1(VALU_DEP_2)
	v_add_co_u32 v107, vcc_lo, v64, v44
	v_add_co_ci_u32_e32 v108, vcc_lo, v65, v45, vcc_lo
	flat_load_b32 v107, v[107:108]
	s_waitcnt vmcnt(0) lgkmcnt(0)
	v_mul_f32_e32 v107, s20, v107
	s_branch .LBB83_103
.LBB83_102:
	v_mov_b32_e32 v107, 0
.LBB83_103:
	v_dual_max_f32 v108, v41, v41 :: v_dual_max_f32 v111, v16, v16
	v_dual_max_f32 v109, v17, v17 :: v_dual_max_f32 v110, v40, v40
	v_dual_max_f32 v112, v42, v42 :: v_dual_max_f32 v113, v43, v43
	v_add_co_u32 v44, vcc_lo, v46, v44
	s_delay_alu instid0(VALU_DEP_3) | instskip(SKIP_2) | instid1(VALU_DEP_3)
	v_dual_min_f32 v108, v109, v108 :: v_dual_max_f32 v109, v18, v18
	v_max_f32_e32 v114, v19, v19
	v_add_co_ci_u32_e32 v45, vcc_lo, v47, v45, vcc_lo
	v_dual_add_f32 v105, v105, v108 :: v_dual_min_f32 v110, v111, v110
	s_delay_alu instid0(VALU_DEP_3) | instskip(NEXT) | instid1(VALU_DEP_1)
	v_dual_min_f32 v108, v109, v112 :: v_dual_min_f32 v109, v114, v113
	v_dual_add_f32 v106, v106, v110 :: v_dual_add_f32 v105, v105, v109
	s_delay_alu instid0(VALU_DEP_1) | instskip(NEXT) | instid1(VALU_DEP_1)
	v_add_f32_e32 v106, v106, v108
	v_add_f32_e32 v105, v106, v105
	s_delay_alu instid0(VALU_DEP_1) | instskip(SKIP_3) | instid1(SALU_CYCLE_1)
	v_add_f32_e32 v105, v105, v107
	global_store_b32 v[44:45], v105, off
	s_or_b32 exec_lo, exec_lo, s15
	s_and_b32 s16, s5, s8
	s_and_saveexec_b32 s15, s16
	s_cbranch_execz .LBB83_82
.LBB83_104:
	v_cmp_ne_u32_e32 vcc_lo, 1, v101
	v_lshlrev_b64 v[44:45], 2, v[58:59]
	s_cbranch_vccnz .LBB83_106
; %bb.105:
	s_delay_alu instid0(VALU_DEP_1) | instskip(NEXT) | instid1(VALU_DEP_2)
	v_add_co_u32 v105, vcc_lo, v64, v44
	v_add_co_ci_u32_e32 v106, vcc_lo, v65, v45, vcc_lo
	flat_load_b32 v105, v[105:106]
	s_waitcnt vmcnt(0) lgkmcnt(0)
	v_mul_f32_e32 v105, s20, v105
	s_branch .LBB83_107
.LBB83_106:
	v_mov_b32_e32 v105, 0
.LBB83_107:
	v_dual_max_f32 v106, v41, v41 :: v_dual_max_f32 v109, v12, v12
	v_dual_max_f32 v107, v13, v13 :: v_dual_max_f32 v108, v40, v40
	;; [unrolled: 1-line block ×3, first 2 shown]
	v_max_f32_e32 v112, v15, v15
	s_delay_alu instid0(VALU_DEP_3) | instskip(NEXT) | instid1(VALU_DEP_4)
	v_min_f32_e32 v106, v107, v106
	v_dual_max_f32 v107, v14, v14 :: v_dual_min_f32 v108, v109, v108
	v_add_co_u32 v44, vcc_lo, v46, v44
	s_delay_alu instid0(VALU_DEP_3) | instskip(NEXT) | instid1(VALU_DEP_3)
	v_add_f32_e32 v104, v104, v106
	v_min_f32_e32 v106, v107, v110
	s_delay_alu instid0(VALU_DEP_4) | instskip(SKIP_2) | instid1(VALU_DEP_2)
	v_add_f32_e32 v103, v103, v108
	v_min_f32_e32 v107, v112, v111
	v_add_co_ci_u32_e32 v45, vcc_lo, v47, v45, vcc_lo
	v_dual_add_f32 v103, v103, v106 :: v_dual_add_f32 v104, v104, v107
	s_delay_alu instid0(VALU_DEP_1) | instskip(NEXT) | instid1(VALU_DEP_1)
	v_add_f32_e32 v103, v103, v104
	v_add_f32_e32 v103, v103, v105
	global_store_b32 v[44:45], v103, off
	s_or_b32 exec_lo, exec_lo, s15
	s_and_b32 s16, s6, s8
	s_delay_alu instid0(SALU_CYCLE_1)
	s_and_saveexec_b32 s15, s16
	s_cbranch_execz .LBB83_83
.LBB83_108:
	v_cmp_ne_u32_e32 vcc_lo, 1, v101
	v_lshlrev_b64 v[44:45], 2, v[60:61]
	s_cbranch_vccnz .LBB83_110
; %bb.109:
	s_delay_alu instid0(VALU_DEP_1) | instskip(NEXT) | instid1(VALU_DEP_2)
	v_add_co_u32 v103, vcc_lo, v64, v44
	v_add_co_ci_u32_e32 v104, vcc_lo, v65, v45, vcc_lo
	flat_load_b32 v103, v[103:104]
	s_waitcnt vmcnt(0) lgkmcnt(0)
	v_mul_f32_e32 v103, s20, v103
	s_branch .LBB83_111
.LBB83_110:
	v_mov_b32_e32 v103, 0
.LBB83_111:
	v_dual_max_f32 v104, v41, v41 :: v_dual_max_f32 v107, v8, v8
	v_dual_max_f32 v105, v9, v9 :: v_dual_max_f32 v106, v40, v40
	v_dual_max_f32 v108, v42, v42 :: v_dual_max_f32 v109, v43, v43
	v_max_f32_e32 v110, v11, v11
	s_delay_alu instid0(VALU_DEP_3) | instskip(NEXT) | instid1(VALU_DEP_4)
	v_dual_min_f32 v104, v105, v104 :: v_dual_max_f32 v105, v10, v10
	v_min_f32_e32 v106, v107, v106
	v_add_co_u32 v44, vcc_lo, v46, v44
	s_delay_alu instid0(VALU_DEP_3) | instskip(NEXT) | instid1(VALU_DEP_4)
	v_add_f32_e32 v100, v100, v104
	v_dual_min_f32 v104, v105, v108 :: v_dual_min_f32 v105, v110, v109
	s_delay_alu instid0(VALU_DEP_4) | instskip(SKIP_1) | instid1(VALU_DEP_3)
	v_add_f32_e32 v102, v102, v106
	v_add_co_ci_u32_e32 v45, vcc_lo, v47, v45, vcc_lo
	v_add_f32_e32 v100, v100, v105
	s_delay_alu instid0(VALU_DEP_3) | instskip(NEXT) | instid1(VALU_DEP_1)
	v_add_f32_e32 v102, v102, v104
	v_add_f32_e32 v100, v102, v100
	s_delay_alu instid0(VALU_DEP_1) | instskip(SKIP_3) | instid1(SALU_CYCLE_1)
	v_add_f32_e32 v100, v100, v103
	global_store_b32 v[44:45], v100, off
	s_or_b32 exec_lo, exec_lo, s15
	s_and_b32 s15, s7, s8
	s_and_saveexec_b32 s8, s15
	s_cbranch_execz .LBB83_116
.LBB83_112:
	v_cmp_ne_u32_e32 vcc_lo, 1, v101
	v_lshlrev_b64 v[44:45], 2, v[62:63]
	s_cbranch_vccnz .LBB83_114
; %bb.113:
	s_delay_alu instid0(VALU_DEP_1) | instskip(NEXT) | instid1(VALU_DEP_2)
	v_add_co_u32 v64, vcc_lo, v64, v44
	v_add_co_ci_u32_e32 v65, vcc_lo, v65, v45, vcc_lo
	flat_load_b32 v64, v[64:65]
	s_waitcnt vmcnt(0) lgkmcnt(0)
	v_mul_f32_e32 v64, s20, v64
	s_branch .LBB83_115
.LBB83_114:
	v_mov_b32_e32 v64, 0
.LBB83_115:
	v_dual_max_f32 v41, v41, v41 :: v_dual_max_f32 v40, v40, v40
	v_dual_max_f32 v65, v1, v1 :: v_dual_max_f32 v100, v0, v0
	;; [unrolled: 1-line block ×3, first 2 shown]
	s_delay_alu instid0(VALU_DEP_2) | instskip(NEXT) | instid1(VALU_DEP_3)
	v_dual_max_f32 v102, v3, v3 :: v_dual_min_f32 v41, v65, v41
	v_dual_min_f32 v40, v100, v40 :: v_dual_max_f32 v65, v2, v2
	s_delay_alu instid0(VALU_DEP_1) | instskip(NEXT) | instid1(VALU_DEP_2)
	v_dual_add_f32 v41, v99, v41 :: v_dual_min_f32 v42, v65, v42
	v_add_f32_e32 v40, v98, v40
	s_delay_alu instid0(VALU_DEP_1) | instskip(NEXT) | instid1(VALU_DEP_1)
	v_dual_min_f32 v43, v102, v43 :: v_dual_add_f32 v40, v40, v42
	v_add_f32_e32 v41, v41, v43
	s_delay_alu instid0(VALU_DEP_1) | instskip(NEXT) | instid1(VALU_DEP_1)
	v_add_f32_e32 v40, v40, v41
	v_add_f32_e32 v42, v40, v64
	v_add_co_u32 v40, vcc_lo, v46, v44
	v_add_co_ci_u32_e32 v41, vcc_lo, v47, v45, vcc_lo
	global_store_b32 v[40:41], v42, off
.LBB83_116:
	s_or_b32 exec_lo, exec_lo, s8
	v_add_nc_u32_e32 v44, 64, v117
	s_delay_alu instid0(VALU_DEP_1) | instskip(SKIP_2) | instid1(VALU_DEP_3)
	v_mad_i64_i32 v[40:41], null, v44, s12, 0
	v_mad_i64_i32 v[42:43], null, v44, s9, 0
	v_cmp_gt_i32_e64 s8, s17, v44
	v_lshlrev_b64 v[40:41], 2, v[40:41]
	s_delay_alu instid0(VALU_DEP_2) | instskip(NEXT) | instid1(VALU_DEP_3)
	s_and_b32 s16, s0, s8
	v_lshlrev_b64 v[42:43], 2, v[42:43]
	s_delay_alu instid0(VALU_DEP_2) | instskip(NEXT) | instid1(VALU_DEP_3)
	v_add_co_u32 v44, vcc_lo, s10, v40
	v_add_co_ci_u32_e32 v45, vcc_lo, s11, v41, vcc_lo
	s_delay_alu instid0(VALU_DEP_3) | instskip(NEXT) | instid1(VALU_DEP_4)
	v_add_co_u32 v42, vcc_lo, s13, v42
	v_add_co_ci_u32_e32 v43, vcc_lo, s14, v43, vcc_lo
	s_and_saveexec_b32 s15, s16
	s_cbranch_execnz .LBB83_124
; %bb.117:
	s_or_b32 exec_lo, exec_lo, s15
	s_and_b32 s16, s1, s8
	s_delay_alu instid0(SALU_CYCLE_1)
	s_and_saveexec_b32 s15, s16
	s_cbranch_execnz .LBB83_128
.LBB83_118:
	s_or_b32 exec_lo, exec_lo, s15
	s_and_b32 s16, s2, s8
	s_delay_alu instid0(SALU_CYCLE_1)
	s_and_saveexec_b32 s15, s16
	s_cbranch_execnz .LBB83_132
.LBB83_119:
	s_or_b32 exec_lo, exec_lo, s15
	s_and_b32 s16, s3, s8
	s_delay_alu instid0(SALU_CYCLE_1)
	s_and_saveexec_b32 s15, s16
	s_cbranch_execnz .LBB83_136
.LBB83_120:
	s_or_b32 exec_lo, exec_lo, s15
	s_and_b32 s16, s4, s8
	s_delay_alu instid0(SALU_CYCLE_1)
	s_and_saveexec_b32 s15, s16
	s_cbranch_execnz .LBB83_140
.LBB83_121:
	s_or_b32 exec_lo, exec_lo, s15
	s_and_b32 s16, s5, s8
	s_delay_alu instid0(SALU_CYCLE_1)
	s_and_saveexec_b32 s15, s16
	s_cbranch_execnz .LBB83_144
.LBB83_122:
	s_or_b32 exec_lo, exec_lo, s15
	s_and_b32 s16, s6, s8
	s_delay_alu instid0(SALU_CYCLE_1)
	s_and_saveexec_b32 s15, s16
	s_cbranch_execnz .LBB83_148
.LBB83_123:
	s_or_b32 exec_lo, exec_lo, s15
	s_and_b32 s15, s7, s8
	s_delay_alu instid0(SALU_CYCLE_1)
	s_and_saveexec_b32 s8, s15
	s_cbranch_execnz .LBB83_152
	s_branch .LBB83_156
.LBB83_124:
	v_cmp_ne_u32_e32 vcc_lo, 1, v101
	v_lshlrev_b64 v[40:41], 2, v[48:49]
	s_cbranch_vccnz .LBB83_126
; %bb.125:
	s_delay_alu instid0(VALU_DEP_1) | instskip(NEXT) | instid1(VALU_DEP_2)
	v_add_co_u32 v46, vcc_lo, v44, v40
	v_add_co_ci_u32_e32 v47, vcc_lo, v45, v41, vcc_lo
	flat_load_b32 v46, v[46:47]
	s_waitcnt vmcnt(0) lgkmcnt(0)
	v_mul_f32_e32 v46, s20, v46
	s_branch .LBB83_127
.LBB83_126:
	v_mov_b32_e32 v46, 0
.LBB83_127:
	v_dual_max_f32 v47, v37, v37 :: v_dual_max_f32 v98, v32, v32
	v_dual_max_f32 v64, v33, v33 :: v_dual_max_f32 v65, v36, v36
	v_dual_max_f32 v99, v38, v38 :: v_dual_max_f32 v100, v39, v39
	v_max_f32_e32 v102, v35, v35
	s_delay_alu instid0(VALU_DEP_3) | instskip(NEXT) | instid1(VALU_DEP_4)
	v_dual_min_f32 v47, v64, v47 :: v_dual_max_f32 v64, v34, v34
	v_min_f32_e32 v65, v98, v65
	v_add_co_u32 v40, vcc_lo, v42, v40
	s_delay_alu instid0(VALU_DEP_3) | instskip(NEXT) | instid1(VALU_DEP_4)
	v_add_f32_e32 v47, v97, v47
	v_dual_min_f32 v64, v64, v99 :: v_dual_min_f32 v97, v102, v100
	s_delay_alu instid0(VALU_DEP_4) | instskip(SKIP_1) | instid1(VALU_DEP_2)
	v_add_f32_e32 v65, v96, v65
	v_add_co_ci_u32_e32 v41, vcc_lo, v43, v41, vcc_lo
	v_dual_add_f32 v47, v47, v97 :: v_dual_add_f32 v64, v65, v64
	s_delay_alu instid0(VALU_DEP_1) | instskip(NEXT) | instid1(VALU_DEP_1)
	v_add_f32_e32 v47, v64, v47
	v_add_f32_e32 v46, v47, v46
	global_store_b32 v[40:41], v46, off
	s_or_b32 exec_lo, exec_lo, s15
	s_and_b32 s16, s1, s8
	s_delay_alu instid0(SALU_CYCLE_1)
	s_and_saveexec_b32 s15, s16
	s_cbranch_execz .LBB83_118
.LBB83_128:
	v_cmp_ne_u32_e32 vcc_lo, 1, v101
	v_lshlrev_b64 v[40:41], 2, v[50:51]
	s_cbranch_vccnz .LBB83_130
; %bb.129:
	s_delay_alu instid0(VALU_DEP_1) | instskip(NEXT) | instid1(VALU_DEP_2)
	v_add_co_u32 v46, vcc_lo, v44, v40
	v_add_co_ci_u32_e32 v47, vcc_lo, v45, v41, vcc_lo
	flat_load_b32 v46, v[46:47]
	s_waitcnt vmcnt(0) lgkmcnt(0)
	v_mul_f32_e32 v46, s20, v46
	s_branch .LBB83_131
.LBB83_130:
	v_mov_b32_e32 v46, 0
.LBB83_131:
	v_dual_max_f32 v47, v37, v37 :: v_dual_max_f32 v96, v28, v28
	v_dual_max_f32 v64, v29, v29 :: v_dual_max_f32 v65, v36, v36
	;; [unrolled: 1-line block ×3, first 2 shown]
	v_add_co_u32 v40, vcc_lo, v42, v40
	s_delay_alu instid0(VALU_DEP_3) | instskip(SKIP_2) | instid1(VALU_DEP_3)
	v_dual_min_f32 v47, v64, v47 :: v_dual_max_f32 v64, v30, v30
	v_max_f32_e32 v99, v31, v31
	v_add_co_ci_u32_e32 v41, vcc_lo, v43, v41, vcc_lo
	v_min_f32_e32 v64, v64, v97
	v_min_f32_e32 v65, v96, v65
	s_delay_alu instid0(VALU_DEP_4) | instskip(NEXT) | instid1(VALU_DEP_2)
	v_dual_add_f32 v47, v94, v47 :: v_dual_min_f32 v94, v99, v98
	v_add_f32_e32 v65, v95, v65
	s_delay_alu instid0(VALU_DEP_1) | instskip(NEXT) | instid1(VALU_DEP_1)
	v_dual_add_f32 v64, v65, v64 :: v_dual_add_f32 v47, v47, v94
	v_add_f32_e32 v47, v64, v47
	s_delay_alu instid0(VALU_DEP_1) | instskip(SKIP_3) | instid1(SALU_CYCLE_1)
	v_add_f32_e32 v46, v47, v46
	global_store_b32 v[40:41], v46, off
	s_or_b32 exec_lo, exec_lo, s15
	s_and_b32 s16, s2, s8
	s_and_saveexec_b32 s15, s16
	s_cbranch_execz .LBB83_119
.LBB83_132:
	v_cmp_ne_u32_e32 vcc_lo, 1, v101
	v_lshlrev_b64 v[40:41], 2, v[52:53]
	s_cbranch_vccnz .LBB83_134
; %bb.133:
	s_delay_alu instid0(VALU_DEP_1) | instskip(NEXT) | instid1(VALU_DEP_2)
	v_add_co_u32 v46, vcc_lo, v44, v40
	v_add_co_ci_u32_e32 v47, vcc_lo, v45, v41, vcc_lo
	flat_load_b32 v46, v[46:47]
	s_waitcnt vmcnt(0) lgkmcnt(0)
	v_mul_f32_e32 v46, s20, v46
	s_branch .LBB83_135
.LBB83_134:
	v_mov_b32_e32 v46, 0
.LBB83_135:
	v_dual_max_f32 v47, v37, v37 :: v_dual_max_f32 v94, v24, v24
	v_dual_max_f32 v64, v25, v25 :: v_dual_max_f32 v65, v36, v36
	;; [unrolled: 1-line block ×3, first 2 shown]
	v_add_co_u32 v40, vcc_lo, v42, v40
	s_delay_alu instid0(VALU_DEP_3) | instskip(NEXT) | instid1(VALU_DEP_4)
	v_dual_min_f32 v47, v64, v47 :: v_dual_max_f32 v64, v26, v26
	v_min_f32_e32 v65, v94, v65
	v_add_co_ci_u32_e32 v41, vcc_lo, v43, v41, vcc_lo
	s_delay_alu instid0(VALU_DEP_2) | instskip(NEXT) | instid1(VALU_DEP_1)
	v_dual_min_f32 v64, v64, v95 :: v_dual_add_f32 v65, v93, v65
	v_dual_max_f32 v97, v27, v27 :: v_dual_add_f32 v64, v65, v64
	s_delay_alu instid0(VALU_DEP_1) | instskip(NEXT) | instid1(VALU_DEP_1)
	v_dual_add_f32 v47, v92, v47 :: v_dual_min_f32 v92, v97, v96
	v_add_f32_e32 v47, v47, v92
	s_delay_alu instid0(VALU_DEP_1) | instskip(NEXT) | instid1(VALU_DEP_1)
	v_add_f32_e32 v47, v64, v47
	v_add_f32_e32 v46, v47, v46
	global_store_b32 v[40:41], v46, off
	s_or_b32 exec_lo, exec_lo, s15
	s_and_b32 s16, s3, s8
	s_delay_alu instid0(SALU_CYCLE_1)
	s_and_saveexec_b32 s15, s16
	s_cbranch_execz .LBB83_120
.LBB83_136:
	v_cmp_ne_u32_e32 vcc_lo, 1, v101
	v_lshlrev_b64 v[40:41], 2, v[54:55]
	s_cbranch_vccnz .LBB83_138
; %bb.137:
	s_delay_alu instid0(VALU_DEP_1) | instskip(NEXT) | instid1(VALU_DEP_2)
	v_add_co_u32 v46, vcc_lo, v44, v40
	v_add_co_ci_u32_e32 v47, vcc_lo, v45, v41, vcc_lo
	flat_load_b32 v46, v[46:47]
	s_waitcnt vmcnt(0) lgkmcnt(0)
	v_mul_f32_e32 v46, s20, v46
	s_branch .LBB83_139
.LBB83_138:
	v_mov_b32_e32 v46, 0
.LBB83_139:
	v_dual_max_f32 v47, v37, v37 :: v_dual_max_f32 v92, v20, v20
	v_dual_max_f32 v64, v21, v21 :: v_dual_max_f32 v65, v36, v36
	;; [unrolled: 1-line block ×3, first 2 shown]
	v_add_co_u32 v40, vcc_lo, v42, v40
	s_delay_alu instid0(VALU_DEP_3) | instskip(SKIP_2) | instid1(VALU_DEP_3)
	v_dual_min_f32 v47, v64, v47 :: v_dual_max_f32 v64, v22, v22
	v_max_f32_e32 v95, v23, v23
	v_add_co_ci_u32_e32 v41, vcc_lo, v43, v41, vcc_lo
	v_min_f32_e32 v64, v64, v93
	v_min_f32_e32 v65, v92, v65
	s_delay_alu instid0(VALU_DEP_4) | instskip(NEXT) | instid1(VALU_DEP_2)
	v_dual_add_f32 v47, v90, v47 :: v_dual_min_f32 v90, v95, v94
	v_add_f32_e32 v65, v91, v65
	s_delay_alu instid0(VALU_DEP_1) | instskip(NEXT) | instid1(VALU_DEP_1)
	v_dual_add_f32 v64, v65, v64 :: v_dual_add_f32 v47, v47, v90
	v_add_f32_e32 v47, v64, v47
	s_delay_alu instid0(VALU_DEP_1) | instskip(SKIP_3) | instid1(SALU_CYCLE_1)
	v_add_f32_e32 v46, v47, v46
	global_store_b32 v[40:41], v46, off
	s_or_b32 exec_lo, exec_lo, s15
	s_and_b32 s16, s4, s8
	s_and_saveexec_b32 s15, s16
	s_cbranch_execz .LBB83_121
.LBB83_140:
	v_cmp_ne_u32_e32 vcc_lo, 1, v101
	v_lshlrev_b64 v[40:41], 2, v[56:57]
	s_cbranch_vccnz .LBB83_142
; %bb.141:
	s_delay_alu instid0(VALU_DEP_1) | instskip(NEXT) | instid1(VALU_DEP_2)
	v_add_co_u32 v46, vcc_lo, v44, v40
	v_add_co_ci_u32_e32 v47, vcc_lo, v45, v41, vcc_lo
	flat_load_b32 v46, v[46:47]
	s_waitcnt vmcnt(0) lgkmcnt(0)
	v_mul_f32_e32 v46, s20, v46
	s_branch .LBB83_143
.LBB83_142:
	v_mov_b32_e32 v46, 0
.LBB83_143:
	v_dual_max_f32 v47, v37, v37 :: v_dual_max_f32 v90, v16, v16
	v_dual_max_f32 v64, v17, v17 :: v_dual_max_f32 v65, v36, v36
	;; [unrolled: 1-line block ×3, first 2 shown]
	v_add_co_u32 v40, vcc_lo, v42, v40
	s_delay_alu instid0(VALU_DEP_3) | instskip(NEXT) | instid1(VALU_DEP_4)
	v_dual_min_f32 v47, v64, v47 :: v_dual_max_f32 v64, v18, v18
	v_min_f32_e32 v65, v90, v65
	v_add_co_ci_u32_e32 v41, vcc_lo, v43, v41, vcc_lo
	s_delay_alu instid0(VALU_DEP_3) | instskip(NEXT) | instid1(VALU_DEP_4)
	v_add_f32_e32 v47, v89, v47
	v_min_f32_e32 v64, v64, v91
	s_delay_alu instid0(VALU_DEP_4) | instskip(NEXT) | instid1(VALU_DEP_1)
	v_add_f32_e32 v65, v88, v65
	v_dual_max_f32 v93, v19, v19 :: v_dual_add_f32 v64, v65, v64
	s_delay_alu instid0(VALU_DEP_1) | instskip(NEXT) | instid1(VALU_DEP_1)
	v_min_f32_e32 v89, v93, v92
	v_add_f32_e32 v47, v47, v89
	s_delay_alu instid0(VALU_DEP_1) | instskip(NEXT) | instid1(VALU_DEP_1)
	v_add_f32_e32 v47, v64, v47
	v_add_f32_e32 v46, v47, v46
	global_store_b32 v[40:41], v46, off
	s_or_b32 exec_lo, exec_lo, s15
	s_and_b32 s16, s5, s8
	s_delay_alu instid0(SALU_CYCLE_1)
	s_and_saveexec_b32 s15, s16
	s_cbranch_execz .LBB83_122
.LBB83_144:
	v_cmp_ne_u32_e32 vcc_lo, 1, v101
	v_lshlrev_b64 v[40:41], 2, v[58:59]
	s_cbranch_vccnz .LBB83_146
; %bb.145:
	s_delay_alu instid0(VALU_DEP_1) | instskip(NEXT) | instid1(VALU_DEP_2)
	v_add_co_u32 v46, vcc_lo, v44, v40
	v_add_co_ci_u32_e32 v47, vcc_lo, v45, v41, vcc_lo
	flat_load_b32 v46, v[46:47]
	s_waitcnt vmcnt(0) lgkmcnt(0)
	v_mul_f32_e32 v46, s20, v46
	s_branch .LBB83_147
.LBB83_146:
	v_mov_b32_e32 v46, 0
.LBB83_147:
	v_dual_max_f32 v47, v37, v37 :: v_dual_max_f32 v88, v12, v12
	v_dual_max_f32 v64, v13, v13 :: v_dual_max_f32 v65, v36, v36
	;; [unrolled: 1-line block ×3, first 2 shown]
	v_add_co_u32 v40, vcc_lo, v42, v40
	s_delay_alu instid0(VALU_DEP_3) | instskip(SKIP_3) | instid1(VALU_DEP_4)
	v_dual_min_f32 v47, v64, v47 :: v_dual_max_f32 v64, v14, v14
	v_max_f32_e32 v91, v15, v15
	v_min_f32_e32 v65, v88, v65
	v_add_co_ci_u32_e32 v41, vcc_lo, v43, v41, vcc_lo
	v_min_f32_e32 v64, v64, v89
	s_delay_alu instid0(VALU_DEP_3) | instskip(SKIP_1) | instid1(VALU_DEP_2)
	v_add_f32_e32 v65, v86, v65
	v_add_f32_e32 v47, v87, v47
	v_dual_min_f32 v87, v91, v90 :: v_dual_add_f32 v64, v65, v64
	s_delay_alu instid0(VALU_DEP_1) | instskip(NEXT) | instid1(VALU_DEP_1)
	v_add_f32_e32 v47, v47, v87
	v_add_f32_e32 v47, v64, v47
	s_delay_alu instid0(VALU_DEP_1) | instskip(SKIP_3) | instid1(SALU_CYCLE_1)
	v_add_f32_e32 v46, v47, v46
	global_store_b32 v[40:41], v46, off
	s_or_b32 exec_lo, exec_lo, s15
	s_and_b32 s16, s6, s8
	s_and_saveexec_b32 s15, s16
	s_cbranch_execz .LBB83_123
.LBB83_148:
	v_cmp_ne_u32_e32 vcc_lo, 1, v101
	v_lshlrev_b64 v[40:41], 2, v[60:61]
	s_cbranch_vccnz .LBB83_150
; %bb.149:
	s_delay_alu instid0(VALU_DEP_1) | instskip(NEXT) | instid1(VALU_DEP_2)
	v_add_co_u32 v46, vcc_lo, v44, v40
	v_add_co_ci_u32_e32 v47, vcc_lo, v45, v41, vcc_lo
	flat_load_b32 v46, v[46:47]
	s_waitcnt vmcnt(0) lgkmcnt(0)
	v_mul_f32_e32 v46, s20, v46
	s_branch .LBB83_151
.LBB83_150:
	v_mov_b32_e32 v46, 0
.LBB83_151:
	v_dual_max_f32 v47, v37, v37 :: v_dual_max_f32 v86, v8, v8
	v_dual_max_f32 v64, v9, v9 :: v_dual_max_f32 v65, v36, v36
	;; [unrolled: 1-line block ×3, first 2 shown]
	v_add_co_u32 v40, vcc_lo, v42, v40
	s_delay_alu instid0(VALU_DEP_3) | instskip(NEXT) | instid1(VALU_DEP_4)
	v_dual_min_f32 v47, v64, v47 :: v_dual_max_f32 v64, v10, v10
	v_min_f32_e32 v65, v86, v65
	v_add_co_ci_u32_e32 v41, vcc_lo, v43, v41, vcc_lo
	s_delay_alu instid0(VALU_DEP_2) | instskip(NEXT) | instid1(VALU_DEP_1)
	v_dual_min_f32 v64, v64, v87 :: v_dual_add_f32 v65, v85, v65
	v_dual_max_f32 v89, v11, v11 :: v_dual_add_f32 v64, v65, v64
	s_delay_alu instid0(VALU_DEP_1) | instskip(NEXT) | instid1(VALU_DEP_1)
	v_dual_add_f32 v47, v84, v47 :: v_dual_min_f32 v84, v89, v88
	v_add_f32_e32 v47, v47, v84
	s_delay_alu instid0(VALU_DEP_1) | instskip(NEXT) | instid1(VALU_DEP_1)
	v_add_f32_e32 v47, v64, v47
	v_add_f32_e32 v46, v47, v46
	global_store_b32 v[40:41], v46, off
	s_or_b32 exec_lo, exec_lo, s15
	s_and_b32 s15, s7, s8
	s_delay_alu instid0(SALU_CYCLE_1)
	s_and_saveexec_b32 s8, s15
	s_cbranch_execz .LBB83_156
.LBB83_152:
	v_cmp_ne_u32_e32 vcc_lo, 1, v101
	v_lshlrev_b64 v[40:41], 2, v[62:63]
	s_cbranch_vccnz .LBB83_154
; %bb.153:
	s_delay_alu instid0(VALU_DEP_1) | instskip(NEXT) | instid1(VALU_DEP_2)
	v_add_co_u32 v44, vcc_lo, v44, v40
	v_add_co_ci_u32_e32 v45, vcc_lo, v45, v41, vcc_lo
	flat_load_b32 v44, v[44:45]
	s_waitcnt vmcnt(0) lgkmcnt(0)
	v_mul_f32_e32 v44, s20, v44
	s_branch .LBB83_155
.LBB83_154:
	v_mov_b32_e32 v44, 0
.LBB83_155:
	v_dual_max_f32 v37, v37, v37 :: v_dual_max_f32 v36, v36, v36
	v_dual_max_f32 v45, v1, v1 :: v_dual_max_f32 v46, v0, v0
	;; [unrolled: 1-line block ×3, first 2 shown]
	s_delay_alu instid0(VALU_DEP_2) | instskip(SKIP_1) | instid1(VALU_DEP_2)
	v_dual_min_f32 v37, v45, v37 :: v_dual_min_f32 v36, v46, v36
	v_max_f32_e32 v47, v3, v3
	v_dual_add_f32 v37, v83, v37 :: v_dual_add_f32 v36, v82, v36
	s_delay_alu instid0(VALU_DEP_2) | instskip(NEXT) | instid1(VALU_DEP_1)
	v_min_f32_e32 v39, v47, v39
	v_add_f32_e32 v37, v37, v39
	v_max_f32_e32 v45, v2, v2
	s_delay_alu instid0(VALU_DEP_1) | instskip(NEXT) | instid1(VALU_DEP_1)
	v_min_f32_e32 v38, v45, v38
	v_add_f32_e32 v36, v36, v38
	s_delay_alu instid0(VALU_DEP_1) | instskip(NEXT) | instid1(VALU_DEP_1)
	v_add_f32_e32 v36, v36, v37
	v_add_f32_e32 v38, v36, v44
	v_add_co_u32 v36, vcc_lo, v42, v40
	v_add_co_ci_u32_e32 v37, vcc_lo, v43, v41, vcc_lo
	global_store_b32 v[36:37], v38, off
.LBB83_156:
	s_or_b32 exec_lo, exec_lo, s8
	v_add_nc_u32_e32 v40, 0x60, v117
	s_delay_alu instid0(VALU_DEP_1) | instskip(SKIP_2) | instid1(VALU_DEP_3)
	v_mad_i64_i32 v[36:37], null, v40, s12, 0
	v_mad_i64_i32 v[38:39], null, v40, s9, 0
	v_cmp_gt_i32_e64 s8, s17, v40
	v_lshlrev_b64 v[36:37], 2, v[36:37]
	s_delay_alu instid0(VALU_DEP_2) | instskip(NEXT) | instid1(VALU_DEP_3)
	s_and_b32 s9, s0, s8
	v_lshlrev_b64 v[38:39], 2, v[38:39]
	s_delay_alu instid0(VALU_DEP_2) | instskip(NEXT) | instid1(VALU_DEP_3)
	v_add_co_u32 v40, vcc_lo, s10, v36
	v_add_co_ci_u32_e32 v41, vcc_lo, s11, v37, vcc_lo
	s_delay_alu instid0(VALU_DEP_3) | instskip(NEXT) | instid1(VALU_DEP_4)
	v_add_co_u32 v38, vcc_lo, s13, v38
	v_add_co_ci_u32_e32 v39, vcc_lo, s14, v39, vcc_lo
	s_and_saveexec_b32 s0, s9
	s_cbranch_execnz .LBB83_165
; %bb.157:
	s_or_b32 exec_lo, exec_lo, s0
	s_and_b32 s1, s1, s8
	s_delay_alu instid0(SALU_CYCLE_1)
	s_and_saveexec_b32 s0, s1
	s_cbranch_execnz .LBB83_169
.LBB83_158:
	s_or_b32 exec_lo, exec_lo, s0
	s_and_b32 s1, s2, s8
	s_delay_alu instid0(SALU_CYCLE_1)
	s_and_saveexec_b32 s0, s1
	s_cbranch_execnz .LBB83_173
.LBB83_159:
	s_or_b32 exec_lo, exec_lo, s0
	s_and_b32 s1, s3, s8
	s_delay_alu instid0(SALU_CYCLE_1)
	s_and_saveexec_b32 s0, s1
	s_cbranch_execnz .LBB83_177
.LBB83_160:
	s_or_b32 exec_lo, exec_lo, s0
	s_and_b32 s1, s4, s8
	s_delay_alu instid0(SALU_CYCLE_1)
	s_and_saveexec_b32 s0, s1
	s_cbranch_execnz .LBB83_181
.LBB83_161:
	s_or_b32 exec_lo, exec_lo, s0
	s_and_b32 s1, s5, s8
	s_delay_alu instid0(SALU_CYCLE_1)
	s_and_saveexec_b32 s0, s1
	s_cbranch_execnz .LBB83_185
.LBB83_162:
	s_or_b32 exec_lo, exec_lo, s0
	s_and_b32 s1, s6, s8
	s_delay_alu instid0(SALU_CYCLE_1)
	s_and_saveexec_b32 s0, s1
	s_cbranch_execnz .LBB83_189
.LBB83_163:
	s_or_b32 exec_lo, exec_lo, s0
	s_and_b32 s0, s7, s8
	s_delay_alu instid0(SALU_CYCLE_1)
	s_and_saveexec_b32 s1, s0
	s_cbranch_execnz .LBB83_193
.LBB83_164:
	s_nop 0
	s_sendmsg sendmsg(MSG_DEALLOC_VGPRS)
	s_endpgm
.LBB83_165:
	v_cmp_ne_u32_e32 vcc_lo, 1, v101
	v_lshlrev_b64 v[36:37], 2, v[48:49]
	s_cbranch_vccnz .LBB83_167
; %bb.166:
	s_delay_alu instid0(VALU_DEP_1) | instskip(NEXT) | instid1(VALU_DEP_2)
	v_add_co_u32 v42, vcc_lo, v40, v36
	v_add_co_ci_u32_e32 v43, vcc_lo, v41, v37, vcc_lo
	flat_load_b32 v42, v[42:43]
	s_waitcnt vmcnt(0) lgkmcnt(0)
	v_mul_f32_e32 v42, s20, v42
	s_branch .LBB83_168
.LBB83_167:
	v_mov_b32_e32 v42, 0
.LBB83_168:
	v_dual_max_f32 v43, v5, v5 :: v_dual_max_f32 v44, v4, v4
	v_dual_max_f32 v33, v33, v33 :: v_dual_max_f32 v32, v32, v32
	v_max_f32_e32 v45, v6, v6
	s_delay_alu instid0(VALU_DEP_2) | instskip(NEXT) | instid1(VALU_DEP_3)
	v_dual_max_f32 v34, v34, v34 :: v_dual_min_f32 v33, v33, v43
	v_dual_min_f32 v32, v32, v44 :: v_dual_max_f32 v43, v7, v7
	s_delay_alu instid0(VALU_DEP_2) | instskip(NEXT) | instid1(VALU_DEP_2)
	v_dual_min_f32 v34, v34, v45 :: v_dual_max_f32 v35, v35, v35
	v_dual_add_f32 v33, v80, v33 :: v_dual_add_f32 v32, v81, v32
	s_delay_alu instid0(VALU_DEP_1) | instskip(NEXT) | instid1(VALU_DEP_1)
	v_dual_min_f32 v35, v35, v43 :: v_dual_add_f32 v32, v32, v34
	v_add_f32_e32 v33, v33, v35
	s_delay_alu instid0(VALU_DEP_1) | instskip(NEXT) | instid1(VALU_DEP_1)
	v_add_f32_e32 v32, v32, v33
	v_add_f32_e32 v34, v32, v42
	v_add_co_u32 v32, vcc_lo, v38, v36
	v_add_co_ci_u32_e32 v33, vcc_lo, v39, v37, vcc_lo
	global_store_b32 v[32:33], v34, off
	s_or_b32 exec_lo, exec_lo, s0
	s_and_b32 s1, s1, s8
	s_delay_alu instid0(SALU_CYCLE_1)
	s_and_saveexec_b32 s0, s1
	s_cbranch_execz .LBB83_158
.LBB83_169:
	v_cmp_ne_u32_e32 vcc_lo, 1, v101
	v_lshlrev_b64 v[32:33], 2, v[50:51]
	s_cbranch_vccnz .LBB83_171
; %bb.170:
	s_delay_alu instid0(VALU_DEP_1) | instskip(NEXT) | instid1(VALU_DEP_2)
	v_add_co_u32 v34, vcc_lo, v40, v32
	v_add_co_ci_u32_e32 v35, vcc_lo, v41, v33, vcc_lo
	flat_load_b32 v34, v[34:35]
	s_waitcnt vmcnt(0) lgkmcnt(0)
	v_mul_f32_e32 v34, s20, v34
	s_branch .LBB83_172
.LBB83_171:
	v_mov_b32_e32 v34, 0
.LBB83_172:
	v_dual_max_f32 v35, v5, v5 :: v_dual_max_f32 v36, v4, v4
	v_dual_max_f32 v29, v29, v29 :: v_dual_max_f32 v28, v28, v28
	v_max_f32_e32 v37, v6, v6
	s_delay_alu instid0(VALU_DEP_2) | instskip(NEXT) | instid1(VALU_DEP_3)
	v_dual_max_f32 v30, v30, v30 :: v_dual_min_f32 v29, v29, v35
	v_dual_min_f32 v28, v28, v36 :: v_dual_max_f32 v35, v7, v7
	s_delay_alu instid0(VALU_DEP_2) | instskip(NEXT) | instid1(VALU_DEP_2)
	v_dual_min_f32 v30, v30, v37 :: v_dual_max_f32 v31, v31, v31
	v_dual_add_f32 v28, v78, v28 :: v_dual_add_f32 v29, v79, v29
	s_delay_alu instid0(VALU_DEP_1) | instskip(NEXT) | instid1(VALU_DEP_1)
	v_dual_add_f32 v28, v28, v30 :: v_dual_min_f32 v31, v31, v35
	v_add_f32_e32 v29, v29, v31
	s_delay_alu instid0(VALU_DEP_1) | instskip(NEXT) | instid1(VALU_DEP_1)
	v_add_f32_e32 v28, v28, v29
	v_add_f32_e32 v30, v28, v34
	v_add_co_u32 v28, vcc_lo, v38, v32
	v_add_co_ci_u32_e32 v29, vcc_lo, v39, v33, vcc_lo
	global_store_b32 v[28:29], v30, off
	s_or_b32 exec_lo, exec_lo, s0
	s_and_b32 s1, s2, s8
	s_delay_alu instid0(SALU_CYCLE_1)
	s_and_saveexec_b32 s0, s1
	s_cbranch_execz .LBB83_159
.LBB83_173:
	v_cmp_ne_u32_e32 vcc_lo, 1, v101
	v_lshlrev_b64 v[28:29], 2, v[52:53]
	s_cbranch_vccnz .LBB83_175
; %bb.174:
	s_delay_alu instid0(VALU_DEP_1) | instskip(NEXT) | instid1(VALU_DEP_2)
	v_add_co_u32 v30, vcc_lo, v40, v28
	v_add_co_ci_u32_e32 v31, vcc_lo, v41, v29, vcc_lo
	flat_load_b32 v30, v[30:31]
	s_waitcnt vmcnt(0) lgkmcnt(0)
	v_mul_f32_e32 v30, s20, v30
	s_branch .LBB83_176
.LBB83_175:
	v_mov_b32_e32 v30, 0
.LBB83_176:
	v_dual_max_f32 v31, v5, v5 :: v_dual_max_f32 v32, v4, v4
	v_dual_max_f32 v25, v25, v25 :: v_dual_max_f32 v24, v24, v24
	v_max_f32_e32 v33, v6, v6
	s_delay_alu instid0(VALU_DEP_2) | instskip(NEXT) | instid1(VALU_DEP_3)
	v_dual_max_f32 v26, v26, v26 :: v_dual_min_f32 v25, v25, v31
	v_dual_min_f32 v24, v24, v32 :: v_dual_max_f32 v31, v7, v7
	s_delay_alu instid0(VALU_DEP_2) | instskip(NEXT) | instid1(VALU_DEP_2)
	v_dual_min_f32 v26, v26, v33 :: v_dual_max_f32 v27, v27, v27
	v_dual_add_f32 v25, v76, v25 :: v_dual_add_f32 v24, v77, v24
	s_delay_alu instid0(VALU_DEP_1) | instskip(NEXT) | instid1(VALU_DEP_1)
	v_dual_min_f32 v27, v27, v31 :: v_dual_add_f32 v24, v24, v26
	v_add_f32_e32 v25, v25, v27
	s_delay_alu instid0(VALU_DEP_1) | instskip(NEXT) | instid1(VALU_DEP_1)
	v_add_f32_e32 v24, v24, v25
	v_add_f32_e32 v26, v24, v30
	v_add_co_u32 v24, vcc_lo, v38, v28
	v_add_co_ci_u32_e32 v25, vcc_lo, v39, v29, vcc_lo
	global_store_b32 v[24:25], v26, off
	s_or_b32 exec_lo, exec_lo, s0
	s_and_b32 s1, s3, s8
	s_delay_alu instid0(SALU_CYCLE_1)
	s_and_saveexec_b32 s0, s1
	s_cbranch_execz .LBB83_160
.LBB83_177:
	v_cmp_ne_u32_e32 vcc_lo, 1, v101
	v_lshlrev_b64 v[24:25], 2, v[54:55]
	s_cbranch_vccnz .LBB83_179
; %bb.178:
	s_delay_alu instid0(VALU_DEP_1) | instskip(NEXT) | instid1(VALU_DEP_2)
	v_add_co_u32 v26, vcc_lo, v40, v24
	v_add_co_ci_u32_e32 v27, vcc_lo, v41, v25, vcc_lo
	flat_load_b32 v26, v[26:27]
	s_waitcnt vmcnt(0) lgkmcnt(0)
	v_mul_f32_e32 v26, s20, v26
	s_branch .LBB83_180
.LBB83_179:
	v_mov_b32_e32 v26, 0
.LBB83_180:
	v_dual_max_f32 v27, v5, v5 :: v_dual_max_f32 v28, v4, v4
	v_dual_max_f32 v21, v21, v21 :: v_dual_max_f32 v20, v20, v20
	v_max_f32_e32 v29, v6, v6
	s_delay_alu instid0(VALU_DEP_2) | instskip(NEXT) | instid1(VALU_DEP_3)
	v_dual_max_f32 v22, v22, v22 :: v_dual_min_f32 v21, v21, v27
	v_dual_min_f32 v20, v20, v28 :: v_dual_max_f32 v27, v7, v7
	s_delay_alu instid0(VALU_DEP_2) | instskip(NEXT) | instid1(VALU_DEP_2)
	v_min_f32_e32 v22, v22, v29
	v_dual_add_f32 v21, v74, v21 :: v_dual_add_f32 v20, v75, v20
	s_delay_alu instid0(VALU_DEP_1) | instskip(NEXT) | instid1(VALU_DEP_1)
	v_dual_max_f32 v23, v23, v23 :: v_dual_add_f32 v20, v20, v22
	v_min_f32_e32 v23, v23, v27
	s_delay_alu instid0(VALU_DEP_1) | instskip(NEXT) | instid1(VALU_DEP_1)
	v_add_f32_e32 v21, v21, v23
	v_add_f32_e32 v20, v20, v21
	s_delay_alu instid0(VALU_DEP_1)
	v_add_f32_e32 v22, v20, v26
	v_add_co_u32 v20, vcc_lo, v38, v24
	v_add_co_ci_u32_e32 v21, vcc_lo, v39, v25, vcc_lo
	global_store_b32 v[20:21], v22, off
	s_or_b32 exec_lo, exec_lo, s0
	s_and_b32 s1, s4, s8
	s_delay_alu instid0(SALU_CYCLE_1)
	s_and_saveexec_b32 s0, s1
	s_cbranch_execz .LBB83_161
.LBB83_181:
	v_cmp_ne_u32_e32 vcc_lo, 1, v101
	v_lshlrev_b64 v[20:21], 2, v[56:57]
	s_cbranch_vccnz .LBB83_183
; %bb.182:
	s_delay_alu instid0(VALU_DEP_1) | instskip(NEXT) | instid1(VALU_DEP_2)
	v_add_co_u32 v22, vcc_lo, v40, v20
	v_add_co_ci_u32_e32 v23, vcc_lo, v41, v21, vcc_lo
	flat_load_b32 v22, v[22:23]
	s_waitcnt vmcnt(0) lgkmcnt(0)
	v_mul_f32_e32 v22, s20, v22
	s_branch .LBB83_184
.LBB83_183:
	v_mov_b32_e32 v22, 0
.LBB83_184:
	v_dual_max_f32 v23, v5, v5 :: v_dual_max_f32 v24, v4, v4
	v_dual_max_f32 v17, v17, v17 :: v_dual_max_f32 v16, v16, v16
	v_max_f32_e32 v25, v6, v6
	s_delay_alu instid0(VALU_DEP_2) | instskip(NEXT) | instid1(VALU_DEP_3)
	v_dual_max_f32 v18, v18, v18 :: v_dual_min_f32 v17, v17, v23
	v_dual_min_f32 v16, v16, v24 :: v_dual_max_f32 v23, v7, v7
	s_delay_alu instid0(VALU_DEP_2) | instskip(NEXT) | instid1(VALU_DEP_2)
	v_dual_min_f32 v18, v18, v25 :: v_dual_max_f32 v19, v19, v19
	v_dual_add_f32 v16, v72, v16 :: v_dual_add_f32 v17, v73, v17
	s_delay_alu instid0(VALU_DEP_1) | instskip(NEXT) | instid1(VALU_DEP_1)
	v_dual_add_f32 v16, v16, v18 :: v_dual_min_f32 v19, v19, v23
	v_add_f32_e32 v17, v17, v19
	s_delay_alu instid0(VALU_DEP_1) | instskip(NEXT) | instid1(VALU_DEP_1)
	v_add_f32_e32 v16, v16, v17
	v_add_f32_e32 v18, v16, v22
	v_add_co_u32 v16, vcc_lo, v38, v20
	v_add_co_ci_u32_e32 v17, vcc_lo, v39, v21, vcc_lo
	global_store_b32 v[16:17], v18, off
	s_or_b32 exec_lo, exec_lo, s0
	s_and_b32 s1, s5, s8
	s_delay_alu instid0(SALU_CYCLE_1)
	s_and_saveexec_b32 s0, s1
	s_cbranch_execz .LBB83_162
.LBB83_185:
	v_cmp_ne_u32_e32 vcc_lo, 1, v101
	v_lshlrev_b64 v[16:17], 2, v[58:59]
	s_cbranch_vccnz .LBB83_187
; %bb.186:
	s_delay_alu instid0(VALU_DEP_1) | instskip(NEXT) | instid1(VALU_DEP_2)
	v_add_co_u32 v18, vcc_lo, v40, v16
	v_add_co_ci_u32_e32 v19, vcc_lo, v41, v17, vcc_lo
	flat_load_b32 v18, v[18:19]
	s_waitcnt vmcnt(0) lgkmcnt(0)
	v_mul_f32_e32 v18, s20, v18
	s_branch .LBB83_188
.LBB83_187:
	v_mov_b32_e32 v18, 0
.LBB83_188:
	v_dual_max_f32 v19, v5, v5 :: v_dual_max_f32 v20, v4, v4
	v_dual_max_f32 v13, v13, v13 :: v_dual_max_f32 v12, v12, v12
	v_max_f32_e32 v21, v6, v6
	s_delay_alu instid0(VALU_DEP_2) | instskip(NEXT) | instid1(VALU_DEP_3)
	v_dual_max_f32 v14, v14, v14 :: v_dual_min_f32 v13, v13, v19
	v_dual_min_f32 v12, v12, v20 :: v_dual_max_f32 v19, v7, v7
	s_delay_alu instid0(VALU_DEP_2) | instskip(NEXT) | instid1(VALU_DEP_2)
	v_min_f32_e32 v14, v14, v21
	v_dual_add_f32 v13, v70, v13 :: v_dual_add_f32 v12, v71, v12
	s_delay_alu instid0(VALU_DEP_1) | instskip(NEXT) | instid1(VALU_DEP_1)
	v_dual_max_f32 v15, v15, v15 :: v_dual_add_f32 v12, v12, v14
	v_min_f32_e32 v15, v15, v19
	s_delay_alu instid0(VALU_DEP_1) | instskip(NEXT) | instid1(VALU_DEP_1)
	v_add_f32_e32 v13, v13, v15
	v_add_f32_e32 v12, v12, v13
	s_delay_alu instid0(VALU_DEP_1)
	v_add_f32_e32 v14, v12, v18
	v_add_co_u32 v12, vcc_lo, v38, v16
	v_add_co_ci_u32_e32 v13, vcc_lo, v39, v17, vcc_lo
	global_store_b32 v[12:13], v14, off
	s_or_b32 exec_lo, exec_lo, s0
	s_and_b32 s1, s6, s8
	s_delay_alu instid0(SALU_CYCLE_1)
	s_and_saveexec_b32 s0, s1
	s_cbranch_execz .LBB83_163
.LBB83_189:
	v_cmp_ne_u32_e32 vcc_lo, 1, v101
	v_lshlrev_b64 v[12:13], 2, v[60:61]
	s_cbranch_vccnz .LBB83_191
; %bb.190:
	s_delay_alu instid0(VALU_DEP_1) | instskip(NEXT) | instid1(VALU_DEP_2)
	v_add_co_u32 v14, vcc_lo, v40, v12
	v_add_co_ci_u32_e32 v15, vcc_lo, v41, v13, vcc_lo
	flat_load_b32 v14, v[14:15]
	s_waitcnt vmcnt(0) lgkmcnt(0)
	v_mul_f32_e32 v14, s20, v14
	s_branch .LBB83_192
.LBB83_191:
	v_mov_b32_e32 v14, 0
.LBB83_192:
	v_dual_max_f32 v15, v5, v5 :: v_dual_max_f32 v16, v4, v4
	v_dual_max_f32 v9, v9, v9 :: v_dual_max_f32 v8, v8, v8
	v_max_f32_e32 v17, v6, v6
	s_delay_alu instid0(VALU_DEP_2) | instskip(NEXT) | instid1(VALU_DEP_3)
	v_dual_max_f32 v10, v10, v10 :: v_dual_min_f32 v9, v9, v15
	v_dual_min_f32 v8, v8, v16 :: v_dual_max_f32 v15, v7, v7
	s_delay_alu instid0(VALU_DEP_2) | instskip(NEXT) | instid1(VALU_DEP_2)
	v_dual_min_f32 v10, v10, v17 :: v_dual_max_f32 v11, v11, v11
	v_dual_add_f32 v8, v68, v8 :: v_dual_add_f32 v9, v69, v9
	s_delay_alu instid0(VALU_DEP_1) | instskip(NEXT) | instid1(VALU_DEP_1)
	v_dual_add_f32 v8, v8, v10 :: v_dual_min_f32 v11, v11, v15
	v_add_f32_e32 v9, v9, v11
	s_delay_alu instid0(VALU_DEP_1) | instskip(NEXT) | instid1(VALU_DEP_1)
	v_add_f32_e32 v8, v8, v9
	v_add_f32_e32 v10, v8, v14
	v_add_co_u32 v8, vcc_lo, v38, v12
	v_add_co_ci_u32_e32 v9, vcc_lo, v39, v13, vcc_lo
	global_store_b32 v[8:9], v10, off
	s_or_b32 exec_lo, exec_lo, s0
	s_and_b32 s0, s7, s8
	s_delay_alu instid0(SALU_CYCLE_1)
	s_and_saveexec_b32 s1, s0
	s_cbranch_execz .LBB83_164
.LBB83_193:
	v_cmp_ne_u32_e32 vcc_lo, 1, v101
	v_lshlrev_b64 v[8:9], 2, v[62:63]
	s_cbranch_vccnz .LBB83_195
; %bb.194:
	s_delay_alu instid0(VALU_DEP_1) | instskip(NEXT) | instid1(VALU_DEP_2)
	v_add_co_u32 v10, vcc_lo, v40, v8
	v_add_co_ci_u32_e32 v11, vcc_lo, v41, v9, vcc_lo
	flat_load_b32 v10, v[10:11]
	s_waitcnt vmcnt(0) lgkmcnt(0)
	v_mul_f32_e32 v10, s20, v10
	s_branch .LBB83_196
.LBB83_195:
	v_mov_b32_e32 v10, 0
.LBB83_196:
	v_dual_max_f32 v5, v5, v5 :: v_dual_max_f32 v4, v4, v4
	v_dual_max_f32 v1, v1, v1 :: v_dual_max_f32 v0, v0, v0
	v_max_f32_e32 v6, v6, v6
	v_dual_max_f32 v2, v2, v2 :: v_dual_max_f32 v3, v3, v3
	s_delay_alu instid0(VALU_DEP_3) | instskip(NEXT) | instid1(VALU_DEP_2)
	v_dual_min_f32 v1, v1, v5 :: v_dual_min_f32 v0, v0, v4
	v_dual_max_f32 v5, v7, v7 :: v_dual_min_f32 v2, v2, v6
	s_delay_alu instid0(VALU_DEP_2) | instskip(NEXT) | instid1(VALU_DEP_1)
	v_dual_add_f32 v1, v67, v1 :: v_dual_add_f32 v0, v66, v0
	v_dual_min_f32 v3, v3, v5 :: v_dual_add_f32 v0, v0, v2
	s_delay_alu instid0(VALU_DEP_1) | instskip(NEXT) | instid1(VALU_DEP_1)
	v_add_f32_e32 v1, v1, v3
	v_add_f32_e32 v0, v0, v1
	s_delay_alu instid0(VALU_DEP_1)
	v_add_f32_e32 v2, v0, v10
	v_add_co_u32 v0, vcc_lo, v38, v8
	v_add_co_ci_u32_e32 v1, vcc_lo, v39, v9, vcc_lo
	global_store_b32 v[0:1], v2, off
	s_nop 0
	s_sendmsg sendmsg(MSG_DEALLOC_VGPRS)
	s_endpgm
	.section	.rodata,"a",@progbits
	.p2align	6, 0x0
	.amdhsa_kernel _ZN12_GLOBAL__N_120geam_min_plus_kernelIf15HIP_vector_typeIfLj2EES2_Li8ELi32ELi64ELi128ELi4ELi64ELi4ELi4ELi64ELc78ELc78ELb0ELb1ELb0EfKffEEviiiT16_PT17_ilS6_ilS4_S6_ilPT18_ili26rocblas_geam_ex_operation_
		.amdhsa_group_segment_fixed_size 6144
		.amdhsa_private_segment_fixed_size 0
		.amdhsa_kernarg_size 128
		.amdhsa_user_sgpr_count 14
		.amdhsa_user_sgpr_dispatch_ptr 0
		.amdhsa_user_sgpr_queue_ptr 0
		.amdhsa_user_sgpr_kernarg_segment_ptr 1
		.amdhsa_user_sgpr_dispatch_id 0
		.amdhsa_user_sgpr_private_segment_size 0
		.amdhsa_wavefront_size32 1
		.amdhsa_uses_dynamic_stack 0
		.amdhsa_enable_private_segment 0
		.amdhsa_system_sgpr_workgroup_id_x 1
		.amdhsa_system_sgpr_workgroup_id_y 0
		.amdhsa_system_sgpr_workgroup_id_z 1
		.amdhsa_system_sgpr_workgroup_info 0
		.amdhsa_system_vgpr_workitem_id 1
		.amdhsa_next_free_vgpr 233
		.amdhsa_next_free_sgpr 30
		.amdhsa_reserve_vcc 1
		.amdhsa_float_round_mode_32 0
		.amdhsa_float_round_mode_16_64 0
		.amdhsa_float_denorm_mode_32 3
		.amdhsa_float_denorm_mode_16_64 3
		.amdhsa_dx10_clamp 1
		.amdhsa_ieee_mode 1
		.amdhsa_fp16_overflow 0
		.amdhsa_workgroup_processor_mode 1
		.amdhsa_memory_ordered 1
		.amdhsa_forward_progress 0
		.amdhsa_shared_vgpr_count 0
		.amdhsa_exception_fp_ieee_invalid_op 0
		.amdhsa_exception_fp_denorm_src 0
		.amdhsa_exception_fp_ieee_div_zero 0
		.amdhsa_exception_fp_ieee_overflow 0
		.amdhsa_exception_fp_ieee_underflow 0
		.amdhsa_exception_fp_ieee_inexact 0
		.amdhsa_exception_int_div_zero 0
	.end_amdhsa_kernel
	.section	.text._ZN12_GLOBAL__N_120geam_min_plus_kernelIf15HIP_vector_typeIfLj2EES2_Li8ELi32ELi64ELi128ELi4ELi64ELi4ELi4ELi64ELc78ELc78ELb0ELb1ELb0EfKffEEviiiT16_PT17_ilS6_ilS4_S6_ilPT18_ili26rocblas_geam_ex_operation_,"axG",@progbits,_ZN12_GLOBAL__N_120geam_min_plus_kernelIf15HIP_vector_typeIfLj2EES2_Li8ELi32ELi64ELi128ELi4ELi64ELi4ELi4ELi64ELc78ELc78ELb0ELb1ELb0EfKffEEviiiT16_PT17_ilS6_ilS4_S6_ilPT18_ili26rocblas_geam_ex_operation_,comdat
.Lfunc_end83:
	.size	_ZN12_GLOBAL__N_120geam_min_plus_kernelIf15HIP_vector_typeIfLj2EES2_Li8ELi32ELi64ELi128ELi4ELi64ELi4ELi4ELi64ELc78ELc78ELb0ELb1ELb0EfKffEEviiiT16_PT17_ilS6_ilS4_S6_ilPT18_ili26rocblas_geam_ex_operation_, .Lfunc_end83-_ZN12_GLOBAL__N_120geam_min_plus_kernelIf15HIP_vector_typeIfLj2EES2_Li8ELi32ELi64ELi128ELi4ELi64ELi4ELi4ELi64ELc78ELc78ELb0ELb1ELb0EfKffEEviiiT16_PT17_ilS6_ilS4_S6_ilPT18_ili26rocblas_geam_ex_operation_
                                        ; -- End function
	.section	.AMDGPU.csdata,"",@progbits
; Kernel info:
; codeLenInByte = 13408
; NumSgprs: 32
; NumVgprs: 233
; ScratchSize: 0
; MemoryBound: 0
; FloatMode: 240
; IeeeMode: 1
; LDSByteSize: 6144 bytes/workgroup (compile time only)
; SGPRBlocks: 3
; VGPRBlocks: 29
; NumSGPRsForWavesPerEU: 32
; NumVGPRsForWavesPerEU: 233
; Occupancy: 6
; WaveLimiterHint : 0
; COMPUTE_PGM_RSRC2:SCRATCH_EN: 0
; COMPUTE_PGM_RSRC2:USER_SGPR: 14
; COMPUTE_PGM_RSRC2:TRAP_HANDLER: 0
; COMPUTE_PGM_RSRC2:TGID_X_EN: 1
; COMPUTE_PGM_RSRC2:TGID_Y_EN: 0
; COMPUTE_PGM_RSRC2:TGID_Z_EN: 1
; COMPUTE_PGM_RSRC2:TIDIG_COMP_CNT: 1
	.section	.text._ZN12_GLOBAL__N_120geam_min_plus_kernelIf15HIP_vector_typeIfLj2EES2_Li8ELi32ELi64ELi128ELi4ELi4ELi64ELi4ELi64ELc84ELc78ELb0ELb0ELb0EPKfS3_fEEviiiT16_PT17_ilS7_ilS5_S7_ilPT18_ili26rocblas_geam_ex_operation_,"axG",@progbits,_ZN12_GLOBAL__N_120geam_min_plus_kernelIf15HIP_vector_typeIfLj2EES2_Li8ELi32ELi64ELi128ELi4ELi4ELi64ELi4ELi64ELc84ELc78ELb0ELb0ELb0EPKfS3_fEEviiiT16_PT17_ilS7_ilS5_S7_ilPT18_ili26rocblas_geam_ex_operation_,comdat
	.globl	_ZN12_GLOBAL__N_120geam_min_plus_kernelIf15HIP_vector_typeIfLj2EES2_Li8ELi32ELi64ELi128ELi4ELi4ELi64ELi4ELi64ELc84ELc78ELb0ELb0ELb0EPKfS3_fEEviiiT16_PT17_ilS7_ilS5_S7_ilPT18_ili26rocblas_geam_ex_operation_ ; -- Begin function _ZN12_GLOBAL__N_120geam_min_plus_kernelIf15HIP_vector_typeIfLj2EES2_Li8ELi32ELi64ELi128ELi4ELi4ELi64ELi4ELi64ELc84ELc78ELb0ELb0ELb0EPKfS3_fEEviiiT16_PT17_ilS7_ilS5_S7_ilPT18_ili26rocblas_geam_ex_operation_
	.p2align	8
	.type	_ZN12_GLOBAL__N_120geam_min_plus_kernelIf15HIP_vector_typeIfLj2EES2_Li8ELi32ELi64ELi128ELi4ELi4ELi64ELi4ELi64ELc84ELc78ELb0ELb0ELb0EPKfS3_fEEviiiT16_PT17_ilS7_ilS5_S7_ilPT18_ili26rocblas_geam_ex_operation_,@function
_ZN12_GLOBAL__N_120geam_min_plus_kernelIf15HIP_vector_typeIfLj2EES2_Li8ELi32ELi64ELi128ELi4ELi4ELi64ELi4ELi64ELc84ELc78ELb0ELb0ELb0EPKfS3_fEEviiiT16_PT17_ilS7_ilS5_S7_ilPT18_ili26rocblas_geam_ex_operation_: ; @_ZN12_GLOBAL__N_120geam_min_plus_kernelIf15HIP_vector_typeIfLj2EES2_Li8ELi32ELi64ELi128ELi4ELi4ELi64ELi4ELi64ELc84ELc78ELb0ELb0ELb0EPKfS3_fEEviiiT16_PT17_ilS7_ilS5_S7_ilPT18_ili26rocblas_geam_ex_operation_
; %bb.0:
	s_clause 0x1
	s_load_b128 s[16:19], s[0:1], 0x10
	s_load_b128 s[4:7], s[0:1], 0x28
	s_mov_b32 s12, s15
	s_mov_b32 s13, 0
	s_delay_alu instid0(SALU_CYCLE_1)
	s_lshl_b64 s[2:3], s[12:13], 2
	s_waitcnt lgkmcnt(0)
	s_add_u32 s8, s16, s2
	s_addc_u32 s9, s17, s3
	s_mov_b64 s[16:17], 0
	s_load_b32 s15, s[8:9], 0x0
	s_clause 0x1
	s_load_b128 s[8:11], s[0:1], 0x40
	s_load_b64 s[20:21], s[0:1], 0x50
	s_waitcnt lgkmcnt(0)
	v_cmp_eq_f32_e64 s13, s15, 0
	v_cmp_neq_f32_e64 s22, s15, 0
	s_add_u32 s2, s10, s2
	s_addc_u32 s3, s11, s3
	s_mov_b64 s[10:11], 0
	s_and_b32 vcc_lo, exec_lo, s13
	s_cbranch_vccnz .LBB84_2
; %bb.1:
	s_mul_i32 s5, s12, s5
	s_mul_hi_u32 s13, s12, s4
	s_mul_i32 s4, s12, s4
	s_add_i32 s5, s13, s5
	s_delay_alu instid0(SALU_CYCLE_1) | instskip(NEXT) | instid1(SALU_CYCLE_1)
	s_lshl_b64 s[4:5], s[4:5], 2
	s_add_u32 s16, s18, s4
	s_addc_u32 s17, s19, s5
.LBB84_2:
	s_load_b32 s13, s[2:3], 0x0
	v_cndmask_b32_e64 v1, 0, 1, s22
	s_and_not1_b32 vcc_lo, exec_lo, s22
	s_delay_alu instid0(VALU_DEP_1)
	v_cmp_ne_u32_e64 s3, 1, v1
	s_cbranch_vccnz .LBB84_4
; %bb.3:
	s_mul_i32 s2, s12, s9
	s_mul_hi_u32 s4, s12, s8
	s_delay_alu instid0(SALU_CYCLE_1) | instskip(SKIP_1) | instid1(SALU_CYCLE_1)
	s_add_i32 s5, s4, s2
	s_mul_i32 s4, s12, s8
	s_lshl_b64 s[4:5], s[4:5], 2
	s_delay_alu instid0(SALU_CYCLE_1)
	s_add_u32 s10, s6, s4
	s_addc_u32 s11, s7, s5
.LBB84_4:
	s_load_b128 s[4:7], s[0:1], 0x60
	s_waitcnt lgkmcnt(0)
	v_cmp_eq_f32_e64 s2, s13, 0
	s_delay_alu instid0(VALU_DEP_1) | instskip(NEXT) | instid1(SALU_CYCLE_1)
	s_and_b32 s2, exec_lo, s2
	s_mov_b32 vcc_lo, s2
	s_cbranch_vccnz .LBB84_6
; %bb.5:
	s_mul_i32 s5, s12, s5
	s_mul_hi_u32 s8, s12, s4
	s_mul_i32 s4, s12, s4
	s_add_i32 s5, s8, s5
	s_delay_alu instid0(SALU_CYCLE_1) | instskip(NEXT) | instid1(SALU_CYCLE_1)
	s_lshl_b64 s[4:5], s[4:5], 2
	s_add_u32 s4, s20, s4
	s_addc_u32 s5, s21, s5
	s_branch .LBB84_7
.LBB84_6:
	s_mov_b64 s[4:5], 0
.LBB84_7:
	s_clause 0x1
	s_load_b32 s8, s[0:1], 0x0
	s_load_b32 s18, s[0:1], 0x20
	v_and_b32_e32 v48, 0x3ff, v0
	v_bfe_u32 v49, v0, 10, 10
	s_delay_alu instid0(VALU_DEP_1) | instskip(NEXT) | instid1(VALU_DEP_1)
	v_lshl_add_u32 v0, v49, 3, v48
	v_lshrrev_b32_e32 v6, 2, v0
	s_waitcnt lgkmcnt(0)
	s_add_i32 s8, s8, -1
	s_delay_alu instid0(SALU_CYCLE_1) | instskip(NEXT) | instid1(SALU_CYCLE_1)
	s_ashr_i32 s9, s8, 31
	s_lshr_b32 s9, s9, 26
	s_delay_alu instid0(SALU_CYCLE_1) | instskip(NEXT) | instid1(SALU_CYCLE_1)
	s_add_i32 s8, s8, s9
	s_ashr_i32 s8, s8, 6
	s_delay_alu instid0(SALU_CYCLE_1) | instskip(SKIP_2) | instid1(VALU_DEP_1)
	s_add_i32 s19, s8, 1
	s_not_b32 s8, s8
	v_cvt_f32_u32_e32 v1, s19
	v_rcp_iflag_f32_e32 v1, v1
	s_waitcnt_depctr 0xfff
	v_mul_f32_e32 v1, 0x4f7ffffe, v1
	s_delay_alu instid0(VALU_DEP_1) | instskip(NEXT) | instid1(VALU_DEP_1)
	v_cvt_u32_f32_e32 v1, v1
	v_readfirstlane_b32 s9, v1
	v_and_b32_e32 v1, 3, v48
	s_delay_alu instid0(VALU_DEP_2) | instskip(NEXT) | instid1(VALU_DEP_1)
	s_mul_i32 s8, s8, s9
	v_lshlrev_b32_e32 v54, 2, v1
	s_mul_hi_u32 s8, s9, s8
	s_delay_alu instid0(SALU_CYCLE_1) | instskip(NEXT) | instid1(SALU_CYCLE_1)
	s_add_i32 s9, s9, s8
	s_mul_hi_u32 s8, s14, s9
	s_delay_alu instid0(SALU_CYCLE_1) | instskip(SKIP_2) | instid1(SALU_CYCLE_1)
	s_mul_i32 s9, s8, s19
	s_add_i32 s20, s8, 1
	s_sub_i32 s9, s14, s9
	s_sub_i32 s21, s9, s19
	s_cmp_ge_u32 s9, s19
	s_cselect_b32 s8, s20, s8
	s_cselect_b32 s9, s21, s9
	s_add_i32 s20, s8, 1
	s_cmp_ge_u32 s9, s19
	s_cselect_b32 s9, s20, s8
	s_and_b32 vcc_lo, exec_lo, s3
	s_mul_i32 s8, s9, s19
	s_delay_alu instid0(SALU_CYCLE_1) | instskip(NEXT) | instid1(SALU_CYCLE_1)
	s_sub_i32 s8, s14, s8
	s_lshl_b32 s8, s8, 6
	s_delay_alu instid0(SALU_CYCLE_1)
	v_add_nc_u32_e32 v0, s8, v6
	s_cbranch_vccnz .LBB84_9
; %bb.8:
	s_delay_alu instid0(VALU_DEP_1) | instskip(NEXT) | instid1(VALU_DEP_1)
	v_mad_i64_i32 v[1:2], null, v0, s18, 0
	v_lshlrev_b64 v[1:2], 2, v[1:2]
	s_delay_alu instid0(VALU_DEP_1) | instskip(NEXT) | instid1(VALU_DEP_2)
	v_add_co_u32 v1, vcc_lo, s16, v1
	v_add_co_ci_u32_e32 v2, vcc_lo, s17, v2, vcc_lo
	s_delay_alu instid0(VALU_DEP_2) | instskip(NEXT) | instid1(VALU_DEP_2)
	v_add_co_u32 v1, vcc_lo, v1, v54
	v_add_co_ci_u32_e32 v2, vcc_lo, 0, v2, vcc_lo
	flat_load_b32 v1, v[1:2]
	s_waitcnt vmcnt(0) lgkmcnt(0)
	v_mul_f32_e32 v7, s15, v1
	s_branch .LBB84_10
.LBB84_9:
	v_mov_b32_e32 v7, 0
.LBB84_10:
	s_load_b32 s14, s[0:1], 0x38
	s_lshl_b32 s9, s9, 7
	s_and_b32 vcc_lo, exec_lo, s3
	v_add_nc_u32_e32 v1, s9, v6
	s_delay_alu instid0(VALU_DEP_1)
	v_add_nc_u32_e32 v2, 64, v1
	s_cbranch_vccnz .LBB84_14
; %bb.11:
	s_waitcnt lgkmcnt(0)
	v_mad_i64_i32 v[3:4], null, v1, s14, 0
	s_delay_alu instid0(VALU_DEP_2) | instskip(SKIP_1) | instid1(VALU_DEP_1)
	v_mad_i64_i32 v[8:9], null, v2, s14, 0
	v_add_co_u32 v5, s19, s10, v54
	v_add_co_ci_u32_e64 v10, null, s11, 0, s19
	s_delay_alu instid0(VALU_DEP_4) | instskip(NEXT) | instid1(VALU_DEP_4)
	v_lshlrev_b64 v[3:4], 2, v[3:4]
	v_lshlrev_b64 v[8:9], 2, v[8:9]
	s_delay_alu instid0(VALU_DEP_2) | instskip(NEXT) | instid1(VALU_DEP_3)
	v_add_co_u32 v3, vcc_lo, v5, v3
	v_add_co_ci_u32_e32 v4, vcc_lo, v10, v4, vcc_lo
	s_delay_alu instid0(VALU_DEP_3) | instskip(NEXT) | instid1(VALU_DEP_4)
	v_add_co_u32 v8, vcc_lo, v5, v8
	v_add_co_ci_u32_e32 v9, vcc_lo, v10, v9, vcc_lo
	s_clause 0x1
	flat_load_b32 v3, v[3:4]
	flat_load_b32 v4, v[8:9]
	s_waitcnt vmcnt(0) lgkmcnt(0)
	v_dual_mul_f32 v8, s15, v3 :: v_dual_mul_f32 v9, s15, v4
	s_and_b32 vcc_lo, exec_lo, s3
	s_cbranch_vccnz .LBB84_15
.LBB84_12:
	v_mad_i64_i32 v[3:4], null, v0, s18, 0
	s_delay_alu instid0(VALU_DEP_1) | instskip(NEXT) | instid1(VALU_DEP_1)
	v_lshlrev_b64 v[3:4], 2, v[3:4]
	v_add_co_u32 v3, vcc_lo, s16, v3
	s_delay_alu instid0(VALU_DEP_2) | instskip(NEXT) | instid1(VALU_DEP_2)
	v_add_co_ci_u32_e32 v4, vcc_lo, s17, v4, vcc_lo
	v_add_co_u32 v3, vcc_lo, v3, v54
	s_delay_alu instid0(VALU_DEP_2)
	v_add_co_ci_u32_e32 v4, vcc_lo, 0, v4, vcc_lo
	flat_load_b32 v3, v[3:4] offset:16
	s_waitcnt vmcnt(0) lgkmcnt(0)
	v_mul_f32_e32 v3, s15, v3
	s_and_b32 vcc_lo, exec_lo, s3
	s_cbranch_vccnz .LBB84_16
.LBB84_13:
	s_waitcnt lgkmcnt(0)
	v_mad_i64_i32 v[4:5], null, v1, s14, 0
	v_mad_i64_i32 v[10:11], null, v2, s14, 0
	v_add_co_u32 v12, s19, s10, v54
	s_delay_alu instid0(VALU_DEP_1) | instskip(NEXT) | instid1(VALU_DEP_4)
	v_add_co_ci_u32_e64 v13, null, s11, 0, s19
	v_lshlrev_b64 v[4:5], 2, v[4:5]
	s_delay_alu instid0(VALU_DEP_4) | instskip(NEXT) | instid1(VALU_DEP_2)
	v_lshlrev_b64 v[10:11], 2, v[10:11]
	v_add_co_u32 v4, vcc_lo, v12, v4
	s_delay_alu instid0(VALU_DEP_3) | instskip(NEXT) | instid1(VALU_DEP_3)
	v_add_co_ci_u32_e32 v5, vcc_lo, v13, v5, vcc_lo
	v_add_co_u32 v10, vcc_lo, v12, v10
	s_delay_alu instid0(VALU_DEP_4)
	v_add_co_ci_u32_e32 v11, vcc_lo, v13, v11, vcc_lo
	s_clause 0x1
	flat_load_b32 v4, v[4:5] offset:16
	flat_load_b32 v5, v[10:11] offset:16
	s_waitcnt vmcnt(0) lgkmcnt(0)
	v_dual_mul_f32 v4, s15, v4 :: v_dual_mul_f32 v5, s15, v5
	s_branch .LBB84_17
.LBB84_14:
	v_dual_mov_b32 v8, 0 :: v_dual_mov_b32 v9, 0
	s_and_b32 vcc_lo, exec_lo, s3
	s_cbranch_vccz .LBB84_12
.LBB84_15:
	v_mov_b32_e32 v3, 0
	s_and_b32 vcc_lo, exec_lo, s3
	s_cbranch_vccz .LBB84_13
.LBB84_16:
	v_dual_mov_b32 v4, 0 :: v_dual_mov_b32 v5, 0
.LBB84_17:
	v_lshl_or_b32 v65, v6, 4, v54
	v_lshlrev_b32_e32 v50, 4, v49
	v_lshlrev_b32_e32 v51, 4, v48
	s_load_b32 s19, s[0:1], 0x8
	ds_store_b32 v65, v7 offset:4096
	ds_store_2addr_stride64_b32 v65, v8, v9 offset1:4
	s_waitcnt lgkmcnt(0)
	s_barrier
	buffer_gl0_inv
	ds_load_b128 v[6:9], v50
	ds_load_b128 v[10:13], v51 offset:4096
	ds_load_b128 v[14:17], v51 offset:4224
	;; [unrolled: 1-line block ×11, first 2 shown]
	ds_store_b32 v65, v3 offset:5120
	ds_store_2addr_stride64_b32 v65, v4, v5 offset0:8 offset1:12
	s_waitcnt lgkmcnt(0)
	s_barrier
	buffer_gl0_inv
	v_max_f32_e32 v6, v6, v6
	v_dual_max_f32 v10, v10, v10 :: v_dual_max_f32 v11, v11, v11
	v_dual_max_f32 v7, v7, v7 :: v_dual_max_f32 v14, v14, v14
	;; [unrolled: 1-line block ×6, first 2 shown]
	s_delay_alu instid0(VALU_DEP_3)
	v_dual_min_f32 v69, v27, v7 :: v_dual_min_f32 v68, v26, v6
	v_dual_max_f32 v31, v31, v31 :: v_dual_max_f32 v34, v34, v34
	v_dual_max_f32 v35, v35, v35 :: v_dual_max_f32 v38, v38, v38
	;; [unrolled: 1-line block ×3, first 2 shown]
	v_dual_min_f32 v46, v10, v6 :: v_dual_min_f32 v47, v11, v7
	v_dual_min_f32 v52, v14, v6 :: v_dual_min_f32 v53, v15, v7
	;; [unrolled: 1-line block ×6, first 2 shown]
	v_dual_min_f32 v6, v38, v6 :: v_dual_max_f32 v43, v43, v43
	v_dual_min_f32 v7, v39, v7 :: v_dual_max_f32 v8, v8, v8
	v_dual_max_f32 v9, v9, v9 :: v_dual_max_f32 v12, v12, v12
	v_dual_max_f32 v13, v13, v13 :: v_dual_min_f32 v86, v34, v42
	v_dual_max_f32 v55, v55, v55 :: v_dual_max_f32 v56, v56, v56
	v_dual_max_f32 v58, v58, v58 :: v_dual_max_f32 v59, v59, v59
	v_dual_min_f32 v74, v10, v42 :: v_dual_min_f32 v75, v11, v43
	v_dual_min_f32 v76, v14, v42 :: v_dual_min_f32 v77, v15, v43
	v_dual_max_f32 v16, v16, v16 :: v_dual_max_f32 v17, v17, v17
	v_dual_min_f32 v78, v18, v42 :: v_dual_min_f32 v79, v19, v43
	v_dual_max_f32 v20, v20, v20 :: v_dual_max_f32 v21, v21, v21
	;; [unrolled: 2-line block ×3, first 2 shown]
	v_dual_min_f32 v82, v26, v42 :: v_dual_min_f32 v83, v27, v43
	v_dual_min_f32 v84, v30, v42 :: v_dual_min_f32 v85, v31, v43
	;; [unrolled: 1-line block ×3, first 2 shown]
	v_dual_min_f32 v118, v10, v55 :: v_dual_max_f32 v41, v41, v41
	v_min_f32_e32 v119, v14, v55
	v_dual_min_f32 v120, v18, v55 :: v_dual_max_f32 v57, v57, v57
	v_dual_min_f32 v121, v22, v55 :: v_dual_max_f32 v60, v60, v60
	v_dual_max_f32 v122, v61, v61 :: v_dual_max_f32 v123, v62, v62
	v_dual_min_f32 v61, v26, v55 :: v_dual_min_f32 v126, v19, v56
	v_min_f32_e32 v62, v30, v55
	v_dual_min_f32 v124, v34, v55 :: v_dual_min_f32 v125, v15, v56
	v_dual_min_f32 v55, v38, v55 :: v_dual_min_f32 v128, v27, v56
	;; [unrolled: 1-line block ×3, first 2 shown]
	v_dual_min_f32 v130, v35, v56 :: v_dual_add_f32 v47, 0, v47
	v_min_f32_e32 v88, v13, v9
	v_dual_add_f32 v46, 0, v46 :: v_dual_min_f32 v35, v35, v60
	v_dual_max_f32 v28, v28, v28 :: v_dual_max_f32 v29, v29, v29
	v_dual_max_f32 v32, v32, v32 :: v_dual_max_f32 v33, v33, v33
	v_dual_min_f32 v43, v39, v43 :: v_dual_max_f32 v40, v40, v40
	v_dual_min_f32 v10, v10, v59 :: v_dual_min_f32 v127, v23, v56
	v_dual_min_f32 v14, v14, v59 :: v_dual_min_f32 v129, v31, v56
	v_min_f32_e32 v18, v18, v59
	v_dual_min_f32 v22, v22, v59 :: v_dual_min_f32 v15, v15, v60
	v_dual_min_f32 v26, v26, v59 :: v_dual_min_f32 v19, v19, v60
	;; [unrolled: 1-line block ×4, first 2 shown]
	v_min_f32_e32 v59, v11, v56
	v_dual_min_f32 v56, v39, v56 :: v_dual_add_f32 v117, v89, v46
	v_min_f32_e32 v11, v11, v60
	v_min_f32_e32 v31, v31, v60
	v_dual_min_f32 v39, v39, v60 :: v_dual_add_f32 v116, v88, v47
	v_dual_add_f32 v46, 0, v53 :: v_dual_min_f32 v53, v16, v8
	v_dual_min_f32 v47, v17, v9 :: v_dual_add_f32 v52, 0, v52
	v_dual_add_f32 v60, 0, v64 :: v_dual_add_f32 v63, 0, v63
	v_dual_min_f32 v64, v21, v9 :: v_dual_add_f32 v67, 0, v67
	v_dual_min_f32 v88, v20, v8 :: v_dual_min_f32 v89, v25, v9
	v_dual_max_f32 v36, v36, v36 :: v_dual_max_f32 v37, v37, v37
	v_dual_max_f32 v44, v44, v44 :: v_dual_max_f32 v45, v45, v45
	v_dual_add_f32 v114, v47, v46 :: v_dual_add_f32 v115, v53, v52
	v_dual_add_f32 v112, v64, v60 :: v_dual_min_f32 v53, v29, v9
	v_dual_add_f32 v113, v88, v63 :: v_dual_add_f32 v46, 0, v66
	v_dual_add_f32 v110, v89, v67 :: v_dual_min_f32 v47, v24, v8
	v_dual_add_f32 v52, 0, v69 :: v_dual_min_f32 v63, v28, v8
	v_dual_add_f32 v60, 0, v68 :: v_dual_add_f32 v67, 0, v70
	s_delay_alu instid0(VALU_DEP_3) | instskip(NEXT) | instid1(VALU_DEP_2)
	v_dual_add_f32 v64, 0, v71 :: v_dual_add_f32 v111, v47, v46
	v_dual_min_f32 v66, v33, v9 :: v_dual_add_f32 v109, v63, v60
	v_dual_min_f32 v68, v32, v8 :: v_dual_min_f32 v47, v37, v9
	v_add_f32_e32 v108, v53, v52
	s_delay_alu instid0(VALU_DEP_3) | instskip(SKIP_4) | instid1(VALU_DEP_3)
	v_dual_add_f32 v106, v66, v64 :: v_dual_add_f32 v7, 0, v7
	v_dual_add_f32 v46, 0, v73 :: v_dual_min_f32 v53, v36, v8
	v_dual_add_f32 v52, 0, v72 :: v_dual_min_f32 v9, v41, v9
	;; [unrolled: 1-line block ×3, first 2 shown]
	v_min_f32_e32 v8, v40, v8
	v_dual_add_f32 v60, 0, v75 :: v_dual_add_f32 v105, v53, v52
	v_add_f32_e32 v104, v47, v46
	v_dual_add_f32 v102, v9, v7 :: v_dual_min_f32 v7, v12, v44
	s_delay_alu instid0(VALU_DEP_3) | instskip(SKIP_4) | instid1(VALU_DEP_2)
	v_dual_add_f32 v100, v63, v60 :: v_dual_min_f32 v53, v21, v45
	v_min_f32_e32 v9, v17, v45
	v_add_f32_e32 v103, v8, v6
	v_dual_add_f32 v6, 0, v74 :: v_dual_min_f32 v47, v16, v44
	v_dual_add_f32 v8, 0, v77 :: v_dual_min_f32 v63, v20, v44
	v_dual_add_f32 v46, 0, v76 :: v_dual_add_f32 v101, v7, v6
	v_dual_add_f32 v60, 0, v78 :: v_dual_min_f32 v7, v25, v45
	s_delay_alu instid0(VALU_DEP_2) | instskip(NEXT) | instid1(VALU_DEP_4)
	v_dual_add_f32 v52, 0, v79 :: v_dual_add_f32 v99, v47, v46
	v_dual_add_f32 v98, v9, v8 :: v_dual_add_f32 v43, 0, v43
	s_delay_alu instid0(VALU_DEP_3) | instskip(SKIP_3) | instid1(VALU_DEP_4)
	v_dual_add_f32 v97, v63, v60 :: v_dual_add_f32 v6, 0, v81
	v_dual_add_f32 v8, 0, v80 :: v_dual_min_f32 v47, v29, v45
	v_dual_min_f32 v9, v24, v44 :: v_dual_add_f32 v46, 0, v83
	v_add_f32_e32 v60, 0, v85
	v_dual_min_f32 v63, v33, v45 :: v_dual_add_f32 v94, v7, v6
	s_delay_alu instid0(VALU_DEP_3) | instskip(SKIP_2) | instid1(VALU_DEP_4)
	v_add_f32_e32 v95, v9, v8
	v_add_f32_e32 v6, 0, v84
	v_dual_min_f32 v7, v32, v44 :: v_dual_add_f32 v8, 0, v87
	v_dual_add_f32 v90, v63, v60 :: v_dual_min_f32 v9, v37, v45
	v_min_f32_e32 v45, v41, v45
	s_delay_alu instid0(VALU_DEP_3)
	v_dual_add_f32 v96, v53, v52 :: v_dual_add_f32 v91, v7, v6
	v_dual_add_f32 v52, 0, v82 :: v_dual_min_f32 v53, v28, v44
	v_add_f32_e32 v92, v47, v46
	v_dual_add_f32 v46, 0, v86 :: v_dual_min_f32 v47, v36, v44
	v_add_f32_e32 v42, 0, v42
	v_min_f32_e32 v44, v40, v44
	v_dual_add_f32 v86, v45, v43 :: v_dual_min_f32 v45, v16, v57
	s_delay_alu instid0(VALU_DEP_4)
	v_dual_add_f32 v89, v47, v46 :: v_dual_add_f32 v88, v9, v8
	v_dual_add_f32 v6, 0, v59 :: v_dual_min_f32 v7, v13, v58
	v_min_f32_e32 v9, v12, v57
	v_dual_add_f32 v87, v44, v42 :: v_dual_add_f32 v44, 0, v119
	v_min_f32_e32 v47, v21, v58
	v_add_f32_e32 v8, 0, v118
	v_dual_add_f32 v42, 0, v125 :: v_dual_min_f32 v43, v17, v58
	v_dual_add_f32 v84, v7, v6 :: v_dual_min_f32 v7, v20, v57
	v_dual_add_f32 v83, v45, v44 :: v_dual_add_f32 v46, 0, v126
	s_delay_alu instid0(VALU_DEP_4) | instskip(SKIP_2) | instid1(VALU_DEP_4)
	v_add_f32_e32 v85, v9, v8
	v_dual_add_f32 v6, 0, v120 :: v_dual_min_f32 v9, v25, v58
	v_dual_add_f32 v82, v43, v42 :: v_dual_min_f32 v43, v24, v57
	;; [unrolled: 1-line block ×4, first 2 shown]
	s_delay_alu instid0(VALU_DEP_4) | instskip(SKIP_2) | instid1(VALU_DEP_3)
	v_dual_add_f32 v42, 0, v121 :: v_dual_add_f32 v81, v7, v6
	v_add_f32_e32 v44, 0, v128
	v_dual_add_f32 v46, 0, v61 :: v_dual_min_f32 v7, v33, v58
	v_dual_add_f32 v78, v9, v8 :: v_dual_add_f32 v79, v43, v42
	s_delay_alu instid0(VALU_DEP_3) | instskip(NEXT) | instid1(VALU_DEP_3)
	v_dual_add_f32 v76, v45, v44 :: v_dual_min_f32 v9, v32, v57
	v_dual_add_f32 v77, v47, v46 :: v_dual_add_f32 v6, 0, v129
	v_min_f32_e32 v43, v37, v58
	v_dual_add_f32 v8, 0, v62 :: v_dual_min_f32 v45, v36, v57
	v_dual_add_f32 v44, 0, v124 :: v_dual_min_f32 v47, v41, v58
	v_add_f32_e32 v46, 0, v56
	s_delay_alu instid0(VALU_DEP_3) | instskip(NEXT) | instid1(VALU_DEP_3)
	v_dual_add_f32 v42, 0, v130 :: v_dual_add_f32 v75, v9, v8
	v_dual_add_f32 v74, v7, v6 :: v_dual_add_f32 v73, v45, v44
	;; [unrolled: 1-line block ×3, first 2 shown]
	s_delay_alu instid0(VALU_DEP_4)
	v_dual_add_f32 v69, v47, v46 :: v_dual_add_f32 v8, 0, v11
	v_dual_add_f32 v9, 0, v14 :: v_dual_add_f32 v10, 0, v15
	;; [unrolled: 1-line block ×5, first 2 shown]
	v_dual_add_f32 v23, 0, v30 :: v_dual_min_f32 v30, v40, v57
	v_min_f32_e32 v13, v13, v123
	v_add_f32_e32 v107, v68, v67
	v_dual_add_f32 v26, 0, v31 :: v_dual_add_f32 v27, 0, v34
	s_delay_alu instid0(VALU_DEP_3) | instskip(SKIP_3) | instid1(VALU_DEP_3)
	v_dual_add_f32 v71, v30, v6 :: v_dual_add_f32 v68, v13, v8
	v_dual_min_f32 v6, v12, v122 :: v_dual_min_f32 v13, v21, v123
	v_min_f32_e32 v12, v16, v122
	v_dual_add_f32 v72, v43, v42 :: v_dual_add_f32 v31, 0, v35
	v_add_f32_e32 v70, v6, v7
	v_min_f32_e32 v7, v25, v123
	s_delay_alu instid0(VALU_DEP_4) | instskip(SKIP_2) | instid1(VALU_DEP_4)
	v_dual_min_f32 v8, v17, v123 :: v_dual_add_f32 v67, v12, v9
	v_min_f32_e32 v6, v20, v122
	v_min_f32_e32 v9, v28, v122
	v_add_f32_e32 v61, v7, v18
	v_dual_min_f32 v7, v33, v123 :: v_dual_add_f32 v34, 0, v38
	v_add_f32_e32 v35, 0, v39
	v_add_f32_e32 v64, v6, v11
	v_min_f32_e32 v6, v24, v122
	s_delay_alu instid0(VALU_DEP_4) | instskip(SKIP_1) | instid1(VALU_DEP_3)
	v_add_f32_e32 v55, v7, v26
	v_dual_min_f32 v7, v37, v123 :: v_dual_add_f32 v66, v8, v10
	v_dual_min_f32 v10, v40, v122 :: v_dual_add_f32 v63, v6, v15
	v_min_f32_e32 v8, v29, v123
	v_add_f32_e32 v93, v53, v52
	s_delay_alu instid0(VALU_DEP_3) | instskip(SKIP_1) | instid1(VALU_DEP_4)
	v_dual_add_f32 v60, v9, v19 :: v_dual_add_f32 v53, v10, v34
	v_dual_min_f32 v6, v32, v122 :: v_dual_min_f32 v9, v41, v123
	v_add_f32_e32 v59, v8, v22
	v_min_f32_e32 v8, v36, v122
	v_dual_add_f32 v62, v13, v14 :: v_dual_add_f32 v57, v7, v31
	s_delay_alu instid0(VALU_DEP_4) | instskip(SKIP_1) | instid1(VALU_DEP_4)
	v_add_f32_e32 v58, v6, v23
	v_add_f32_e32 v52, v9, v35
	;; [unrolled: 1-line block ×3, first 2 shown]
	s_cmp_lt_i32 s19, 9
	s_cbranch_scc1 .LBB84_31
; %bb.18:
	v_mad_i64_i32 v[3:4], null, v0, s18, 0
	v_mad_i64_i32 v[5:6], null, s14, v2, 0
	;; [unrolled: 1-line block ×3, first 2 shown]
	v_add_nc_u32_e32 v118, 0x1000, v65
	v_add_nc_u32_e32 v119, 0x1000, v51
	v_lshlrev_b64 v[2:3], 2, v[3:4]
	v_add_nc_u32_e32 v120, 0x1400, v65
	v_lshlrev_b64 v[0:1], 2, v[5:6]
	v_add_nc_u32_e32 v121, 0x800, v65
	v_lshl_add_u32 v124, v48, 4, 0x1400
	v_lshl_add_u32 v125, v49, 4, 0x800
	v_add_co_u32 v122, vcc_lo, s16, v2
	v_add_co_ci_u32_e32 v123, vcc_lo, s17, v3, vcc_lo
	v_lshlrev_b64 v[2:3], 2, v[7:8]
	v_add_co_u32 v126, vcc_lo, s10, v0
	v_add_co_ci_u32_e32 v127, vcc_lo, s11, v1, vcc_lo
	s_delay_alu instid0(VALU_DEP_3) | instskip(NEXT) | instid1(VALU_DEP_4)
	v_add_co_u32 v128, vcc_lo, s10, v2
	v_add_co_ci_u32_e32 v129, vcc_lo, s11, v3, vcc_lo
	s_add_i32 s10, s19, -8
	s_mov_b32 s11, 0
	s_branch .LBB84_21
.LBB84_19:                              ;   in Loop: Header=BB84_21 Depth=1
	v_add_co_u32 v0, vcc_lo, v128, v54
	v_add_co_ci_u32_e32 v1, vcc_lo, 0, v129, vcc_lo
	v_add_co_u32 v213, vcc_lo, v126, v54
	v_add_co_ci_u32_e32 v214, vcc_lo, 0, v127, vcc_lo
	flat_load_b32 v0, v[0:1] offset:48
	flat_load_b32 v1, v[213:214] offset:48
	s_waitcnt vmcnt(0) lgkmcnt(0)
	v_dual_mul_f32 v0, s15, v0 :: v_dual_mul_f32 v1, s15, v1
.LBB84_20:                              ;   in Loop: Header=BB84_21 Depth=1
	v_dual_add_f32 v40, v40, v116 :: v_dual_add_f32 v29, v29, v113
	v_dual_add_f32 v28, v28, v114 :: v_dual_add_f32 v33, v33, v111
	;; [unrolled: 1-line block ×19, first 2 shown]
	ds_load_b128 v[20:23], v50
	ds_load_b128 v[28:31], v119
	v_dual_add_f32 v64, v10, v64 :: v_dual_add_f32 v63, v11, v63
	ds_load_b128 v[8:11], v119 offset:128
	v_dual_add_f32 v89, v139, v89 :: v_dual_add_f32 v4, v4, v88
	v_dual_add_f32 v67, v159, v67 :: v_dual_add_f32 v66, v160, v66
	v_dual_add_f32 v62, v162, v62 :: v_dual_add_f32 v61, v164, v61
	v_dual_add_f32 v60, v165, v60 :: v_dual_add_f32 v59, v166, v59
	v_dual_add_f32 v58, v167, v58 :: v_dual_add_f32 v55, v168, v55
	v_dual_add_f32 v56, v169, v56 :: v_dual_add_f32 v57, v170, v57
	v_dual_add_f32 v36, v36, v117 :: v_dual_add_f32 v41, v41, v115
	v_dual_add_f32 v97, v131, v97 :: v_dual_add_f32 v96, v132, v96
	v_dual_add_f32 v103, v18, v16 :: v_dual_add_f32 v112, v185, v45
	v_dual_add_f32 v114, v198, v4 :: v_dual_add_f32 v89, v181, v89
	v_dual_add_f32 v86, v199, v86 :: v_dual_add_f32 v115, v190, v5
	v_dual_add_f32 v66, v212, v66 :: v_dual_add_f32 v61, v27, v61
	v_dual_add_f32 v67, v208, v67 :: v_dual_add_f32 v62, v26, v62
	v_dual_add_f32 v59, v171, v59 :: v_dual_add_f32 v60, v2, v60
	v_dual_add_f32 v116, v14, v55 :: v_dual_add_f32 v117, v3, v58
	v_dual_add_f32 v131, v15, v57 :: v_dual_add_f32 v6, v6, v56
	s_waitcnt lgkmcnt(2)
	v_dual_add_f32 v132, v19, v46 :: v_dual_max_f32 v21, v21, v21
	ds_load_b128 v[2:5], v119 offset:256
	ds_load_b128 v[12:15], v119 offset:384
	;; [unrolled: 1-line block ×5, first 2 shown]
	v_dual_add_f32 v7, v7, v43 :: v_dual_max_f32 v20, v20, v20
	s_waitcnt lgkmcnt(6)
	v_dual_max_f32 v28, v28, v28 :: v_dual_max_f32 v29, v29, v29
	s_waitcnt lgkmcnt(5)
	v_dual_max_f32 v8, v8, v8 :: v_dual_max_f32 v9, v9, v9
	v_dual_add_f32 v53, v38, v36 :: v_dual_add_f32 v100, v39, v37
	v_dual_add_f32 v88, v42, v41 :: v_dual_add_f32 v113, v176, v44
	ds_load_b128 v[36:39], v119 offset:768
	ds_load_b128 v[40:43], v119 offset:896
	v_dual_add_f32 v95, v133, v95 :: v_dual_add_f32 v94, v134, v94
	v_dual_add_f32 v93, v135, v93 :: v_dual_add_f32 v92, v136, v92
	v_dual_min_f32 v133, v28, v20 :: v_dual_min_f32 v134, v29, v21
	s_waitcnt lgkmcnt(6)
	v_dual_min_f32 v135, v8, v20 :: v_dual_max_f32 v2, v2, v2
	s_waitcnt lgkmcnt(5)
	v_dual_max_f32 v3, v3, v3 :: v_dual_max_f32 v12, v12, v12
	v_dual_add_f32 v53, v133, v53 :: v_dual_add_f32 v52, v134, v52
	s_delay_alu instid0(VALU_DEP_3) | instskip(SKIP_2) | instid1(VALU_DEP_2)
	v_dual_min_f32 v133, v9, v21 :: v_dual_add_f32 v88, v135, v88
	v_dual_min_f32 v134, v2, v20 :: v_dual_max_f32 v13, v13, v13
	s_waitcnt lgkmcnt(4)
	v_dual_max_f32 v16, v16, v16 :: v_dual_add_f32 v87, v133, v87
	v_min_f32_e32 v135, v12, v20
	s_delay_alu instid0(VALU_DEP_3)
	v_dual_add_f32 v99, v134, v99 :: v_dual_min_f32 v134, v13, v21
	v_min_f32_e32 v133, v3, v21
	s_waitcnt lgkmcnt(1)
	v_dual_max_f32 v17, v17, v17 :: v_dual_max_f32 v36, v36, v36
	v_dual_add_f32 v101, v135, v101 :: v_dual_max_f32 v24, v24, v24
	v_add_f32_e32 v100, v134, v100
	v_dual_add_f32 v98, v133, v98 :: v_dual_min_f32 v133, v16, v20
	s_delay_alu instid0(VALU_DEP_4) | instskip(SKIP_2) | instid1(VALU_DEP_3)
	v_min_f32_e32 v134, v17, v21
	s_waitcnt lgkmcnt(0)
	v_dual_max_f32 v25, v25, v25 :: v_dual_max_f32 v40, v40, v40
	v_dual_max_f32 v32, v32, v32 :: v_dual_add_f32 v103, v133, v103
	s_delay_alu instid0(VALU_DEP_3) | instskip(SKIP_4) | instid1(VALU_DEP_4)
	v_add_f32_e32 v102, v134, v102
	v_min_f32_e32 v134, v36, v20
	v_min_f32_e32 v133, v24, v20
	v_min_f32_e32 v135, v25, v21
	v_max_f32_e32 v37, v37, v37
	v_dual_max_f32 v33, v33, v33 :: v_dual_add_f32 v134, v134, v107
	s_delay_alu instid0(VALU_DEP_3) | instskip(NEXT) | instid1(VALU_DEP_3)
	v_dual_add_f32 v105, v133, v105 :: v_dual_add_f32 v104, v135, v104
	v_dual_min_f32 v133, v37, v21 :: v_dual_min_f32 v20, v40, v20
	v_dual_add_f32 v96, v186, v96 :: v_dual_add_f32 v97, v177, v97
	v_max_f32_e32 v41, v41, v41
	s_delay_alu instid0(VALU_DEP_3)
	v_dual_add_f32 v133, v133, v106 :: v_dual_add_f32 v20, v20, v109
	v_dual_min_f32 v106, v28, v32 :: v_dual_min_f32 v107, v29, v33
	ds_load_b128 v[44:47], v50 offset:1024
	ds_load_b128 v[55:58], v50 offset:1536
	v_dual_add_f32 v91, v137, v91 :: v_dual_add_f32 v90, v138, v90
	v_dual_add_f32 v94, v187, v94 :: v_dual_add_f32 v95, v178, v95
	v_dual_add_f32 v136, v107, v110 :: v_dual_min_f32 v109, v8, v32
	v_dual_add_f32 v135, v106, v111 :: v_dual_min_f32 v106, v9, v33
	v_dual_min_f32 v21, v41, v21 :: v_dual_add_f32 v92, v188, v92
	v_add_f32_e32 v93, v179, v93
	v_min_f32_e32 v107, v2, v32
	s_delay_alu instid0(VALU_DEP_4) | instskip(SKIP_3) | instid1(VALU_DEP_3)
	v_add_f32_e32 v138, v106, v112
	v_min_f32_e32 v106, v13, v33
	v_dual_add_f32 v21, v21, v108 :: v_dual_min_f32 v108, v3, v33
	v_add_f32_e32 v137, v109, v113
	v_dual_min_f32 v109, v12, v32 :: v_dual_add_f32 v94, v106, v94
	v_dual_min_f32 v106, v17, v33 :: v_dual_add_f32 v83, v143, v83
	v_dual_add_f32 v82, v144, v82 :: v_dual_add_f32 v81, v145, v81
	v_add_f32_e32 v80, v146, v80
	v_dual_add_f32 v90, v189, v90 :: v_dual_add_f32 v91, v180, v91
	v_dual_add_f32 v97, v107, v97 :: v_dual_add_f32 v96, v108, v96
	v_min_f32_e32 v108, v24, v32
	v_add_f32_e32 v92, v106, v92
	v_min_f32_e32 v106, v37, v33
	s_waitcnt lgkmcnt(1)
	v_dual_add_f32 v95, v109, v95 :: v_dual_max_f32 v44, v44, v44
	v_min_f32_e32 v109, v25, v33
	v_min_f32_e32 v107, v16, v32
	v_max_f32_e32 v45, v45, v45
	v_min_f32_e32 v33, v41, v33
	v_dual_add_f32 v85, v141, v85 :: v_dual_add_f32 v84, v142, v84
	v_dual_add_f32 v79, v147, v79 :: v_dual_add_f32 v78, v148, v78
	;; [unrolled: 1-line block ×5, first 2 shown]
	v_dual_add_f32 v93, v107, v93 :: v_dual_min_f32 v108, v8, v44
	v_min_f32_e32 v107, v36, v32
	v_add_f32_e32 v33, v33, v86
	v_min_f32_e32 v86, v9, v45
	v_dual_add_f32 v77, v149, v77 :: v_dual_add_f32 v76, v150, v76
	v_dual_add_f32 v84, v200, v84 :: v_dual_add_f32 v85, v191, v85
	;; [unrolled: 1-line block ×3, first 2 shown]
	v_dual_min_f32 v32, v40, v32 :: v_dual_add_f32 v89, v107, v89
	v_min_f32_e32 v107, v29, v45
	v_dual_add_f32 v83, v108, v83 :: v_dual_add_f32 v82, v86, v82
	v_min_f32_e32 v108, v12, v44
	v_min_f32_e32 v86, v13, v45
	v_dual_add_f32 v76, v204, v76 :: v_dual_add_f32 v77, v195, v77
	v_dual_add_f32 v139, v106, v114 :: v_dual_add_f32 v84, v107, v84
	s_delay_alu instid0(VALU_DEP_4) | instskip(NEXT) | instid1(VALU_DEP_4)
	v_add_f32_e32 v79, v108, v79
	v_dual_min_f32 v107, v3, v45 :: v_dual_add_f32 v78, v86, v78
	v_dual_min_f32 v86, v17, v45 :: v_dual_add_f32 v75, v151, v75
	v_dual_add_f32 v74, v152, v74 :: v_dual_add_f32 v71, v155, v71
	v_add_f32_e32 v70, v157, v70
	v_min_f32_e32 v106, v28, v44
	v_add_f32_e32 v80, v107, v80
	v_min_f32_e32 v107, v24, v44
	s_waitcnt lgkmcnt(0)
	v_dual_add_f32 v76, v86, v76 :: v_dual_max_f32 v55, v55, v55
	v_dual_add_f32 v74, v205, v74 :: v_dual_add_f32 v75, v196, v75
	v_dual_add_f32 v71, v206, v71 :: v_dual_add_f32 v70, v207, v70
	v_add_f32_e32 v85, v106, v85
	v_min_f32_e32 v106, v2, v44
	s_delay_alu instid0(VALU_DEP_4) | instskip(SKIP_4) | instid1(VALU_DEP_4)
	v_dual_min_f32 v108, v25, v45 :: v_dual_add_f32 v75, v107, v75
	v_max_f32_e32 v56, v56, v56
	v_min_f32_e32 v86, v37, v45
	v_dual_min_f32 v45, v41, v45 :: v_dual_min_f32 v28, v28, v55
	v_dual_add_f32 v81, v106, v81 :: v_dual_min_f32 v106, v16, v44
	v_min_f32_e32 v9, v9, v56
	s_delay_alu instid0(VALU_DEP_3)
	v_dual_min_f32 v13, v13, v56 :: v_dual_add_f32 v28, v28, v70
	v_dual_min_f32 v12, v12, v55 :: v_dual_add_f32 v73, v153, v73
	v_add_f32_e32 v72, v154, v72
	v_dual_add_f32 v77, v106, v77 :: v_dual_add_f32 v74, v108, v74
	v_min_f32_e32 v106, v36, v44
	v_dual_min_f32 v16, v16, v55 :: v_dual_min_f32 v17, v17, v56
	v_dual_add_f32 v13, v13, v61 :: v_dual_add_f32 v12, v12, v63
	v_dual_min_f32 v25, v25, v56 :: v_dual_min_f32 v24, v24, v55
	v_dual_min_f32 v37, v37, v56 :: v_dual_min_f32 v36, v36, v55
	v_dual_add_f32 v69, v156, v69 :: v_dual_add_f32 v68, v158, v68
	v_dual_add_f32 v73, v197, v73 :: v_dual_add_f32 v16, v16, v60
	s_delay_alu instid0(VALU_DEP_4)
	v_dual_max_f32 v23, v23, v23 :: v_dual_add_f32 v24, v24, v117
	v_max_f32_e32 v31, v31, v31
	v_dual_add_f32 v25, v25, v116 :: v_dual_add_f32 v6, v36, v6
	v_dual_max_f32 v22, v22, v22 :: v_dual_max_f32 v11, v11, v11
	v_max_f32_e32 v30, v30, v30
	v_add_f32_e32 v36, v37, v131
	v_dual_min_f32 v37, v40, v55 :: v_dual_add_f32 v68, v211, v68
	v_dual_add_f32 v73, v106, v73 :: v_dual_min_f32 v44, v40, v44
	v_min_f32_e32 v40, v41, v56
	s_delay_alu instid0(VALU_DEP_3)
	v_add_f32_e32 v7, v37, v7
	v_min_f32_e32 v37, v31, v23
	v_min_f32_e32 v41, v30, v22
	v_max_f32_e32 v10, v10, v10
	v_dual_add_f32 v44, v44, v71 :: v_dual_min_f32 v29, v29, v56
	v_dual_min_f32 v8, v8, v55 :: v_dual_min_f32 v3, v3, v56
	v_min_f32_e32 v2, v2, v55
	v_dual_add_f32 v40, v40, v132 :: v_dual_min_f32 v55, v11, v23
	v_add_f32_e32 v117, v41, v53
	v_dual_add_f32 v116, v37, v52 :: v_dual_min_f32 v37, v10, v22
	s_delay_alu instid0(VALU_DEP_3) | instskip(SKIP_2) | instid1(VALU_DEP_3)
	v_dual_max_f32 v5, v5, v5 :: v_dual_add_f32 v114, v55, v87
	v_dual_max_f32 v4, v4, v4 :: v_dual_max_f32 v15, v15, v15
	v_add_f32_e32 v32, v32, v115
	v_dual_min_f32 v41, v5, v23 :: v_dual_max_f32 v14, v14, v14
	s_delay_alu instid0(VALU_DEP_3) | instskip(NEXT) | instid1(VALU_DEP_4)
	v_dual_add_f32 v115, v37, v88 :: v_dual_min_f32 v52, v15, v23
	v_min_f32_e32 v37, v4, v22
	s_delay_alu instid0(VALU_DEP_3) | instskip(NEXT) | instid1(VALU_DEP_3)
	v_dual_add_f32 v112, v41, v98 :: v_dual_max_f32 v19, v19, v19
	v_dual_min_f32 v41, v14, v22 :: v_dual_add_f32 v110, v52, v100
	s_delay_alu instid0(VALU_DEP_3) | instskip(NEXT) | instid1(VALU_DEP_3)
	v_dual_add_f32 v113, v37, v99 :: v_dual_max_f32 v18, v18, v18
	v_dual_min_f32 v37, v19, v23 :: v_dual_max_f32 v26, v26, v26
	s_delay_alu instid0(VALU_DEP_3) | instskip(SKIP_1) | instid1(VALU_DEP_4)
	v_add_f32_e32 v111, v41, v101
	v_max_f32_e32 v27, v27, v27
	v_min_f32_e32 v41, v18, v22
	s_delay_alu instid0(VALU_DEP_4) | instskip(SKIP_1) | instid1(VALU_DEP_3)
	v_dual_add_f32 v108, v37, v102 :: v_dual_max_f32 v37, v39, v39
	v_max_f32_e32 v38, v38, v38
	v_dual_max_f32 v34, v34, v34 :: v_dual_add_f32 v109, v41, v103
	v_max_f32_e32 v43, v43, v43
	s_delay_alu instid0(VALU_DEP_4) | instskip(SKIP_2) | instid1(VALU_DEP_4)
	v_min_f32_e32 v41, v37, v23
	v_min_f32_e32 v39, v27, v23
	v_dual_max_f32 v35, v35, v35 :: v_dual_min_f32 v52, v26, v22
	v_dual_min_f32 v23, v43, v23 :: v_dual_add_f32 v72, v209, v72
	s_delay_alu instid0(VALU_DEP_3) | instskip(SKIP_1) | instid1(VALU_DEP_3)
	v_dual_add_f32 v69, v210, v69 :: v_dual_add_f32 v106, v39, v104
	v_add_f32_e32 v104, v41, v133
	v_add_f32_e32 v102, v23, v21
	v_min_f32_e32 v21, v11, v35
	v_max_f32_e32 v41, v42, v42
	v_dual_add_f32 v107, v52, v105 :: v_dual_min_f32 v42, v30, v34
	v_dual_add_f32 v72, v86, v72 :: v_dual_add_f32 v45, v45, v69
	s_delay_alu instid0(VALU_DEP_4) | instskip(SKIP_4) | instid1(VALU_DEP_4)
	v_add_f32_e32 v98, v21, v138
	v_min_f32_e32 v21, v5, v35
	v_min_f32_e32 v39, v38, v22
	;; [unrolled: 1-line block ×3, first 2 shown]
	v_add_f32_e32 v29, v29, v68
	v_dual_add_f32 v3, v3, v62 :: v_dual_add_f32 v96, v21, v96
	v_min_f32_e32 v21, v19, v35
	v_add_f32_e32 v105, v39, v134
	v_dual_min_f32 v39, v31, v35 :: v_dual_add_f32 v2, v2, v64
	v_add_f32_e32 v17, v17, v59
	s_delay_alu instid0(VALU_DEP_4) | instskip(NEXT) | instid1(VALU_DEP_3)
	v_add_f32_e32 v92, v21, v92
	v_dual_min_f32 v21, v37, v35 :: v_dual_add_f32 v100, v39, v136
	v_dual_min_f32 v22, v41, v22 :: v_dual_add_f32 v101, v42, v135
	v_dual_add_f32 v8, v8, v67 :: v_dual_add_f32 v9, v9, v66
	s_delay_alu instid0(VALU_DEP_2) | instskip(SKIP_3) | instid1(VALU_DEP_3)
	v_dual_add_f32 v88, v21, v139 :: v_dual_add_f32 v103, v22, v20
	v_min_f32_e32 v20, v10, v34
	v_dual_min_f32 v22, v4, v34 :: v_dual_max_f32 v21, v47, v47
	v_add_co_u32 v126, vcc_lo, v126, 32
	v_dual_add_f32 v99, v20, v137 :: v_dual_min_f32 v20, v14, v34
	s_delay_alu instid0(VALU_DEP_3) | instskip(SKIP_1) | instid1(VALU_DEP_3)
	v_dual_add_f32 v97, v22, v97 :: v_dual_min_f32 v22, v27, v35
	v_add_co_ci_u32_e32 v127, vcc_lo, 0, v127, vcc_lo
	v_dual_add_f32 v95, v20, v95 :: v_dual_min_f32 v20, v18, v34
	s_delay_alu instid0(VALU_DEP_3) | instskip(SKIP_2) | instid1(VALU_DEP_4)
	v_add_f32_e32 v90, v22, v90
	v_max_f32_e32 v22, v46, v46
	v_add_co_u32 v128, vcc_lo, v128, 32
	v_dual_add_f32 v93, v20, v93 :: v_dual_min_f32 v20, v38, v34
	v_add_f32_e32 v94, v23, v94
	v_add_co_ci_u32_e32 v129, vcc_lo, 0, v129, vcc_lo
	v_add_co_u32 v122, vcc_lo, v122, 32
	s_delay_alu instid0(VALU_DEP_4) | instskip(SKIP_3) | instid1(VALU_DEP_3)
	v_add_f32_e32 v89, v20, v89
	v_dual_min_f32 v20, v31, v21 :: v_dual_min_f32 v23, v26, v34
	v_min_f32_e32 v34, v41, v34
	v_add_co_ci_u32_e32 v123, vcc_lo, 0, v123, vcc_lo
	v_dual_add_f32 v84, v20, v84 :: v_dual_add_f32 v91, v23, v91
	v_min_f32_e32 v23, v43, v35
	s_delay_alu instid0(VALU_DEP_4)
	v_add_f32_e32 v87, v34, v32
	v_min_f32_e32 v20, v10, v22
	v_min_f32_e32 v32, v5, v21
	s_add_i32 s11, s11, 8
	ds_store_b32 v120, v130
	ds_store_2addr_stride64_b32 v121, v0, v1 offset1:4
	s_cmp_ge_i32 s11, s10
	v_add_f32_e32 v83, v20, v83
	v_add_f32_e32 v80, v32, v80
	v_min_f32_e32 v20, v14, v22
	v_add_f32_e32 v86, v23, v33
	v_dual_min_f32 v23, v11, v21 :: v_dual_min_f32 v32, v18, v22
	v_min_f32_e32 v35, v30, v22
	s_delay_alu instid0(VALU_DEP_4) | instskip(SKIP_1) | instid1(VALU_DEP_4)
	v_add_f32_e32 v79, v20, v79
	v_min_f32_e32 v33, v15, v21
	v_dual_add_f32 v82, v23, v82 :: v_dual_add_f32 v77, v32, v77
	v_max_f32_e32 v32, v58, v58
	v_min_f32_e32 v20, v27, v21
	v_add_f32_e32 v85, v35, v85
	s_waitcnt lgkmcnt(0)
	s_barrier
	v_min_f32_e32 v31, v31, v32
	v_min_f32_e32 v23, v4, v22
	v_add_f32_e32 v74, v20, v74
	v_min_f32_e32 v20, v38, v22
	v_add_f32_e32 v78, v33, v78
	v_add_f32_e32 v68, v31, v29
	;; [unrolled: 1-line block ×3, first 2 shown]
	v_min_f32_e32 v23, v19, v21
	buffer_gl0_inv
	v_dual_add_f32 v76, v23, v76 :: v_dual_min_f32 v23, v37, v21
	v_min_f32_e32 v33, v26, v22
	v_min_f32_e32 v22, v41, v22
	s_delay_alu instid0(VALU_DEP_3) | instskip(NEXT) | instid1(VALU_DEP_1)
	v_dual_add_f32 v72, v23, v72 :: v_dual_max_f32 v23, v57, v57
	v_dual_min_f32 v5, v5, v32 :: v_dual_min_f32 v4, v4, v23
	s_delay_alu instid0(VALU_DEP_1) | instskip(SKIP_4) | instid1(VALU_DEP_3)
	v_add_f32_e32 v64, v4, v2
	v_min_f32_e32 v4, v19, v32
	v_dual_min_f32 v21, v43, v21 :: v_dual_min_f32 v10, v10, v23
	v_dual_min_f32 v2, v14, v23 :: v_dual_min_f32 v11, v11, v32
	v_add_f32_e32 v71, v22, v44
	v_add_f32_e32 v69, v21, v45
	s_delay_alu instid0(VALU_DEP_3)
	v_add_f32_e32 v63, v2, v12
	v_dual_min_f32 v2, v26, v23 :: v_dual_add_f32 v59, v4, v17
	v_dual_min_f32 v4, v38, v23 :: v_dual_add_f32 v73, v20, v73
	v_dual_add_f32 v62, v5, v3 :: v_dual_min_f32 v3, v15, v32
	v_min_f32_e32 v5, v18, v23
	v_min_f32_e32 v20, v30, v23
	s_delay_alu instid0(VALU_DEP_4) | instskip(NEXT) | instid1(VALU_DEP_3)
	v_dual_add_f32 v67, v10, v8 :: v_dual_add_f32 v56, v4, v6
	v_dual_add_f32 v61, v3, v13 :: v_dual_add_f32 v60, v5, v16
	v_min_f32_e32 v3, v27, v32
	v_dual_min_f32 v5, v43, v32 :: v_dual_min_f32 v8, v41, v23
	v_dual_add_f32 v75, v33, v75 :: v_dual_add_f32 v66, v11, v9
	s_delay_alu instid0(VALU_DEP_2) | instskip(SKIP_3) | instid1(VALU_DEP_3)
	v_dual_add_f32 v55, v3, v25 :: v_dual_add_f32 v52, v5, v40
	v_min_f32_e32 v3, v37, v32
	v_add_f32_e32 v70, v20, v28
	v_dual_add_f32 v58, v2, v24 :: v_dual_add_f32 v53, v8, v7
	v_add_f32_e32 v57, v3, v36
	s_cbranch_scc1 .LBB84_31
.LBB84_21:                              ; =>This Inner Loop Header: Depth=1
	v_mov_b32_e32 v130, 0
	s_and_b32 vcc_lo, exec_lo, s3
	s_cbranch_vccnz .LBB84_23
; %bb.22:                               ;   in Loop: Header=BB84_21 Depth=1
	v_add_co_u32 v0, vcc_lo, v122, v54
	v_add_co_ci_u32_e32 v1, vcc_lo, 0, v123, vcc_lo
	flat_load_b32 v0, v[0:1] offset:32
	s_waitcnt vmcnt(0) lgkmcnt(0)
	v_mul_f32_e32 v130, s15, v0
.LBB84_23:                              ;   in Loop: Header=BB84_21 Depth=1
	s_and_b32 vcc_lo, exec_lo, s3
	s_cbranch_vccnz .LBB84_25
; %bb.24:                               ;   in Loop: Header=BB84_21 Depth=1
	v_add_co_u32 v0, vcc_lo, v128, v54
	v_add_co_ci_u32_e32 v1, vcc_lo, 0, v129, vcc_lo
	v_add_co_u32 v2, vcc_lo, v126, v54
	v_add_co_ci_u32_e32 v3, vcc_lo, 0, v127, vcc_lo
	flat_load_b32 v0, v[0:1] offset:32
	flat_load_b32 v1, v[2:3] offset:32
	s_waitcnt vmcnt(0) lgkmcnt(0)
	v_dual_mul_f32 v131, s15, v0 :: v_dual_mul_f32 v132, s15, v1
	s_branch .LBB84_26
.LBB84_25:                              ;   in Loop: Header=BB84_21 Depth=1
	v_dual_mov_b32 v131, 0 :: v_dual_mov_b32 v132, 0
.LBB84_26:                              ;   in Loop: Header=BB84_21 Depth=1
	ds_load_b128 v[40:43], v124
	ds_load_b128 v[36:39], v124 offset:128
	ds_load_b128 v[32:35], v124 offset:256
	ds_load_b128 v[28:31], v124 offset:384
	ds_load_b128 v[24:27], v124 offset:512
	ds_load_b128 v[20:23], v124 offset:640
	ds_load_b128 v[16:19], v124 offset:768
	ds_load_b128 v[12:15], v124 offset:896
	ds_load_b128 v[44:47], v125
	ds_load_b128 v[8:11], v125 offset:512
	ds_load_b128 v[4:7], v125 offset:1024
	;; [unrolled: 1-line block ×3, first 2 shown]
	s_and_b32 vcc_lo, exec_lo, s3
	ds_store_b32 v118, v130
	ds_store_2addr_stride64_b32 v65, v131, v132 offset1:4
	s_waitcnt lgkmcnt(0)
	s_barrier
	buffer_gl0_inv
	s_cbranch_vccnz .LBB84_28
; %bb.27:                               ;   in Loop: Header=BB84_21 Depth=1
	v_add_co_u32 v130, vcc_lo, v122, v54
	v_add_co_ci_u32_e32 v131, vcc_lo, 0, v123, vcc_lo
	flat_load_b32 v130, v[130:131] offset:48
	s_waitcnt vmcnt(0) lgkmcnt(0)
	v_mul_f32_e32 v130, s15, v130
	s_branch .LBB84_29
.LBB84_28:                              ;   in Loop: Header=BB84_21 Depth=1
	v_mov_b32_e32 v130, 0
.LBB84_29:                              ;   in Loop: Header=BB84_21 Depth=1
	v_dual_max_f32 v44, v44, v44 :: v_dual_max_f32 v45, v45, v45
	v_dual_max_f32 v157, v40, v40 :: v_dual_max_f32 v158, v41, v41
	v_max_f32_e32 v159, v36, v36
	v_dual_max_f32 v165, v24, v24 :: v_dual_max_f32 v166, v25, v25
	v_max_f32_e32 v169, v16, v16
	v_dual_max_f32 v155, v4, v4 :: v_dual_max_f32 v156, v5, v5
	s_delay_alu instid0(VALU_DEP_4)
	v_dual_min_f32 v40, v158, v45 :: v_dual_min_f32 v41, v159, v44
	v_dual_max_f32 v160, v37, v37 :: v_dual_max_f32 v161, v32, v32
	v_dual_max_f32 v162, v33, v33 :: v_dual_max_f32 v163, v28, v28
	;; [unrolled: 1-line block ×3, first 2 shown]
	v_max_f32_e32 v168, v21, v21
	v_min_f32_e32 v20, v166, v45
	v_dual_max_f32 v170, v17, v17 :: v_dual_max_f32 v171, v12, v12
	v_max_f32_e32 v172, v13, v13
	v_dual_max_f32 v140, v8, v8 :: v_dual_max_f32 v141, v9, v9
	v_dual_min_f32 v153, v169, v155 :: v_dual_max_f32 v0, v0, v0
	v_dual_min_f32 v36, v157, v44 :: v_dual_min_f32 v37, v164, v45
	v_dual_min_f32 v28, v160, v45 :: v_dual_min_f32 v29, v161, v44
	v_dual_min_f32 v32, v162, v45 :: v_dual_min_f32 v33, v163, v44
	v_dual_min_f32 v16, v165, v44 :: v_dual_min_f32 v17, v158, v141
	v_dual_min_f32 v21, v167, v44 :: v_dual_min_f32 v24, v168, v45
	v_dual_min_f32 v25, v169, v44 :: v_dual_min_f32 v8, v170, v45
	v_dual_min_f32 v9, v171, v44 :: v_dual_min_f32 v12, v172, v45
	v_min_f32_e32 v13, v157, v140
	v_dual_min_f32 v44, v159, v140 :: v_dual_min_f32 v45, v160, v141
	v_dual_min_f32 v131, v161, v140 :: v_dual_min_f32 v132, v162, v141
	v_dual_min_f32 v133, v163, v140 :: v_dual_min_f32 v134, v164, v141
	v_dual_min_f32 v135, v165, v140 :: v_dual_min_f32 v136, v166, v141
	v_dual_min_f32 v137, v167, v140 :: v_dual_min_f32 v138, v168, v141
	v_dual_min_f32 v139, v169, v140 :: v_dual_min_f32 v4, v170, v141
	v_dual_min_f32 v5, v171, v140 :: v_dual_min_f32 v140, v172, v141
	v_dual_min_f32 v141, v157, v155 :: v_dual_min_f32 v142, v158, v156
	v_dual_min_f32 v143, v159, v155 :: v_dual_min_f32 v144, v160, v156
	v_dual_min_f32 v145, v161, v155 :: v_dual_min_f32 v146, v162, v156
	v_dual_min_f32 v147, v163, v155 :: v_dual_min_f32 v148, v164, v156
	v_dual_min_f32 v149, v165, v155 :: v_dual_min_f32 v150, v166, v156
	v_dual_min_f32 v151, v167, v155 :: v_dual_min_f32 v152, v168, v156
	v_dual_max_f32 v1, v1, v1 :: v_dual_min_f32 v154, v170, v156
	v_min_f32_e32 v157, v157, v0
	v_min_f32_e32 v159, v159, v0
	s_delay_alu instid0(VALU_DEP_3)
	v_dual_min_f32 v161, v161, v0 :: v_dual_min_f32 v162, v162, v1
	v_dual_min_f32 v163, v163, v0 :: v_dual_min_f32 v164, v164, v1
	;; [unrolled: 1-line block ×5, first 2 shown]
	v_dual_max_f32 v174, v46, v46 :: v_dual_max_f32 v175, v47, v47
	v_dual_max_f32 v207, v42, v42 :: v_dual_max_f32 v208, v43, v43
	v_dual_max_f32 v212, v38, v38 :: v_dual_min_f32 v43, v171, v0
	v_dual_max_f32 v0, v39, v39 :: v_dual_max_f32 v213, v30, v30
	v_dual_min_f32 v155, v171, v155 :: v_dual_min_f32 v156, v172, v156
	v_min_f32_e32 v158, v158, v1
	v_min_f32_e32 v160, v160, v1
	v_dual_min_f32 v46, v172, v1 :: v_dual_max_f32 v1, v34, v34
	v_dual_min_f32 v42, v212, v174 :: v_dual_max_f32 v171, v35, v35
	v_dual_max_f32 v214, v31, v31 :: v_dual_min_f32 v31, v213, v174
	v_dual_min_f32 v34, v0, v175 :: v_dual_max_f32 v215, v26, v26
	v_dual_max_f32 v216, v27, v27 :: v_dual_max_f32 v217, v22, v22
	v_dual_max_f32 v218, v23, v23 :: v_dual_max_f32 v219, v18, v18
	;; [unrolled: 1-line block ×6, first 2 shown]
	v_max_f32_e32 v223, v3, v3
	v_dual_min_f32 v38, v207, v174 :: v_dual_min_f32 v47, v208, v175
	v_dual_min_f32 v30, v1, v174 :: v_dual_min_f32 v35, v171, v175
	v_dual_min_f32 v39, v214, v175 :: v_dual_min_f32 v18, v215, v174
	v_dual_min_f32 v172, v216, v175 :: v_dual_min_f32 v23, v219, v174
	v_dual_min_f32 v22, v217, v174 :: v_dual_min_f32 v173, v218, v175
	v_dual_min_f32 v182, v19, v175 :: v_dual_min_f32 v177, v1, v10
	v_dual_min_f32 v174, v220, v174 :: v_dual_min_f32 v183, v221, v175
	v_min_f32_e32 v176, v212, v10
	v_dual_min_f32 v175, v207, v10 :: v_dual_min_f32 v184, v208, v11
	v_dual_min_f32 v185, v0, v11 :: v_dual_min_f32 v178, v213, v10
	v_dual_min_f32 v186, v171, v11 :: v_dual_min_f32 v193, v1, v6
	v_dual_min_f32 v187, v214, v11 :: v_dual_min_f32 v180, v217, v10
	v_dual_min_f32 v179, v215, v10 :: v_dual_min_f32 v188, v216, v11
	v_dual_min_f32 v189, v218, v11 :: v_dual_min_f32 v190, v220, v10
	v_dual_min_f32 v181, v219, v10 :: v_dual_min_f32 v200, v208, v7
	v_min_f32_e32 v198, v19, v11
	;; [unrolled: 8-line block ×3, first 2 shown]
	v_min_f32_e32 v209, v19, v7
	v_dual_min_f32 v207, v207, v222 :: v_dual_min_f32 v14, v218, v223
	v_dual_min_f32 v211, v208, v223 :: v_dual_min_f32 v10, v1, v222
	v_min_f32_e32 v208, v212, v222
	v_min_f32_e32 v212, v0, v223
	v_dual_min_f32 v26, v171, v223 :: v_dual_min_f32 v7, v220, v222
	v_min_f32_e32 v11, v213, v222
	v_dual_min_f32 v27, v214, v223 :: v_dual_min_f32 v2, v215, v222
	v_dual_min_f32 v171, v216, v223 :: v_dual_min_f32 v6, v219, v222
	v_min_f32_e32 v15, v19, v223
	v_min_f32_e32 v19, v221, v223
	s_and_b32 vcc_lo, exec_lo, s3
	s_cbranch_vccz .LBB84_19
; %bb.30:                               ;   in Loop: Header=BB84_21 Depth=1
	v_dual_mov_b32 v0, 0 :: v_dual_mov_b32 v1, 0
	s_branch .LBB84_20
.LBB84_31:
	s_load_b32 s10, s[0:1], 0x58
	v_dual_mov_b32 v54, 0 :: v_dual_add_nc_u32 v49, s9, v49
	ds_load_b128 v[0:3], v51 offset:5120
	ds_load_b128 v[40:43], v50 offset:2048
	v_dual_mov_b32 v65, 0 :: v_dual_add_nc_u32 v46, s8, v48
	v_cmp_neq_f32_e64 s11, s13, 0
	s_delay_alu instid0(VALU_DEP_2) | instskip(NEXT) | instid1(VALU_DEP_2)
	v_ashrrev_i32_e32 v47, 31, v46
	s_and_b32 vcc_lo, exec_lo, s11
	s_delay_alu instid0(VALU_DEP_1) | instskip(SKIP_2) | instid1(VALU_DEP_1)
	v_lshlrev_b64 v[44:45], 2, v[46:47]
	s_waitcnt lgkmcnt(0)
	v_mad_i64_i32 v[4:5], null, v49, s10, 0
	v_lshlrev_b64 v[4:5], 2, v[4:5]
	s_delay_alu instid0(VALU_DEP_1) | instskip(NEXT) | instid1(VALU_DEP_1)
	v_add_co_u32 v118, s3, s4, v4
	v_add_co_ci_u32_e64 v119, s3, s5, v5, s3
	s_cbranch_vccz .LBB84_33
; %bb.32:
	s_delay_alu instid0(VALU_DEP_2) | instskip(NEXT) | instid1(VALU_DEP_2)
	v_add_co_u32 v4, vcc_lo, v118, v44
	v_add_co_ci_u32_e32 v5, vcc_lo, v119, v45, vcc_lo
	flat_load_b32 v4, v[4:5]
	s_waitcnt vmcnt(0) lgkmcnt(0)
	v_mul_f32_e32 v65, s13, v4
.LBB84_33:
	s_clause 0x1
	s_load_b64 s[8:9], s[0:1], 0x78
	s_load_b32 s1, s[0:1], 0x70
	v_dual_max_f32 v120, v40, v40 :: v_dual_max_f32 v121, v41, v41
	v_dual_max_f32 v47, v0, v0 :: v_dual_max_f32 v48, v1, v1
	ds_load_b128 v[36:39], v51 offset:5248
	ds_load_b128 v[32:35], v51 offset:5376
	;; [unrolled: 1-line block ×7, first 2 shown]
	v_max_f32_e32 v122, v43, v43
	v_max_f32_e32 v43, v3, v3
	v_dual_min_f32 v0, v47, v120 :: v_dual_min_f32 v1, v48, v121
	ds_load_b128 v[8:11], v50 offset:2560
	ds_load_b128 v[4:7], v50 offset:3072
	v_cndmask_b32_e64 v125, 0, 1, s11
	v_dual_add_f32 v51, v0, v117 :: v_dual_add_f32 v116, v1, v116
	v_max_f32_e32 v117, v42, v42
	v_max_f32_e32 v42, v2, v2
	v_min_f32_e32 v123, v43, v122
	ds_load_b128 v[0:3], v50 offset:3584
	s_waitcnt lgkmcnt(0)
	s_mul_i32 s0, s12, s9
	v_mad_i64_i32 v[40:41], null, v49, s1, 0
	v_min_f32_e32 v124, v42, v117
	v_add_f32_e32 v116, v123, v116
	s_mul_hi_u32 s3, s12, s8
	s_mul_i32 s8, s12, s8
	s_add_i32 s9, s3, s0
	v_add_f32_e32 v123, v124, v51
	s_delay_alu instid0(VALU_DEP_4)
	v_lshlrev_b64 v[40:41], 2, v[40:41]
	s_lshl_b64 s[8:9], s[8:9], 2
	v_cmp_ne_u32_e64 s0, 1, v125
	s_add_u32 s3, s6, s8
	v_add_f32_e32 v124, v123, v116
	v_add_nc_u32_e32 v50, 8, v46
	s_addc_u32 s6, s7, s9
	v_add_co_u32 v116, vcc_lo, s3, v40
	s_delay_alu instid0(VALU_DEP_3) | instskip(NEXT) | instid1(VALU_DEP_3)
	v_add_f32_e32 v65, v124, v65
	v_ashrrev_i32_e32 v51, 31, v50
	v_add_co_ci_u32_e32 v123, vcc_lo, s6, v41, vcc_lo
	s_delay_alu instid0(VALU_DEP_4) | instskip(NEXT) | instid1(VALU_DEP_3)
	v_add_co_u32 v124, vcc_lo, v116, v44
	v_lshlrev_b64 v[40:41], 2, v[50:51]
	s_delay_alu instid0(VALU_DEP_3)
	v_add_co_ci_u32_e32 v125, vcc_lo, v123, v45, vcc_lo
	s_and_not1_b32 vcc_lo, exec_lo, s11
	global_store_b32 v[124:125], v65, off
	s_cbranch_vccnz .LBB84_35
; %bb.34:
	v_add_co_u32 v50, vcc_lo, v118, v40
	v_add_co_ci_u32_e32 v51, vcc_lo, v119, v41, vcc_lo
	flat_load_b32 v50, v[50:51]
	s_waitcnt vmcnt(0) lgkmcnt(0)
	v_mul_f32_e32 v54, s13, v50
.LBB84_35:
	v_dual_max_f32 v51, v37, v37 :: v_dual_max_f32 v50, v36, v36
	v_dual_max_f32 v38, v38, v38 :: v_dual_max_f32 v39, v39, v39
	s_delay_alu instid0(VALU_DEP_2) | instskip(NEXT) | instid1(VALU_DEP_2)
	v_dual_min_f32 v36, v51, v121 :: v_dual_min_f32 v37, v50, v120
	v_dual_min_f32 v65, v38, v117 :: v_dual_min_f32 v124, v39, v122
	s_delay_alu instid0(VALU_DEP_2) | instskip(SKIP_1) | instid1(VALU_DEP_2)
	v_dual_add_f32 v114, v36, v114 :: v_dual_add_f32 v37, v37, v115
	v_dual_mov_b32 v115, 0 :: v_dual_add_nc_u32 v36, 16, v46
	v_dual_add_f32 v114, v124, v114 :: v_dual_add_f32 v65, v65, v37
	s_delay_alu instid0(VALU_DEP_2) | instskip(SKIP_2) | instid1(VALU_DEP_4)
	v_ashrrev_i32_e32 v37, 31, v36
	v_add_co_u32 v124, vcc_lo, v116, v40
	v_add_co_ci_u32_e32 v125, vcc_lo, v123, v41, vcc_lo
	v_dual_add_f32 v65, v65, v114 :: v_dual_mov_b32 v114, 0
	s_delay_alu instid0(VALU_DEP_4) | instskip(SKIP_1) | instid1(VALU_DEP_2)
	v_lshlrev_b64 v[36:37], 2, v[36:37]
	s_and_b32 vcc_lo, exec_lo, s0
	v_add_f32_e32 v54, v65, v54
	global_store_b32 v[124:125], v54, off
	s_cbranch_vccnz .LBB84_37
; %bb.36:
	v_add_co_u32 v124, vcc_lo, v118, v36
	v_add_co_ci_u32_e32 v125, vcc_lo, v119, v37, vcc_lo
	flat_load_b32 v54, v[124:125]
	s_waitcnt vmcnt(0) lgkmcnt(0)
	v_mul_f32_e32 v115, s13, v54
.LBB84_37:
	v_dual_max_f32 v65, v33, v33 :: v_dual_max_f32 v54, v32, v32
	v_dual_max_f32 v34, v34, v34 :: v_dual_max_f32 v35, v35, v35
	s_delay_alu instid0(VALU_DEP_2) | instskip(NEXT) | instid1(VALU_DEP_2)
	v_dual_min_f32 v32, v65, v121 :: v_dual_min_f32 v33, v54, v120
	v_dual_min_f32 v124, v34, v117 :: v_dual_min_f32 v125, v35, v122
	s_delay_alu instid0(VALU_DEP_2) | instskip(SKIP_1) | instid1(VALU_DEP_2)
	v_dual_add_f32 v112, v32, v112 :: v_dual_add_f32 v33, v33, v113
	v_add_nc_u32_e32 v32, 24, v46
	v_dual_add_f32 v112, v125, v112 :: v_dual_add_f32 v113, v124, v33
	s_delay_alu instid0(VALU_DEP_2) | instskip(NEXT) | instid1(VALU_DEP_2)
	v_ashrrev_i32_e32 v33, 31, v32
	v_add_f32_e32 v124, v113, v112
	v_add_co_u32 v112, vcc_lo, v116, v36
	s_delay_alu instid0(VALU_DEP_3) | instskip(SKIP_1) | instid1(VALU_DEP_4)
	v_lshlrev_b64 v[32:33], 2, v[32:33]
	v_add_co_ci_u32_e32 v113, vcc_lo, v123, v37, vcc_lo
	v_add_f32_e32 v115, v124, v115
	s_and_b32 vcc_lo, exec_lo, s0
	global_store_b32 v[112:113], v115, off
	s_cbranch_vccnz .LBB84_39
; %bb.38:
	v_add_co_u32 v112, vcc_lo, v118, v32
	v_add_co_ci_u32_e32 v113, vcc_lo, v119, v33, vcc_lo
	flat_load_b32 v112, v[112:113]
	s_waitcnt vmcnt(0) lgkmcnt(0)
	v_mul_f32_e32 v114, s13, v112
.LBB84_39:
	v_dual_max_f32 v113, v29, v29 :: v_dual_max_f32 v112, v28, v28
	v_dual_max_f32 v30, v30, v30 :: v_dual_max_f32 v31, v31, v31
	s_delay_alu instid0(VALU_DEP_2) | instskip(NEXT) | instid1(VALU_DEP_2)
	v_dual_min_f32 v28, v113, v121 :: v_dual_min_f32 v29, v112, v120
	v_dual_min_f32 v115, v30, v117 :: v_dual_min_f32 v124, v31, v122
	s_delay_alu instid0(VALU_DEP_2) | instskip(SKIP_1) | instid1(VALU_DEP_2)
	v_dual_add_f32 v110, v28, v110 :: v_dual_add_f32 v29, v29, v111
	v_add_nc_u32_e32 v28, 32, v46
	v_dual_add_f32 v110, v124, v110 :: v_dual_add_f32 v111, v115, v29
	v_mov_b32_e32 v115, 0
	s_delay_alu instid0(VALU_DEP_3) | instskip(NEXT) | instid1(VALU_DEP_3)
	v_ashrrev_i32_e32 v29, 31, v28
	v_add_f32_e32 v124, v111, v110
	v_add_co_u32 v110, vcc_lo, v116, v32
	s_delay_alu instid0(VALU_DEP_3) | instskip(SKIP_1) | instid1(VALU_DEP_4)
	v_lshlrev_b64 v[28:29], 2, v[28:29]
	v_add_co_ci_u32_e32 v111, vcc_lo, v123, v33, vcc_lo
	v_add_f32_e32 v124, v124, v114
	v_mov_b32_e32 v114, 0
	s_and_b32 vcc_lo, exec_lo, s0
	global_store_b32 v[110:111], v124, off
	s_cbranch_vccnz .LBB84_41
; %bb.40:
	v_add_co_u32 v110, vcc_lo, v118, v28
	v_add_co_ci_u32_e32 v111, vcc_lo, v119, v29, vcc_lo
	flat_load_b32 v110, v[110:111]
	s_waitcnt vmcnt(0) lgkmcnt(0)
	v_mul_f32_e32 v114, s13, v110
.LBB84_41:
	v_dual_max_f32 v111, v25, v25 :: v_dual_max_f32 v110, v24, v24
	v_dual_max_f32 v26, v26, v26 :: v_dual_max_f32 v27, v27, v27
	s_delay_alu instid0(VALU_DEP_2) | instskip(NEXT) | instid1(VALU_DEP_2)
	v_dual_min_f32 v24, v111, v121 :: v_dual_min_f32 v25, v110, v120
	v_dual_min_f32 v124, v26, v117 :: v_dual_min_f32 v125, v27, v122
	s_delay_alu instid0(VALU_DEP_2) | instskip(SKIP_1) | instid1(VALU_DEP_2)
	v_dual_add_f32 v108, v24, v108 :: v_dual_add_f32 v25, v25, v109
	v_add_nc_u32_e32 v24, 40, v46
	v_dual_add_f32 v108, v125, v108 :: v_dual_add_f32 v109, v124, v25
	s_delay_alu instid0(VALU_DEP_2) | instskip(NEXT) | instid1(VALU_DEP_2)
	v_ashrrev_i32_e32 v25, 31, v24
	v_add_f32_e32 v124, v109, v108
	v_add_co_u32 v108, vcc_lo, v116, v28
	s_delay_alu instid0(VALU_DEP_3) | instskip(SKIP_1) | instid1(VALU_DEP_4)
	v_lshlrev_b64 v[24:25], 2, v[24:25]
	v_add_co_ci_u32_e32 v109, vcc_lo, v123, v29, vcc_lo
	v_add_f32_e32 v114, v124, v114
	s_and_b32 vcc_lo, exec_lo, s0
	global_store_b32 v[108:109], v114, off
	s_cbranch_vccnz .LBB84_43
; %bb.42:
	v_add_co_u32 v108, vcc_lo, v118, v24
	v_add_co_ci_u32_e32 v109, vcc_lo, v119, v25, vcc_lo
	flat_load_b32 v108, v[108:109]
	s_waitcnt vmcnt(0) lgkmcnt(0)
	v_mul_f32_e32 v115, s13, v108
.LBB84_43:
	v_dual_max_f32 v109, v21, v21 :: v_dual_max_f32 v108, v20, v20
	v_dual_max_f32 v22, v22, v22 :: v_dual_max_f32 v23, v23, v23
	s_delay_alu instid0(VALU_DEP_2) | instskip(NEXT) | instid1(VALU_DEP_2)
	v_dual_min_f32 v20, v109, v121 :: v_dual_min_f32 v21, v108, v120
	v_min_f32_e32 v114, v22, v117
	s_delay_alu instid0(VALU_DEP_2) | instskip(NEXT) | instid1(VALU_DEP_4)
	v_dual_add_f32 v106, v20, v106 :: v_dual_add_f32 v21, v21, v107
	v_min_f32_e32 v124, v23, v122
	s_delay_alu instid0(VALU_DEP_2) | instskip(NEXT) | instid1(VALU_DEP_2)
	v_dual_add_f32 v107, v114, v21 :: v_dual_add_nc_u32 v20, 48, v46
	v_add_f32_e32 v106, v124, v106
	s_delay_alu instid0(VALU_DEP_2) | instskip(SKIP_1) | instid1(VALU_DEP_3)
	v_ashrrev_i32_e32 v21, 31, v20
	v_mov_b32_e32 v114, 0
	v_add_f32_e32 v124, v107, v106
	v_add_co_u32 v106, vcc_lo, v116, v24
	s_delay_alu instid0(VALU_DEP_4) | instskip(SKIP_1) | instid1(VALU_DEP_4)
	v_lshlrev_b64 v[20:21], 2, v[20:21]
	v_add_co_ci_u32_e32 v107, vcc_lo, v123, v25, vcc_lo
	v_dual_add_f32 v124, v124, v115 :: v_dual_mov_b32 v115, 0
	s_and_b32 vcc_lo, exec_lo, s0
	global_store_b32 v[106:107], v124, off
	s_cbranch_vccnz .LBB84_45
; %bb.44:
	v_add_co_u32 v106, vcc_lo, v118, v20
	v_add_co_ci_u32_e32 v107, vcc_lo, v119, v21, vcc_lo
	flat_load_b32 v106, v[106:107]
	s_waitcnt vmcnt(0) lgkmcnt(0)
	v_mul_f32_e32 v115, s13, v106
.LBB84_45:
	v_dual_max_f32 v107, v17, v17 :: v_dual_max_f32 v106, v16, v16
	v_dual_max_f32 v18, v18, v18 :: v_dual_max_f32 v19, v19, v19
	s_delay_alu instid0(VALU_DEP_2) | instskip(NEXT) | instid1(VALU_DEP_2)
	v_dual_min_f32 v16, v107, v121 :: v_dual_min_f32 v17, v106, v120
	v_dual_min_f32 v124, v18, v117 :: v_dual_min_f32 v125, v19, v122
	s_delay_alu instid0(VALU_DEP_2) | instskip(SKIP_1) | instid1(VALU_DEP_2)
	v_dual_add_f32 v104, v16, v104 :: v_dual_add_f32 v17, v17, v105
	v_add_nc_u32_e32 v16, 56, v46
	v_add_f32_e32 v46, v125, v104
	s_delay_alu instid0(VALU_DEP_3) | instskip(NEXT) | instid1(VALU_DEP_3)
	v_add_f32_e32 v104, v124, v17
	v_ashrrev_i32_e32 v17, 31, v16
	s_delay_alu instid0(VALU_DEP_2) | instskip(SKIP_1) | instid1(VALU_DEP_3)
	v_add_f32_e32 v46, v104, v46
	v_add_co_u32 v104, vcc_lo, v116, v20
	v_lshlrev_b64 v[16:17], 2, v[16:17]
	v_add_co_ci_u32_e32 v105, vcc_lo, v123, v21, vcc_lo
	s_delay_alu instid0(VALU_DEP_4)
	v_add_f32_e32 v46, v46, v115
	s_and_b32 vcc_lo, exec_lo, s0
	global_store_b32 v[104:105], v46, off
	s_cbranch_vccnz .LBB84_47
; %bb.46:
	v_add_co_u32 v104, vcc_lo, v118, v16
	v_add_co_ci_u32_e32 v105, vcc_lo, v119, v17, vcc_lo
	flat_load_b32 v46, v[104:105]
	s_waitcnt vmcnt(0) lgkmcnt(0)
	v_mul_f32_e32 v114, s13, v46
.LBB84_47:
	v_dual_max_f32 v12, v12, v12 :: v_dual_max_f32 v13, v13, v13
	v_dual_max_f32 v14, v14, v14 :: v_dual_add_nc_u32 v115, 32, v49
	s_delay_alu instid0(VALU_DEP_2) | instskip(NEXT) | instid1(VALU_DEP_3)
	v_dual_max_f32 v15, v15, v15 :: v_dual_min_f32 v46, v12, v120
	v_min_f32_e32 v118, v13, v121
	s_delay_alu instid0(VALU_DEP_3) | instskip(NEXT) | instid1(VALU_DEP_3)
	v_mad_i64_i32 v[104:105], null, v115, s10, 0
	v_min_f32_e32 v119, v15, v122
	s_delay_alu instid0(VALU_DEP_3) | instskip(SKIP_3) | instid1(VALU_DEP_4)
	v_add_f32_e32 v118, v118, v102
	v_min_f32_e32 v117, v14, v117
	v_add_f32_e32 v46, v46, v103
	v_lshlrev_b64 v[102:103], 2, v[104:105]
	v_add_f32_e32 v118, v119, v118
	s_delay_alu instid0(VALU_DEP_3) | instskip(SKIP_2) | instid1(VALU_DEP_3)
	v_add_f32_e32 v46, v117, v46
	v_add_co_u32 v104, vcc_lo, v116, v16
	v_add_co_ci_u32_e32 v105, vcc_lo, v123, v17, vcc_lo
	v_add_f32_e32 v116, v46, v118
	v_add_co_u32 v46, vcc_lo, s4, v102
	v_add_co_ci_u32_e32 v102, vcc_lo, s5, v103, vcc_lo
	s_delay_alu instid0(VALU_DEP_3)
	v_dual_add_f32 v103, v116, v114 :: v_dual_mov_b32 v114, 0
	v_mov_b32_e32 v116, 0
	s_and_b32 vcc_lo, exec_lo, s0
	global_store_b32 v[104:105], v103, off
	s_cbranch_vccnz .LBB84_49
; %bb.48:
	v_add_co_u32 v103, vcc_lo, v46, v44
	v_add_co_ci_u32_e32 v104, vcc_lo, v102, v45, vcc_lo
	flat_load_b32 v103, v[103:104]
	s_waitcnt vmcnt(0) lgkmcnt(0)
	v_mul_f32_e32 v116, s13, v103
.LBB84_49:
	v_dual_max_f32 v103, v8, v8 :: v_dual_max_f32 v104, v9, v9
	v_dual_max_f32 v105, v10, v10 :: v_dual_max_f32 v8, v11, v11
	v_mad_i64_i32 v[9:10], null, v115, s1, 0
	s_delay_alu instid0(VALU_DEP_3) | instskip(NEXT) | instid1(VALU_DEP_4)
	v_min_f32_e32 v117, v48, v104
	v_min_f32_e32 v11, v47, v103
	s_delay_alu instid0(VALU_DEP_4) | instskip(NEXT) | instid1(VALU_DEP_2)
	v_dual_min_f32 v115, v42, v105 :: v_dual_min_f32 v118, v43, v8
	v_dual_add_f32 v100, v117, v100 :: v_dual_add_f32 v11, v11, v101
	v_lshlrev_b64 v[9:10], 2, v[9:10]
	s_delay_alu instid0(VALU_DEP_2) | instskip(NEXT) | instid1(VALU_DEP_2)
	v_dual_add_f32 v100, v118, v100 :: v_dual_add_f32 v11, v115, v11
	v_add_co_u32 v9, vcc_lo, s3, v9
	s_delay_alu instid0(VALU_DEP_3) | instskip(NEXT) | instid1(VALU_DEP_3)
	v_add_co_ci_u32_e32 v10, vcc_lo, s6, v10, vcc_lo
	v_add_f32_e32 v11, v11, v100
	s_delay_alu instid0(VALU_DEP_3) | instskip(NEXT) | instid1(VALU_DEP_3)
	v_add_co_u32 v100, vcc_lo, v9, v44
	v_add_co_ci_u32_e32 v101, vcc_lo, v10, v45, vcc_lo
	s_delay_alu instid0(VALU_DEP_3)
	v_add_f32_e32 v11, v11, v116
	s_and_b32 vcc_lo, exec_lo, s0
	global_store_b32 v[100:101], v11, off
	s_cbranch_vccnz .LBB84_51
; %bb.50:
	v_add_co_u32 v100, vcc_lo, v46, v40
	v_add_co_ci_u32_e32 v101, vcc_lo, v102, v41, vcc_lo
	flat_load_b32 v11, v[100:101]
	s_waitcnt vmcnt(0) lgkmcnt(0)
	v_mul_f32_e32 v114, s13, v11
.LBB84_51:
	v_dual_min_f32 v11, v51, v104 :: v_dual_min_f32 v100, v50, v103
	v_min_f32_e32 v101, v38, v105
	s_delay_alu instid0(VALU_DEP_2) | instskip(SKIP_3) | instid1(VALU_DEP_3)
	v_dual_add_f32 v11, v11, v98 :: v_dual_add_f32 v98, v100, v99
	v_min_f32_e32 v115, v39, v8
	v_add_co_u32 v99, vcc_lo, v9, v40
	v_add_co_ci_u32_e32 v100, vcc_lo, v10, v41, vcc_lo
	v_dual_add_f32 v98, v101, v98 :: v_dual_add_f32 v11, v115, v11
	s_and_b32 vcc_lo, exec_lo, s0
	s_delay_alu instid0(VALU_DEP_1) | instskip(NEXT) | instid1(VALU_DEP_1)
	v_dual_add_f32 v11, v98, v11 :: v_dual_mov_b32 v98, 0
	v_add_f32_e32 v101, v11, v114
	v_mov_b32_e32 v11, 0
	global_store_b32 v[99:100], v101, off
	s_cbranch_vccnz .LBB84_53
; %bb.52:
	v_add_co_u32 v98, vcc_lo, v46, v36
	v_add_co_ci_u32_e32 v99, vcc_lo, v102, v37, vcc_lo
	flat_load_b32 v98, v[98:99]
	s_waitcnt vmcnt(0) lgkmcnt(0)
	v_mul_f32_e32 v98, s13, v98
.LBB84_53:
	v_dual_min_f32 v99, v65, v104 :: v_dual_min_f32 v100, v54, v103
	v_dual_min_f32 v101, v34, v105 :: v_dual_min_f32 v114, v35, v8
	s_delay_alu instid0(VALU_DEP_2) | instskip(NEXT) | instid1(VALU_DEP_1)
	v_dual_add_f32 v96, v99, v96 :: v_dual_add_f32 v97, v100, v97
	v_dual_add_f32 v96, v114, v96 :: v_dual_add_f32 v97, v101, v97
	s_delay_alu instid0(VALU_DEP_1) | instskip(NEXT) | instid1(VALU_DEP_1)
	v_add_f32_e32 v96, v97, v96
	v_add_f32_e32 v98, v96, v98
	v_add_co_u32 v96, vcc_lo, v9, v36
	v_add_co_ci_u32_e32 v97, vcc_lo, v10, v37, vcc_lo
	s_and_b32 vcc_lo, exec_lo, s0
	global_store_b32 v[96:97], v98, off
	s_cbranch_vccnz .LBB84_55
; %bb.54:
	v_add_co_u32 v96, vcc_lo, v46, v32
	v_add_co_ci_u32_e32 v97, vcc_lo, v102, v33, vcc_lo
	flat_load_b32 v11, v[96:97]
	s_waitcnt vmcnt(0) lgkmcnt(0)
	v_mul_f32_e32 v11, s13, v11
.LBB84_55:
	v_dual_min_f32 v96, v113, v104 :: v_dual_min_f32 v97, v112, v103
	v_dual_min_f32 v98, v30, v105 :: v_dual_min_f32 v99, v31, v8
	s_delay_alu instid0(VALU_DEP_2) | instskip(NEXT) | instid1(VALU_DEP_1)
	v_dual_add_f32 v94, v96, v94 :: v_dual_add_f32 v95, v97, v95
	v_dual_add_f32 v94, v99, v94 :: v_dual_add_f32 v95, v98, v95
	s_delay_alu instid0(VALU_DEP_1) | instskip(SKIP_2) | instid1(VALU_DEP_3)
	v_add_f32_e32 v94, v95, v94
	v_add_co_u32 v95, vcc_lo, v9, v32
	v_add_co_ci_u32_e32 v96, vcc_lo, v10, v33, vcc_lo
	v_dual_add_f32 v97, v94, v11 :: v_dual_mov_b32 v94, 0
	v_mov_b32_e32 v11, 0
	s_and_b32 vcc_lo, exec_lo, s0
	global_store_b32 v[95:96], v97, off
	s_cbranch_vccnz .LBB84_57
; %bb.56:
	v_add_co_u32 v94, vcc_lo, v46, v28
	v_add_co_ci_u32_e32 v95, vcc_lo, v102, v29, vcc_lo
	flat_load_b32 v94, v[94:95]
	s_waitcnt vmcnt(0) lgkmcnt(0)
	v_mul_f32_e32 v94, s13, v94
.LBB84_57:
	v_dual_min_f32 v95, v111, v104 :: v_dual_min_f32 v96, v110, v103
	v_dual_min_f32 v97, v26, v105 :: v_dual_min_f32 v98, v27, v8
	s_delay_alu instid0(VALU_DEP_2) | instskip(NEXT) | instid1(VALU_DEP_1)
	v_dual_add_f32 v92, v95, v92 :: v_dual_add_f32 v93, v96, v93
	v_dual_add_f32 v92, v98, v92 :: v_dual_add_f32 v93, v97, v93
	s_delay_alu instid0(VALU_DEP_1) | instskip(NEXT) | instid1(VALU_DEP_1)
	v_add_f32_e32 v92, v93, v92
	v_add_f32_e32 v94, v92, v94
	v_add_co_u32 v92, vcc_lo, v9, v28
	v_add_co_ci_u32_e32 v93, vcc_lo, v10, v29, vcc_lo
	s_and_b32 vcc_lo, exec_lo, s0
	global_store_b32 v[92:93], v94, off
	s_cbranch_vccnz .LBB84_59
; %bb.58:
	v_add_co_u32 v92, vcc_lo, v46, v24
	v_add_co_ci_u32_e32 v93, vcc_lo, v102, v25, vcc_lo
	flat_load_b32 v11, v[92:93]
	s_waitcnt vmcnt(0) lgkmcnt(0)
	v_mul_f32_e32 v11, s13, v11
.LBB84_59:
	v_dual_min_f32 v92, v109, v104 :: v_dual_min_f32 v93, v108, v103
	v_dual_min_f32 v94, v22, v105 :: v_dual_min_f32 v95, v23, v8
	s_delay_alu instid0(VALU_DEP_2) | instskip(NEXT) | instid1(VALU_DEP_1)
	v_dual_add_f32 v90, v92, v90 :: v_dual_add_f32 v91, v93, v91
	v_dual_add_f32 v90, v95, v90 :: v_dual_add_f32 v91, v94, v91
	s_delay_alu instid0(VALU_DEP_1) | instskip(SKIP_2) | instid1(VALU_DEP_3)
	v_add_f32_e32 v90, v91, v90
	v_add_co_u32 v91, vcc_lo, v9, v24
	v_add_co_ci_u32_e32 v92, vcc_lo, v10, v25, vcc_lo
	v_dual_add_f32 v93, v90, v11 :: v_dual_mov_b32 v90, 0
	v_mov_b32_e32 v11, 0
	s_and_b32 vcc_lo, exec_lo, s0
	global_store_b32 v[91:92], v93, off
	s_cbranch_vccnz .LBB84_61
; %bb.60:
	v_add_co_u32 v90, vcc_lo, v46, v20
	v_add_co_ci_u32_e32 v91, vcc_lo, v102, v21, vcc_lo
	flat_load_b32 v90, v[90:91]
	s_waitcnt vmcnt(0) lgkmcnt(0)
	v_mul_f32_e32 v90, s13, v90
.LBB84_61:
	v_dual_min_f32 v91, v107, v104 :: v_dual_min_f32 v92, v106, v103
	v_dual_min_f32 v93, v18, v105 :: v_dual_min_f32 v94, v19, v8
	s_delay_alu instid0(VALU_DEP_2) | instskip(NEXT) | instid1(VALU_DEP_1)
	v_dual_add_f32 v88, v91, v88 :: v_dual_add_f32 v89, v92, v89
	v_dual_add_f32 v88, v94, v88 :: v_dual_add_f32 v89, v93, v89
	s_delay_alu instid0(VALU_DEP_1) | instskip(NEXT) | instid1(VALU_DEP_1)
	v_add_f32_e32 v88, v89, v88
	v_add_f32_e32 v90, v88, v90
	v_add_co_u32 v88, vcc_lo, v9, v20
	v_add_co_ci_u32_e32 v89, vcc_lo, v10, v21, vcc_lo
	s_and_b32 vcc_lo, exec_lo, s0
	global_store_b32 v[88:89], v90, off
	s_cbranch_vccnz .LBB84_63
; %bb.62:
	v_add_co_u32 v88, vcc_lo, v46, v16
	v_add_co_ci_u32_e32 v89, vcc_lo, v102, v17, vcc_lo
	flat_load_b32 v11, v[88:89]
	s_waitcnt vmcnt(0) lgkmcnt(0)
	v_mul_f32_e32 v11, s13, v11
.LBB84_63:
	v_dual_min_f32 v46, v12, v103 :: v_dual_min_f32 v89, v13, v104
	v_add_nc_u32_e32 v88, 64, v49
	v_min_f32_e32 v90, v14, v105
	v_min_f32_e32 v8, v15, v8
	s_delay_alu instid0(VALU_DEP_4) | instskip(NEXT) | instid1(VALU_DEP_4)
	v_dual_add_f32 v46, v46, v87 :: v_dual_add_f32 v89, v89, v86
	v_mad_i64_i32 v[86:87], null, v88, s10, 0
	s_delay_alu instid0(VALU_DEP_2) | instskip(NEXT) | instid1(VALU_DEP_3)
	v_add_f32_e32 v46, v90, v46
	v_add_f32_e32 v8, v8, v89
	v_add_co_u32 v89, vcc_lo, v9, v16
	v_add_co_ci_u32_e32 v90, vcc_lo, v10, v17, vcc_lo
	v_lshlrev_b64 v[86:87], 2, v[86:87]
	s_delay_alu instid0(VALU_DEP_4) | instskip(NEXT) | instid1(VALU_DEP_1)
	v_add_f32_e32 v8, v46, v8
	v_add_f32_e32 v10, v8, v11
	s_delay_alu instid0(VALU_DEP_3) | instskip(NEXT) | instid1(VALU_DEP_4)
	v_add_co_u32 v8, vcc_lo, s4, v86
	v_add_co_ci_u32_e32 v9, vcc_lo, s5, v87, vcc_lo
	v_dual_mov_b32 v86, 0 :: v_dual_mov_b32 v87, 0
	s_and_b32 vcc_lo, exec_lo, s0
	global_store_b32 v[89:90], v10, off
	s_cbranch_vccnz .LBB84_65
; %bb.64:
	v_add_co_u32 v10, vcc_lo, v8, v44
	v_add_co_ci_u32_e32 v11, vcc_lo, v9, v45, vcc_lo
	flat_load_b32 v10, v[10:11]
	s_waitcnt vmcnt(0) lgkmcnt(0)
	v_mul_f32_e32 v87, s13, v10
.LBB84_65:
	v_dual_max_f32 v10, v4, v4 :: v_dual_max_f32 v11, v5, v5
	v_max_f32_e32 v46, v6, v6
	v_mad_i64_i32 v[5:6], null, v88, s1, 0
	v_max_f32_e32 v4, v7, v7
	s_delay_alu instid0(VALU_DEP_4) | instskip(NEXT) | instid1(VALU_DEP_1)
	v_min_f32_e32 v89, v48, v11
	v_dual_min_f32 v7, v47, v10 :: v_dual_add_f32 v84, v89, v84
	s_delay_alu instid0(VALU_DEP_1) | instskip(NEXT) | instid1(VALU_DEP_4)
	v_dual_min_f32 v88, v42, v46 :: v_dual_add_f32 v7, v7, v85
	v_min_f32_e32 v90, v43, v4
	v_lshlrev_b64 v[5:6], 2, v[5:6]
	s_delay_alu instid0(VALU_DEP_2) | instskip(NEXT) | instid1(VALU_DEP_2)
	v_dual_add_f32 v7, v88, v7 :: v_dual_add_f32 v84, v90, v84
	v_add_co_u32 v5, vcc_lo, s3, v5
	s_delay_alu instid0(VALU_DEP_3) | instskip(NEXT) | instid1(VALU_DEP_3)
	v_add_co_ci_u32_e32 v6, vcc_lo, s6, v6, vcc_lo
	v_add_f32_e32 v7, v7, v84
	s_delay_alu instid0(VALU_DEP_3) | instskip(NEXT) | instid1(VALU_DEP_3)
	v_add_co_u32 v84, vcc_lo, v5, v44
	v_add_co_ci_u32_e32 v85, vcc_lo, v6, v45, vcc_lo
	s_delay_alu instid0(VALU_DEP_3)
	v_add_f32_e32 v7, v7, v87
	s_and_b32 vcc_lo, exec_lo, s0
	global_store_b32 v[84:85], v7, off
	s_cbranch_vccnz .LBB84_67
; %bb.66:
	v_add_co_u32 v84, vcc_lo, v8, v40
	v_add_co_ci_u32_e32 v85, vcc_lo, v9, v41, vcc_lo
	flat_load_b32 v7, v[84:85]
	s_waitcnt vmcnt(0) lgkmcnt(0)
	v_mul_f32_e32 v86, s13, v7
.LBB84_67:
	v_dual_min_f32 v7, v51, v11 :: v_dual_min_f32 v84, v50, v10
	v_min_f32_e32 v85, v38, v46
	s_delay_alu instid0(VALU_DEP_2) | instskip(SKIP_3) | instid1(VALU_DEP_3)
	v_dual_add_f32 v7, v7, v82 :: v_dual_add_f32 v82, v84, v83
	v_min_f32_e32 v87, v39, v4
	v_add_co_u32 v83, vcc_lo, v5, v40
	v_add_co_ci_u32_e32 v84, vcc_lo, v6, v41, vcc_lo
	v_dual_add_f32 v82, v85, v82 :: v_dual_add_f32 v7, v87, v7
	s_and_b32 vcc_lo, exec_lo, s0
	s_delay_alu instid0(VALU_DEP_1) | instskip(NEXT) | instid1(VALU_DEP_1)
	v_dual_add_f32 v7, v82, v7 :: v_dual_mov_b32 v82, 0
	v_add_f32_e32 v85, v7, v86
	v_mov_b32_e32 v7, 0
	global_store_b32 v[83:84], v85, off
	s_cbranch_vccnz .LBB84_69
; %bb.68:
	v_add_co_u32 v82, vcc_lo, v8, v36
	v_add_co_ci_u32_e32 v83, vcc_lo, v9, v37, vcc_lo
	flat_load_b32 v82, v[82:83]
	s_waitcnt vmcnt(0) lgkmcnt(0)
	v_mul_f32_e32 v82, s13, v82
.LBB84_69:
	v_dual_min_f32 v83, v65, v11 :: v_dual_min_f32 v84, v54, v10
	v_dual_min_f32 v85, v34, v46 :: v_dual_min_f32 v86, v35, v4
	s_delay_alu instid0(VALU_DEP_2) | instskip(NEXT) | instid1(VALU_DEP_1)
	v_dual_add_f32 v80, v83, v80 :: v_dual_add_f32 v81, v84, v81
	v_dual_add_f32 v80, v86, v80 :: v_dual_add_f32 v81, v85, v81
	s_delay_alu instid0(VALU_DEP_1) | instskip(NEXT) | instid1(VALU_DEP_1)
	v_add_f32_e32 v80, v81, v80
	v_add_f32_e32 v82, v80, v82
	v_add_co_u32 v80, vcc_lo, v5, v36
	v_add_co_ci_u32_e32 v81, vcc_lo, v6, v37, vcc_lo
	s_and_b32 vcc_lo, exec_lo, s0
	global_store_b32 v[80:81], v82, off
	s_cbranch_vccnz .LBB84_71
; %bb.70:
	v_add_co_u32 v80, vcc_lo, v8, v32
	v_add_co_ci_u32_e32 v81, vcc_lo, v9, v33, vcc_lo
	flat_load_b32 v7, v[80:81]
	s_waitcnt vmcnt(0) lgkmcnt(0)
	v_mul_f32_e32 v7, s13, v7
.LBB84_71:
	v_dual_min_f32 v80, v113, v11 :: v_dual_min_f32 v81, v112, v10
	v_dual_min_f32 v82, v30, v46 :: v_dual_min_f32 v83, v31, v4
	s_delay_alu instid0(VALU_DEP_2) | instskip(NEXT) | instid1(VALU_DEP_1)
	v_dual_add_f32 v78, v80, v78 :: v_dual_add_f32 v79, v81, v79
	v_dual_add_f32 v78, v83, v78 :: v_dual_add_f32 v79, v82, v79
	s_delay_alu instid0(VALU_DEP_1) | instskip(SKIP_2) | instid1(VALU_DEP_3)
	v_add_f32_e32 v78, v79, v78
	v_add_co_u32 v79, vcc_lo, v5, v32
	v_add_co_ci_u32_e32 v80, vcc_lo, v6, v33, vcc_lo
	v_dual_add_f32 v81, v78, v7 :: v_dual_mov_b32 v78, 0
	v_mov_b32_e32 v7, 0
	s_and_b32 vcc_lo, exec_lo, s0
	global_store_b32 v[79:80], v81, off
	s_cbranch_vccnz .LBB84_73
; %bb.72:
	v_add_co_u32 v78, vcc_lo, v8, v28
	v_add_co_ci_u32_e32 v79, vcc_lo, v9, v29, vcc_lo
	flat_load_b32 v78, v[78:79]
	s_waitcnt vmcnt(0) lgkmcnt(0)
	v_mul_f32_e32 v78, s13, v78
.LBB84_73:
	v_dual_min_f32 v79, v111, v11 :: v_dual_min_f32 v80, v110, v10
	v_dual_min_f32 v81, v26, v46 :: v_dual_min_f32 v82, v27, v4
	s_delay_alu instid0(VALU_DEP_2) | instskip(NEXT) | instid1(VALU_DEP_1)
	v_dual_add_f32 v76, v79, v76 :: v_dual_add_f32 v77, v80, v77
	v_dual_add_f32 v76, v82, v76 :: v_dual_add_f32 v77, v81, v77
	s_delay_alu instid0(VALU_DEP_1) | instskip(NEXT) | instid1(VALU_DEP_1)
	v_add_f32_e32 v76, v77, v76
	v_add_f32_e32 v78, v76, v78
	v_add_co_u32 v76, vcc_lo, v5, v28
	v_add_co_ci_u32_e32 v77, vcc_lo, v6, v29, vcc_lo
	s_and_b32 vcc_lo, exec_lo, s0
	global_store_b32 v[76:77], v78, off
	s_cbranch_vccnz .LBB84_75
; %bb.74:
	v_add_co_u32 v76, vcc_lo, v8, v24
	v_add_co_ci_u32_e32 v77, vcc_lo, v9, v25, vcc_lo
	flat_load_b32 v7, v[76:77]
	s_waitcnt vmcnt(0) lgkmcnt(0)
	v_mul_f32_e32 v7, s13, v7
.LBB84_75:
	v_dual_min_f32 v76, v109, v11 :: v_dual_min_f32 v77, v108, v10
	v_dual_min_f32 v78, v22, v46 :: v_dual_min_f32 v79, v23, v4
	s_delay_alu instid0(VALU_DEP_2) | instskip(NEXT) | instid1(VALU_DEP_1)
	v_dual_add_f32 v74, v76, v74 :: v_dual_add_f32 v75, v77, v75
	v_dual_add_f32 v74, v79, v74 :: v_dual_add_f32 v75, v78, v75
	s_delay_alu instid0(VALU_DEP_1) | instskip(SKIP_2) | instid1(VALU_DEP_3)
	v_add_f32_e32 v74, v75, v74
	v_add_co_u32 v75, vcc_lo, v5, v24
	v_add_co_ci_u32_e32 v76, vcc_lo, v6, v25, vcc_lo
	v_dual_add_f32 v77, v74, v7 :: v_dual_mov_b32 v74, 0
	v_mov_b32_e32 v7, 0
	s_and_b32 vcc_lo, exec_lo, s0
	global_store_b32 v[75:76], v77, off
	s_cbranch_vccnz .LBB84_77
; %bb.76:
	v_add_co_u32 v74, vcc_lo, v8, v20
	v_add_co_ci_u32_e32 v75, vcc_lo, v9, v21, vcc_lo
	flat_load_b32 v74, v[74:75]
	s_waitcnt vmcnt(0) lgkmcnt(0)
	v_mul_f32_e32 v74, s13, v74
.LBB84_77:
	v_dual_min_f32 v75, v107, v11 :: v_dual_min_f32 v76, v106, v10
	v_dual_min_f32 v77, v18, v46 :: v_dual_min_f32 v78, v19, v4
	s_delay_alu instid0(VALU_DEP_2) | instskip(NEXT) | instid1(VALU_DEP_1)
	v_dual_add_f32 v72, v75, v72 :: v_dual_add_f32 v73, v76, v73
	v_dual_add_f32 v72, v78, v72 :: v_dual_add_f32 v73, v77, v73
	s_delay_alu instid0(VALU_DEP_1) | instskip(NEXT) | instid1(VALU_DEP_1)
	v_add_f32_e32 v72, v73, v72
	v_add_f32_e32 v74, v72, v74
	v_add_co_u32 v72, vcc_lo, v5, v20
	v_add_co_ci_u32_e32 v73, vcc_lo, v6, v21, vcc_lo
	s_and_b32 vcc_lo, exec_lo, s0
	global_store_b32 v[72:73], v74, off
	s_cbranch_vccnz .LBB84_79
; %bb.78:
	v_add_co_u32 v7, vcc_lo, v8, v16
	v_add_co_ci_u32_e32 v8, vcc_lo, v9, v17, vcc_lo
	flat_load_b32 v7, v[7:8]
	s_waitcnt vmcnt(0) lgkmcnt(0)
	v_mul_f32_e32 v7, s13, v7
.LBB84_79:
	v_dual_min_f32 v8, v12, v10 :: v_dual_add_nc_u32 v9, 0x60, v49
	v_min_f32_e32 v10, v13, v11
	v_min_f32_e32 v46, v14, v46
	;; [unrolled: 1-line block ×3, first 2 shown]
	s_delay_alu instid0(VALU_DEP_4) | instskip(SKIP_3) | instid1(VALU_DEP_4)
	v_add_f32_e32 v8, v8, v71
	v_add_co_u32 v71, vcc_lo, v5, v16
	v_add_f32_e32 v49, v10, v69
	v_mad_i64_i32 v[10:11], null, v9, s10, 0
	v_add_f32_e32 v8, v46, v8
	v_add_co_ci_u32_e32 v72, vcc_lo, v6, v17, vcc_lo
	s_delay_alu instid0(VALU_DEP_4) | instskip(NEXT) | instid1(VALU_DEP_4)
	v_add_f32_e32 v4, v4, v49
	v_lshlrev_b64 v[10:11], 2, v[10:11]
	s_delay_alu instid0(VALU_DEP_2) | instskip(SKIP_1) | instid1(VALU_DEP_2)
	v_add_f32_e32 v4, v8, v4
	v_mov_b32_e32 v8, 0
	v_add_f32_e32 v6, v4, v7
	s_delay_alu instid0(VALU_DEP_4)
	v_add_co_u32 v4, vcc_lo, s4, v10
	v_add_co_ci_u32_e32 v5, vcc_lo, s5, v11, vcc_lo
	v_mov_b32_e32 v10, 0
	s_and_b32 vcc_lo, exec_lo, s0
	global_store_b32 v[71:72], v6, off
	s_cbranch_vccnz .LBB84_81
; %bb.80:
	v_add_co_u32 v6, vcc_lo, v4, v44
	v_add_co_ci_u32_e32 v7, vcc_lo, v5, v45, vcc_lo
	flat_load_b32 v6, v[6:7]
	s_waitcnt vmcnt(0) lgkmcnt(0)
	v_mul_f32_e32 v10, s13, v6
.LBB84_81:
	v_dual_max_f32 v0, v0, v0 :: v_dual_max_f32 v1, v1, v1
	v_dual_max_f32 v2, v2, v2 :: v_dual_max_f32 v3, v3, v3
	v_mad_i64_i32 v[6:7], null, v9, s1, 0
	s_delay_alu instid0(VALU_DEP_3) | instskip(NEXT) | instid1(VALU_DEP_3)
	v_dual_min_f32 v11, v47, v0 :: v_dual_min_f32 v46, v48, v1
	v_dual_min_f32 v9, v42, v2 :: v_dual_min_f32 v42, v43, v3
	s_delay_alu instid0(VALU_DEP_2) | instskip(NEXT) | instid1(VALU_DEP_3)
	v_add_f32_e32 v43, v46, v68
	v_add_f32_e32 v11, v11, v70
	v_lshlrev_b64 v[6:7], 2, v[6:7]
	s_delay_alu instid0(VALU_DEP_3) | instskip(NEXT) | instid1(VALU_DEP_3)
	v_add_f32_e32 v42, v42, v43
	v_add_f32_e32 v9, v9, v11
	s_delay_alu instid0(VALU_DEP_3) | instskip(NEXT) | instid1(VALU_DEP_4)
	v_add_co_u32 v6, vcc_lo, s3, v6
	v_add_co_ci_u32_e32 v7, vcc_lo, s6, v7, vcc_lo
	s_delay_alu instid0(VALU_DEP_3) | instskip(NEXT) | instid1(VALU_DEP_1)
	v_add_f32_e32 v9, v9, v42
	v_add_f32_e32 v11, v9, v10
	s_delay_alu instid0(VALU_DEP_4) | instskip(NEXT) | instid1(VALU_DEP_4)
	v_add_co_u32 v9, vcc_lo, v6, v44
	v_add_co_ci_u32_e32 v10, vcc_lo, v7, v45, vcc_lo
	s_and_b32 vcc_lo, exec_lo, s0
	global_store_b32 v[9:10], v11, off
	s_cbranch_vccnz .LBB84_83
; %bb.82:
	v_add_co_u32 v8, vcc_lo, v4, v40
	v_add_co_ci_u32_e32 v9, vcc_lo, v5, v41, vcc_lo
	flat_load_b32 v8, v[8:9]
	s_waitcnt vmcnt(0) lgkmcnt(0)
	v_mul_f32_e32 v8, s13, v8
.LBB84_83:
	v_dual_min_f32 v9, v51, v1 :: v_dual_min_f32 v10, v50, v0
	v_dual_min_f32 v11, v38, v2 :: v_dual_min_f32 v38, v39, v3
	s_delay_alu instid0(VALU_DEP_2) | instskip(NEXT) | instid1(VALU_DEP_1)
	v_dual_add_f32 v9, v9, v66 :: v_dual_add_f32 v10, v10, v67
	v_dual_add_f32 v9, v38, v9 :: v_dual_add_f32 v10, v11, v10
	s_delay_alu instid0(VALU_DEP_1) | instskip(SKIP_2) | instid1(VALU_DEP_3)
	v_add_f32_e32 v9, v10, v9
	v_add_co_u32 v10, vcc_lo, v6, v40
	v_add_co_ci_u32_e32 v11, vcc_lo, v7, v41, vcc_lo
	v_dual_add_f32 v38, v9, v8 :: v_dual_mov_b32 v9, 0
	v_mov_b32_e32 v8, 0
	s_and_b32 vcc_lo, exec_lo, s0
	global_store_b32 v[10:11], v38, off
	s_cbranch_vccnz .LBB84_85
; %bb.84:
	v_add_co_u32 v9, vcc_lo, v4, v36
	v_add_co_ci_u32_e32 v10, vcc_lo, v5, v37, vcc_lo
	flat_load_b32 v9, v[9:10]
	s_waitcnt vmcnt(0) lgkmcnt(0)
	v_mul_f32_e32 v9, s13, v9
.LBB84_85:
	v_dual_min_f32 v10, v65, v1 :: v_dual_min_f32 v11, v54, v0
	v_dual_min_f32 v34, v34, v2 :: v_dual_min_f32 v35, v35, v3
	s_delay_alu instid0(VALU_DEP_2) | instskip(NEXT) | instid1(VALU_DEP_1)
	v_dual_add_f32 v10, v10, v62 :: v_dual_add_f32 v11, v11, v64
	v_dual_add_f32 v10, v35, v10 :: v_dual_add_f32 v11, v34, v11
	s_delay_alu instid0(VALU_DEP_1) | instskip(NEXT) | instid1(VALU_DEP_1)
	v_add_f32_e32 v10, v11, v10
	v_add_f32_e32 v11, v10, v9
	v_add_co_u32 v9, vcc_lo, v6, v36
	v_add_co_ci_u32_e32 v10, vcc_lo, v7, v37, vcc_lo
	s_and_b32 vcc_lo, exec_lo, s0
	global_store_b32 v[9:10], v11, off
	s_cbranch_vccnz .LBB84_87
; %bb.86:
	v_add_co_u32 v8, vcc_lo, v4, v32
	v_add_co_ci_u32_e32 v9, vcc_lo, v5, v33, vcc_lo
	flat_load_b32 v8, v[8:9]
	s_waitcnt vmcnt(0) lgkmcnt(0)
	v_mul_f32_e32 v8, s13, v8
.LBB84_87:
	v_dual_min_f32 v9, v113, v1 :: v_dual_min_f32 v10, v112, v0
	v_dual_min_f32 v11, v30, v2 :: v_dual_min_f32 v30, v31, v3
	s_delay_alu instid0(VALU_DEP_2) | instskip(NEXT) | instid1(VALU_DEP_1)
	v_dual_add_f32 v9, v9, v61 :: v_dual_add_f32 v10, v10, v63
	v_dual_add_f32 v9, v30, v9 :: v_dual_add_f32 v10, v11, v10
	s_delay_alu instid0(VALU_DEP_1) | instskip(SKIP_2) | instid1(VALU_DEP_3)
	v_add_f32_e32 v9, v10, v9
	v_add_co_u32 v10, vcc_lo, v6, v32
	v_add_co_ci_u32_e32 v11, vcc_lo, v7, v33, vcc_lo
	v_dual_add_f32 v30, v9, v8 :: v_dual_mov_b32 v9, 0
	v_mov_b32_e32 v8, 0
	s_and_b32 vcc_lo, exec_lo, s0
	global_store_b32 v[10:11], v30, off
	s_cbranch_vccnz .LBB84_89
; %bb.88:
	v_add_co_u32 v9, vcc_lo, v4, v28
	v_add_co_ci_u32_e32 v10, vcc_lo, v5, v29, vcc_lo
	flat_load_b32 v9, v[9:10]
	s_waitcnt vmcnt(0) lgkmcnt(0)
	v_mul_f32_e32 v9, s13, v9
.LBB84_89:
	v_dual_min_f32 v10, v111, v1 :: v_dual_min_f32 v11, v110, v0
	v_dual_min_f32 v26, v26, v2 :: v_dual_min_f32 v27, v27, v3
	s_delay_alu instid0(VALU_DEP_2) | instskip(NEXT) | instid1(VALU_DEP_1)
	v_dual_add_f32 v10, v10, v59 :: v_dual_add_f32 v11, v11, v60
	v_dual_add_f32 v10, v27, v10 :: v_dual_add_f32 v11, v26, v11
	s_delay_alu instid0(VALU_DEP_1) | instskip(NEXT) | instid1(VALU_DEP_1)
	v_add_f32_e32 v10, v11, v10
	v_add_f32_e32 v11, v10, v9
	v_add_co_u32 v9, vcc_lo, v6, v28
	v_add_co_ci_u32_e32 v10, vcc_lo, v7, v29, vcc_lo
	s_and_b32 vcc_lo, exec_lo, s0
	global_store_b32 v[9:10], v11, off
	s_cbranch_vccnz .LBB84_91
; %bb.90:
	v_add_co_u32 v8, vcc_lo, v4, v24
	v_add_co_ci_u32_e32 v9, vcc_lo, v5, v25, vcc_lo
	flat_load_b32 v8, v[8:9]
	s_waitcnt vmcnt(0) lgkmcnt(0)
	v_mul_f32_e32 v8, s13, v8
.LBB84_91:
	v_dual_min_f32 v9, v109, v1 :: v_dual_min_f32 v10, v108, v0
	v_dual_min_f32 v11, v22, v2 :: v_dual_min_f32 v22, v23, v3
	v_min_f32_e32 v23, v107, v1
	s_delay_alu instid0(VALU_DEP_3) | instskip(NEXT) | instid1(VALU_DEP_4)
	v_dual_add_f32 v9, v9, v55 :: v_dual_min_f32 v26, v106, v0
	v_add_f32_e32 v10, v10, v58
	s_delay_alu instid0(VALU_DEP_3) | instskip(NEXT) | instid1(VALU_DEP_2)
	v_dual_min_f32 v18, v18, v2 :: v_dual_add_f32 v23, v23, v57
	v_dual_add_f32 v9, v22, v9 :: v_dual_add_f32 v10, v11, v10
	v_min_f32_e32 v11, v19, v3
	v_add_f32_e32 v19, v26, v56
	s_delay_alu instid0(VALU_DEP_2) | instskip(NEXT) | instid1(VALU_DEP_2)
	v_dual_add_f32 v22, v10, v9 :: v_dual_add_f32 v11, v11, v23
	v_add_f32_e32 v18, v18, v19
	v_add_co_u32 v9, vcc_lo, v6, v24
	v_add_co_ci_u32_e32 v10, vcc_lo, v7, v25, vcc_lo
	s_delay_alu instid0(VALU_DEP_4) | instskip(NEXT) | instid1(VALU_DEP_4)
	v_add_f32_e32 v19, v22, v8
	v_add_f32_e32 v8, v18, v11
	s_mov_b32 vcc_lo, s2
	global_store_b32 v[9:10], v19, off
	s_cbranch_vccz .LBB84_94
; %bb.92:
	v_add_co_u32 v9, vcc_lo, v6, v20
	v_add_f32_e32 v11, 0, v8
	v_add_co_ci_u32_e32 v10, vcc_lo, v7, v21, vcc_lo
	s_mov_b32 s0, 0
	global_store_b32 v[9:10], v11, off
	s_cbranch_execz .LBB84_95
; %bb.93:
	v_mov_b32_e32 v4, s0
	s_branch .LBB84_96
.LBB84_94:
	s_mov_b32 s0, -1
.LBB84_95:
	v_add_co_u32 v9, vcc_lo, v4, v20
	v_add_co_ci_u32_e32 v10, vcc_lo, v5, v21, vcc_lo
	flat_load_b32 v11, v[9:10]
	v_add_co_u32 v9, vcc_lo, v6, v20
	v_add_co_ci_u32_e32 v10, vcc_lo, v7, v21, vcc_lo
	v_add_co_u32 v4, vcc_lo, v4, v16
	v_add_co_ci_u32_e32 v5, vcc_lo, v5, v17, vcc_lo
	s_waitcnt vmcnt(0) lgkmcnt(0)
	v_fmac_f32_e32 v8, s13, v11
	global_store_b32 v[9:10], v8, off
	flat_load_b32 v4, v[4:5]
	s_waitcnt vmcnt(0) lgkmcnt(0)
	v_mul_f32_e32 v4, s13, v4
.LBB84_96:
	v_dual_min_f32 v1, v13, v1 :: v_dual_min_f32 v0, v12, v0
	v_dual_min_f32 v2, v14, v2 :: v_dual_min_f32 v3, v15, v3
	s_delay_alu instid0(VALU_DEP_2) | instskip(NEXT) | instid1(VALU_DEP_1)
	v_dual_add_f32 v1, v1, v52 :: v_dual_add_f32 v0, v0, v53
	v_dual_add_f32 v1, v3, v1 :: v_dual_add_f32 v0, v2, v0
	s_delay_alu instid0(VALU_DEP_1) | instskip(NEXT) | instid1(VALU_DEP_1)
	v_add_f32_e32 v0, v0, v1
	v_add_f32_e32 v2, v0, v4
	v_add_co_u32 v0, vcc_lo, v6, v16
	v_add_co_ci_u32_e32 v1, vcc_lo, v7, v17, vcc_lo
	global_store_b32 v[0:1], v2, off
	s_nop 0
	s_sendmsg sendmsg(MSG_DEALLOC_VGPRS)
	s_endpgm
	.section	.rodata,"a",@progbits
	.p2align	6, 0x0
	.amdhsa_kernel _ZN12_GLOBAL__N_120geam_min_plus_kernelIf15HIP_vector_typeIfLj2EES2_Li8ELi32ELi64ELi128ELi4ELi4ELi64ELi4ELi64ELc84ELc78ELb0ELb0ELb0EPKfS3_fEEviiiT16_PT17_ilS7_ilS5_S7_ilPT18_ili26rocblas_geam_ex_operation_
		.amdhsa_group_segment_fixed_size 6144
		.amdhsa_private_segment_fixed_size 0
		.amdhsa_kernarg_size 136
		.amdhsa_user_sgpr_count 14
		.amdhsa_user_sgpr_dispatch_ptr 0
		.amdhsa_user_sgpr_queue_ptr 0
		.amdhsa_user_sgpr_kernarg_segment_ptr 1
		.amdhsa_user_sgpr_dispatch_id 0
		.amdhsa_user_sgpr_private_segment_size 0
		.amdhsa_wavefront_size32 1
		.amdhsa_uses_dynamic_stack 0
		.amdhsa_enable_private_segment 0
		.amdhsa_system_sgpr_workgroup_id_x 1
		.amdhsa_system_sgpr_workgroup_id_y 0
		.amdhsa_system_sgpr_workgroup_id_z 1
		.amdhsa_system_sgpr_workgroup_info 0
		.amdhsa_system_vgpr_workitem_id 1
		.amdhsa_next_free_vgpr 224
		.amdhsa_next_free_sgpr 23
		.amdhsa_reserve_vcc 1
		.amdhsa_float_round_mode_32 0
		.amdhsa_float_round_mode_16_64 0
		.amdhsa_float_denorm_mode_32 3
		.amdhsa_float_denorm_mode_16_64 3
		.amdhsa_dx10_clamp 1
		.amdhsa_ieee_mode 1
		.amdhsa_fp16_overflow 0
		.amdhsa_workgroup_processor_mode 1
		.amdhsa_memory_ordered 1
		.amdhsa_forward_progress 0
		.amdhsa_shared_vgpr_count 0
		.amdhsa_exception_fp_ieee_invalid_op 0
		.amdhsa_exception_fp_denorm_src 0
		.amdhsa_exception_fp_ieee_div_zero 0
		.amdhsa_exception_fp_ieee_overflow 0
		.amdhsa_exception_fp_ieee_underflow 0
		.amdhsa_exception_fp_ieee_inexact 0
		.amdhsa_exception_int_div_zero 0
	.end_amdhsa_kernel
	.section	.text._ZN12_GLOBAL__N_120geam_min_plus_kernelIf15HIP_vector_typeIfLj2EES2_Li8ELi32ELi64ELi128ELi4ELi4ELi64ELi4ELi64ELc84ELc78ELb0ELb0ELb0EPKfS3_fEEviiiT16_PT17_ilS7_ilS5_S7_ilPT18_ili26rocblas_geam_ex_operation_,"axG",@progbits,_ZN12_GLOBAL__N_120geam_min_plus_kernelIf15HIP_vector_typeIfLj2EES2_Li8ELi32ELi64ELi128ELi4ELi4ELi64ELi4ELi64ELc84ELc78ELb0ELb0ELb0EPKfS3_fEEviiiT16_PT17_ilS7_ilS5_S7_ilPT18_ili26rocblas_geam_ex_operation_,comdat
.Lfunc_end84:
	.size	_ZN12_GLOBAL__N_120geam_min_plus_kernelIf15HIP_vector_typeIfLj2EES2_Li8ELi32ELi64ELi128ELi4ELi4ELi64ELi4ELi64ELc84ELc78ELb0ELb0ELb0EPKfS3_fEEviiiT16_PT17_ilS7_ilS5_S7_ilPT18_ili26rocblas_geam_ex_operation_, .Lfunc_end84-_ZN12_GLOBAL__N_120geam_min_plus_kernelIf15HIP_vector_typeIfLj2EES2_Li8ELi32ELi64ELi128ELi4ELi4ELi64ELi4ELi64ELc84ELc78ELb0ELb0ELb0EPKfS3_fEEviiiT16_PT17_ilS7_ilS5_S7_ilPT18_ili26rocblas_geam_ex_operation_
                                        ; -- End function
	.section	.AMDGPU.csdata,"",@progbits
; Kernel info:
; codeLenInByte = 10200
; NumSgprs: 25
; NumVgprs: 224
; ScratchSize: 0
; MemoryBound: 0
; FloatMode: 240
; IeeeMode: 1
; LDSByteSize: 6144 bytes/workgroup (compile time only)
; SGPRBlocks: 3
; VGPRBlocks: 27
; NumSGPRsForWavesPerEU: 25
; NumVGPRsForWavesPerEU: 224
; Occupancy: 6
; WaveLimiterHint : 0
; COMPUTE_PGM_RSRC2:SCRATCH_EN: 0
; COMPUTE_PGM_RSRC2:USER_SGPR: 14
; COMPUTE_PGM_RSRC2:TRAP_HANDLER: 0
; COMPUTE_PGM_RSRC2:TGID_X_EN: 1
; COMPUTE_PGM_RSRC2:TGID_Y_EN: 0
; COMPUTE_PGM_RSRC2:TGID_Z_EN: 1
; COMPUTE_PGM_RSRC2:TIDIG_COMP_CNT: 1
	.section	.text._ZN12_GLOBAL__N_120geam_min_plus_kernelIf15HIP_vector_typeIfLj2EES2_Li8ELi32ELi64ELi128ELi4ELi4ELi64ELi4ELi64ELc84ELc78ELb1ELb0ELb0EfKffEEviiiT16_PT17_ilS6_ilS4_S6_ilPT18_ili26rocblas_geam_ex_operation_,"axG",@progbits,_ZN12_GLOBAL__N_120geam_min_plus_kernelIf15HIP_vector_typeIfLj2EES2_Li8ELi32ELi64ELi128ELi4ELi4ELi64ELi4ELi64ELc84ELc78ELb1ELb0ELb0EfKffEEviiiT16_PT17_ilS6_ilS4_S6_ilPT18_ili26rocblas_geam_ex_operation_,comdat
	.globl	_ZN12_GLOBAL__N_120geam_min_plus_kernelIf15HIP_vector_typeIfLj2EES2_Li8ELi32ELi64ELi128ELi4ELi4ELi64ELi4ELi64ELc84ELc78ELb1ELb0ELb0EfKffEEviiiT16_PT17_ilS6_ilS4_S6_ilPT18_ili26rocblas_geam_ex_operation_ ; -- Begin function _ZN12_GLOBAL__N_120geam_min_plus_kernelIf15HIP_vector_typeIfLj2EES2_Li8ELi32ELi64ELi128ELi4ELi4ELi64ELi4ELi64ELc84ELc78ELb1ELb0ELb0EfKffEEviiiT16_PT17_ilS6_ilS4_S6_ilPT18_ili26rocblas_geam_ex_operation_
	.p2align	8
	.type	_ZN12_GLOBAL__N_120geam_min_plus_kernelIf15HIP_vector_typeIfLj2EES2_Li8ELi32ELi64ELi128ELi4ELi4ELi64ELi4ELi64ELc84ELc78ELb1ELb0ELb0EfKffEEviiiT16_PT17_ilS6_ilS4_S6_ilPT18_ili26rocblas_geam_ex_operation_,@function
_ZN12_GLOBAL__N_120geam_min_plus_kernelIf15HIP_vector_typeIfLj2EES2_Li8ELi32ELi64ELi128ELi4ELi4ELi64ELi4ELi64ELc84ELc78ELb1ELb0ELb0EfKffEEviiiT16_PT17_ilS6_ilS4_S6_ilPT18_ili26rocblas_geam_ex_operation_: ; @_ZN12_GLOBAL__N_120geam_min_plus_kernelIf15HIP_vector_typeIfLj2EES2_Li8ELi32ELi64ELi128ELi4ELi4ELi64ELi4ELi64ELc84ELc78ELb1ELb0ELb0EfKffEEviiiT16_PT17_ilS6_ilS4_S6_ilPT18_ili26rocblas_geam_ex_operation_
; %bb.0:
	s_clause 0x1
	s_load_b64 s[8:9], s[0:1], 0x8
	s_load_b128 s[4:7], s[0:1], 0x20
	s_waitcnt lgkmcnt(0)
	v_cmp_eq_f32_e64 s2, s9, 0
	s_delay_alu instid0(VALU_DEP_1)
	s_and_b32 vcc_lo, exec_lo, s2
	s_cbranch_vccnz .LBB85_3
; %bb.1:
	s_load_b64 s[10:11], s[0:1], 0x10
	s_mul_i32 s3, s15, s5
	s_mul_hi_u32 s5, s15, s4
	s_mul_i32 s4, s15, s4
	s_add_i32 s5, s5, s3
	s_delay_alu instid0(SALU_CYCLE_1)
	s_lshl_b64 s[4:5], s[4:5], 2
	s_waitcnt lgkmcnt(0)
	s_add_u32 s12, s10, s4
	s_addc_u32 s13, s11, s5
	s_and_not1_b32 vcc_lo, exec_lo, s2
	s_cbranch_vccnz .LBB85_4
.LBB85_2:
	s_mov_b32 s16, 0
	s_mov_b64 s[10:11], 0
	s_cbranch_execz .LBB85_5
	s_branch .LBB85_6
.LBB85_3:
	s_mov_b64 s[12:13], 0
	s_and_not1_b32 vcc_lo, exec_lo, s2
	s_cbranch_vccz .LBB85_2
.LBB85_4:
	s_mov_b32 s16, -1
                                        ; implicit-def: $sgpr10_sgpr11
.LBB85_5:
	s_load_b64 s[2:3], s[0:1], 0x38
	s_mov_b32 s16, 0
	s_waitcnt lgkmcnt(0)
	s_mul_i32 s3, s15, s3
	s_mul_hi_u32 s4, s15, s2
	s_mul_i32 s2, s15, s2
	s_add_i32 s3, s4, s3
	s_delay_alu instid0(SALU_CYCLE_1) | instskip(NEXT) | instid1(SALU_CYCLE_1)
	s_lshl_b64 s[2:3], s[2:3], 2
	s_add_u32 s10, s6, s2
	s_addc_u32 s11, s7, s3
.LBB85_6:
	s_clause 0x1
	s_load_b32 s9, s[0:1], 0x40
	s_load_b128 s[4:7], s[0:1], 0x58
	s_waitcnt lgkmcnt(0)
	v_cmp_eq_f32_e64 s2, s9, 0
	s_delay_alu instid0(VALU_DEP_1) | instskip(NEXT) | instid1(SALU_CYCLE_1)
	s_and_b32 s2, exec_lo, s2
	s_mov_b32 vcc_lo, s2
	s_cbranch_vccnz .LBB85_8
; %bb.7:
	s_load_b64 s[18:19], s[0:1], 0x48
	s_mul_i32 s3, s15, s5
	s_mul_hi_u32 s5, s15, s4
	s_delay_alu instid0(SALU_CYCLE_1) | instskip(SKIP_3) | instid1(SALU_CYCLE_1)
	s_add_i32 s3, s5, s3
	s_mul_i32 s5, s16, s4
	s_mul_i32 s4, s15, s4
	s_add_i32 s5, s3, s5
	s_lshl_b64 s[4:5], s[4:5], 2
	s_waitcnt lgkmcnt(0)
	s_add_u32 s4, s18, s4
	s_addc_u32 s5, s19, s5
	s_branch .LBB85_9
.LBB85_8:
	s_mov_b64 s[4:5], 0
.LBB85_9:
	s_clause 0x2
	s_load_b32 s3, s[0:1], 0x0
	s_load_b32 s17, s[0:1], 0x18
	s_load_b32 s18, s[0:1], 0x30
	v_and_b32_e32 v54, 0x3ff, v0
	v_bfe_u32 v55, v0, 10, 10
	s_delay_alu instid0(VALU_DEP_2) | instskip(NEXT) | instid1(VALU_DEP_2)
	v_and_b32_e32 v3, 3, v54
	v_lshl_add_u32 v0, v55, 3, v54
	v_lshlrev_b32_e32 v56, 4, v55
	v_lshlrev_b32_e32 v57, 4, v54
	s_delay_alu instid0(VALU_DEP_4) | instskip(NEXT) | instid1(VALU_DEP_4)
	v_lshlrev_b32_e32 v58, 2, v3
	v_lshrrev_b32_e32 v6, 2, v0
	s_delay_alu instid0(VALU_DEP_1) | instskip(SKIP_2) | instid1(SALU_CYCLE_1)
	v_lshl_or_b32 v61, v6, 4, v58
	s_waitcnt lgkmcnt(0)
	s_add_i32 s3, s3, -1
	s_ashr_i32 s19, s3, 31
	s_delay_alu instid0(SALU_CYCLE_1) | instskip(NEXT) | instid1(SALU_CYCLE_1)
	s_lshr_b32 s19, s19, 26
	s_add_i32 s3, s3, s19
	s_delay_alu instid0(SALU_CYCLE_1) | instskip(NEXT) | instid1(SALU_CYCLE_1)
	s_ashr_i32 s3, s3, 6
	s_add_i32 s19, s3, 1
	s_not_b32 s3, s3
	v_cvt_f32_u32_e32 v1, s19
	s_delay_alu instid0(VALU_DEP_1) | instskip(SKIP_2) | instid1(VALU_DEP_1)
	v_rcp_iflag_f32_e32 v1, v1
	s_waitcnt_depctr 0xfff
	v_mul_f32_e32 v1, 0x4f7ffffe, v1
	v_cvt_u32_f32_e32 v1, v1
	s_delay_alu instid0(VALU_DEP_1) | instskip(NEXT) | instid1(VALU_DEP_1)
	v_readfirstlane_b32 s20, v1
	s_mul_i32 s3, s3, s20
	s_delay_alu instid0(SALU_CYCLE_1) | instskip(NEXT) | instid1(SALU_CYCLE_1)
	s_mul_hi_u32 s3, s20, s3
	s_add_i32 s20, s20, s3
	s_delay_alu instid0(SALU_CYCLE_1) | instskip(NEXT) | instid1(SALU_CYCLE_1)
	s_mul_hi_u32 s3, s14, s20
	s_mul_i32 s20, s3, s19
	s_add_i32 s21, s3, 1
	s_sub_i32 s20, s14, s20
	s_delay_alu instid0(SALU_CYCLE_1)
	s_sub_i32 s22, s20, s19
	s_cmp_ge_u32 s20, s19
	s_cselect_b32 s3, s21, s3
	s_cselect_b32 s20, s22, s20
	s_add_i32 s21, s3, 1
	s_cmp_ge_u32 s20, s19
	s_cselect_b32 s3, s21, s3
	s_delay_alu instid0(SALU_CYCLE_1)
	s_mul_i32 s19, s3, s19
	s_lshl_b32 s3, s3, 7
	s_sub_i32 s14, s14, s19
	v_add_nc_u32_e32 v2, s3, v6
	s_lshl_b32 s14, s14, 6
	s_cmp_lt_i32 s8, 9
	v_add_nc_u32_e32 v4, s14, v6
	s_delay_alu instid0(VALU_DEP_2) | instskip(SKIP_1) | instid1(VALU_DEP_3)
	v_mad_i64_i32 v[0:1], null, v2, s18, 0
	v_add_nc_u32_e32 v7, 64, v2
	v_mad_i64_i32 v[2:3], null, v4, s17, 0
	s_delay_alu instid0(VALU_DEP_2) | instskip(NEXT) | instid1(VALU_DEP_4)
	v_mad_i64_i32 v[4:5], null, v7, s18, 0
	v_lshlrev_b64 v[48:49], 2, v[0:1]
	v_add_co_u32 v7, s17, s10, v58
	s_delay_alu instid0(VALU_DEP_1) | instskip(SKIP_2) | instid1(VALU_DEP_4)
	v_add_co_ci_u32_e64 v8, null, s11, 0, s17
	v_lshlrev_b64 v[0:1], 2, v[2:3]
	v_lshlrev_b64 v[50:51], 2, v[4:5]
	v_add_co_u32 v2, vcc_lo, v7, v48
	s_delay_alu instid0(VALU_DEP_4) | instskip(NEXT) | instid1(VALU_DEP_4)
	v_add_co_ci_u32_e32 v3, vcc_lo, v8, v49, vcc_lo
	v_add_co_u32 v59, vcc_lo, s12, v0
	v_add_co_ci_u32_e32 v60, vcc_lo, s13, v1, vcc_lo
	v_add_co_u32 v0, vcc_lo, v7, v50
	v_add_co_ci_u32_e32 v1, vcc_lo, v8, v51, vcc_lo
	s_delay_alu instid0(VALU_DEP_4) | instskip(NEXT) | instid1(VALU_DEP_4)
	v_add_co_u32 v4, vcc_lo, v59, v58
	v_add_co_ci_u32_e32 v5, vcc_lo, 0, v60, vcc_lo
	s_clause 0x1
	flat_load_b32 v7, v[2:3]
	flat_load_b32 v8, v[0:1]
	s_clause 0x1
	flat_load_b32 v9, v[4:5]
	flat_load_b32 v62, v[4:5] offset:16
	s_clause 0x1
	flat_load_b32 v52, v[0:1] offset:16
	flat_load_b32 v53, v[2:3] offset:16
	s_waitcnt vmcnt(4) lgkmcnt(4)
	ds_store_2addr_stride64_b32 v61, v7, v8 offset1:4
	s_waitcnt vmcnt(3) lgkmcnt(4)
	ds_store_b32 v61, v9 offset:4096
	s_waitcnt vmcnt(0) lgkmcnt(0)
	s_barrier
	buffer_gl0_inv
	ds_load_b128 v[40:43], v56
	ds_load_b128 v[36:39], v57 offset:4096
	ds_load_b128 v[28:31], v57 offset:4224
	;; [unrolled: 1-line block ×11, first 2 shown]
	ds_store_b32 v61, v62 offset:5120
	ds_store_2addr_stride64_b32 v61, v53, v52 offset0:8 offset1:12
	s_waitcnt lgkmcnt(0)
	s_barrier
	buffer_gl0_inv
	v_dual_max_f32 v41, v41, v41 :: v_dual_max_f32 v36, v36, v36
	v_dual_max_f32 v37, v37, v37 :: v_dual_max_f32 v40, v40, v40
	;; [unrolled: 1-line block ×24, first 2 shown]
	v_dual_min_f32 v63, v37, v41 :: v_dual_min_f32 v62, v36, v40
	v_dual_min_f32 v65, v29, v41 :: v_dual_min_f32 v64, v28, v40
	;; [unrolled: 1-line block ×52, first 2 shown]
	v_min_f32_e32 v155, v14, v34
	v_dual_min_f32 v156, v10, v34 :: v_dual_min_f32 v39, v39, v27
	v_dual_min_f32 v157, v6, v34 :: v_dual_min_f32 v158, v15, v35
	;; [unrolled: 1-line block ×4, first 2 shown]
	v_min_f32_e32 v30, v30, v26
	v_dual_min_f32 v22, v22, v26 :: v_dual_min_f32 v15, v15, v27
	v_dual_min_f32 v18, v18, v26 :: v_dual_min_f32 v11, v11, v27
	v_min_f32_e32 v14, v14, v26
	v_min_f32_e32 v10, v10, v26
	v_min_f32_e32 v6, v6, v26
	v_min_f32_e32 v2, v2, v26
	v_min_f32_e32 v26, v19, v35
	v_min_f32_e32 v160, v7, v35
	v_min_f32_e32 v35, v3, v35
	v_min_f32_e32 v19, v19, v27
	v_min_f32_e32 v7, v7, v27
	v_min_f32_e32 v3, v3, v27
	v_add_f32_e32 v27, 0, v63
	v_dual_add_f32 v63, 0, v68 :: v_dual_add_f32 v68, 0, v73
	v_dual_add_f32 v40, 0, v40 :: v_dual_add_f32 v73, 0, v78
	s_delay_alu instid0(VALU_DEP_3) | instskip(SKIP_2) | instid1(VALU_DEP_3)
	v_dual_add_f32 v132, v25, v27 :: v_dual_add_f32 v25, 0, v62
	v_dual_add_f32 v27, 0, v66 :: v_dual_add_f32 v62, 0, v67
	v_dual_add_f32 v66, 0, v71 :: v_dual_add_f32 v67, 0, v72
	v_dual_add_f32 v133, v24, v25 :: v_dual_add_f32 v24, 0, v64
	v_add_f32_e32 v25, 0, v65
	v_dual_add_f32 v64, 0, v69 :: v_dual_add_f32 v65, 0, v70
	v_dual_add_f32 v69, 0, v74 :: v_dual_add_f32 v70, 0, v75
	v_add_f32_e32 v41, 0, v41
	v_dual_add_f32 v71, 0, v76 :: v_dual_add_f32 v72, 0, v77
	v_dual_add_f32 v74, 0, v79 :: v_dual_add_f32 v75, 0, v80
	;; [unrolled: 1-line block ×53, first 2 shown]
	v_add_f32_e32 v74, v6, v4
	v_dual_add_f32 v72, v3, v1 :: v_dual_add_f32 v73, v2, v0
	s_cbranch_scc1 .LBB85_12
; %bb.10:
	v_add_co_u32 v68, vcc_lo, s10, v50
	v_add_co_ci_u32_e32 v69, vcc_lo, s11, v51, vcc_lo
	v_add_co_u32 v70, vcc_lo, s10, v48
	v_add_nc_u32_e32 v62, 0x1000, v61
	v_add_nc_u32_e32 v63, 0x1000, v57
	;; [unrolled: 1-line block ×4, first 2 shown]
	v_lshl_add_u32 v66, v54, 4, 0x1400
	v_lshl_add_u32 v67, v55, 4, 0x800
	v_add_co_ci_u32_e32 v71, vcc_lo, s11, v49, vcc_lo
	s_add_i32 s8, s8, -8
	s_mov_b32 s10, 0
.LBB85_11:                              ; =>This Inner Loop Header: Depth=1
	v_add_co_u32 v48, vcc_lo, v59, v58
	v_add_co_ci_u32_e32 v49, vcc_lo, 0, v60, vcc_lo
	v_add_co_u32 v50, vcc_lo, v70, v58
	v_add_co_ci_u32_e32 v51, vcc_lo, 0, v71, vcc_lo
	;; [unrolled: 2-line block ×3, first 2 shown]
	flat_load_b32 v138, v[48:49] offset:32
	flat_load_b32 v136, v[50:51] offset:32
	v_add_co_u32 v68, vcc_lo, v68, 32
	flat_load_b32 v137, v[52:53] offset:32
	ds_load_b128 v[40:43], v66
	ds_load_b128 v[36:39], v66 offset:128
	ds_load_b128 v[32:35], v66 offset:256
	;; [unrolled: 1-line block ×7, first 2 shown]
	ds_load_b128 v[44:47], v67
	ds_load_b128 v[20:23], v67 offset:512
	ds_load_b128 v[4:7], v67 offset:1024
	;; [unrolled: 1-line block ×3, first 2 shown]
	v_add_co_ci_u32_e32 v69, vcc_lo, 0, v69, vcc_lo
	v_add_co_u32 v70, vcc_lo, v70, 32
	v_add_co_ci_u32_e32 v71, vcc_lo, 0, v71, vcc_lo
	v_add_co_u32 v59, vcc_lo, v59, 32
	s_waitcnt lgkmcnt(11)
	v_dual_max_f32 v141, v40, v40 :: v_dual_max_f32 v142, v41, v41
	s_waitcnt lgkmcnt(9)
	v_dual_max_f32 v145, v32, v32 :: v_dual_max_f32 v146, v33, v33
	;; [unrolled: 2-line block ×5, first 2 shown]
	v_dual_max_f32 v147, v16, v16 :: v_dual_max_f32 v148, v17, v17
	v_dual_max_f32 v12, v12, v12 :: v_dual_max_f32 v13, v13, v13
	s_delay_alu instid0(VALU_DEP_3) | instskip(SKIP_1) | instid1(VALU_DEP_4)
	v_dual_min_f32 v40, v141, v44 :: v_dual_min_f32 v41, v142, v45
	v_dual_min_f32 v32, v145, v44 :: v_dual_min_f32 v33, v146, v45
	;; [unrolled: 1-line block ×3, first 2 shown]
	s_delay_alu instid0(VALU_DEP_3) | instskip(NEXT) | instid1(VALU_DEP_3)
	v_dual_add_f32 v139, v40, v133 :: v_dual_add_f32 v140, v41, v132
	v_dual_add_f32 v132, v32, v131 :: v_dual_add_f32 v133, v33, v130
	v_dual_min_f32 v32, v28, v44 :: v_dual_min_f32 v33, v29, v45
	v_dual_max_f32 v149, v8, v8 :: v_dual_max_f32 v150, v9, v9
	v_dual_max_f32 v143, v36, v36 :: v_dual_max_f32 v144, v37, v37
	s_delay_alu instid0(VALU_DEP_3) | instskip(SKIP_1) | instid1(VALU_DEP_4)
	v_dual_add_f32 v130, v32, v129 :: v_dual_add_f32 v131, v33, v128
	v_dual_min_f32 v32, v24, v44 :: v_dual_min_f32 v33, v25, v45
	v_dual_min_f32 v8, v149, v44 :: v_dual_min_f32 v9, v150, v45
	s_waitcnt lgkmcnt(1)
	s_delay_alu instid0(VALU_DEP_2) | instskip(NEXT) | instid1(VALU_DEP_3)
	v_dual_max_f32 v5, v5, v5 :: v_dual_add_f32 v128, v32, v127
	v_dual_add_f32 v129, v33, v126 :: v_dual_add_f32 v126, v16, v125
	v_add_f32_e32 v127, v17, v124
	v_dual_min_f32 v16, v12, v44 :: v_dual_min_f32 v17, v13, v45
	v_dual_min_f32 v36, v143, v44 :: v_dual_min_f32 v37, v144, v45
	v_max_f32_e32 v4, v4, v4
	s_delay_alu instid0(VALU_DEP_3) | instskip(SKIP_4) | instid1(VALU_DEP_3)
	v_dual_add_f32 v124, v16, v123 :: v_dual_add_f32 v125, v17, v122
	v_dual_add_f32 v122, v8, v121 :: v_dual_add_f32 v123, v9, v120
	v_max_f32_e32 v8, v20, v20
	v_dual_max_f32 v16, v21, v21 :: v_dual_add_f32 v135, v36, v135
	v_dual_add_f32 v134, v37, v134 :: v_dual_max_f32 v47, v47, v47
	v_dual_max_f32 v26, v26, v26 :: v_dual_min_f32 v9, v141, v8
	v_max_f32_e32 v39, v39, v39
	v_dual_max_f32 v27, v27, v27 :: v_dual_max_f32 v22, v22, v22
	v_dual_max_f32 v35, v35, v35 :: v_dual_max_f32 v10, v10, v10
	s_delay_alu instid0(VALU_DEP_4) | instskip(SKIP_4) | instid1(VALU_DEP_4)
	v_add_f32_e32 v119, v9, v119
	v_min_f32_e32 v9, v143, v8
	v_min_f32_e32 v17, v142, v16
	v_dual_max_f32 v43, v43, v43 :: v_dual_max_f32 v18, v18, v18
	v_max_f32_e32 v11, v11, v11
	v_add_f32_e32 v117, v9, v117
	s_delay_alu instid0(VALU_DEP_4)
	v_dual_add_f32 v118, v17, v118 :: v_dual_min_f32 v17, v144, v16
	v_min_f32_e32 v9, v145, v8
	v_dual_max_f32 v23, v23, v23 :: v_dual_max_f32 v6, v6, v6
	s_waitcnt lgkmcnt(0)
	v_dual_max_f32 v2, v2, v2 :: v_dual_max_f32 v3, v3, v3
	v_add_f32_e32 v116, v17, v116
	v_min_f32_e32 v17, v146, v16
	v_add_f32_e32 v115, v9, v115
	v_min_f32_e32 v9, v28, v8
	v_max_f32_e32 v7, v7, v7
	v_add_co_ci_u32_e32 v60, vcc_lo, 0, v60, vcc_lo
	v_add_f32_e32 v114, v17, v114
	v_min_f32_e32 v17, v29, v16
	v_add_f32_e32 v113, v9, v113
	s_add_i32 s10, s10, 8
	v_max_f32_e32 v42, v42, v42
	s_cmp_ge_i32 s10, s8
	v_add_f32_e32 v112, v17, v112
	v_min_f32_e32 v17, v25, v16
	v_dual_min_f32 v9, v24, v8 :: v_dual_max_f32 v46, v46, v46
	v_dual_max_f32 v31, v31, v31 :: v_dual_max_f32 v38, v38, v38
	s_delay_alu instid0(VALU_DEP_3) | instskip(NEXT) | instid1(VALU_DEP_3)
	v_add_f32_e32 v110, v17, v110
	v_add_f32_e32 v111, v9, v111
	v_min_f32_e32 v17, v148, v16
	v_min_f32_e32 v9, v147, v8
	v_dual_max_f32 v19, v19, v19 :: v_dual_max_f32 v34, v34, v34
	v_max_f32_e32 v30, v30, v30
	s_delay_alu instid0(VALU_DEP_4) | instskip(NEXT) | instid1(VALU_DEP_4)
	v_add_f32_e32 v106, v17, v106
	v_add_f32_e32 v107, v9, v107
	v_min_f32_e32 v17, v13, v16
	v_min_f32_e32 v9, v12, v8
	v_dual_min_f32 v8, v149, v8 :: v_dual_max_f32 v15, v15, v15
	v_max_f32_e32 v14, v14, v14
	s_delay_alu instid0(VALU_DEP_4) | instskip(NEXT) | instid1(VALU_DEP_4)
	v_add_f32_e32 v120, v17, v102
	v_add_f32_e32 v103, v9, v103
	s_delay_alu instid0(VALU_DEP_4)
	v_add_f32_e32 v102, v8, v99
	v_min_f32_e32 v8, v141, v4
	v_min_f32_e32 v9, v150, v16
	s_waitcnt vmcnt(2)
	ds_store_b32 v62, v138
	s_waitcnt vmcnt(0)
	ds_store_2addr_stride64_b32 v61, v136, v137 offset1:4
	v_add_f32_e32 v32, v8, v109
	v_min_f32_e32 v8, v143, v4
	s_waitcnt lgkmcnt(0)
	s_barrier
	buffer_gl0_inv
	flat_load_b32 v136, v[48:49] offset:48
	flat_load_b32 v48, v[50:51] offset:48
	;; [unrolled: 1-line block ×3, first 2 shown]
	v_dual_add_f32 v33, v8, v105 :: v_dual_min_f32 v8, v145, v4
	s_delay_alu instid0(VALU_DEP_1) | instskip(SKIP_1) | instid1(VALU_DEP_1)
	v_add_f32_e32 v36, v8, v101
	v_min_f32_e32 v8, v28, v4
	v_add_f32_e32 v37, v8, v97
	v_min_f32_e32 v8, v24, v4
	s_delay_alu instid0(VALU_DEP_1) | instskip(SKIP_1) | instid1(VALU_DEP_1)
	v_add_f32_e32 v40, v8, v95
	v_min_f32_e32 v8, v147, v4
	v_add_f32_e32 v41, v8, v91
	v_min_f32_e32 v8, v12, v4
	s_delay_alu instid0(VALU_DEP_1) | instskip(SKIP_1) | instid1(VALU_DEP_2)
	v_dual_add_f32 v44, v8, v87 :: v_dual_max_f32 v87, v1, v1
	v_min_f32_e32 v4, v149, v4
	v_min_f32_e32 v8, v29, v87
	s_delay_alu instid0(VALU_DEP_2) | instskip(SKIP_4) | instid1(VALU_DEP_3)
	v_add_f32_e32 v45, v4, v83
	v_max_f32_e32 v83, v0, v0
	v_min_f32_e32 v4, v144, v87
	v_min_f32_e32 v1, v142, v87
	v_dual_add_f32 v21, v8, v80 :: v_dual_min_f32 v80, v27, v47
	v_dual_min_f32 v0, v141, v83 :: v_dual_add_f32 v17, v4, v88
	v_min_f32_e32 v4, v145, v83
	v_dual_add_f32 v121, v9, v98 :: v_dual_min_f32 v8, v24, v83
	v_dual_min_f32 v9, v142, v5 :: v_dual_min_f32 v12, v12, v83
	s_delay_alu instid0(VALU_DEP_3) | instskip(SKIP_2) | instid1(VALU_DEP_4)
	v_add_f32_e32 v4, v4, v85
	v_add_f32_e32 v80, v80, v129
	;; [unrolled: 1-line block ×3, first 2 shown]
	v_dual_add_f32 v98, v9, v108 :: v_dual_min_f32 v9, v144, v5
	v_add_f32_e32 v12, v12, v74
	v_min_f32_e32 v74, v39, v47
	v_min_f32_e32 v1, v143, v83
	v_min_f32_e32 v85, v15, v47
	v_dual_add_f32 v99, v9, v104 :: v_dual_add_f32 v8, v8, v79
	v_min_f32_e32 v9, v146, v5
	s_delay_alu instid0(VALU_DEP_4) | instskip(SKIP_1) | instid1(VALU_DEP_3)
	v_dual_add_f32 v74, v74, v134 :: v_dual_add_f32 v1, v1, v89
	v_add_f32_e32 v0, v0, v93
	v_add_f32_e32 v100, v9, v100
	v_min_f32_e32 v9, v29, v5
	s_delay_alu instid0(VALU_DEP_1) | instskip(SKIP_1) | instid1(VALU_DEP_2)
	v_dual_min_f32 v29, v150, v87 :: v_dual_add_f32 v96, v9, v96
	v_min_f32_e32 v9, v25, v5
	v_dual_add_f32 v29, v29, v72 :: v_dual_min_f32 v72, v43, v47
	s_delay_alu instid0(VALU_DEP_2) | instskip(NEXT) | instid1(VALU_DEP_2)
	v_dual_add_f32 v94, v9, v94 :: v_dual_min_f32 v9, v148, v5
	v_add_f32_e32 v72, v72, v140
	s_delay_alu instid0(VALU_DEP_2) | instskip(SKIP_1) | instid1(VALU_DEP_1)
	v_add_f32_e32 v90, v9, v90
	v_min_f32_e32 v9, v13, v5
	v_dual_min_f32 v5, v150, v5 :: v_dual_add_f32 v86, v9, v86
	v_min_f32_e32 v9, v25, v87
	s_delay_alu instid0(VALU_DEP_2) | instskip(NEXT) | instid1(VALU_DEP_2)
	v_dual_min_f32 v25, v148, v87 :: v_dual_add_f32 v82, v5, v82
	v_dual_min_f32 v5, v146, v87 :: v_dual_add_f32 v24, v9, v78
	v_min_f32_e32 v9, v147, v83
	s_delay_alu instid0(VALU_DEP_3) | instskip(SKIP_1) | instid1(VALU_DEP_4)
	v_dual_add_f32 v25, v25, v76 :: v_dual_min_f32 v76, v35, v47
	v_min_f32_e32 v13, v13, v87
	v_dual_add_f32 v20, v5, v84 :: v_dual_min_f32 v5, v28, v83
	s_delay_alu instid0(VALU_DEP_4) | instskip(NEXT) | instid1(VALU_DEP_4)
	v_add_f32_e32 v9, v9, v77
	v_dual_min_f32 v77, v34, v46 :: v_dual_add_f32 v76, v76, v133
	s_delay_alu instid0(VALU_DEP_4)
	v_add_f32_e32 v28, v13, v75
	v_min_f32_e32 v13, v149, v83
	v_min_f32_e32 v78, v31, v47
	;; [unrolled: 1-line block ×5, first 2 shown]
	v_add_f32_e32 v13, v13, v73
	v_min_f32_e32 v73, v42, v46
	v_min_f32_e32 v84, v18, v46
	v_add_f32_e32 v88, v47, v123
	v_min_f32_e32 v47, v43, v23
	v_add_f32_e32 v75, v75, v135
	s_delay_alu instid0(VALU_DEP_4) | instskip(SKIP_1) | instid1(VALU_DEP_4)
	v_dual_add_f32 v73, v73, v139 :: v_dual_add_f32 v84, v84, v126
	v_add_f32_e32 v5, v5, v81
	v_add_f32_e32 v91, v47, v118
	v_min_f32_e32 v47, v39, v23
	v_min_f32_e32 v79, v30, v46
	;; [unrolled: 1-line block ×5, first 2 shown]
	v_add_f32_e32 v108, v47, v116
	v_min_f32_e32 v47, v35, v23
	v_dual_add_f32 v77, v77, v132 :: v_dual_add_f32 v78, v78, v131
	s_delay_alu instid0(VALU_DEP_4) | instskip(SKIP_1) | instid1(VALU_DEP_4)
	v_add_f32_e32 v89, v46, v122
	v_min_f32_e32 v46, v42, v22
	v_add_f32_e32 v109, v47, v114
	v_min_f32_e32 v47, v31, v23
	s_delay_alu instid0(VALU_DEP_3) | instskip(SKIP_1) | instid1(VALU_DEP_3)
	v_dual_add_f32 v79, v79, v130 :: v_dual_add_f32 v118, v46, v119
	v_min_f32_e32 v46, v38, v22
	v_add_f32_e32 v112, v47, v112
	v_add_f32_e32 v81, v81, v128
	s_delay_alu instid0(VALU_DEP_3) | instskip(SKIP_1) | instid1(VALU_DEP_2)
	v_dual_min_f32 v47, v27, v23 :: v_dual_add_f32 v116, v46, v117
	v_dual_add_f32 v83, v83, v127 :: v_dual_min_f32 v46, v34, v22
	v_add_f32_e32 v110, v47, v110
	v_min_f32_e32 v47, v19, v23
	s_delay_alu instid0(VALU_DEP_3) | instskip(SKIP_1) | instid1(VALU_DEP_1)
	v_add_f32_e32 v115, v46, v115
	v_min_f32_e32 v46, v30, v22
	v_add_f32_e32 v117, v46, v113
	v_dual_min_f32 v46, v26, v22 :: v_dual_add_f32 v85, v85, v125
	s_delay_alu instid0(VALU_DEP_1) | instskip(SKIP_3) | instid1(VALU_DEP_1)
	v_add_f32_e32 v119, v46, v111
	v_add_f32_e32 v111, v47, v106
	v_min_f32_e32 v47, v15, v23
	v_dual_min_f32 v23, v11, v23 :: v_dual_min_f32 v46, v18, v22
	v_add_f32_e32 v114, v23, v121
	s_delay_alu instid0(VALU_DEP_2) | instskip(SKIP_2) | instid1(VALU_DEP_1)
	v_dual_add_f32 v87, v87, v124 :: v_dual_add_f32 v122, v46, v107
	v_min_f32_e32 v46, v14, v22
	v_min_f32_e32 v22, v10, v22
	v_add_f32_e32 v121, v22, v102
	v_min_f32_e32 v22, v42, v6
	s_delay_alu instid0(VALU_DEP_1) | instskip(SKIP_1) | instid1(VALU_DEP_1)
	v_add_f32_e32 v124, v22, v32
	v_min_f32_e32 v22, v38, v6
	v_add_f32_e32 v126, v22, v33
	v_min_f32_e32 v22, v34, v6
	s_delay_alu instid0(VALU_DEP_1) | instskip(SKIP_2) | instid1(VALU_DEP_2)
	v_add_f32_e32 v128, v22, v36
	v_dual_min_f32 v22, v30, v6 :: v_dual_add_f32 v113, v47, v120
	v_add_f32_e32 v120, v46, v103
	v_add_f32_e32 v130, v22, v37
	v_min_f32_e32 v22, v26, v6
	s_delay_alu instid0(VALU_DEP_1) | instskip(SKIP_1) | instid1(VALU_DEP_1)
	v_add_f32_e32 v132, v22, v40
	v_dual_min_f32 v22, v18, v6 :: v_dual_min_f32 v23, v43, v7
	v_add_f32_e32 v134, v22, v41
	v_min_f32_e32 v22, v14, v6
	v_min_f32_e32 v6, v10, v6
	s_delay_alu instid0(VALU_DEP_1) | instskip(SKIP_1) | instid1(VALU_DEP_1)
	v_add_f32_e32 v141, v6, v45
	v_min_f32_e32 v6, v42, v2
	v_add_f32_e32 v143, v6, v0
	v_min_f32_e32 v0, v38, v2
	v_min_f32_e32 v6, v39, v3
	v_add_f32_e32 v123, v23, v98
	v_min_f32_e32 v23, v39, v7
	s_delay_alu instid0(VALU_DEP_4) | instskip(SKIP_1) | instid1(VALU_DEP_3)
	v_add_f32_e32 v145, v0, v1
	v_dual_min_f32 v1, v35, v3 :: v_dual_min_f32 v0, v34, v2
	v_add_f32_e32 v125, v23, v99
	v_dual_min_f32 v23, v35, v7 :: v_dual_add_f32 v144, v6, v17
	s_delay_alu instid0(VALU_DEP_3) | instskip(NEXT) | instid1(VALU_DEP_4)
	v_dual_add_f32 v146, v1, v20 :: v_dual_min_f32 v1, v31, v3
	v_dual_add_f32 v147, v0, v4 :: v_dual_min_f32 v0, v30, v2
	s_delay_alu instid0(VALU_DEP_2) | instskip(SKIP_2) | instid1(VALU_DEP_4)
	v_dual_add_f32 v127, v23, v100 :: v_dual_add_f32 v148, v1, v21
	v_min_f32_e32 v1, v27, v3
	v_min_f32_e32 v23, v31, v7
	v_dual_add_f32 v149, v0, v5 :: v_dual_min_f32 v0, v26, v2
	s_delay_alu instid0(VALU_DEP_3) | instskip(NEXT) | instid1(VALU_DEP_3)
	v_add_f32_e32 v150, v1, v24
	v_add_f32_e32 v129, v23, v96
	v_min_f32_e32 v1, v19, v3
	v_min_f32_e32 v23, v27, v7
	v_dual_add_f32 v151, v0, v8 :: v_dual_min_f32 v0, v18, v2
	s_delay_alu instid0(VALU_DEP_3) | instskip(NEXT) | instid1(VALU_DEP_3)
	v_dual_add_f32 v152, v1, v25 :: v_dual_min_f32 v1, v15, v3
	v_add_f32_e32 v131, v23, v94
	v_min_f32_e32 v23, v19, v7
	s_delay_alu instid0(VALU_DEP_4) | instskip(NEXT) | instid1(VALU_DEP_4)
	v_dual_add_f32 v153, v0, v9 :: v_dual_min_f32 v0, v14, v2
	v_dual_add_f32 v154, v1, v28 :: v_dual_min_f32 v1, v11, v3
	s_delay_alu instid0(VALU_DEP_3) | instskip(SKIP_4) | instid1(VALU_DEP_4)
	v_add_f32_e32 v133, v23, v90
	v_min_f32_e32 v23, v15, v7
	v_min_f32_e32 v7, v11, v7
	v_dual_add_f32 v155, v0, v12 :: v_dual_min_f32 v0, v10, v2
	v_add_f32_e32 v139, v22, v44
	v_add_f32_e32 v135, v23, v86
	s_delay_alu instid0(VALU_DEP_4) | instskip(SKIP_1) | instid1(VALU_DEP_1)
	v_add_f32_e32 v140, v7, v82
	v_dual_min_f32 v7, v43, v3 :: v_dual_add_f32 v156, v1, v29
	v_dual_add_f32 v157, v0, v13 :: v_dual_add_f32 v142, v7, v16
	ds_load_b128 v[40:43], v63
	ds_load_b128 v[36:39], v63 offset:128
	ds_load_b128 v[32:35], v63 offset:256
	;; [unrolled: 1-line block ×7, first 2 shown]
	ds_load_b128 v[44:47], v56
	ds_load_b128 v[12:15], v56 offset:512
	ds_load_b128 v[4:7], v56 offset:1024
	;; [unrolled: 1-line block ×3, first 2 shown]
	s_waitcnt vmcnt(2) lgkmcnt(14)
	ds_store_b32 v64, v136
	s_waitcnt vmcnt(0) lgkmcnt(13)
	ds_store_2addr_stride64_b32 v65, v48, v49 offset1:4
	s_waitcnt lgkmcnt(5)
	v_max_f32_e32 v44, v44, v44
	v_dual_max_f32 v158, v36, v36 :: v_dual_max_f32 v161, v33, v33
	v_dual_max_f32 v162, v20, v20 :: v_dual_max_f32 v29, v29, v29
	v_max_f32_e32 v164, v16, v16
	s_delay_alu instid0(VALU_DEP_3) | instskip(NEXT) | instid1(VALU_DEP_3)
	v_dual_min_f32 v36, v158, v44 :: v_dual_max_f32 v45, v45, v45
	v_dual_min_f32 v20, v162, v44 :: v_dual_max_f32 v25, v25, v25
	s_delay_alu instid0(VALU_DEP_3) | instskip(NEXT) | instid1(VALU_DEP_3)
	v_min_f32_e32 v16, v164, v44
	v_dual_add_f32 v104, v36, v75 :: v_dual_min_f32 v33, v161, v45
	s_delay_alu instid0(VALU_DEP_3) | instskip(SKIP_4) | instid1(VALU_DEP_4)
	v_add_f32_e32 v96, v20, v84
	v_max_f32_e32 v166, v8, v8
	v_max_f32_e32 v138, v41, v41
	v_dual_max_f32 v159, v37, v37 :: v_dual_max_f32 v24, v24, v24
	v_dual_add_f32 v103, v33, v76 :: v_dual_add_f32 v94, v16, v87
	v_dual_min_f32 v33, v29, v45 :: v_dual_min_f32 v8, v166, v44
	v_dual_max_f32 v165, v17, v17 :: v_dual_max_f32 v160, v32, v32
	v_max_f32_e32 v167, v9, v9
	s_delay_alu instid0(VALU_DEP_3)
	v_dual_add_f32 v101, v33, v78 :: v_dual_add_f32 v92, v8, v89
	s_waitcnt lgkmcnt(4)
	v_dual_min_f32 v33, v25, v45 :: v_dual_max_f32 v8, v12, v12
	v_max_f32_e32 v12, v13, v13
	v_dual_min_f32 v17, v165, v45 :: v_dual_min_f32 v32, v160, v44
	v_dual_max_f32 v28, v28, v28 :: v_dual_min_f32 v41, v138, v45
	s_delay_alu instid0(VALU_DEP_3) | instskip(NEXT) | instid1(VALU_DEP_3)
	v_min_f32_e32 v13, v138, v12
	v_add_f32_e32 v95, v17, v85
	s_delay_alu instid0(VALU_DEP_4) | instskip(NEXT) | instid1(VALU_DEP_4)
	v_add_f32_e32 v102, v32, v77
	v_min_f32_e32 v32, v28, v44
	v_add_f32_e32 v107, v41, v72
	v_dual_add_f32 v84, v13, v91 :: v_dual_min_f32 v13, v159, v12
	s_delay_alu instid0(VALU_DEP_3) | instskip(SKIP_2) | instid1(VALU_DEP_4)
	v_dual_min_f32 v37, v159, v45 :: v_dual_add_f32 v100, v32, v79
	v_min_f32_e32 v32, v24, v44
	v_add_f32_e32 v99, v33, v80
	v_add_f32_e32 v85, v13, v108
	v_min_f32_e32 v13, v161, v12
	s_waitcnt lgkmcnt(2)
	v_dual_max_f32 v137, v40, v40 :: v_dual_max_f32 v108, v1, v1
	v_max_f32_e32 v163, v21, v21
	v_dual_add_f32 v105, v37, v74 :: v_dual_add_f32 v98, v32, v81
	v_add_f32_e32 v86, v13, v109
	s_delay_alu instid0(VALU_DEP_4) | instskip(SKIP_3) | instid1(VALU_DEP_4)
	v_dual_min_f32 v40, v137, v44 :: v_dual_min_f32 v9, v167, v45
	v_min_f32_e32 v1, v138, v108
	v_min_f32_e32 v13, v29, v12
	v_max_f32_e32 v4, v4, v4
	v_dual_add_f32 v106, v40, v73 :: v_dual_add_f32 v93, v9, v88
	v_min_f32_e32 v9, v137, v8
	v_add_f32_e32 v16, v1, v142
	v_add_f32_e32 v87, v13, v112
	v_dual_min_f32 v13, v25, v12 :: v_dual_max_f32 v46, v46, v46
	s_delay_alu instid0(VALU_DEP_4) | instskip(SKIP_1) | instid1(VALU_DEP_3)
	v_dual_add_f32 v76, v9, v118 :: v_dual_min_f32 v9, v158, v8
	v_max_f32_e32 v5, v5, v5
	v_add_f32_e32 v88, v13, v110
	v_max_f32_e32 v38, v38, v38
	s_delay_alu instid0(VALU_DEP_4) | instskip(SKIP_4) | instid1(VALU_DEP_4)
	v_dual_max_f32 v34, v34, v34 :: v_dual_add_f32 v77, v9, v116
	v_dual_min_f32 v9, v160, v8 :: v_dual_max_f32 v14, v14, v14
	v_max_f32_e32 v47, v47, v47
	v_max_f32_e32 v43, v43, v43
	;; [unrolled: 1-line block ×3, first 2 shown]
	v_dual_add_f32 v78, v9, v115 :: v_dual_min_f32 v9, v28, v8
	s_delay_alu instid0(VALU_DEP_3) | instskip(SKIP_1) | instid1(VALU_DEP_3)
	v_dual_max_f32 v30, v30, v30 :: v_dual_min_f32 v109, v43, v47
	v_dual_max_f32 v42, v42, v42 :: v_dual_max_f32 v35, v35, v35
	v_add_f32_e32 v79, v9, v117
	v_min_f32_e32 v9, v24, v8
	v_dual_max_f32 v31, v31, v31 :: v_dual_max_f32 v6, v6, v6
	v_max_f32_e32 v27, v27, v27
	v_max_f32_e32 v23, v23, v23
	s_delay_alu instid0(VALU_DEP_4) | instskip(SKIP_3) | instid1(VALU_DEP_4)
	v_dual_add_f32 v80, v9, v119 :: v_dual_min_f32 v9, v162, v8
	v_max_f32_e32 v26, v26, v26
	v_dual_max_f32 v22, v22, v22 :: v_dual_max_f32 v19, v19, v19
	v_max_f32_e32 v10, v10, v10
	v_add_f32_e32 v81, v9, v122
	v_min_f32_e32 v9, v164, v8
	v_dual_min_f32 v8, v166, v8 :: v_dual_min_f32 v21, v163, v45
	v_dual_max_f32 v11, v11, v11 :: v_dual_max_f32 v2, v2, v2
	s_delay_alu instid0(VALU_DEP_3) | instskip(NEXT) | instid1(VALU_DEP_3)
	v_dual_add_f32 v82, v9, v120 :: v_dual_max_f32 v15, v15, v15
	v_add_f32_e32 v97, v21, v83
	s_delay_alu instid0(VALU_DEP_4) | instskip(SKIP_3) | instid1(VALU_DEP_3)
	v_dual_add_f32 v83, v8, v121 :: v_dual_min_f32 v8, v137, v4
	v_dual_max_f32 v18, v18, v18 :: v_dual_max_f32 v3, v3, v3
	v_max_f32_e32 v7, v7, v7
	s_waitcnt lgkmcnt(0)
	v_add_f32_e32 v32, v8, v124
	v_min_f32_e32 v8, v158, v4
	s_barrier
	buffer_gl0_inv
	v_add_f32_e32 v33, v8, v126
	v_min_f32_e32 v8, v160, v4
	s_delay_alu instid0(VALU_DEP_1) | instskip(SKIP_1) | instid1(VALU_DEP_1)
	v_add_f32_e32 v36, v8, v128
	v_min_f32_e32 v9, v167, v12
	v_dual_min_f32 v8, v28, v4 :: v_dual_add_f32 v91, v9, v114
	v_min_f32_e32 v9, v138, v5
	s_delay_alu instid0(VALU_DEP_2) | instskip(SKIP_1) | instid1(VALU_DEP_3)
	v_add_f32_e32 v37, v8, v130
	v_min_f32_e32 v8, v24, v4
	v_dual_add_f32 v50, v9, v123 :: v_dual_min_f32 v9, v159, v5
	s_delay_alu instid0(VALU_DEP_2)
	v_add_f32_e32 v40, v8, v132
	v_min_f32_e32 v8, v162, v4
	v_add_f32_e32 v132, v109, v107
	v_min_f32_e32 v107, v39, v47
	;; [unrolled: 2-line block ×3, first 2 shown]
	v_min_f32_e32 v13, v163, v12
	v_add_f32_e32 v41, v8, v134
	v_min_f32_e32 v8, v164, v4
	v_min_f32_e32 v4, v166, v4
	v_add_f32_e32 v52, v9, v127
	v_add_f32_e32 v89, v13, v111
	s_delay_alu instid0(VALU_DEP_4) | instskip(SKIP_3) | instid1(VALU_DEP_4)
	v_dual_min_f32 v9, v29, v5 :: v_dual_add_f32 v44, v8, v139
	v_min_f32_e32 v8, v29, v108
	v_min_f32_e32 v29, v167, v108
	v_min_f32_e32 v13, v165, v12
	v_add_f32_e32 v53, v9, v129
	v_min_f32_e32 v9, v25, v5
	v_add_f32_e32 v45, v4, v141
	s_delay_alu instid0(VALU_DEP_4) | instskip(NEXT) | instid1(VALU_DEP_3)
	v_dual_add_f32 v21, v8, v148 :: v_dual_add_f32 v90, v13, v113
	v_dual_max_f32 v13, v0, v0 :: v_dual_add_f32 v72, v9, v131
	v_min_f32_e32 v9, v163, v5
	v_add_f32_e32 v134, v107, v105
	s_delay_alu instid0(VALU_DEP_3) | instskip(NEXT) | instid1(VALU_DEP_3)
	v_dual_min_f32 v105, v35, v47 :: v_dual_min_f32 v8, v24, v13
	v_dual_min_f32 v4, v159, v108 :: v_dual_add_f32 v73, v9, v133
	v_min_f32_e32 v9, v165, v5
	s_delay_alu instid0(VALU_DEP_3) | instskip(SKIP_2) | instid1(VALU_DEP_4)
	v_add_f32_e32 v130, v105, v103
	v_dual_min_f32 v103, v31, v47 :: v_dual_min_f32 v0, v137, v13
	v_min_f32_e32 v12, v163, v108
	v_add_f32_e32 v74, v9, v135
	v_min_f32_e32 v9, v25, v108
	v_min_f32_e32 v5, v167, v5
	v_add_f32_e32 v128, v103, v101
	v_min_f32_e32 v101, v27, v47
	s_delay_alu instid0(VALU_DEP_4) | instskip(NEXT) | instid1(VALU_DEP_4)
	v_dual_min_f32 v1, v158, v13 :: v_dual_add_f32 v24, v9, v150
	v_add_f32_e32 v75, v5, v140
	v_min_f32_e32 v5, v161, v108
	s_delay_alu instid0(VALU_DEP_4) | instskip(NEXT) | instid1(VALU_DEP_4)
	v_add_f32_e32 v126, v101, v99
	v_add_f32_e32 v1, v1, v145
	v_min_f32_e32 v99, v23, v47
	v_add_f32_e32 v0, v0, v143
	v_add_f32_e32 v17, v4, v144
	v_min_f32_e32 v4, v160, v13
	;; [unrolled: 3-line block ×3, first 2 shown]
	v_min_f32_e32 v9, v162, v13
	v_min_f32_e32 v47, v11, v47
	v_add_f32_e32 v29, v29, v156
	s_delay_alu instid0(VALU_DEP_4) | instskip(NEXT) | instid1(VALU_DEP_4)
	v_dual_min_f32 v5, v28, v13 :: v_dual_add_f32 v122, v97, v95
	v_add_f32_e32 v9, v9, v153
	s_delay_alu instid0(VALU_DEP_4) | instskip(SKIP_4) | instid1(VALU_DEP_4)
	v_add_f32_e32 v120, v47, v93
	v_min_f32_e32 v47, v43, v15
	v_add_f32_e32 v25, v12, v152
	v_min_f32_e32 v12, v164, v13
	v_dual_min_f32 v28, v165, v108 :: v_dual_min_f32 v13, v166, v13
	v_add_f32_e32 v118, v47, v84
	v_dual_min_f32 v108, v42, v46 :: v_dual_min_f32 v47, v39, v15
	s_delay_alu instid0(VALU_DEP_3) | instskip(SKIP_1) | instid1(VALU_DEP_3)
	v_dual_add_f32 v4, v4, v147 :: v_dual_add_f32 v13, v13, v157
	v_add_f32_e32 v12, v12, v155
	v_dual_add_f32 v133, v108, v106 :: v_dual_add_f32 v116, v47, v85
	v_dual_min_f32 v106, v38, v46 :: v_dual_min_f32 v47, v35, v15
	v_add_f32_e32 v8, v8, v151
	s_delay_alu instid0(VALU_DEP_2) | instskip(NEXT) | instid1(VALU_DEP_3)
	v_dual_add_f32 v28, v28, v154 :: v_dual_add_f32 v135, v106, v104
	v_add_f32_e32 v114, v47, v86
	v_dual_min_f32 v104, v34, v46 :: v_dual_min_f32 v47, v31, v15
	s_delay_alu instid0(VALU_DEP_1) | instskip(SKIP_1) | instid1(VALU_DEP_1)
	v_dual_add_f32 v131, v104, v102 :: v_dual_add_f32 v112, v47, v87
	v_dual_min_f32 v102, v30, v46 :: v_dual_min_f32 v47, v27, v15
	v_add_f32_e32 v110, v47, v88
	v_min_f32_e32 v47, v23, v15
	s_delay_alu instid0(VALU_DEP_3) | instskip(SKIP_1) | instid1(VALU_DEP_3)
	v_add_f32_e32 v129, v102, v100
	v_min_f32_e32 v100, v26, v46
	v_add_f32_e32 v106, v47, v89
	v_min_f32_e32 v47, v19, v15
	v_min_f32_e32 v15, v11, v15
	s_delay_alu instid0(VALU_DEP_4) | instskip(SKIP_1) | instid1(VALU_DEP_1)
	v_add_f32_e32 v127, v100, v98
	v_dual_min_f32 v98, v22, v46 :: v_dual_add_f32 v5, v5, v149
	v_add_f32_e32 v125, v98, v96
	v_min_f32_e32 v96, v18, v46
	v_min_f32_e32 v46, v10, v46
	s_delay_alu instid0(VALU_DEP_1) | instskip(SKIP_1) | instid1(VALU_DEP_1)
	v_dual_add_f32 v98, v15, v91 :: v_dual_add_f32 v121, v46, v92
	v_min_f32_e32 v46, v42, v14
	v_add_f32_e32 v119, v46, v76
	v_min_f32_e32 v46, v38, v14
	s_delay_alu instid0(VALU_DEP_1) | instskip(SKIP_1) | instid1(VALU_DEP_1)
	v_add_f32_e32 v117, v46, v77
	v_min_f32_e32 v46, v34, v14
	v_add_f32_e32 v115, v46, v78
	v_min_f32_e32 v46, v30, v14
	s_delay_alu instid0(VALU_DEP_1) | instskip(SKIP_1) | instid1(VALU_DEP_1)
	v_add_f32_e32 v113, v46, v79
	v_min_f32_e32 v46, v26, v14
	v_add_f32_e32 v111, v46, v80
	v_min_f32_e32 v46, v22, v14
	s_delay_alu instid0(VALU_DEP_1) | instskip(SKIP_2) | instid1(VALU_DEP_1)
	v_add_f32_e32 v107, v46, v81
	v_min_f32_e32 v46, v18, v14
	v_min_f32_e32 v14, v10, v14
	v_add_f32_e32 v99, v14, v83
	v_min_f32_e32 v14, v42, v6
	s_delay_alu instid0(VALU_DEP_1) | instskip(SKIP_1) | instid1(VALU_DEP_1)
	v_add_f32_e32 v109, v14, v32
	v_min_f32_e32 v14, v38, v6
	v_add_f32_e32 v105, v14, v33
	v_min_f32_e32 v14, v34, v6
	s_delay_alu instid0(VALU_DEP_1) | instskip(SKIP_1) | instid1(VALU_DEP_1)
	v_add_f32_e32 v101, v14, v36
	;; [unrolled: 5-line block ×3, first 2 shown]
	v_min_f32_e32 v14, v22, v6
	v_add_f32_e32 v91, v14, v41
	v_min_f32_e32 v14, v18, v6
	v_min_f32_e32 v6, v10, v6
	s_delay_alu instid0(VALU_DEP_2) | instskip(NEXT) | instid1(VALU_DEP_2)
	v_add_f32_e32 v87, v14, v44
	v_add_f32_e32 v83, v6, v45
	v_min_f32_e32 v6, v42, v2
	s_delay_alu instid0(VALU_DEP_1) | instskip(SKIP_1) | instid1(VALU_DEP_1)
	v_add_f32_e32 v93, v6, v0
	v_min_f32_e32 v0, v38, v2
	v_dual_min_f32 v6, v39, v3 :: v_dual_add_f32 v89, v0, v1
	v_dual_min_f32 v0, v34, v2 :: v_dual_min_f32 v1, v35, v3
	s_delay_alu instid0(VALU_DEP_1) | instskip(NEXT) | instid1(VALU_DEP_2)
	v_dual_add_f32 v88, v6, v17 :: v_dual_add_f32 v85, v0, v4
	v_add_f32_e32 v84, v1, v20
	v_dual_min_f32 v0, v30, v2 :: v_dual_min_f32 v1, v31, v3
	s_delay_alu instid0(VALU_DEP_1) | instskip(NEXT) | instid1(VALU_DEP_2)
	v_add_f32_e32 v81, v0, v5
	v_add_f32_e32 v80, v1, v21
	v_dual_min_f32 v0, v26, v2 :: v_dual_min_f32 v1, v27, v3
	s_delay_alu instid0(VALU_DEP_1) | instskip(NEXT) | instid1(VALU_DEP_2)
	v_dual_add_f32 v102, v47, v90 :: v_dual_add_f32 v79, v0, v8
	v_add_f32_e32 v78, v1, v24
	v_dual_min_f32 v0, v22, v2 :: v_dual_min_f32 v1, v23, v3
	v_min_f32_e32 v15, v43, v7
	s_delay_alu instid0(VALU_DEP_2) | instskip(NEXT) | instid1(VALU_DEP_3)
	v_add_f32_e32 v77, v0, v9
	v_add_f32_e32 v76, v1, v25
	s_delay_alu instid0(VALU_DEP_3) | instskip(SKIP_3) | instid1(VALU_DEP_3)
	v_add_f32_e32 v108, v15, v50
	v_dual_min_f32 v15, v39, v7 :: v_dual_min_f32 v0, v18, v2
	v_add_f32_e32 v123, v96, v94
	v_min_f32_e32 v1, v19, v3
	v_add_f32_e32 v104, v15, v51
	v_min_f32_e32 v15, v35, v7
	s_delay_alu instid0(VALU_DEP_1) | instskip(SKIP_1) | instid1(VALU_DEP_1)
	v_add_f32_e32 v100, v15, v52
	v_min_f32_e32 v15, v31, v7
	v_add_f32_e32 v96, v15, v53
	v_min_f32_e32 v15, v27, v7
	s_delay_alu instid0(VALU_DEP_1) | instskip(SKIP_1) | instid1(VALU_DEP_1)
	v_add_f32_e32 v94, v15, v72
	v_min_f32_e32 v15, v23, v7
	v_add_f32_e32 v90, v15, v73
	v_min_f32_e32 v15, v19, v7
	v_min_f32_e32 v7, v11, v7
	v_add_f32_e32 v103, v46, v82
	s_delay_alu instid0(VALU_DEP_3) | instskip(NEXT) | instid1(VALU_DEP_3)
	v_add_f32_e32 v86, v15, v74
	v_add_f32_e32 v82, v7, v75
	v_min_f32_e32 v7, v43, v3
	v_add_f32_e32 v75, v1, v28
	v_add_f32_e32 v74, v0, v12
	v_dual_min_f32 v0, v10, v2 :: v_dual_min_f32 v1, v11, v3
	s_delay_alu instid0(VALU_DEP_1) | instskip(NEXT) | instid1(VALU_DEP_2)
	v_dual_add_f32 v92, v7, v16 :: v_dual_add_f32 v73, v0, v13
	v_add_f32_e32 v72, v1, v29
	s_cbranch_scc0 .LBB85_11
.LBB85_12:
	s_load_b32 s8, s[0:1], 0x50
	v_add_nc_u32_e32 v48, s3, v55
	ds_load_b128 v[0:3], v57 offset:5120
	ds_load_b128 v[40:43], v56 offset:2048
	v_add_nc_u32_e32 v46, s14, v54
	v_cmp_neq_f32_e64 s10, s9, 0
	v_mov_b32_e32 v52, 0
	v_mov_b32_e32 v50, 0
	s_delay_alu instid0(VALU_DEP_4) | instskip(NEXT) | instid1(VALU_DEP_4)
	v_ashrrev_i32_e32 v47, 31, v46
	s_and_b32 vcc_lo, exec_lo, s10
	s_delay_alu instid0(VALU_DEP_1) | instskip(SKIP_2) | instid1(VALU_DEP_1)
	v_lshlrev_b64 v[44:45], 2, v[46:47]
	s_waitcnt lgkmcnt(0)
	v_mad_i64_i32 v[4:5], null, v48, s8, 0
	v_lshlrev_b64 v[4:5], 2, v[4:5]
	s_delay_alu instid0(VALU_DEP_1) | instskip(NEXT) | instid1(VALU_DEP_1)
	v_add_co_u32 v62, s3, s4, v4
	v_add_co_ci_u32_e64 v63, s3, s5, v5, s3
	s_cbranch_vccz .LBB85_14
; %bb.13:
	s_delay_alu instid0(VALU_DEP_2) | instskip(NEXT) | instid1(VALU_DEP_2)
	v_add_co_u32 v4, vcc_lo, v62, v44
	v_add_co_ci_u32_e32 v5, vcc_lo, v63, v45, vcc_lo
	flat_load_b32 v4, v[4:5]
	s_waitcnt vmcnt(0) lgkmcnt(0)
	v_mul_f32_e32 v50, s9, v4
.LBB85_14:
	s_clause 0x1
	s_load_b64 s[12:13], s[0:1], 0x70
	s_load_b32 s1, s[0:1], 0x68
	v_dual_max_f32 v64, v40, v40 :: v_dual_max_f32 v65, v41, v41
	v_dual_max_f32 v47, v0, v0 :: v_dual_max_f32 v66, v43, v43
	v_max_f32_e32 v49, v1, v1
	v_max_f32_e32 v43, v3, v3
	;; [unrolled: 1-line block ×4, first 2 shown]
	s_delay_alu instid0(VALU_DEP_4) | instskip(NEXT) | instid1(VALU_DEP_4)
	v_dual_min_f32 v0, v47, v64 :: v_dual_min_f32 v1, v49, v65
	v_min_f32_e32 v54, v43, v66
	ds_load_b128 v[36:39], v57 offset:5248
	ds_load_b128 v[32:35], v57 offset:5376
	;; [unrolled: 1-line block ×7, first 2 shown]
	v_min_f32_e32 v55, v42, v67
	v_add_f32_e32 v51, v0, v133
	v_add_f32_e32 v53, v1, v132
	ds_load_b128 v[8:11], v56 offset:2560
	ds_load_b128 v[4:7], v56 offset:3072
	ds_load_b128 v[0:3], v56 offset:3584
	v_add_f32_e32 v51, v55, v51
	s_waitcnt lgkmcnt(0)
	v_mad_i64_i32 v[40:41], null, v48, s1, 0
	s_mul_i32 s0, s15, s13
	s_mul_hi_u32 s3, s15, s12
	s_mul_i32 s11, s16, s12
	s_add_i32 s0, s3, s0
	s_mul_i32 s12, s15, s12
	s_add_i32 s13, s0, s11
	s_delay_alu instid0(VALU_DEP_1)
	v_lshlrev_b64 v[40:41], 2, v[40:41]
	v_dual_add_f32 v56, v54, v53 :: v_dual_add_nc_u32 v53, 8, v46
	s_lshl_b64 s[12:13], s[12:13], 2
	v_cndmask_b32_e64 v55, 0, 1, s10
	s_add_u32 s3, s6, s12
	s_addc_u32 s6, s7, s13
	v_add_f32_e32 v51, v51, v56
	v_add_co_u32 v68, vcc_lo, s3, v40
	v_ashrrev_i32_e32 v54, 31, v53
	v_add_co_ci_u32_e32 v69, vcc_lo, s6, v41, vcc_lo
	s_delay_alu instid0(VALU_DEP_4) | instskip(NEXT) | instid1(VALU_DEP_4)
	v_add_f32_e32 v56, v51, v50
	v_add_co_u32 v50, vcc_lo, v68, v44
	s_delay_alu instid0(VALU_DEP_4)
	v_lshlrev_b64 v[40:41], 2, v[53:54]
	v_cmp_ne_u32_e64 s0, 1, v55
	v_add_co_ci_u32_e32 v51, vcc_lo, v69, v45, vcc_lo
	s_and_not1_b32 vcc_lo, exec_lo, s10
	global_store_b32 v[50:51], v56, off
	s_cbranch_vccnz .LBB85_16
; %bb.15:
	v_add_co_u32 v50, vcc_lo, v62, v40
	v_add_co_ci_u32_e32 v51, vcc_lo, v63, v41, vcc_lo
	flat_load_b32 v50, v[50:51]
	s_waitcnt vmcnt(0) lgkmcnt(0)
	v_mul_f32_e32 v52, s9, v50
.LBB85_16:
	v_dual_max_f32 v51, v37, v37 :: v_dual_max_f32 v50, v36, v36
	v_dual_max_f32 v38, v38, v38 :: v_dual_max_f32 v39, v39, v39
	v_add_co_u32 v57, vcc_lo, v68, v40
	s_delay_alu instid0(VALU_DEP_3) | instskip(NEXT) | instid1(VALU_DEP_3)
	v_dual_min_f32 v36, v51, v65 :: v_dual_min_f32 v37, v50, v64
	v_dual_min_f32 v53, v38, v67 :: v_dual_min_f32 v54, v39, v66
	s_delay_alu instid0(VALU_DEP_2) | instskip(NEXT) | instid1(VALU_DEP_3)
	v_dual_mov_b32 v56, 0 :: v_dual_add_f32 v55, v36, v134
	v_dual_add_f32 v37, v37, v135 :: v_dual_add_nc_u32 v36, 16, v46
	v_add_co_ci_u32_e32 v58, vcc_lo, v69, v41, vcc_lo
	s_delay_alu instid0(VALU_DEP_2) | instskip(NEXT) | instid1(VALU_DEP_3)
	v_dual_add_f32 v54, v54, v55 :: v_dual_add_f32 v53, v53, v37
	v_ashrrev_i32_e32 v37, 31, v36
	s_and_b32 vcc_lo, exec_lo, s0
	s_delay_alu instid0(VALU_DEP_2) | instskip(NEXT) | instid1(VALU_DEP_2)
	v_dual_add_f32 v53, v53, v54 :: v_dual_mov_b32 v54, 0
	v_lshlrev_b64 v[36:37], 2, v[36:37]
	s_delay_alu instid0(VALU_DEP_2)
	v_add_f32_e32 v52, v53, v52
	global_store_b32 v[57:58], v52, off
	s_cbranch_vccnz .LBB85_18
; %bb.17:
	v_add_co_u32 v52, vcc_lo, v62, v36
	v_add_co_ci_u32_e32 v53, vcc_lo, v63, v37, vcc_lo
	flat_load_b32 v52, v[52:53]
	s_waitcnt vmcnt(0) lgkmcnt(0)
	v_mul_f32_e32 v54, s9, v52
.LBB85_18:
	v_dual_max_f32 v53, v33, v33 :: v_dual_max_f32 v52, v32, v32
	v_dual_max_f32 v34, v34, v34 :: v_dual_max_f32 v35, v35, v35
	s_delay_alu instid0(VALU_DEP_2) | instskip(NEXT) | instid1(VALU_DEP_2)
	v_dual_min_f32 v32, v53, v65 :: v_dual_min_f32 v33, v52, v64
	v_min_f32_e32 v55, v34, v67
	s_delay_alu instid0(VALU_DEP_3) | instskip(NEXT) | instid1(VALU_DEP_3)
	v_min_f32_e32 v57, v35, v66
	v_dual_add_f32 v58, v32, v130 :: v_dual_add_f32 v33, v33, v131
	v_add_nc_u32_e32 v32, 24, v46
	s_delay_alu instid0(VALU_DEP_2) | instskip(NEXT) | instid1(VALU_DEP_3)
	v_add_f32_e32 v57, v57, v58
	v_add_f32_e32 v55, v55, v33
	s_delay_alu instid0(VALU_DEP_3) | instskip(NEXT) | instid1(VALU_DEP_2)
	v_ashrrev_i32_e32 v33, 31, v32
	v_add_f32_e32 v55, v55, v57
	v_add_co_u32 v57, vcc_lo, v68, v36
	s_delay_alu instid0(VALU_DEP_3) | instskip(SKIP_1) | instid1(VALU_DEP_4)
	v_lshlrev_b64 v[32:33], 2, v[32:33]
	v_add_co_ci_u32_e32 v58, vcc_lo, v69, v37, vcc_lo
	v_add_f32_e32 v54, v55, v54
	s_and_b32 vcc_lo, exec_lo, s0
	global_store_b32 v[57:58], v54, off
	s_cbranch_vccnz .LBB85_20
; %bb.19:
	v_add_co_u32 v54, vcc_lo, v62, v32
	v_add_co_ci_u32_e32 v55, vcc_lo, v63, v33, vcc_lo
	flat_load_b32 v54, v[54:55]
	s_waitcnt vmcnt(0) lgkmcnt(0)
	v_mul_f32_e32 v56, s9, v54
.LBB85_20:
	v_dual_max_f32 v55, v29, v29 :: v_dual_max_f32 v54, v28, v28
	v_dual_max_f32 v30, v30, v30 :: v_dual_max_f32 v31, v31, v31
	v_add_co_u32 v70, vcc_lo, v68, v32
	s_delay_alu instid0(VALU_DEP_3) | instskip(NEXT) | instid1(VALU_DEP_3)
	v_dual_min_f32 v28, v55, v65 :: v_dual_min_f32 v29, v54, v64
	v_dual_min_f32 v57, v30, v67 :: v_dual_min_f32 v58, v31, v66
	v_add_co_ci_u32_e32 v71, vcc_lo, v69, v33, vcc_lo
	s_delay_alu instid0(VALU_DEP_3) | instskip(NEXT) | instid1(VALU_DEP_4)
	v_dual_add_f32 v59, v28, v128 :: v_dual_add_nc_u32 v28, 32, v46
	v_dual_add_f32 v29, v29, v129 :: v_dual_mov_b32 v60, 0
	s_and_b32 vcc_lo, exec_lo, s0
	s_delay_alu instid0(VALU_DEP_1) | instskip(NEXT) | instid1(VALU_DEP_3)
	v_dual_add_f32 v58, v58, v59 :: v_dual_add_f32 v57, v57, v29
	v_ashrrev_i32_e32 v29, 31, v28
	s_delay_alu instid0(VALU_DEP_2) | instskip(NEXT) | instid1(VALU_DEP_2)
	v_dual_add_f32 v57, v57, v58 :: v_dual_mov_b32 v58, 0
	v_lshlrev_b64 v[28:29], 2, v[28:29]
	s_delay_alu instid0(VALU_DEP_2)
	v_add_f32_e32 v56, v57, v56
	global_store_b32 v[70:71], v56, off
	s_cbranch_vccnz .LBB85_22
; %bb.21:
	v_add_co_u32 v56, vcc_lo, v62, v28
	v_add_co_ci_u32_e32 v57, vcc_lo, v63, v29, vcc_lo
	flat_load_b32 v56, v[56:57]
	s_waitcnt vmcnt(0) lgkmcnt(0)
	v_mul_f32_e32 v58, s9, v56
.LBB85_22:
	v_dual_max_f32 v57, v25, v25 :: v_dual_max_f32 v56, v24, v24
	v_dual_max_f32 v26, v26, v26 :: v_dual_max_f32 v27, v27, v27
	s_delay_alu instid0(VALU_DEP_2) | instskip(NEXT) | instid1(VALU_DEP_2)
	v_dual_min_f32 v24, v57, v65 :: v_dual_min_f32 v25, v56, v64
	v_min_f32_e32 v59, v26, v67
	s_delay_alu instid0(VALU_DEP_3) | instskip(NEXT) | instid1(VALU_DEP_3)
	v_min_f32_e32 v61, v27, v66
	v_dual_add_f32 v70, v24, v126 :: v_dual_add_f32 v25, v25, v127
	v_add_nc_u32_e32 v24, 40, v46
	s_delay_alu instid0(VALU_DEP_2) | instskip(NEXT) | instid1(VALU_DEP_3)
	v_add_f32_e32 v61, v61, v70
	v_add_f32_e32 v59, v59, v25
	s_delay_alu instid0(VALU_DEP_3) | instskip(SKIP_2) | instid1(VALU_DEP_4)
	v_ashrrev_i32_e32 v25, 31, v24
	v_add_co_u32 v70, vcc_lo, v68, v28
	v_add_co_ci_u32_e32 v71, vcc_lo, v69, v29, vcc_lo
	v_add_f32_e32 v59, v59, v61
	s_delay_alu instid0(VALU_DEP_4) | instskip(SKIP_1) | instid1(VALU_DEP_2)
	v_lshlrev_b64 v[24:25], 2, v[24:25]
	s_and_b32 vcc_lo, exec_lo, s0
	v_add_f32_e32 v58, v59, v58
	global_store_b32 v[70:71], v58, off
	s_cbranch_vccnz .LBB85_24
; %bb.23:
	v_add_co_u32 v58, vcc_lo, v62, v24
	v_add_co_ci_u32_e32 v59, vcc_lo, v63, v25, vcc_lo
	flat_load_b32 v58, v[58:59]
	s_waitcnt vmcnt(0) lgkmcnt(0)
	v_mul_f32_e32 v60, s9, v58
.LBB85_24:
	v_dual_max_f32 v59, v21, v21 :: v_dual_max_f32 v58, v20, v20
	v_dual_max_f32 v22, v22, v22 :: v_dual_max_f32 v23, v23, v23
	s_delay_alu instid0(VALU_DEP_2) | instskip(NEXT) | instid1(VALU_DEP_2)
	v_dual_min_f32 v20, v59, v65 :: v_dual_min_f32 v21, v58, v64
	v_dual_min_f32 v61, v22, v67 :: v_dual_min_f32 v70, v23, v66
	s_delay_alu instid0(VALU_DEP_2) | instskip(NEXT) | instid1(VALU_DEP_3)
	v_dual_add_f32 v71, v20, v124 :: v_dual_add_nc_u32 v20, 48, v46
	v_add_f32_e32 v21, v21, v125
	v_add_co_u32 v124, vcc_lo, v68, v24
	s_delay_alu instid0(VALU_DEP_3) | instskip(SKIP_1) | instid1(VALU_DEP_4)
	v_add_f32_e32 v70, v70, v71
	v_add_co_ci_u32_e32 v125, vcc_lo, v69, v25, vcc_lo
	v_add_f32_e32 v61, v61, v21
	v_ashrrev_i32_e32 v21, 31, v20
	s_and_b32 vcc_lo, exec_lo, s0
	v_mov_b32_e32 v71, 0
	s_delay_alu instid0(VALU_DEP_3) | instskip(NEXT) | instid1(VALU_DEP_3)
	v_dual_add_f32 v61, v61, v70 :: v_dual_mov_b32 v70, 0
	v_lshlrev_b64 v[20:21], 2, v[20:21]
	s_delay_alu instid0(VALU_DEP_2)
	v_add_f32_e32 v60, v61, v60
	global_store_b32 v[124:125], v60, off
	s_cbranch_vccnz .LBB85_26
; %bb.25:
	v_add_co_u32 v60, vcc_lo, v62, v20
	v_add_co_ci_u32_e32 v61, vcc_lo, v63, v21, vcc_lo
	flat_load_b32 v60, v[60:61]
	s_waitcnt vmcnt(0) lgkmcnt(0)
	v_mul_f32_e32 v71, s9, v60
.LBB85_26:
	v_dual_max_f32 v61, v17, v17 :: v_dual_max_f32 v60, v16, v16
	v_dual_max_f32 v18, v18, v18 :: v_dual_max_f32 v19, v19, v19
	s_delay_alu instid0(VALU_DEP_2) | instskip(NEXT) | instid1(VALU_DEP_2)
	v_dual_min_f32 v16, v61, v65 :: v_dual_min_f32 v17, v60, v64
	v_dual_min_f32 v124, v18, v67 :: v_dual_min_f32 v125, v19, v66
	s_delay_alu instid0(VALU_DEP_2) | instskip(SKIP_1) | instid1(VALU_DEP_2)
	v_dual_add_f32 v122, v16, v122 :: v_dual_add_f32 v17, v17, v123
	v_add_nc_u32_e32 v16, 56, v46
	v_add_f32_e32 v46, v125, v122
	s_delay_alu instid0(VALU_DEP_3) | instskip(NEXT) | instid1(VALU_DEP_3)
	v_add_f32_e32 v122, v124, v17
	v_ashrrev_i32_e32 v17, 31, v16
	s_delay_alu instid0(VALU_DEP_2) | instskip(SKIP_1) | instid1(VALU_DEP_3)
	v_add_f32_e32 v46, v122, v46
	v_add_co_u32 v122, vcc_lo, v68, v20
	v_lshlrev_b64 v[16:17], 2, v[16:17]
	v_add_co_ci_u32_e32 v123, vcc_lo, v69, v21, vcc_lo
	s_delay_alu instid0(VALU_DEP_4)
	v_add_f32_e32 v46, v46, v71
	s_and_b32 vcc_lo, exec_lo, s0
	global_store_b32 v[122:123], v46, off
	s_cbranch_vccnz .LBB85_28
; %bb.27:
	v_add_co_u32 v62, vcc_lo, v62, v16
	v_add_co_ci_u32_e32 v63, vcc_lo, v63, v17, vcc_lo
	flat_load_b32 v46, v[62:63]
	s_waitcnt vmcnt(0) lgkmcnt(0)
	v_mul_f32_e32 v70, s9, v46
.LBB85_28:
	v_dual_max_f32 v12, v12, v12 :: v_dual_max_f32 v13, v13, v13
	v_dual_max_f32 v14, v14, v14 :: v_dual_add_nc_u32 v71, 32, v48
	s_delay_alu instid0(VALU_DEP_2) | instskip(NEXT) | instid1(VALU_DEP_2)
	v_dual_max_f32 v15, v15, v15 :: v_dual_min_f32 v46, v12, v64
	v_dual_min_f32 v64, v13, v65 :: v_dual_min_f32 v65, v14, v67
	s_delay_alu instid0(VALU_DEP_3) | instskip(NEXT) | instid1(VALU_DEP_3)
	v_mad_i64_i32 v[62:63], null, v71, s8, 0
	v_dual_min_f32 v66, v15, v66 :: v_dual_mov_b32 v67, 0
	s_delay_alu instid0(VALU_DEP_3) | instskip(SKIP_1) | instid1(VALU_DEP_4)
	v_add_f32_e32 v64, v64, v120
	v_add_f32_e32 v46, v46, v121
	v_lshlrev_b64 v[62:63], 2, v[62:63]
	s_delay_alu instid0(VALU_DEP_3) | instskip(NEXT) | instid1(VALU_DEP_3)
	v_add_f32_e32 v66, v66, v64
	v_add_f32_e32 v46, v65, v46
	v_add_co_u32 v64, vcc_lo, v68, v16
	v_add_co_ci_u32_e32 v65, vcc_lo, v69, v17, vcc_lo
	s_delay_alu instid0(VALU_DEP_3) | instskip(SKIP_2) | instid1(VALU_DEP_3)
	v_add_f32_e32 v66, v46, v66
	v_add_co_u32 v46, vcc_lo, s4, v62
	v_add_co_ci_u32_e32 v62, vcc_lo, s5, v63, vcc_lo
	v_dual_add_f32 v63, v66, v70 :: v_dual_mov_b32 v66, 0
	s_and_b32 vcc_lo, exec_lo, s0
	global_store_b32 v[64:65], v63, off
	s_cbranch_vccnz .LBB85_30
; %bb.29:
	v_add_co_u32 v63, vcc_lo, v46, v44
	v_add_co_ci_u32_e32 v64, vcc_lo, v62, v45, vcc_lo
	flat_load_b32 v63, v[63:64]
	s_waitcnt vmcnt(0) lgkmcnt(0)
	v_mul_f32_e32 v67, s9, v63
.LBB85_30:
	v_dual_max_f32 v63, v8, v8 :: v_dual_max_f32 v64, v9, v9
	v_dual_max_f32 v65, v10, v10 :: v_dual_max_f32 v8, v11, v11
	v_mad_i64_i32 v[9:10], null, v71, s1, 0
	s_delay_alu instid0(VALU_DEP_3) | instskip(NEXT) | instid1(VALU_DEP_3)
	v_dual_min_f32 v11, v47, v63 :: v_dual_min_f32 v68, v49, v64
	v_dual_min_f32 v69, v42, v65 :: v_dual_min_f32 v70, v43, v8
	s_delay_alu instid0(VALU_DEP_2) | instskip(NEXT) | instid1(VALU_DEP_4)
	v_dual_add_f32 v11, v11, v119 :: v_dual_add_f32 v68, v68, v118
	v_lshlrev_b64 v[9:10], 2, v[9:10]
	s_delay_alu instid0(VALU_DEP_2) | instskip(NEXT) | instid1(VALU_DEP_2)
	v_dual_add_f32 v11, v69, v11 :: v_dual_add_f32 v68, v70, v68
	v_add_co_u32 v9, vcc_lo, s3, v9
	s_delay_alu instid0(VALU_DEP_3) | instskip(NEXT) | instid1(VALU_DEP_3)
	v_add_co_ci_u32_e32 v10, vcc_lo, s6, v10, vcc_lo
	v_add_f32_e32 v11, v11, v68
	s_delay_alu instid0(VALU_DEP_1) | instskip(NEXT) | instid1(VALU_DEP_4)
	v_add_f32_e32 v11, v11, v67
	v_add_co_u32 v67, vcc_lo, v9, v44
	s_delay_alu instid0(VALU_DEP_4)
	v_add_co_ci_u32_e32 v68, vcc_lo, v10, v45, vcc_lo
	s_and_b32 vcc_lo, exec_lo, s0
	global_store_b32 v[67:68], v11, off
	s_cbranch_vccnz .LBB85_32
; %bb.31:
	v_add_co_u32 v66, vcc_lo, v46, v40
	v_add_co_ci_u32_e32 v67, vcc_lo, v62, v41, vcc_lo
	flat_load_b32 v11, v[66:67]
	s_waitcnt vmcnt(0) lgkmcnt(0)
	v_mul_f32_e32 v66, s9, v11
.LBB85_32:
	v_dual_min_f32 v11, v51, v64 :: v_dual_min_f32 v68, v38, v65
	v_min_f32_e32 v67, v50, v63
	v_min_f32_e32 v69, v39, v8
	s_delay_alu instid0(VALU_DEP_3) | instskip(NEXT) | instid1(VALU_DEP_3)
	v_add_f32_e32 v11, v11, v116
	v_add_f32_e32 v67, v67, v117
	s_delay_alu instid0(VALU_DEP_2) | instskip(NEXT) | instid1(VALU_DEP_2)
	v_add_f32_e32 v11, v69, v11
	v_add_f32_e32 v67, v68, v67
	s_delay_alu instid0(VALU_DEP_1) | instskip(SKIP_2) | instid1(VALU_DEP_3)
	v_add_f32_e32 v11, v67, v11
	v_add_co_u32 v67, vcc_lo, v9, v40
	v_add_co_ci_u32_e32 v68, vcc_lo, v10, v41, vcc_lo
	v_dual_add_f32 v69, v11, v66 :: v_dual_mov_b32 v66, 0
	v_mov_b32_e32 v11, 0
	s_and_b32 vcc_lo, exec_lo, s0
	global_store_b32 v[67:68], v69, off
	s_cbranch_vccnz .LBB85_34
; %bb.33:
	v_add_co_u32 v66, vcc_lo, v46, v36
	v_add_co_ci_u32_e32 v67, vcc_lo, v62, v37, vcc_lo
	flat_load_b32 v66, v[66:67]
	s_waitcnt vmcnt(0) lgkmcnt(0)
	v_mul_f32_e32 v66, s9, v66
.LBB85_34:
	v_dual_min_f32 v67, v53, v64 :: v_dual_min_f32 v68, v52, v63
	v_dual_min_f32 v69, v34, v65 :: v_dual_min_f32 v70, v35, v8
	s_delay_alu instid0(VALU_DEP_2) | instskip(NEXT) | instid1(VALU_DEP_1)
	v_dual_add_f32 v67, v67, v114 :: v_dual_add_f32 v68, v68, v115
	v_dual_add_f32 v67, v70, v67 :: v_dual_add_f32 v68, v69, v68
	s_delay_alu instid0(VALU_DEP_1) | instskip(NEXT) | instid1(VALU_DEP_1)
	v_add_f32_e32 v67, v68, v67
	v_add_f32_e32 v68, v67, v66
	v_add_co_u32 v66, vcc_lo, v9, v36
	v_add_co_ci_u32_e32 v67, vcc_lo, v10, v37, vcc_lo
	s_and_b32 vcc_lo, exec_lo, s0
	global_store_b32 v[66:67], v68, off
	s_cbranch_vccnz .LBB85_36
; %bb.35:
	v_add_co_u32 v66, vcc_lo, v46, v32
	v_add_co_ci_u32_e32 v67, vcc_lo, v62, v33, vcc_lo
	flat_load_b32 v11, v[66:67]
	s_waitcnt vmcnt(0) lgkmcnt(0)
	v_mul_f32_e32 v11, s9, v11
.LBB85_36:
	v_dual_min_f32 v66, v55, v64 :: v_dual_min_f32 v67, v54, v63
	v_dual_min_f32 v68, v30, v65 :: v_dual_min_f32 v69, v31, v8
	s_delay_alu instid0(VALU_DEP_2) | instskip(NEXT) | instid1(VALU_DEP_1)
	v_dual_add_f32 v66, v66, v112 :: v_dual_add_f32 v67, v67, v113
	v_dual_add_f32 v66, v69, v66 :: v_dual_add_f32 v67, v68, v67
	s_delay_alu instid0(VALU_DEP_1) | instskip(SKIP_2) | instid1(VALU_DEP_3)
	v_add_f32_e32 v66, v67, v66
	v_add_co_u32 v67, vcc_lo, v9, v32
	v_add_co_ci_u32_e32 v68, vcc_lo, v10, v33, vcc_lo
	v_dual_add_f32 v69, v66, v11 :: v_dual_mov_b32 v66, 0
	v_mov_b32_e32 v11, 0
	s_and_b32 vcc_lo, exec_lo, s0
	global_store_b32 v[67:68], v69, off
	s_cbranch_vccnz .LBB85_38
; %bb.37:
	v_add_co_u32 v66, vcc_lo, v46, v28
	v_add_co_ci_u32_e32 v67, vcc_lo, v62, v29, vcc_lo
	flat_load_b32 v66, v[66:67]
	s_waitcnt vmcnt(0) lgkmcnt(0)
	v_mul_f32_e32 v66, s9, v66
.LBB85_38:
	v_dual_min_f32 v67, v57, v64 :: v_dual_min_f32 v68, v56, v63
	v_dual_min_f32 v69, v26, v65 :: v_dual_min_f32 v70, v27, v8
	s_delay_alu instid0(VALU_DEP_2) | instskip(NEXT) | instid1(VALU_DEP_1)
	v_dual_add_f32 v67, v67, v110 :: v_dual_add_f32 v68, v68, v111
	v_dual_add_f32 v67, v70, v67 :: v_dual_add_f32 v68, v69, v68
	s_delay_alu instid0(VALU_DEP_1) | instskip(NEXT) | instid1(VALU_DEP_1)
	v_add_f32_e32 v67, v68, v67
	v_add_f32_e32 v68, v67, v66
	v_add_co_u32 v66, vcc_lo, v9, v28
	v_add_co_ci_u32_e32 v67, vcc_lo, v10, v29, vcc_lo
	s_and_b32 vcc_lo, exec_lo, s0
	global_store_b32 v[66:67], v68, off
	s_cbranch_vccnz .LBB85_40
; %bb.39:
	v_add_co_u32 v66, vcc_lo, v46, v24
	v_add_co_ci_u32_e32 v67, vcc_lo, v62, v25, vcc_lo
	flat_load_b32 v11, v[66:67]
	s_waitcnt vmcnt(0) lgkmcnt(0)
	v_mul_f32_e32 v11, s9, v11
.LBB85_40:
	v_dual_min_f32 v66, v59, v64 :: v_dual_min_f32 v67, v58, v63
	v_dual_min_f32 v68, v22, v65 :: v_dual_min_f32 v69, v23, v8
	s_delay_alu instid0(VALU_DEP_2) | instskip(NEXT) | instid1(VALU_DEP_1)
	v_dual_add_f32 v66, v66, v106 :: v_dual_add_f32 v67, v67, v107
	v_dual_add_f32 v66, v69, v66 :: v_dual_add_f32 v67, v68, v67
	s_delay_alu instid0(VALU_DEP_1) | instskip(SKIP_2) | instid1(VALU_DEP_3)
	v_add_f32_e32 v66, v67, v66
	v_add_co_u32 v67, vcc_lo, v9, v24
	v_add_co_ci_u32_e32 v68, vcc_lo, v10, v25, vcc_lo
	v_dual_add_f32 v69, v66, v11 :: v_dual_mov_b32 v66, 0
	v_mov_b32_e32 v11, 0
	s_and_b32 vcc_lo, exec_lo, s0
	global_store_b32 v[67:68], v69, off
	s_cbranch_vccnz .LBB85_42
; %bb.41:
	v_add_co_u32 v66, vcc_lo, v46, v20
	v_add_co_ci_u32_e32 v67, vcc_lo, v62, v21, vcc_lo
	flat_load_b32 v66, v[66:67]
	s_waitcnt vmcnt(0) lgkmcnt(0)
	v_mul_f32_e32 v66, s9, v66
.LBB85_42:
	v_dual_min_f32 v67, v61, v64 :: v_dual_min_f32 v68, v60, v63
	v_dual_min_f32 v69, v18, v65 :: v_dual_min_f32 v70, v19, v8
	s_delay_alu instid0(VALU_DEP_2) | instskip(NEXT) | instid1(VALU_DEP_1)
	v_dual_add_f32 v67, v67, v102 :: v_dual_add_f32 v68, v68, v103
	v_dual_add_f32 v67, v70, v67 :: v_dual_add_f32 v68, v69, v68
	s_delay_alu instid0(VALU_DEP_1) | instskip(NEXT) | instid1(VALU_DEP_1)
	v_add_f32_e32 v67, v68, v67
	v_add_f32_e32 v68, v67, v66
	v_add_co_u32 v66, vcc_lo, v9, v20
	v_add_co_ci_u32_e32 v67, vcc_lo, v10, v21, vcc_lo
	s_and_b32 vcc_lo, exec_lo, s0
	global_store_b32 v[66:67], v68, off
	s_cbranch_vccnz .LBB85_44
; %bb.43:
	v_add_co_u32 v66, vcc_lo, v46, v16
	v_add_co_ci_u32_e32 v67, vcc_lo, v62, v17, vcc_lo
	flat_load_b32 v11, v[66:67]
	s_waitcnt vmcnt(0) lgkmcnt(0)
	v_mul_f32_e32 v11, s9, v11
.LBB85_44:
	v_dual_min_f32 v46, v12, v63 :: v_dual_add_nc_u32 v63, 64, v48
	v_min_f32_e32 v62, v13, v64
	v_min_f32_e32 v66, v14, v65
	;; [unrolled: 1-line block ×3, first 2 shown]
	s_delay_alu instid0(VALU_DEP_4) | instskip(SKIP_2) | instid1(VALU_DEP_3)
	v_add_f32_e32 v46, v46, v99
	v_mad_i64_i32 v[64:65], null, v63, s8, 0
	v_add_f32_e32 v62, v62, v98
	v_add_f32_e32 v46, v66, v46
	v_add_co_u32 v66, vcc_lo, v9, v16
	s_delay_alu instid0(VALU_DEP_3) | instskip(SKIP_3) | instid1(VALU_DEP_4)
	v_add_f32_e32 v8, v8, v62
	v_lshlrev_b64 v[64:65], 2, v[64:65]
	v_add_co_ci_u32_e32 v67, vcc_lo, v10, v17, vcc_lo
	v_mov_b32_e32 v62, 0
	v_add_f32_e32 v8, v46, v8
	s_delay_alu instid0(VALU_DEP_1)
	v_add_f32_e32 v10, v8, v11
	v_add_co_u32 v8, vcc_lo, s4, v64
	v_add_co_ci_u32_e32 v9, vcc_lo, s5, v65, vcc_lo
	v_mov_b32_e32 v64, 0
	s_and_b32 vcc_lo, exec_lo, s0
	global_store_b32 v[66:67], v10, off
	s_cbranch_vccnz .LBB85_46
; %bb.45:
	v_add_co_u32 v10, vcc_lo, v8, v44
	v_add_co_ci_u32_e32 v11, vcc_lo, v9, v45, vcc_lo
	flat_load_b32 v10, v[10:11]
	s_waitcnt vmcnt(0) lgkmcnt(0)
	v_mul_f32_e32 v64, s9, v10
.LBB85_46:
	v_dual_max_f32 v10, v4, v4 :: v_dual_max_f32 v11, v5, v5
	v_max_f32_e32 v46, v6, v6
	v_mad_i64_i32 v[5:6], null, v63, s1, 0
	s_delay_alu instid0(VALU_DEP_3) | instskip(NEXT) | instid1(VALU_DEP_3)
	v_min_f32_e32 v65, v49, v11
	v_dual_max_f32 v4, v7, v7 :: v_dual_min_f32 v63, v42, v46
	v_min_f32_e32 v7, v47, v10
	s_delay_alu instid0(VALU_DEP_3) | instskip(NEXT) | instid1(VALU_DEP_3)
	v_add_f32_e32 v65, v65, v108
	v_min_f32_e32 v66, v43, v4
	v_lshlrev_b64 v[5:6], 2, v[5:6]
	s_delay_alu instid0(VALU_DEP_4) | instskip(NEXT) | instid1(VALU_DEP_3)
	v_add_f32_e32 v7, v7, v109
	v_add_f32_e32 v65, v66, v65
	s_delay_alu instid0(VALU_DEP_2) | instskip(NEXT) | instid1(VALU_DEP_4)
	v_add_f32_e32 v7, v63, v7
	v_add_co_u32 v5, vcc_lo, s3, v5
	v_add_co_ci_u32_e32 v6, vcc_lo, s6, v6, vcc_lo
	s_delay_alu instid0(VALU_DEP_3) | instskip(NEXT) | instid1(VALU_DEP_3)
	v_add_f32_e32 v7, v7, v65
	v_add_co_u32 v63, vcc_lo, v5, v44
	s_delay_alu instid0(VALU_DEP_2) | instskip(NEXT) | instid1(VALU_DEP_4)
	v_add_f32_e32 v7, v7, v64
	v_add_co_ci_u32_e32 v64, vcc_lo, v6, v45, vcc_lo
	s_and_b32 vcc_lo, exec_lo, s0
	global_store_b32 v[63:64], v7, off
	s_cbranch_vccnz .LBB85_48
; %bb.47:
	v_add_co_u32 v62, vcc_lo, v8, v40
	v_add_co_ci_u32_e32 v63, vcc_lo, v9, v41, vcc_lo
	flat_load_b32 v7, v[62:63]
	s_waitcnt vmcnt(0) lgkmcnt(0)
	v_mul_f32_e32 v62, s9, v7
.LBB85_48:
	v_dual_min_f32 v7, v51, v11 :: v_dual_min_f32 v64, v38, v46
	v_min_f32_e32 v63, v50, v10
	v_min_f32_e32 v65, v39, v4
	s_delay_alu instid0(VALU_DEP_3) | instskip(NEXT) | instid1(VALU_DEP_3)
	v_add_f32_e32 v7, v7, v104
	v_add_f32_e32 v63, v63, v105
	s_delay_alu instid0(VALU_DEP_2) | instskip(NEXT) | instid1(VALU_DEP_2)
	v_add_f32_e32 v7, v65, v7
	v_add_f32_e32 v63, v64, v63
	s_delay_alu instid0(VALU_DEP_1) | instskip(SKIP_2) | instid1(VALU_DEP_3)
	v_add_f32_e32 v7, v63, v7
	v_add_co_u32 v63, vcc_lo, v5, v40
	v_add_co_ci_u32_e32 v64, vcc_lo, v6, v41, vcc_lo
	v_dual_add_f32 v65, v7, v62 :: v_dual_mov_b32 v62, 0
	v_mov_b32_e32 v7, 0
	s_and_b32 vcc_lo, exec_lo, s0
	global_store_b32 v[63:64], v65, off
	s_cbranch_vccnz .LBB85_50
; %bb.49:
	v_add_co_u32 v62, vcc_lo, v8, v36
	v_add_co_ci_u32_e32 v63, vcc_lo, v9, v37, vcc_lo
	flat_load_b32 v62, v[62:63]
	s_waitcnt vmcnt(0) lgkmcnt(0)
	v_mul_f32_e32 v62, s9, v62
.LBB85_50:
	v_dual_min_f32 v63, v53, v11 :: v_dual_min_f32 v64, v52, v10
	v_dual_min_f32 v65, v34, v46 :: v_dual_min_f32 v66, v35, v4
	s_delay_alu instid0(VALU_DEP_2) | instskip(NEXT) | instid1(VALU_DEP_1)
	v_dual_add_f32 v63, v63, v100 :: v_dual_add_f32 v64, v64, v101
	v_dual_add_f32 v63, v66, v63 :: v_dual_add_f32 v64, v65, v64
	s_delay_alu instid0(VALU_DEP_1) | instskip(NEXT) | instid1(VALU_DEP_1)
	v_add_f32_e32 v63, v64, v63
	v_add_f32_e32 v64, v63, v62
	v_add_co_u32 v62, vcc_lo, v5, v36
	v_add_co_ci_u32_e32 v63, vcc_lo, v6, v37, vcc_lo
	s_and_b32 vcc_lo, exec_lo, s0
	global_store_b32 v[62:63], v64, off
	s_cbranch_vccnz .LBB85_52
; %bb.51:
	v_add_co_u32 v62, vcc_lo, v8, v32
	v_add_co_ci_u32_e32 v63, vcc_lo, v9, v33, vcc_lo
	flat_load_b32 v7, v[62:63]
	s_waitcnt vmcnt(0) lgkmcnt(0)
	v_mul_f32_e32 v7, s9, v7
.LBB85_52:
	v_dual_min_f32 v62, v55, v11 :: v_dual_min_f32 v63, v54, v10
	v_dual_min_f32 v64, v30, v46 :: v_dual_min_f32 v65, v31, v4
	s_delay_alu instid0(VALU_DEP_2) | instskip(NEXT) | instid1(VALU_DEP_1)
	v_dual_add_f32 v62, v62, v96 :: v_dual_add_f32 v63, v63, v97
	v_dual_add_f32 v62, v65, v62 :: v_dual_add_f32 v63, v64, v63
	s_delay_alu instid0(VALU_DEP_1) | instskip(SKIP_2) | instid1(VALU_DEP_3)
	v_add_f32_e32 v62, v63, v62
	v_add_co_u32 v63, vcc_lo, v5, v32
	v_add_co_ci_u32_e32 v64, vcc_lo, v6, v33, vcc_lo
	v_dual_add_f32 v65, v62, v7 :: v_dual_mov_b32 v62, 0
	v_mov_b32_e32 v7, 0
	s_and_b32 vcc_lo, exec_lo, s0
	global_store_b32 v[63:64], v65, off
	s_cbranch_vccnz .LBB85_54
; %bb.53:
	v_add_co_u32 v62, vcc_lo, v8, v28
	v_add_co_ci_u32_e32 v63, vcc_lo, v9, v29, vcc_lo
	flat_load_b32 v62, v[62:63]
	s_waitcnt vmcnt(0) lgkmcnt(0)
	v_mul_f32_e32 v62, s9, v62
.LBB85_54:
	v_dual_min_f32 v63, v57, v11 :: v_dual_min_f32 v64, v56, v10
	v_dual_min_f32 v65, v26, v46 :: v_dual_min_f32 v66, v27, v4
	s_delay_alu instid0(VALU_DEP_2) | instskip(NEXT) | instid1(VALU_DEP_1)
	v_dual_add_f32 v63, v63, v94 :: v_dual_add_f32 v64, v64, v95
	v_dual_add_f32 v63, v66, v63 :: v_dual_add_f32 v64, v65, v64
	s_delay_alu instid0(VALU_DEP_1) | instskip(NEXT) | instid1(VALU_DEP_1)
	v_add_f32_e32 v63, v64, v63
	v_add_f32_e32 v64, v63, v62
	v_add_co_u32 v62, vcc_lo, v5, v28
	v_add_co_ci_u32_e32 v63, vcc_lo, v6, v29, vcc_lo
	s_and_b32 vcc_lo, exec_lo, s0
	global_store_b32 v[62:63], v64, off
	s_cbranch_vccnz .LBB85_56
; %bb.55:
	v_add_co_u32 v62, vcc_lo, v8, v24
	v_add_co_ci_u32_e32 v63, vcc_lo, v9, v25, vcc_lo
	flat_load_b32 v7, v[62:63]
	s_waitcnt vmcnt(0) lgkmcnt(0)
	v_mul_f32_e32 v7, s9, v7
.LBB85_56:
	v_dual_min_f32 v62, v59, v11 :: v_dual_min_f32 v63, v58, v10
	v_dual_min_f32 v64, v22, v46 :: v_dual_min_f32 v65, v23, v4
	s_delay_alu instid0(VALU_DEP_2) | instskip(NEXT) | instid1(VALU_DEP_1)
	v_dual_add_f32 v62, v62, v90 :: v_dual_add_f32 v63, v63, v91
	v_dual_add_f32 v62, v65, v62 :: v_dual_add_f32 v63, v64, v63
	s_delay_alu instid0(VALU_DEP_1) | instskip(SKIP_2) | instid1(VALU_DEP_3)
	v_add_f32_e32 v62, v63, v62
	v_add_co_u32 v63, vcc_lo, v5, v24
	v_add_co_ci_u32_e32 v64, vcc_lo, v6, v25, vcc_lo
	v_dual_add_f32 v65, v62, v7 :: v_dual_mov_b32 v62, 0
	v_mov_b32_e32 v7, 0
	s_and_b32 vcc_lo, exec_lo, s0
	global_store_b32 v[63:64], v65, off
	s_cbranch_vccnz .LBB85_58
; %bb.57:
	v_add_co_u32 v62, vcc_lo, v8, v20
	v_add_co_ci_u32_e32 v63, vcc_lo, v9, v21, vcc_lo
	flat_load_b32 v62, v[62:63]
	s_waitcnt vmcnt(0) lgkmcnt(0)
	v_mul_f32_e32 v62, s9, v62
.LBB85_58:
	v_dual_min_f32 v63, v61, v11 :: v_dual_min_f32 v64, v60, v10
	v_dual_min_f32 v65, v18, v46 :: v_dual_min_f32 v66, v19, v4
	s_delay_alu instid0(VALU_DEP_2) | instskip(NEXT) | instid1(VALU_DEP_1)
	v_dual_add_f32 v63, v63, v86 :: v_dual_add_f32 v64, v64, v87
	v_dual_add_f32 v63, v66, v63 :: v_dual_add_f32 v64, v65, v64
	s_delay_alu instid0(VALU_DEP_1) | instskip(NEXT) | instid1(VALU_DEP_1)
	v_add_f32_e32 v63, v64, v63
	v_add_f32_e32 v64, v63, v62
	v_add_co_u32 v62, vcc_lo, v5, v20
	v_add_co_ci_u32_e32 v63, vcc_lo, v6, v21, vcc_lo
	s_and_b32 vcc_lo, exec_lo, s0
	global_store_b32 v[62:63], v64, off
	s_cbranch_vccnz .LBB85_60
; %bb.59:
	v_add_co_u32 v7, vcc_lo, v8, v16
	v_add_co_ci_u32_e32 v8, vcc_lo, v9, v17, vcc_lo
	flat_load_b32 v7, v[7:8]
	s_waitcnt vmcnt(0) lgkmcnt(0)
	v_mul_f32_e32 v7, s9, v7
.LBB85_60:
	v_dual_min_f32 v8, v12, v10 :: v_dual_add_nc_u32 v9, 0x60, v48
	v_min_f32_e32 v10, v13, v11
	v_min_f32_e32 v46, v14, v46
	;; [unrolled: 1-line block ×3, first 2 shown]
	s_delay_alu instid0(VALU_DEP_4) | instskip(SKIP_3) | instid1(VALU_DEP_4)
	v_add_f32_e32 v8, v8, v83
	v_add_co_u32 v62, vcc_lo, v5, v16
	v_add_f32_e32 v48, v10, v82
	v_mad_i64_i32 v[10:11], null, v9, s8, 0
	v_add_f32_e32 v8, v46, v8
	v_add_co_ci_u32_e32 v63, vcc_lo, v6, v17, vcc_lo
	s_delay_alu instid0(VALU_DEP_4) | instskip(NEXT) | instid1(VALU_DEP_4)
	v_add_f32_e32 v4, v4, v48
	v_lshlrev_b64 v[10:11], 2, v[10:11]
	s_delay_alu instid0(VALU_DEP_2) | instskip(SKIP_1) | instid1(VALU_DEP_2)
	v_add_f32_e32 v4, v8, v4
	v_mov_b32_e32 v8, 0
	v_add_f32_e32 v6, v4, v7
	s_delay_alu instid0(VALU_DEP_4)
	v_add_co_u32 v4, vcc_lo, s4, v10
	v_add_co_ci_u32_e32 v5, vcc_lo, s5, v11, vcc_lo
	v_mov_b32_e32 v10, 0
	s_and_b32 vcc_lo, exec_lo, s0
	global_store_b32 v[62:63], v6, off
	s_cbranch_vccnz .LBB85_62
; %bb.61:
	v_add_co_u32 v6, vcc_lo, v4, v44
	v_add_co_ci_u32_e32 v7, vcc_lo, v5, v45, vcc_lo
	flat_load_b32 v6, v[6:7]
	s_waitcnt vmcnt(0) lgkmcnt(0)
	v_mul_f32_e32 v10, s9, v6
.LBB85_62:
	v_dual_max_f32 v0, v0, v0 :: v_dual_max_f32 v1, v1, v1
	v_dual_max_f32 v2, v2, v2 :: v_dual_max_f32 v3, v3, v3
	v_mad_i64_i32 v[6:7], null, v9, s1, 0
	s_delay_alu instid0(VALU_DEP_3) | instskip(NEXT) | instid1(VALU_DEP_3)
	v_dual_min_f32 v11, v47, v0 :: v_dual_min_f32 v46, v49, v1
	v_dual_min_f32 v9, v42, v2 :: v_dual_min_f32 v42, v43, v3
	s_delay_alu instid0(VALU_DEP_2) | instskip(NEXT) | instid1(VALU_DEP_3)
	v_add_f32_e32 v43, v46, v92
	v_add_f32_e32 v11, v11, v93
	v_lshlrev_b64 v[6:7], 2, v[6:7]
	s_delay_alu instid0(VALU_DEP_3) | instskip(NEXT) | instid1(VALU_DEP_3)
	v_add_f32_e32 v42, v42, v43
	v_add_f32_e32 v9, v9, v11
	s_delay_alu instid0(VALU_DEP_3) | instskip(NEXT) | instid1(VALU_DEP_4)
	v_add_co_u32 v6, vcc_lo, s3, v6
	v_add_co_ci_u32_e32 v7, vcc_lo, s6, v7, vcc_lo
	s_delay_alu instid0(VALU_DEP_3) | instskip(NEXT) | instid1(VALU_DEP_1)
	v_add_f32_e32 v9, v9, v42
	v_add_f32_e32 v11, v9, v10
	s_delay_alu instid0(VALU_DEP_4) | instskip(NEXT) | instid1(VALU_DEP_4)
	v_add_co_u32 v9, vcc_lo, v6, v44
	v_add_co_ci_u32_e32 v10, vcc_lo, v7, v45, vcc_lo
	s_and_b32 vcc_lo, exec_lo, s0
	global_store_b32 v[9:10], v11, off
	s_cbranch_vccnz .LBB85_64
; %bb.63:
	v_add_co_u32 v8, vcc_lo, v4, v40
	v_add_co_ci_u32_e32 v9, vcc_lo, v5, v41, vcc_lo
	flat_load_b32 v8, v[8:9]
	s_waitcnt vmcnt(0) lgkmcnt(0)
	v_mul_f32_e32 v8, s9, v8
.LBB85_64:
	v_dual_min_f32 v9, v51, v1 :: v_dual_min_f32 v10, v50, v0
	v_dual_min_f32 v11, v38, v2 :: v_dual_min_f32 v38, v39, v3
	s_delay_alu instid0(VALU_DEP_2) | instskip(NEXT) | instid1(VALU_DEP_1)
	v_dual_add_f32 v9, v9, v88 :: v_dual_add_f32 v10, v10, v89
	v_dual_add_f32 v9, v38, v9 :: v_dual_add_f32 v10, v11, v10
	s_delay_alu instid0(VALU_DEP_1) | instskip(SKIP_2) | instid1(VALU_DEP_3)
	v_add_f32_e32 v9, v10, v9
	v_add_co_u32 v10, vcc_lo, v6, v40
	v_add_co_ci_u32_e32 v11, vcc_lo, v7, v41, vcc_lo
	v_dual_add_f32 v38, v9, v8 :: v_dual_mov_b32 v9, 0
	v_mov_b32_e32 v8, 0
	s_and_b32 vcc_lo, exec_lo, s0
	global_store_b32 v[10:11], v38, off
	s_cbranch_vccnz .LBB85_66
; %bb.65:
	v_add_co_u32 v9, vcc_lo, v4, v36
	v_add_co_ci_u32_e32 v10, vcc_lo, v5, v37, vcc_lo
	flat_load_b32 v9, v[9:10]
	s_waitcnt vmcnt(0) lgkmcnt(0)
	v_mul_f32_e32 v9, s9, v9
.LBB85_66:
	v_dual_min_f32 v10, v53, v1 :: v_dual_min_f32 v11, v52, v0
	v_dual_min_f32 v34, v34, v2 :: v_dual_min_f32 v35, v35, v3
	s_delay_alu instid0(VALU_DEP_2) | instskip(NEXT) | instid1(VALU_DEP_1)
	v_dual_add_f32 v10, v10, v84 :: v_dual_add_f32 v11, v11, v85
	v_dual_add_f32 v10, v35, v10 :: v_dual_add_f32 v11, v34, v11
	s_delay_alu instid0(VALU_DEP_1) | instskip(NEXT) | instid1(VALU_DEP_1)
	v_add_f32_e32 v10, v11, v10
	v_add_f32_e32 v11, v10, v9
	v_add_co_u32 v9, vcc_lo, v6, v36
	v_add_co_ci_u32_e32 v10, vcc_lo, v7, v37, vcc_lo
	s_and_b32 vcc_lo, exec_lo, s0
	global_store_b32 v[9:10], v11, off
	s_cbranch_vccnz .LBB85_68
; %bb.67:
	v_add_co_u32 v8, vcc_lo, v4, v32
	v_add_co_ci_u32_e32 v9, vcc_lo, v5, v33, vcc_lo
	flat_load_b32 v8, v[8:9]
	s_waitcnt vmcnt(0) lgkmcnt(0)
	v_mul_f32_e32 v8, s9, v8
.LBB85_68:
	v_dual_min_f32 v9, v55, v1 :: v_dual_min_f32 v10, v54, v0
	v_dual_min_f32 v11, v30, v2 :: v_dual_min_f32 v30, v31, v3
	s_delay_alu instid0(VALU_DEP_2) | instskip(NEXT) | instid1(VALU_DEP_1)
	v_dual_add_f32 v9, v9, v80 :: v_dual_add_f32 v10, v10, v81
	v_dual_add_f32 v9, v30, v9 :: v_dual_add_f32 v10, v11, v10
	s_delay_alu instid0(VALU_DEP_1) | instskip(SKIP_2) | instid1(VALU_DEP_3)
	v_add_f32_e32 v9, v10, v9
	v_add_co_u32 v10, vcc_lo, v6, v32
	v_add_co_ci_u32_e32 v11, vcc_lo, v7, v33, vcc_lo
	v_dual_add_f32 v30, v9, v8 :: v_dual_mov_b32 v9, 0
	v_mov_b32_e32 v8, 0
	s_and_b32 vcc_lo, exec_lo, s0
	global_store_b32 v[10:11], v30, off
	s_cbranch_vccnz .LBB85_70
; %bb.69:
	v_add_co_u32 v9, vcc_lo, v4, v28
	v_add_co_ci_u32_e32 v10, vcc_lo, v5, v29, vcc_lo
	flat_load_b32 v9, v[9:10]
	s_waitcnt vmcnt(0) lgkmcnt(0)
	v_mul_f32_e32 v9, s9, v9
.LBB85_70:
	v_dual_min_f32 v10, v57, v1 :: v_dual_min_f32 v11, v56, v0
	v_dual_min_f32 v26, v26, v2 :: v_dual_min_f32 v27, v27, v3
	s_delay_alu instid0(VALU_DEP_2) | instskip(NEXT) | instid1(VALU_DEP_1)
	v_dual_add_f32 v10, v10, v78 :: v_dual_add_f32 v11, v11, v79
	v_dual_add_f32 v10, v27, v10 :: v_dual_add_f32 v11, v26, v11
	s_delay_alu instid0(VALU_DEP_1) | instskip(NEXT) | instid1(VALU_DEP_1)
	v_add_f32_e32 v10, v11, v10
	v_add_f32_e32 v11, v10, v9
	v_add_co_u32 v9, vcc_lo, v6, v28
	v_add_co_ci_u32_e32 v10, vcc_lo, v7, v29, vcc_lo
	s_and_b32 vcc_lo, exec_lo, s0
	global_store_b32 v[9:10], v11, off
	s_cbranch_vccnz .LBB85_72
; %bb.71:
	v_add_co_u32 v8, vcc_lo, v4, v24
	v_add_co_ci_u32_e32 v9, vcc_lo, v5, v25, vcc_lo
	flat_load_b32 v8, v[8:9]
	s_waitcnt vmcnt(0) lgkmcnt(0)
	v_mul_f32_e32 v8, s9, v8
.LBB85_72:
	v_dual_min_f32 v9, v59, v1 :: v_dual_min_f32 v10, v58, v0
	v_dual_min_f32 v11, v22, v2 :: v_dual_min_f32 v22, v23, v3
	;; [unrolled: 1-line block ×3, first 2 shown]
	s_delay_alu instid0(VALU_DEP_3) | instskip(NEXT) | instid1(VALU_DEP_2)
	v_dual_add_f32 v9, v9, v76 :: v_dual_add_f32 v10, v10, v77
	v_dual_min_f32 v18, v18, v2 :: v_dual_add_f32 v23, v23, v75
	s_delay_alu instid0(VALU_DEP_2) | instskip(SKIP_2) | instid1(VALU_DEP_2)
	v_dual_add_f32 v9, v22, v9 :: v_dual_add_f32 v10, v11, v10
	v_min_f32_e32 v11, v19, v3
	v_add_f32_e32 v19, v26, v74
	v_dual_add_f32 v22, v10, v9 :: v_dual_add_f32 v11, v11, v23
	s_delay_alu instid0(VALU_DEP_2) | instskip(SKIP_2) | instid1(VALU_DEP_4)
	v_add_f32_e32 v18, v18, v19
	v_add_co_u32 v9, vcc_lo, v6, v24
	v_add_co_ci_u32_e32 v10, vcc_lo, v7, v25, vcc_lo
	v_add_f32_e32 v19, v22, v8
	s_delay_alu instid0(VALU_DEP_4)
	v_add_f32_e32 v8, v18, v11
	s_mov_b32 vcc_lo, s2
	global_store_b32 v[9:10], v19, off
	s_cbranch_vccz .LBB85_75
; %bb.73:
	v_add_co_u32 v9, vcc_lo, v6, v20
	v_add_f32_e32 v11, 0, v8
	v_add_co_ci_u32_e32 v10, vcc_lo, v7, v21, vcc_lo
	s_mov_b32 s0, 0
	global_store_b32 v[9:10], v11, off
	s_cbranch_execz .LBB85_76
; %bb.74:
	v_mov_b32_e32 v4, s0
	s_branch .LBB85_77
.LBB85_75:
	s_mov_b32 s0, -1
.LBB85_76:
	v_add_co_u32 v9, vcc_lo, v4, v20
	v_add_co_ci_u32_e32 v10, vcc_lo, v5, v21, vcc_lo
	flat_load_b32 v11, v[9:10]
	v_add_co_u32 v9, vcc_lo, v6, v20
	v_add_co_ci_u32_e32 v10, vcc_lo, v7, v21, vcc_lo
	v_add_co_u32 v4, vcc_lo, v4, v16
	v_add_co_ci_u32_e32 v5, vcc_lo, v5, v17, vcc_lo
	s_waitcnt vmcnt(0) lgkmcnt(0)
	v_fmac_f32_e32 v8, s9, v11
	global_store_b32 v[9:10], v8, off
	flat_load_b32 v4, v[4:5]
	s_waitcnt vmcnt(0) lgkmcnt(0)
	v_mul_f32_e32 v4, s9, v4
.LBB85_77:
	v_dual_min_f32 v1, v13, v1 :: v_dual_min_f32 v0, v12, v0
	v_dual_min_f32 v2, v14, v2 :: v_dual_min_f32 v3, v15, v3
	s_delay_alu instid0(VALU_DEP_2) | instskip(NEXT) | instid1(VALU_DEP_1)
	v_dual_add_f32 v1, v1, v72 :: v_dual_add_f32 v0, v0, v73
	v_dual_add_f32 v1, v3, v1 :: v_dual_add_f32 v0, v2, v0
	s_delay_alu instid0(VALU_DEP_1) | instskip(NEXT) | instid1(VALU_DEP_1)
	v_add_f32_e32 v0, v0, v1
	v_add_f32_e32 v2, v0, v4
	v_add_co_u32 v0, vcc_lo, v6, v16
	v_add_co_ci_u32_e32 v1, vcc_lo, v7, v17, vcc_lo
	global_store_b32 v[0:1], v2, off
	s_nop 0
	s_sendmsg sendmsg(MSG_DEALLOC_VGPRS)
	s_endpgm
	.section	.rodata,"a",@progbits
	.p2align	6, 0x0
	.amdhsa_kernel _ZN12_GLOBAL__N_120geam_min_plus_kernelIf15HIP_vector_typeIfLj2EES2_Li8ELi32ELi64ELi128ELi4ELi4ELi64ELi4ELi64ELc84ELc78ELb1ELb0ELb0EfKffEEviiiT16_PT17_ilS6_ilS4_S6_ilPT18_ili26rocblas_geam_ex_operation_
		.amdhsa_group_segment_fixed_size 6144
		.amdhsa_private_segment_fixed_size 0
		.amdhsa_kernarg_size 128
		.amdhsa_user_sgpr_count 14
		.amdhsa_user_sgpr_dispatch_ptr 0
		.amdhsa_user_sgpr_queue_ptr 0
		.amdhsa_user_sgpr_kernarg_segment_ptr 1
		.amdhsa_user_sgpr_dispatch_id 0
		.amdhsa_user_sgpr_private_segment_size 0
		.amdhsa_wavefront_size32 1
		.amdhsa_uses_dynamic_stack 0
		.amdhsa_enable_private_segment 0
		.amdhsa_system_sgpr_workgroup_id_x 1
		.amdhsa_system_sgpr_workgroup_id_y 0
		.amdhsa_system_sgpr_workgroup_id_z 1
		.amdhsa_system_sgpr_workgroup_info 0
		.amdhsa_system_vgpr_workitem_id 1
		.amdhsa_next_free_vgpr 168
		.amdhsa_next_free_sgpr 23
		.amdhsa_reserve_vcc 1
		.amdhsa_float_round_mode_32 0
		.amdhsa_float_round_mode_16_64 0
		.amdhsa_float_denorm_mode_32 3
		.amdhsa_float_denorm_mode_16_64 3
		.amdhsa_dx10_clamp 1
		.amdhsa_ieee_mode 1
		.amdhsa_fp16_overflow 0
		.amdhsa_workgroup_processor_mode 1
		.amdhsa_memory_ordered 1
		.amdhsa_forward_progress 0
		.amdhsa_shared_vgpr_count 0
		.amdhsa_exception_fp_ieee_invalid_op 0
		.amdhsa_exception_fp_denorm_src 0
		.amdhsa_exception_fp_ieee_div_zero 0
		.amdhsa_exception_fp_ieee_overflow 0
		.amdhsa_exception_fp_ieee_underflow 0
		.amdhsa_exception_fp_ieee_inexact 0
		.amdhsa_exception_int_div_zero 0
	.end_amdhsa_kernel
	.section	.text._ZN12_GLOBAL__N_120geam_min_plus_kernelIf15HIP_vector_typeIfLj2EES2_Li8ELi32ELi64ELi128ELi4ELi4ELi64ELi4ELi64ELc84ELc78ELb1ELb0ELb0EfKffEEviiiT16_PT17_ilS6_ilS4_S6_ilPT18_ili26rocblas_geam_ex_operation_,"axG",@progbits,_ZN12_GLOBAL__N_120geam_min_plus_kernelIf15HIP_vector_typeIfLj2EES2_Li8ELi32ELi64ELi128ELi4ELi4ELi64ELi4ELi64ELc84ELc78ELb1ELb0ELb0EfKffEEviiiT16_PT17_ilS6_ilS4_S6_ilPT18_ili26rocblas_geam_ex_operation_,comdat
.Lfunc_end85:
	.size	_ZN12_GLOBAL__N_120geam_min_plus_kernelIf15HIP_vector_typeIfLj2EES2_Li8ELi32ELi64ELi128ELi4ELi4ELi64ELi4ELi64ELc84ELc78ELb1ELb0ELb0EfKffEEviiiT16_PT17_ilS6_ilS4_S6_ilPT18_ili26rocblas_geam_ex_operation_, .Lfunc_end85-_ZN12_GLOBAL__N_120geam_min_plus_kernelIf15HIP_vector_typeIfLj2EES2_Li8ELi32ELi64ELi128ELi4ELi4ELi64ELi4ELi64ELc84ELc78ELb1ELb0ELb0EfKffEEviiiT16_PT17_ilS6_ilS4_S6_ilPT18_ili26rocblas_geam_ex_operation_
                                        ; -- End function
	.section	.AMDGPU.csdata,"",@progbits
; Kernel info:
; codeLenInByte = 9896
; NumSgprs: 25
; NumVgprs: 168
; ScratchSize: 0
; MemoryBound: 0
; FloatMode: 240
; IeeeMode: 1
; LDSByteSize: 6144 bytes/workgroup (compile time only)
; SGPRBlocks: 3
; VGPRBlocks: 20
; NumSGPRsForWavesPerEU: 25
; NumVGPRsForWavesPerEU: 168
; Occupancy: 9
; WaveLimiterHint : 0
; COMPUTE_PGM_RSRC2:SCRATCH_EN: 0
; COMPUTE_PGM_RSRC2:USER_SGPR: 14
; COMPUTE_PGM_RSRC2:TRAP_HANDLER: 0
; COMPUTE_PGM_RSRC2:TGID_X_EN: 1
; COMPUTE_PGM_RSRC2:TGID_Y_EN: 0
; COMPUTE_PGM_RSRC2:TGID_Z_EN: 1
; COMPUTE_PGM_RSRC2:TIDIG_COMP_CNT: 1
	.section	.text._ZN12_GLOBAL__N_120geam_min_plus_kernelIf15HIP_vector_typeIfLj2EES2_Li8ELi32ELi64ELi128ELi4ELi4ELi64ELi4ELi64ELc84ELc78ELb0ELb0ELb0EfKffEEviiiT16_PT17_ilS6_ilS4_S6_ilPT18_ili26rocblas_geam_ex_operation_,"axG",@progbits,_ZN12_GLOBAL__N_120geam_min_plus_kernelIf15HIP_vector_typeIfLj2EES2_Li8ELi32ELi64ELi128ELi4ELi4ELi64ELi4ELi64ELc84ELc78ELb0ELb0ELb0EfKffEEviiiT16_PT17_ilS6_ilS4_S6_ilPT18_ili26rocblas_geam_ex_operation_,comdat
	.globl	_ZN12_GLOBAL__N_120geam_min_plus_kernelIf15HIP_vector_typeIfLj2EES2_Li8ELi32ELi64ELi128ELi4ELi4ELi64ELi4ELi64ELc84ELc78ELb0ELb0ELb0EfKffEEviiiT16_PT17_ilS6_ilS4_S6_ilPT18_ili26rocblas_geam_ex_operation_ ; -- Begin function _ZN12_GLOBAL__N_120geam_min_plus_kernelIf15HIP_vector_typeIfLj2EES2_Li8ELi32ELi64ELi128ELi4ELi4ELi64ELi4ELi64ELc84ELc78ELb0ELb0ELb0EfKffEEviiiT16_PT17_ilS6_ilS4_S6_ilPT18_ili26rocblas_geam_ex_operation_
	.p2align	8
	.type	_ZN12_GLOBAL__N_120geam_min_plus_kernelIf15HIP_vector_typeIfLj2EES2_Li8ELi32ELi64ELi128ELi4ELi4ELi64ELi4ELi64ELc84ELc78ELb0ELb0ELb0EfKffEEviiiT16_PT17_ilS6_ilS4_S6_ilPT18_ili26rocblas_geam_ex_operation_,@function
_ZN12_GLOBAL__N_120geam_min_plus_kernelIf15HIP_vector_typeIfLj2EES2_Li8ELi32ELi64ELi128ELi4ELi4ELi64ELi4ELi64ELc84ELc78ELb0ELb0ELb0EfKffEEviiiT16_PT17_ilS6_ilS4_S6_ilPT18_ili26rocblas_geam_ex_operation_: ; @_ZN12_GLOBAL__N_120geam_min_plus_kernelIf15HIP_vector_typeIfLj2EES2_Li8ELi32ELi64ELi128ELi4ELi4ELi64ELi4ELi64ELc84ELc78ELb0ELb0ELb0EfKffEEviiiT16_PT17_ilS6_ilS4_S6_ilPT18_ili26rocblas_geam_ex_operation_
; %bb.0:
	s_clause 0x1
	s_load_b64 s[8:9], s[0:1], 0x8
	s_load_b128 s[4:7], s[0:1], 0x20
	s_waitcnt lgkmcnt(0)
	v_cmp_eq_f32_e64 s2, s9, 0
	s_delay_alu instid0(VALU_DEP_1)
	s_and_b32 vcc_lo, exec_lo, s2
	s_cbranch_vccnz .LBB86_3
; %bb.1:
	s_load_b64 s[10:11], s[0:1], 0x10
	s_mul_i32 s3, s15, s5
	s_mul_hi_u32 s5, s15, s4
	s_mul_i32 s4, s15, s4
	s_add_i32 s5, s5, s3
	s_delay_alu instid0(SALU_CYCLE_1)
	s_lshl_b64 s[4:5], s[4:5], 2
	s_waitcnt lgkmcnt(0)
	s_add_u32 s10, s10, s4
	s_addc_u32 s11, s11, s5
	s_and_not1_b32 vcc_lo, exec_lo, s2
	s_cbranch_vccnz .LBB86_4
.LBB86_2:
	s_mov_b32 s17, 0
	s_mov_b64 s[12:13], 0
	s_cbranch_execz .LBB86_5
	s_branch .LBB86_6
.LBB86_3:
	s_mov_b64 s[10:11], 0
	s_and_not1_b32 vcc_lo, exec_lo, s2
	s_cbranch_vccz .LBB86_2
.LBB86_4:
	s_mov_b32 s17, -1
                                        ; implicit-def: $sgpr12_sgpr13
.LBB86_5:
	s_load_b64 s[2:3], s[0:1], 0x38
	s_mov_b32 s17, 0
	s_waitcnt lgkmcnt(0)
	s_mul_i32 s3, s15, s3
	s_mul_hi_u32 s4, s15, s2
	s_mul_i32 s2, s15, s2
	s_add_i32 s3, s4, s3
	s_delay_alu instid0(SALU_CYCLE_1) | instskip(NEXT) | instid1(SALU_CYCLE_1)
	s_lshl_b64 s[2:3], s[2:3], 2
	s_add_u32 s12, s6, s2
	s_addc_u32 s13, s7, s3
.LBB86_6:
	s_clause 0x1
	s_load_b32 s16, s[0:1], 0x40
	s_load_b128 s[4:7], s[0:1], 0x58
	v_cmp_neq_f32_e64 s18, s9, 0
	s_waitcnt lgkmcnt(0)
	v_cmp_eq_f32_e64 s2, s16, 0
	s_delay_alu instid0(VALU_DEP_1) | instskip(NEXT) | instid1(SALU_CYCLE_1)
	s_and_b32 s2, exec_lo, s2
	s_mov_b32 vcc_lo, s2
	s_cbranch_vccnz .LBB86_8
; %bb.7:
	s_load_b64 s[20:21], s[0:1], 0x48
	s_mul_i32 s3, s15, s5
	s_mul_hi_u32 s5, s15, s4
	s_delay_alu instid0(SALU_CYCLE_1) | instskip(SKIP_3) | instid1(SALU_CYCLE_1)
	s_add_i32 s3, s5, s3
	s_mul_i32 s5, s17, s4
	s_mul_i32 s4, s15, s4
	s_add_i32 s5, s3, s5
	s_lshl_b64 s[4:5], s[4:5], 2
	s_waitcnt lgkmcnt(0)
	s_add_u32 s4, s20, s4
	s_addc_u32 s5, s21, s5
	s_branch .LBB86_9
.LBB86_8:
	s_mov_b64 s[4:5], 0
.LBB86_9:
	s_clause 0x1
	s_load_b32 s3, s[0:1], 0x0
	s_load_b32 s19, s[0:1], 0x18
	v_and_b32_e32 v48, 0x3ff, v0
	v_bfe_u32 v49, v0, 10, 10
	s_delay_alu instid0(VALU_DEP_2) | instskip(NEXT) | instid1(VALU_DEP_2)
	v_and_b32_e32 v2, 3, v48
	v_lshl_add_u32 v0, v49, 3, v48
	s_delay_alu instid0(VALU_DEP_2) | instskip(NEXT) | instid1(VALU_DEP_2)
	v_lshlrev_b32_e32 v54, 2, v2
	v_lshrrev_b32_e32 v6, 2, v0
	s_waitcnt lgkmcnt(0)
	s_add_i32 s3, s3, -1
	s_delay_alu instid0(SALU_CYCLE_1) | instskip(NEXT) | instid1(SALU_CYCLE_1)
	s_ashr_i32 s20, s3, 31
	s_lshr_b32 s20, s20, 26
	s_delay_alu instid0(SALU_CYCLE_1) | instskip(NEXT) | instid1(SALU_CYCLE_1)
	s_add_i32 s3, s3, s20
	s_ashr_i32 s3, s3, 6
	s_delay_alu instid0(SALU_CYCLE_1) | instskip(SKIP_2) | instid1(VALU_DEP_1)
	s_add_i32 s20, s3, 1
	s_not_b32 s3, s3
	v_cvt_f32_u32_e32 v1, s20
	v_rcp_iflag_f32_e32 v1, v1
	s_waitcnt_depctr 0xfff
	v_mul_f32_e32 v1, 0x4f7ffffe, v1
	s_delay_alu instid0(VALU_DEP_1) | instskip(NEXT) | instid1(VALU_DEP_1)
	v_cvt_u32_f32_e32 v1, v1
	v_readfirstlane_b32 s21, v1
	v_cndmask_b32_e64 v1, 0, 1, s18
	s_delay_alu instid0(VALU_DEP_2) | instskip(NEXT) | instid1(SALU_CYCLE_1)
	s_mul_i32 s3, s3, s21
	s_mul_hi_u32 s3, s21, s3
	s_delay_alu instid0(SALU_CYCLE_1) | instskip(NEXT) | instid1(SALU_CYCLE_1)
	s_add_i32 s21, s21, s3
	s_mul_hi_u32 s3, s14, s21
	s_delay_alu instid0(SALU_CYCLE_1) | instskip(SKIP_2) | instid1(SALU_CYCLE_1)
	s_mul_i32 s21, s3, s20
	s_add_i32 s22, s3, 1
	s_sub_i32 s21, s14, s21
	s_sub_i32 s23, s21, s20
	s_cmp_ge_u32 s21, s20
	s_cselect_b32 s3, s22, s3
	s_cselect_b32 s21, s23, s21
	s_add_i32 s22, s3, 1
	s_cmp_ge_u32 s21, s20
	s_cselect_b32 s21, s22, s3
	s_and_not1_b32 vcc_lo, exec_lo, s18
	s_mul_i32 s3, s21, s20
	s_delay_alu instid0(SALU_CYCLE_1) | instskip(SKIP_2) | instid1(SALU_CYCLE_1)
	s_sub_i32 s14, s14, s3
	v_cmp_ne_u32_e64 s3, 1, v1
	s_lshl_b32 s14, s14, 6
	v_add_nc_u32_e32 v0, s14, v6
	s_cbranch_vccnz .LBB86_11
; %bb.10:
	s_delay_alu instid0(VALU_DEP_1) | instskip(NEXT) | instid1(VALU_DEP_1)
	v_mad_i64_i32 v[1:2], null, v0, s19, 0
	v_lshlrev_b64 v[1:2], 2, v[1:2]
	s_delay_alu instid0(VALU_DEP_1) | instskip(NEXT) | instid1(VALU_DEP_2)
	v_add_co_u32 v1, vcc_lo, s10, v1
	v_add_co_ci_u32_e32 v2, vcc_lo, s11, v2, vcc_lo
	s_delay_alu instid0(VALU_DEP_2) | instskip(NEXT) | instid1(VALU_DEP_2)
	v_add_co_u32 v1, vcc_lo, v1, v54
	v_add_co_ci_u32_e32 v2, vcc_lo, 0, v2, vcc_lo
	flat_load_b32 v1, v[1:2]
	s_waitcnt vmcnt(0) lgkmcnt(0)
	v_mul_f32_e32 v7, s9, v1
	s_branch .LBB86_12
.LBB86_11:
	v_mov_b32_e32 v7, 0
.LBB86_12:
	s_load_b32 s20, s[0:1], 0x30
	s_lshl_b32 s18, s21, 7
	s_and_b32 vcc_lo, exec_lo, s3
	v_add_nc_u32_e32 v1, s18, v6
	s_delay_alu instid0(VALU_DEP_1)
	v_add_nc_u32_e32 v2, 64, v1
	s_cbranch_vccnz .LBB86_16
; %bb.13:
	s_waitcnt lgkmcnt(0)
	v_mad_i64_i32 v[3:4], null, v1, s20, 0
	s_delay_alu instid0(VALU_DEP_2) | instskip(SKIP_1) | instid1(VALU_DEP_1)
	v_mad_i64_i32 v[8:9], null, v2, s20, 0
	v_add_co_u32 v5, s21, s12, v54
	v_add_co_ci_u32_e64 v10, null, s13, 0, s21
	s_delay_alu instid0(VALU_DEP_4) | instskip(NEXT) | instid1(VALU_DEP_4)
	v_lshlrev_b64 v[3:4], 2, v[3:4]
	v_lshlrev_b64 v[8:9], 2, v[8:9]
	s_delay_alu instid0(VALU_DEP_2) | instskip(NEXT) | instid1(VALU_DEP_3)
	v_add_co_u32 v3, vcc_lo, v5, v3
	v_add_co_ci_u32_e32 v4, vcc_lo, v10, v4, vcc_lo
	s_delay_alu instid0(VALU_DEP_3) | instskip(NEXT) | instid1(VALU_DEP_4)
	v_add_co_u32 v8, vcc_lo, v5, v8
	v_add_co_ci_u32_e32 v9, vcc_lo, v10, v9, vcc_lo
	s_clause 0x1
	flat_load_b32 v3, v[3:4]
	flat_load_b32 v4, v[8:9]
	s_waitcnt vmcnt(0) lgkmcnt(0)
	v_dual_mul_f32 v8, s9, v3 :: v_dual_mul_f32 v9, s9, v4
	s_and_b32 vcc_lo, exec_lo, s3
	s_cbranch_vccnz .LBB86_17
.LBB86_14:
	v_mad_i64_i32 v[3:4], null, v0, s19, 0
	s_delay_alu instid0(VALU_DEP_1) | instskip(NEXT) | instid1(VALU_DEP_1)
	v_lshlrev_b64 v[3:4], 2, v[3:4]
	v_add_co_u32 v3, vcc_lo, s10, v3
	s_delay_alu instid0(VALU_DEP_2) | instskip(NEXT) | instid1(VALU_DEP_2)
	v_add_co_ci_u32_e32 v4, vcc_lo, s11, v4, vcc_lo
	v_add_co_u32 v3, vcc_lo, v3, v54
	s_delay_alu instid0(VALU_DEP_2)
	v_add_co_ci_u32_e32 v4, vcc_lo, 0, v4, vcc_lo
	flat_load_b32 v3, v[3:4] offset:16
	s_waitcnt vmcnt(0) lgkmcnt(0)
	v_mul_f32_e32 v3, s9, v3
	s_and_b32 vcc_lo, exec_lo, s3
	s_cbranch_vccnz .LBB86_18
.LBB86_15:
	s_waitcnt lgkmcnt(0)
	v_mad_i64_i32 v[4:5], null, v1, s20, 0
	v_mad_i64_i32 v[10:11], null, v2, s20, 0
	v_add_co_u32 v12, s21, s12, v54
	s_delay_alu instid0(VALU_DEP_1) | instskip(NEXT) | instid1(VALU_DEP_4)
	v_add_co_ci_u32_e64 v13, null, s13, 0, s21
	v_lshlrev_b64 v[4:5], 2, v[4:5]
	s_delay_alu instid0(VALU_DEP_4) | instskip(NEXT) | instid1(VALU_DEP_2)
	v_lshlrev_b64 v[10:11], 2, v[10:11]
	v_add_co_u32 v4, vcc_lo, v12, v4
	s_delay_alu instid0(VALU_DEP_3) | instskip(NEXT) | instid1(VALU_DEP_3)
	v_add_co_ci_u32_e32 v5, vcc_lo, v13, v5, vcc_lo
	v_add_co_u32 v10, vcc_lo, v12, v10
	s_delay_alu instid0(VALU_DEP_4)
	v_add_co_ci_u32_e32 v11, vcc_lo, v13, v11, vcc_lo
	s_clause 0x1
	flat_load_b32 v4, v[4:5] offset:16
	flat_load_b32 v5, v[10:11] offset:16
	s_waitcnt vmcnt(0) lgkmcnt(0)
	v_dual_mul_f32 v4, s9, v4 :: v_dual_mul_f32 v5, s9, v5
	s_branch .LBB86_19
.LBB86_16:
	v_dual_mov_b32 v8, 0 :: v_dual_mov_b32 v9, 0
	s_and_b32 vcc_lo, exec_lo, s3
	s_cbranch_vccz .LBB86_14
.LBB86_17:
	v_mov_b32_e32 v3, 0
	s_and_b32 vcc_lo, exec_lo, s3
	s_cbranch_vccz .LBB86_15
.LBB86_18:
	v_dual_mov_b32 v4, 0 :: v_dual_mov_b32 v5, 0
.LBB86_19:
	v_lshl_or_b32 v67, v6, 4, v54
	v_lshlrev_b32_e32 v50, 4, v49
	v_lshlrev_b32_e32 v51, 4, v48
	s_cmp_lt_i32 s8, 9
	ds_store_b32 v67, v7 offset:4096
	ds_store_2addr_stride64_b32 v67, v8, v9 offset1:4
	s_waitcnt lgkmcnt(0)
	s_barrier
	buffer_gl0_inv
	ds_load_b128 v[6:9], v50
	ds_load_b128 v[10:13], v51 offset:4096
	ds_load_b128 v[14:17], v51 offset:4224
	;; [unrolled: 1-line block ×11, first 2 shown]
	ds_store_b32 v67, v3 offset:5120
	ds_store_2addr_stride64_b32 v67, v4, v5 offset0:8 offset1:12
	s_waitcnt lgkmcnt(0)
	s_barrier
	buffer_gl0_inv
	v_max_f32_e32 v6, v6, v6
	v_dual_max_f32 v10, v10, v10 :: v_dual_max_f32 v11, v11, v11
	v_dual_max_f32 v7, v7, v7 :: v_dual_max_f32 v14, v14, v14
	;; [unrolled: 1-line block ×6, first 2 shown]
	s_delay_alu instid0(VALU_DEP_3)
	v_dual_min_f32 v69, v27, v7 :: v_dual_min_f32 v68, v26, v6
	v_dual_max_f32 v31, v31, v31 :: v_dual_max_f32 v34, v34, v34
	v_dual_max_f32 v35, v35, v35 :: v_dual_max_f32 v38, v38, v38
	v_dual_max_f32 v39, v39, v39 :: v_dual_max_f32 v42, v42, v42
	v_dual_min_f32 v46, v10, v6 :: v_dual_min_f32 v47, v11, v7
	v_dual_min_f32 v52, v14, v6 :: v_dual_min_f32 v53, v15, v7
	;; [unrolled: 1-line block ×6, first 2 shown]
	v_dual_min_f32 v6, v38, v6 :: v_dual_max_f32 v43, v43, v43
	v_dual_min_f32 v7, v39, v7 :: v_dual_max_f32 v8, v8, v8
	v_dual_max_f32 v9, v9, v9 :: v_dual_max_f32 v12, v12, v12
	v_dual_max_f32 v13, v13, v13 :: v_dual_min_f32 v86, v34, v42
	v_dual_max_f32 v55, v55, v55 :: v_dual_max_f32 v56, v56, v56
	v_dual_max_f32 v58, v58, v58 :: v_dual_max_f32 v59, v59, v59
	v_dual_min_f32 v74, v10, v42 :: v_dual_min_f32 v75, v11, v43
	v_dual_min_f32 v76, v14, v42 :: v_dual_min_f32 v77, v15, v43
	v_dual_max_f32 v16, v16, v16 :: v_dual_max_f32 v17, v17, v17
	v_dual_min_f32 v78, v18, v42 :: v_dual_min_f32 v79, v19, v43
	v_dual_max_f32 v20, v20, v20 :: v_dual_max_f32 v21, v21, v21
	;; [unrolled: 2-line block ×3, first 2 shown]
	v_dual_min_f32 v82, v26, v42 :: v_dual_min_f32 v83, v27, v43
	v_dual_min_f32 v84, v30, v42 :: v_dual_min_f32 v85, v31, v43
	v_dual_min_f32 v87, v35, v43 :: v_dual_min_f32 v42, v38, v42
	v_dual_min_f32 v118, v10, v55 :: v_dual_max_f32 v41, v41, v41
	v_min_f32_e32 v119, v14, v55
	v_dual_min_f32 v120, v18, v55 :: v_dual_max_f32 v57, v57, v57
	v_dual_min_f32 v121, v22, v55 :: v_dual_max_f32 v60, v60, v60
	v_dual_max_f32 v122, v61, v61 :: v_dual_max_f32 v123, v62, v62
	v_dual_min_f32 v61, v26, v55 :: v_dual_min_f32 v126, v19, v56
	v_min_f32_e32 v62, v30, v55
	v_dual_min_f32 v124, v34, v55 :: v_dual_min_f32 v125, v15, v56
	v_dual_min_f32 v55, v38, v55 :: v_dual_min_f32 v128, v27, v56
	;; [unrolled: 1-line block ×3, first 2 shown]
	v_dual_min_f32 v130, v35, v56 :: v_dual_add_f32 v47, 0, v47
	v_min_f32_e32 v88, v13, v9
	v_dual_add_f32 v46, 0, v46 :: v_dual_min_f32 v35, v35, v60
	v_dual_max_f32 v28, v28, v28 :: v_dual_max_f32 v29, v29, v29
	v_dual_min_f32 v43, v39, v43 :: v_dual_max_f32 v40, v40, v40
	v_dual_min_f32 v10, v10, v59 :: v_dual_min_f32 v127, v23, v56
	v_dual_min_f32 v14, v14, v59 :: v_dual_min_f32 v129, v31, v56
	v_min_f32_e32 v18, v18, v59
	v_dual_min_f32 v22, v22, v59 :: v_dual_min_f32 v15, v15, v60
	v_dual_min_f32 v26, v26, v59 :: v_dual_min_f32 v19, v19, v60
	;; [unrolled: 1-line block ×4, first 2 shown]
	v_min_f32_e32 v59, v11, v56
	v_dual_min_f32 v56, v39, v56 :: v_dual_add_f32 v117, v89, v46
	v_min_f32_e32 v11, v11, v60
	v_min_f32_e32 v31, v31, v60
	v_dual_min_f32 v39, v39, v60 :: v_dual_add_f32 v116, v88, v47
	v_dual_add_f32 v46, 0, v53 :: v_dual_min_f32 v53, v16, v8
	v_dual_min_f32 v47, v17, v9 :: v_dual_add_f32 v52, 0, v52
	v_dual_add_f32 v60, 0, v64 :: v_dual_add_f32 v63, 0, v63
	v_dual_min_f32 v88, v20, v8 :: v_dual_min_f32 v89, v25, v9
	v_min_f32_e32 v64, v21, v9
	s_delay_alu instid0(VALU_DEP_4) | instskip(SKIP_1) | instid1(VALU_DEP_4)
	v_dual_add_f32 v66, 0, v66 :: v_dual_add_f32 v115, v53, v52
	v_dual_max_f32 v32, v32, v32 :: v_dual_max_f32 v33, v33, v33
	v_add_f32_e32 v113, v88, v63
	s_delay_alu instid0(VALU_DEP_4) | instskip(NEXT) | instid1(VALU_DEP_4)
	v_dual_add_f32 v112, v64, v60 :: v_dual_min_f32 v53, v29, v9
	v_dual_add_f32 v110, v89, v66 :: v_dual_min_f32 v63, v28, v8
	v_add_f32_e32 v60, 0, v68
	v_dual_max_f32 v36, v36, v36 :: v_dual_max_f32 v37, v37, v37
	v_dual_max_f32 v44, v44, v44 :: v_dual_max_f32 v45, v45, v45
	v_dual_add_f32 v114, v47, v46 :: v_dual_min_f32 v47, v24, v8
	v_add_f32_e32 v46, 0, v65
	v_min_f32_e32 v65, v33, v9
	v_dual_add_f32 v109, v63, v60 :: v_dual_add_f32 v52, 0, v69
	v_add_f32_e32 v66, 0, v70
	v_dual_min_f32 v68, v32, v8 :: v_dual_add_f32 v7, 0, v7
	v_dual_add_f32 v111, v47, v46 :: v_dual_add_f32 v46, 0, v73
	v_min_f32_e32 v47, v37, v9
	v_dual_min_f32 v9, v41, v9 :: v_dual_add_f32 v6, 0, v6
	v_min_f32_e32 v63, v13, v45
	v_add_f32_e32 v108, v53, v52
	v_add_f32_e32 v52, 0, v72
	v_min_f32_e32 v53, v36, v8
	v_min_f32_e32 v8, v40, v8
	v_dual_add_f32 v64, 0, v71 :: v_dual_add_f32 v107, v68, v66
	s_delay_alu instid0(VALU_DEP_3)
	v_dual_add_f32 v60, 0, v75 :: v_dual_add_f32 v105, v53, v52
	v_add_f32_e32 v104, v47, v46
	v_dual_add_f32 v102, v9, v7 :: v_dual_min_f32 v47, v16, v44
	v_min_f32_e32 v7, v12, v44
	v_min_f32_e32 v9, v17, v45
	v_add_f32_e32 v103, v8, v6
	v_add_f32_e32 v6, 0, v74
	v_dual_add_f32 v100, v63, v60 :: v_dual_min_f32 v53, v21, v45
	v_add_f32_e32 v46, 0, v76
	v_min_f32_e32 v63, v20, v44
	s_delay_alu instid0(VALU_DEP_4) | instskip(SKIP_1) | instid1(VALU_DEP_4)
	v_dual_add_f32 v106, v65, v64 :: v_dual_add_f32 v101, v7, v6
	v_min_f32_e32 v7, v25, v45
	v_dual_add_f32 v8, 0, v77 :: v_dual_add_f32 v99, v47, v46
	v_add_f32_e32 v60, 0, v78
	v_dual_add_f32 v46, 0, v83 :: v_dual_min_f32 v47, v29, v45
	s_delay_alu instid0(VALU_DEP_3)
	v_dual_add_f32 v98, v9, v8 :: v_dual_add_f32 v43, 0, v43
	v_add_f32_e32 v8, 0, v80
	v_dual_add_f32 v6, 0, v81 :: v_dual_min_f32 v9, v24, v44
	v_dual_add_f32 v52, 0, v79 :: v_dual_add_f32 v97, v63, v60
	v_dual_min_f32 v63, v33, v45 :: v_dual_add_f32 v92, v47, v46
	v_dual_add_f32 v46, 0, v86 :: v_dual_min_f32 v47, v36, v44
	s_delay_alu instid0(VALU_DEP_4) | instskip(SKIP_1) | instid1(VALU_DEP_3)
	v_dual_add_f32 v94, v7, v6 :: v_dual_min_f32 v7, v32, v44
	v_add_f32_e32 v95, v9, v8
	v_dual_add_f32 v6, 0, v84 :: v_dual_add_f32 v89, v47, v46
	v_add_f32_e32 v96, v53, v52
	v_dual_add_f32 v52, 0, v82 :: v_dual_min_f32 v53, v28, v44
	v_add_f32_e32 v60, 0, v85
	v_min_f32_e32 v9, v37, v45
	v_dual_min_f32 v45, v41, v45 :: v_dual_add_f32 v42, 0, v42
	s_delay_alu instid0(VALU_DEP_4) | instskip(NEXT) | instid1(VALU_DEP_4)
	v_add_f32_e32 v93, v53, v52
	v_add_f32_e32 v90, v63, v60
	v_dual_min_f32 v44, v40, v44 :: v_dual_add_f32 v91, v7, v6
	v_dual_min_f32 v7, v13, v58 :: v_dual_add_f32 v8, 0, v87
	v_add_f32_e32 v6, 0, v59
	s_delay_alu instid0(VALU_DEP_3) | instskip(SKIP_1) | instid1(VALU_DEP_4)
	v_dual_add_f32 v86, v45, v43 :: v_dual_add_f32 v87, v44, v42
	v_dual_add_f32 v42, 0, v125 :: v_dual_min_f32 v47, v21, v58
	v_dual_add_f32 v88, v9, v8 :: v_dual_min_f32 v45, v16, v57
	v_min_f32_e32 v9, v12, v57
	v_dual_min_f32 v43, v17, v58 :: v_dual_add_f32 v44, 0, v119
	v_add_f32_e32 v8, 0, v118
	v_add_f32_e32 v46, 0, v126
	;; [unrolled: 1-line block ×3, first 2 shown]
	v_dual_add_f32 v6, 0, v120 :: v_dual_min_f32 v7, v20, v57
	v_dual_add_f32 v82, v43, v42 :: v_dual_add_f32 v83, v45, v44
	v_dual_add_f32 v85, v9, v8 :: v_dual_add_f32 v8, 0, v127
	v_min_f32_e32 v45, v29, v58
	v_dual_min_f32 v9, v25, v58 :: v_dual_add_f32 v42, 0, v121
	v_add_f32_e32 v81, v7, v6
	v_dual_min_f32 v43, v24, v57 :: v_dual_add_f32 v80, v47, v46
	v_add_f32_e32 v44, 0, v128
	v_dual_add_f32 v46, 0, v61 :: v_dual_min_f32 v7, v33, v58
	v_min_f32_e32 v47, v28, v57
	v_add_f32_e32 v6, 0, v129
	v_dual_add_f32 v78, v9, v8 :: v_dual_add_f32 v79, v43, v42
	v_min_f32_e32 v9, v32, v57
	s_delay_alu instid0(VALU_DEP_4)
	v_add_f32_e32 v77, v47, v46
	v_dual_min_f32 v43, v37, v58 :: v_dual_add_f32 v46, 0, v56
	v_min_f32_e32 v47, v41, v58
	v_add_f32_e32 v76, v45, v44
	v_dual_add_f32 v44, 0, v124 :: v_dual_min_f32 v45, v36, v57
	v_add_f32_e32 v74, v7, v6
	v_add_f32_e32 v7, 0, v10
	;; [unrolled: 1-line block ×3, first 2 shown]
	s_delay_alu instid0(VALU_DEP_4) | instskip(SKIP_1) | instid1(VALU_DEP_3)
	v_dual_add_f32 v6, 0, v55 :: v_dual_add_f32 v73, v45, v44
	v_dual_add_f32 v42, 0, v130 :: v_dual_min_f32 v13, v13, v123
	v_dual_add_f32 v75, v9, v8 :: v_dual_add_f32 v8, 0, v11
	v_dual_add_f32 v11, 0, v18 :: v_dual_add_f32 v18, 0, v23
	v_dual_add_f32 v23, 0, v30 :: v_dual_min_f32 v30, v40, v57
	v_dual_add_f32 v9, 0, v14 :: v_dual_add_f32 v14, 0, v19
	v_dual_add_f32 v19, 0, v26 :: v_dual_add_f32 v26, 0, v31
	v_add_f32_e32 v31, 0, v35
	v_add_f32_e32 v35, 0, v39
	v_add_f32_e32 v71, v30, v6
	v_min_f32_e32 v6, v12, v122
	v_add_f32_e32 v72, v43, v42
	v_dual_add_f32 v10, 0, v15 :: v_dual_add_f32 v15, 0, v22
	v_add_f32_e32 v68, v13, v8
	s_delay_alu instid0(VALU_DEP_4)
	v_add_f32_e32 v70, v6, v7
	v_min_f32_e32 v7, v25, v123
	v_min_f32_e32 v8, v17, v123
	;; [unrolled: 1-line block ×4, first 2 shown]
	v_dual_add_f32 v22, 0, v27 :: v_dual_add_f32 v27, 0, v34
	v_add_f32_e32 v61, v7, v18
	v_dual_min_f32 v7, v33, v123 :: v_dual_add_f32 v34, 0, v38
	v_min_f32_e32 v13, v21, v123
	v_add_f32_e32 v69, v47, v46
	s_delay_alu instid0(VALU_DEP_3)
	v_add_f32_e32 v55, v7, v26
	v_min_f32_e32 v7, v37, v123
	v_add_f32_e32 v64, v6, v11
	v_min_f32_e32 v6, v24, v122
	;; [unrolled: 2-line block ×4, first 2 shown]
	v_min_f32_e32 v8, v29, v123
	v_dual_add_f32 v62, v13, v14 :: v_dual_add_f32 v57, v7, v31
	v_add_f32_e32 v60, v9, v19
	v_min_f32_e32 v9, v41, v123
	v_dual_add_f32 v63, v6, v15 :: v_dual_min_f32 v6, v32, v122
	v_add_f32_e32 v53, v10, v34
	v_add_f32_e32 v59, v8, v22
	v_min_f32_e32 v8, v36, v122
	v_add_f32_e32 v52, v9, v35
	v_add_f32_e32 v58, v6, v23
	s_delay_alu instid0(VALU_DEP_3)
	v_add_f32_e32 v56, v8, v27
	s_cbranch_scc1 .LBB86_33
; %bb.20:
	v_mad_i64_i32 v[3:4], null, v0, s19, 0
	v_mad_i64_i32 v[5:6], null, s20, v2, 0
	;; [unrolled: 1-line block ×3, first 2 shown]
	v_add_nc_u32_e32 v118, 0x1000, v67
	v_add_nc_u32_e32 v119, 0x1000, v51
	v_lshlrev_b64 v[2:3], 2, v[3:4]
	v_add_nc_u32_e32 v120, 0x1400, v67
	v_lshlrev_b64 v[0:1], 2, v[5:6]
	v_add_nc_u32_e32 v121, 0x800, v67
	v_lshl_add_u32 v124, v48, 4, 0x1400
	v_lshl_add_u32 v125, v49, 4, 0x800
	v_add_co_u32 v122, vcc_lo, s10, v2
	v_add_co_ci_u32_e32 v123, vcc_lo, s11, v3, vcc_lo
	v_lshlrev_b64 v[2:3], 2, v[7:8]
	v_add_co_u32 v126, vcc_lo, s12, v0
	v_add_co_ci_u32_e32 v127, vcc_lo, s13, v1, vcc_lo
	s_add_i32 s8, s8, -8
	s_delay_alu instid0(VALU_DEP_3) | instskip(NEXT) | instid1(VALU_DEP_4)
	v_add_co_u32 v128, vcc_lo, s12, v2
	v_add_co_ci_u32_e32 v129, vcc_lo, s13, v3, vcc_lo
	s_mov_b32 s10, 0
	s_branch .LBB86_23
.LBB86_21:                              ;   in Loop: Header=BB86_23 Depth=1
	v_add_co_u32 v0, vcc_lo, v128, v54
	v_add_co_ci_u32_e32 v1, vcc_lo, 0, v129, vcc_lo
	v_add_co_u32 v213, vcc_lo, v126, v54
	v_add_co_ci_u32_e32 v214, vcc_lo, 0, v127, vcc_lo
	flat_load_b32 v0, v[0:1] offset:48
	flat_load_b32 v1, v[213:214] offset:48
	s_waitcnt vmcnt(0) lgkmcnt(0)
	v_dual_mul_f32 v0, s9, v0 :: v_dual_mul_f32 v1, s9, v1
.LBB86_22:                              ;   in Loop: Header=BB86_23 Depth=1
	v_dual_add_f32 v40, v40, v116 :: v_dual_add_f32 v29, v29, v113
	v_dual_add_f32 v28, v28, v114 :: v_dual_add_f32 v33, v33, v111
	;; [unrolled: 1-line block ×19, first 2 shown]
	ds_load_b128 v[20:23], v50
	ds_load_b128 v[28:31], v119
	v_dual_add_f32 v64, v10, v64 :: v_dual_add_f32 v63, v11, v63
	ds_load_b128 v[8:11], v119 offset:128
	v_dual_add_f32 v89, v139, v89 :: v_dual_add_f32 v4, v4, v88
	v_dual_add_f32 v66, v159, v66 :: v_dual_add_f32 v65, v160, v65
	v_dual_add_f32 v62, v162, v62 :: v_dual_add_f32 v61, v164, v61
	v_dual_add_f32 v60, v165, v60 :: v_dual_add_f32 v59, v166, v59
	v_dual_add_f32 v58, v167, v58 :: v_dual_add_f32 v55, v168, v55
	v_dual_add_f32 v56, v169, v56 :: v_dual_add_f32 v57, v170, v57
	v_dual_add_f32 v36, v36, v117 :: v_dual_add_f32 v41, v41, v115
	v_dual_add_f32 v97, v131, v97 :: v_dual_add_f32 v96, v132, v96
	v_dual_add_f32 v103, v18, v16 :: v_dual_add_f32 v112, v185, v45
	v_dual_add_f32 v114, v198, v4 :: v_dual_add_f32 v89, v181, v89
	v_dual_add_f32 v86, v199, v86 :: v_dual_add_f32 v115, v190, v5
	v_dual_add_f32 v65, v212, v65 :: v_dual_add_f32 v62, v26, v62
	v_dual_add_f32 v66, v208, v66 :: v_dual_add_f32 v61, v27, v61
	v_dual_add_f32 v59, v171, v59 :: v_dual_add_f32 v60, v2, v60
	v_dual_add_f32 v116, v14, v55 :: v_dual_add_f32 v117, v3, v58
	v_dual_add_f32 v131, v15, v57 :: v_dual_add_f32 v6, v6, v56
	s_waitcnt lgkmcnt(2)
	v_dual_add_f32 v132, v19, v46 :: v_dual_max_f32 v21, v21, v21
	ds_load_b128 v[2:5], v119 offset:256
	ds_load_b128 v[12:15], v119 offset:384
	;; [unrolled: 1-line block ×5, first 2 shown]
	v_dual_add_f32 v7, v7, v43 :: v_dual_max_f32 v20, v20, v20
	s_waitcnt lgkmcnt(6)
	v_dual_max_f32 v28, v28, v28 :: v_dual_max_f32 v29, v29, v29
	s_waitcnt lgkmcnt(5)
	v_dual_max_f32 v8, v8, v8 :: v_dual_max_f32 v9, v9, v9
	v_dual_add_f32 v53, v38, v36 :: v_dual_add_f32 v100, v39, v37
	v_dual_add_f32 v88, v42, v41 :: v_dual_add_f32 v113, v176, v44
	ds_load_b128 v[36:39], v119 offset:768
	ds_load_b128 v[40:43], v119 offset:896
	v_dual_add_f32 v95, v133, v95 :: v_dual_add_f32 v94, v134, v94
	v_dual_add_f32 v93, v135, v93 :: v_dual_add_f32 v92, v136, v92
	v_dual_min_f32 v133, v28, v20 :: v_dual_min_f32 v134, v29, v21
	s_waitcnt lgkmcnt(6)
	v_dual_min_f32 v135, v8, v20 :: v_dual_max_f32 v2, v2, v2
	s_waitcnt lgkmcnt(5)
	v_dual_max_f32 v3, v3, v3 :: v_dual_max_f32 v12, v12, v12
	v_dual_add_f32 v53, v133, v53 :: v_dual_add_f32 v52, v134, v52
	s_delay_alu instid0(VALU_DEP_3) | instskip(SKIP_2) | instid1(VALU_DEP_2)
	v_dual_min_f32 v133, v9, v21 :: v_dual_add_f32 v88, v135, v88
	v_dual_min_f32 v134, v2, v20 :: v_dual_max_f32 v13, v13, v13
	s_waitcnt lgkmcnt(4)
	v_dual_max_f32 v16, v16, v16 :: v_dual_add_f32 v87, v133, v87
	v_min_f32_e32 v135, v12, v20
	s_delay_alu instid0(VALU_DEP_3)
	v_dual_add_f32 v99, v134, v99 :: v_dual_min_f32 v134, v13, v21
	v_min_f32_e32 v133, v3, v21
	s_waitcnt lgkmcnt(1)
	v_dual_max_f32 v17, v17, v17 :: v_dual_max_f32 v36, v36, v36
	v_dual_add_f32 v101, v135, v101 :: v_dual_max_f32 v24, v24, v24
	v_add_f32_e32 v100, v134, v100
	v_dual_add_f32 v98, v133, v98 :: v_dual_min_f32 v133, v16, v20
	s_delay_alu instid0(VALU_DEP_4) | instskip(SKIP_2) | instid1(VALU_DEP_3)
	v_min_f32_e32 v134, v17, v21
	s_waitcnt lgkmcnt(0)
	v_dual_max_f32 v25, v25, v25 :: v_dual_max_f32 v40, v40, v40
	v_dual_max_f32 v32, v32, v32 :: v_dual_add_f32 v103, v133, v103
	s_delay_alu instid0(VALU_DEP_3) | instskip(SKIP_4) | instid1(VALU_DEP_4)
	v_add_f32_e32 v102, v134, v102
	v_min_f32_e32 v134, v36, v20
	v_min_f32_e32 v133, v24, v20
	;; [unrolled: 1-line block ×3, first 2 shown]
	v_max_f32_e32 v37, v37, v37
	v_dual_max_f32 v33, v33, v33 :: v_dual_add_f32 v134, v134, v107
	s_delay_alu instid0(VALU_DEP_3) | instskip(NEXT) | instid1(VALU_DEP_3)
	v_dual_add_f32 v105, v133, v105 :: v_dual_add_f32 v104, v135, v104
	v_dual_min_f32 v133, v37, v21 :: v_dual_min_f32 v20, v40, v20
	v_dual_add_f32 v96, v186, v96 :: v_dual_add_f32 v97, v177, v97
	v_max_f32_e32 v41, v41, v41
	s_delay_alu instid0(VALU_DEP_3)
	v_dual_add_f32 v133, v133, v106 :: v_dual_add_f32 v20, v20, v109
	v_dual_min_f32 v106, v28, v32 :: v_dual_min_f32 v107, v29, v33
	ds_load_b128 v[44:47], v50 offset:1024
	ds_load_b128 v[55:58], v50 offset:1536
	v_dual_add_f32 v91, v137, v91 :: v_dual_add_f32 v90, v138, v90
	v_dual_add_f32 v94, v187, v94 :: v_dual_add_f32 v95, v178, v95
	v_dual_add_f32 v136, v107, v110 :: v_dual_min_f32 v109, v8, v32
	v_dual_add_f32 v135, v106, v111 :: v_dual_min_f32 v106, v9, v33
	v_dual_min_f32 v21, v41, v21 :: v_dual_add_f32 v92, v188, v92
	v_add_f32_e32 v93, v179, v93
	v_min_f32_e32 v107, v2, v32
	s_delay_alu instid0(VALU_DEP_4) | instskip(SKIP_3) | instid1(VALU_DEP_3)
	v_add_f32_e32 v138, v106, v112
	v_min_f32_e32 v106, v13, v33
	v_dual_add_f32 v21, v21, v108 :: v_dual_min_f32 v108, v3, v33
	v_add_f32_e32 v137, v109, v113
	v_dual_min_f32 v109, v12, v32 :: v_dual_add_f32 v94, v106, v94
	v_dual_min_f32 v106, v17, v33 :: v_dual_add_f32 v83, v143, v83
	v_add_f32_e32 v82, v144, v82
	v_dual_add_f32 v90, v189, v90 :: v_dual_add_f32 v91, v180, v91
	v_dual_add_f32 v97, v107, v97 :: v_dual_add_f32 v96, v108, v96
	v_min_f32_e32 v108, v24, v32
	v_add_f32_e32 v92, v106, v92
	v_min_f32_e32 v106, v37, v33
	s_waitcnt lgkmcnt(1)
	v_dual_add_f32 v95, v109, v95 :: v_dual_max_f32 v44, v44, v44
	v_min_f32_e32 v109, v25, v33
	v_min_f32_e32 v107, v16, v32
	v_dual_add_f32 v85, v141, v85 :: v_dual_add_f32 v84, v142, v84
	v_dual_add_f32 v81, v145, v81 :: v_dual_add_f32 v80, v146, v80
	;; [unrolled: 1-line block ×5, first 2 shown]
	v_add_f32_e32 v93, v107, v93
	v_dual_max_f32 v45, v45, v45 :: v_dual_min_f32 v108, v8, v44
	v_min_f32_e32 v107, v36, v32
	v_dual_min_f32 v33, v41, v33 :: v_dual_add_f32 v84, v200, v84
	v_dual_add_f32 v85, v191, v85 :: v_dual_add_f32 v80, v202, v80
	v_dual_add_f32 v81, v193, v81 :: v_dual_add_f32 v78, v203, v78
	v_dual_add_f32 v79, v194, v79 :: v_dual_min_f32 v32, v40, v32
	s_delay_alu instid0(VALU_DEP_4)
	v_add_f32_e32 v33, v33, v86
	v_min_f32_e32 v86, v9, v45
	v_add_f32_e32 v89, v107, v89
	v_min_f32_e32 v107, v29, v45
	;; [unrolled: 2-line block ×3, first 2 shown]
	v_add_f32_e32 v82, v86, v82
	s_delay_alu instid0(VALU_DEP_4) | instskip(SKIP_2) | instid1(VALU_DEP_2)
	v_dual_add_f32 v139, v106, v114 :: v_dual_add_f32 v84, v107, v84
	v_dual_min_f32 v106, v28, v44 :: v_dual_add_f32 v77, v149, v77
	v_dual_add_f32 v76, v150, v76 :: v_dual_add_f32 v75, v151, v75
	v_dual_add_f32 v74, v152, v74 :: v_dual_add_f32 v85, v106, v85
	v_min_f32_e32 v106, v2, v44
	v_dual_min_f32 v86, v13, v45 :: v_dual_add_f32 v79, v108, v79
	v_min_f32_e32 v107, v3, v45
	v_dual_add_f32 v73, v153, v73 :: v_dual_add_f32 v72, v154, v72
	v_dual_add_f32 v76, v204, v76 :: v_dual_add_f32 v77, v195, v77
	;; [unrolled: 1-line block ×3, first 2 shown]
	v_dual_add_f32 v81, v106, v81 :: v_dual_min_f32 v106, v16, v44
	v_add_f32_e32 v78, v86, v78
	v_add_f32_e32 v80, v107, v80
	v_dual_min_f32 v86, v17, v45 :: v_dual_min_f32 v107, v24, v44
	v_dual_add_f32 v71, v155, v71 :: v_dual_add_f32 v70, v157, v70
	v_dual_add_f32 v69, v156, v69 :: v_dual_add_f32 v68, v158, v68
	v_add_f32_e32 v73, v197, v73
	s_delay_alu instid0(VALU_DEP_4)
	v_dual_min_f32 v108, v25, v45 :: v_dual_add_f32 v75, v107, v75
	v_dual_add_f32 v77, v106, v77 :: v_dual_min_f32 v106, v36, v44
	v_dual_add_f32 v71, v206, v71 :: v_dual_add_f32 v70, v207, v70
	v_add_f32_e32 v68, v211, v68
	s_waitcnt lgkmcnt(0)
	v_dual_add_f32 v76, v86, v76 :: v_dual_max_f32 v55, v55, v55
	v_dual_add_f32 v73, v106, v73 :: v_dual_min_f32 v44, v40, v44
	v_max_f32_e32 v56, v56, v56
	v_min_f32_e32 v86, v37, v45
	s_delay_alu instid0(VALU_DEP_4) | instskip(NEXT) | instid1(VALU_DEP_3)
	v_dual_min_f32 v45, v41, v45 :: v_dual_min_f32 v16, v16, v55
	v_dual_add_f32 v44, v44, v71 :: v_dual_min_f32 v29, v29, v56
	v_dual_min_f32 v8, v8, v55 :: v_dual_min_f32 v13, v13, v56
	v_min_f32_e32 v12, v12, v55
	v_dual_min_f32 v24, v24, v55 :: v_dual_min_f32 v37, v37, v56
	s_delay_alu instid0(VALU_DEP_3) | instskip(NEXT) | instid1(VALU_DEP_3)
	v_dual_add_f32 v29, v29, v68 :: v_dual_add_f32 v8, v8, v66
	v_dual_add_f32 v13, v13, v61 :: v_dual_add_f32 v12, v12, v63
	v_dual_min_f32 v25, v25, v56 :: v_dual_min_f32 v36, v36, v55
	v_min_f32_e32 v17, v17, v56
	v_dual_add_f32 v16, v16, v60 :: v_dual_max_f32 v23, v23, v23
	v_dual_add_f32 v24, v24, v117 :: v_dual_max_f32 v31, v31, v31
	s_delay_alu instid0(VALU_DEP_4)
	v_dual_add_f32 v25, v25, v116 :: v_dual_add_f32 v6, v36, v6
	v_dual_max_f32 v22, v22, v22 :: v_dual_max_f32 v11, v11, v11
	v_max_f32_e32 v30, v30, v30
	v_add_f32_e32 v36, v37, v131
	v_dual_min_f32 v37, v40, v55 :: v_dual_min_f32 v40, v41, v56
	v_dual_min_f32 v28, v28, v55 :: v_dual_min_f32 v9, v9, v56
	v_min_f32_e32 v3, v3, v56
	s_delay_alu instid0(VALU_DEP_3)
	v_add_f32_e32 v7, v37, v7
	v_min_f32_e32 v37, v31, v23
	v_min_f32_e32 v41, v30, v22
	v_max_f32_e32 v10, v10, v10
	v_dual_min_f32 v2, v2, v55 :: v_dual_add_f32 v3, v3, v62
	v_dual_add_f32 v40, v40, v132 :: v_dual_min_f32 v55, v11, v23
	s_delay_alu instid0(VALU_DEP_4) | instskip(NEXT) | instid1(VALU_DEP_4)
	v_add_f32_e32 v117, v41, v53
	v_dual_add_f32 v116, v37, v52 :: v_dual_min_f32 v37, v10, v22
	s_delay_alu instid0(VALU_DEP_3) | instskip(SKIP_2) | instid1(VALU_DEP_3)
	v_dual_max_f32 v5, v5, v5 :: v_dual_add_f32 v114, v55, v87
	v_dual_max_f32 v4, v4, v4 :: v_dual_max_f32 v15, v15, v15
	v_add_f32_e32 v32, v32, v115
	v_dual_min_f32 v41, v5, v23 :: v_dual_max_f32 v14, v14, v14
	s_delay_alu instid0(VALU_DEP_3) | instskip(NEXT) | instid1(VALU_DEP_4)
	v_dual_add_f32 v115, v37, v88 :: v_dual_min_f32 v52, v15, v23
	v_min_f32_e32 v37, v4, v22
	s_delay_alu instid0(VALU_DEP_3) | instskip(NEXT) | instid1(VALU_DEP_3)
	v_dual_add_f32 v112, v41, v98 :: v_dual_max_f32 v19, v19, v19
	v_dual_min_f32 v41, v14, v22 :: v_dual_add_f32 v110, v52, v100
	s_delay_alu instid0(VALU_DEP_3) | instskip(NEXT) | instid1(VALU_DEP_3)
	v_dual_add_f32 v113, v37, v99 :: v_dual_max_f32 v18, v18, v18
	v_dual_min_f32 v37, v19, v23 :: v_dual_max_f32 v26, v26, v26
	s_delay_alu instid0(VALU_DEP_3) | instskip(NEXT) | instid1(VALU_DEP_3)
	v_dual_add_f32 v111, v41, v101 :: v_dual_add_f32 v74, v108, v74
	v_min_f32_e32 v41, v18, v22
	s_delay_alu instid0(VALU_DEP_3) | instskip(SKIP_1) | instid1(VALU_DEP_3)
	v_dual_max_f32 v27, v27, v27 :: v_dual_add_f32 v108, v37, v102
	v_dual_max_f32 v37, v39, v39 :: v_dual_max_f32 v38, v38, v38
	v_dual_add_f32 v109, v41, v103 :: v_dual_max_f32 v34, v34, v34
	v_max_f32_e32 v43, v43, v43
	s_delay_alu instid0(VALU_DEP_3) | instskip(SKIP_2) | instid1(VALU_DEP_4)
	v_min_f32_e32 v41, v37, v23
	v_min_f32_e32 v39, v27, v23
	v_dual_max_f32 v35, v35, v35 :: v_dual_min_f32 v52, v26, v22
	v_dual_min_f32 v23, v43, v23 :: v_dual_add_f32 v72, v209, v72
	s_delay_alu instid0(VALU_DEP_3) | instskip(SKIP_1) | instid1(VALU_DEP_3)
	v_dual_add_f32 v69, v210, v69 :: v_dual_add_f32 v106, v39, v104
	v_add_f32_e32 v104, v41, v133
	v_add_f32_e32 v102, v23, v21
	v_min_f32_e32 v21, v11, v35
	v_max_f32_e32 v41, v42, v42
	v_dual_add_f32 v107, v52, v105 :: v_dual_min_f32 v42, v30, v34
	v_dual_add_f32 v72, v86, v72 :: v_dual_add_f32 v45, v45, v69
	s_delay_alu instid0(VALU_DEP_4) | instskip(SKIP_4) | instid1(VALU_DEP_4)
	v_add_f32_e32 v98, v21, v138
	v_min_f32_e32 v21, v5, v35
	v_min_f32_e32 v39, v38, v22
	v_dual_min_f32 v23, v15, v35 :: v_dual_add_f32 v28, v28, v70
	v_add_f32_e32 v9, v9, v65
	v_dual_add_f32 v96, v21, v96 :: v_dual_min_f32 v21, v19, v35
	s_delay_alu instid0(VALU_DEP_4) | instskip(SKIP_2) | instid1(VALU_DEP_4)
	v_add_f32_e32 v105, v39, v134
	v_dual_min_f32 v39, v31, v35 :: v_dual_add_f32 v2, v2, v64
	v_add_f32_e32 v17, v17, v59
	v_add_f32_e32 v92, v21, v92
	s_delay_alu instid0(VALU_DEP_3) | instskip(SKIP_2) | instid1(VALU_DEP_2)
	v_dual_min_f32 v21, v37, v35 :: v_dual_add_f32 v100, v39, v136
	v_dual_min_f32 v22, v41, v22 :: v_dual_add_f32 v101, v42, v135
	v_add_co_u32 v126, vcc_lo, v126, 32
	v_dual_add_f32 v88, v21, v139 :: v_dual_add_f32 v103, v22, v20
	v_min_f32_e32 v20, v10, v34
	v_dual_min_f32 v22, v4, v34 :: v_dual_max_f32 v21, v47, v47
	v_add_co_ci_u32_e32 v127, vcc_lo, 0, v127, vcc_lo
	s_delay_alu instid0(VALU_DEP_3) | instskip(NEXT) | instid1(VALU_DEP_3)
	v_dual_add_f32 v99, v20, v137 :: v_dual_min_f32 v20, v14, v34
	v_dual_add_f32 v97, v22, v97 :: v_dual_min_f32 v22, v27, v35
	v_add_co_u32 v128, vcc_lo, v128, 32
	s_delay_alu instid0(VALU_DEP_3) | instskip(NEXT) | instid1(VALU_DEP_3)
	v_dual_add_f32 v95, v20, v95 :: v_dual_min_f32 v20, v18, v34
	v_add_f32_e32 v90, v22, v90
	v_max_f32_e32 v22, v46, v46
	v_add_co_ci_u32_e32 v129, vcc_lo, 0, v129, vcc_lo
	s_delay_alu instid0(VALU_DEP_4) | instskip(SKIP_3) | instid1(VALU_DEP_4)
	v_dual_add_f32 v93, v20, v93 :: v_dual_min_f32 v20, v38, v34
	v_add_f32_e32 v94, v23, v94
	v_add_co_u32 v122, vcc_lo, v122, 32
	v_add_co_ci_u32_e32 v123, vcc_lo, 0, v123, vcc_lo
	v_add_f32_e32 v89, v20, v89
	v_dual_min_f32 v20, v31, v21 :: v_dual_min_f32 v23, v26, v34
	v_min_f32_e32 v34, v41, v34
	s_add_i32 s10, s10, 8
	ds_store_b32 v120, v130
	ds_store_2addr_stride64_b32 v121, v0, v1 offset1:4
	v_dual_add_f32 v84, v20, v84 :: v_dual_add_f32 v91, v23, v91
	v_min_f32_e32 v23, v43, v35
	v_add_f32_e32 v87, v34, v32
	v_min_f32_e32 v20, v10, v22
	v_min_f32_e32 v32, v5, v21
	s_cmp_ge_i32 s10, s8
	s_waitcnt lgkmcnt(0)
	s_barrier
	v_add_f32_e32 v83, v20, v83
	v_add_f32_e32 v80, v32, v80
	v_min_f32_e32 v20, v14, v22
	v_add_f32_e32 v86, v23, v33
	v_dual_min_f32 v23, v11, v21 :: v_dual_min_f32 v32, v18, v22
	v_min_f32_e32 v35, v30, v22
	s_delay_alu instid0(VALU_DEP_4) | instskip(SKIP_1) | instid1(VALU_DEP_4)
	v_add_f32_e32 v79, v20, v79
	v_min_f32_e32 v33, v15, v21
	v_dual_add_f32 v82, v23, v82 :: v_dual_add_f32 v77, v32, v77
	v_max_f32_e32 v32, v58, v58
	v_min_f32_e32 v20, v27, v21
	v_add_f32_e32 v85, v35, v85
	buffer_gl0_inv
	v_min_f32_e32 v31, v31, v32
	v_min_f32_e32 v23, v4, v22
	v_add_f32_e32 v74, v20, v74
	v_min_f32_e32 v20, v38, v22
	v_add_f32_e32 v78, v33, v78
	v_add_f32_e32 v68, v31, v29
	;; [unrolled: 1-line block ×3, first 2 shown]
	v_min_f32_e32 v23, v19, v21
	s_delay_alu instid0(VALU_DEP_1) | instskip(SKIP_2) | instid1(VALU_DEP_3)
	v_dual_add_f32 v76, v23, v76 :: v_dual_min_f32 v23, v37, v21
	v_min_f32_e32 v33, v26, v22
	v_min_f32_e32 v22, v41, v22
	v_dual_add_f32 v72, v23, v72 :: v_dual_max_f32 v23, v57, v57
	s_delay_alu instid0(VALU_DEP_1) | instskip(NEXT) | instid1(VALU_DEP_1)
	v_dual_min_f32 v5, v5, v32 :: v_dual_min_f32 v4, v4, v23
	v_dual_add_f32 v75, v33, v75 :: v_dual_add_f32 v64, v4, v2
	v_min_f32_e32 v4, v19, v32
	v_dual_min_f32 v21, v43, v21 :: v_dual_min_f32 v10, v10, v23
	v_dual_min_f32 v2, v14, v23 :: v_dual_min_f32 v11, v11, v32
	s_delay_alu instid0(VALU_DEP_3) | instskip(NEXT) | instid1(VALU_DEP_3)
	v_add_f32_e32 v59, v4, v17
	v_dual_add_f32 v69, v21, v45 :: v_dual_min_f32 v4, v38, v23
	v_dual_add_f32 v73, v20, v73 :: v_dual_add_f32 v62, v5, v3
	v_min_f32_e32 v3, v15, v32
	s_delay_alu instid0(VALU_DEP_3) | instskip(SKIP_1) | instid1(VALU_DEP_3)
	v_dual_min_f32 v5, v18, v23 :: v_dual_add_f32 v56, v4, v6
	v_add_f32_e32 v63, v2, v12
	v_dual_min_f32 v2, v26, v23 :: v_dual_add_f32 v61, v3, v13
	v_min_f32_e32 v3, v27, v32
	v_add_f32_e32 v71, v22, v44
	v_dual_min_f32 v20, v30, v23 :: v_dual_add_f32 v65, v11, v9
	v_add_f32_e32 v60, v5, v16
	s_delay_alu instid0(VALU_DEP_4) | instskip(SKIP_4) | instid1(VALU_DEP_4)
	v_dual_add_f32 v66, v10, v8 :: v_dual_add_f32 v55, v3, v25
	v_min_f32_e32 v3, v37, v32
	v_dual_min_f32 v5, v43, v32 :: v_dual_min_f32 v8, v41, v23
	v_add_f32_e32 v70, v20, v28
	v_add_f32_e32 v58, v2, v24
	;; [unrolled: 1-line block ×3, first 2 shown]
	s_delay_alu instid0(VALU_DEP_4)
	v_dual_add_f32 v52, v5, v40 :: v_dual_add_f32 v53, v8, v7
	s_cbranch_scc1 .LBB86_33
.LBB86_23:                              ; =>This Inner Loop Header: Depth=1
	v_mov_b32_e32 v130, 0
	s_and_b32 vcc_lo, exec_lo, s3
	s_cbranch_vccnz .LBB86_25
; %bb.24:                               ;   in Loop: Header=BB86_23 Depth=1
	v_add_co_u32 v0, vcc_lo, v122, v54
	v_add_co_ci_u32_e32 v1, vcc_lo, 0, v123, vcc_lo
	flat_load_b32 v0, v[0:1] offset:32
	s_waitcnt vmcnt(0) lgkmcnt(0)
	v_mul_f32_e32 v130, s9, v0
.LBB86_25:                              ;   in Loop: Header=BB86_23 Depth=1
	s_and_b32 vcc_lo, exec_lo, s3
	s_cbranch_vccnz .LBB86_27
; %bb.26:                               ;   in Loop: Header=BB86_23 Depth=1
	v_add_co_u32 v0, vcc_lo, v128, v54
	v_add_co_ci_u32_e32 v1, vcc_lo, 0, v129, vcc_lo
	v_add_co_u32 v2, vcc_lo, v126, v54
	v_add_co_ci_u32_e32 v3, vcc_lo, 0, v127, vcc_lo
	flat_load_b32 v0, v[0:1] offset:32
	flat_load_b32 v1, v[2:3] offset:32
	s_waitcnt vmcnt(0) lgkmcnt(0)
	v_dual_mul_f32 v131, s9, v0 :: v_dual_mul_f32 v132, s9, v1
	s_branch .LBB86_28
.LBB86_27:                              ;   in Loop: Header=BB86_23 Depth=1
	v_dual_mov_b32 v131, 0 :: v_dual_mov_b32 v132, 0
.LBB86_28:                              ;   in Loop: Header=BB86_23 Depth=1
	ds_load_b128 v[40:43], v124
	ds_load_b128 v[36:39], v124 offset:128
	ds_load_b128 v[32:35], v124 offset:256
	;; [unrolled: 1-line block ×7, first 2 shown]
	ds_load_b128 v[44:47], v125
	ds_load_b128 v[8:11], v125 offset:512
	ds_load_b128 v[4:7], v125 offset:1024
	;; [unrolled: 1-line block ×3, first 2 shown]
	s_and_b32 vcc_lo, exec_lo, s3
	ds_store_b32 v118, v130
	ds_store_2addr_stride64_b32 v67, v131, v132 offset1:4
	s_waitcnt lgkmcnt(0)
	s_barrier
	buffer_gl0_inv
	s_cbranch_vccnz .LBB86_30
; %bb.29:                               ;   in Loop: Header=BB86_23 Depth=1
	v_add_co_u32 v130, vcc_lo, v122, v54
	v_add_co_ci_u32_e32 v131, vcc_lo, 0, v123, vcc_lo
	flat_load_b32 v130, v[130:131] offset:48
	s_waitcnt vmcnt(0) lgkmcnt(0)
	v_mul_f32_e32 v130, s9, v130
	s_branch .LBB86_31
.LBB86_30:                              ;   in Loop: Header=BB86_23 Depth=1
	v_mov_b32_e32 v130, 0
.LBB86_31:                              ;   in Loop: Header=BB86_23 Depth=1
	v_dual_max_f32 v44, v44, v44 :: v_dual_max_f32 v45, v45, v45
	v_dual_max_f32 v157, v40, v40 :: v_dual_max_f32 v158, v41, v41
	v_max_f32_e32 v159, v36, v36
	v_dual_max_f32 v165, v24, v24 :: v_dual_max_f32 v166, v25, v25
	v_max_f32_e32 v169, v16, v16
	v_dual_max_f32 v155, v4, v4 :: v_dual_max_f32 v156, v5, v5
	s_delay_alu instid0(VALU_DEP_4)
	v_dual_min_f32 v40, v158, v45 :: v_dual_min_f32 v41, v159, v44
	v_dual_max_f32 v160, v37, v37 :: v_dual_max_f32 v161, v32, v32
	v_dual_max_f32 v162, v33, v33 :: v_dual_max_f32 v163, v28, v28
	;; [unrolled: 1-line block ×3, first 2 shown]
	v_max_f32_e32 v168, v21, v21
	v_min_f32_e32 v20, v166, v45
	v_dual_max_f32 v170, v17, v17 :: v_dual_max_f32 v171, v12, v12
	v_max_f32_e32 v172, v13, v13
	v_dual_max_f32 v140, v8, v8 :: v_dual_max_f32 v141, v9, v9
	v_dual_min_f32 v153, v169, v155 :: v_dual_max_f32 v0, v0, v0
	v_dual_min_f32 v36, v157, v44 :: v_dual_min_f32 v37, v164, v45
	v_dual_min_f32 v28, v160, v45 :: v_dual_min_f32 v29, v161, v44
	;; [unrolled: 1-line block ×7, first 2 shown]
	v_min_f32_e32 v13, v157, v140
	v_dual_min_f32 v44, v159, v140 :: v_dual_min_f32 v45, v160, v141
	v_dual_min_f32 v131, v161, v140 :: v_dual_min_f32 v132, v162, v141
	v_dual_min_f32 v133, v163, v140 :: v_dual_min_f32 v134, v164, v141
	v_dual_min_f32 v135, v165, v140 :: v_dual_min_f32 v136, v166, v141
	v_dual_min_f32 v137, v167, v140 :: v_dual_min_f32 v138, v168, v141
	v_dual_min_f32 v139, v169, v140 :: v_dual_min_f32 v4, v170, v141
	v_dual_min_f32 v5, v171, v140 :: v_dual_min_f32 v140, v172, v141
	v_dual_min_f32 v141, v157, v155 :: v_dual_min_f32 v142, v158, v156
	v_dual_min_f32 v143, v159, v155 :: v_dual_min_f32 v144, v160, v156
	v_dual_min_f32 v145, v161, v155 :: v_dual_min_f32 v146, v162, v156
	v_dual_min_f32 v147, v163, v155 :: v_dual_min_f32 v148, v164, v156
	v_dual_min_f32 v149, v165, v155 :: v_dual_min_f32 v150, v166, v156
	v_dual_min_f32 v151, v167, v155 :: v_dual_min_f32 v152, v168, v156
	v_dual_max_f32 v1, v1, v1 :: v_dual_min_f32 v154, v170, v156
	v_min_f32_e32 v157, v157, v0
	v_min_f32_e32 v159, v159, v0
	s_delay_alu instid0(VALU_DEP_3)
	v_dual_min_f32 v161, v161, v0 :: v_dual_min_f32 v162, v162, v1
	v_dual_min_f32 v163, v163, v0 :: v_dual_min_f32 v164, v164, v1
	v_dual_min_f32 v165, v165, v0 :: v_dual_min_f32 v166, v166, v1
	v_dual_min_f32 v167, v167, v0 :: v_dual_min_f32 v168, v168, v1
	v_dual_min_f32 v169, v169, v0 :: v_dual_min_f32 v170, v170, v1
	v_dual_max_f32 v174, v46, v46 :: v_dual_max_f32 v175, v47, v47
	v_dual_max_f32 v207, v42, v42 :: v_dual_max_f32 v208, v43, v43
	v_dual_max_f32 v212, v38, v38 :: v_dual_min_f32 v43, v171, v0
	v_dual_max_f32 v0, v39, v39 :: v_dual_max_f32 v213, v30, v30
	v_dual_min_f32 v155, v171, v155 :: v_dual_min_f32 v156, v172, v156
	v_min_f32_e32 v158, v158, v1
	v_min_f32_e32 v160, v160, v1
	v_dual_min_f32 v46, v172, v1 :: v_dual_max_f32 v1, v34, v34
	v_dual_min_f32 v42, v212, v174 :: v_dual_max_f32 v171, v35, v35
	v_dual_max_f32 v214, v31, v31 :: v_dual_min_f32 v31, v213, v174
	v_dual_min_f32 v34, v0, v175 :: v_dual_max_f32 v215, v26, v26
	v_dual_max_f32 v216, v27, v27 :: v_dual_max_f32 v217, v22, v22
	v_dual_max_f32 v218, v23, v23 :: v_dual_max_f32 v219, v18, v18
	;; [unrolled: 1-line block ×6, first 2 shown]
	v_max_f32_e32 v223, v3, v3
	v_dual_min_f32 v38, v207, v174 :: v_dual_min_f32 v47, v208, v175
	v_dual_min_f32 v30, v1, v174 :: v_dual_min_f32 v35, v171, v175
	v_dual_min_f32 v39, v214, v175 :: v_dual_min_f32 v18, v215, v174
	v_dual_min_f32 v172, v216, v175 :: v_dual_min_f32 v23, v219, v174
	v_dual_min_f32 v22, v217, v174 :: v_dual_min_f32 v173, v218, v175
	v_dual_min_f32 v182, v19, v175 :: v_dual_min_f32 v177, v1, v10
	v_dual_min_f32 v174, v220, v174 :: v_dual_min_f32 v183, v221, v175
	v_min_f32_e32 v176, v212, v10
	v_dual_min_f32 v175, v207, v10 :: v_dual_min_f32 v184, v208, v11
	v_dual_min_f32 v185, v0, v11 :: v_dual_min_f32 v178, v213, v10
	v_dual_min_f32 v186, v171, v11 :: v_dual_min_f32 v193, v1, v6
	v_dual_min_f32 v187, v214, v11 :: v_dual_min_f32 v180, v217, v10
	v_dual_min_f32 v179, v215, v10 :: v_dual_min_f32 v188, v216, v11
	v_dual_min_f32 v189, v218, v11 :: v_dual_min_f32 v190, v220, v10
	v_dual_min_f32 v181, v219, v10 :: v_dual_min_f32 v200, v208, v7
	v_min_f32_e32 v198, v19, v11
	v_dual_min_f32 v199, v221, v11 :: v_dual_min_f32 v192, v212, v6
	v_dual_min_f32 v191, v207, v6 :: v_dual_min_f32 v204, v216, v7
	v_dual_min_f32 v201, v0, v7 :: v_dual_min_f32 v194, v213, v6
	v_dual_min_f32 v202, v171, v7 :: v_dual_min_f32 v3, v217, v222
	v_dual_min_f32 v203, v214, v7 :: v_dual_min_f32 v196, v217, v6
	v_dual_min_f32 v195, v215, v6 :: v_dual_min_f32 v210, v221, v7
	v_dual_min_f32 v205, v218, v7 :: v_dual_min_f32 v206, v220, v6
	v_min_f32_e32 v197, v219, v6
	v_min_f32_e32 v209, v19, v7
	v_dual_min_f32 v207, v207, v222 :: v_dual_min_f32 v14, v218, v223
	v_dual_min_f32 v211, v208, v223 :: v_dual_min_f32 v10, v1, v222
	v_min_f32_e32 v208, v212, v222
	v_min_f32_e32 v212, v0, v223
	v_dual_min_f32 v26, v171, v223 :: v_dual_min_f32 v7, v220, v222
	v_min_f32_e32 v11, v213, v222
	v_dual_min_f32 v27, v214, v223 :: v_dual_min_f32 v2, v215, v222
	v_dual_min_f32 v171, v216, v223 :: v_dual_min_f32 v6, v219, v222
	v_min_f32_e32 v15, v19, v223
	v_min_f32_e32 v19, v221, v223
	s_and_b32 vcc_lo, exec_lo, s3
	s_cbranch_vccz .LBB86_21
; %bb.32:                               ;   in Loop: Header=BB86_23 Depth=1
	v_dual_mov_b32 v0, 0 :: v_dual_mov_b32 v1, 0
	s_branch .LBB86_22
.LBB86_33:
	s_load_b32 s8, s[0:1], 0x50
	v_dual_mov_b32 v54, 0 :: v_dual_add_nc_u32 v49, s18, v49
	ds_load_b128 v[0:3], v51 offset:5120
	ds_load_b128 v[40:43], v50 offset:2048
	v_dual_mov_b32 v67, 0 :: v_dual_add_nc_u32 v46, s14, v48
	v_cmp_neq_f32_e64 s9, s16, 0
	s_delay_alu instid0(VALU_DEP_2) | instskip(NEXT) | instid1(VALU_DEP_2)
	v_ashrrev_i32_e32 v47, 31, v46
	s_and_b32 vcc_lo, exec_lo, s9
	s_delay_alu instid0(VALU_DEP_1) | instskip(SKIP_2) | instid1(VALU_DEP_1)
	v_lshlrev_b64 v[44:45], 2, v[46:47]
	s_waitcnt lgkmcnt(0)
	v_mad_i64_i32 v[4:5], null, v49, s8, 0
	v_lshlrev_b64 v[4:5], 2, v[4:5]
	s_delay_alu instid0(VALU_DEP_1) | instskip(NEXT) | instid1(VALU_DEP_1)
	v_add_co_u32 v118, s3, s4, v4
	v_add_co_ci_u32_e64 v119, s3, s5, v5, s3
	s_cbranch_vccz .LBB86_35
; %bb.34:
	s_delay_alu instid0(VALU_DEP_2) | instskip(NEXT) | instid1(VALU_DEP_2)
	v_add_co_u32 v4, vcc_lo, v118, v44
	v_add_co_ci_u32_e32 v5, vcc_lo, v119, v45, vcc_lo
	flat_load_b32 v4, v[4:5]
	s_waitcnt vmcnt(0) lgkmcnt(0)
	v_mul_f32_e32 v67, s16, v4
.LBB86_35:
	s_clause 0x1
	s_load_b64 s[10:11], s[0:1], 0x70
	s_load_b32 s1, s[0:1], 0x68
	v_dual_max_f32 v120, v40, v40 :: v_dual_max_f32 v121, v41, v41
	v_dual_max_f32 v47, v0, v0 :: v_dual_max_f32 v48, v1, v1
	ds_load_b128 v[36:39], v51 offset:5248
	ds_load_b128 v[32:35], v51 offset:5376
	;; [unrolled: 1-line block ×7, first 2 shown]
	v_max_f32_e32 v122, v43, v43
	v_max_f32_e32 v43, v3, v3
	v_dual_min_f32 v0, v47, v120 :: v_dual_min_f32 v1, v48, v121
	ds_load_b128 v[8:11], v50 offset:2560
	ds_load_b128 v[4:7], v50 offset:3072
	v_cndmask_b32_e64 v125, 0, 1, s9
	v_dual_add_f32 v51, v0, v117 :: v_dual_add_f32 v116, v1, v116
	v_max_f32_e32 v117, v42, v42
	v_max_f32_e32 v42, v2, v2
	v_min_f32_e32 v123, v43, v122
	ds_load_b128 v[0:3], v50 offset:3584
	s_waitcnt lgkmcnt(0)
	s_mul_i32 s0, s15, s11
	v_mad_i64_i32 v[40:41], null, v49, s1, 0
	v_min_f32_e32 v124, v42, v117
	s_mul_hi_u32 s3, s15, s10
	v_add_f32_e32 v116, v123, v116
	s_mul_i32 s11, s17, s10
	s_add_i32 s0, s3, s0
	v_add_f32_e32 v123, v124, v51
	s_mul_i32 s10, s15, s10
	s_add_i32 s11, s0, s11
	v_lshlrev_b64 v[40:41], 2, v[40:41]
	s_lshl_b64 s[10:11], s[10:11], 2
	v_add_f32_e32 v124, v123, v116
	v_add_nc_u32_e32 v50, 8, v46
	s_add_u32 s3, s6, s10
	s_addc_u32 s6, s7, s11
	v_add_co_u32 v116, vcc_lo, s3, v40
	v_add_f32_e32 v67, v124, v67
	v_ashrrev_i32_e32 v51, 31, v50
	v_add_co_ci_u32_e32 v123, vcc_lo, s6, v41, vcc_lo
	s_delay_alu instid0(VALU_DEP_4) | instskip(NEXT) | instid1(VALU_DEP_3)
	v_add_co_u32 v124, vcc_lo, v116, v44
	v_lshlrev_b64 v[40:41], 2, v[50:51]
	v_cmp_ne_u32_e64 s0, 1, v125
	s_delay_alu instid0(VALU_DEP_4)
	v_add_co_ci_u32_e32 v125, vcc_lo, v123, v45, vcc_lo
	s_and_not1_b32 vcc_lo, exec_lo, s9
	global_store_b32 v[124:125], v67, off
	s_cbranch_vccnz .LBB86_37
; %bb.36:
	v_add_co_u32 v50, vcc_lo, v118, v40
	v_add_co_ci_u32_e32 v51, vcc_lo, v119, v41, vcc_lo
	flat_load_b32 v50, v[50:51]
	s_waitcnt vmcnt(0) lgkmcnt(0)
	v_mul_f32_e32 v54, s16, v50
.LBB86_37:
	v_dual_max_f32 v51, v37, v37 :: v_dual_max_f32 v50, v36, v36
	v_dual_max_f32 v38, v38, v38 :: v_dual_max_f32 v39, v39, v39
	s_delay_alu instid0(VALU_DEP_2) | instskip(NEXT) | instid1(VALU_DEP_2)
	v_dual_min_f32 v36, v51, v121 :: v_dual_min_f32 v37, v50, v120
	v_dual_min_f32 v67, v38, v117 :: v_dual_min_f32 v124, v39, v122
	s_delay_alu instid0(VALU_DEP_2) | instskip(SKIP_1) | instid1(VALU_DEP_2)
	v_dual_add_f32 v114, v36, v114 :: v_dual_add_f32 v37, v37, v115
	v_dual_mov_b32 v115, 0 :: v_dual_add_nc_u32 v36, 16, v46
	v_dual_add_f32 v114, v124, v114 :: v_dual_add_f32 v67, v67, v37
	s_delay_alu instid0(VALU_DEP_2) | instskip(SKIP_2) | instid1(VALU_DEP_4)
	v_ashrrev_i32_e32 v37, 31, v36
	v_add_co_u32 v124, vcc_lo, v116, v40
	v_add_co_ci_u32_e32 v125, vcc_lo, v123, v41, vcc_lo
	v_dual_add_f32 v67, v67, v114 :: v_dual_mov_b32 v114, 0
	s_delay_alu instid0(VALU_DEP_4) | instskip(SKIP_1) | instid1(VALU_DEP_2)
	v_lshlrev_b64 v[36:37], 2, v[36:37]
	s_and_b32 vcc_lo, exec_lo, s0
	v_add_f32_e32 v54, v67, v54
	global_store_b32 v[124:125], v54, off
	s_cbranch_vccnz .LBB86_39
; %bb.38:
	v_add_co_u32 v124, vcc_lo, v118, v36
	v_add_co_ci_u32_e32 v125, vcc_lo, v119, v37, vcc_lo
	flat_load_b32 v54, v[124:125]
	s_waitcnt vmcnt(0) lgkmcnt(0)
	v_mul_f32_e32 v115, s16, v54
.LBB86_39:
	v_dual_max_f32 v67, v33, v33 :: v_dual_max_f32 v54, v32, v32
	v_dual_max_f32 v34, v34, v34 :: v_dual_max_f32 v35, v35, v35
	s_delay_alu instid0(VALU_DEP_2) | instskip(NEXT) | instid1(VALU_DEP_2)
	v_dual_min_f32 v32, v67, v121 :: v_dual_min_f32 v33, v54, v120
	v_dual_min_f32 v124, v34, v117 :: v_dual_min_f32 v125, v35, v122
	s_delay_alu instid0(VALU_DEP_2) | instskip(SKIP_1) | instid1(VALU_DEP_2)
	v_dual_add_f32 v112, v32, v112 :: v_dual_add_f32 v33, v33, v113
	v_add_nc_u32_e32 v32, 24, v46
	v_dual_add_f32 v112, v125, v112 :: v_dual_add_f32 v113, v124, v33
	s_delay_alu instid0(VALU_DEP_2) | instskip(NEXT) | instid1(VALU_DEP_2)
	v_ashrrev_i32_e32 v33, 31, v32
	v_add_f32_e32 v124, v113, v112
	v_add_co_u32 v112, vcc_lo, v116, v36
	s_delay_alu instid0(VALU_DEP_3) | instskip(SKIP_1) | instid1(VALU_DEP_4)
	v_lshlrev_b64 v[32:33], 2, v[32:33]
	v_add_co_ci_u32_e32 v113, vcc_lo, v123, v37, vcc_lo
	v_add_f32_e32 v115, v124, v115
	s_and_b32 vcc_lo, exec_lo, s0
	global_store_b32 v[112:113], v115, off
	s_cbranch_vccnz .LBB86_41
; %bb.40:
	v_add_co_u32 v112, vcc_lo, v118, v32
	v_add_co_ci_u32_e32 v113, vcc_lo, v119, v33, vcc_lo
	flat_load_b32 v112, v[112:113]
	s_waitcnt vmcnt(0) lgkmcnt(0)
	v_mul_f32_e32 v114, s16, v112
.LBB86_41:
	v_dual_max_f32 v113, v29, v29 :: v_dual_max_f32 v112, v28, v28
	v_dual_max_f32 v30, v30, v30 :: v_dual_max_f32 v31, v31, v31
	s_delay_alu instid0(VALU_DEP_2) | instskip(NEXT) | instid1(VALU_DEP_2)
	v_dual_min_f32 v28, v113, v121 :: v_dual_min_f32 v29, v112, v120
	v_dual_min_f32 v115, v30, v117 :: v_dual_min_f32 v124, v31, v122
	s_delay_alu instid0(VALU_DEP_2) | instskip(SKIP_1) | instid1(VALU_DEP_2)
	v_dual_add_f32 v110, v28, v110 :: v_dual_add_f32 v29, v29, v111
	v_add_nc_u32_e32 v28, 32, v46
	v_dual_add_f32 v110, v124, v110 :: v_dual_add_f32 v111, v115, v29
	v_mov_b32_e32 v115, 0
	s_delay_alu instid0(VALU_DEP_3) | instskip(NEXT) | instid1(VALU_DEP_3)
	v_ashrrev_i32_e32 v29, 31, v28
	v_add_f32_e32 v124, v111, v110
	v_add_co_u32 v110, vcc_lo, v116, v32
	s_delay_alu instid0(VALU_DEP_3) | instskip(SKIP_1) | instid1(VALU_DEP_4)
	v_lshlrev_b64 v[28:29], 2, v[28:29]
	v_add_co_ci_u32_e32 v111, vcc_lo, v123, v33, vcc_lo
	v_add_f32_e32 v124, v124, v114
	v_mov_b32_e32 v114, 0
	s_and_b32 vcc_lo, exec_lo, s0
	global_store_b32 v[110:111], v124, off
	s_cbranch_vccnz .LBB86_43
; %bb.42:
	v_add_co_u32 v110, vcc_lo, v118, v28
	v_add_co_ci_u32_e32 v111, vcc_lo, v119, v29, vcc_lo
	flat_load_b32 v110, v[110:111]
	s_waitcnt vmcnt(0) lgkmcnt(0)
	v_mul_f32_e32 v114, s16, v110
.LBB86_43:
	v_dual_max_f32 v111, v25, v25 :: v_dual_max_f32 v110, v24, v24
	v_dual_max_f32 v26, v26, v26 :: v_dual_max_f32 v27, v27, v27
	s_delay_alu instid0(VALU_DEP_2) | instskip(NEXT) | instid1(VALU_DEP_2)
	v_dual_min_f32 v24, v111, v121 :: v_dual_min_f32 v25, v110, v120
	v_dual_min_f32 v124, v26, v117 :: v_dual_min_f32 v125, v27, v122
	s_delay_alu instid0(VALU_DEP_2) | instskip(SKIP_1) | instid1(VALU_DEP_2)
	v_dual_add_f32 v108, v24, v108 :: v_dual_add_f32 v25, v25, v109
	v_add_nc_u32_e32 v24, 40, v46
	v_dual_add_f32 v108, v125, v108 :: v_dual_add_f32 v109, v124, v25
	s_delay_alu instid0(VALU_DEP_2) | instskip(NEXT) | instid1(VALU_DEP_2)
	v_ashrrev_i32_e32 v25, 31, v24
	v_add_f32_e32 v124, v109, v108
	v_add_co_u32 v108, vcc_lo, v116, v28
	s_delay_alu instid0(VALU_DEP_3) | instskip(SKIP_1) | instid1(VALU_DEP_4)
	v_lshlrev_b64 v[24:25], 2, v[24:25]
	v_add_co_ci_u32_e32 v109, vcc_lo, v123, v29, vcc_lo
	v_add_f32_e32 v114, v124, v114
	s_and_b32 vcc_lo, exec_lo, s0
	global_store_b32 v[108:109], v114, off
	s_cbranch_vccnz .LBB86_45
; %bb.44:
	v_add_co_u32 v108, vcc_lo, v118, v24
	v_add_co_ci_u32_e32 v109, vcc_lo, v119, v25, vcc_lo
	flat_load_b32 v108, v[108:109]
	s_waitcnt vmcnt(0) lgkmcnt(0)
	v_mul_f32_e32 v115, s16, v108
.LBB86_45:
	v_dual_max_f32 v109, v21, v21 :: v_dual_max_f32 v108, v20, v20
	v_dual_max_f32 v22, v22, v22 :: v_dual_max_f32 v23, v23, v23
	s_delay_alu instid0(VALU_DEP_2) | instskip(NEXT) | instid1(VALU_DEP_2)
	v_dual_min_f32 v20, v109, v121 :: v_dual_min_f32 v21, v108, v120
	v_min_f32_e32 v114, v22, v117
	s_delay_alu instid0(VALU_DEP_2) | instskip(NEXT) | instid1(VALU_DEP_4)
	v_dual_add_f32 v106, v20, v106 :: v_dual_add_f32 v21, v21, v107
	v_min_f32_e32 v124, v23, v122
	s_delay_alu instid0(VALU_DEP_2) | instskip(NEXT) | instid1(VALU_DEP_2)
	v_dual_add_f32 v107, v114, v21 :: v_dual_add_nc_u32 v20, 48, v46
	v_add_f32_e32 v106, v124, v106
	s_delay_alu instid0(VALU_DEP_2) | instskip(SKIP_1) | instid1(VALU_DEP_3)
	v_ashrrev_i32_e32 v21, 31, v20
	v_mov_b32_e32 v114, 0
	v_add_f32_e32 v124, v107, v106
	v_add_co_u32 v106, vcc_lo, v116, v24
	s_delay_alu instid0(VALU_DEP_4) | instskip(SKIP_1) | instid1(VALU_DEP_4)
	v_lshlrev_b64 v[20:21], 2, v[20:21]
	v_add_co_ci_u32_e32 v107, vcc_lo, v123, v25, vcc_lo
	v_dual_add_f32 v124, v124, v115 :: v_dual_mov_b32 v115, 0
	s_and_b32 vcc_lo, exec_lo, s0
	global_store_b32 v[106:107], v124, off
	s_cbranch_vccnz .LBB86_47
; %bb.46:
	v_add_co_u32 v106, vcc_lo, v118, v20
	v_add_co_ci_u32_e32 v107, vcc_lo, v119, v21, vcc_lo
	flat_load_b32 v106, v[106:107]
	s_waitcnt vmcnt(0) lgkmcnt(0)
	v_mul_f32_e32 v115, s16, v106
.LBB86_47:
	v_dual_max_f32 v107, v17, v17 :: v_dual_max_f32 v106, v16, v16
	v_dual_max_f32 v18, v18, v18 :: v_dual_max_f32 v19, v19, v19
	s_delay_alu instid0(VALU_DEP_2) | instskip(NEXT) | instid1(VALU_DEP_2)
	v_dual_min_f32 v16, v107, v121 :: v_dual_min_f32 v17, v106, v120
	v_dual_min_f32 v124, v18, v117 :: v_dual_min_f32 v125, v19, v122
	s_delay_alu instid0(VALU_DEP_2) | instskip(SKIP_1) | instid1(VALU_DEP_2)
	v_dual_add_f32 v104, v16, v104 :: v_dual_add_f32 v17, v17, v105
	v_add_nc_u32_e32 v16, 56, v46
	v_add_f32_e32 v46, v125, v104
	s_delay_alu instid0(VALU_DEP_3) | instskip(NEXT) | instid1(VALU_DEP_3)
	v_add_f32_e32 v104, v124, v17
	v_ashrrev_i32_e32 v17, 31, v16
	s_delay_alu instid0(VALU_DEP_2) | instskip(SKIP_1) | instid1(VALU_DEP_3)
	v_add_f32_e32 v46, v104, v46
	v_add_co_u32 v104, vcc_lo, v116, v20
	v_lshlrev_b64 v[16:17], 2, v[16:17]
	v_add_co_ci_u32_e32 v105, vcc_lo, v123, v21, vcc_lo
	s_delay_alu instid0(VALU_DEP_4)
	v_add_f32_e32 v46, v46, v115
	s_and_b32 vcc_lo, exec_lo, s0
	global_store_b32 v[104:105], v46, off
	s_cbranch_vccnz .LBB86_49
; %bb.48:
	v_add_co_u32 v104, vcc_lo, v118, v16
	v_add_co_ci_u32_e32 v105, vcc_lo, v119, v17, vcc_lo
	flat_load_b32 v46, v[104:105]
	s_waitcnt vmcnt(0) lgkmcnt(0)
	v_mul_f32_e32 v114, s16, v46
.LBB86_49:
	v_dual_max_f32 v12, v12, v12 :: v_dual_max_f32 v13, v13, v13
	v_dual_max_f32 v14, v14, v14 :: v_dual_add_nc_u32 v115, 32, v49
	s_delay_alu instid0(VALU_DEP_2) | instskip(NEXT) | instid1(VALU_DEP_3)
	v_dual_max_f32 v15, v15, v15 :: v_dual_min_f32 v46, v12, v120
	v_min_f32_e32 v118, v13, v121
	s_delay_alu instid0(VALU_DEP_3) | instskip(NEXT) | instid1(VALU_DEP_3)
	v_mad_i64_i32 v[104:105], null, v115, s8, 0
	v_min_f32_e32 v119, v15, v122
	s_delay_alu instid0(VALU_DEP_3) | instskip(SKIP_3) | instid1(VALU_DEP_4)
	v_add_f32_e32 v118, v118, v102
	v_min_f32_e32 v117, v14, v117
	v_add_f32_e32 v46, v46, v103
	v_lshlrev_b64 v[102:103], 2, v[104:105]
	v_add_f32_e32 v118, v119, v118
	s_delay_alu instid0(VALU_DEP_3) | instskip(SKIP_2) | instid1(VALU_DEP_3)
	v_add_f32_e32 v46, v117, v46
	v_add_co_u32 v104, vcc_lo, v116, v16
	v_add_co_ci_u32_e32 v105, vcc_lo, v123, v17, vcc_lo
	v_add_f32_e32 v116, v46, v118
	v_add_co_u32 v46, vcc_lo, s4, v102
	v_add_co_ci_u32_e32 v102, vcc_lo, s5, v103, vcc_lo
	s_delay_alu instid0(VALU_DEP_3)
	v_dual_add_f32 v103, v116, v114 :: v_dual_mov_b32 v114, 0
	v_mov_b32_e32 v116, 0
	s_and_b32 vcc_lo, exec_lo, s0
	global_store_b32 v[104:105], v103, off
	s_cbranch_vccnz .LBB86_51
; %bb.50:
	v_add_co_u32 v103, vcc_lo, v46, v44
	v_add_co_ci_u32_e32 v104, vcc_lo, v102, v45, vcc_lo
	flat_load_b32 v103, v[103:104]
	s_waitcnt vmcnt(0) lgkmcnt(0)
	v_mul_f32_e32 v116, s16, v103
.LBB86_51:
	v_dual_max_f32 v103, v8, v8 :: v_dual_max_f32 v104, v9, v9
	v_dual_max_f32 v105, v10, v10 :: v_dual_max_f32 v8, v11, v11
	v_mad_i64_i32 v[9:10], null, v115, s1, 0
	s_delay_alu instid0(VALU_DEP_3) | instskip(NEXT) | instid1(VALU_DEP_4)
	v_min_f32_e32 v117, v48, v104
	v_min_f32_e32 v11, v47, v103
	s_delay_alu instid0(VALU_DEP_4) | instskip(NEXT) | instid1(VALU_DEP_2)
	v_dual_min_f32 v115, v42, v105 :: v_dual_min_f32 v118, v43, v8
	v_dual_add_f32 v100, v117, v100 :: v_dual_add_f32 v11, v11, v101
	v_lshlrev_b64 v[9:10], 2, v[9:10]
	s_delay_alu instid0(VALU_DEP_2) | instskip(NEXT) | instid1(VALU_DEP_2)
	v_dual_add_f32 v100, v118, v100 :: v_dual_add_f32 v11, v115, v11
	v_add_co_u32 v9, vcc_lo, s3, v9
	s_delay_alu instid0(VALU_DEP_3) | instskip(NEXT) | instid1(VALU_DEP_3)
	v_add_co_ci_u32_e32 v10, vcc_lo, s6, v10, vcc_lo
	v_add_f32_e32 v11, v11, v100
	s_delay_alu instid0(VALU_DEP_3) | instskip(NEXT) | instid1(VALU_DEP_3)
	v_add_co_u32 v100, vcc_lo, v9, v44
	v_add_co_ci_u32_e32 v101, vcc_lo, v10, v45, vcc_lo
	s_delay_alu instid0(VALU_DEP_3)
	v_add_f32_e32 v11, v11, v116
	s_and_b32 vcc_lo, exec_lo, s0
	global_store_b32 v[100:101], v11, off
	s_cbranch_vccnz .LBB86_53
; %bb.52:
	v_add_co_u32 v100, vcc_lo, v46, v40
	v_add_co_ci_u32_e32 v101, vcc_lo, v102, v41, vcc_lo
	flat_load_b32 v11, v[100:101]
	s_waitcnt vmcnt(0) lgkmcnt(0)
	v_mul_f32_e32 v114, s16, v11
.LBB86_53:
	v_dual_min_f32 v11, v51, v104 :: v_dual_min_f32 v100, v50, v103
	v_min_f32_e32 v101, v38, v105
	s_delay_alu instid0(VALU_DEP_2) | instskip(SKIP_3) | instid1(VALU_DEP_3)
	v_dual_add_f32 v11, v11, v98 :: v_dual_add_f32 v98, v100, v99
	v_min_f32_e32 v115, v39, v8
	v_add_co_u32 v99, vcc_lo, v9, v40
	v_add_co_ci_u32_e32 v100, vcc_lo, v10, v41, vcc_lo
	v_dual_add_f32 v98, v101, v98 :: v_dual_add_f32 v11, v115, v11
	s_and_b32 vcc_lo, exec_lo, s0
	s_delay_alu instid0(VALU_DEP_1) | instskip(NEXT) | instid1(VALU_DEP_1)
	v_dual_add_f32 v11, v98, v11 :: v_dual_mov_b32 v98, 0
	v_add_f32_e32 v101, v11, v114
	v_mov_b32_e32 v11, 0
	global_store_b32 v[99:100], v101, off
	s_cbranch_vccnz .LBB86_55
; %bb.54:
	v_add_co_u32 v98, vcc_lo, v46, v36
	v_add_co_ci_u32_e32 v99, vcc_lo, v102, v37, vcc_lo
	flat_load_b32 v98, v[98:99]
	s_waitcnt vmcnt(0) lgkmcnt(0)
	v_mul_f32_e32 v98, s16, v98
.LBB86_55:
	v_dual_min_f32 v99, v67, v104 :: v_dual_min_f32 v100, v54, v103
	v_dual_min_f32 v101, v34, v105 :: v_dual_min_f32 v114, v35, v8
	s_delay_alu instid0(VALU_DEP_2) | instskip(NEXT) | instid1(VALU_DEP_1)
	v_dual_add_f32 v96, v99, v96 :: v_dual_add_f32 v97, v100, v97
	v_dual_add_f32 v96, v114, v96 :: v_dual_add_f32 v97, v101, v97
	s_delay_alu instid0(VALU_DEP_1) | instskip(NEXT) | instid1(VALU_DEP_1)
	v_add_f32_e32 v96, v97, v96
	v_add_f32_e32 v98, v96, v98
	v_add_co_u32 v96, vcc_lo, v9, v36
	v_add_co_ci_u32_e32 v97, vcc_lo, v10, v37, vcc_lo
	s_and_b32 vcc_lo, exec_lo, s0
	global_store_b32 v[96:97], v98, off
	s_cbranch_vccnz .LBB86_57
; %bb.56:
	v_add_co_u32 v96, vcc_lo, v46, v32
	v_add_co_ci_u32_e32 v97, vcc_lo, v102, v33, vcc_lo
	flat_load_b32 v11, v[96:97]
	s_waitcnt vmcnt(0) lgkmcnt(0)
	v_mul_f32_e32 v11, s16, v11
.LBB86_57:
	v_dual_min_f32 v96, v113, v104 :: v_dual_min_f32 v97, v112, v103
	v_dual_min_f32 v98, v30, v105 :: v_dual_min_f32 v99, v31, v8
	s_delay_alu instid0(VALU_DEP_2) | instskip(NEXT) | instid1(VALU_DEP_1)
	v_dual_add_f32 v94, v96, v94 :: v_dual_add_f32 v95, v97, v95
	v_dual_add_f32 v94, v99, v94 :: v_dual_add_f32 v95, v98, v95
	s_delay_alu instid0(VALU_DEP_1) | instskip(SKIP_2) | instid1(VALU_DEP_3)
	v_add_f32_e32 v94, v95, v94
	v_add_co_u32 v95, vcc_lo, v9, v32
	v_add_co_ci_u32_e32 v96, vcc_lo, v10, v33, vcc_lo
	v_dual_add_f32 v97, v94, v11 :: v_dual_mov_b32 v94, 0
	v_mov_b32_e32 v11, 0
	s_and_b32 vcc_lo, exec_lo, s0
	global_store_b32 v[95:96], v97, off
	s_cbranch_vccnz .LBB86_59
; %bb.58:
	v_add_co_u32 v94, vcc_lo, v46, v28
	v_add_co_ci_u32_e32 v95, vcc_lo, v102, v29, vcc_lo
	flat_load_b32 v94, v[94:95]
	s_waitcnt vmcnt(0) lgkmcnt(0)
	v_mul_f32_e32 v94, s16, v94
.LBB86_59:
	v_dual_min_f32 v95, v111, v104 :: v_dual_min_f32 v96, v110, v103
	v_dual_min_f32 v97, v26, v105 :: v_dual_min_f32 v98, v27, v8
	s_delay_alu instid0(VALU_DEP_2) | instskip(NEXT) | instid1(VALU_DEP_1)
	v_dual_add_f32 v92, v95, v92 :: v_dual_add_f32 v93, v96, v93
	v_dual_add_f32 v92, v98, v92 :: v_dual_add_f32 v93, v97, v93
	s_delay_alu instid0(VALU_DEP_1) | instskip(NEXT) | instid1(VALU_DEP_1)
	v_add_f32_e32 v92, v93, v92
	v_add_f32_e32 v94, v92, v94
	v_add_co_u32 v92, vcc_lo, v9, v28
	v_add_co_ci_u32_e32 v93, vcc_lo, v10, v29, vcc_lo
	s_and_b32 vcc_lo, exec_lo, s0
	global_store_b32 v[92:93], v94, off
	s_cbranch_vccnz .LBB86_61
; %bb.60:
	v_add_co_u32 v92, vcc_lo, v46, v24
	v_add_co_ci_u32_e32 v93, vcc_lo, v102, v25, vcc_lo
	flat_load_b32 v11, v[92:93]
	s_waitcnt vmcnt(0) lgkmcnt(0)
	v_mul_f32_e32 v11, s16, v11
.LBB86_61:
	v_dual_min_f32 v92, v109, v104 :: v_dual_min_f32 v93, v108, v103
	v_dual_min_f32 v94, v22, v105 :: v_dual_min_f32 v95, v23, v8
	s_delay_alu instid0(VALU_DEP_2) | instskip(NEXT) | instid1(VALU_DEP_1)
	v_dual_add_f32 v90, v92, v90 :: v_dual_add_f32 v91, v93, v91
	v_dual_add_f32 v90, v95, v90 :: v_dual_add_f32 v91, v94, v91
	s_delay_alu instid0(VALU_DEP_1) | instskip(SKIP_2) | instid1(VALU_DEP_3)
	v_add_f32_e32 v90, v91, v90
	v_add_co_u32 v91, vcc_lo, v9, v24
	v_add_co_ci_u32_e32 v92, vcc_lo, v10, v25, vcc_lo
	v_dual_add_f32 v93, v90, v11 :: v_dual_mov_b32 v90, 0
	v_mov_b32_e32 v11, 0
	s_and_b32 vcc_lo, exec_lo, s0
	global_store_b32 v[91:92], v93, off
	s_cbranch_vccnz .LBB86_63
; %bb.62:
	v_add_co_u32 v90, vcc_lo, v46, v20
	v_add_co_ci_u32_e32 v91, vcc_lo, v102, v21, vcc_lo
	flat_load_b32 v90, v[90:91]
	s_waitcnt vmcnt(0) lgkmcnt(0)
	v_mul_f32_e32 v90, s16, v90
.LBB86_63:
	v_dual_min_f32 v91, v107, v104 :: v_dual_min_f32 v92, v106, v103
	v_dual_min_f32 v93, v18, v105 :: v_dual_min_f32 v94, v19, v8
	s_delay_alu instid0(VALU_DEP_2) | instskip(NEXT) | instid1(VALU_DEP_1)
	v_dual_add_f32 v88, v91, v88 :: v_dual_add_f32 v89, v92, v89
	v_dual_add_f32 v88, v94, v88 :: v_dual_add_f32 v89, v93, v89
	s_delay_alu instid0(VALU_DEP_1) | instskip(NEXT) | instid1(VALU_DEP_1)
	v_add_f32_e32 v88, v89, v88
	v_add_f32_e32 v90, v88, v90
	v_add_co_u32 v88, vcc_lo, v9, v20
	v_add_co_ci_u32_e32 v89, vcc_lo, v10, v21, vcc_lo
	s_and_b32 vcc_lo, exec_lo, s0
	global_store_b32 v[88:89], v90, off
	s_cbranch_vccnz .LBB86_65
; %bb.64:
	v_add_co_u32 v88, vcc_lo, v46, v16
	v_add_co_ci_u32_e32 v89, vcc_lo, v102, v17, vcc_lo
	flat_load_b32 v11, v[88:89]
	s_waitcnt vmcnt(0) lgkmcnt(0)
	v_mul_f32_e32 v11, s16, v11
.LBB86_65:
	v_dual_min_f32 v46, v12, v103 :: v_dual_min_f32 v89, v13, v104
	v_add_nc_u32_e32 v88, 64, v49
	v_min_f32_e32 v90, v14, v105
	v_min_f32_e32 v8, v15, v8
	s_delay_alu instid0(VALU_DEP_4) | instskip(NEXT) | instid1(VALU_DEP_4)
	v_dual_add_f32 v46, v46, v87 :: v_dual_add_f32 v89, v89, v86
	v_mad_i64_i32 v[86:87], null, v88, s8, 0
	s_delay_alu instid0(VALU_DEP_2) | instskip(NEXT) | instid1(VALU_DEP_3)
	v_add_f32_e32 v46, v90, v46
	v_add_f32_e32 v8, v8, v89
	v_add_co_u32 v89, vcc_lo, v9, v16
	v_add_co_ci_u32_e32 v90, vcc_lo, v10, v17, vcc_lo
	v_lshlrev_b64 v[86:87], 2, v[86:87]
	s_delay_alu instid0(VALU_DEP_4) | instskip(NEXT) | instid1(VALU_DEP_1)
	v_add_f32_e32 v8, v46, v8
	v_add_f32_e32 v10, v8, v11
	s_delay_alu instid0(VALU_DEP_3) | instskip(NEXT) | instid1(VALU_DEP_4)
	v_add_co_u32 v8, vcc_lo, s4, v86
	v_add_co_ci_u32_e32 v9, vcc_lo, s5, v87, vcc_lo
	v_dual_mov_b32 v86, 0 :: v_dual_mov_b32 v87, 0
	s_and_b32 vcc_lo, exec_lo, s0
	global_store_b32 v[89:90], v10, off
	s_cbranch_vccnz .LBB86_67
; %bb.66:
	v_add_co_u32 v10, vcc_lo, v8, v44
	v_add_co_ci_u32_e32 v11, vcc_lo, v9, v45, vcc_lo
	flat_load_b32 v10, v[10:11]
	s_waitcnt vmcnt(0) lgkmcnt(0)
	v_mul_f32_e32 v87, s16, v10
.LBB86_67:
	v_dual_max_f32 v10, v4, v4 :: v_dual_max_f32 v11, v5, v5
	v_max_f32_e32 v46, v6, v6
	v_mad_i64_i32 v[5:6], null, v88, s1, 0
	v_max_f32_e32 v4, v7, v7
	s_delay_alu instid0(VALU_DEP_4) | instskip(NEXT) | instid1(VALU_DEP_1)
	v_min_f32_e32 v89, v48, v11
	v_dual_min_f32 v7, v47, v10 :: v_dual_add_f32 v84, v89, v84
	s_delay_alu instid0(VALU_DEP_1) | instskip(NEXT) | instid1(VALU_DEP_4)
	v_dual_min_f32 v88, v42, v46 :: v_dual_add_f32 v7, v7, v85
	v_min_f32_e32 v90, v43, v4
	v_lshlrev_b64 v[5:6], 2, v[5:6]
	s_delay_alu instid0(VALU_DEP_2) | instskip(NEXT) | instid1(VALU_DEP_2)
	v_dual_add_f32 v7, v88, v7 :: v_dual_add_f32 v84, v90, v84
	v_add_co_u32 v5, vcc_lo, s3, v5
	s_delay_alu instid0(VALU_DEP_3) | instskip(NEXT) | instid1(VALU_DEP_3)
	v_add_co_ci_u32_e32 v6, vcc_lo, s6, v6, vcc_lo
	v_add_f32_e32 v7, v7, v84
	s_delay_alu instid0(VALU_DEP_3) | instskip(NEXT) | instid1(VALU_DEP_3)
	v_add_co_u32 v84, vcc_lo, v5, v44
	v_add_co_ci_u32_e32 v85, vcc_lo, v6, v45, vcc_lo
	s_delay_alu instid0(VALU_DEP_3)
	v_add_f32_e32 v7, v7, v87
	s_and_b32 vcc_lo, exec_lo, s0
	global_store_b32 v[84:85], v7, off
	s_cbranch_vccnz .LBB86_69
; %bb.68:
	v_add_co_u32 v84, vcc_lo, v8, v40
	v_add_co_ci_u32_e32 v85, vcc_lo, v9, v41, vcc_lo
	flat_load_b32 v7, v[84:85]
	s_waitcnt vmcnt(0) lgkmcnt(0)
	v_mul_f32_e32 v86, s16, v7
.LBB86_69:
	v_dual_min_f32 v7, v51, v11 :: v_dual_min_f32 v84, v50, v10
	v_min_f32_e32 v85, v38, v46
	s_delay_alu instid0(VALU_DEP_2) | instskip(SKIP_3) | instid1(VALU_DEP_3)
	v_dual_add_f32 v7, v7, v82 :: v_dual_add_f32 v82, v84, v83
	v_min_f32_e32 v87, v39, v4
	v_add_co_u32 v83, vcc_lo, v5, v40
	v_add_co_ci_u32_e32 v84, vcc_lo, v6, v41, vcc_lo
	v_dual_add_f32 v82, v85, v82 :: v_dual_add_f32 v7, v87, v7
	s_and_b32 vcc_lo, exec_lo, s0
	s_delay_alu instid0(VALU_DEP_1) | instskip(NEXT) | instid1(VALU_DEP_1)
	v_dual_add_f32 v7, v82, v7 :: v_dual_mov_b32 v82, 0
	v_add_f32_e32 v85, v7, v86
	v_mov_b32_e32 v7, 0
	global_store_b32 v[83:84], v85, off
	s_cbranch_vccnz .LBB86_71
; %bb.70:
	v_add_co_u32 v82, vcc_lo, v8, v36
	v_add_co_ci_u32_e32 v83, vcc_lo, v9, v37, vcc_lo
	flat_load_b32 v82, v[82:83]
	s_waitcnt vmcnt(0) lgkmcnt(0)
	v_mul_f32_e32 v82, s16, v82
.LBB86_71:
	v_dual_min_f32 v83, v67, v11 :: v_dual_min_f32 v84, v54, v10
	v_dual_min_f32 v85, v34, v46 :: v_dual_min_f32 v86, v35, v4
	s_delay_alu instid0(VALU_DEP_2) | instskip(NEXT) | instid1(VALU_DEP_1)
	v_dual_add_f32 v80, v83, v80 :: v_dual_add_f32 v81, v84, v81
	v_dual_add_f32 v80, v86, v80 :: v_dual_add_f32 v81, v85, v81
	s_delay_alu instid0(VALU_DEP_1) | instskip(NEXT) | instid1(VALU_DEP_1)
	v_add_f32_e32 v80, v81, v80
	v_add_f32_e32 v82, v80, v82
	v_add_co_u32 v80, vcc_lo, v5, v36
	v_add_co_ci_u32_e32 v81, vcc_lo, v6, v37, vcc_lo
	s_and_b32 vcc_lo, exec_lo, s0
	global_store_b32 v[80:81], v82, off
	s_cbranch_vccnz .LBB86_73
; %bb.72:
	v_add_co_u32 v80, vcc_lo, v8, v32
	v_add_co_ci_u32_e32 v81, vcc_lo, v9, v33, vcc_lo
	flat_load_b32 v7, v[80:81]
	s_waitcnt vmcnt(0) lgkmcnt(0)
	v_mul_f32_e32 v7, s16, v7
.LBB86_73:
	v_dual_min_f32 v80, v113, v11 :: v_dual_min_f32 v81, v112, v10
	v_dual_min_f32 v82, v30, v46 :: v_dual_min_f32 v83, v31, v4
	s_delay_alu instid0(VALU_DEP_2) | instskip(NEXT) | instid1(VALU_DEP_1)
	v_dual_add_f32 v78, v80, v78 :: v_dual_add_f32 v79, v81, v79
	v_dual_add_f32 v78, v83, v78 :: v_dual_add_f32 v79, v82, v79
	s_delay_alu instid0(VALU_DEP_1) | instskip(SKIP_2) | instid1(VALU_DEP_3)
	v_add_f32_e32 v78, v79, v78
	v_add_co_u32 v79, vcc_lo, v5, v32
	v_add_co_ci_u32_e32 v80, vcc_lo, v6, v33, vcc_lo
	v_dual_add_f32 v81, v78, v7 :: v_dual_mov_b32 v78, 0
	v_mov_b32_e32 v7, 0
	s_and_b32 vcc_lo, exec_lo, s0
	global_store_b32 v[79:80], v81, off
	s_cbranch_vccnz .LBB86_75
; %bb.74:
	v_add_co_u32 v78, vcc_lo, v8, v28
	v_add_co_ci_u32_e32 v79, vcc_lo, v9, v29, vcc_lo
	flat_load_b32 v78, v[78:79]
	s_waitcnt vmcnt(0) lgkmcnt(0)
	v_mul_f32_e32 v78, s16, v78
.LBB86_75:
	v_dual_min_f32 v79, v111, v11 :: v_dual_min_f32 v80, v110, v10
	v_dual_min_f32 v81, v26, v46 :: v_dual_min_f32 v82, v27, v4
	s_delay_alu instid0(VALU_DEP_2) | instskip(NEXT) | instid1(VALU_DEP_1)
	v_dual_add_f32 v76, v79, v76 :: v_dual_add_f32 v77, v80, v77
	v_dual_add_f32 v76, v82, v76 :: v_dual_add_f32 v77, v81, v77
	s_delay_alu instid0(VALU_DEP_1) | instskip(NEXT) | instid1(VALU_DEP_1)
	v_add_f32_e32 v76, v77, v76
	v_add_f32_e32 v78, v76, v78
	v_add_co_u32 v76, vcc_lo, v5, v28
	v_add_co_ci_u32_e32 v77, vcc_lo, v6, v29, vcc_lo
	s_and_b32 vcc_lo, exec_lo, s0
	global_store_b32 v[76:77], v78, off
	s_cbranch_vccnz .LBB86_77
; %bb.76:
	v_add_co_u32 v76, vcc_lo, v8, v24
	v_add_co_ci_u32_e32 v77, vcc_lo, v9, v25, vcc_lo
	flat_load_b32 v7, v[76:77]
	s_waitcnt vmcnt(0) lgkmcnt(0)
	v_mul_f32_e32 v7, s16, v7
.LBB86_77:
	v_dual_min_f32 v76, v109, v11 :: v_dual_min_f32 v77, v108, v10
	v_dual_min_f32 v78, v22, v46 :: v_dual_min_f32 v79, v23, v4
	s_delay_alu instid0(VALU_DEP_2) | instskip(NEXT) | instid1(VALU_DEP_1)
	v_dual_add_f32 v74, v76, v74 :: v_dual_add_f32 v75, v77, v75
	v_dual_add_f32 v74, v79, v74 :: v_dual_add_f32 v75, v78, v75
	s_delay_alu instid0(VALU_DEP_1) | instskip(SKIP_2) | instid1(VALU_DEP_3)
	v_add_f32_e32 v74, v75, v74
	v_add_co_u32 v75, vcc_lo, v5, v24
	v_add_co_ci_u32_e32 v76, vcc_lo, v6, v25, vcc_lo
	v_dual_add_f32 v77, v74, v7 :: v_dual_mov_b32 v74, 0
	v_mov_b32_e32 v7, 0
	s_and_b32 vcc_lo, exec_lo, s0
	global_store_b32 v[75:76], v77, off
	s_cbranch_vccnz .LBB86_79
; %bb.78:
	v_add_co_u32 v74, vcc_lo, v8, v20
	v_add_co_ci_u32_e32 v75, vcc_lo, v9, v21, vcc_lo
	flat_load_b32 v74, v[74:75]
	s_waitcnt vmcnt(0) lgkmcnt(0)
	v_mul_f32_e32 v74, s16, v74
.LBB86_79:
	v_dual_min_f32 v75, v107, v11 :: v_dual_min_f32 v76, v106, v10
	v_dual_min_f32 v77, v18, v46 :: v_dual_min_f32 v78, v19, v4
	s_delay_alu instid0(VALU_DEP_2) | instskip(NEXT) | instid1(VALU_DEP_1)
	v_dual_add_f32 v72, v75, v72 :: v_dual_add_f32 v73, v76, v73
	v_dual_add_f32 v72, v78, v72 :: v_dual_add_f32 v73, v77, v73
	s_delay_alu instid0(VALU_DEP_1) | instskip(NEXT) | instid1(VALU_DEP_1)
	v_add_f32_e32 v72, v73, v72
	v_add_f32_e32 v74, v72, v74
	v_add_co_u32 v72, vcc_lo, v5, v20
	v_add_co_ci_u32_e32 v73, vcc_lo, v6, v21, vcc_lo
	s_and_b32 vcc_lo, exec_lo, s0
	global_store_b32 v[72:73], v74, off
	s_cbranch_vccnz .LBB86_81
; %bb.80:
	v_add_co_u32 v7, vcc_lo, v8, v16
	v_add_co_ci_u32_e32 v8, vcc_lo, v9, v17, vcc_lo
	flat_load_b32 v7, v[7:8]
	s_waitcnt vmcnt(0) lgkmcnt(0)
	v_mul_f32_e32 v7, s16, v7
.LBB86_81:
	v_dual_min_f32 v8, v12, v10 :: v_dual_add_nc_u32 v9, 0x60, v49
	v_min_f32_e32 v10, v13, v11
	v_min_f32_e32 v46, v14, v46
	;; [unrolled: 1-line block ×3, first 2 shown]
	s_delay_alu instid0(VALU_DEP_4) | instskip(SKIP_3) | instid1(VALU_DEP_4)
	v_add_f32_e32 v8, v8, v71
	v_add_co_u32 v71, vcc_lo, v5, v16
	v_add_f32_e32 v49, v10, v69
	v_mad_i64_i32 v[10:11], null, v9, s8, 0
	v_add_f32_e32 v8, v46, v8
	v_add_co_ci_u32_e32 v72, vcc_lo, v6, v17, vcc_lo
	s_delay_alu instid0(VALU_DEP_4) | instskip(NEXT) | instid1(VALU_DEP_4)
	v_add_f32_e32 v4, v4, v49
	v_lshlrev_b64 v[10:11], 2, v[10:11]
	s_delay_alu instid0(VALU_DEP_2) | instskip(SKIP_1) | instid1(VALU_DEP_2)
	v_add_f32_e32 v4, v8, v4
	v_mov_b32_e32 v8, 0
	v_add_f32_e32 v6, v4, v7
	s_delay_alu instid0(VALU_DEP_4)
	v_add_co_u32 v4, vcc_lo, s4, v10
	v_add_co_ci_u32_e32 v5, vcc_lo, s5, v11, vcc_lo
	v_mov_b32_e32 v10, 0
	s_and_b32 vcc_lo, exec_lo, s0
	global_store_b32 v[71:72], v6, off
	s_cbranch_vccnz .LBB86_83
; %bb.82:
	v_add_co_u32 v6, vcc_lo, v4, v44
	v_add_co_ci_u32_e32 v7, vcc_lo, v5, v45, vcc_lo
	flat_load_b32 v6, v[6:7]
	s_waitcnt vmcnt(0) lgkmcnt(0)
	v_mul_f32_e32 v10, s16, v6
.LBB86_83:
	v_dual_max_f32 v0, v0, v0 :: v_dual_max_f32 v1, v1, v1
	v_dual_max_f32 v2, v2, v2 :: v_dual_max_f32 v3, v3, v3
	v_mad_i64_i32 v[6:7], null, v9, s1, 0
	s_delay_alu instid0(VALU_DEP_3) | instskip(NEXT) | instid1(VALU_DEP_3)
	v_dual_min_f32 v11, v47, v0 :: v_dual_min_f32 v46, v48, v1
	v_dual_min_f32 v9, v42, v2 :: v_dual_min_f32 v42, v43, v3
	s_delay_alu instid0(VALU_DEP_2) | instskip(NEXT) | instid1(VALU_DEP_3)
	v_add_f32_e32 v43, v46, v68
	v_add_f32_e32 v11, v11, v70
	v_lshlrev_b64 v[6:7], 2, v[6:7]
	s_delay_alu instid0(VALU_DEP_3) | instskip(NEXT) | instid1(VALU_DEP_3)
	v_add_f32_e32 v42, v42, v43
	v_add_f32_e32 v9, v9, v11
	s_delay_alu instid0(VALU_DEP_3) | instskip(NEXT) | instid1(VALU_DEP_4)
	v_add_co_u32 v6, vcc_lo, s3, v6
	v_add_co_ci_u32_e32 v7, vcc_lo, s6, v7, vcc_lo
	s_delay_alu instid0(VALU_DEP_3) | instskip(NEXT) | instid1(VALU_DEP_1)
	v_add_f32_e32 v9, v9, v42
	v_add_f32_e32 v11, v9, v10
	s_delay_alu instid0(VALU_DEP_4) | instskip(NEXT) | instid1(VALU_DEP_4)
	v_add_co_u32 v9, vcc_lo, v6, v44
	v_add_co_ci_u32_e32 v10, vcc_lo, v7, v45, vcc_lo
	s_and_b32 vcc_lo, exec_lo, s0
	global_store_b32 v[9:10], v11, off
	s_cbranch_vccnz .LBB86_85
; %bb.84:
	v_add_co_u32 v8, vcc_lo, v4, v40
	v_add_co_ci_u32_e32 v9, vcc_lo, v5, v41, vcc_lo
	flat_load_b32 v8, v[8:9]
	s_waitcnt vmcnt(0) lgkmcnt(0)
	v_mul_f32_e32 v8, s16, v8
.LBB86_85:
	v_dual_min_f32 v9, v51, v1 :: v_dual_min_f32 v10, v50, v0
	v_dual_min_f32 v11, v38, v2 :: v_dual_min_f32 v38, v39, v3
	s_delay_alu instid0(VALU_DEP_2) | instskip(NEXT) | instid1(VALU_DEP_1)
	v_dual_add_f32 v9, v9, v65 :: v_dual_add_f32 v10, v10, v66
	v_dual_add_f32 v9, v38, v9 :: v_dual_add_f32 v10, v11, v10
	s_delay_alu instid0(VALU_DEP_1) | instskip(SKIP_2) | instid1(VALU_DEP_3)
	v_add_f32_e32 v9, v10, v9
	v_add_co_u32 v10, vcc_lo, v6, v40
	v_add_co_ci_u32_e32 v11, vcc_lo, v7, v41, vcc_lo
	v_dual_add_f32 v38, v9, v8 :: v_dual_mov_b32 v9, 0
	v_mov_b32_e32 v8, 0
	s_and_b32 vcc_lo, exec_lo, s0
	global_store_b32 v[10:11], v38, off
	s_cbranch_vccnz .LBB86_87
; %bb.86:
	v_add_co_u32 v9, vcc_lo, v4, v36
	v_add_co_ci_u32_e32 v10, vcc_lo, v5, v37, vcc_lo
	flat_load_b32 v9, v[9:10]
	s_waitcnt vmcnt(0) lgkmcnt(0)
	v_mul_f32_e32 v9, s16, v9
.LBB86_87:
	v_dual_min_f32 v10, v67, v1 :: v_dual_min_f32 v11, v54, v0
	v_dual_min_f32 v34, v34, v2 :: v_dual_min_f32 v35, v35, v3
	s_delay_alu instid0(VALU_DEP_2) | instskip(NEXT) | instid1(VALU_DEP_1)
	v_dual_add_f32 v10, v10, v62 :: v_dual_add_f32 v11, v11, v64
	v_dual_add_f32 v10, v35, v10 :: v_dual_add_f32 v11, v34, v11
	s_delay_alu instid0(VALU_DEP_1) | instskip(NEXT) | instid1(VALU_DEP_1)
	v_add_f32_e32 v10, v11, v10
	v_add_f32_e32 v11, v10, v9
	v_add_co_u32 v9, vcc_lo, v6, v36
	v_add_co_ci_u32_e32 v10, vcc_lo, v7, v37, vcc_lo
	s_and_b32 vcc_lo, exec_lo, s0
	global_store_b32 v[9:10], v11, off
	s_cbranch_vccnz .LBB86_89
; %bb.88:
	v_add_co_u32 v8, vcc_lo, v4, v32
	v_add_co_ci_u32_e32 v9, vcc_lo, v5, v33, vcc_lo
	flat_load_b32 v8, v[8:9]
	s_waitcnt vmcnt(0) lgkmcnt(0)
	v_mul_f32_e32 v8, s16, v8
.LBB86_89:
	v_dual_min_f32 v9, v113, v1 :: v_dual_min_f32 v10, v112, v0
	v_dual_min_f32 v11, v30, v2 :: v_dual_min_f32 v30, v31, v3
	s_delay_alu instid0(VALU_DEP_2) | instskip(NEXT) | instid1(VALU_DEP_1)
	v_dual_add_f32 v9, v9, v61 :: v_dual_add_f32 v10, v10, v63
	v_dual_add_f32 v9, v30, v9 :: v_dual_add_f32 v10, v11, v10
	s_delay_alu instid0(VALU_DEP_1) | instskip(SKIP_2) | instid1(VALU_DEP_3)
	v_add_f32_e32 v9, v10, v9
	v_add_co_u32 v10, vcc_lo, v6, v32
	v_add_co_ci_u32_e32 v11, vcc_lo, v7, v33, vcc_lo
	v_dual_add_f32 v30, v9, v8 :: v_dual_mov_b32 v9, 0
	v_mov_b32_e32 v8, 0
	s_and_b32 vcc_lo, exec_lo, s0
	global_store_b32 v[10:11], v30, off
	s_cbranch_vccnz .LBB86_91
; %bb.90:
	v_add_co_u32 v9, vcc_lo, v4, v28
	v_add_co_ci_u32_e32 v10, vcc_lo, v5, v29, vcc_lo
	flat_load_b32 v9, v[9:10]
	s_waitcnt vmcnt(0) lgkmcnt(0)
	v_mul_f32_e32 v9, s16, v9
.LBB86_91:
	v_dual_min_f32 v10, v111, v1 :: v_dual_min_f32 v11, v110, v0
	v_dual_min_f32 v26, v26, v2 :: v_dual_min_f32 v27, v27, v3
	s_delay_alu instid0(VALU_DEP_2) | instskip(NEXT) | instid1(VALU_DEP_1)
	v_dual_add_f32 v10, v10, v59 :: v_dual_add_f32 v11, v11, v60
	v_dual_add_f32 v10, v27, v10 :: v_dual_add_f32 v11, v26, v11
	s_delay_alu instid0(VALU_DEP_1) | instskip(NEXT) | instid1(VALU_DEP_1)
	v_add_f32_e32 v10, v11, v10
	v_add_f32_e32 v11, v10, v9
	v_add_co_u32 v9, vcc_lo, v6, v28
	v_add_co_ci_u32_e32 v10, vcc_lo, v7, v29, vcc_lo
	s_and_b32 vcc_lo, exec_lo, s0
	global_store_b32 v[9:10], v11, off
	s_cbranch_vccnz .LBB86_93
; %bb.92:
	v_add_co_u32 v8, vcc_lo, v4, v24
	v_add_co_ci_u32_e32 v9, vcc_lo, v5, v25, vcc_lo
	flat_load_b32 v8, v[8:9]
	s_waitcnt vmcnt(0) lgkmcnt(0)
	v_mul_f32_e32 v8, s16, v8
.LBB86_93:
	v_dual_min_f32 v9, v109, v1 :: v_dual_min_f32 v10, v108, v0
	v_dual_min_f32 v11, v22, v2 :: v_dual_min_f32 v22, v23, v3
	v_min_f32_e32 v23, v107, v1
	s_delay_alu instid0(VALU_DEP_3) | instskip(NEXT) | instid1(VALU_DEP_4)
	v_dual_add_f32 v9, v9, v55 :: v_dual_min_f32 v26, v106, v0
	v_add_f32_e32 v10, v10, v58
	s_delay_alu instid0(VALU_DEP_3) | instskip(NEXT) | instid1(VALU_DEP_2)
	v_dual_min_f32 v18, v18, v2 :: v_dual_add_f32 v23, v23, v57
	v_dual_add_f32 v9, v22, v9 :: v_dual_add_f32 v10, v11, v10
	v_min_f32_e32 v11, v19, v3
	v_add_f32_e32 v19, v26, v56
	s_delay_alu instid0(VALU_DEP_2) | instskip(NEXT) | instid1(VALU_DEP_2)
	v_dual_add_f32 v22, v10, v9 :: v_dual_add_f32 v11, v11, v23
	v_add_f32_e32 v18, v18, v19
	v_add_co_u32 v9, vcc_lo, v6, v24
	v_add_co_ci_u32_e32 v10, vcc_lo, v7, v25, vcc_lo
	s_delay_alu instid0(VALU_DEP_4) | instskip(NEXT) | instid1(VALU_DEP_4)
	v_add_f32_e32 v19, v22, v8
	v_add_f32_e32 v8, v18, v11
	s_mov_b32 vcc_lo, s2
	global_store_b32 v[9:10], v19, off
	s_cbranch_vccz .LBB86_96
; %bb.94:
	v_add_co_u32 v9, vcc_lo, v6, v20
	v_add_f32_e32 v11, 0, v8
	v_add_co_ci_u32_e32 v10, vcc_lo, v7, v21, vcc_lo
	s_mov_b32 s0, 0
	global_store_b32 v[9:10], v11, off
	s_cbranch_execz .LBB86_97
; %bb.95:
	v_mov_b32_e32 v4, s0
	s_branch .LBB86_98
.LBB86_96:
	s_mov_b32 s0, -1
.LBB86_97:
	v_add_co_u32 v9, vcc_lo, v4, v20
	v_add_co_ci_u32_e32 v10, vcc_lo, v5, v21, vcc_lo
	flat_load_b32 v11, v[9:10]
	v_add_co_u32 v9, vcc_lo, v6, v20
	v_add_co_ci_u32_e32 v10, vcc_lo, v7, v21, vcc_lo
	v_add_co_u32 v4, vcc_lo, v4, v16
	v_add_co_ci_u32_e32 v5, vcc_lo, v5, v17, vcc_lo
	s_waitcnt vmcnt(0) lgkmcnt(0)
	v_fmac_f32_e32 v8, s16, v11
	global_store_b32 v[9:10], v8, off
	flat_load_b32 v4, v[4:5]
	s_waitcnt vmcnt(0) lgkmcnt(0)
	v_mul_f32_e32 v4, s16, v4
.LBB86_98:
	v_dual_min_f32 v1, v13, v1 :: v_dual_min_f32 v0, v12, v0
	v_dual_min_f32 v2, v14, v2 :: v_dual_min_f32 v3, v15, v3
	s_delay_alu instid0(VALU_DEP_2) | instskip(NEXT) | instid1(VALU_DEP_1)
	v_dual_add_f32 v1, v1, v52 :: v_dual_add_f32 v0, v0, v53
	v_dual_add_f32 v1, v3, v1 :: v_dual_add_f32 v0, v2, v0
	s_delay_alu instid0(VALU_DEP_1) | instskip(NEXT) | instid1(VALU_DEP_1)
	v_add_f32_e32 v0, v0, v1
	v_add_f32_e32 v2, v0, v4
	v_add_co_u32 v0, vcc_lo, v6, v16
	v_add_co_ci_u32_e32 v1, vcc_lo, v7, v17, vcc_lo
	global_store_b32 v[0:1], v2, off
	s_nop 0
	s_sendmsg sendmsg(MSG_DEALLOC_VGPRS)
	s_endpgm
	.section	.rodata,"a",@progbits
	.p2align	6, 0x0
	.amdhsa_kernel _ZN12_GLOBAL__N_120geam_min_plus_kernelIf15HIP_vector_typeIfLj2EES2_Li8ELi32ELi64ELi128ELi4ELi4ELi64ELi4ELi64ELc84ELc78ELb0ELb0ELb0EfKffEEviiiT16_PT17_ilS6_ilS4_S6_ilPT18_ili26rocblas_geam_ex_operation_
		.amdhsa_group_segment_fixed_size 6144
		.amdhsa_private_segment_fixed_size 0
		.amdhsa_kernarg_size 128
		.amdhsa_user_sgpr_count 14
		.amdhsa_user_sgpr_dispatch_ptr 0
		.amdhsa_user_sgpr_queue_ptr 0
		.amdhsa_user_sgpr_kernarg_segment_ptr 1
		.amdhsa_user_sgpr_dispatch_id 0
		.amdhsa_user_sgpr_private_segment_size 0
		.amdhsa_wavefront_size32 1
		.amdhsa_uses_dynamic_stack 0
		.amdhsa_enable_private_segment 0
		.amdhsa_system_sgpr_workgroup_id_x 1
		.amdhsa_system_sgpr_workgroup_id_y 0
		.amdhsa_system_sgpr_workgroup_id_z 1
		.amdhsa_system_sgpr_workgroup_info 0
		.amdhsa_system_vgpr_workitem_id 1
		.amdhsa_next_free_vgpr 224
		.amdhsa_next_free_sgpr 24
		.amdhsa_reserve_vcc 1
		.amdhsa_float_round_mode_32 0
		.amdhsa_float_round_mode_16_64 0
		.amdhsa_float_denorm_mode_32 3
		.amdhsa_float_denorm_mode_16_64 3
		.amdhsa_dx10_clamp 1
		.amdhsa_ieee_mode 1
		.amdhsa_fp16_overflow 0
		.amdhsa_workgroup_processor_mode 1
		.amdhsa_memory_ordered 1
		.amdhsa_forward_progress 0
		.amdhsa_shared_vgpr_count 0
		.amdhsa_exception_fp_ieee_invalid_op 0
		.amdhsa_exception_fp_denorm_src 0
		.amdhsa_exception_fp_ieee_div_zero 0
		.amdhsa_exception_fp_ieee_overflow 0
		.amdhsa_exception_fp_ieee_underflow 0
		.amdhsa_exception_fp_ieee_inexact 0
		.amdhsa_exception_int_div_zero 0
	.end_amdhsa_kernel
	.section	.text._ZN12_GLOBAL__N_120geam_min_plus_kernelIf15HIP_vector_typeIfLj2EES2_Li8ELi32ELi64ELi128ELi4ELi4ELi64ELi4ELi64ELc84ELc78ELb0ELb0ELb0EfKffEEviiiT16_PT17_ilS6_ilS4_S6_ilPT18_ili26rocblas_geam_ex_operation_,"axG",@progbits,_ZN12_GLOBAL__N_120geam_min_plus_kernelIf15HIP_vector_typeIfLj2EES2_Li8ELi32ELi64ELi128ELi4ELi4ELi64ELi4ELi64ELc84ELc78ELb0ELb0ELb0EfKffEEviiiT16_PT17_ilS6_ilS4_S6_ilPT18_ili26rocblas_geam_ex_operation_,comdat
.Lfunc_end86:
	.size	_ZN12_GLOBAL__N_120geam_min_plus_kernelIf15HIP_vector_typeIfLj2EES2_Li8ELi32ELi64ELi128ELi4ELi4ELi64ELi4ELi64ELc84ELc78ELb0ELb0ELb0EfKffEEviiiT16_PT17_ilS6_ilS4_S6_ilPT18_ili26rocblas_geam_ex_operation_, .Lfunc_end86-_ZN12_GLOBAL__N_120geam_min_plus_kernelIf15HIP_vector_typeIfLj2EES2_Li8ELi32ELi64ELi128ELi4ELi4ELi64ELi4ELi64ELc84ELc78ELb0ELb0ELb0EfKffEEviiiT16_PT17_ilS6_ilS4_S6_ilPT18_ili26rocblas_geam_ex_operation_
                                        ; -- End function
	.section	.AMDGPU.csdata,"",@progbits
; Kernel info:
; codeLenInByte = 10192
; NumSgprs: 26
; NumVgprs: 224
; ScratchSize: 0
; MemoryBound: 0
; FloatMode: 240
; IeeeMode: 1
; LDSByteSize: 6144 bytes/workgroup (compile time only)
; SGPRBlocks: 3
; VGPRBlocks: 27
; NumSGPRsForWavesPerEU: 26
; NumVGPRsForWavesPerEU: 224
; Occupancy: 6
; WaveLimiterHint : 0
; COMPUTE_PGM_RSRC2:SCRATCH_EN: 0
; COMPUTE_PGM_RSRC2:USER_SGPR: 14
; COMPUTE_PGM_RSRC2:TRAP_HANDLER: 0
; COMPUTE_PGM_RSRC2:TGID_X_EN: 1
; COMPUTE_PGM_RSRC2:TGID_Y_EN: 0
; COMPUTE_PGM_RSRC2:TGID_Z_EN: 1
; COMPUTE_PGM_RSRC2:TIDIG_COMP_CNT: 1
	.section	.text._ZN12_GLOBAL__N_120geam_min_plus_kernelIf15HIP_vector_typeIfLj2EES2_Li8ELi32ELi64ELi128ELi4ELi4ELi64ELi4ELi64ELc84ELc78ELb0ELb1ELb0EPKfS3_fEEviiiT16_PT17_ilS7_ilS5_S7_ilPT18_ili26rocblas_geam_ex_operation_,"axG",@progbits,_ZN12_GLOBAL__N_120geam_min_plus_kernelIf15HIP_vector_typeIfLj2EES2_Li8ELi32ELi64ELi128ELi4ELi4ELi64ELi4ELi64ELc84ELc78ELb0ELb1ELb0EPKfS3_fEEviiiT16_PT17_ilS7_ilS5_S7_ilPT18_ili26rocblas_geam_ex_operation_,comdat
	.globl	_ZN12_GLOBAL__N_120geam_min_plus_kernelIf15HIP_vector_typeIfLj2EES2_Li8ELi32ELi64ELi128ELi4ELi4ELi64ELi4ELi64ELc84ELc78ELb0ELb1ELb0EPKfS3_fEEviiiT16_PT17_ilS7_ilS5_S7_ilPT18_ili26rocblas_geam_ex_operation_ ; -- Begin function _ZN12_GLOBAL__N_120geam_min_plus_kernelIf15HIP_vector_typeIfLj2EES2_Li8ELi32ELi64ELi128ELi4ELi4ELi64ELi4ELi64ELc84ELc78ELb0ELb1ELb0EPKfS3_fEEviiiT16_PT17_ilS7_ilS5_S7_ilPT18_ili26rocblas_geam_ex_operation_
	.p2align	8
	.type	_ZN12_GLOBAL__N_120geam_min_plus_kernelIf15HIP_vector_typeIfLj2EES2_Li8ELi32ELi64ELi128ELi4ELi4ELi64ELi4ELi64ELc84ELc78ELb0ELb1ELb0EPKfS3_fEEviiiT16_PT17_ilS7_ilS5_S7_ilPT18_ili26rocblas_geam_ex_operation_,@function
_ZN12_GLOBAL__N_120geam_min_plus_kernelIf15HIP_vector_typeIfLj2EES2_Li8ELi32ELi64ELi128ELi4ELi4ELi64ELi4ELi64ELc84ELc78ELb0ELb1ELb0EPKfS3_fEEviiiT16_PT17_ilS7_ilS5_S7_ilPT18_ili26rocblas_geam_ex_operation_: ; @_ZN12_GLOBAL__N_120geam_min_plus_kernelIf15HIP_vector_typeIfLj2EES2_Li8ELi32ELi64ELi128ELi4ELi4ELi64ELi4ELi64ELc84ELc78ELb0ELb1ELb0EPKfS3_fEEviiiT16_PT17_ilS7_ilS5_S7_ilPT18_ili26rocblas_geam_ex_operation_
; %bb.0:
	s_clause 0x1
	s_load_b128 s[16:19], s[0:1], 0x10
	s_load_b128 s[4:7], s[0:1], 0x28
	s_mov_b32 s12, s15
	s_mov_b32 s13, 0
	s_mov_b64 s[22:23], 0
	s_lshl_b64 s[20:21], s[12:13], 2
	s_waitcnt lgkmcnt(0)
	s_add_u32 s2, s16, s20
	s_addc_u32 s3, s17, s21
	s_load_b32 s15, s[2:3], 0x0
	s_clause 0x1
	s_load_b128 s[8:11], s[0:1], 0x40
	s_load_b64 s[2:3], s[0:1], 0x50
	s_waitcnt lgkmcnt(0)
	v_cmp_eq_f32_e64 s13, s15, 0
	v_cmp_neq_f32_e64 s24, s15, 0
	s_add_u32 s10, s10, s20
	s_addc_u32 s11, s11, s21
	s_mov_b64 s[20:21], 0
	s_and_b32 vcc_lo, exec_lo, s13
	s_cbranch_vccnz .LBB87_2
; %bb.1:
	s_mul_i32 s5, s12, s5
	s_mul_hi_u32 s13, s12, s4
	s_mul_i32 s4, s12, s4
	s_add_i32 s5, s13, s5
	s_delay_alu instid0(SALU_CYCLE_1) | instskip(NEXT) | instid1(SALU_CYCLE_1)
	s_lshl_b64 s[4:5], s[4:5], 2
	s_add_u32 s22, s18, s4
	s_addc_u32 s23, s19, s5
.LBB87_2:
	s_load_b32 s13, s[10:11], 0x0
	s_and_not1_b32 vcc_lo, exec_lo, s24
	s_cbranch_vccnz .LBB87_4
; %bb.3:
	s_mul_i32 s4, s12, s9
	s_mul_hi_u32 s5, s12, s8
	s_delay_alu instid0(SALU_CYCLE_1) | instskip(SKIP_1) | instid1(SALU_CYCLE_1)
	s_add_i32 s5, s5, s4
	s_mul_i32 s4, s12, s8
	s_lshl_b64 s[4:5], s[4:5], 2
	s_delay_alu instid0(SALU_CYCLE_1)
	s_add_u32 s20, s6, s4
	s_addc_u32 s21, s7, s5
.LBB87_4:
	s_load_b128 s[4:7], s[0:1], 0x60
	s_waitcnt lgkmcnt(0)
	v_cmp_eq_f32_e64 s8, s13, 0
	v_cmp_neq_f32_e64 s9, s13, 0
	s_delay_alu instid0(VALU_DEP_2)
	s_and_b32 vcc_lo, exec_lo, s8
	s_cbranch_vccnz .LBB87_6
; %bb.5:
	s_mul_i32 s5, s12, s5
	s_mul_hi_u32 s8, s12, s4
	s_mul_i32 s4, s12, s4
	s_add_i32 s5, s8, s5
	s_delay_alu instid0(SALU_CYCLE_1) | instskip(NEXT) | instid1(SALU_CYCLE_1)
	s_lshl_b64 s[4:5], s[4:5], 2
	s_add_u32 s10, s2, s4
	s_addc_u32 s11, s3, s5
	s_branch .LBB87_7
.LBB87_6:
	s_mov_b64 s[10:11], 0
.LBB87_7:
	s_clause 0x1
	s_load_b128 s[16:19], s[0:1], 0x0
	s_load_b32 s27, s[0:1], 0x20
	v_dual_mov_b32 v7, 0 :: v_dual_and_b32 v54, 0x3ff, v0
	v_bfe_u32 v55, v0, 10, 10
	v_mov_b32_e32 v8, 0
	s_delay_alu instid0(VALU_DEP_3) | instskip(NEXT) | instid1(VALU_DEP_3)
	v_and_b32_e32 v56, 3, v54
	v_lshl_add_u32 v0, v55, 3, v54
	s_waitcnt lgkmcnt(0)
	s_add_i32 s2, s16, -1
	s_delay_alu instid0(SALU_CYCLE_1) | instskip(NEXT) | instid1(SALU_CYCLE_1)
	s_ashr_i32 s3, s2, 31
	s_lshr_b32 s3, s3, 26
	s_delay_alu instid0(SALU_CYCLE_1) | instskip(NEXT) | instid1(SALU_CYCLE_1)
	s_add_i32 s2, s2, s3
	s_ashr_i32 s2, s2, 6
	s_delay_alu instid0(SALU_CYCLE_1) | instskip(SKIP_2) | instid1(VALU_DEP_1)
	s_add_i32 s4, s2, 1
	s_not_b32 s2, s2
	v_cvt_f32_u32_e32 v1, s4
	v_rcp_iflag_f32_e32 v1, v1
	s_waitcnt_depctr 0xfff
	v_mul_f32_e32 v1, 0x4f7ffffe, v1
	s_delay_alu instid0(VALU_DEP_1) | instskip(NEXT) | instid1(VALU_DEP_1)
	v_cvt_u32_f32_e32 v1, v1
	v_readfirstlane_b32 s3, v1
	v_lshrrev_b32_e32 v1, 2, v0
	v_lshlrev_b32_e32 v0, 2, v56
	s_delay_alu instid0(VALU_DEP_3) | instskip(NEXT) | instid1(SALU_CYCLE_1)
	s_mul_i32 s2, s2, s3
	s_mul_hi_u32 s2, s3, s2
	s_delay_alu instid0(SALU_CYCLE_1) | instskip(NEXT) | instid1(SALU_CYCLE_1)
	s_add_i32 s3, s3, s2
	s_mul_hi_u32 s2, s14, s3
	s_delay_alu instid0(SALU_CYCLE_1) | instskip(SKIP_2) | instid1(SALU_CYCLE_1)
	s_mul_i32 s3, s2, s4
	s_add_i32 s5, s2, 1
	s_sub_i32 s3, s14, s3
	s_sub_i32 s8, s3, s4
	s_cmp_ge_u32 s3, s4
	s_cselect_b32 s2, s5, s2
	s_cselect_b32 s3, s8, s3
	s_add_i32 s5, s2, 1
	s_cmp_ge_u32 s3, s4
	s_cselect_b32 s3, s5, s2
	s_delay_alu instid0(SALU_CYCLE_1) | instskip(NEXT) | instid1(SALU_CYCLE_1)
	s_mul_i32 s28, s3, s4
	s_sub_i32 s2, s14, s28
	s_delay_alu instid0(SALU_CYCLE_1) | instskip(SKIP_2) | instid1(VALU_DEP_1)
	s_lshl_b32 s4, s2, 6
	v_cmp_gt_i32_e64 s2, s18, v56
	v_add_nc_u32_e32 v5, s4, v1
	v_cmp_gt_i32_e32 vcc_lo, s16, v5
	s_delay_alu instid0(VALU_DEP_3) | instskip(NEXT) | instid1(SALU_CYCLE_1)
	s_and_b32 s2, s2, vcc_lo
	s_and_b32 s2, s24, s2
	s_delay_alu instid0(SALU_CYCLE_1)
	s_and_saveexec_b32 s5, s2
	s_cbranch_execz .LBB87_9
; %bb.8:
	v_mad_i64_i32 v[2:3], null, v5, s27, 0
	s_delay_alu instid0(VALU_DEP_1) | instskip(NEXT) | instid1(VALU_DEP_1)
	v_lshlrev_b64 v[2:3], 2, v[2:3]
	v_add_co_u32 v2, s2, s22, v2
	s_delay_alu instid0(VALU_DEP_1) | instskip(NEXT) | instid1(VALU_DEP_2)
	v_add_co_ci_u32_e64 v3, s2, s23, v3, s2
	v_add_co_u32 v2, s2, v2, v0
	s_delay_alu instid0(VALU_DEP_1)
	v_add_co_ci_u32_e64 v3, s2, 0, v3, s2
	flat_load_b32 v2, v[2:3]
	s_waitcnt vmcnt(0) lgkmcnt(0)
	v_mul_f32_e32 v8, s15, v2
.LBB87_9:
	s_or_b32 exec_lo, exec_lo, s5
	s_add_i32 s8, s18, -1
	s_load_b32 s29, s[0:1], 0x38
	v_min_i32_e32 v3, s8, v56
	s_lshl_b32 s5, s3, 7
	s_xor_b32 s25, s24, -1
	v_add_nc_u32_e32 v2, s5, v1
	v_cmp_le_i32_e64 s2, s18, v56
	v_ashrrev_i32_e32 v4, 31, v3
	s_delay_alu instid0(VALU_DEP_3) | instskip(NEXT) | instid1(VALU_DEP_2)
	v_cmp_le_i32_e64 s3, s17, v2
	v_lshlrev_b64 v[3:4], 2, v[3:4]
	s_delay_alu instid0(VALU_DEP_2) | instskip(NEXT) | instid1(VALU_DEP_1)
	s_or_b32 s19, s3, s25
	v_add_co_u32 v6, s3, s20, v3
	s_delay_alu instid0(VALU_DEP_1) | instskip(SKIP_1) | instid1(SALU_CYCLE_1)
	v_add_co_ci_u32_e64 v10, s3, s21, v4, s3
	s_or_b32 s3, s2, s19
	s_xor_b32 s3, s3, -1
	s_delay_alu instid0(SALU_CYCLE_1)
	s_and_saveexec_b32 s26, s3
	s_cbranch_execz .LBB87_11
; %bb.10:
	s_waitcnt lgkmcnt(0)
	v_mad_i64_i32 v[3:4], null, v2, s29, 0
	s_delay_alu instid0(VALU_DEP_1) | instskip(NEXT) | instid1(VALU_DEP_1)
	v_lshlrev_b64 v[3:4], 2, v[3:4]
	v_add_co_u32 v3, s3, v6, v3
	s_delay_alu instid0(VALU_DEP_1)
	v_add_co_ci_u32_e64 v4, s3, v10, v4, s3
	flat_load_b32 v3, v[3:4]
	s_waitcnt vmcnt(0) lgkmcnt(0)
	v_mul_f32_e32 v7, s15, v3
.LBB87_11:
	s_or_b32 exec_lo, exec_lo, s26
	v_dual_mov_b32 v4, 0 :: v_dual_add_nc_u32 v3, 64, v2
	v_mov_b32_e32 v9, 0
	s_delay_alu instid0(VALU_DEP_2) | instskip(NEXT) | instid1(VALU_DEP_1)
	v_cmp_le_i32_e64 s3, s17, v3
	s_or_b32 s25, s3, s25
	s_delay_alu instid0(SALU_CYCLE_1) | instskip(NEXT) | instid1(SALU_CYCLE_1)
	s_or_b32 s2, s2, s25
	s_xor_b32 s2, s2, -1
	s_delay_alu instid0(SALU_CYCLE_1)
	s_and_saveexec_b32 s3, s2
	s_cbranch_execz .LBB87_13
; %bb.12:
	s_waitcnt lgkmcnt(0)
	v_mad_i64_i32 v[11:12], null, v3, s29, 0
	s_delay_alu instid0(VALU_DEP_1) | instskip(NEXT) | instid1(VALU_DEP_1)
	v_lshlrev_b64 v[11:12], 2, v[11:12]
	v_add_co_u32 v9, s2, v6, v11
	s_delay_alu instid0(VALU_DEP_1)
	v_add_co_ci_u32_e64 v10, s2, v10, v12, s2
	flat_load_b32 v6, v[9:10]
	s_waitcnt vmcnt(0) lgkmcnt(0)
	v_mul_f32_e32 v9, s15, v6
.LBB87_13:
	s_or_b32 exec_lo, exec_lo, s3
	v_or_b32_e32 v6, 4, v56
	s_delay_alu instid0(VALU_DEP_1) | instskip(NEXT) | instid1(VALU_DEP_1)
	v_cmp_gt_i32_e64 s2, s18, v6
	s_and_b32 s2, s2, vcc_lo
	s_delay_alu instid0(SALU_CYCLE_1) | instskip(NEXT) | instid1(SALU_CYCLE_1)
	s_and_b32 s2, s24, s2
	s_and_saveexec_b32 s3, s2
	s_cbranch_execz .LBB87_15
; %bb.14:
	v_mad_i64_i32 v[10:11], null, v5, s27, 0
	s_delay_alu instid0(VALU_DEP_1) | instskip(NEXT) | instid1(VALU_DEP_1)
	v_lshlrev_b64 v[4:5], 2, v[10:11]
	v_add_co_u32 v4, s2, s22, v4
	s_delay_alu instid0(VALU_DEP_1) | instskip(NEXT) | instid1(VALU_DEP_2)
	v_add_co_ci_u32_e64 v5, s2, s23, v5, s2
	v_add_co_u32 v4, s2, v4, v0
	s_delay_alu instid0(VALU_DEP_1)
	v_add_co_ci_u32_e64 v5, s2, 0, v5, s2
	flat_load_b32 v4, v[4:5] offset:16
	s_waitcnt vmcnt(0) lgkmcnt(0)
	v_mul_f32_e32 v4, s15, v4
.LBB87_15:
	s_or_b32 exec_lo, exec_lo, s3
	v_min_i32_e32 v10, s8, v6
	v_cmp_le_i32_e64 s2, s18, v6
	v_dual_mov_b32 v5, 0 :: v_dual_mov_b32 v6, 0
	s_delay_alu instid0(VALU_DEP_3) | instskip(NEXT) | instid1(VALU_DEP_1)
	v_ashrrev_i32_e32 v11, 31, v10
	v_lshlrev_b64 v[10:11], 2, v[10:11]
	s_delay_alu instid0(VALU_DEP_1) | instskip(NEXT) | instid1(VALU_DEP_1)
	v_add_co_u32 v10, s3, s20, v10
	v_add_co_ci_u32_e64 v11, s3, s21, v11, s3
	s_or_b32 s3, s2, s19
	s_delay_alu instid0(SALU_CYCLE_1) | instskip(NEXT) | instid1(SALU_CYCLE_1)
	s_xor_b32 s3, s3, -1
	s_and_saveexec_b32 s26, s3
	s_cbranch_execz .LBB87_17
; %bb.16:
	s_waitcnt lgkmcnt(0)
	v_mad_i64_i32 v[12:13], null, v2, s29, 0
	s_delay_alu instid0(VALU_DEP_1) | instskip(NEXT) | instid1(VALU_DEP_1)
	v_lshlrev_b64 v[12:13], 2, v[12:13]
	v_add_co_u32 v12, s3, v10, v12
	s_delay_alu instid0(VALU_DEP_1)
	v_add_co_ci_u32_e64 v13, s3, v11, v13, s3
	flat_load_b32 v6, v[12:13]
	s_waitcnt vmcnt(0) lgkmcnt(0)
	v_mul_f32_e32 v6, s15, v6
.LBB87_17:
	s_or_b32 exec_lo, exec_lo, s26
	s_or_b32 s2, s2, s25
	s_delay_alu instid0(SALU_CYCLE_1) | instskip(NEXT) | instid1(SALU_CYCLE_1)
	s_xor_b32 s2, s2, -1
	s_and_saveexec_b32 s3, s2
	s_cbranch_execz .LBB87_19
; %bb.18:
	s_waitcnt lgkmcnt(0)
	v_mad_i64_i32 v[12:13], null, v3, s29, 0
	s_delay_alu instid0(VALU_DEP_1) | instskip(NEXT) | instid1(VALU_DEP_1)
	v_lshlrev_b64 v[12:13], 2, v[12:13]
	v_add_co_u32 v10, s2, v10, v12
	s_delay_alu instid0(VALU_DEP_1)
	v_add_co_ci_u32_e64 v11, s2, v11, v13, s2
	flat_load_b32 v5, v[10:11]
	s_waitcnt vmcnt(0) lgkmcnt(0)
	v_mul_f32_e32 v5, s15, v5
.LBB87_19:
	s_or_b32 exec_lo, exec_lo, s3
	v_lshl_or_b32 v59, v1, 4, v0
	v_lshlrev_b32_e32 v58, 4, v55
	v_lshlrev_b32_e32 v57, 4, v54
	s_mov_b32 s26, 0
	s_cmp_lt_i32 s18, 9
	ds_store_b32 v59, v8 offset:4096
	ds_store_2addr_stride64_b32 v59, v7, v9 offset1:4
	s_waitcnt lgkmcnt(0)
	s_barrier
	buffer_gl0_inv
	ds_load_b128 v[7:10], v58
	ds_load_b128 v[11:14], v57 offset:4096
	ds_load_b128 v[15:18], v57 offset:4224
	;; [unrolled: 1-line block ×11, first 2 shown]
	ds_store_b32 v59, v4 offset:5120
	ds_store_2addr_stride64_b32 v59, v6, v5 offset0:8 offset1:12
	s_waitcnt lgkmcnt(0)
	s_barrier
	buffer_gl0_inv
	v_dual_max_f32 v8, v8, v8 :: v_dual_max_f32 v7, v7, v7
	v_dual_max_f32 v12, v12, v12 :: v_dual_max_f32 v15, v15, v15
	;; [unrolled: 1-line block ×3, first 2 shown]
	s_delay_alu instid0(VALU_DEP_2) | instskip(NEXT) | instid1(VALU_DEP_3)
	v_dual_max_f32 v19, v19, v19 :: v_dual_min_f32 v52, v12, v8
	v_dual_min_f32 v53, v15, v7 :: v_dual_max_f32 v24, v24, v24
	v_max_f32_e32 v27, v27, v27
	v_dual_max_f32 v31, v31, v31 :: v_dual_max_f32 v36, v36, v36
	v_dual_min_f32 v51, v11, v7 :: v_dual_max_f32 v20, v20, v20
	v_dual_min_f32 v64, v16, v8 :: v_dual_min_f32 v65, v19, v7
	v_dual_max_f32 v28, v28, v28 :: v_dual_max_f32 v23, v23, v23
	s_delay_alu instid0(VALU_DEP_3)
	v_min_f32_e32 v66, v20, v8
	v_dual_min_f32 v68, v24, v8 :: v_dual_min_f32 v69, v27, v7
	v_dual_max_f32 v32, v32, v32 :: v_dual_max_f32 v35, v35, v35
	v_dual_max_f32 v39, v39, v39 :: v_dual_min_f32 v74, v36, v8
	v_dual_min_f32 v71, v31, v7 :: v_dual_max_f32 v40, v40, v40
	v_max_f32_e32 v43, v43, v43
	v_dual_max_f32 v47, v47, v47 :: v_dual_max_f32 v38, v38, v38
	v_dual_min_f32 v67, v23, v7 :: v_dual_min_f32 v70, v28, v8
	v_dual_min_f32 v72, v32, v8 :: v_dual_min_f32 v73, v35, v7
	v_dual_max_f32 v10, v10, v10 :: v_dual_min_f32 v7, v39, v7
	v_dual_max_f32 v44, v44, v44 :: v_dual_max_f32 v9, v9, v9
	v_dual_min_f32 v8, v40, v8 :: v_dual_min_f32 v75, v11, v43
	v_dual_max_f32 v14, v14, v14 :: v_dual_max_f32 v13, v13, v13
	s_delay_alu instid0(VALU_DEP_3)
	v_dual_min_f32 v76, v12, v44 :: v_dual_min_f32 v77, v15, v43
	v_dual_max_f32 v18, v18, v18 :: v_dual_min_f32 v79, v19, v43
	v_dual_max_f32 v22, v22, v22 :: v_dual_min_f32 v81, v23, v43
	v_dual_max_f32 v26, v26, v26 :: v_dual_min_f32 v83, v27, v43
	v_dual_max_f32 v30, v30, v30 :: v_dual_min_f32 v85, v31, v43
	v_dual_max_f32 v34, v34, v34 :: v_dual_min_f32 v87, v35, v43
	v_dual_max_f32 v42, v42, v42 :: v_dual_min_f32 v43, v39, v43
	v_dual_max_f32 v48, v48, v48 :: v_dual_min_f32 v91, v23, v47
	v_dual_max_f32 v60, v60, v60 :: v_dual_max_f32 v17, v17, v17
	v_dual_min_f32 v78, v16, v44 :: v_dual_max_f32 v21, v21, v21
	v_dual_min_f32 v80, v20, v44 :: v_dual_max_f32 v25, v25, v25
	;; [unrolled: 1-line block ×3, first 2 shown]
	v_min_f32_e32 v88, v11, v47
	v_dual_min_f32 v89, v15, v47 :: v_dual_max_f32 v50, v50, v50
	v_dual_max_f32 v45, v45, v45 :: v_dual_min_f32 v90, v19, v47
	v_dual_max_f32 v49, v49, v49 :: v_dual_max_f32 v100, v62, v62
	v_dual_max_f32 v61, v61, v61 :: v_dual_min_f32 v126, v27, v47
	v_dual_max_f32 v117, v63, v63 :: v_dual_min_f32 v92, v36, v44
	v_min_f32_e32 v127, v31, v47
	v_dual_min_f32 v128, v35, v47 :: v_dual_min_f32 v93, v12, v48
	v_dual_min_f32 v47, v39, v47 :: v_dual_min_f32 v94, v16, v48
	;; [unrolled: 1-line block ×4, first 2 shown]
	v_min_f32_e32 v19, v19, v60
	v_min_f32_e32 v23, v23, v60
	;; [unrolled: 1-line block ×5, first 2 shown]
	v_dual_min_f32 v39, v39, v60 :: v_dual_min_f32 v62, v13, v9
	v_min_f32_e32 v95, v20, v48
	v_dual_min_f32 v130, v28, v48 :: v_dual_add_f32 v51, 0, v51
	v_add_f32_e32 v52, 0, v52
	v_dual_min_f32 v60, v14, v10 :: v_dual_add_f32 v63, 0, v64
	v_dual_min_f32 v64, v18, v10 :: v_dual_max_f32 v29, v29, v29
	v_dual_min_f32 v84, v28, v44 :: v_dual_max_f32 v33, v33, v33
	v_min_f32_e32 v86, v32, v44
	v_min_f32_e32 v44, v40, v44
	v_dual_min_f32 v129, v24, v48 :: v_dual_add_f32 v124, v51, v62
	v_min_f32_e32 v131, v32, v48
	v_dual_min_f32 v132, v36, v48 :: v_dual_add_f32 v51, 0, v53
	v_dual_min_f32 v48, v40, v48 :: v_dual_add_f32 v53, 0, v66
	v_min_f32_e32 v20, v20, v61
	v_min_f32_e32 v24, v24, v61
	;; [unrolled: 1-line block ×6, first 2 shown]
	v_dual_add_f32 v122, v63, v64 :: v_dual_add_f32 v61, 0, v65
	v_add_f32_e32 v65, 0, v67
	v_dual_add_f32 v125, v52, v60 :: v_dual_min_f32 v60, v22, v10
	v_min_f32_e32 v52, v17, v9
	v_dual_min_f32 v62, v21, v9 :: v_dual_add_f32 v63, 0, v68
	v_min_f32_e32 v64, v26, v10
	v_min_f32_e32 v66, v25, v9
	v_dual_max_f32 v41, v41, v41 :: v_dual_max_f32 v46, v46, v46
	v_add_f32_e32 v123, v51, v52
	v_dual_add_f32 v120, v53, v60 :: v_dual_add_f32 v51, 0, v70
	s_delay_alu instid0(VALU_DEP_4)
	v_add_f32_e32 v119, v65, v66
	v_dual_min_f32 v52, v30, v10 :: v_dual_add_f32 v53, 0, v69
	v_dual_add_f32 v121, v61, v62 :: v_dual_add_f32 v118, v63, v64
	v_dual_min_f32 v61, v29, v9 :: v_dual_add_f32 v62, 0, v72
	v_dual_min_f32 v63, v34, v10 :: v_dual_add_f32 v64, 0, v71
	v_dual_min_f32 v65, v33, v9 :: v_dual_add_f32 v66, 0, v74
	s_delay_alu instid0(VALU_DEP_3) | instskip(SKIP_1) | instid1(VALU_DEP_3)
	v_add_f32_e32 v61, v53, v61
	v_dual_min_f32 v67, v38, v10 :: v_dual_add_f32 v60, v51, v52
	v_dual_add_f32 v63, v62, v63 :: v_dual_add_f32 v62, v64, v65
	s_delay_alu instid0(VALU_DEP_2) | instskip(SKIP_4) | instid1(VALU_DEP_4)
	v_dual_add_f32 v51, 0, v73 :: v_dual_add_f32 v64, v66, v67
	v_dual_min_f32 v52, v37, v9 :: v_dual_add_f32 v7, 0, v7
	v_dual_add_f32 v8, 0, v8 :: v_dual_min_f32 v9, v41, v9
	v_dual_min_f32 v10, v42, v10 :: v_dual_add_f32 v53, 0, v76
	v_dual_min_f32 v66, v14, v46 :: v_dual_add_f32 v67, 0, v75
	;; [unrolled: 1-line block ×3, first 2 shown]
	s_delay_alu instid0(VALU_DEP_3)
	v_dual_add_f32 v115, v8, v10 :: v_dual_add_f32 v116, v7, v9
	v_dual_add_f32 v7, 0, v78 :: v_dual_min_f32 v10, v17, v45
	v_dual_min_f32 v8, v18, v46 :: v_dual_add_f32 v9, 0, v77
	v_dual_add_f32 v51, 0, v80 :: v_dual_min_f32 v52, v22, v46
	v_dual_add_f32 v114, v53, v66 :: v_dual_add_f32 v113, v67, v68
	v_dual_add_f32 v53, 0, v79 :: v_dual_min_f32 v66, v21, v45
	s_delay_alu instid0(VALU_DEP_3)
	v_dual_add_f32 v67, 0, v82 :: v_dual_add_f32 v110, v51, v52
	v_dual_min_f32 v68, v26, v46 :: v_dual_add_f32 v111, v7, v8
	v_dual_add_f32 v112, v9, v10 :: v_dual_add_f32 v7, 0, v81
	v_min_f32_e32 v10, v30, v46
	v_dual_min_f32 v8, v25, v45 :: v_dual_add_f32 v9, 0, v84
	v_dual_add_f32 v51, 0, v83 :: v_dual_min_f32 v52, v29, v45
	s_delay_alu instid0(VALU_DEP_2)
	v_dual_add_f32 v109, v53, v66 :: v_dual_add_f32 v108, v7, v8
	v_add_f32_e32 v107, v67, v68
	v_dual_add_f32 v53, 0, v86 :: v_dual_min_f32 v68, v33, v45
	v_dual_min_f32 v66, v34, v46 :: v_dual_add_f32 v67, 0, v85
	v_dual_add_f32 v105, v9, v10 :: v_dual_add_f32 v106, v51, v52
	v_dual_add_f32 v7, 0, v92 :: v_dual_min_f32 v8, v38, v46
	v_dual_add_f32 v9, 0, v87 :: v_dual_min_f32 v10, v37, v45
	v_dual_add_f32 v44, 0, v44 :: v_dual_add_f32 v43, 0, v43
	v_dual_min_f32 v46, v42, v46 :: v_dual_min_f32 v45, v41, v45
	v_dual_add_f32 v51, 0, v93 :: v_dual_min_f32 v52, v14, v50
	s_delay_alu instid0(VALU_DEP_4) | instskip(NEXT) | instid1(VALU_DEP_3)
	v_dual_add_f32 v101, v7, v8 :: v_dual_add_f32 v102, v9, v10
	v_dual_add_f32 v99, v44, v46 :: v_dual_add_f32 v98, v43, v45
	s_delay_alu instid0(VALU_DEP_3) | instskip(SKIP_3) | instid1(VALU_DEP_3)
	v_dual_add_f32 v96, v51, v52 :: v_dual_add_f32 v9, 0, v94
	v_dual_add_f32 v7, 0, v88 :: v_dual_min_f32 v8, v13, v49
	v_dual_min_f32 v10, v18, v50 :: v_dual_add_f32 v43, 0, v89
	v_dual_min_f32 v44, v17, v49 :: v_dual_add_f32 v45, 0, v95
	;; [unrolled: 1-line block ×3, first 2 shown]
	v_dual_add_f32 v51, 0, v90 :: v_dual_min_f32 v52, v21, v49
	s_delay_alu instid0(VALU_DEP_3) | instskip(NEXT) | instid1(VALU_DEP_3)
	v_dual_add_f32 v94, v9, v10 :: v_dual_add_f32 v95, v43, v44
	v_dual_add_f32 v92, v45, v46 :: v_dual_add_f32 v7, 0, v129
	v_min_f32_e32 v8, v26, v50
	v_dual_add_f32 v43, 0, v130 :: v_dual_min_f32 v46, v29, v49
	v_add_f32_e32 v45, 0, v126
	v_dual_add_f32 v9, 0, v91 :: v_dual_min_f32 v10, v25, v49
	v_min_f32_e32 v44, v30, v50
	v_add_f32_e32 v90, v7, v8
	s_delay_alu instid0(VALU_DEP_4)
	v_dual_add_f32 v88, v45, v46 :: v_dual_add_f32 v7, 0, v127
	v_dual_min_f32 v8, v33, v49 :: v_dual_add_f32 v93, v51, v52
	v_dual_add_f32 v51, 0, v131 :: v_dual_min_f32 v52, v34, v50
	v_add_f32_e32 v89, v43, v44
	v_add_f32_e32 v91, v9, v10
	v_dual_add_f32 v9, 0, v132 :: v_dual_min_f32 v10, v38, v50
	v_dual_add_f32 v43, 0, v128 :: v_dual_min_f32 v44, v37, v49
	;; [unrolled: 1-line block ×3, first 2 shown]
	v_add_f32_e32 v87, v7, v8
	v_dual_add_f32 v7, 0, v11 :: v_dual_add_f32 v8, 0, v12
	v_dual_add_f32 v11, 0, v19 :: v_dual_add_f32 v12, 0, v20
	;; [unrolled: 1-line block ×3, first 2 shown]
	v_dual_add_f32 v27, 0, v35 :: v_dual_min_f32 v14, v14, v117
	v_dual_add_f32 v84, v9, v10 :: v_dual_add_f32 v85, v43, v44
	v_dual_add_f32 v9, 0, v15 :: v_dual_add_f32 v10, 0, v16
	s_delay_alu instid0(VALU_DEP_3)
	v_dual_min_f32 v13, v13, v100 :: v_dual_add_f32 v80, v8, v14
	v_dual_min_f32 v8, v18, v117 :: v_dual_add_f32 v15, 0, v23
	v_dual_add_f32 v16, 0, v24 :: v_dual_add_f32 v23, 0, v31
	v_add_f32_e32 v24, 0, v32
	v_add_f32_e32 v32, 0, v40
	v_dual_min_f32 v14, v17, v100 :: v_dual_add_f32 v81, v7, v13
	v_min_f32_e32 v17, v22, v117
	v_min_f32_e32 v7, v21, v100
	s_delay_alu instid0(VALU_DEP_3) | instskip(SKIP_1) | instid1(VALU_DEP_3)
	v_dual_add_f32 v79, v10, v8 :: v_dual_add_f32 v78, v9, v14
	v_min_f32_e32 v8, v26, v117
	v_dual_add_f32 v76, v12, v17 :: v_dual_add_f32 v77, v11, v7
	v_min_f32_e32 v7, v25, v100
	v_dual_min_f32 v9, v30, v117 :: v_dual_min_f32 v10, v29, v100
	s_delay_alu instid0(VALU_DEP_4)
	v_add_f32_e32 v74, v16, v8
	v_min_f32_e32 v8, v34, v117
	v_dual_min_f32 v46, v42, v50 :: v_dual_add_f32 v47, 0, v47
	v_dual_add_f32 v28, 0, v36 :: v_dual_add_f32 v31, 0, v39
	v_add_f32_e32 v75, v15, v7
	v_dual_add_f32 v73, v20, v9 :: v_dual_add_f32 v72, v19, v10
	v_min_f32_e32 v7, v33, v100
	v_add_f32_e32 v70, v24, v8
	v_dual_min_f32 v8, v38, v117 :: v_dual_min_f32 v9, v37, v100
	v_dual_min_f32 v10, v42, v117 :: v_dual_min_f32 v11, v41, v100
	v_dual_add_f32 v104, v53, v66 :: v_dual_add_f32 v103, v67, v68
	v_dual_add_f32 v86, v51, v52 :: v_dual_add_f32 v83, v45, v46
	v_add_f32_e32 v82, v47, v48
	v_add_f32_e32 v71, v23, v7
	v_dual_add_f32 v69, v28, v8 :: v_dual_add_f32 v68, v27, v9
	v_dual_add_f32 v67, v32, v10 :: v_dual_add_f32 v66, v31, v11
	s_cbranch_scc1 .LBB87_34
; %bb.20:
	v_lshl_add_u32 v1, s14, 6, v1
	s_lshl_b32 s2, s28, 6
	v_mad_i64_i32 v[6:7], null, v2, s29, 0
	v_add_nc_u32_e32 v100, 0x1000, v59
	s_delay_alu instid0(VALU_DEP_3)
	v_subrev_nc_u32_e32 v1, s2, v1
	v_add_nc_u32_e32 v117, 0x1000, v57
	v_add_nc_u32_e32 v126, 0x1400, v59
	;; [unrolled: 1-line block ×3, first 2 shown]
	v_lshl_add_u32 v128, v54, 4, 0x1400
	v_mad_i64_i32 v[4:5], null, s27, v1, 0
	v_lshlrev_b64 v[48:49], 2, v[6:7]
	v_lshl_add_u32 v129, v55, 4, 0x800
	s_add_i32 s14, s18, -8
	s_delay_alu instid0(VALU_DEP_3) | instskip(SKIP_1) | instid1(VALU_DEP_2)
	v_lshlrev_b64 v[1:2], 2, v[4:5]
	v_mad_i64_i32 v[4:5], null, v3, s29, 0
	v_add_co_u32 v0, s2, v1, v0
	s_delay_alu instid0(VALU_DEP_1) | instskip(NEXT) | instid1(VALU_DEP_3)
	v_add_co_ci_u32_e64 v1, s2, 0, v2, s2
	v_lshlrev_b64 v[50:51], 2, v[4:5]
	s_delay_alu instid0(VALU_DEP_3) | instskip(NEXT) | instid1(VALU_DEP_1)
	v_add_co_u32 v0, s2, v0, s22
	v_add_co_ci_u32_e64 v1, s2, s23, v1, s2
	s_delay_alu instid0(VALU_DEP_2) | instskip(NEXT) | instid1(VALU_DEP_1)
	v_add_co_u32 v52, s2, v0, 48
	v_add_co_ci_u32_e64 v53, s2, 0, v1, s2
	s_branch .LBB87_22
.LBB87_21:                              ;   in Loop: Header=BB87_22 Depth=1
	s_or_b32 exec_lo, exec_lo, s3
	v_dual_add_f32 v40, v125, v40 :: v_dual_add_f32 v33, v119, v33
	v_dual_add_f32 v28, v122, v28 :: v_dual_add_f32 v29, v121, v29
	;; [unrolled: 1-line block ×14, first 2 shown]
	v_add_f32_e32 v105, v29, v30
	v_dual_add_f32 v108, v20, v174 :: v_dual_add_f32 v113, v25, v23
	v_dual_add_f32 v111, v21, v22 :: v_dual_add_f32 v112, v8, v184
	;; [unrolled: 1-line block ×3, first 2 shown]
	ds_load_b128 v[20:23], v58
	ds_load_b128 v[28:31], v117
	v_dual_add_f32 v76, v76, v26 :: v_dual_add_f32 v75, v75, v11
	v_dual_add_f32 v77, v77, v10 :: v_dual_add_f32 v74, v74, v27
	ds_load_b128 v[8:11], v117 offset:128
	v_dual_add_f32 v32, v120, v32 :: v_dual_add_f32 v37, v118, v37
	v_dual_add_f32 v4, v101, v4 :: v_dual_add_f32 v5, v98, v5
	v_dual_add_f32 v88, v88, v152 :: v_dual_add_f32 v83, v83, v158
	v_dual_add_f32 v72, v72, v167 :: v_dual_add_f32 v73, v73, v168
	v_dual_add_f32 v71, v71, v169 :: v_dual_add_f32 v70, v70, v170
	v_dual_add_f32 v68, v68, v171 :: v_dual_add_f32 v69, v69, v172
	v_dual_add_f32 v43, v66, v43 :: v_dual_add_f32 v46, v67, v46
	v_dual_add_f32 v36, v124, v36 :: v_dual_add_f32 v41, v123, v41
	v_dual_add_f32 v60, v109, v134 :: v_dual_add_f32 v61, v110, v135
	v_dual_add_f32 v102, v102, v142 :: v_dual_add_f32 v97, v97, v144
	v_dual_add_f32 v101, v32, v35 :: v_dual_add_f32 v116, v17, v186
	v_dual_add_f32 v109, v16, v18 :: v_dual_add_f32 v118, v13, v177
	v_add_f32_e32 v110, v24, v175
	s_delay_alu instid0(VALU_DEP_4)
	v_dual_add_f32 v121, v4, v200 :: v_dual_add_f32 v102, v102, v183
	v_dual_add_f32 v88, v88, v197 :: v_dual_add_f32 v123, v1, v211
	;; [unrolled: 1-line block ×5, first 2 shown]
	s_waitcnt lgkmcnt(2)
	v_dual_add_f32 v124, v46, v19 :: v_dual_max_f32 v21, v21, v21
	ds_load_b128 v[1:4], v117 offset:256
	ds_load_b128 v[12:15], v117 offset:384
	;; [unrolled: 1-line block ×5, first 2 shown]
	v_dual_add_f32 v125, v43, v7 :: v_dual_max_f32 v20, v20, v20
	s_waitcnt lgkmcnt(6)
	v_dual_max_f32 v28, v28, v28 :: v_dual_max_f32 v29, v29, v29
	s_waitcnt lgkmcnt(5)
	v_dual_max_f32 v133, v8, v8 :: v_dual_add_f32 v98, v99, v143
	v_dual_add_f32 v93, v93, v148 :: v_dual_add_f32 v66, v40, v47
	v_add_f32_e32 v99, v41, v42
	v_dual_add_f32 v67, v36, v38 :: v_dual_add_f32 v106, v37, v39
	v_dual_min_f32 v132, v28, v20 :: v_dual_max_f32 v9, v9, v9
	v_min_f32_e32 v134, v29, v21
	v_min_f32_e32 v135, v133, v20
	s_waitcnt lgkmcnt(4)
	v_dual_max_f32 v1, v1, v1 :: v_dual_max_f32 v2, v2, v2
	v_dual_add_f32 v67, v67, v132 :: v_dual_min_f32 v132, v9, v21
	s_delay_alu instid0(VALU_DEP_3)
	v_dual_add_f32 v66, v66, v134 :: v_dual_add_f32 v99, v99, v135
	s_waitcnt lgkmcnt(3)
	v_max_f32_e32 v12, v12, v12
	ds_load_b128 v[36:39], v117 offset:768
	ds_load_b128 v[40:43], v117 offset:896
	v_dual_add_f32 v84, v84, v132 :: v_dual_max_f32 v13, v13, v13
	v_dual_min_f32 v132, v2, v21 :: v_dual_min_f32 v135, v12, v20
	v_min_f32_e32 v134, v1, v20
	s_waitcnt lgkmcnt(4)
	v_dual_max_f32 v16, v16, v16 :: v_dual_max_f32 v17, v17, v17
	s_delay_alu instid0(VALU_DEP_3) | instskip(SKIP_1) | instid1(VALU_DEP_3)
	v_add_f32_e32 v101, v101, v132
	v_add_f32_e32 v107, v107, v135
	v_dual_add_f32 v105, v105, v134 :: v_dual_min_f32 v132, v16, v20
	s_waitcnt lgkmcnt(3)
	v_dual_max_f32 v24, v24, v24 :: v_dual_max_f32 v25, v25, v25
	v_dual_add_f32 v119, v45, v187 :: v_dual_add_f32 v120, v44, v178
	s_delay_alu instid0(VALU_DEP_3) | instskip(NEXT) | instid1(VALU_DEP_3)
	v_add_f32_e32 v109, v109, v132
	v_dual_min_f32 v132, v24, v20 :: v_dual_min_f32 v135, v25, v21
	s_waitcnt lgkmcnt(1)
	v_max_f32_e32 v37, v37, v37
	v_min_f32_e32 v134, v13, v21
	v_max_f32_e32 v36, v36, v36
	v_add_f32_e32 v111, v111, v132
	s_waitcnt lgkmcnt(0)
	v_dual_max_f32 v40, v40, v40 :: v_dual_max_f32 v33, v33, v33
	v_add_f32_e32 v106, v106, v134
	v_min_f32_e32 v134, v17, v21
	v_max_f32_e32 v41, v41, v41
	v_dual_add_f32 v92, v92, v149 :: v_dual_add_f32 v87, v87, v154
	v_add_f32_e32 v122, v5, v192
	s_delay_alu instid0(VALU_DEP_4)
	v_add_f32_e32 v108, v108, v134
	v_min_f32_e32 v134, v36, v20
	ds_load_b128 v[5:8], v58 offset:1024
	ds_load_b128 v[44:47], v58 offset:1536
	v_dual_add_f32 v103, v103, v140 :: v_dual_add_f32 v104, v104, v141
	v_dual_add_f32 v63, v63, v189 :: v_dual_add_f32 v62, v62, v180
	v_min_f32_e32 v132, v37, v21
	v_dual_max_f32 v32, v32, v32 :: v_dual_min_f32 v21, v41, v21
	v_min_f32_e32 v20, v40, v20
	v_dual_add_f32 v104, v104, v191 :: v_dual_add_f32 v103, v103, v182
	v_dual_add_f32 v110, v110, v135 :: v_dual_add_f32 v113, v113, v134
	v_min_f32_e32 v134, v29, v33
	s_delay_alu instid0(VALU_DEP_4) | instskip(SKIP_2) | instid1(VALU_DEP_4)
	v_dual_add_f32 v21, v114, v21 :: v_dual_add_f32 v20, v115, v20
	v_min_f32_e32 v115, v133, v32
	v_dual_add_f32 v61, v61, v188 :: v_dual_add_f32 v60, v60, v179
	v_add_f32_e32 v114, v116, v134
	v_dual_add_f32 v96, v96, v145 :: v_dual_add_f32 v95, v95, v146
	s_delay_alu instid0(VALU_DEP_4) | instskip(SKIP_3) | instid1(VALU_DEP_3)
	v_dual_add_f32 v134, v120, v115 :: v_dual_min_f32 v115, v1, v32
	s_waitcnt lgkmcnt(1)
	v_dual_min_f32 v120, v12, v32 :: v_dual_max_f32 v5, v5, v5
	v_dual_add_f32 v94, v94, v147 :: v_dual_add_f32 v91, v91, v150
	v_add_f32_e32 v136, v60, v115
	s_delay_alu instid0(VALU_DEP_3) | instskip(SKIP_4) | instid1(VALU_DEP_4)
	v_add_f32_e32 v138, v62, v120
	v_min_f32_e32 v62, v24, v32
	v_dual_add_f32 v98, v98, v201 :: v_dual_add_f32 v95, v95, v194
	v_max_f32_e32 v23, v23, v23
	v_dual_add_f32 v94, v94, v203 :: v_dual_add_f32 v91, v91, v196
	v_dual_add_f32 v103, v103, v62 :: v_dual_min_f32 v62, v133, v5
	v_min_f32_e32 v116, v9, v33
	v_dual_add_f32 v65, v65, v190 :: v_dual_add_f32 v64, v64, v181
	v_dual_add_f32 v96, v96, v202 :: v_dual_add_f32 v97, v97, v193
	s_delay_alu instid0(VALU_DEP_4) | instskip(NEXT) | instid1(VALU_DEP_4)
	v_add_f32_e32 v95, v95, v62
	v_dual_add_f32 v135, v119, v116 :: v_dual_min_f32 v116, v13, v33
	v_max_f32_e32 v6, v6, v6
	v_dual_add_f32 v90, v90, v151 :: v_dual_add_f32 v89, v89, v153
	v_dual_add_f32 v86, v86, v155 :: v_dual_add_f32 v85, v85, v156
	s_delay_alu instid0(VALU_DEP_4) | instskip(SKIP_4) | instid1(VALU_DEP_3)
	v_add_f32_e32 v139, v63, v116
	v_add_f32_e32 v112, v112, v132
	v_dual_min_f32 v132, v28, v32 :: v_dual_min_f32 v63, v25, v33
	v_dual_add_f32 v82, v82, v157 :: v_dual_add_f32 v81, v81, v159
	v_dual_add_f32 v92, v92, v204 :: v_dual_add_f32 v93, v93, v195
	v_add_f32_e32 v132, v118, v132
	s_delay_alu instid0(VALU_DEP_4) | instskip(SKIP_4) | instid1(VALU_DEP_3)
	v_add_f32_e32 v104, v104, v63
	v_min_f32_e32 v63, v12, v5
	v_min_f32_e32 v118, v2, v33
	v_dual_add_f32 v90, v90, v205 :: v_dual_add_f32 v89, v89, v206
	v_dual_add_f32 v85, v85, v199 :: v_dual_add_f32 v82, v82, v208
	v_add_f32_e32 v137, v61, v118
	v_dual_min_f32 v61, v17, v33 :: v_dual_min_f32 v62, v2, v6
	v_add_f32_e32 v91, v91, v63
	s_waitcnt lgkmcnt(0)
	v_dual_min_f32 v63, v25, v6 :: v_dual_max_f32 v44, v44, v44
	s_delay_alu instid0(VALU_DEP_3) | instskip(SKIP_4) | instid1(VALU_DEP_4)
	v_add_f32_e32 v141, v65, v61
	v_min_f32_e32 v61, v37, v33
	v_dual_min_f32 v33, v41, v33 :: v_dual_min_f32 v60, v16, v32
	v_add_f32_e32 v87, v87, v198
	v_add_f32_e32 v92, v92, v62
	v_add_f32_e32 v142, v121, v61
	v_min_f32_e32 v61, v29, v6
	v_add_f32_e32 v33, v98, v33
	v_dual_min_f32 v62, v24, v5 :: v_dual_max_f32 v31, v31, v31
	v_dual_add_f32 v80, v80, v160 :: v_dual_add_f32 v79, v79, v162
	s_delay_alu instid0(VALU_DEP_4) | instskip(SKIP_3) | instid1(VALU_DEP_3)
	v_add_f32_e32 v96, v96, v61
	v_dual_min_f32 v61, v1, v5 :: v_dual_add_f32 v140, v64, v60
	v_min_f32_e32 v60, v36, v32
	v_dual_min_f32 v32, v40, v32 :: v_dual_add_f32 v87, v87, v62
	v_add_f32_e32 v93, v93, v61
	s_delay_alu instid0(VALU_DEP_3) | instskip(SKIP_1) | instid1(VALU_DEP_4)
	v_dual_min_f32 v61, v16, v5 :: v_dual_add_f32 v102, v102, v60
	v_dual_min_f32 v60, v28, v5 :: v_dual_min_f32 v1, v1, v44
	v_add_f32_e32 v32, v122, v32
	s_delay_alu instid0(VALU_DEP_3) | instskip(NEXT) | instid1(VALU_DEP_3)
	v_dual_add_f32 v88, v88, v61 :: v_dual_max_f32 v11, v11, v11
	v_add_f32_e32 v97, v97, v60
	v_dual_min_f32 v60, v9, v6 :: v_dual_min_f32 v61, v36, v5
	v_min_f32_e32 v5, v40, v5
	v_max_f32_e32 v45, v45, v45
	v_dual_add_f32 v80, v80, v213 :: v_dual_add_f32 v79, v79, v214
	s_delay_alu instid0(VALU_DEP_4) | instskip(NEXT) | instid1(VALU_DEP_4)
	v_add_f32_e32 v94, v94, v60
	v_dual_min_f32 v60, v13, v6 :: v_dual_add_f32 v5, v82, v5
	s_delay_alu instid0(VALU_DEP_4) | instskip(SKIP_1) | instid1(VALU_DEP_3)
	v_min_f32_e32 v29, v29, v45
	v_dual_min_f32 v13, v13, v45 :: v_dual_min_f32 v28, v28, v44
	v_dual_add_f32 v1, v77, v1 :: v_dual_add_f32 v90, v90, v60
	v_min_f32_e32 v9, v9, v45
	s_delay_alu instid0(VALU_DEP_4) | instskip(SKIP_2) | instid1(VALU_DEP_3)
	v_dual_min_f32 v60, v17, v6 :: v_dual_add_f32 v29, v80, v29
	v_dual_min_f32 v12, v12, v44 :: v_dual_min_f32 v25, v25, v45
	v_min_f32_e32 v16, v16, v44
	v_add_f32_e32 v89, v89, v60
	v_dual_min_f32 v60, v37, v6 :: v_dual_add_f32 v13, v74, v13
	v_dual_min_f32 v24, v24, v44 :: v_dual_max_f32 v19, v19, v19
	v_dual_min_f32 v40, v40, v44 :: v_dual_max_f32 v27, v27, v27
	s_delay_alu instid0(VALU_DEP_3)
	v_dual_add_f32 v143, v123, v60 :: v_dual_max_f32 v22, v22, v22
	v_max_f32_e32 v30, v30, v30
	v_min_f32_e32 v60, v133, v44
	v_dual_max_f32 v10, v10, v10 :: v_dual_max_f32 v39, v39, v39
	v_max_f32_e32 v14, v14, v14
	v_min_f32_e32 v36, v36, v44
	v_min_f32_e32 v44, v31, v23
	v_dual_min_f32 v2, v2, v45 :: v_dual_max_f32 v3, v3, v3
	v_max_f32_e32 v18, v18, v18
	v_add_f32_e32 v40, v125, v40
	s_delay_alu instid0(VALU_DEP_4) | instskip(SKIP_3) | instid1(VALU_DEP_3)
	v_add_f32_e32 v125, v66, v44
	v_dual_min_f32 v44, v10, v22 :: v_dual_max_f32 v43, v43, v43
	v_dual_add_f32 v86, v86, v207 :: v_dual_add_f32 v83, v83, v212
	v_dual_min_f32 v6, v41, v6 :: v_dual_add_f32 v25, v70, v25
	v_add_f32_e32 v123, v99, v44
	v_dual_min_f32 v44, v3, v22 :: v_dual_add_f32 v81, v81, v209
	v_add_f32_e32 v78, v78, v210
	s_delay_alu instid0(VALU_DEP_4) | instskip(SKIP_4) | instid1(VALU_DEP_4)
	v_dual_add_f32 v6, v83, v6 :: v_dual_min_f32 v17, v17, v45
	v_dual_add_f32 v12, v75, v12 :: v_dual_min_f32 v41, v41, v45
	v_dual_min_f32 v37, v37, v45 :: v_dual_max_f32 v4, v4, v4
	v_add_f32_e32 v121, v105, v44
	v_dual_min_f32 v45, v30, v22 :: v_dual_add_f32 v28, v81, v28
	v_dual_add_f32 v41, v124, v41 :: v_dual_add_f32 v24, v71, v24
	v_dual_add_f32 v78, v78, v60 :: v_dual_add_f32 v17, v73, v17
	s_delay_alu instid0(VALU_DEP_3) | instskip(SKIP_3) | instid1(VALU_DEP_4)
	v_dual_add_f32 v124, v67, v45 :: v_dual_min_f32 v45, v4, v23
	v_dual_add_f32 v16, v72, v16 :: v_dual_max_f32 v15, v15, v15
	v_min_f32_e32 v60, v11, v23
	v_dual_max_f32 v34, v34, v34 :: v_dual_max_f32 v7, v7, v7
	v_dual_add_f32 v120, v101, v45 :: v_dual_min_f32 v45, v14, v22
	v_add_f32_e32 v36, v68, v36
	s_delay_alu instid0(VALU_DEP_4) | instskip(SKIP_4) | instid1(VALU_DEP_4)
	v_dual_add_f32 v122, v84, v60 :: v_dual_max_f32 v35, v35, v35
	v_min_f32_e32 v60, v15, v23
	v_min_f32_e32 v44, v19, v23
	v_add_f32_e32 v119, v107, v45
	v_min_f32_e32 v45, v18, v22
	v_dual_add_f32 v85, v85, v61 :: v_dual_add_f32 v118, v106, v60
	s_delay_alu instid0(VALU_DEP_4) | instskip(NEXT) | instid1(VALU_DEP_3)
	v_add_f32_e32 v60, v108, v44
	v_dual_min_f32 v44, v27, v23 :: v_dual_add_f32 v61, v109, v45
	v_min_f32_e32 v45, v39, v23
	v_min_f32_e32 v23, v43, v23
	v_dual_add_f32 v86, v86, v63 :: v_dual_add_f32 v9, v79, v9
	v_max_f32_e32 v8, v8, v8
	s_delay_alu instid0(VALU_DEP_3) | instskip(SKIP_4) | instid1(VALU_DEP_3)
	v_dual_add_f32 v64, v112, v45 :: v_dual_add_f32 v115, v21, v23
	v_dual_min_f32 v21, v11, v35 :: v_dual_max_f32 v26, v26, v26
	v_dual_min_f32 v23, v15, v35 :: v_dual_max_f32 v38, v38, v38
	v_min_f32_e32 v45, v30, v34
	v_dual_add_f32 v2, v76, v2 :: v_dual_add_f32 v37, v69, v37
	v_dual_min_f32 v62, v26, v22 :: v_dual_add_f32 v107, v139, v23
	v_add_co_u32 v52, s2, v52, 32
	s_delay_alu instid0(VALU_DEP_1) | instskip(NEXT) | instid1(VALU_DEP_3)
	v_add_co_ci_u32_e64 v53, s2, 0, v53, s2
	v_add_f32_e32 v62, v111, v62
	v_add_f32_e32 v111, v135, v21
	v_min_f32_e32 v21, v4, v35
	v_min_f32_e32 v23, v26, v34
	v_add_f32_e32 v63, v110, v44
	v_min_f32_e32 v44, v38, v22
	v_max_f32_e32 v42, v42, v42
	v_dual_add_f32 v110, v137, v21 :: v_dual_min_f32 v21, v19, v35
	v_add_f32_e32 v103, v103, v23
	s_delay_alu instid0(VALU_DEP_3) | instskip(SKIP_1) | instid1(VALU_DEP_4)
	v_dual_add_f32 v65, v113, v44 :: v_dual_min_f32 v22, v42, v22
	v_min_f32_e32 v23, v30, v7
	v_add_f32_e32 v105, v141, v21
	v_min_f32_e32 v21, v39, v35
	v_dual_min_f32 v44, v31, v35 :: v_dual_add_f32 v113, v132, v45
	s_delay_alu instid0(VALU_DEP_4) | instskip(SKIP_1) | instid1(VALU_DEP_4)
	v_add_f32_e32 v97, v97, v23
	v_min_f32_e32 v23, v15, v8
	v_add_f32_e32 v101, v142, v21
	v_dual_min_f32 v21, v43, v35 :: v_dual_add_f32 v116, v20, v22
	v_min_f32_e32 v20, v10, v34
	v_add_f32_e32 v114, v114, v44
	s_delay_alu instid0(VALU_DEP_3) | instskip(SKIP_1) | instid1(VALU_DEP_4)
	v_dual_min_f32 v22, v3, v34 :: v_dual_add_f32 v99, v33, v21
	v_min_f32_e32 v21, v11, v8
	v_add_f32_e32 v112, v134, v20
	v_min_f32_e32 v20, v14, v34
	v_add_f32_e32 v90, v90, v23
	v_min_f32_e32 v23, v26, v7
	v_dual_add_f32 v94, v94, v21 :: v_dual_min_f32 v21, v3, v7
	s_delay_alu instid0(VALU_DEP_4) | instskip(NEXT) | instid1(VALU_DEP_3)
	v_add_f32_e32 v108, v138, v20
	v_dual_min_f32 v20, v18, v34 :: v_dual_add_f32 v87, v87, v23
	v_add_f32_e32 v109, v136, v22
	s_delay_alu instid0(VALU_DEP_4) | instskip(SKIP_1) | instid1(VALU_DEP_4)
	v_add_f32_e32 v93, v93, v21
	v_min_f32_e32 v21, v19, v8
	v_add_f32_e32 v106, v140, v20
	v_min_f32_e32 v20, v38, v34
	v_min_f32_e32 v22, v27, v35
	s_add_i32 s26, s26, 8
	v_add_f32_e32 v89, v89, v21
	v_min_f32_e32 v21, v39, v8
	v_add_f32_e32 v102, v102, v20
	v_min_f32_e32 v20, v31, v8
	s_cmp_ge_i32 s26, s14
	ds_store_b32 v126, v130
	ds_store_2addr_stride64_b32 v127, v131, v0 offset1:4
	v_dual_add_f32 v84, v143, v21 :: v_dual_max_f32 v21, v46, v46
	v_add_f32_e32 v96, v96, v20
	v_min_f32_e32 v20, v10, v7
	s_waitcnt lgkmcnt(0)
	s_barrier
	v_min_f32_e32 v3, v3, v21
	buffer_gl0_inv
	v_dual_add_f32 v95, v95, v20 :: v_dual_min_f32 v20, v14, v7
	v_dual_add_f32 v104, v104, v22 :: v_dual_add_f32 v77, v1, v3
	v_min_f32_e32 v1, v14, v21
	s_delay_alu instid0(VALU_DEP_3) | instskip(NEXT) | instid1(VALU_DEP_2)
	v_add_f32_e32 v91, v91, v20
	v_dual_min_f32 v20, v27, v8 :: v_dual_add_f32 v75, v12, v1
	v_min_f32_e32 v1, v26, v21
	s_delay_alu instid0(VALU_DEP_2) | instskip(SKIP_1) | instid1(VALU_DEP_3)
	v_add_f32_e32 v86, v86, v20
	v_min_f32_e32 v20, v38, v7
	v_dual_min_f32 v22, v42, v34 :: v_dual_add_f32 v71, v24, v1
	s_delay_alu instid0(VALU_DEP_1) | instskip(SKIP_2) | instid1(VALU_DEP_2)
	v_dual_add_f32 v85, v85, v20 :: v_dual_add_f32 v98, v32, v22
	v_min_f32_e32 v22, v4, v8
	v_min_f32_e32 v8, v43, v8
	v_add_f32_e32 v92, v92, v22
	v_min_f32_e32 v22, v18, v7
	v_min_f32_e32 v7, v42, v7
	s_delay_alu instid0(VALU_DEP_2) | instskip(SKIP_1) | instid1(VALU_DEP_3)
	v_dual_add_f32 v83, v6, v8 :: v_dual_add_f32 v88, v88, v22
	v_max_f32_e32 v22, v47, v47
	v_dual_add_f32 v82, v5, v7 :: v_dual_min_f32 v5, v30, v21
	s_delay_alu instid0(VALU_DEP_2) | instskip(SKIP_2) | instid1(VALU_DEP_4)
	v_dual_min_f32 v7, v10, v21 :: v_dual_min_f32 v4, v4, v22
	v_min_f32_e32 v23, v31, v22
	v_min_f32_e32 v3, v19, v22
	v_dual_min_f32 v6, v11, v22 :: v_dual_add_f32 v81, v28, v5
	s_delay_alu instid0(VALU_DEP_4) | instskip(SKIP_4) | instid1(VALU_DEP_4)
	v_add_f32_e32 v76, v2, v4
	v_min_f32_e32 v2, v15, v22
	v_min_f32_e32 v4, v18, v21
	v_dual_add_f32 v80, v29, v23 :: v_dual_min_f32 v5, v42, v21
	v_add_f32_e32 v73, v17, v3
	v_add_f32_e32 v74, v13, v2
	v_min_f32_e32 v2, v27, v22
	v_dual_add_f32 v72, v16, v4 :: v_dual_min_f32 v3, v38, v21
	v_min_f32_e32 v4, v43, v22
	v_add_f32_e32 v79, v9, v6
	s_delay_alu instid0(VALU_DEP_4) | instskip(SKIP_3) | instid1(VALU_DEP_3)
	v_add_f32_e32 v70, v25, v2
	v_min_f32_e32 v2, v39, v22
	v_add_f32_e32 v78, v78, v7
	v_dual_add_f32 v68, v36, v3 :: v_dual_add_f32 v67, v41, v4
	v_dual_add_f32 v66, v40, v5 :: v_dual_add_f32 v69, v37, v2
	s_cbranch_scc1 .LBB87_34
.LBB87_22:                              ; =>This Inner Loop Header: Depth=1
	v_dual_mov_b32 v131, 0 :: v_dual_add_nc_u32 v130, s26, v56
	s_delay_alu instid0(VALU_DEP_1) | instskip(NEXT) | instid1(VALU_DEP_1)
	v_add_nc_u32_e32 v0, 8, v130
	v_cmp_gt_i32_e64 s2, s18, v0
	s_delay_alu instid0(VALU_DEP_1) | instskip(NEXT) | instid1(SALU_CYCLE_1)
	s_and_b32 s2, s2, vcc_lo
	s_and_b32 s2, s24, s2
	s_delay_alu instid0(SALU_CYCLE_1)
	s_and_saveexec_b32 s3, s2
	s_cbranch_execz .LBB87_24
; %bb.23:                               ;   in Loop: Header=BB87_22 Depth=1
	v_add_co_u32 v1, s2, -16, v52
	s_delay_alu instid0(VALU_DEP_1)
	v_add_co_ci_u32_e64 v2, s2, -1, v53, s2
	flat_load_b32 v1, v[1:2]
	s_waitcnt vmcnt(0) lgkmcnt(0)
	v_mul_f32_e32 v131, s15, v1
.LBB87_24:                              ;   in Loop: Header=BB87_22 Depth=1
	s_or_b32 exec_lo, exec_lo, s3
	v_min_i32_e32 v1, s8, v0
	v_cmp_le_i32_e64 s2, s18, v0
	v_dual_mov_b32 v132, 0 :: v_dual_mov_b32 v133, 0
	s_delay_alu instid0(VALU_DEP_3) | instskip(NEXT) | instid1(VALU_DEP_1)
	v_ashrrev_i32_e32 v2, 31, v1
	v_lshlrev_b64 v[1:2], 2, v[1:2]
	s_delay_alu instid0(VALU_DEP_1) | instskip(NEXT) | instid1(VALU_DEP_1)
	v_add_co_u32 v0, s3, s20, v1
	v_add_co_ci_u32_e64 v1, s3, s21, v2, s3
	s_or_b32 s3, s19, s2
	s_delay_alu instid0(SALU_CYCLE_1) | instskip(NEXT) | instid1(SALU_CYCLE_1)
	s_xor_b32 s3, s3, -1
	s_and_saveexec_b32 s22, s3
	s_cbranch_execz .LBB87_26
; %bb.25:                               ;   in Loop: Header=BB87_22 Depth=1
	v_add_co_u32 v2, s3, v0, v48
	s_delay_alu instid0(VALU_DEP_1)
	v_add_co_ci_u32_e64 v3, s3, v1, v49, s3
	flat_load_b32 v2, v[2:3]
	s_waitcnt vmcnt(0) lgkmcnt(0)
	v_mul_f32_e32 v133, s15, v2
.LBB87_26:                              ;   in Loop: Header=BB87_22 Depth=1
	s_or_b32 exec_lo, exec_lo, s22
	s_or_b32 s2, s25, s2
	s_delay_alu instid0(SALU_CYCLE_1) | instskip(NEXT) | instid1(SALU_CYCLE_1)
	s_xor_b32 s2, s2, -1
	s_and_saveexec_b32 s3, s2
	s_cbranch_execz .LBB87_28
; %bb.27:                               ;   in Loop: Header=BB87_22 Depth=1
	v_add_co_u32 v0, s2, v0, v50
	s_delay_alu instid0(VALU_DEP_1)
	v_add_co_ci_u32_e64 v1, s2, v1, v51, s2
	flat_load_b32 v0, v[0:1]
	s_waitcnt vmcnt(0) lgkmcnt(0)
	v_mul_f32_e32 v132, s15, v0
.LBB87_28:                              ;   in Loop: Header=BB87_22 Depth=1
	s_or_b32 exec_lo, exec_lo, s3
	ds_load_b128 v[40:43], v128
	ds_load_b128 v[36:39], v128 offset:128
	ds_load_b128 v[32:35], v128 offset:256
	;; [unrolled: 1-line block ×7, first 2 shown]
	ds_load_b128 v[44:47], v129
	ds_load_b128 v[8:11], v129 offset:512
	ds_load_b128 v[4:7], v129 offset:1024
	;; [unrolled: 1-line block ×3, first 2 shown]
	v_add_nc_u32_e32 v134, 12, v130
	ds_store_b32 v100, v131
	v_dual_mov_b32 v131, 0 :: v_dual_mov_b32 v130, 0
	ds_store_2addr_stride64_b32 v59, v133, v132 offset1:4
	v_cmp_gt_i32_e64 s2, s18, v134
	s_waitcnt lgkmcnt(0)
	s_barrier
	buffer_gl0_inv
	s_and_b32 s2, s2, vcc_lo
	s_delay_alu instid0(SALU_CYCLE_1) | instskip(NEXT) | instid1(SALU_CYCLE_1)
	s_and_b32 s3, s24, s2
	s_and_saveexec_b32 s2, s3
	s_cbranch_execz .LBB87_30
; %bb.29:                               ;   in Loop: Header=BB87_22 Depth=1
	flat_load_b32 v130, v[52:53]
	s_waitcnt vmcnt(0) lgkmcnt(0)
	v_mul_f32_e32 v130, s15, v130
.LBB87_30:                              ;   in Loop: Header=BB87_22 Depth=1
	s_or_b32 exec_lo, exec_lo, s2
	v_min_i32_e32 v132, s8, v134
	v_cmp_le_i32_e64 s2, s18, v134
	s_delay_alu instid0(VALU_DEP_2) | instskip(NEXT) | instid1(VALU_DEP_1)
	v_ashrrev_i32_e32 v133, 31, v132
	v_lshlrev_b64 v[132:133], 2, v[132:133]
	s_delay_alu instid0(VALU_DEP_1) | instskip(NEXT) | instid1(VALU_DEP_1)
	v_add_co_u32 v132, s3, s20, v132
	v_add_co_ci_u32_e64 v133, s3, s21, v133, s3
	s_or_b32 s3, s19, s2
	s_delay_alu instid0(SALU_CYCLE_1) | instskip(NEXT) | instid1(SALU_CYCLE_1)
	s_xor_b32 s3, s3, -1
	s_and_saveexec_b32 s22, s3
	s_cbranch_execz .LBB87_32
; %bb.31:                               ;   in Loop: Header=BB87_22 Depth=1
	v_add_co_u32 v134, s3, v132, v48
	s_delay_alu instid0(VALU_DEP_1)
	v_add_co_ci_u32_e64 v135, s3, v133, v49, s3
	flat_load_b32 v131, v[134:135]
	s_waitcnt vmcnt(0) lgkmcnt(0)
	v_mul_f32_e32 v131, s15, v131
.LBB87_32:                              ;   in Loop: Header=BB87_22 Depth=1
	s_or_b32 exec_lo, exec_lo, s22
	v_dual_max_f32 v44, v44, v44 :: v_dual_max_f32 v45, v45, v45
	v_dual_max_f32 v169, v20, v20 :: v_dual_max_f32 v170, v21, v21
	v_max_f32_e32 v171, v16, v16
	v_dual_max_f32 v159, v40, v40 :: v_dual_max_f32 v160, v41, v41
	v_dual_max_f32 v161, v36, v36 :: v_dual_max_f32 v162, v37, v37
	;; [unrolled: 1-line block ×5, first 2 shown]
	v_dual_min_f32 v24, v170, v45 :: v_dual_min_f32 v25, v171, v44
	v_dual_max_f32 v172, v17, v17 :: v_dual_max_f32 v173, v12, v12
	v_dual_max_f32 v174, v13, v13 :: v_dual_max_f32 v143, v8, v8
	;; [unrolled: 1-line block ×3, first 2 shown]
	v_max_f32_e32 v158, v5, v5
	v_dual_max_f32 v0, v0, v0 :: v_dual_max_f32 v175, v1, v1
	v_dual_max_f32 v176, v46, v46 :: v_dual_max_f32 v177, v47, v47
	;; [unrolled: 1-line block ×3, first 2 shown]
	v_dual_min_f32 v36, v159, v44 :: v_dual_min_f32 v37, v166, v45
	v_dual_min_f32 v40, v160, v45 :: v_dual_min_f32 v41, v161, v44
	;; [unrolled: 1-line block ×30, first 2 shown]
	v_dual_max_f32 v209, v42, v42 :: v_dual_max_f32 v210, v43, v43
	v_dual_max_f32 v214, v38, v38 :: v_dual_min_f32 v43, v173, v0
	v_dual_max_f32 v0, v39, v39 :: v_dual_max_f32 v173, v34, v34
	v_dual_min_f32 v31, v216, v176 :: v_dual_max_f32 v218, v26, v26
	v_dual_min_f32 v39, v217, v177 :: v_dual_max_f32 v220, v22, v22
	s_delay_alu instid0(VALU_DEP_4) | instskip(NEXT) | instid1(VALU_DEP_4)
	v_dual_min_f32 v42, v214, v176 :: v_dual_max_f32 v215, v35, v35
	v_dual_min_f32 v34, v0, v177 :: v_dual_max_f32 v219, v27, v27
	;; [unrolled: 1-line block ×3, first 2 shown]
	v_max_f32_e32 v222, v18, v18
	v_dual_min_f32 v18, v218, v176 :: v_dual_max_f32 v19, v19, v19
	v_dual_min_f32 v22, v220, v176 :: v_dual_max_f32 v223, v14, v14
	v_dual_max_f32 v10, v10, v10 :: v_dual_max_f32 v11, v11, v11
	v_max_f32_e32 v224, v15, v15
	v_dual_min_f32 v46, v174, v175 :: v_dual_min_f32 v35, v215, v177
	v_dual_min_f32 v38, v209, v176 :: v_dual_min_f32 v47, v210, v177
	v_min_f32_e32 v175, v221, v177
	v_dual_min_f32 v174, v219, v177 :: v_dual_min_f32 v23, v222, v176
	v_dual_min_f32 v184, v19, v177 :: v_dual_min_f32 v187, v0, v11
	;; [unrolled: 1-line block ×3, first 2 shown]
	v_min_f32_e32 v177, v209, v10
	v_dual_min_f32 v182, v220, v10 :: v_dual_max_f32 v7, v7, v7
	v_dual_max_f32 v6, v6, v6 :: v_dual_min_f32 v201, v224, v11
	v_dual_max_f32 v225, v2, v2 :: v_dual_max_f32 v226, v3, v3
	v_dual_min_f32 v186, v210, v11 :: v_dual_min_f32 v179, v173, v10
	v_dual_min_f32 v178, v214, v10 :: v_dual_min_f32 v189, v217, v11
	;; [unrolled: 1-line block ×22, first 2 shown]
	v_mov_b32_e32 v0, 0
	s_or_b32 s2, s25, s2
	s_delay_alu instid0(SALU_CYCLE_1) | instskip(NEXT) | instid1(SALU_CYCLE_1)
	s_xor_b32 s2, s2, -1
	s_and_saveexec_b32 s3, s2
	s_cbranch_execz .LBB87_21
; %bb.33:                               ;   in Loop: Header=BB87_22 Depth=1
	v_add_co_u32 v132, s2, v132, v50
	s_delay_alu instid0(VALU_DEP_1)
	v_add_co_ci_u32_e64 v133, s2, v133, v51, s2
	flat_load_b32 v0, v[132:133]
	s_waitcnt vmcnt(0) lgkmcnt(0)
	v_mul_f32_e32 v0, s15, v0
	s_branch .LBB87_21
.LBB87_34:
	s_clause 0x2
	s_load_b64 s[2:3], s[0:1], 0x78
	s_load_b32 s15, s[0:1], 0x58
	s_load_b32 s14, s[0:1], 0x70
	v_add_nc_u32_e32 v117, s5, v55
	ds_load_b128 v[32:35], v57 offset:5120
	ds_load_b128 v[28:31], v57 offset:5248
	;; [unrolled: 1-line block ×12, first 2 shown]
	v_add_nc_u32_e32 v48, s4, v54
	v_cndmask_b32_e64 v100, 0, 1, s9
	v_cmp_gt_i32_e64 s8, s17, v117
	s_waitcnt lgkmcnt(0)
	s_mul_i32 s1, s12, s3
	v_mad_i64_i32 v[49:50], null, v117, s15, 0
	v_mad_i64_i32 v[51:52], null, v117, s14, 0
	s_mul_hi_u32 s3, s12, s2
	s_mul_i32 s0, s12, s2
	s_add_i32 s1, s3, s1
	s_delay_alu instid0(SALU_CYCLE_1) | instskip(NEXT) | instid1(VALU_DEP_2)
	s_lshl_b64 s[0:1], s[0:1], 2
	v_lshlrev_b64 v[49:50], 2, v[49:50]
	s_delay_alu instid0(VALU_DEP_2) | instskip(SKIP_3) | instid1(VALU_DEP_3)
	v_lshlrev_b64 v[51:52], 2, v[51:52]
	s_add_u32 s12, s6, s0
	s_addc_u32 s18, s7, s1
	v_cmp_gt_i32_e64 s0, s16, v48
	v_add_co_u32 v128, vcc_lo, s10, v49
	v_add_co_ci_u32_e32 v129, vcc_lo, s11, v50, vcc_lo
	v_add_co_u32 v126, vcc_lo, s12, v51
	v_add_co_ci_u32_e32 v127, vcc_lo, s18, v52, vcc_lo
	v_ashrrev_i32_e32 v49, 31, v48
	s_and_b32 s2, s0, s8
	s_delay_alu instid0(SALU_CYCLE_1)
	s_and_saveexec_b32 s1, s2
	s_cbranch_execz .LBB87_39
; %bb.35:
	s_delay_alu instid0(VALU_DEP_1)
	v_lshlrev_b64 v[50:51], 2, v[48:49]
	s_and_not1_b32 vcc_lo, exec_lo, s9
	s_cbranch_vccnz .LBB87_37
; %bb.36:
	s_delay_alu instid0(VALU_DEP_1) | instskip(NEXT) | instid1(VALU_DEP_2)
	v_add_co_u32 v52, vcc_lo, v128, v50
	v_add_co_ci_u32_e32 v53, vcc_lo, v129, v51, vcc_lo
	flat_load_b32 v52, v[52:53]
	s_waitcnt vmcnt(0) lgkmcnt(0)
	v_mul_f32_e32 v52, s13, v52
	s_branch .LBB87_38
.LBB87_37:
	v_mov_b32_e32 v52, 0
.LBB87_38:
	v_dual_max_f32 v53, v45, v45 :: v_dual_max_f32 v56, v32, v32
	v_dual_max_f32 v54, v33, v33 :: v_dual_max_f32 v55, v44, v44
	;; [unrolled: 1-line block ×3, first 2 shown]
	v_max_f32_e32 v59, v35, v35
	s_delay_alu instid0(VALU_DEP_3) | instskip(NEXT) | instid1(VALU_DEP_4)
	v_min_f32_e32 v53, v54, v53
	v_dual_max_f32 v54, v34, v34 :: v_dual_min_f32 v55, v56, v55
	v_add_co_u32 v50, vcc_lo, v126, v50
	v_add_co_ci_u32_e32 v51, vcc_lo, v127, v51, vcc_lo
	s_delay_alu instid0(VALU_DEP_3) | instskip(NEXT) | instid1(VALU_DEP_4)
	v_min_f32_e32 v54, v54, v57
	v_dual_min_f32 v56, v59, v58 :: v_dual_add_f32 v55, v124, v55
	s_delay_alu instid0(VALU_DEP_1) | instskip(NEXT) | instid1(VALU_DEP_1)
	v_dual_add_f32 v53, v125, v53 :: v_dual_add_f32 v54, v55, v54
	v_add_f32_e32 v53, v53, v56
	s_delay_alu instid0(VALU_DEP_1) | instskip(NEXT) | instid1(VALU_DEP_1)
	v_add_f32_e32 v53, v54, v53
	v_add_f32_e32 v52, v53, v52
	global_store_b32 v[50:51], v52, off
.LBB87_39:
	s_or_b32 exec_lo, exec_lo, s1
	v_add_nc_u32_e32 v50, 8, v48
	s_delay_alu instid0(VALU_DEP_1) | instskip(SKIP_1) | instid1(VALU_DEP_2)
	v_cmp_gt_i32_e64 s1, s16, v50
	v_ashrrev_i32_e32 v51, 31, v50
	s_and_b32 s3, s1, s8
	s_delay_alu instid0(SALU_CYCLE_1)
	s_and_saveexec_b32 s2, s3
	s_cbranch_execz .LBB87_44
; %bb.40:
	v_cmp_ne_u32_e32 vcc_lo, 1, v100
	v_lshlrev_b64 v[52:53], 2, v[50:51]
	s_cbranch_vccnz .LBB87_42
; %bb.41:
	s_delay_alu instid0(VALU_DEP_1) | instskip(NEXT) | instid1(VALU_DEP_2)
	v_add_co_u32 v54, vcc_lo, v128, v52
	v_add_co_ci_u32_e32 v55, vcc_lo, v129, v53, vcc_lo
	flat_load_b32 v54, v[54:55]
	s_waitcnt vmcnt(0) lgkmcnt(0)
	v_mul_f32_e32 v54, s13, v54
	s_branch .LBB87_43
.LBB87_42:
	v_mov_b32_e32 v54, 0
.LBB87_43:
	v_dual_max_f32 v55, v45, v45 :: v_dual_max_f32 v58, v28, v28
	v_dual_max_f32 v56, v29, v29 :: v_dual_max_f32 v57, v44, v44
	;; [unrolled: 1-line block ×3, first 2 shown]
	v_add_co_u32 v52, vcc_lo, v126, v52
	s_delay_alu instid0(VALU_DEP_3) | instskip(NEXT) | instid1(VALU_DEP_4)
	v_dual_min_f32 v55, v56, v55 :: v_dual_max_f32 v56, v30, v30
	v_min_f32_e32 v57, v58, v57
	v_add_co_ci_u32_e32 v53, vcc_lo, v127, v53, vcc_lo
	s_delay_alu instid0(VALU_DEP_2) | instskip(NEXT) | instid1(VALU_DEP_1)
	v_dual_min_f32 v56, v56, v59 :: v_dual_add_f32 v57, v123, v57
	v_dual_max_f32 v125, v31, v31 :: v_dual_add_f32 v56, v57, v56
	s_delay_alu instid0(VALU_DEP_1) | instskip(NEXT) | instid1(VALU_DEP_1)
	v_dual_add_f32 v55, v122, v55 :: v_dual_min_f32 v58, v125, v124
	v_add_f32_e32 v55, v55, v58
	s_delay_alu instid0(VALU_DEP_1) | instskip(NEXT) | instid1(VALU_DEP_1)
	v_add_f32_e32 v55, v56, v55
	v_add_f32_e32 v54, v55, v54
	global_store_b32 v[52:53], v54, off
.LBB87_44:
	s_or_b32 exec_lo, exec_lo, s2
	v_add_nc_u32_e32 v52, 16, v48
	s_delay_alu instid0(VALU_DEP_1) | instskip(SKIP_1) | instid1(VALU_DEP_2)
	v_cmp_gt_i32_e64 s2, s16, v52
	v_ashrrev_i32_e32 v53, 31, v52
	s_and_b32 s4, s2, s8
	s_delay_alu instid0(SALU_CYCLE_1)
	s_and_saveexec_b32 s3, s4
	s_cbranch_execz .LBB87_49
; %bb.45:
	v_cmp_ne_u32_e32 vcc_lo, 1, v100
	v_lshlrev_b64 v[54:55], 2, v[52:53]
	s_cbranch_vccnz .LBB87_47
; %bb.46:
	s_delay_alu instid0(VALU_DEP_1) | instskip(NEXT) | instid1(VALU_DEP_2)
	v_add_co_u32 v56, vcc_lo, v128, v54
	v_add_co_ci_u32_e32 v57, vcc_lo, v129, v55, vcc_lo
	flat_load_b32 v56, v[56:57]
	s_waitcnt vmcnt(0) lgkmcnt(0)
	v_mul_f32_e32 v56, s13, v56
	s_branch .LBB87_48
.LBB87_47:
	v_mov_b32_e32 v56, 0
.LBB87_48:
	v_dual_max_f32 v57, v45, v45 :: v_dual_max_f32 v122, v24, v24
	v_dual_max_f32 v58, v25, v25 :: v_dual_max_f32 v59, v44, v44
	;; [unrolled: 1-line block ×3, first 2 shown]
	v_max_f32_e32 v125, v27, v27
	s_delay_alu instid0(VALU_DEP_3) | instskip(SKIP_3) | instid1(VALU_DEP_4)
	v_min_f32_e32 v57, v58, v57
	v_max_f32_e32 v58, v26, v26
	v_min_f32_e32 v59, v122, v59
	v_add_co_u32 v54, vcc_lo, v126, v54
	v_dual_add_f32 v57, v120, v57 :: v_dual_min_f32 v120, v125, v124
	s_delay_alu instid0(VALU_DEP_4) | instskip(NEXT) | instid1(VALU_DEP_4)
	v_min_f32_e32 v58, v58, v123
	v_add_f32_e32 v59, v121, v59
	v_add_co_ci_u32_e32 v55, vcc_lo, v127, v55, vcc_lo
	s_delay_alu instid0(VALU_DEP_2) | instskip(NEXT) | instid1(VALU_DEP_1)
	v_dual_add_f32 v57, v57, v120 :: v_dual_add_f32 v58, v59, v58
	v_add_f32_e32 v57, v58, v57
	s_delay_alu instid0(VALU_DEP_1)
	v_add_f32_e32 v56, v57, v56
	global_store_b32 v[54:55], v56, off
.LBB87_49:
	s_or_b32 exec_lo, exec_lo, s3
	v_add_nc_u32_e32 v54, 24, v48
	s_delay_alu instid0(VALU_DEP_1) | instskip(SKIP_1) | instid1(VALU_DEP_2)
	v_cmp_gt_i32_e64 s3, s16, v54
	v_ashrrev_i32_e32 v55, 31, v54
	s_and_b32 s5, s3, s8
	s_delay_alu instid0(SALU_CYCLE_1)
	s_and_saveexec_b32 s4, s5
	s_cbranch_execz .LBB87_54
; %bb.50:
	v_cmp_ne_u32_e32 vcc_lo, 1, v100
	v_lshlrev_b64 v[56:57], 2, v[54:55]
	s_cbranch_vccnz .LBB87_52
; %bb.51:
	s_delay_alu instid0(VALU_DEP_1) | instskip(NEXT) | instid1(VALU_DEP_2)
	v_add_co_u32 v58, vcc_lo, v128, v56
	v_add_co_ci_u32_e32 v59, vcc_lo, v129, v57, vcc_lo
	flat_load_b32 v58, v[58:59]
	s_waitcnt vmcnt(0) lgkmcnt(0)
	v_mul_f32_e32 v58, s13, v58
	s_branch .LBB87_53
.LBB87_52:
	v_mov_b32_e32 v58, 0
.LBB87_53:
	v_dual_max_f32 v59, v45, v45 :: v_dual_max_f32 v122, v20, v20
	v_dual_max_f32 v120, v21, v21 :: v_dual_max_f32 v121, v44, v44
	;; [unrolled: 1-line block ×3, first 2 shown]
	v_max_f32_e32 v125, v23, v23
	s_delay_alu instid0(VALU_DEP_3) | instskip(NEXT) | instid1(VALU_DEP_4)
	v_dual_min_f32 v59, v120, v59 :: v_dual_max_f32 v120, v22, v22
	v_min_f32_e32 v121, v122, v121
	v_add_co_u32 v56, vcc_lo, v126, v56
	s_delay_alu instid0(VALU_DEP_3) | instskip(NEXT) | instid1(VALU_DEP_4)
	v_add_f32_e32 v59, v118, v59
	v_min_f32_e32 v118, v120, v123
	s_delay_alu instid0(VALU_DEP_4) | instskip(SKIP_1) | instid1(VALU_DEP_2)
	v_dual_min_f32 v120, v125, v124 :: v_dual_add_f32 v119, v119, v121
	v_add_co_ci_u32_e32 v57, vcc_lo, v127, v57, vcc_lo
	v_add_f32_e32 v59, v59, v120
	s_delay_alu instid0(VALU_DEP_3) | instskip(NEXT) | instid1(VALU_DEP_1)
	v_add_f32_e32 v118, v119, v118
	v_add_f32_e32 v59, v118, v59
	s_delay_alu instid0(VALU_DEP_1)
	v_add_f32_e32 v58, v59, v58
	global_store_b32 v[56:57], v58, off
.LBB87_54:
	s_or_b32 exec_lo, exec_lo, s4
	v_add_nc_u32_e32 v56, 32, v48
	s_delay_alu instid0(VALU_DEP_1) | instskip(SKIP_1) | instid1(VALU_DEP_2)
	v_cmp_gt_i32_e64 s4, s16, v56
	v_ashrrev_i32_e32 v57, 31, v56
	s_and_b32 s6, s4, s8
	s_delay_alu instid0(SALU_CYCLE_1)
	s_and_saveexec_b32 s5, s6
	s_cbranch_execz .LBB87_59
; %bb.55:
	v_cmp_ne_u32_e32 vcc_lo, 1, v100
	v_lshlrev_b64 v[58:59], 2, v[56:57]
	s_cbranch_vccnz .LBB87_57
; %bb.56:
	s_delay_alu instid0(VALU_DEP_1) | instskip(NEXT) | instid1(VALU_DEP_2)
	v_add_co_u32 v118, vcc_lo, v128, v58
	v_add_co_ci_u32_e32 v119, vcc_lo, v129, v59, vcc_lo
	flat_load_b32 v118, v[118:119]
	s_waitcnt vmcnt(0) lgkmcnt(0)
	v_mul_f32_e32 v118, s13, v118
	s_branch .LBB87_58
.LBB87_57:
	v_mov_b32_e32 v118, 0
.LBB87_58:
	v_dual_max_f32 v119, v45, v45 :: v_dual_max_f32 v122, v16, v16
	v_dual_max_f32 v120, v17, v17 :: v_dual_max_f32 v121, v44, v44
	;; [unrolled: 1-line block ×3, first 2 shown]
	v_add_co_u32 v58, vcc_lo, v126, v58
	s_delay_alu instid0(VALU_DEP_3) | instskip(NEXT) | instid1(VALU_DEP_4)
	v_dual_min_f32 v119, v120, v119 :: v_dual_max_f32 v120, v18, v18
	v_min_f32_e32 v121, v122, v121
	v_add_co_ci_u32_e32 v59, vcc_lo, v127, v59, vcc_lo
	s_delay_alu instid0(VALU_DEP_3) | instskip(SKIP_3) | instid1(VALU_DEP_3)
	v_add_f32_e32 v60, v60, v119
	v_max_f32_e32 v125, v19, v19
	v_min_f32_e32 v119, v120, v123
	v_add_f32_e32 v61, v61, v121
	v_min_f32_e32 v120, v125, v124
	s_delay_alu instid0(VALU_DEP_1) | instskip(NEXT) | instid1(VALU_DEP_1)
	v_dual_add_f32 v61, v61, v119 :: v_dual_add_f32 v60, v60, v120
	v_add_f32_e32 v60, v61, v60
	s_delay_alu instid0(VALU_DEP_1)
	v_add_f32_e32 v60, v60, v118
	global_store_b32 v[58:59], v60, off
.LBB87_59:
	s_or_b32 exec_lo, exec_lo, s5
	v_add_nc_u32_e32 v58, 40, v48
	s_delay_alu instid0(VALU_DEP_1) | instskip(SKIP_1) | instid1(VALU_DEP_2)
	v_cmp_gt_i32_e64 s5, s16, v58
	v_ashrrev_i32_e32 v59, 31, v58
	s_and_b32 s7, s5, s8
	s_delay_alu instid0(SALU_CYCLE_1)
	s_and_saveexec_b32 s6, s7
	s_cbranch_execz .LBB87_64
; %bb.60:
	v_cmp_ne_u32_e32 vcc_lo, 1, v100
	v_lshlrev_b64 v[60:61], 2, v[58:59]
	s_cbranch_vccnz .LBB87_62
; %bb.61:
	s_delay_alu instid0(VALU_DEP_1) | instskip(NEXT) | instid1(VALU_DEP_2)
	v_add_co_u32 v118, vcc_lo, v128, v60
	v_add_co_ci_u32_e32 v119, vcc_lo, v129, v61, vcc_lo
	flat_load_b32 v118, v[118:119]
	s_waitcnt vmcnt(0) lgkmcnt(0)
	v_mul_f32_e32 v118, s13, v118
	s_branch .LBB87_63
.LBB87_62:
	v_mov_b32_e32 v118, 0
.LBB87_63:
	v_dual_max_f32 v119, v45, v45 :: v_dual_max_f32 v122, v12, v12
	v_dual_max_f32 v120, v13, v13 :: v_dual_max_f32 v121, v44, v44
	;; [unrolled: 1-line block ×3, first 2 shown]
	v_add_co_u32 v60, vcc_lo, v126, v60
	s_delay_alu instid0(VALU_DEP_3) | instskip(NEXT) | instid1(VALU_DEP_4)
	v_dual_min_f32 v119, v120, v119 :: v_dual_max_f32 v120, v14, v14
	v_min_f32_e32 v121, v122, v121
	v_max_f32_e32 v125, v15, v15
	v_add_co_ci_u32_e32 v61, vcc_lo, v127, v61, vcc_lo
	s_delay_alu instid0(VALU_DEP_4) | instskip(NEXT) | instid1(VALU_DEP_4)
	v_add_f32_e32 v63, v63, v119
	v_dual_min_f32 v119, v120, v123 :: v_dual_add_f32 v62, v62, v121
	s_delay_alu instid0(VALU_DEP_4) | instskip(NEXT) | instid1(VALU_DEP_1)
	v_min_f32_e32 v120, v125, v124
	v_dual_add_f32 v62, v62, v119 :: v_dual_add_f32 v63, v63, v120
	s_delay_alu instid0(VALU_DEP_1) | instskip(NEXT) | instid1(VALU_DEP_1)
	v_add_f32_e32 v62, v62, v63
	v_add_f32_e32 v62, v62, v118
	global_store_b32 v[60:61], v62, off
.LBB87_64:
	s_or_b32 exec_lo, exec_lo, s6
	v_add_nc_u32_e32 v60, 48, v48
	s_delay_alu instid0(VALU_DEP_1) | instskip(SKIP_1) | instid1(VALU_DEP_2)
	v_cmp_gt_i32_e64 s6, s16, v60
	v_ashrrev_i32_e32 v61, 31, v60
	s_and_b32 s9, s6, s8
	s_delay_alu instid0(SALU_CYCLE_1)
	s_and_saveexec_b32 s7, s9
	s_cbranch_execz .LBB87_69
; %bb.65:
	v_cmp_ne_u32_e32 vcc_lo, 1, v100
	v_lshlrev_b64 v[62:63], 2, v[60:61]
	s_cbranch_vccnz .LBB87_67
; %bb.66:
	s_delay_alu instid0(VALU_DEP_1) | instskip(NEXT) | instid1(VALU_DEP_2)
	v_add_co_u32 v118, vcc_lo, v128, v62
	v_add_co_ci_u32_e32 v119, vcc_lo, v129, v63, vcc_lo
	flat_load_b32 v118, v[118:119]
	s_waitcnt vmcnt(0) lgkmcnt(0)
	v_mul_f32_e32 v118, s13, v118
	s_branch .LBB87_68
.LBB87_67:
	v_mov_b32_e32 v118, 0
.LBB87_68:
	v_dual_max_f32 v119, v45, v45 :: v_dual_max_f32 v122, v8, v8
	v_dual_max_f32 v120, v9, v9 :: v_dual_max_f32 v121, v44, v44
	;; [unrolled: 1-line block ×3, first 2 shown]
	v_add_co_u32 v62, vcc_lo, v126, v62
	s_delay_alu instid0(VALU_DEP_3) | instskip(NEXT) | instid1(VALU_DEP_4)
	v_dual_min_f32 v119, v120, v119 :: v_dual_max_f32 v120, v10, v10
	v_min_f32_e32 v121, v122, v121
	v_add_co_ci_u32_e32 v63, vcc_lo, v127, v63, vcc_lo
	s_delay_alu instid0(VALU_DEP_3) | instskip(SKIP_3) | instid1(VALU_DEP_3)
	v_add_f32_e32 v64, v64, v119
	v_max_f32_e32 v125, v11, v11
	v_min_f32_e32 v119, v120, v123
	v_add_f32_e32 v65, v65, v121
	v_min_f32_e32 v120, v125, v124
	s_delay_alu instid0(VALU_DEP_1) | instskip(NEXT) | instid1(VALU_DEP_1)
	v_dual_add_f32 v65, v65, v119 :: v_dual_add_f32 v64, v64, v120
	v_add_f32_e32 v64, v65, v64
	s_delay_alu instid0(VALU_DEP_1)
	v_add_f32_e32 v64, v64, v118
	global_store_b32 v[62:63], v64, off
.LBB87_69:
	s_or_b32 exec_lo, exec_lo, s7
	v_add_nc_u32_e32 v62, 56, v48
	s_delay_alu instid0(VALU_DEP_1) | instskip(SKIP_1) | instid1(VALU_DEP_2)
	v_cmp_gt_i32_e64 s7, s16, v62
	v_ashrrev_i32_e32 v63, 31, v62
	s_and_b32 s9, s7, s8
	s_delay_alu instid0(SALU_CYCLE_1)
	s_and_saveexec_b32 s8, s9
	s_cbranch_execz .LBB87_74
; %bb.70:
	v_cmp_ne_u32_e32 vcc_lo, 1, v100
	v_lshlrev_b64 v[64:65], 2, v[62:63]
	s_cbranch_vccnz .LBB87_72
; %bb.71:
	s_delay_alu instid0(VALU_DEP_1) | instskip(NEXT) | instid1(VALU_DEP_2)
	v_add_co_u32 v118, vcc_lo, v128, v64
	v_add_co_ci_u32_e32 v119, vcc_lo, v129, v65, vcc_lo
	flat_load_b32 v118, v[118:119]
	s_waitcnt vmcnt(0) lgkmcnt(0)
	v_mul_f32_e32 v118, s13, v118
	s_branch .LBB87_73
.LBB87_72:
	v_mov_b32_e32 v118, 0
.LBB87_73:
	v_dual_max_f32 v45, v45, v45 :: v_dual_max_f32 v44, v44, v44
	v_dual_max_f32 v119, v1, v1 :: v_dual_max_f32 v120, v0, v0
	s_delay_alu instid0(VALU_DEP_1) | instskip(NEXT) | instid1(VALU_DEP_2)
	v_dual_max_f32 v46, v46, v46 :: v_dual_min_f32 v45, v119, v45
	v_dual_max_f32 v119, v2, v2 :: v_dual_min_f32 v44, v120, v44
	v_max_f32_e32 v47, v47, v47
	s_delay_alu instid0(VALU_DEP_2) | instskip(NEXT) | instid1(VALU_DEP_3)
	v_dual_add_f32 v45, v115, v45 :: v_dual_add_f32 v44, v116, v44
	v_min_f32_e32 v46, v119, v46
	s_delay_alu instid0(VALU_DEP_1) | instskip(NEXT) | instid1(VALU_DEP_1)
	v_dual_max_f32 v121, v3, v3 :: v_dual_add_f32 v44, v44, v46
	v_min_f32_e32 v47, v121, v47
	s_delay_alu instid0(VALU_DEP_1) | instskip(NEXT) | instid1(VALU_DEP_1)
	v_add_f32_e32 v45, v45, v47
	v_add_f32_e32 v44, v44, v45
	s_delay_alu instid0(VALU_DEP_1)
	v_add_f32_e32 v46, v44, v118
	v_add_co_u32 v44, vcc_lo, v126, v64
	v_add_co_ci_u32_e32 v45, vcc_lo, v127, v65, vcc_lo
	global_store_b32 v[44:45], v46, off
.LBB87_74:
	s_or_b32 exec_lo, exec_lo, s8
	v_add_nc_u32_e32 v64, 32, v117
	s_delay_alu instid0(VALU_DEP_1) | instskip(SKIP_2) | instid1(VALU_DEP_3)
	v_mad_i64_i32 v[44:45], null, v64, s15, 0
	v_mad_i64_i32 v[46:47], null, v64, s14, 0
	v_cmp_gt_i32_e64 s8, s17, v64
	v_lshlrev_b64 v[44:45], 2, v[44:45]
	s_delay_alu instid0(VALU_DEP_2) | instskip(NEXT) | instid1(VALU_DEP_3)
	s_and_b32 s16, s0, s8
	v_lshlrev_b64 v[46:47], 2, v[46:47]
	s_delay_alu instid0(VALU_DEP_2) | instskip(NEXT) | instid1(VALU_DEP_3)
	v_add_co_u32 v64, vcc_lo, s10, v44
	v_add_co_ci_u32_e32 v65, vcc_lo, s11, v45, vcc_lo
	s_delay_alu instid0(VALU_DEP_3) | instskip(NEXT) | instid1(VALU_DEP_4)
	v_add_co_u32 v46, vcc_lo, s12, v46
	v_add_co_ci_u32_e32 v47, vcc_lo, s18, v47, vcc_lo
	s_and_saveexec_b32 s9, s16
	s_cbranch_execnz .LBB87_82
; %bb.75:
	s_or_b32 exec_lo, exec_lo, s9
	s_and_b32 s16, s1, s8
	s_delay_alu instid0(SALU_CYCLE_1)
	s_and_saveexec_b32 s9, s16
	s_cbranch_execnz .LBB87_86
.LBB87_76:
	s_or_b32 exec_lo, exec_lo, s9
	s_and_b32 s16, s2, s8
	s_delay_alu instid0(SALU_CYCLE_1)
	s_and_saveexec_b32 s9, s16
	s_cbranch_execnz .LBB87_90
.LBB87_77:
	s_or_b32 exec_lo, exec_lo, s9
	s_and_b32 s16, s3, s8
	s_delay_alu instid0(SALU_CYCLE_1)
	s_and_saveexec_b32 s9, s16
	s_cbranch_execnz .LBB87_94
.LBB87_78:
	s_or_b32 exec_lo, exec_lo, s9
	s_and_b32 s16, s4, s8
	s_delay_alu instid0(SALU_CYCLE_1)
	s_and_saveexec_b32 s9, s16
	s_cbranch_execnz .LBB87_98
.LBB87_79:
	s_or_b32 exec_lo, exec_lo, s9
	s_and_b32 s16, s5, s8
	s_delay_alu instid0(SALU_CYCLE_1)
	s_and_saveexec_b32 s9, s16
	s_cbranch_execnz .LBB87_102
.LBB87_80:
	s_or_b32 exec_lo, exec_lo, s9
	s_and_b32 s16, s6, s8
	s_delay_alu instid0(SALU_CYCLE_1)
	s_and_saveexec_b32 s9, s16
	s_cbranch_execnz .LBB87_106
.LBB87_81:
	s_or_b32 exec_lo, exec_lo, s9
	s_and_b32 s9, s7, s8
	s_delay_alu instid0(SALU_CYCLE_1)
	s_and_saveexec_b32 s8, s9
	s_cbranch_execnz .LBB87_110
	s_branch .LBB87_114
.LBB87_82:
	v_cmp_ne_u32_e32 vcc_lo, 1, v100
	v_lshlrev_b64 v[44:45], 2, v[48:49]
	s_cbranch_vccnz .LBB87_84
; %bb.83:
	s_delay_alu instid0(VALU_DEP_1) | instskip(NEXT) | instid1(VALU_DEP_2)
	v_add_co_u32 v115, vcc_lo, v64, v44
	v_add_co_ci_u32_e32 v116, vcc_lo, v65, v45, vcc_lo
	flat_load_b32 v115, v[115:116]
	s_waitcnt vmcnt(0) lgkmcnt(0)
	v_mul_f32_e32 v115, s13, v115
	s_branch .LBB87_85
.LBB87_84:
	v_mov_b32_e32 v115, 0
.LBB87_85:
	v_dual_max_f32 v116, v41, v41 :: v_dual_max_f32 v119, v40, v40
	v_dual_max_f32 v118, v33, v33 :: v_dual_max_f32 v121, v42, v42
	;; [unrolled: 1-line block ×3, first 2 shown]
	v_add_co_u32 v44, vcc_lo, v46, v44
	s_delay_alu instid0(VALU_DEP_2) | instskip(SKIP_2) | instid1(VALU_DEP_3)
	v_dual_min_f32 v116, v118, v116 :: v_dual_min_f32 v119, v120, v119
	v_max_f32_e32 v118, v34, v34
	v_add_co_ci_u32_e32 v45, vcc_lo, v47, v45, vcc_lo
	v_dual_add_f32 v114, v114, v116 :: v_dual_add_f32 v113, v113, v119
	s_delay_alu instid0(VALU_DEP_3) | instskip(NEXT) | instid1(VALU_DEP_1)
	v_min_f32_e32 v116, v118, v121
	v_dual_max_f32 v122, v43, v43 :: v_dual_add_f32 v113, v113, v116
	s_delay_alu instid0(VALU_DEP_1) | instskip(NEXT) | instid1(VALU_DEP_1)
	v_min_f32_e32 v118, v123, v122
	v_add_f32_e32 v114, v114, v118
	s_delay_alu instid0(VALU_DEP_1) | instskip(NEXT) | instid1(VALU_DEP_1)
	v_add_f32_e32 v113, v113, v114
	v_add_f32_e32 v113, v113, v115
	global_store_b32 v[44:45], v113, off
	s_or_b32 exec_lo, exec_lo, s9
	s_and_b32 s16, s1, s8
	s_delay_alu instid0(SALU_CYCLE_1)
	s_and_saveexec_b32 s9, s16
	s_cbranch_execz .LBB87_76
.LBB87_86:
	v_cmp_ne_u32_e32 vcc_lo, 1, v100
	v_lshlrev_b64 v[44:45], 2, v[50:51]
	s_cbranch_vccnz .LBB87_88
; %bb.87:
	s_delay_alu instid0(VALU_DEP_1) | instskip(NEXT) | instid1(VALU_DEP_2)
	v_add_co_u32 v113, vcc_lo, v64, v44
	v_add_co_ci_u32_e32 v114, vcc_lo, v65, v45, vcc_lo
	flat_load_b32 v113, v[113:114]
	s_waitcnt vmcnt(0) lgkmcnt(0)
	v_mul_f32_e32 v113, s13, v113
	s_branch .LBB87_89
.LBB87_88:
	v_mov_b32_e32 v113, 0
.LBB87_89:
	v_dual_max_f32 v114, v41, v41 :: v_dual_max_f32 v119, v42, v42
	v_dual_max_f32 v115, v29, v29 :: v_dual_max_f32 v116, v40, v40
	v_max_f32_e32 v118, v28, v28
	v_max_f32_e32 v120, v43, v43
	;; [unrolled: 1-line block ×3, first 2 shown]
	s_delay_alu instid0(VALU_DEP_4) | instskip(SKIP_3) | instid1(VALU_DEP_4)
	v_min_f32_e32 v114, v115, v114
	v_max_f32_e32 v115, v30, v30
	v_min_f32_e32 v116, v118, v116
	v_add_co_u32 v44, vcc_lo, v46, v44
	v_add_f32_e32 v111, v111, v114
	s_delay_alu instid0(VALU_DEP_4) | instskip(NEXT) | instid1(VALU_DEP_4)
	v_min_f32_e32 v114, v115, v119
	v_add_f32_e32 v112, v112, v116
	v_min_f32_e32 v115, v121, v120
	v_add_co_ci_u32_e32 v45, vcc_lo, v47, v45, vcc_lo
	s_delay_alu instid0(VALU_DEP_2) | instskip(NEXT) | instid1(VALU_DEP_1)
	v_dual_add_f32 v112, v112, v114 :: v_dual_add_f32 v111, v111, v115
	v_add_f32_e32 v111, v112, v111
	s_delay_alu instid0(VALU_DEP_1) | instskip(SKIP_3) | instid1(SALU_CYCLE_1)
	v_add_f32_e32 v111, v111, v113
	global_store_b32 v[44:45], v111, off
	s_or_b32 exec_lo, exec_lo, s9
	s_and_b32 s16, s2, s8
	s_and_saveexec_b32 s9, s16
	s_cbranch_execz .LBB87_77
.LBB87_90:
	v_cmp_ne_u32_e32 vcc_lo, 1, v100
	v_lshlrev_b64 v[44:45], 2, v[52:53]
	s_cbranch_vccnz .LBB87_92
; %bb.91:
	s_delay_alu instid0(VALU_DEP_1) | instskip(NEXT) | instid1(VALU_DEP_2)
	v_add_co_u32 v111, vcc_lo, v64, v44
	v_add_co_ci_u32_e32 v112, vcc_lo, v65, v45, vcc_lo
	flat_load_b32 v111, v[111:112]
	s_waitcnt vmcnt(0) lgkmcnt(0)
	v_mul_f32_e32 v111, s13, v111
	s_branch .LBB87_93
.LBB87_92:
	v_mov_b32_e32 v111, 0
.LBB87_93:
	v_dual_max_f32 v112, v41, v41 :: v_dual_max_f32 v115, v24, v24
	v_dual_max_f32 v113, v25, v25 :: v_dual_max_f32 v114, v40, v40
	;; [unrolled: 1-line block ×3, first 2 shown]
	v_add_co_u32 v44, vcc_lo, v46, v44
	s_delay_alu instid0(VALU_DEP_3) | instskip(SKIP_1) | instid1(VALU_DEP_2)
	v_dual_min_f32 v112, v113, v112 :: v_dual_max_f32 v113, v26, v26
	v_add_co_ci_u32_e32 v45, vcc_lo, v47, v45, vcc_lo
	v_add_f32_e32 v110, v110, v112
	s_delay_alu instid0(VALU_DEP_3) | instskip(SKIP_1) | instid1(VALU_DEP_1)
	v_min_f32_e32 v112, v113, v116
	v_min_f32_e32 v114, v115, v114
	v_dual_max_f32 v118, v43, v43 :: v_dual_add_f32 v109, v109, v114
	s_delay_alu instid0(VALU_DEP_1) | instskip(NEXT) | instid1(VALU_DEP_1)
	v_min_f32_e32 v113, v119, v118
	v_dual_add_f32 v109, v109, v112 :: v_dual_add_f32 v110, v110, v113
	s_delay_alu instid0(VALU_DEP_1) | instskip(NEXT) | instid1(VALU_DEP_1)
	v_add_f32_e32 v109, v109, v110
	v_add_f32_e32 v109, v109, v111
	global_store_b32 v[44:45], v109, off
	s_or_b32 exec_lo, exec_lo, s9
	s_and_b32 s16, s3, s8
	s_delay_alu instid0(SALU_CYCLE_1)
	s_and_saveexec_b32 s9, s16
	s_cbranch_execz .LBB87_78
.LBB87_94:
	v_cmp_ne_u32_e32 vcc_lo, 1, v100
	v_lshlrev_b64 v[44:45], 2, v[54:55]
	s_cbranch_vccnz .LBB87_96
; %bb.95:
	s_delay_alu instid0(VALU_DEP_1) | instskip(NEXT) | instid1(VALU_DEP_2)
	v_add_co_u32 v109, vcc_lo, v64, v44
	v_add_co_ci_u32_e32 v110, vcc_lo, v65, v45, vcc_lo
	flat_load_b32 v109, v[109:110]
	s_waitcnt vmcnt(0) lgkmcnt(0)
	v_mul_f32_e32 v109, s13, v109
	s_branch .LBB87_97
.LBB87_96:
	v_mov_b32_e32 v109, 0
.LBB87_97:
	v_dual_max_f32 v110, v41, v41 :: v_dual_max_f32 v113, v20, v20
	v_dual_max_f32 v111, v21, v21 :: v_dual_max_f32 v112, v40, v40
	;; [unrolled: 1-line block ×3, first 2 shown]
	v_max_f32_e32 v116, v23, v23
	s_delay_alu instid0(VALU_DEP_3) | instskip(NEXT) | instid1(VALU_DEP_4)
	v_min_f32_e32 v110, v111, v110
	v_dual_max_f32 v111, v22, v22 :: v_dual_min_f32 v112, v113, v112
	v_add_co_u32 v44, vcc_lo, v46, v44
	s_delay_alu instid0(VALU_DEP_3) | instskip(NEXT) | instid1(VALU_DEP_3)
	v_add_f32_e32 v107, v107, v110
	v_dual_min_f32 v110, v111, v114 :: v_dual_min_f32 v111, v116, v115
	s_delay_alu instid0(VALU_DEP_4) | instskip(SKIP_1) | instid1(VALU_DEP_2)
	v_add_f32_e32 v108, v108, v112
	v_add_co_ci_u32_e32 v45, vcc_lo, v47, v45, vcc_lo
	v_dual_add_f32 v107, v107, v111 :: v_dual_add_f32 v108, v108, v110
	s_delay_alu instid0(VALU_DEP_1) | instskip(NEXT) | instid1(VALU_DEP_1)
	v_add_f32_e32 v107, v108, v107
	v_add_f32_e32 v107, v107, v109
	global_store_b32 v[44:45], v107, off
	s_or_b32 exec_lo, exec_lo, s9
	s_and_b32 s16, s4, s8
	s_delay_alu instid0(SALU_CYCLE_1)
	s_and_saveexec_b32 s9, s16
	s_cbranch_execz .LBB87_79
.LBB87_98:
	v_cmp_ne_u32_e32 vcc_lo, 1, v100
	v_lshlrev_b64 v[44:45], 2, v[56:57]
	s_cbranch_vccnz .LBB87_100
; %bb.99:
	s_delay_alu instid0(VALU_DEP_1) | instskip(NEXT) | instid1(VALU_DEP_2)
	v_add_co_u32 v107, vcc_lo, v64, v44
	v_add_co_ci_u32_e32 v108, vcc_lo, v65, v45, vcc_lo
	flat_load_b32 v107, v[107:108]
	s_waitcnt vmcnt(0) lgkmcnt(0)
	v_mul_f32_e32 v107, s13, v107
	s_branch .LBB87_101
.LBB87_100:
	v_mov_b32_e32 v107, 0
.LBB87_101:
	v_dual_max_f32 v108, v41, v41 :: v_dual_max_f32 v111, v16, v16
	v_dual_max_f32 v109, v17, v17 :: v_dual_max_f32 v110, v40, v40
	v_dual_max_f32 v112, v42, v42 :: v_dual_max_f32 v113, v43, v43
	v_add_co_u32 v44, vcc_lo, v46, v44
	s_delay_alu instid0(VALU_DEP_3) | instskip(SKIP_2) | instid1(VALU_DEP_3)
	v_dual_min_f32 v108, v109, v108 :: v_dual_max_f32 v109, v18, v18
	v_max_f32_e32 v114, v19, v19
	v_add_co_ci_u32_e32 v45, vcc_lo, v47, v45, vcc_lo
	v_dual_add_f32 v105, v105, v108 :: v_dual_min_f32 v110, v111, v110
	s_delay_alu instid0(VALU_DEP_3) | instskip(NEXT) | instid1(VALU_DEP_1)
	v_dual_min_f32 v108, v109, v112 :: v_dual_min_f32 v109, v114, v113
	v_dual_add_f32 v106, v106, v110 :: v_dual_add_f32 v105, v105, v109
	s_delay_alu instid0(VALU_DEP_1) | instskip(NEXT) | instid1(VALU_DEP_1)
	v_add_f32_e32 v106, v106, v108
	v_add_f32_e32 v105, v106, v105
	s_delay_alu instid0(VALU_DEP_1) | instskip(SKIP_3) | instid1(SALU_CYCLE_1)
	v_add_f32_e32 v105, v105, v107
	global_store_b32 v[44:45], v105, off
	s_or_b32 exec_lo, exec_lo, s9
	s_and_b32 s16, s5, s8
	s_and_saveexec_b32 s9, s16
	s_cbranch_execz .LBB87_80
.LBB87_102:
	v_cmp_ne_u32_e32 vcc_lo, 1, v100
	v_lshlrev_b64 v[44:45], 2, v[58:59]
	s_cbranch_vccnz .LBB87_104
; %bb.103:
	s_delay_alu instid0(VALU_DEP_1) | instskip(NEXT) | instid1(VALU_DEP_2)
	v_add_co_u32 v105, vcc_lo, v64, v44
	v_add_co_ci_u32_e32 v106, vcc_lo, v65, v45, vcc_lo
	flat_load_b32 v105, v[105:106]
	s_waitcnt vmcnt(0) lgkmcnt(0)
	v_mul_f32_e32 v105, s13, v105
	s_branch .LBB87_105
.LBB87_104:
	v_mov_b32_e32 v105, 0
.LBB87_105:
	v_dual_max_f32 v106, v41, v41 :: v_dual_max_f32 v109, v12, v12
	v_dual_max_f32 v107, v13, v13 :: v_dual_max_f32 v108, v40, v40
	;; [unrolled: 1-line block ×3, first 2 shown]
	v_max_f32_e32 v112, v15, v15
	s_delay_alu instid0(VALU_DEP_3) | instskip(NEXT) | instid1(VALU_DEP_4)
	v_min_f32_e32 v106, v107, v106
	v_dual_max_f32 v107, v14, v14 :: v_dual_min_f32 v108, v109, v108
	v_add_co_u32 v44, vcc_lo, v46, v44
	s_delay_alu instid0(VALU_DEP_3) | instskip(NEXT) | instid1(VALU_DEP_3)
	v_add_f32_e32 v104, v104, v106
	v_min_f32_e32 v106, v107, v110
	s_delay_alu instid0(VALU_DEP_4) | instskip(SKIP_2) | instid1(VALU_DEP_2)
	v_add_f32_e32 v103, v103, v108
	v_min_f32_e32 v107, v112, v111
	v_add_co_ci_u32_e32 v45, vcc_lo, v47, v45, vcc_lo
	v_dual_add_f32 v103, v103, v106 :: v_dual_add_f32 v104, v104, v107
	s_delay_alu instid0(VALU_DEP_1) | instskip(NEXT) | instid1(VALU_DEP_1)
	v_add_f32_e32 v103, v103, v104
	v_add_f32_e32 v103, v103, v105
	global_store_b32 v[44:45], v103, off
	s_or_b32 exec_lo, exec_lo, s9
	s_and_b32 s16, s6, s8
	s_delay_alu instid0(SALU_CYCLE_1)
	s_and_saveexec_b32 s9, s16
	s_cbranch_execz .LBB87_81
.LBB87_106:
	v_cmp_ne_u32_e32 vcc_lo, 1, v100
	v_lshlrev_b64 v[44:45], 2, v[60:61]
	s_cbranch_vccnz .LBB87_108
; %bb.107:
	s_delay_alu instid0(VALU_DEP_1) | instskip(NEXT) | instid1(VALU_DEP_2)
	v_add_co_u32 v103, vcc_lo, v64, v44
	v_add_co_ci_u32_e32 v104, vcc_lo, v65, v45, vcc_lo
	flat_load_b32 v103, v[103:104]
	s_waitcnt vmcnt(0) lgkmcnt(0)
	v_mul_f32_e32 v103, s13, v103
	s_branch .LBB87_109
.LBB87_108:
	v_mov_b32_e32 v103, 0
.LBB87_109:
	v_dual_max_f32 v104, v41, v41 :: v_dual_max_f32 v107, v8, v8
	v_dual_max_f32 v105, v9, v9 :: v_dual_max_f32 v106, v40, v40
	;; [unrolled: 1-line block ×3, first 2 shown]
	v_add_co_u32 v44, vcc_lo, v46, v44
	s_delay_alu instid0(VALU_DEP_3) | instskip(SKIP_2) | instid1(VALU_DEP_3)
	v_dual_min_f32 v104, v105, v104 :: v_dual_max_f32 v105, v10, v10
	v_max_f32_e32 v110, v11, v11
	v_add_co_ci_u32_e32 v45, vcc_lo, v47, v45, vcc_lo
	v_dual_add_f32 v101, v101, v104 :: v_dual_min_f32 v106, v107, v106
	s_delay_alu instid0(VALU_DEP_3) | instskip(NEXT) | instid1(VALU_DEP_1)
	v_dual_min_f32 v104, v105, v108 :: v_dual_min_f32 v105, v110, v109
	v_dual_add_f32 v102, v102, v106 :: v_dual_add_f32 v101, v101, v105
	s_delay_alu instid0(VALU_DEP_1) | instskip(NEXT) | instid1(VALU_DEP_1)
	v_add_f32_e32 v102, v102, v104
	v_add_f32_e32 v101, v102, v101
	s_delay_alu instid0(VALU_DEP_1) | instskip(SKIP_3) | instid1(SALU_CYCLE_1)
	v_add_f32_e32 v101, v101, v103
	global_store_b32 v[44:45], v101, off
	s_or_b32 exec_lo, exec_lo, s9
	s_and_b32 s9, s7, s8
	s_and_saveexec_b32 s8, s9
	s_cbranch_execz .LBB87_114
.LBB87_110:
	v_cmp_ne_u32_e32 vcc_lo, 1, v100
	v_lshlrev_b64 v[44:45], 2, v[62:63]
	s_cbranch_vccnz .LBB87_112
; %bb.111:
	s_delay_alu instid0(VALU_DEP_1) | instskip(NEXT) | instid1(VALU_DEP_2)
	v_add_co_u32 v64, vcc_lo, v64, v44
	v_add_co_ci_u32_e32 v65, vcc_lo, v65, v45, vcc_lo
	flat_load_b32 v64, v[64:65]
	s_waitcnt vmcnt(0) lgkmcnt(0)
	v_mul_f32_e32 v64, s13, v64
	s_branch .LBB87_113
.LBB87_112:
	v_mov_b32_e32 v64, 0
.LBB87_113:
	v_dual_max_f32 v41, v41, v41 :: v_dual_max_f32 v40, v40, v40
	v_dual_max_f32 v65, v1, v1 :: v_dual_max_f32 v42, v42, v42
	;; [unrolled: 1-line block ×3, first 2 shown]
	s_delay_alu instid0(VALU_DEP_1) | instskip(NEXT) | instid1(VALU_DEP_1)
	v_dual_max_f32 v43, v43, v43 :: v_dual_min_f32 v40, v101, v40
	v_dual_min_f32 v41, v65, v41 :: v_dual_add_f32 v40, v98, v40
	s_delay_alu instid0(VALU_DEP_1) | instskip(NEXT) | instid1(VALU_DEP_3)
	v_add_f32_e32 v41, v99, v41
	v_min_f32_e32 v43, v102, v43
	s_delay_alu instid0(VALU_DEP_1) | instskip(SKIP_1) | instid1(VALU_DEP_1)
	v_add_f32_e32 v41, v41, v43
	v_max_f32_e32 v65, v2, v2
	v_min_f32_e32 v42, v65, v42
	s_delay_alu instid0(VALU_DEP_1) | instskip(NEXT) | instid1(VALU_DEP_1)
	v_add_f32_e32 v40, v40, v42
	v_add_f32_e32 v40, v40, v41
	s_delay_alu instid0(VALU_DEP_1)
	v_add_f32_e32 v42, v40, v64
	v_add_co_u32 v40, vcc_lo, v46, v44
	v_add_co_ci_u32_e32 v41, vcc_lo, v47, v45, vcc_lo
	global_store_b32 v[40:41], v42, off
.LBB87_114:
	s_or_b32 exec_lo, exec_lo, s8
	v_add_nc_u32_e32 v44, 64, v117
	s_delay_alu instid0(VALU_DEP_1) | instskip(SKIP_2) | instid1(VALU_DEP_3)
	v_mad_i64_i32 v[40:41], null, v44, s15, 0
	v_mad_i64_i32 v[42:43], null, v44, s14, 0
	v_cmp_gt_i32_e64 s8, s17, v44
	v_lshlrev_b64 v[40:41], 2, v[40:41]
	s_delay_alu instid0(VALU_DEP_2) | instskip(NEXT) | instid1(VALU_DEP_3)
	s_and_b32 s16, s0, s8
	v_lshlrev_b64 v[42:43], 2, v[42:43]
	s_delay_alu instid0(VALU_DEP_2) | instskip(NEXT) | instid1(VALU_DEP_3)
	v_add_co_u32 v44, vcc_lo, s10, v40
	v_add_co_ci_u32_e32 v45, vcc_lo, s11, v41, vcc_lo
	s_delay_alu instid0(VALU_DEP_3) | instskip(NEXT) | instid1(VALU_DEP_4)
	v_add_co_u32 v42, vcc_lo, s12, v42
	v_add_co_ci_u32_e32 v43, vcc_lo, s18, v43, vcc_lo
	s_and_saveexec_b32 s9, s16
	s_cbranch_execnz .LBB87_122
; %bb.115:
	s_or_b32 exec_lo, exec_lo, s9
	s_and_b32 s16, s1, s8
	s_delay_alu instid0(SALU_CYCLE_1)
	s_and_saveexec_b32 s9, s16
	s_cbranch_execnz .LBB87_126
.LBB87_116:
	s_or_b32 exec_lo, exec_lo, s9
	s_and_b32 s16, s2, s8
	s_delay_alu instid0(SALU_CYCLE_1)
	s_and_saveexec_b32 s9, s16
	s_cbranch_execnz .LBB87_130
.LBB87_117:
	s_or_b32 exec_lo, exec_lo, s9
	s_and_b32 s16, s3, s8
	s_delay_alu instid0(SALU_CYCLE_1)
	s_and_saveexec_b32 s9, s16
	s_cbranch_execnz .LBB87_134
.LBB87_118:
	s_or_b32 exec_lo, exec_lo, s9
	s_and_b32 s16, s4, s8
	s_delay_alu instid0(SALU_CYCLE_1)
	s_and_saveexec_b32 s9, s16
	s_cbranch_execnz .LBB87_138
.LBB87_119:
	s_or_b32 exec_lo, exec_lo, s9
	s_and_b32 s16, s5, s8
	s_delay_alu instid0(SALU_CYCLE_1)
	s_and_saveexec_b32 s9, s16
	s_cbranch_execnz .LBB87_142
.LBB87_120:
	s_or_b32 exec_lo, exec_lo, s9
	s_and_b32 s16, s6, s8
	s_delay_alu instid0(SALU_CYCLE_1)
	s_and_saveexec_b32 s9, s16
	s_cbranch_execnz .LBB87_146
.LBB87_121:
	s_or_b32 exec_lo, exec_lo, s9
	s_and_b32 s9, s7, s8
	s_delay_alu instid0(SALU_CYCLE_1)
	s_and_saveexec_b32 s8, s9
	s_cbranch_execnz .LBB87_150
	s_branch .LBB87_154
.LBB87_122:
	v_cmp_ne_u32_e32 vcc_lo, 1, v100
	v_lshlrev_b64 v[40:41], 2, v[48:49]
	s_cbranch_vccnz .LBB87_124
; %bb.123:
	s_delay_alu instid0(VALU_DEP_1) | instskip(NEXT) | instid1(VALU_DEP_2)
	v_add_co_u32 v46, vcc_lo, v44, v40
	v_add_co_ci_u32_e32 v47, vcc_lo, v45, v41, vcc_lo
	flat_load_b32 v46, v[46:47]
	s_waitcnt vmcnt(0) lgkmcnt(0)
	v_mul_f32_e32 v46, s13, v46
	s_branch .LBB87_125
.LBB87_124:
	v_mov_b32_e32 v46, 0
.LBB87_125:
	v_dual_max_f32 v47, v37, v37 :: v_dual_max_f32 v98, v32, v32
	v_dual_max_f32 v64, v33, v33 :: v_dual_max_f32 v65, v36, v36
	;; [unrolled: 1-line block ×3, first 2 shown]
	v_add_co_u32 v40, vcc_lo, v42, v40
	s_delay_alu instid0(VALU_DEP_3) | instskip(NEXT) | instid1(VALU_DEP_4)
	v_dual_min_f32 v47, v64, v47 :: v_dual_max_f32 v64, v34, v34
	v_min_f32_e32 v65, v98, v65
	v_add_co_ci_u32_e32 v41, vcc_lo, v43, v41, vcc_lo
	s_delay_alu instid0(VALU_DEP_2) | instskip(NEXT) | instid1(VALU_DEP_1)
	v_dual_min_f32 v64, v64, v99 :: v_dual_add_f32 v65, v97, v65
	v_dual_max_f32 v101, v39, v39 :: v_dual_add_f32 v64, v65, v64
	s_delay_alu instid0(VALU_DEP_1) | instskip(NEXT) | instid1(VALU_DEP_1)
	v_dual_add_f32 v47, v96, v47 :: v_dual_min_f32 v96, v102, v101
	v_add_f32_e32 v47, v47, v96
	s_delay_alu instid0(VALU_DEP_1) | instskip(NEXT) | instid1(VALU_DEP_1)
	v_add_f32_e32 v47, v64, v47
	v_add_f32_e32 v46, v47, v46
	global_store_b32 v[40:41], v46, off
	s_or_b32 exec_lo, exec_lo, s9
	s_and_b32 s16, s1, s8
	s_delay_alu instid0(SALU_CYCLE_1)
	s_and_saveexec_b32 s9, s16
	s_cbranch_execz .LBB87_116
.LBB87_126:
	v_cmp_ne_u32_e32 vcc_lo, 1, v100
	v_lshlrev_b64 v[40:41], 2, v[50:51]
	s_cbranch_vccnz .LBB87_128
; %bb.127:
	s_delay_alu instid0(VALU_DEP_1) | instskip(NEXT) | instid1(VALU_DEP_2)
	v_add_co_u32 v46, vcc_lo, v44, v40
	v_add_co_ci_u32_e32 v47, vcc_lo, v45, v41, vcc_lo
	flat_load_b32 v46, v[46:47]
	s_waitcnt vmcnt(0) lgkmcnt(0)
	v_mul_f32_e32 v46, s13, v46
	s_branch .LBB87_129
.LBB87_128:
	v_mov_b32_e32 v46, 0
.LBB87_129:
	v_dual_max_f32 v47, v37, v37 :: v_dual_max_f32 v96, v28, v28
	v_dual_max_f32 v64, v29, v29 :: v_dual_max_f32 v65, v36, v36
	;; [unrolled: 1-line block ×3, first 2 shown]
	v_add_co_u32 v40, vcc_lo, v42, v40
	s_delay_alu instid0(VALU_DEP_3) | instskip(SKIP_2) | instid1(VALU_DEP_3)
	v_dual_min_f32 v47, v64, v47 :: v_dual_max_f32 v64, v30, v30
	v_max_f32_e32 v99, v31, v31
	v_add_co_ci_u32_e32 v41, vcc_lo, v43, v41, vcc_lo
	v_min_f32_e32 v64, v64, v97
	v_min_f32_e32 v65, v96, v65
	s_delay_alu instid0(VALU_DEP_4) | instskip(NEXT) | instid1(VALU_DEP_2)
	v_dual_add_f32 v47, v94, v47 :: v_dual_min_f32 v94, v99, v98
	v_add_f32_e32 v65, v95, v65
	s_delay_alu instid0(VALU_DEP_1) | instskip(NEXT) | instid1(VALU_DEP_1)
	v_dual_add_f32 v64, v65, v64 :: v_dual_add_f32 v47, v47, v94
	v_add_f32_e32 v47, v64, v47
	s_delay_alu instid0(VALU_DEP_1) | instskip(SKIP_3) | instid1(SALU_CYCLE_1)
	v_add_f32_e32 v46, v47, v46
	global_store_b32 v[40:41], v46, off
	s_or_b32 exec_lo, exec_lo, s9
	s_and_b32 s16, s2, s8
	s_and_saveexec_b32 s9, s16
	s_cbranch_execz .LBB87_117
.LBB87_130:
	v_cmp_ne_u32_e32 vcc_lo, 1, v100
	v_lshlrev_b64 v[40:41], 2, v[52:53]
	s_cbranch_vccnz .LBB87_132
; %bb.131:
	s_delay_alu instid0(VALU_DEP_1) | instskip(NEXT) | instid1(VALU_DEP_2)
	v_add_co_u32 v46, vcc_lo, v44, v40
	v_add_co_ci_u32_e32 v47, vcc_lo, v45, v41, vcc_lo
	flat_load_b32 v46, v[46:47]
	s_waitcnt vmcnt(0) lgkmcnt(0)
	v_mul_f32_e32 v46, s13, v46
	s_branch .LBB87_133
.LBB87_132:
	v_mov_b32_e32 v46, 0
.LBB87_133:
	v_dual_max_f32 v47, v37, v37 :: v_dual_max_f32 v94, v24, v24
	v_dual_max_f32 v64, v25, v25 :: v_dual_max_f32 v65, v36, v36
	;; [unrolled: 1-line block ×3, first 2 shown]
	v_add_co_u32 v40, vcc_lo, v42, v40
	s_delay_alu instid0(VALU_DEP_3) | instskip(NEXT) | instid1(VALU_DEP_4)
	v_dual_min_f32 v47, v64, v47 :: v_dual_max_f32 v64, v26, v26
	v_min_f32_e32 v65, v94, v65
	v_add_co_ci_u32_e32 v41, vcc_lo, v43, v41, vcc_lo
	s_delay_alu instid0(VALU_DEP_2) | instskip(NEXT) | instid1(VALU_DEP_1)
	v_dual_min_f32 v64, v64, v95 :: v_dual_add_f32 v65, v93, v65
	v_dual_max_f32 v97, v27, v27 :: v_dual_add_f32 v64, v65, v64
	s_delay_alu instid0(VALU_DEP_1) | instskip(NEXT) | instid1(VALU_DEP_1)
	v_dual_add_f32 v47, v92, v47 :: v_dual_min_f32 v92, v97, v96
	v_add_f32_e32 v47, v47, v92
	s_delay_alu instid0(VALU_DEP_1) | instskip(NEXT) | instid1(VALU_DEP_1)
	v_add_f32_e32 v47, v64, v47
	v_add_f32_e32 v46, v47, v46
	global_store_b32 v[40:41], v46, off
	s_or_b32 exec_lo, exec_lo, s9
	s_and_b32 s16, s3, s8
	s_delay_alu instid0(SALU_CYCLE_1)
	s_and_saveexec_b32 s9, s16
	s_cbranch_execz .LBB87_118
.LBB87_134:
	v_cmp_ne_u32_e32 vcc_lo, 1, v100
	v_lshlrev_b64 v[40:41], 2, v[54:55]
	s_cbranch_vccnz .LBB87_136
; %bb.135:
	s_delay_alu instid0(VALU_DEP_1) | instskip(NEXT) | instid1(VALU_DEP_2)
	v_add_co_u32 v46, vcc_lo, v44, v40
	v_add_co_ci_u32_e32 v47, vcc_lo, v45, v41, vcc_lo
	flat_load_b32 v46, v[46:47]
	s_waitcnt vmcnt(0) lgkmcnt(0)
	v_mul_f32_e32 v46, s13, v46
	s_branch .LBB87_137
.LBB87_136:
	v_mov_b32_e32 v46, 0
.LBB87_137:
	v_dual_max_f32 v47, v37, v37 :: v_dual_max_f32 v92, v20, v20
	v_dual_max_f32 v64, v21, v21 :: v_dual_max_f32 v65, v36, v36
	;; [unrolled: 1-line block ×3, first 2 shown]
	v_add_co_u32 v40, vcc_lo, v42, v40
	s_delay_alu instid0(VALU_DEP_3) | instskip(SKIP_2) | instid1(VALU_DEP_3)
	v_dual_min_f32 v47, v64, v47 :: v_dual_max_f32 v64, v22, v22
	v_max_f32_e32 v95, v23, v23
	v_add_co_ci_u32_e32 v41, vcc_lo, v43, v41, vcc_lo
	v_min_f32_e32 v64, v64, v93
	v_min_f32_e32 v65, v92, v65
	s_delay_alu instid0(VALU_DEP_4) | instskip(NEXT) | instid1(VALU_DEP_2)
	v_dual_add_f32 v47, v90, v47 :: v_dual_min_f32 v90, v95, v94
	v_add_f32_e32 v65, v91, v65
	s_delay_alu instid0(VALU_DEP_1) | instskip(NEXT) | instid1(VALU_DEP_1)
	v_dual_add_f32 v64, v65, v64 :: v_dual_add_f32 v47, v47, v90
	v_add_f32_e32 v47, v64, v47
	s_delay_alu instid0(VALU_DEP_1) | instskip(SKIP_3) | instid1(SALU_CYCLE_1)
	v_add_f32_e32 v46, v47, v46
	global_store_b32 v[40:41], v46, off
	s_or_b32 exec_lo, exec_lo, s9
	s_and_b32 s16, s4, s8
	s_and_saveexec_b32 s9, s16
	s_cbranch_execz .LBB87_119
.LBB87_138:
	v_cmp_ne_u32_e32 vcc_lo, 1, v100
	v_lshlrev_b64 v[40:41], 2, v[56:57]
	s_cbranch_vccnz .LBB87_140
; %bb.139:
	s_delay_alu instid0(VALU_DEP_1) | instskip(NEXT) | instid1(VALU_DEP_2)
	v_add_co_u32 v46, vcc_lo, v44, v40
	v_add_co_ci_u32_e32 v47, vcc_lo, v45, v41, vcc_lo
	flat_load_b32 v46, v[46:47]
	s_waitcnt vmcnt(0) lgkmcnt(0)
	v_mul_f32_e32 v46, s13, v46
	s_branch .LBB87_141
.LBB87_140:
	v_mov_b32_e32 v46, 0
.LBB87_141:
	v_dual_max_f32 v47, v37, v37 :: v_dual_max_f32 v90, v16, v16
	v_dual_max_f32 v64, v17, v17 :: v_dual_max_f32 v65, v36, v36
	;; [unrolled: 1-line block ×3, first 2 shown]
	v_add_co_u32 v40, vcc_lo, v42, v40
	s_delay_alu instid0(VALU_DEP_3) | instskip(NEXT) | instid1(VALU_DEP_4)
	v_dual_min_f32 v47, v64, v47 :: v_dual_max_f32 v64, v18, v18
	v_min_f32_e32 v65, v90, v65
	v_add_co_ci_u32_e32 v41, vcc_lo, v43, v41, vcc_lo
	s_delay_alu instid0(VALU_DEP_3) | instskip(NEXT) | instid1(VALU_DEP_4)
	v_add_f32_e32 v47, v89, v47
	v_min_f32_e32 v64, v64, v91
	s_delay_alu instid0(VALU_DEP_4) | instskip(NEXT) | instid1(VALU_DEP_1)
	v_add_f32_e32 v65, v88, v65
	v_dual_max_f32 v93, v19, v19 :: v_dual_add_f32 v64, v65, v64
	s_delay_alu instid0(VALU_DEP_1) | instskip(NEXT) | instid1(VALU_DEP_1)
	v_min_f32_e32 v89, v93, v92
	v_add_f32_e32 v47, v47, v89
	s_delay_alu instid0(VALU_DEP_1) | instskip(NEXT) | instid1(VALU_DEP_1)
	v_add_f32_e32 v47, v64, v47
	v_add_f32_e32 v46, v47, v46
	global_store_b32 v[40:41], v46, off
	s_or_b32 exec_lo, exec_lo, s9
	s_and_b32 s16, s5, s8
	s_delay_alu instid0(SALU_CYCLE_1)
	s_and_saveexec_b32 s9, s16
	s_cbranch_execz .LBB87_120
.LBB87_142:
	v_cmp_ne_u32_e32 vcc_lo, 1, v100
	v_lshlrev_b64 v[40:41], 2, v[58:59]
	s_cbranch_vccnz .LBB87_144
; %bb.143:
	s_delay_alu instid0(VALU_DEP_1) | instskip(NEXT) | instid1(VALU_DEP_2)
	v_add_co_u32 v46, vcc_lo, v44, v40
	v_add_co_ci_u32_e32 v47, vcc_lo, v45, v41, vcc_lo
	flat_load_b32 v46, v[46:47]
	s_waitcnt vmcnt(0) lgkmcnt(0)
	v_mul_f32_e32 v46, s13, v46
	s_branch .LBB87_145
.LBB87_144:
	v_mov_b32_e32 v46, 0
.LBB87_145:
	v_dual_max_f32 v47, v37, v37 :: v_dual_max_f32 v88, v12, v12
	v_dual_max_f32 v64, v13, v13 :: v_dual_max_f32 v65, v36, v36
	;; [unrolled: 1-line block ×3, first 2 shown]
	v_add_co_u32 v40, vcc_lo, v42, v40
	s_delay_alu instid0(VALU_DEP_3) | instskip(SKIP_2) | instid1(VALU_DEP_3)
	v_dual_min_f32 v47, v64, v47 :: v_dual_max_f32 v64, v14, v14
	v_max_f32_e32 v91, v15, v15
	v_add_co_ci_u32_e32 v41, vcc_lo, v43, v41, vcc_lo
	v_min_f32_e32 v64, v64, v89
	v_min_f32_e32 v65, v88, v65
	s_delay_alu instid0(VALU_DEP_4) | instskip(NEXT) | instid1(VALU_DEP_2)
	v_dual_add_f32 v47, v86, v47 :: v_dual_min_f32 v86, v91, v90
	v_add_f32_e32 v65, v87, v65
	s_delay_alu instid0(VALU_DEP_1) | instskip(NEXT) | instid1(VALU_DEP_1)
	v_dual_add_f32 v64, v65, v64 :: v_dual_add_f32 v47, v47, v86
	v_add_f32_e32 v47, v64, v47
	s_delay_alu instid0(VALU_DEP_1) | instskip(SKIP_3) | instid1(SALU_CYCLE_1)
	v_add_f32_e32 v46, v47, v46
	global_store_b32 v[40:41], v46, off
	s_or_b32 exec_lo, exec_lo, s9
	s_and_b32 s16, s6, s8
	s_and_saveexec_b32 s9, s16
	s_cbranch_execz .LBB87_121
.LBB87_146:
	v_cmp_ne_u32_e32 vcc_lo, 1, v100
	v_lshlrev_b64 v[40:41], 2, v[60:61]
	s_cbranch_vccnz .LBB87_148
; %bb.147:
	s_delay_alu instid0(VALU_DEP_1) | instskip(NEXT) | instid1(VALU_DEP_2)
	v_add_co_u32 v46, vcc_lo, v44, v40
	v_add_co_ci_u32_e32 v47, vcc_lo, v45, v41, vcc_lo
	flat_load_b32 v46, v[46:47]
	s_waitcnt vmcnt(0) lgkmcnt(0)
	v_mul_f32_e32 v46, s13, v46
	s_branch .LBB87_149
.LBB87_148:
	v_mov_b32_e32 v46, 0
.LBB87_149:
	v_dual_max_f32 v47, v37, v37 :: v_dual_max_f32 v86, v8, v8
	v_dual_max_f32 v64, v9, v9 :: v_dual_max_f32 v65, v36, v36
	;; [unrolled: 1-line block ×3, first 2 shown]
	v_add_co_u32 v40, vcc_lo, v42, v40
	s_delay_alu instid0(VALU_DEP_3) | instskip(NEXT) | instid1(VALU_DEP_4)
	v_dual_min_f32 v47, v64, v47 :: v_dual_max_f32 v64, v10, v10
	v_min_f32_e32 v65, v86, v65
	v_add_co_ci_u32_e32 v41, vcc_lo, v43, v41, vcc_lo
	s_delay_alu instid0(VALU_DEP_2) | instskip(NEXT) | instid1(VALU_DEP_1)
	v_dual_min_f32 v64, v64, v87 :: v_dual_add_f32 v65, v85, v65
	v_dual_max_f32 v89, v11, v11 :: v_dual_add_f32 v64, v65, v64
	s_delay_alu instid0(VALU_DEP_1) | instskip(NEXT) | instid1(VALU_DEP_1)
	v_dual_add_f32 v47, v84, v47 :: v_dual_min_f32 v84, v89, v88
	v_add_f32_e32 v47, v47, v84
	s_delay_alu instid0(VALU_DEP_1) | instskip(NEXT) | instid1(VALU_DEP_1)
	v_add_f32_e32 v47, v64, v47
	v_add_f32_e32 v46, v47, v46
	global_store_b32 v[40:41], v46, off
	s_or_b32 exec_lo, exec_lo, s9
	s_and_b32 s9, s7, s8
	s_delay_alu instid0(SALU_CYCLE_1)
	s_and_saveexec_b32 s8, s9
	s_cbranch_execz .LBB87_154
.LBB87_150:
	v_cmp_ne_u32_e32 vcc_lo, 1, v100
	v_lshlrev_b64 v[40:41], 2, v[62:63]
	s_cbranch_vccnz .LBB87_152
; %bb.151:
	s_delay_alu instid0(VALU_DEP_1) | instskip(NEXT) | instid1(VALU_DEP_2)
	v_add_co_u32 v44, vcc_lo, v44, v40
	v_add_co_ci_u32_e32 v45, vcc_lo, v45, v41, vcc_lo
	flat_load_b32 v44, v[44:45]
	s_waitcnt vmcnt(0) lgkmcnt(0)
	v_mul_f32_e32 v44, s13, v44
	s_branch .LBB87_153
.LBB87_152:
	v_mov_b32_e32 v44, 0
.LBB87_153:
	v_dual_max_f32 v37, v37, v37 :: v_dual_max_f32 v36, v36, v36
	v_dual_max_f32 v45, v1, v1 :: v_dual_max_f32 v46, v0, v0
	;; [unrolled: 1-line block ×3, first 2 shown]
	s_delay_alu instid0(VALU_DEP_2) | instskip(SKIP_1) | instid1(VALU_DEP_2)
	v_dual_min_f32 v37, v45, v37 :: v_dual_min_f32 v36, v46, v36
	v_max_f32_e32 v47, v3, v3
	v_dual_add_f32 v37, v83, v37 :: v_dual_add_f32 v36, v82, v36
	s_delay_alu instid0(VALU_DEP_2) | instskip(NEXT) | instid1(VALU_DEP_1)
	v_min_f32_e32 v39, v47, v39
	v_add_f32_e32 v37, v37, v39
	v_max_f32_e32 v45, v2, v2
	s_delay_alu instid0(VALU_DEP_1) | instskip(NEXT) | instid1(VALU_DEP_1)
	v_min_f32_e32 v38, v45, v38
	v_add_f32_e32 v36, v36, v38
	s_delay_alu instid0(VALU_DEP_1) | instskip(NEXT) | instid1(VALU_DEP_1)
	v_add_f32_e32 v36, v36, v37
	v_add_f32_e32 v38, v36, v44
	v_add_co_u32 v36, vcc_lo, v42, v40
	v_add_co_ci_u32_e32 v37, vcc_lo, v43, v41, vcc_lo
	global_store_b32 v[36:37], v38, off
.LBB87_154:
	s_or_b32 exec_lo, exec_lo, s8
	v_add_nc_u32_e32 v40, 0x60, v117
	s_delay_alu instid0(VALU_DEP_1) | instskip(SKIP_2) | instid1(VALU_DEP_3)
	v_mad_i64_i32 v[36:37], null, v40, s15, 0
	v_mad_i64_i32 v[38:39], null, v40, s14, 0
	v_cmp_gt_i32_e64 s8, s17, v40
	v_lshlrev_b64 v[36:37], 2, v[36:37]
	s_delay_alu instid0(VALU_DEP_2) | instskip(NEXT) | instid1(VALU_DEP_3)
	s_and_b32 s9, s0, s8
	v_lshlrev_b64 v[38:39], 2, v[38:39]
	s_delay_alu instid0(VALU_DEP_2) | instskip(NEXT) | instid1(VALU_DEP_3)
	v_add_co_u32 v40, vcc_lo, s10, v36
	v_add_co_ci_u32_e32 v41, vcc_lo, s11, v37, vcc_lo
	s_delay_alu instid0(VALU_DEP_3) | instskip(NEXT) | instid1(VALU_DEP_4)
	v_add_co_u32 v38, vcc_lo, s12, v38
	v_add_co_ci_u32_e32 v39, vcc_lo, s18, v39, vcc_lo
	s_and_saveexec_b32 s0, s9
	s_cbranch_execnz .LBB87_163
; %bb.155:
	s_or_b32 exec_lo, exec_lo, s0
	s_and_b32 s1, s1, s8
	s_delay_alu instid0(SALU_CYCLE_1)
	s_and_saveexec_b32 s0, s1
	s_cbranch_execnz .LBB87_167
.LBB87_156:
	s_or_b32 exec_lo, exec_lo, s0
	s_and_b32 s1, s2, s8
	s_delay_alu instid0(SALU_CYCLE_1)
	s_and_saveexec_b32 s0, s1
	s_cbranch_execnz .LBB87_171
.LBB87_157:
	s_or_b32 exec_lo, exec_lo, s0
	s_and_b32 s1, s3, s8
	s_delay_alu instid0(SALU_CYCLE_1)
	s_and_saveexec_b32 s0, s1
	s_cbranch_execnz .LBB87_175
.LBB87_158:
	s_or_b32 exec_lo, exec_lo, s0
	s_and_b32 s1, s4, s8
	s_delay_alu instid0(SALU_CYCLE_1)
	s_and_saveexec_b32 s0, s1
	s_cbranch_execnz .LBB87_179
.LBB87_159:
	s_or_b32 exec_lo, exec_lo, s0
	s_and_b32 s1, s5, s8
	s_delay_alu instid0(SALU_CYCLE_1)
	s_and_saveexec_b32 s0, s1
	s_cbranch_execnz .LBB87_183
.LBB87_160:
	s_or_b32 exec_lo, exec_lo, s0
	s_and_b32 s1, s6, s8
	s_delay_alu instid0(SALU_CYCLE_1)
	s_and_saveexec_b32 s0, s1
	s_cbranch_execnz .LBB87_187
.LBB87_161:
	s_or_b32 exec_lo, exec_lo, s0
	s_and_b32 s0, s7, s8
	s_delay_alu instid0(SALU_CYCLE_1)
	s_and_saveexec_b32 s1, s0
	s_cbranch_execnz .LBB87_191
.LBB87_162:
	s_nop 0
	s_sendmsg sendmsg(MSG_DEALLOC_VGPRS)
	s_endpgm
.LBB87_163:
	v_cmp_ne_u32_e32 vcc_lo, 1, v100
	v_lshlrev_b64 v[36:37], 2, v[48:49]
	s_cbranch_vccnz .LBB87_165
; %bb.164:
	s_delay_alu instid0(VALU_DEP_1) | instskip(NEXT) | instid1(VALU_DEP_2)
	v_add_co_u32 v42, vcc_lo, v40, v36
	v_add_co_ci_u32_e32 v43, vcc_lo, v41, v37, vcc_lo
	flat_load_b32 v42, v[42:43]
	s_waitcnt vmcnt(0) lgkmcnt(0)
	v_mul_f32_e32 v42, s13, v42
	s_branch .LBB87_166
.LBB87_165:
	v_mov_b32_e32 v42, 0
.LBB87_166:
	v_dual_max_f32 v43, v5, v5 :: v_dual_max_f32 v44, v4, v4
	v_dual_max_f32 v33, v33, v33 :: v_dual_max_f32 v32, v32, v32
	v_max_f32_e32 v45, v6, v6
	s_delay_alu instid0(VALU_DEP_2) | instskip(NEXT) | instid1(VALU_DEP_3)
	v_dual_max_f32 v34, v34, v34 :: v_dual_min_f32 v33, v33, v43
	v_dual_min_f32 v32, v32, v44 :: v_dual_max_f32 v43, v7, v7
	s_delay_alu instid0(VALU_DEP_2) | instskip(NEXT) | instid1(VALU_DEP_2)
	v_dual_min_f32 v34, v34, v45 :: v_dual_max_f32 v35, v35, v35
	v_dual_add_f32 v33, v80, v33 :: v_dual_add_f32 v32, v81, v32
	s_delay_alu instid0(VALU_DEP_1) | instskip(NEXT) | instid1(VALU_DEP_1)
	v_dual_min_f32 v35, v35, v43 :: v_dual_add_f32 v32, v32, v34
	v_add_f32_e32 v33, v33, v35
	s_delay_alu instid0(VALU_DEP_1) | instskip(NEXT) | instid1(VALU_DEP_1)
	v_add_f32_e32 v32, v32, v33
	v_add_f32_e32 v34, v32, v42
	v_add_co_u32 v32, vcc_lo, v38, v36
	v_add_co_ci_u32_e32 v33, vcc_lo, v39, v37, vcc_lo
	global_store_b32 v[32:33], v34, off
	s_or_b32 exec_lo, exec_lo, s0
	s_and_b32 s1, s1, s8
	s_delay_alu instid0(SALU_CYCLE_1)
	s_and_saveexec_b32 s0, s1
	s_cbranch_execz .LBB87_156
.LBB87_167:
	v_cmp_ne_u32_e32 vcc_lo, 1, v100
	v_lshlrev_b64 v[32:33], 2, v[50:51]
	s_cbranch_vccnz .LBB87_169
; %bb.168:
	s_delay_alu instid0(VALU_DEP_1) | instskip(NEXT) | instid1(VALU_DEP_2)
	v_add_co_u32 v34, vcc_lo, v40, v32
	v_add_co_ci_u32_e32 v35, vcc_lo, v41, v33, vcc_lo
	flat_load_b32 v34, v[34:35]
	s_waitcnt vmcnt(0) lgkmcnt(0)
	v_mul_f32_e32 v34, s13, v34
	s_branch .LBB87_170
.LBB87_169:
	v_mov_b32_e32 v34, 0
.LBB87_170:
	v_dual_max_f32 v35, v5, v5 :: v_dual_max_f32 v36, v4, v4
	v_dual_max_f32 v29, v29, v29 :: v_dual_max_f32 v28, v28, v28
	v_max_f32_e32 v37, v6, v6
	s_delay_alu instid0(VALU_DEP_2) | instskip(NEXT) | instid1(VALU_DEP_3)
	v_dual_max_f32 v30, v30, v30 :: v_dual_min_f32 v29, v29, v35
	v_dual_min_f32 v28, v28, v36 :: v_dual_max_f32 v35, v7, v7
	s_delay_alu instid0(VALU_DEP_2) | instskip(NEXT) | instid1(VALU_DEP_2)
	v_dual_min_f32 v30, v30, v37 :: v_dual_max_f32 v31, v31, v31
	v_dual_add_f32 v28, v78, v28 :: v_dual_add_f32 v29, v79, v29
	s_delay_alu instid0(VALU_DEP_1) | instskip(NEXT) | instid1(VALU_DEP_1)
	v_dual_add_f32 v28, v28, v30 :: v_dual_min_f32 v31, v31, v35
	v_add_f32_e32 v29, v29, v31
	s_delay_alu instid0(VALU_DEP_1) | instskip(NEXT) | instid1(VALU_DEP_1)
	v_add_f32_e32 v28, v28, v29
	v_add_f32_e32 v30, v28, v34
	v_add_co_u32 v28, vcc_lo, v38, v32
	v_add_co_ci_u32_e32 v29, vcc_lo, v39, v33, vcc_lo
	global_store_b32 v[28:29], v30, off
	s_or_b32 exec_lo, exec_lo, s0
	s_and_b32 s1, s2, s8
	s_delay_alu instid0(SALU_CYCLE_1)
	s_and_saveexec_b32 s0, s1
	s_cbranch_execz .LBB87_157
.LBB87_171:
	v_cmp_ne_u32_e32 vcc_lo, 1, v100
	v_lshlrev_b64 v[28:29], 2, v[52:53]
	s_cbranch_vccnz .LBB87_173
; %bb.172:
	s_delay_alu instid0(VALU_DEP_1) | instskip(NEXT) | instid1(VALU_DEP_2)
	v_add_co_u32 v30, vcc_lo, v40, v28
	v_add_co_ci_u32_e32 v31, vcc_lo, v41, v29, vcc_lo
	flat_load_b32 v30, v[30:31]
	s_waitcnt vmcnt(0) lgkmcnt(0)
	v_mul_f32_e32 v30, s13, v30
	s_branch .LBB87_174
.LBB87_173:
	v_mov_b32_e32 v30, 0
.LBB87_174:
	v_dual_max_f32 v31, v5, v5 :: v_dual_max_f32 v32, v4, v4
	v_dual_max_f32 v25, v25, v25 :: v_dual_max_f32 v24, v24, v24
	v_max_f32_e32 v33, v6, v6
	s_delay_alu instid0(VALU_DEP_2) | instskip(NEXT) | instid1(VALU_DEP_3)
	v_dual_max_f32 v26, v26, v26 :: v_dual_min_f32 v25, v25, v31
	v_dual_min_f32 v24, v24, v32 :: v_dual_max_f32 v31, v7, v7
	s_delay_alu instid0(VALU_DEP_2) | instskip(NEXT) | instid1(VALU_DEP_2)
	v_dual_min_f32 v26, v26, v33 :: v_dual_max_f32 v27, v27, v27
	v_dual_add_f32 v25, v76, v25 :: v_dual_add_f32 v24, v77, v24
	s_delay_alu instid0(VALU_DEP_1) | instskip(NEXT) | instid1(VALU_DEP_1)
	v_dual_min_f32 v27, v27, v31 :: v_dual_add_f32 v24, v24, v26
	v_add_f32_e32 v25, v25, v27
	s_delay_alu instid0(VALU_DEP_1) | instskip(NEXT) | instid1(VALU_DEP_1)
	v_add_f32_e32 v24, v24, v25
	v_add_f32_e32 v26, v24, v30
	v_add_co_u32 v24, vcc_lo, v38, v28
	v_add_co_ci_u32_e32 v25, vcc_lo, v39, v29, vcc_lo
	global_store_b32 v[24:25], v26, off
	s_or_b32 exec_lo, exec_lo, s0
	s_and_b32 s1, s3, s8
	s_delay_alu instid0(SALU_CYCLE_1)
	s_and_saveexec_b32 s0, s1
	s_cbranch_execz .LBB87_158
.LBB87_175:
	v_cmp_ne_u32_e32 vcc_lo, 1, v100
	v_lshlrev_b64 v[24:25], 2, v[54:55]
	s_cbranch_vccnz .LBB87_177
; %bb.176:
	s_delay_alu instid0(VALU_DEP_1) | instskip(NEXT) | instid1(VALU_DEP_2)
	v_add_co_u32 v26, vcc_lo, v40, v24
	v_add_co_ci_u32_e32 v27, vcc_lo, v41, v25, vcc_lo
	flat_load_b32 v26, v[26:27]
	s_waitcnt vmcnt(0) lgkmcnt(0)
	v_mul_f32_e32 v26, s13, v26
	s_branch .LBB87_178
.LBB87_177:
	v_mov_b32_e32 v26, 0
.LBB87_178:
	v_dual_max_f32 v27, v5, v5 :: v_dual_max_f32 v28, v4, v4
	v_dual_max_f32 v21, v21, v21 :: v_dual_max_f32 v20, v20, v20
	v_max_f32_e32 v29, v6, v6
	s_delay_alu instid0(VALU_DEP_2) | instskip(NEXT) | instid1(VALU_DEP_3)
	v_dual_max_f32 v22, v22, v22 :: v_dual_min_f32 v21, v21, v27
	v_dual_min_f32 v20, v20, v28 :: v_dual_max_f32 v27, v7, v7
	s_delay_alu instid0(VALU_DEP_2) | instskip(NEXT) | instid1(VALU_DEP_2)
	v_min_f32_e32 v22, v22, v29
	v_dual_add_f32 v21, v74, v21 :: v_dual_add_f32 v20, v75, v20
	s_delay_alu instid0(VALU_DEP_1) | instskip(NEXT) | instid1(VALU_DEP_1)
	v_dual_max_f32 v23, v23, v23 :: v_dual_add_f32 v20, v20, v22
	v_min_f32_e32 v23, v23, v27
	s_delay_alu instid0(VALU_DEP_1) | instskip(NEXT) | instid1(VALU_DEP_1)
	v_add_f32_e32 v21, v21, v23
	v_add_f32_e32 v20, v20, v21
	s_delay_alu instid0(VALU_DEP_1)
	v_add_f32_e32 v22, v20, v26
	v_add_co_u32 v20, vcc_lo, v38, v24
	v_add_co_ci_u32_e32 v21, vcc_lo, v39, v25, vcc_lo
	global_store_b32 v[20:21], v22, off
	s_or_b32 exec_lo, exec_lo, s0
	s_and_b32 s1, s4, s8
	s_delay_alu instid0(SALU_CYCLE_1)
	s_and_saveexec_b32 s0, s1
	s_cbranch_execz .LBB87_159
.LBB87_179:
	v_cmp_ne_u32_e32 vcc_lo, 1, v100
	v_lshlrev_b64 v[20:21], 2, v[56:57]
	s_cbranch_vccnz .LBB87_181
; %bb.180:
	s_delay_alu instid0(VALU_DEP_1) | instskip(NEXT) | instid1(VALU_DEP_2)
	v_add_co_u32 v22, vcc_lo, v40, v20
	v_add_co_ci_u32_e32 v23, vcc_lo, v41, v21, vcc_lo
	flat_load_b32 v22, v[22:23]
	s_waitcnt vmcnt(0) lgkmcnt(0)
	v_mul_f32_e32 v22, s13, v22
	s_branch .LBB87_182
.LBB87_181:
	v_mov_b32_e32 v22, 0
.LBB87_182:
	v_dual_max_f32 v23, v5, v5 :: v_dual_max_f32 v24, v4, v4
	v_dual_max_f32 v17, v17, v17 :: v_dual_max_f32 v16, v16, v16
	v_max_f32_e32 v25, v6, v6
	s_delay_alu instid0(VALU_DEP_2) | instskip(NEXT) | instid1(VALU_DEP_3)
	v_dual_max_f32 v18, v18, v18 :: v_dual_min_f32 v17, v17, v23
	v_dual_min_f32 v16, v16, v24 :: v_dual_max_f32 v23, v7, v7
	s_delay_alu instid0(VALU_DEP_2) | instskip(NEXT) | instid1(VALU_DEP_2)
	v_dual_min_f32 v18, v18, v25 :: v_dual_max_f32 v19, v19, v19
	v_dual_add_f32 v16, v72, v16 :: v_dual_add_f32 v17, v73, v17
	s_delay_alu instid0(VALU_DEP_1) | instskip(NEXT) | instid1(VALU_DEP_1)
	v_dual_add_f32 v16, v16, v18 :: v_dual_min_f32 v19, v19, v23
	v_add_f32_e32 v17, v17, v19
	s_delay_alu instid0(VALU_DEP_1) | instskip(NEXT) | instid1(VALU_DEP_1)
	v_add_f32_e32 v16, v16, v17
	v_add_f32_e32 v18, v16, v22
	v_add_co_u32 v16, vcc_lo, v38, v20
	v_add_co_ci_u32_e32 v17, vcc_lo, v39, v21, vcc_lo
	global_store_b32 v[16:17], v18, off
	s_or_b32 exec_lo, exec_lo, s0
	s_and_b32 s1, s5, s8
	s_delay_alu instid0(SALU_CYCLE_1)
	s_and_saveexec_b32 s0, s1
	s_cbranch_execz .LBB87_160
.LBB87_183:
	v_cmp_ne_u32_e32 vcc_lo, 1, v100
	v_lshlrev_b64 v[16:17], 2, v[58:59]
	s_cbranch_vccnz .LBB87_185
; %bb.184:
	s_delay_alu instid0(VALU_DEP_1) | instskip(NEXT) | instid1(VALU_DEP_2)
	v_add_co_u32 v18, vcc_lo, v40, v16
	v_add_co_ci_u32_e32 v19, vcc_lo, v41, v17, vcc_lo
	flat_load_b32 v18, v[18:19]
	s_waitcnt vmcnt(0) lgkmcnt(0)
	v_mul_f32_e32 v18, s13, v18
	s_branch .LBB87_186
.LBB87_185:
	v_mov_b32_e32 v18, 0
.LBB87_186:
	v_dual_max_f32 v19, v5, v5 :: v_dual_max_f32 v20, v4, v4
	v_dual_max_f32 v13, v13, v13 :: v_dual_max_f32 v12, v12, v12
	v_max_f32_e32 v21, v6, v6
	s_delay_alu instid0(VALU_DEP_2) | instskip(NEXT) | instid1(VALU_DEP_3)
	v_dual_max_f32 v14, v14, v14 :: v_dual_min_f32 v13, v13, v19
	v_dual_min_f32 v12, v12, v20 :: v_dual_max_f32 v19, v7, v7
	s_delay_alu instid0(VALU_DEP_2) | instskip(NEXT) | instid1(VALU_DEP_2)
	v_min_f32_e32 v14, v14, v21
	v_dual_add_f32 v13, v70, v13 :: v_dual_add_f32 v12, v71, v12
	s_delay_alu instid0(VALU_DEP_1) | instskip(NEXT) | instid1(VALU_DEP_1)
	v_dual_max_f32 v15, v15, v15 :: v_dual_add_f32 v12, v12, v14
	v_min_f32_e32 v15, v15, v19
	s_delay_alu instid0(VALU_DEP_1) | instskip(NEXT) | instid1(VALU_DEP_1)
	v_add_f32_e32 v13, v13, v15
	v_add_f32_e32 v12, v12, v13
	s_delay_alu instid0(VALU_DEP_1)
	v_add_f32_e32 v14, v12, v18
	v_add_co_u32 v12, vcc_lo, v38, v16
	v_add_co_ci_u32_e32 v13, vcc_lo, v39, v17, vcc_lo
	global_store_b32 v[12:13], v14, off
	s_or_b32 exec_lo, exec_lo, s0
	s_and_b32 s1, s6, s8
	s_delay_alu instid0(SALU_CYCLE_1)
	s_and_saveexec_b32 s0, s1
	s_cbranch_execz .LBB87_161
.LBB87_187:
	v_cmp_ne_u32_e32 vcc_lo, 1, v100
	v_lshlrev_b64 v[12:13], 2, v[60:61]
	s_cbranch_vccnz .LBB87_189
; %bb.188:
	s_delay_alu instid0(VALU_DEP_1) | instskip(NEXT) | instid1(VALU_DEP_2)
	v_add_co_u32 v14, vcc_lo, v40, v12
	v_add_co_ci_u32_e32 v15, vcc_lo, v41, v13, vcc_lo
	flat_load_b32 v14, v[14:15]
	s_waitcnt vmcnt(0) lgkmcnt(0)
	v_mul_f32_e32 v14, s13, v14
	s_branch .LBB87_190
.LBB87_189:
	v_mov_b32_e32 v14, 0
.LBB87_190:
	v_dual_max_f32 v15, v5, v5 :: v_dual_max_f32 v16, v4, v4
	v_dual_max_f32 v9, v9, v9 :: v_dual_max_f32 v8, v8, v8
	v_max_f32_e32 v17, v6, v6
	s_delay_alu instid0(VALU_DEP_2) | instskip(NEXT) | instid1(VALU_DEP_3)
	v_dual_max_f32 v10, v10, v10 :: v_dual_min_f32 v9, v9, v15
	v_dual_min_f32 v8, v8, v16 :: v_dual_max_f32 v15, v7, v7
	s_delay_alu instid0(VALU_DEP_2) | instskip(NEXT) | instid1(VALU_DEP_2)
	v_dual_min_f32 v10, v10, v17 :: v_dual_max_f32 v11, v11, v11
	v_dual_add_f32 v8, v68, v8 :: v_dual_add_f32 v9, v69, v9
	s_delay_alu instid0(VALU_DEP_1) | instskip(NEXT) | instid1(VALU_DEP_1)
	v_dual_add_f32 v8, v8, v10 :: v_dual_min_f32 v11, v11, v15
	v_add_f32_e32 v9, v9, v11
	s_delay_alu instid0(VALU_DEP_1) | instskip(NEXT) | instid1(VALU_DEP_1)
	v_add_f32_e32 v8, v8, v9
	v_add_f32_e32 v10, v8, v14
	v_add_co_u32 v8, vcc_lo, v38, v12
	v_add_co_ci_u32_e32 v9, vcc_lo, v39, v13, vcc_lo
	global_store_b32 v[8:9], v10, off
	s_or_b32 exec_lo, exec_lo, s0
	s_and_b32 s0, s7, s8
	s_delay_alu instid0(SALU_CYCLE_1)
	s_and_saveexec_b32 s1, s0
	s_cbranch_execz .LBB87_162
.LBB87_191:
	v_cmp_ne_u32_e32 vcc_lo, 1, v100
	v_lshlrev_b64 v[8:9], 2, v[62:63]
	s_cbranch_vccnz .LBB87_193
; %bb.192:
	s_delay_alu instid0(VALU_DEP_1) | instskip(NEXT) | instid1(VALU_DEP_2)
	v_add_co_u32 v10, vcc_lo, v40, v8
	v_add_co_ci_u32_e32 v11, vcc_lo, v41, v9, vcc_lo
	flat_load_b32 v10, v[10:11]
	s_waitcnt vmcnt(0) lgkmcnt(0)
	v_mul_f32_e32 v10, s13, v10
	s_branch .LBB87_194
.LBB87_193:
	v_mov_b32_e32 v10, 0
.LBB87_194:
	v_dual_max_f32 v5, v5, v5 :: v_dual_max_f32 v4, v4, v4
	v_dual_max_f32 v1, v1, v1 :: v_dual_max_f32 v0, v0, v0
	v_max_f32_e32 v6, v6, v6
	v_dual_max_f32 v2, v2, v2 :: v_dual_max_f32 v3, v3, v3
	s_delay_alu instid0(VALU_DEP_3) | instskip(NEXT) | instid1(VALU_DEP_2)
	v_dual_min_f32 v1, v1, v5 :: v_dual_min_f32 v0, v0, v4
	v_dual_max_f32 v5, v7, v7 :: v_dual_min_f32 v2, v2, v6
	s_delay_alu instid0(VALU_DEP_2) | instskip(NEXT) | instid1(VALU_DEP_1)
	v_dual_add_f32 v1, v67, v1 :: v_dual_add_f32 v0, v66, v0
	v_dual_min_f32 v3, v3, v5 :: v_dual_add_f32 v0, v0, v2
	s_delay_alu instid0(VALU_DEP_1) | instskip(NEXT) | instid1(VALU_DEP_1)
	v_add_f32_e32 v1, v1, v3
	v_add_f32_e32 v0, v0, v1
	s_delay_alu instid0(VALU_DEP_1)
	v_add_f32_e32 v2, v0, v10
	v_add_co_u32 v0, vcc_lo, v38, v8
	v_add_co_ci_u32_e32 v1, vcc_lo, v39, v9, vcc_lo
	global_store_b32 v[0:1], v2, off
	s_nop 0
	s_sendmsg sendmsg(MSG_DEALLOC_VGPRS)
	s_endpgm
	.section	.rodata,"a",@progbits
	.p2align	6, 0x0
	.amdhsa_kernel _ZN12_GLOBAL__N_120geam_min_plus_kernelIf15HIP_vector_typeIfLj2EES2_Li8ELi32ELi64ELi128ELi4ELi4ELi64ELi4ELi64ELc84ELc78ELb0ELb1ELb0EPKfS3_fEEviiiT16_PT17_ilS7_ilS5_S7_ilPT18_ili26rocblas_geam_ex_operation_
		.amdhsa_group_segment_fixed_size 6144
		.amdhsa_private_segment_fixed_size 0
		.amdhsa_kernarg_size 136
		.amdhsa_user_sgpr_count 14
		.amdhsa_user_sgpr_dispatch_ptr 0
		.amdhsa_user_sgpr_queue_ptr 0
		.amdhsa_user_sgpr_kernarg_segment_ptr 1
		.amdhsa_user_sgpr_dispatch_id 0
		.amdhsa_user_sgpr_private_segment_size 0
		.amdhsa_wavefront_size32 1
		.amdhsa_uses_dynamic_stack 0
		.amdhsa_enable_private_segment 0
		.amdhsa_system_sgpr_workgroup_id_x 1
		.amdhsa_system_sgpr_workgroup_id_y 0
		.amdhsa_system_sgpr_workgroup_id_z 1
		.amdhsa_system_sgpr_workgroup_info 0
		.amdhsa_system_vgpr_workitem_id 1
		.amdhsa_next_free_vgpr 227
		.amdhsa_next_free_sgpr 30
		.amdhsa_reserve_vcc 1
		.amdhsa_float_round_mode_32 0
		.amdhsa_float_round_mode_16_64 0
		.amdhsa_float_denorm_mode_32 3
		.amdhsa_float_denorm_mode_16_64 3
		.amdhsa_dx10_clamp 1
		.amdhsa_ieee_mode 1
		.amdhsa_fp16_overflow 0
		.amdhsa_workgroup_processor_mode 1
		.amdhsa_memory_ordered 1
		.amdhsa_forward_progress 0
		.amdhsa_shared_vgpr_count 0
		.amdhsa_exception_fp_ieee_invalid_op 0
		.amdhsa_exception_fp_denorm_src 0
		.amdhsa_exception_fp_ieee_div_zero 0
		.amdhsa_exception_fp_ieee_overflow 0
		.amdhsa_exception_fp_ieee_underflow 0
		.amdhsa_exception_fp_ieee_inexact 0
		.amdhsa_exception_int_div_zero 0
	.end_amdhsa_kernel
	.section	.text._ZN12_GLOBAL__N_120geam_min_plus_kernelIf15HIP_vector_typeIfLj2EES2_Li8ELi32ELi64ELi128ELi4ELi4ELi64ELi4ELi64ELc84ELc78ELb0ELb1ELb0EPKfS3_fEEviiiT16_PT17_ilS7_ilS5_S7_ilPT18_ili26rocblas_geam_ex_operation_,"axG",@progbits,_ZN12_GLOBAL__N_120geam_min_plus_kernelIf15HIP_vector_typeIfLj2EES2_Li8ELi32ELi64ELi128ELi4ELi4ELi64ELi4ELi64ELc84ELc78ELb0ELb1ELb0EPKfS3_fEEviiiT16_PT17_ilS7_ilS5_S7_ilPT18_ili26rocblas_geam_ex_operation_,comdat
.Lfunc_end87:
	.size	_ZN12_GLOBAL__N_120geam_min_plus_kernelIf15HIP_vector_typeIfLj2EES2_Li8ELi32ELi64ELi128ELi4ELi4ELi64ELi4ELi64ELc84ELc78ELb0ELb1ELb0EPKfS3_fEEviiiT16_PT17_ilS7_ilS5_S7_ilPT18_ili26rocblas_geam_ex_operation_, .Lfunc_end87-_ZN12_GLOBAL__N_120geam_min_plus_kernelIf15HIP_vector_typeIfLj2EES2_Li8ELi32ELi64ELi128ELi4ELi4ELi64ELi4ELi64ELc84ELc78ELb0ELb1ELb0EPKfS3_fEEviiiT16_PT17_ilS7_ilS5_S7_ilPT18_ili26rocblas_geam_ex_operation_
                                        ; -- End function
	.section	.AMDGPU.csdata,"",@progbits
; Kernel info:
; codeLenInByte = 13320
; NumSgprs: 32
; NumVgprs: 227
; ScratchSize: 0
; MemoryBound: 0
; FloatMode: 240
; IeeeMode: 1
; LDSByteSize: 6144 bytes/workgroup (compile time only)
; SGPRBlocks: 3
; VGPRBlocks: 28
; NumSGPRsForWavesPerEU: 32
; NumVGPRsForWavesPerEU: 227
; Occupancy: 6
; WaveLimiterHint : 0
; COMPUTE_PGM_RSRC2:SCRATCH_EN: 0
; COMPUTE_PGM_RSRC2:USER_SGPR: 14
; COMPUTE_PGM_RSRC2:TRAP_HANDLER: 0
; COMPUTE_PGM_RSRC2:TGID_X_EN: 1
; COMPUTE_PGM_RSRC2:TGID_Y_EN: 0
; COMPUTE_PGM_RSRC2:TGID_Z_EN: 1
; COMPUTE_PGM_RSRC2:TIDIG_COMP_CNT: 1
	.section	.text._ZN12_GLOBAL__N_120geam_min_plus_kernelIf15HIP_vector_typeIfLj2EES2_Li8ELi32ELi64ELi128ELi4ELi4ELi64ELi4ELi64ELc84ELc78ELb1ELb1ELb0EfKffEEviiiT16_PT17_ilS6_ilS4_S6_ilPT18_ili26rocblas_geam_ex_operation_,"axG",@progbits,_ZN12_GLOBAL__N_120geam_min_plus_kernelIf15HIP_vector_typeIfLj2EES2_Li8ELi32ELi64ELi128ELi4ELi4ELi64ELi4ELi64ELc84ELc78ELb1ELb1ELb0EfKffEEviiiT16_PT17_ilS6_ilS4_S6_ilPT18_ili26rocblas_geam_ex_operation_,comdat
	.globl	_ZN12_GLOBAL__N_120geam_min_plus_kernelIf15HIP_vector_typeIfLj2EES2_Li8ELi32ELi64ELi128ELi4ELi4ELi64ELi4ELi64ELc84ELc78ELb1ELb1ELb0EfKffEEviiiT16_PT17_ilS6_ilS4_S6_ilPT18_ili26rocblas_geam_ex_operation_ ; -- Begin function _ZN12_GLOBAL__N_120geam_min_plus_kernelIf15HIP_vector_typeIfLj2EES2_Li8ELi32ELi64ELi128ELi4ELi4ELi64ELi4ELi64ELc84ELc78ELb1ELb1ELb0EfKffEEviiiT16_PT17_ilS6_ilS4_S6_ilPT18_ili26rocblas_geam_ex_operation_
	.p2align	8
	.type	_ZN12_GLOBAL__N_120geam_min_plus_kernelIf15HIP_vector_typeIfLj2EES2_Li8ELi32ELi64ELi128ELi4ELi4ELi64ELi4ELi64ELc84ELc78ELb1ELb1ELb0EfKffEEviiiT16_PT17_ilS6_ilS4_S6_ilPT18_ili26rocblas_geam_ex_operation_,@function
_ZN12_GLOBAL__N_120geam_min_plus_kernelIf15HIP_vector_typeIfLj2EES2_Li8ELi32ELi64ELi128ELi4ELi4ELi64ELi4ELi64ELc84ELc78ELb1ELb1ELb0EfKffEEviiiT16_PT17_ilS6_ilS4_S6_ilPT18_ili26rocblas_geam_ex_operation_: ; @_ZN12_GLOBAL__N_120geam_min_plus_kernelIf15HIP_vector_typeIfLj2EES2_Li8ELi32ELi64ELi128ELi4ELi4ELi64ELi4ELi64ELc84ELc78ELb1ELb1ELb0EfKffEEviiiT16_PT17_ilS6_ilS4_S6_ilPT18_ili26rocblas_geam_ex_operation_
; %bb.0:
	s_clause 0x1
	s_load_b128 s[16:19], s[0:1], 0x0
	s_load_b128 s[4:7], s[0:1], 0x20
	s_waitcnt lgkmcnt(0)
	v_cmp_eq_f32_e64 s2, s19, 0
	s_delay_alu instid0(VALU_DEP_1)
	s_and_b32 vcc_lo, exec_lo, s2
	s_cbranch_vccnz .LBB88_3
; %bb.1:
	s_load_b64 s[8:9], s[0:1], 0x10
	s_mul_i32 s3, s15, s5
	s_mul_hi_u32 s5, s15, s4
	s_mul_i32 s4, s15, s4
	s_add_i32 s5, s5, s3
	s_delay_alu instid0(SALU_CYCLE_1)
	s_lshl_b64 s[4:5], s[4:5], 2
	s_waitcnt lgkmcnt(0)
	s_add_u32 s8, s8, s4
	s_addc_u32 s9, s9, s5
	s_and_not1_b32 vcc_lo, exec_lo, s2
	s_cbranch_vccnz .LBB88_4
.LBB88_2:
	s_mov_b32 s21, 0
	s_mov_b64 s[12:13], 0
	s_cbranch_execz .LBB88_5
	s_branch .LBB88_6
.LBB88_3:
	s_mov_b64 s[8:9], 0
	s_and_not1_b32 vcc_lo, exec_lo, s2
	s_cbranch_vccz .LBB88_2
.LBB88_4:
	s_mov_b32 s21, -1
                                        ; implicit-def: $sgpr12_sgpr13
.LBB88_5:
	s_load_b64 s[2:3], s[0:1], 0x38
	s_mov_b32 s21, 0
	s_waitcnt lgkmcnt(0)
	s_mul_i32 s3, s15, s3
	s_mul_hi_u32 s4, s15, s2
	s_mul_i32 s2, s15, s2
	s_add_i32 s3, s4, s3
	s_delay_alu instid0(SALU_CYCLE_1) | instskip(NEXT) | instid1(SALU_CYCLE_1)
	s_lshl_b64 s[2:3], s[2:3], 2
	s_add_u32 s12, s6, s2
	s_addc_u32 s13, s7, s3
.LBB88_6:
	s_clause 0x1
	s_load_b32 s19, s[0:1], 0x40
	s_load_b128 s[4:7], s[0:1], 0x58
	s_waitcnt lgkmcnt(0)
	v_cmp_eq_f32_e64 s2, s19, 0
	v_cmp_neq_f32_e64 s20, s19, 0
	s_delay_alu instid0(VALU_DEP_2)
	s_and_b32 vcc_lo, exec_lo, s2
	s_cbranch_vccnz .LBB88_8
; %bb.7:
	s_load_b64 s[2:3], s[0:1], 0x48
	s_mul_i32 s5, s15, s5
	s_mul_hi_u32 s10, s15, s4
	s_delay_alu instid0(SALU_CYCLE_1) | instskip(SKIP_3) | instid1(SALU_CYCLE_1)
	s_add_i32 s5, s10, s5
	s_mul_i32 s10, s21, s4
	s_mul_i32 s4, s15, s4
	s_add_i32 s5, s5, s10
	s_lshl_b64 s[4:5], s[4:5], 2
	s_waitcnt lgkmcnt(0)
	s_add_u32 s10, s2, s4
	s_addc_u32 s11, s3, s5
	s_branch .LBB88_9
.LBB88_8:
	s_mov_b64 s[10:11], 0
.LBB88_9:
	s_add_i32 s2, s16, -1
	v_and_b32_e32 v50, 0x3ff, v0
	s_ashr_i32 s3, s2, 31
	v_bfe_u32 v51, v0, 10, 10
	s_lshr_b32 s3, s3, 26
	s_load_b32 s25, s[0:1], 0x18
	s_add_i32 s2, s2, s3
	v_and_b32_e32 v48, 3, v50
	s_ashr_i32 s2, s2, 6
	v_lshl_add_u32 v0, v51, 3, v50
	s_add_i32 s4, s2, 1
	s_not_b32 s2, s2
	v_cvt_f32_u32_e32 v1, s4
	v_lshlrev_b32_e32 v52, 2, v48
	v_lshrrev_b32_e32 v2, 2, v0
	s_delay_alu instid0(VALU_DEP_3) | instskip(SKIP_2) | instid1(VALU_DEP_1)
	v_rcp_iflag_f32_e32 v1, v1
	s_waitcnt_depctr 0xfff
	v_mul_f32_e32 v1, 0x4f7ffffe, v1
	v_cvt_u32_f32_e32 v1, v1
	s_delay_alu instid0(VALU_DEP_1) | instskip(NEXT) | instid1(VALU_DEP_1)
	v_readfirstlane_b32 s3, v1
                                        ; implicit-def: $vgpr0_vgpr1
	s_mul_i32 s2, s2, s3
	s_delay_alu instid0(SALU_CYCLE_1) | instskip(NEXT) | instid1(SALU_CYCLE_1)
	s_mul_hi_u32 s2, s3, s2
	s_add_i32 s3, s3, s2
	s_delay_alu instid0(SALU_CYCLE_1) | instskip(NEXT) | instid1(SALU_CYCLE_1)
	s_mul_hi_u32 s2, s14, s3
	s_mul_i32 s3, s2, s4
	s_add_i32 s5, s2, 1
	s_sub_i32 s3, s14, s3
	s_delay_alu instid0(SALU_CYCLE_1)
	s_sub_i32 s22, s3, s4
	s_cmp_ge_u32 s3, s4
	s_cselect_b32 s2, s5, s2
	s_cselect_b32 s3, s22, s3
	s_add_i32 s5, s2, 1
	s_cmp_ge_u32 s3, s4
	s_cselect_b32 s3, s5, s2
	s_delay_alu instid0(SALU_CYCLE_1) | instskip(SKIP_2) | instid1(SALU_CYCLE_1)
	s_mul_i32 s26, s3, s4
	v_cmp_le_i32_e64 s4, s18, v48
	s_sub_i32 s2, s14, s26
	s_lshl_b32 s22, s2, 6
	s_delay_alu instid0(SALU_CYCLE_1) | instskip(NEXT) | instid1(VALU_DEP_1)
	v_add_nc_u32_e32 v8, s22, v2
	v_cmp_le_i32_e32 vcc_lo, s16, v8
	s_or_b32 s2, s4, vcc_lo
	s_delay_alu instid0(SALU_CYCLE_1) | instskip(NEXT) | instid1(SALU_CYCLE_1)
	s_xor_b32 s2, s2, -1
	s_and_saveexec_b32 s5, s2
	s_delay_alu instid0(SALU_CYCLE_1)
	s_xor_b32 s5, exec_lo, s5
	s_cbranch_execz .LBB88_11
; %bb.10:
	s_waitcnt lgkmcnt(0)
	v_mad_i64_i32 v[0:1], null, v8, s25, 0
	v_mov_b32_e32 v49, 0
	s_delay_alu instid0(VALU_DEP_2) | instskip(NEXT) | instid1(VALU_DEP_1)
	v_lshlrev_b64 v[0:1], 2, v[0:1]
	v_add_co_u32 v0, s2, s8, v0
	s_delay_alu instid0(VALU_DEP_1) | instskip(NEXT) | instid1(VALU_DEP_2)
	v_add_co_ci_u32_e64 v1, s2, s9, v1, s2
	v_add_co_u32 v3, s2, v0, v52
	s_delay_alu instid0(VALU_DEP_1)
	v_add_co_ci_u32_e64 v4, s2, 0, v1, s2
	v_dual_mov_b32 v0, v48 :: v_dual_mov_b32 v1, v49
	flat_load_b32 v49, v[3:4]
.LBB88_11:
	s_and_not1_saveexec_b32 s2, s5
	s_cbranch_execz .LBB88_13
; %bb.12:
	s_waitcnt vmcnt(0) lgkmcnt(0)
	v_mov_b32_e32 v49, 0
	s_delay_alu instid0(VALU_DEP_1)
	v_dual_mov_b32 v0, v48 :: v_dual_mov_b32 v1, v49
.LBB88_13:
	s_or_b32 exec_lo, exec_lo, s2
	s_load_b32 s27, s[0:1], 0x30
	s_lshl_b32 s23, s3, 7
	s_delay_alu instid0(VALU_DEP_1) | instskip(SKIP_2) | instid1(VALU_DEP_3)
	v_lshlrev_b64 v[0:1], 2, v[0:1]
	v_dual_mov_b32 v6, 0 :: v_dual_add_nc_u32 v3, s23, v2
	v_mov_b32_e32 v7, 0
	v_add_co_u32 v0, s3, s12, v0
	s_delay_alu instid0(VALU_DEP_3) | instskip(SKIP_1) | instid1(VALU_DEP_2)
	v_cmp_le_i32_e64 s2, s17, v3
	v_add_co_ci_u32_e64 v1, s3, s13, v1, s3
	s_or_b32 s3, s4, s2
	s_delay_alu instid0(SALU_CYCLE_1) | instskip(NEXT) | instid1(SALU_CYCLE_1)
	s_xor_b32 s3, s3, -1
	s_and_saveexec_b32 s5, s3
	s_cbranch_execz .LBB88_15
; %bb.14:
	s_waitcnt lgkmcnt(0)
	v_mad_i64_i32 v[4:5], null, v3, s27, 0
	s_delay_alu instid0(VALU_DEP_1) | instskip(NEXT) | instid1(VALU_DEP_1)
	v_lshlrev_b64 v[4:5], 2, v[4:5]
	v_add_co_u32 v4, s3, v0, v4
	s_delay_alu instid0(VALU_DEP_1)
	v_add_co_ci_u32_e64 v5, s3, v1, v5, s3
	flat_load_b32 v7, v[4:5]
.LBB88_15:
	s_or_b32 exec_lo, exec_lo, s5
	v_add_nc_u32_e32 v4, 64, v3
	s_delay_alu instid0(VALU_DEP_1) | instskip(NEXT) | instid1(VALU_DEP_1)
	v_cmp_le_i32_e64 s3, s17, v4
	s_or_b32 s4, s4, s3
	s_delay_alu instid0(SALU_CYCLE_1) | instskip(NEXT) | instid1(SALU_CYCLE_1)
	s_xor_b32 s4, s4, -1
	s_and_saveexec_b32 s5, s4
	s_cbranch_execz .LBB88_17
; %bb.16:
	s_waitcnt lgkmcnt(0)
	v_mad_i64_i32 v[5:6], null, v4, s27, 0
	s_delay_alu instid0(VALU_DEP_1) | instskip(NEXT) | instid1(VALU_DEP_1)
	v_lshlrev_b64 v[5:6], 2, v[5:6]
	v_add_co_u32 v0, s4, v0, v5
	s_delay_alu instid0(VALU_DEP_1)
	v_add_co_ci_u32_e64 v1, s4, v1, v6, s4
	flat_load_b32 v6, v[0:1]
.LBB88_17:
	s_or_b32 exec_lo, exec_lo, s5
	v_or_b32_e32 v0, 4, v48
                                        ; implicit-def: $vgpr5
	s_delay_alu instid0(VALU_DEP_1) | instskip(NEXT) | instid1(VALU_DEP_1)
	v_cmp_le_i32_e64 s4, s18, v0
	s_or_b32 s5, s4, vcc_lo
	s_delay_alu instid0(SALU_CYCLE_1) | instskip(NEXT) | instid1(SALU_CYCLE_1)
	s_xor_b32 s5, s5, -1
	s_and_saveexec_b32 s24, s5
	s_delay_alu instid0(SALU_CYCLE_1)
	s_xor_b32 s24, exec_lo, s24
	s_cbranch_execz .LBB88_19
; %bb.18:
	s_waitcnt lgkmcnt(0)
	v_mad_i64_i32 v[9:10], null, v8, s25, 0
	s_delay_alu instid0(VALU_DEP_1) | instskip(NEXT) | instid1(VALU_DEP_1)
	v_lshlrev_b64 v[8:9], 2, v[9:10]
	v_add_co_u32 v1, s5, s8, v8
	s_delay_alu instid0(VALU_DEP_1) | instskip(NEXT) | instid1(VALU_DEP_2)
	v_add_co_ci_u32_e64 v5, s5, s9, v9, s5
	v_add_co_u32 v8, s5, v1, v52
	s_delay_alu instid0(VALU_DEP_1)
	v_add_co_ci_u32_e64 v9, s5, 0, v5, s5
	v_mov_b32_e32 v1, 0
	flat_load_b32 v5, v[8:9] offset:16
.LBB88_19:
	s_and_not1_saveexec_b32 s5, s24
	s_cbranch_execz .LBB88_21
; %bb.20:
	v_mov_b32_e32 v1, 0
	s_waitcnt vmcnt(0) lgkmcnt(0)
	s_delay_alu instid0(VALU_DEP_1)
	v_mov_b32_e32 v5, v1
.LBB88_21:
	s_or_b32 exec_lo, exec_lo, s5
	v_lshlrev_b64 v[8:9], 2, v[0:1]
	v_dual_mov_b32 v0, 0 :: v_dual_mov_b32 v1, 0
	s_delay_alu instid0(VALU_DEP_2) | instskip(NEXT) | instid1(VALU_DEP_1)
	v_add_co_u32 v8, s5, s12, v8
	v_add_co_ci_u32_e64 v9, s5, s13, v9, s5
	s_or_b32 s5, s4, s2
	s_delay_alu instid0(SALU_CYCLE_1) | instskip(NEXT) | instid1(SALU_CYCLE_1)
	s_xor_b32 s5, s5, -1
	s_and_saveexec_b32 s24, s5
	s_cbranch_execz .LBB88_23
; %bb.22:
	s_waitcnt lgkmcnt(0)
	v_mad_i64_i32 v[10:11], null, v3, s27, 0
	s_delay_alu instid0(VALU_DEP_1) | instskip(NEXT) | instid1(VALU_DEP_1)
	v_lshlrev_b64 v[10:11], 2, v[10:11]
	v_add_co_u32 v10, s5, v8, v10
	s_delay_alu instid0(VALU_DEP_1)
	v_add_co_ci_u32_e64 v11, s5, v9, v11, s5
	flat_load_b32 v1, v[10:11]
.LBB88_23:
	s_or_b32 exec_lo, exec_lo, s24
	s_or_b32 s4, s4, s3
	s_delay_alu instid0(SALU_CYCLE_1) | instskip(NEXT) | instid1(SALU_CYCLE_1)
	s_xor_b32 s4, s4, -1
	s_and_saveexec_b32 s5, s4
	s_cbranch_execz .LBB88_25
; %bb.24:
	s_waitcnt lgkmcnt(0)
	v_mad_i64_i32 v[10:11], null, v4, s27, 0
	s_delay_alu instid0(VALU_DEP_1) | instskip(NEXT) | instid1(VALU_DEP_1)
	v_lshlrev_b64 v[10:11], 2, v[10:11]
	v_add_co_u32 v8, s4, v8, v10
	s_delay_alu instid0(VALU_DEP_1)
	v_add_co_ci_u32_e64 v9, s4, v9, v11, s4
	flat_load_b32 v0, v[8:9]
.LBB88_25:
	s_or_b32 exec_lo, exec_lo, s5
	v_lshl_or_b32 v55, v2, 4, v52
	v_lshlrev_b32_e32 v54, 4, v51
	v_lshlrev_b32_e32 v53, 4, v50
	s_mov_b32 s24, 0
	s_cmp_lt_i32 s18, 9
	s_waitcnt vmcnt(0) lgkmcnt(0)
	ds_store_b32 v55, v49 offset:4096
	ds_store_2addr_stride64_b32 v55, v7, v6 offset1:4
	s_waitcnt lgkmcnt(0)
	s_barrier
	buffer_gl0_inv
	ds_load_b128 v[6:9], v54
	ds_load_b128 v[10:13], v53 offset:4096
	ds_load_b128 v[14:17], v53 offset:4224
	;; [unrolled: 1-line block ×11, first 2 shown]
	ds_store_b32 v55, v5 offset:5120
	ds_store_2addr_stride64_b32 v55, v1, v0 offset0:8 offset1:12
	s_waitcnt lgkmcnt(0)
	s_barrier
	buffer_gl0_inv
	v_dual_max_f32 v6, v6, v6 :: v_dual_max_f32 v7, v7, v7
	v_dual_max_f32 v10, v10, v10 :: v_dual_max_f32 v11, v11, v11
	;; [unrolled: 1-line block ×3, first 2 shown]
	v_max_f32_e32 v18, v18, v18
	s_delay_alu instid0(VALU_DEP_3)
	v_dual_min_f32 v46, v10, v6 :: v_dual_max_f32 v19, v19, v19
	v_dual_max_f32 v22, v22, v22 :: v_dual_max_f32 v23, v23, v23
	v_dual_max_f32 v26, v26, v26 :: v_dual_max_f32 v27, v27, v27
	;; [unrolled: 1-line block ×7, first 2 shown]
	v_min_f32_e32 v47, v11, v7
	v_dual_min_f32 v49, v14, v6 :: v_dual_min_f32 v64, v15, v7
	v_dual_min_f32 v65, v18, v6 :: v_dual_min_f32 v66, v19, v7
	;; [unrolled: 1-line block ×6, first 2 shown]
	v_dual_min_f32 v6, v38, v6 :: v_dual_max_f32 v39, v39, v39
	v_dual_max_f32 v8, v8, v8 :: v_dual_max_f32 v13, v13, v13
	v_dual_max_f32 v12, v12, v12 :: v_dual_min_f32 v75, v10, v42
	v_dual_max_f32 v16, v16, v16 :: v_dual_max_f32 v17, v17, v17
	v_dual_min_f32 v76, v11, v43 :: v_dual_max_f32 v21, v21, v21
	v_min_f32_e32 v78, v15, v43
	v_dual_min_f32 v86, v10, v56 :: v_dual_max_f32 v57, v57, v57
	v_dual_max_f32 v44, v44, v44 :: v_dual_max_f32 v117, v59, v59
	v_dual_min_f32 v88, v18, v56 :: v_dual_max_f32 v59, v61, v61
	v_dual_max_f32 v100, v58, v58 :: v_dual_max_f32 v123, v63, v63
	v_dual_max_f32 v58, v60, v60 :: v_dual_min_f32 v91, v31, v43
	v_min_f32_e32 v7, v39, v7
	v_dual_min_f32 v77, v14, v42 :: v_dual_max_f32 v20, v20, v20
	v_dual_min_f32 v79, v18, v42 :: v_dual_max_f32 v24, v24, v24
	v_dual_max_f32 v25, v25, v25 :: v_dual_min_f32 v80, v19, v43
	v_dual_min_f32 v81, v22, v42 :: v_dual_max_f32 v28, v28, v28
	v_dual_max_f32 v29, v29, v29 :: v_dual_min_f32 v82, v23, v43
	;; [unrolled: 2-line block ×3, first 2 shown]
	v_dual_max_f32 v36, v36, v36 :: v_dual_min_f32 v85, v34, v42
	v_dual_min_f32 v42, v38, v42 :: v_dual_max_f32 v41, v41, v41
	v_dual_min_f32 v87, v14, v56 :: v_dual_min_f32 v90, v27, v43
	v_dual_min_f32 v89, v22, v56 :: v_dual_min_f32 v92, v35, v43
	v_dual_max_f32 v122, v62, v62 :: v_dual_min_f32 v43, v39, v43
	v_dual_min_f32 v124, v26, v56 :: v_dual_min_f32 v93, v11, v57
	v_dual_min_f32 v125, v30, v56 :: v_dual_min_f32 v94, v15, v57
	;; [unrolled: 1-line block ×11, first 2 shown]
	v_min_f32_e32 v38, v38, v58
	v_dual_min_f32 v130, v31, v57 :: v_dual_add_f32 v47, 0, v47
	v_dual_min_f32 v132, v39, v57 :: v_dual_min_f32 v57, v12, v8
	v_min_f32_e32 v31, v31, v59
	v_dual_min_f32 v35, v35, v59 :: v_dual_min_f32 v56, v13, v9
	v_dual_min_f32 v39, v39, v59 :: v_dual_add_f32 v46, 0, v46
	v_dual_add_f32 v58, 0, v64 :: v_dual_min_f32 v59, v17, v9
	v_dual_add_f32 v49, 0, v49 :: v_dual_min_f32 v60, v16, v8
	;; [unrolled: 1-line block ×3, first 2 shown]
	s_delay_alu instid0(VALU_DEP_4) | instskip(NEXT) | instid1(VALU_DEP_3)
	v_dual_add_f32 v121, v47, v56 :: v_dual_add_f32 v120, v46, v57
	v_dual_add_f32 v118, v58, v59 :: v_dual_add_f32 v119, v49, v60
	s_delay_alu instid0(VALU_DEP_3) | instskip(SKIP_3) | instid1(VALU_DEP_3)
	v_dual_add_f32 v56, v61, v62 :: v_dual_min_f32 v47, v20, v8
	v_dual_add_f32 v46, 0, v65 :: v_dual_add_f32 v49, 0, v68
	v_dual_min_f32 v58, v25, v9 :: v_dual_add_f32 v59, 0, v67
	v_dual_min_f32 v60, v24, v8 :: v_dual_add_f32 v61, 0, v70
	v_dual_min_f32 v62, v29, v9 :: v_dual_add_f32 v57, v46, v47
	v_dual_add_f32 v63, 0, v69 :: v_dual_min_f32 v64, v28, v8
	v_dual_max_f32 v40, v40, v40 :: v_dual_max_f32 v45, v45, v45
	s_delay_alu instid0(VALU_DEP_4) | instskip(NEXT) | instid1(VALU_DEP_3)
	v_dual_add_f32 v58, v49, v58 :: v_dual_add_f32 v59, v59, v60
	v_dual_add_f32 v60, v61, v62 :: v_dual_add_f32 v61, v63, v64
	v_dual_add_f32 v46, 0, v72 :: v_dual_min_f32 v47, v33, v9
	v_dual_add_f32 v49, 0, v71 :: v_dual_min_f32 v62, v32, v8
	;; [unrolled: 1-line block ×4, first 2 shown]
	s_delay_alu instid0(VALU_DEP_3) | instskip(SKIP_1) | instid1(VALU_DEP_4)
	v_dual_add_f32 v7, 0, v7 :: v_dual_add_f32 v62, v49, v62
	v_dual_min_f32 v9, v41, v9 :: v_dual_add_f32 v6, 0, v6
	v_dual_add_f32 v63, v46, v47 :: v_dual_add_f32 v64, v64, v65
	s_delay_alu instid0(VALU_DEP_4) | instskip(NEXT) | instid1(VALU_DEP_3)
	v_add_f32_e32 v65, v66, v67
	v_dual_add_f32 v115, v7, v9 :: v_dual_add_f32 v46, 0, v75
	v_dual_min_f32 v7, v40, v8 :: v_dual_min_f32 v66, v17, v45
	v_dual_add_f32 v8, 0, v76 :: v_dual_min_f32 v9, v13, v45
	v_min_f32_e32 v68, v16, v44
	s_delay_alu instid0(VALU_DEP_3) | instskip(NEXT) | instid1(VALU_DEP_3)
	v_dual_min_f32 v47, v12, v44 :: v_dual_add_f32 v116, v6, v7
	v_dual_add_f32 v49, 0, v78 :: v_dual_add_f32 v114, v8, v9
	v_dual_add_f32 v67, 0, v77 :: v_dual_add_f32 v6, 0, v80
	s_delay_alu instid0(VALU_DEP_3) | instskip(NEXT) | instid1(VALU_DEP_3)
	v_add_f32_e32 v113, v46, v47
	v_dual_add_f32 v111, v49, v66 :: v_dual_add_f32 v8, 0, v79
	s_delay_alu instid0(VALU_DEP_3) | instskip(SKIP_3) | instid1(VALU_DEP_4)
	v_dual_add_f32 v112, v67, v68 :: v_dual_min_f32 v7, v21, v45
	v_dual_add_f32 v46, 0, v82 :: v_dual_min_f32 v9, v20, v44
	v_min_f32_e32 v68, v29, v45
	v_dual_min_f32 v47, v25, v45 :: v_dual_min_f32 v66, v24, v44
	v_dual_add_f32 v49, 0, v81 :: v_dual_add_f32 v110, v6, v7
	v_dual_add_f32 v67, 0, v90 :: v_dual_add_f32 v6, 0, v83
	s_delay_alu instid0(VALU_DEP_2) | instskip(NEXT) | instid1(VALU_DEP_4)
	v_dual_add_f32 v109, v8, v9 :: v_dual_add_f32 v108, v49, v66
	v_dual_add_f32 v107, v46, v47 :: v_dual_add_f32 v46, 0, v84
	s_delay_alu instid0(VALU_DEP_3) | instskip(SKIP_2) | instid1(VALU_DEP_2)
	v_dual_add_f32 v105, v67, v68 :: v_dual_add_f32 v8, 0, v91
	v_dual_min_f32 v7, v28, v44 :: v_dual_min_f32 v66, v37, v45
	v_dual_min_f32 v9, v33, v45 :: v_dual_min_f32 v68, v36, v44
	v_dual_min_f32 v47, v32, v44 :: v_dual_add_f32 v106, v6, v7
	s_delay_alu instid0(VALU_DEP_2) | instskip(SKIP_1) | instid1(VALU_DEP_3)
	v_dual_add_f32 v49, 0, v92 :: v_dual_add_f32 v104, v8, v9
	v_dual_add_f32 v67, 0, v85 :: v_dual_add_f32 v6, 0, v43
	v_add_f32_e32 v103, v46, v47
	s_delay_alu instid0(VALU_DEP_3)
	v_add_f32_e32 v101, v49, v66
	v_dual_min_f32 v7, v41, v45 :: v_dual_add_f32 v8, 0, v42
	v_dual_min_f32 v9, v40, v44 :: v_dual_add_f32 v44, 0, v86
	v_add_f32_e32 v42, 0, v93
	v_dual_min_f32 v43, v13, v117 :: v_dual_add_f32 v46, 0, v94
	v_min_f32_e32 v47, v17, v117
	s_delay_alu instid0(VALU_DEP_4) | instskip(SKIP_1) | instid1(VALU_DEP_3)
	v_dual_add_f32 v99, v6, v7 :: v_dual_add_f32 v98, v8, v9
	v_dual_add_f32 v6, 0, v87 :: v_dual_min_f32 v45, v12, v100
	v_add_f32_e32 v94, v46, v47
	v_add_f32_e32 v97, v42, v43
	v_dual_min_f32 v7, v16, v100 :: v_dual_add_f32 v8, 0, v95
	v_dual_min_f32 v9, v21, v117 :: v_dual_add_f32 v42, 0, v88
	;; [unrolled: 1-line block ×3, first 2 shown]
	v_min_f32_e32 v47, v24, v100
	v_add_f32_e32 v96, v44, v45
	v_dual_add_f32 v44, 0, v128 :: v_dual_min_f32 v45, v25, v117
	v_dual_add_f32 v95, v6, v7 :: v_dual_add_f32 v92, v8, v9
	s_delay_alu instid0(VALU_DEP_4)
	v_dual_add_f32 v6, 0, v129 :: v_dual_add_f32 v91, v46, v47
	v_dual_add_f32 v8, 0, v124 :: v_dual_min_f32 v7, v29, v117
	v_min_f32_e32 v9, v28, v100
	v_dual_add_f32 v93, v42, v43 :: v_dual_add_f32 v90, v44, v45
	v_dual_add_f32 v42, 0, v130 :: v_dual_min_f32 v43, v33, v117
	v_add_f32_e32 v46, 0, v131
	v_add_f32_e32 v44, 0, v125
	v_min_f32_e32 v47, v37, v117
	v_dual_add_f32 v89, v6, v7 :: v_dual_add_f32 v88, v8, v9
	v_dual_add_f32 v6, 0, v126 :: v_dual_min_f32 v7, v36, v100
	v_dual_add_f32 v8, 0, v132 :: v_dual_min_f32 v9, v41, v117
	s_delay_alu instid0(VALU_DEP_4)
	v_dual_min_f32 v45, v32, v100 :: v_dual_add_f32 v84, v46, v47
	v_add_f32_e32 v87, v42, v43
	v_dual_add_f32 v42, 0, v127 :: v_dual_min_f32 v43, v40, v100
	v_dual_add_f32 v10, 0, v10 :: v_dual_add_f32 v11, 0, v11
	v_dual_min_f32 v12, v12, v122 :: v_dual_min_f32 v13, v13, v123
	v_add_f32_e32 v85, v6, v7
	s_delay_alu instid0(VALU_DEP_4)
	v_dual_add_f32 v83, v8, v9 :: v_dual_add_f32 v82, v42, v43
	v_dual_add_f32 v6, 0, v14 :: v_dual_add_f32 v7, 0, v15
	v_add_f32_e32 v9, 0, v19
	v_dual_add_f32 v19, 0, v35 :: v_dual_min_f32 v16, v16, v122
	v_dual_min_f32 v17, v17, v123 :: v_dual_min_f32 v20, v20, v122
	v_dual_add_f32 v80, v11, v13 :: v_dual_add_f32 v81, v10, v12
	v_add_f32_e32 v8, 0, v18
	v_dual_add_f32 v10, 0, v22 :: v_dual_add_f32 v11, 0, v23
	v_dual_add_f32 v14, 0, v30 :: v_dual_min_f32 v21, v21, v123
	v_dual_add_f32 v78, v6, v16 :: v_dual_add_f32 v79, v7, v17
	v_min_f32_e32 v6, v25, v123
	v_dual_add_f32 v12, 0, v26 :: v_dual_add_f32 v13, 0, v27
	v_dual_add_f32 v18, 0, v34 :: v_dual_add_f32 v15, 0, v31
	;; [unrolled: 1-line block ×4, first 2 shown]
	v_dual_min_f32 v8, v29, v123 :: v_dual_min_f32 v7, v24, v122
	v_min_f32_e32 v9, v28, v122
	v_add_f32_e32 v74, v11, v6
	v_min_f32_e32 v6, v33, v123
	s_delay_alu instid0(VALU_DEP_4) | instskip(SKIP_1) | instid1(VALU_DEP_3)
	v_dual_add_f32 v102, v67, v68 :: v_dual_add_f32 v75, v10, v7
	v_add_f32_e32 v86, v44, v45
	v_add_f32_e32 v70, v15, v6
	v_min_f32_e32 v6, v37, v123
	v_dual_add_f32 v73, v13, v8 :: v_dual_add_f32 v72, v12, v9
	v_min_f32_e32 v8, v36, v122
	v_min_f32_e32 v7, v32, v122
	v_dual_min_f32 v9, v41, v123 :: v_dual_min_f32 v10, v40, v122
	s_delay_alu instid0(VALU_DEP_3) | instskip(NEXT) | instid1(VALU_DEP_3)
	v_dual_add_f32 v69, v19, v6 :: v_dual_add_f32 v68, v18, v8
	v_add_f32_e32 v71, v14, v7
	s_delay_alu instid0(VALU_DEP_3)
	v_dual_add_f32 v67, v23, v9 :: v_dual_add_f32 v66, v22, v10
	s_cbranch_scc1 .LBB88_40
; %bb.26:
	v_lshl_add_u32 v0, s14, 6, v2
	s_lshl_b32 s4, s26, 6
	v_mad_i64_i32 v[5:6], null, s27, v3, 0
	v_add_nc_u32_e32 v49, 0x1000, v55
	s_delay_alu instid0(VALU_DEP_3)
	v_subrev_nc_u32_e32 v2, s4, v0
	v_add_nc_u32_e32 v100, 0x1000, v53
	v_add_nc_u32_e32 v117, 0x1400, v55
	;; [unrolled: 1-line block ×3, first 2 shown]
	v_lshl_add_u32 v123, v50, 4, 0x1400
	v_mad_i64_i32 v[0:1], null, s25, v2, 0
	v_mad_i64_i32 v[2:3], null, s27, v4, 0
	v_lshlrev_b64 v[4:5], 2, v[5:6]
	v_lshl_add_u32 v124, v51, 4, 0x800
	s_delay_alu instid0(VALU_DEP_4) | instskip(NEXT) | instid1(VALU_DEP_4)
	v_lshlrev_b64 v[0:1], 2, v[0:1]
	v_lshlrev_b64 v[2:3], 2, v[2:3]
	s_delay_alu instid0(VALU_DEP_2) | instskip(NEXT) | instid1(VALU_DEP_1)
	v_add_co_u32 v125, s4, s8, v0
	v_add_co_ci_u32_e64 v126, s4, s9, v1, s4
	v_add_co_u32 v127, s4, s12, v4
	s_delay_alu instid0(VALU_DEP_1) | instskip(SKIP_1) | instid1(VALU_DEP_1)
	v_add_co_ci_u32_e64 v128, s4, s13, v5, s4
	v_add_co_u32 v129, s4, s12, v2
	v_add_co_ci_u32_e64 v130, s4, s13, v3, s4
	s_add_i32 s8, s18, -8
	s_branch .LBB88_28
.LBB88_27:                              ;   in Loop: Header=BB88_28 Depth=1
	s_or_b32 exec_lo, exec_lo, s5
	v_dual_add_f32 v40, v121, v40 :: v_dual_add_f32 v33, v59, v33
	v_dual_add_f32 v28, v118, v28 :: v_dual_add_f32 v29, v57, v29
	v_dual_add_f32 v16, v61, v16 :: v_dual_add_f32 v21, v62, v21
	v_dual_add_f32 v20, v60, v20 :: v_dual_add_f32 v25, v65, v25
	v_dual_add_f32 v24, v63, v24 :: v_dual_add_f32 v9, v116, v9
	v_dual_add_f32 v8, v64, v8 :: v_dual_add_f32 v13, v113, v13
	v_dual_add_f32 v77, v77, v162 :: v_dual_add_f32 v74, v74, v165
	v_dual_add_f32 v75, v75, v164 :: v_dual_add_f32 v70, v70, v169
	v_dual_add_f32 v32, v56, v32 :: v_dual_add_f32 v37, v58, v37
	v_dual_add_f32 v12, v115, v12 :: v_dual_add_f32 v17, v114, v17
	v_dual_add_f32 v44, v112, v44 :: v_dual_add_f32 v45, v111, v45
	v_dual_add_f32 v56, v109, v133 :: v_dual_add_f32 v57, v110, v134
	v_dual_add_f32 v58, v108, v135 :: v_dual_add_f32 v59, v107, v136
	v_dual_add_f32 v62, v103, v139 :: v_dual_add_f32 v63, v104, v140
	v_dual_add_f32 v4, v101, v4 :: v_dual_add_f32 v5, v98, v5
	v_dual_add_f32 v1, v84, v1 :: v_dual_add_f32 v78, v78, v160
	v_dual_add_f32 v79, v79, v161 :: v_dual_add_f32 v72, v72, v166
	v_dual_add_f32 v69, v69, v171 :: v_dual_add_f32 v46, v67, v46
	v_dual_add_f32 v43, v66, v43 :: v_dual_add_f32 v84, v28, v34
	v_dual_add_f32 v101, v29, v30 :: v_dual_add_f32 v104, v20, v173
	v_add_f32_e32 v103, v33, v31
	v_dual_add_f32 v107, v21, v22 :: v_dual_add_f32 v108, v8, v183
	v_dual_add_f32 v109, v25, v23 :: v_dual_add_f32 v110, v12, v184
	;; [unrolled: 1-line block ×3, first 2 shown]
	ds_load_b128 v[20:23], v54
	ds_load_b128 v[28:31], v100
	v_add_f32_e32 v77, v77, v10
	v_dual_add_f32 v75, v75, v11 :: v_dual_add_f32 v72, v72, v2
	ds_load_b128 v[8:11], v100 offset:128
	v_dual_add_f32 v36, v120, v36 :: v_dual_add_f32 v41, v119, v41
	v_dual_add_f32 v60, v106, v137 :: v_dual_add_f32 v61, v105, v138
	;; [unrolled: 1-line block ×17, first 2 shown]
	s_waitcnt lgkmcnt(2)
	v_max_f32_e32 v20, v20, v20
	v_add_f32_e32 v120, v46, v19
	ds_load_b128 v[1:4], v100 offset:256
	ds_load_b128 v[12:15], v100 offset:384
	ds_load_b128 v[16:19], v100 offset:512
	ds_load_b128 v[24:27], v100 offset:640
	ds_load_b128 v[32:35], v54 offset:512
	s_waitcnt lgkmcnt(5)
	v_dual_max_f32 v21, v21, v21 :: v_dual_max_f32 v134, v8, v8
	v_dual_add_f32 v121, v43, v7 :: v_dual_max_f32 v28, v28, v28
	v_max_f32_e32 v29, v29, v29
	v_dual_add_f32 v67, v36, v38 :: v_dual_add_f32 v102, v37, v39
	s_delay_alu instid0(VALU_DEP_4)
	v_min_f32_e32 v136, v134, v20
	ds_load_b128 v[36:39], v100 offset:768
	ds_load_b128 v[40:43], v100 offset:896
	v_min_f32_e32 v135, v29, v21
	v_max_f32_e32 v9, v9, v9
	v_dual_add_f32 v114, v45, v186 :: v_dual_add_f32 v115, v44, v177
	v_add_f32_e32 v98, v98, v136
	s_delay_alu instid0(VALU_DEP_4) | instskip(SKIP_2) | instid1(VALU_DEP_2)
	v_dual_min_f32 v133, v28, v20 :: v_dual_add_f32 v66, v66, v135
	s_waitcnt lgkmcnt(5)
	v_dual_max_f32 v12, v12, v12 :: v_dual_max_f32 v1, v1, v1
	v_dual_max_f32 v2, v2, v2 :: v_dual_add_f32 v67, v67, v133
	s_waitcnt lgkmcnt(4)
	v_dual_min_f32 v133, v9, v21 :: v_dual_max_f32 v16, v16, v16
	s_delay_alu instid0(VALU_DEP_3) | instskip(NEXT) | instid1(VALU_DEP_2)
	v_dual_max_f32 v13, v13, v13 :: v_dual_min_f32 v136, v12, v20
	v_dual_min_f32 v135, v1, v20 :: v_dual_add_f32 v84, v84, v133
	s_waitcnt lgkmcnt(2)
	v_dual_max_f32 v25, v25, v25 :: v_dual_max_f32 v32, v32, v32
	s_delay_alu instid0(VALU_DEP_3)
	v_add_f32_e32 v103, v103, v136
	s_waitcnt lgkmcnt(1)
	v_dual_add_f32 v101, v101, v135 :: v_dual_max_f32 v36, v36, v36
	s_waitcnt lgkmcnt(0)
	v_dual_max_f32 v17, v17, v17 :: v_dual_max_f32 v40, v40, v40
	v_min_f32_e32 v136, v25, v21
	v_min_f32_e32 v135, v13, v21
	v_dual_min_f32 v133, v2, v21 :: v_dual_max_f32 v24, v24, v24
	v_dual_add_f32 v63, v63, v190 :: v_dual_add_f32 v118, v5, v191
	s_delay_alu instid0(VALU_DEP_4) | instskip(NEXT) | instid1(VALU_DEP_4)
	v_add_f32_e32 v106, v106, v136
	v_dual_add_f32 v102, v102, v135 :: v_dual_min_f32 v135, v17, v21
	ds_load_b128 v[5:8], v54 offset:1024
	ds_load_b128 v[44:47], v54 offset:1536
	v_add_f32_e32 v99, v99, v133
	v_min_f32_e32 v133, v16, v20
	v_dual_max_f32 v33, v33, v33 :: v_dual_add_f32 v104, v104, v135
	v_min_f32_e32 v135, v36, v20
	v_dual_add_f32 v57, v57, v187 :: v_dual_add_f32 v60, v60, v180
	v_dual_add_f32 v64, v64, v182 :: v_dual_add_f32 v65, v65, v200
	v_add_f32_e32 v105, v105, v133
	v_min_f32_e32 v133, v24, v20
	v_add_f32_e32 v109, v109, v135
	v_min_f32_e32 v135, v29, v33
	v_max_f32_e32 v37, v37, v37
	v_dual_add_f32 v93, v93, v147 :: v_dual_add_f32 v92, v92, v148
	v_add_f32_e32 v107, v107, v133
	v_dual_max_f32 v41, v41, v41 :: v_dual_min_f32 v20, v40, v20
	s_delay_alu instid0(VALU_DEP_4) | instskip(SKIP_4) | instid1(VALU_DEP_4)
	v_dual_add_f32 v112, v112, v135 :: v_dual_min_f32 v133, v37, v21
	v_min_f32_e32 v135, v12, v32
	v_dual_add_f32 v95, v95, v145 :: v_dual_add_f32 v94, v94, v146
	v_dual_add_f32 v59, v59, v188 :: v_dual_add_f32 v62, v62, v181
	;; [unrolled: 1-line block ×4, first 2 shown]
	v_min_f32_e32 v58, v24, v32
	v_add_f32_e32 v108, v108, v133
	v_min_f32_e32 v21, v41, v21
	s_waitcnt lgkmcnt(1)
	v_dual_min_f32 v133, v28, v32 :: v_dual_max_f32 v6, v6, v6
	v_max_f32_e32 v5, v5, v5
	v_min_f32_e32 v111, v134, v32
	v_dual_add_f32 v94, v94, v202 :: v_dual_add_f32 v95, v95, v193
	v_add_f32_e32 v142, v62, v58
	v_add_f32_e32 v21, v110, v21
	s_delay_alu instid0(VALU_DEP_4) | instskip(SKIP_3) | instid1(VALU_DEP_3)
	v_dual_add_f32 v110, v113, v133 :: v_dual_add_f32 v133, v115, v111
	v_dual_min_f32 v58, v134, v5 :: v_dual_min_f32 v111, v1, v32
	v_dual_add_f32 v96, v96, v143 :: v_dual_add_f32 v97, v97, v144
	v_dual_add_f32 v91, v91, v149 :: v_dual_add_f32 v90, v90, v150
	v_add_f32_e32 v95, v95, v58
	s_delay_alu instid0(VALU_DEP_4) | instskip(NEXT) | instid1(VALU_DEP_4)
	v_dual_min_f32 v58, v2, v6 :: v_dual_add_f32 v137, v56, v111
	v_dual_min_f32 v56, v16, v32 :: v_dual_add_f32 v97, v97, v201
	v_add_f32_e32 v96, v96, v192
	v_dual_add_f32 v88, v88, v151 :: v_dual_add_f32 v89, v89, v152
	s_delay_alu instid0(VALU_DEP_3) | instskip(SKIP_3) | instid1(VALU_DEP_3)
	v_add_f32_e32 v140, v60, v56
	v_min_f32_e32 v56, v36, v32
	v_dual_min_f32 v32, v40, v32 :: v_dual_min_f32 v113, v9, v33
	v_dual_add_f32 v86, v86, v153 :: v_dual_add_f32 v87, v87, v154
	v_add_f32_e32 v144, v64, v56
	v_min_f32_e32 v56, v28, v5
	v_min_f32_e32 v115, v2, v33
	v_add_f32_e32 v32, v118, v32
	v_add_f32_e32 v136, v114, v113
	v_dual_add_f32 v90, v90, v204 :: v_dual_add_f32 v91, v91, v195
	v_add_f32_e32 v96, v96, v56
	v_min_f32_e32 v56, v9, v6
	v_min_f32_e32 v113, v13, v33
	v_dual_add_f32 v89, v89, v205 :: v_dual_add_f32 v88, v88, v196
	v_dual_add_f32 v87, v87, v206 :: v_dual_add_f32 v86, v86, v197
	s_delay_alu instid0(VALU_DEP_4) | instskip(NEXT) | instid1(VALU_DEP_4)
	v_add_f32_e32 v94, v94, v56
	v_dual_min_f32 v56, v13, v6 :: v_dual_add_f32 v139, v59, v113
	s_waitcnt lgkmcnt(0)
	v_dual_min_f32 v59, v25, v33 :: v_dual_max_f32 v44, v44, v44
	v_add_f32_e32 v138, v57, v115
	v_add_f32_e32 v92, v92, v58
	s_delay_alu instid0(VALU_DEP_3) | instskip(SKIP_4) | instid1(VALU_DEP_4)
	v_dual_add_f32 v90, v90, v56 :: v_dual_add_f32 v143, v63, v59
	v_min_f32_e32 v56, v17, v6
	v_min_f32_e32 v58, v24, v5
	;; [unrolled: 1-line block ×3, first 2 shown]
	v_dual_add_f32 v83, v83, v157 :: v_dual_add_f32 v80, v80, v159
	v_dual_add_f32 v89, v89, v56 :: v_dual_max_f32 v30, v30, v30
	s_delay_alu instid0(VALU_DEP_4)
	v_add_f32_e32 v86, v86, v58
	v_min_f32_e32 v56, v37, v6
	v_add_f32_e32 v141, v61, v57
	v_dual_min_f32 v57, v37, v33 :: v_dual_min_f32 v28, v28, v44
	v_dual_add_f32 v83, v83, v211 :: v_dual_add_f32 v78, v78, v209
	v_dual_max_f32 v45, v45, v45 :: v_dual_min_f32 v24, v24, v44
	s_delay_alu instid0(VALU_DEP_3) | instskip(SKIP_2) | instid1(VALU_DEP_4)
	v_dual_add_f32 v145, v116, v57 :: v_dual_add_f32 v146, v119, v56
	v_dual_min_f32 v56, v134, v44 :: v_dual_min_f32 v57, v29, v6
	v_dual_min_f32 v59, v12, v5 :: v_dual_add_f32 v28, v81, v28
	v_min_f32_e32 v2, v2, v45
	s_delay_alu instid0(VALU_DEP_3) | instskip(SKIP_1) | instid1(VALU_DEP_4)
	v_dual_add_f32 v78, v78, v56 :: v_dual_add_f32 v97, v97, v57
	v_min_f32_e32 v57, v1, v5
	v_add_f32_e32 v91, v91, v59
	v_min_f32_e32 v59, v25, v6
	v_min_f32_e32 v6, v41, v6
	v_dual_min_f32 v33, v41, v33 :: v_dual_min_f32 v12, v12, v44
	v_dual_add_f32 v2, v76, v2 :: v_dual_add_f32 v93, v93, v57
	v_dual_min_f32 v57, v16, v5 :: v_dual_add_f32 v24, v71, v24
	s_delay_alu instid0(VALU_DEP_3) | instskip(SKIP_1) | instid1(VALU_DEP_3)
	v_dual_add_f32 v6, v83, v6 :: v_dual_add_f32 v33, v65, v33
	v_dual_add_f32 v85, v85, v198 :: v_dual_add_f32 v80, v80, v212
	v_add_f32_e32 v88, v88, v57
	v_dual_min_f32 v57, v36, v5 :: v_dual_max_f32 v22, v22, v22
	v_dual_max_f32 v23, v23, v23 :: v_dual_max_f32 v26, v26, v26
	v_max_f32_e32 v31, v31, v31
	s_delay_alu instid0(VALU_DEP_3)
	v_dual_add_f32 v85, v85, v57 :: v_dual_min_f32 v36, v36, v44
	v_min_f32_e32 v5, v40, v5
	v_dual_min_f32 v29, v29, v45 :: v_dual_min_f32 v40, v40, v44
	v_min_f32_e32 v9, v9, v45
	v_dual_min_f32 v1, v1, v44 :: v_dual_max_f32 v10, v10, v10
	v_min_f32_e32 v16, v16, v44
	s_delay_alu instid0(VALU_DEP_4) | instskip(SKIP_1) | instid1(VALU_DEP_4)
	v_dual_min_f32 v44, v31, v23 :: v_dual_add_f32 v29, v80, v29
	v_add_f32_e32 v40, v121, v40
	v_add_f32_e32 v1, v77, v1
	v_max_f32_e32 v3, v3, v3
	s_delay_alu instid0(VALU_DEP_4) | instskip(SKIP_3) | instid1(VALU_DEP_3)
	v_add_f32_e32 v121, v66, v44
	v_dual_min_f32 v44, v10, v22 :: v_dual_min_f32 v25, v25, v45
	v_dual_max_f32 v19, v19, v19 :: v_dual_max_f32 v42, v42, v42
	v_max_f32_e32 v27, v27, v27
	v_dual_add_f32 v119, v98, v44 :: v_dual_min_f32 v44, v3, v22
	s_delay_alu instid0(VALU_DEP_4)
	v_add_f32_e32 v25, v70, v25
	v_min_f32_e32 v41, v41, v45
	v_max_f32_e32 v15, v15, v15
	v_min_f32_e32 v37, v37, v45
	v_dual_add_f32 v57, v101, v44 :: v_dual_max_f32 v34, v34, v34
	v_min_f32_e32 v44, v19, v23
	v_dual_max_f32 v38, v38, v38 :: v_dual_add_f32 v9, v79, v9
	v_dual_max_f32 v4, v4, v4 :: v_dual_min_f32 v17, v17, v45
	v_max_f32_e32 v14, v14, v14
	s_delay_alu instid0(VALU_DEP_4)
	v_add_f32_e32 v60, v104, v44
	v_dual_min_f32 v44, v27, v23 :: v_dual_add_f32 v41, v120, v41
	v_dual_max_f32 v11, v11, v11 :: v_dual_min_f32 v62, v26, v22
	v_dual_min_f32 v13, v13, v45 :: v_dual_min_f32 v58, v15, v23
	v_dual_add_f32 v37, v69, v37 :: v_dual_max_f32 v18, v18, v18
	v_max_f32_e32 v35, v35, v35
	v_min_f32_e32 v45, v30, v22
	v_add_f32_e32 v63, v106, v44
	v_min_f32_e32 v44, v38, v22
	v_dual_min_f32 v56, v11, v23 :: v_dual_add_f32 v13, v74, v13
	v_add_f32_e32 v62, v107, v62
	v_dual_add_f32 v87, v87, v59 :: v_dual_add_f32 v16, v72, v16
	s_delay_alu instid0(VALU_DEP_4) | instskip(SKIP_2) | instid1(VALU_DEP_3)
	v_dual_add_f32 v65, v109, v44 :: v_dual_min_f32 v44, v31, v35
	v_dual_add_f32 v120, v67, v45 :: v_dual_min_f32 v45, v4, v23
	v_dual_add_f32 v118, v84, v56 :: v_dual_max_f32 v39, v39, v39
	v_dual_add_f32 v114, v112, v44 :: v_dual_max_f32 v43, v43, v43
	s_delay_alu instid0(VALU_DEP_3) | instskip(SKIP_2) | instid1(VALU_DEP_3)
	v_dual_add_f32 v56, v99, v45 :: v_dual_min_f32 v45, v14, v22
	v_dual_max_f32 v8, v8, v8 :: v_dual_add_f32 v17, v73, v17
	v_dual_add_f32 v58, v102, v58 :: v_dual_max_f32 v7, v7, v7
	v_add_f32_e32 v59, v103, v45
	v_min_f32_e32 v45, v18, v22
	v_min_f32_e32 v22, v42, v22
	v_dual_add_f32 v5, v82, v5 :: v_dual_add_f32 v36, v68, v36
	v_add_f32_e32 v12, v75, v12
	v_add_co_u32 v125, s4, v125, 32
	s_delay_alu instid0(VALU_DEP_4) | instskip(SKIP_4) | instid1(VALU_DEP_4)
	v_add_f32_e32 v116, v20, v22
	v_min_f32_e32 v20, v10, v34
	v_min_f32_e32 v22, v3, v34
	v_add_co_ci_u32_e64 v126, s4, 0, v126, s4
	v_add_co_u32 v127, s4, v127, 32
	v_add_f32_e32 v112, v133, v20
	v_add_f32_e32 v61, v105, v45
	v_dual_min_f32 v45, v39, v23 :: v_dual_min_f32 v20, v14, v34
	v_add_f32_e32 v109, v137, v22
	v_add_co_ci_u32_e64 v128, s4, 0, v128, s4
	s_delay_alu instid0(VALU_DEP_3) | instskip(NEXT) | instid1(VALU_DEP_4)
	v_dual_add_f32 v64, v108, v45 :: v_dual_min_f32 v45, v30, v34
	v_add_f32_e32 v108, v135, v20
	v_dual_min_f32 v20, v18, v34 :: v_dual_min_f32 v23, v43, v23
	v_min_f32_e32 v22, v27, v35
	v_add_co_u32 v129, s4, v129, 32
	s_delay_alu instid0(VALU_DEP_3) | instskip(SKIP_1) | instid1(VALU_DEP_4)
	v_dual_add_f32 v106, v140, v20 :: v_dual_add_f32 v115, v21, v23
	v_dual_min_f32 v20, v38, v34 :: v_dual_min_f32 v21, v11, v35
	v_add_f32_e32 v104, v143, v22
	v_dual_min_f32 v22, v42, v34 :: v_dual_min_f32 v23, v15, v35
	s_delay_alu instid0(VALU_DEP_3) | instskip(NEXT) | instid1(VALU_DEP_4)
	v_dual_add_f32 v113, v110, v45 :: v_dual_add_f32 v102, v144, v20
	v_add_f32_e32 v111, v136, v21
	v_dual_min_f32 v21, v4, v35 :: v_dual_min_f32 v20, v31, v8
	s_delay_alu instid0(VALU_DEP_4) | instskip(SKIP_1) | instid1(VALU_DEP_3)
	v_dual_add_f32 v98, v32, v22 :: v_dual_add_f32 v107, v139, v23
	v_min_f32_e32 v22, v4, v8
	v_dual_add_f32 v110, v138, v21 :: v_dual_min_f32 v21, v19, v35
	s_delay_alu instid0(VALU_DEP_4) | instskip(SKIP_1) | instid1(VALU_DEP_4)
	v_add_f32_e32 v97, v97, v20
	v_min_f32_e32 v23, v26, v34
	v_add_f32_e32 v92, v92, v22
	s_delay_alu instid0(VALU_DEP_4) | instskip(SKIP_2) | instid1(VALU_DEP_3)
	v_dual_min_f32 v22, v18, v7 :: v_dual_add_f32 v105, v141, v21
	v_min_f32_e32 v21, v39, v35
	v_add_co_ci_u32_e64 v130, s4, 0, v130, s4
	v_add_f32_e32 v88, v88, v22
	s_delay_alu instid0(VALU_DEP_3)
	v_dual_max_f32 v22, v47, v47 :: v_dual_add_f32 v101, v145, v21
	v_min_f32_e32 v21, v43, v35
	s_add_i32 s24, s24, 8
	s_waitcnt vmcnt(0)
	ds_store_b32 v117, v132
	ds_store_2addr_stride64_b32 v122, v131, v0 offset1:4
	v_min_f32_e32 v4, v4, v22
	s_cmp_ge_i32 s24, s8
	v_add_f32_e32 v99, v33, v21
	v_min_f32_e32 v21, v11, v8
	s_waitcnt lgkmcnt(0)
	v_add_f32_e32 v76, v2, v4
	v_min_f32_e32 v2, v15, v22
	s_barrier
	v_dual_add_f32 v94, v94, v21 :: v_dual_min_f32 v21, v3, v7
	v_min_f32_e32 v20, v10, v7
	s_delay_alu instid0(VALU_DEP_3) | instskip(SKIP_3) | instid1(VALU_DEP_1)
	v_add_f32_e32 v74, v13, v2
	buffer_gl0_inv
	v_add_f32_e32 v93, v93, v21
	v_min_f32_e32 v21, v19, v8
	v_add_f32_e32 v89, v89, v21
	v_min_f32_e32 v21, v39, v8
	v_dual_add_f32 v95, v95, v20 :: v_dual_min_f32 v20, v14, v7
	s_delay_alu instid0(VALU_DEP_2) | instskip(SKIP_1) | instid1(VALU_DEP_3)
	v_add_f32_e32 v84, v146, v21
	v_max_f32_e32 v21, v46, v46
	v_add_f32_e32 v91, v91, v20
	v_dual_min_f32 v20, v27, v8 :: v_dual_add_f32 v103, v142, v23
	v_min_f32_e32 v23, v30, v7
	s_delay_alu instid0(VALU_DEP_4) | instskip(NEXT) | instid1(VALU_DEP_3)
	v_min_f32_e32 v3, v3, v21
	v_dual_min_f32 v4, v18, v21 :: v_dual_add_f32 v87, v87, v20
	v_min_f32_e32 v20, v38, v7
	s_delay_alu instid0(VALU_DEP_4) | instskip(NEXT) | instid1(VALU_DEP_4)
	v_dual_add_f32 v96, v96, v23 :: v_dual_min_f32 v23, v15, v8
	v_dual_min_f32 v8, v43, v8 :: v_dual_add_f32 v77, v1, v3
	v_min_f32_e32 v1, v14, v21
	s_delay_alu instid0(VALU_DEP_3) | instskip(SKIP_3) | instid1(VALU_DEP_3)
	v_dual_min_f32 v3, v19, v22 :: v_dual_add_f32 v90, v90, v23
	v_min_f32_e32 v23, v26, v7
	v_dual_min_f32 v7, v42, v7 :: v_dual_add_f32 v72, v16, v4
	v_dual_min_f32 v2, v27, v22 :: v_dual_add_f32 v85, v85, v20
	v_add_f32_e32 v86, v86, v23
	s_delay_alu instid0(VALU_DEP_3) | instskip(SKIP_1) | instid1(VALU_DEP_4)
	v_dual_add_f32 v82, v5, v7 :: v_dual_min_f32 v5, v30, v21
	v_dual_min_f32 v4, v43, v22 :: v_dual_add_f32 v83, v6, v8
	v_add_f32_e32 v70, v25, v2
	v_dual_min_f32 v6, v11, v22 :: v_dual_min_f32 v7, v10, v21
	s_delay_alu instid0(VALU_DEP_4)
	v_add_f32_e32 v81, v28, v5
	v_add_f32_e32 v75, v12, v1
	;; [unrolled: 1-line block ×3, first 2 shown]
	v_dual_min_f32 v1, v26, v21 :: v_dual_min_f32 v2, v39, v22
	v_min_f32_e32 v3, v38, v21
	v_min_f32_e32 v23, v31, v22
	;; [unrolled: 1-line block ×3, first 2 shown]
	v_dual_add_f32 v79, v9, v6 :: v_dual_add_f32 v78, v78, v7
	v_add_f32_e32 v71, v24, v1
	s_delay_alu instid0(VALU_DEP_3)
	v_dual_add_f32 v69, v37, v2 :: v_dual_add_f32 v66, v40, v5
	v_add_f32_e32 v68, v36, v3
	v_add_f32_e32 v80, v29, v23
	;; [unrolled: 1-line block ×3, first 2 shown]
	s_cbranch_scc1 .LBB88_40
.LBB88_28:                              ; =>This Inner Loop Header: Depth=1
	v_dual_mov_b32 v132, 0 :: v_dual_add_nc_u32 v131, s24, v48
	s_delay_alu instid0(VALU_DEP_1) | instskip(NEXT) | instid1(VALU_DEP_1)
	v_add_nc_u32_e32 v0, 8, v131
	v_cmp_le_i32_e64 s4, s18, v0
	s_delay_alu instid0(VALU_DEP_1) | instskip(NEXT) | instid1(SALU_CYCLE_1)
	s_or_b32 s5, s4, vcc_lo
	s_xor_b32 s5, s5, -1
	s_delay_alu instid0(SALU_CYCLE_1)
	s_and_saveexec_b32 s9, s5
	s_cbranch_execz .LBB88_30
; %bb.29:                               ;   in Loop: Header=BB88_28 Depth=1
	v_add_co_u32 v0, s5, v125, v52
	s_delay_alu instid0(VALU_DEP_1)
	v_add_co_ci_u32_e64 v1, s5, 0, v126, s5
	flat_load_b32 v132, v[0:1] offset:32
.LBB88_30:                              ;   in Loop: Header=BB88_28 Depth=1
	s_or_b32 exec_lo, exec_lo, s9
	v_dual_mov_b32 v133, 0 :: v_dual_mov_b32 v134, 0
	s_or_b32 s5, s2, s4
	s_delay_alu instid0(SALU_CYCLE_1) | instskip(NEXT) | instid1(SALU_CYCLE_1)
	s_xor_b32 s5, s5, -1
	s_and_saveexec_b32 s9, s5
	s_cbranch_execz .LBB88_32
; %bb.31:                               ;   in Loop: Header=BB88_28 Depth=1
	v_add_co_u32 v0, s5, v127, v52
	s_delay_alu instid0(VALU_DEP_1)
	v_add_co_ci_u32_e64 v1, s5, 0, v128, s5
	flat_load_b32 v134, v[0:1] offset:32
.LBB88_32:                              ;   in Loop: Header=BB88_28 Depth=1
	s_or_b32 exec_lo, exec_lo, s9
	s_or_b32 s4, s3, s4
	s_delay_alu instid0(SALU_CYCLE_1) | instskip(NEXT) | instid1(SALU_CYCLE_1)
	s_xor_b32 s4, s4, -1
	s_and_saveexec_b32 s5, s4
	s_cbranch_execz .LBB88_34
; %bb.33:                               ;   in Loop: Header=BB88_28 Depth=1
	v_add_co_u32 v0, s4, v129, v52
	s_delay_alu instid0(VALU_DEP_1)
	v_add_co_ci_u32_e64 v1, s4, 0, v130, s4
	flat_load_b32 v133, v[0:1] offset:32
.LBB88_34:                              ;   in Loop: Header=BB88_28 Depth=1
	s_or_b32 exec_lo, exec_lo, s5
	ds_load_b128 v[40:43], v123
	ds_load_b128 v[36:39], v123 offset:128
	ds_load_b128 v[32:35], v123 offset:256
	ds_load_b128 v[28:31], v123 offset:384
	ds_load_b128 v[24:27], v123 offset:512
	ds_load_b128 v[20:23], v123 offset:640
	ds_load_b128 v[16:19], v123 offset:768
	ds_load_b128 v[12:15], v123 offset:896
	ds_load_b128 v[44:47], v124
	ds_load_b128 v[8:11], v124 offset:512
	ds_load_b128 v[4:7], v124 offset:1024
	;; [unrolled: 1-line block ×3, first 2 shown]
	v_add_nc_u32_e32 v131, 12, v131
	s_waitcnt vmcnt(0) lgkmcnt(12)
	ds_store_b32 v49, v132
	v_mov_b32_e32 v132, 0
	ds_store_2addr_stride64_b32 v55, v134, v133 offset1:4
	s_waitcnt lgkmcnt(0)
	v_cmp_le_i32_e64 s4, s18, v131
	v_mov_b32_e32 v131, 0
	s_barrier
	buffer_gl0_inv
	s_or_b32 s5, s4, vcc_lo
	s_delay_alu instid0(SALU_CYCLE_1) | instskip(NEXT) | instid1(SALU_CYCLE_1)
	s_xor_b32 s5, s5, -1
	s_and_saveexec_b32 s9, s5
	s_cbranch_execz .LBB88_36
; %bb.35:                               ;   in Loop: Header=BB88_28 Depth=1
	v_add_co_u32 v132, s5, v125, v52
	s_delay_alu instid0(VALU_DEP_1)
	v_add_co_ci_u32_e64 v133, s5, 0, v126, s5
	flat_load_b32 v132, v[132:133] offset:48
.LBB88_36:                              ;   in Loop: Header=BB88_28 Depth=1
	s_or_b32 exec_lo, exec_lo, s9
	s_or_b32 s5, s2, s4
	s_delay_alu instid0(SALU_CYCLE_1) | instskip(NEXT) | instid1(SALU_CYCLE_1)
	s_xor_b32 s5, s5, -1
	s_and_saveexec_b32 s9, s5
	s_cbranch_execz .LBB88_38
; %bb.37:                               ;   in Loop: Header=BB88_28 Depth=1
	v_add_co_u32 v133, s5, v127, v52
	s_delay_alu instid0(VALU_DEP_1)
	v_add_co_ci_u32_e64 v134, s5, 0, v128, s5
	flat_load_b32 v131, v[133:134] offset:48
.LBB88_38:                              ;   in Loop: Header=BB88_28 Depth=1
	s_or_b32 exec_lo, exec_lo, s9
	v_dual_max_f32 v44, v44, v44 :: v_dual_max_f32 v45, v45, v45
	v_dual_max_f32 v158, v40, v40 :: v_dual_max_f32 v159, v41, v41
	;; [unrolled: 1-line block ×5, first 2 shown]
	v_max_f32_e32 v142, v8, v8
	v_dual_max_f32 v160, v36, v36 :: v_dual_max_f32 v161, v37, v37
	v_dual_min_f32 v36, v158, v44 :: v_dual_max_f32 v163, v33, v33
	v_dual_max_f32 v162, v32, v32 :: v_dual_max_f32 v165, v29, v29
	v_max_f32_e32 v164, v28, v28
	v_dual_max_f32 v168, v20, v20 :: v_dual_max_f32 v169, v21, v21
	v_dual_min_f32 v16, v166, v44 :: v_dual_max_f32 v173, v13, v13
	v_min_f32_e32 v17, v159, v143
	v_dual_min_f32 v141, v170, v142 :: v_dual_max_f32 v156, v4, v4
	v_dual_max_f32 v157, v5, v5 :: v_dual_min_f32 v4, v171, v143
	v_dual_max_f32 v0, v0, v0 :: v_dual_max_f32 v175, v46, v46
	v_max_f32_e32 v176, v47, v47
	v_dual_max_f32 v208, v42, v42 :: v_dual_max_f32 v209, v43, v43
	v_dual_max_f32 v213, v38, v38 :: v_dual_min_f32 v40, v159, v45
	v_dual_min_f32 v41, v160, v44 :: v_dual_min_f32 v28, v161, v45
	v_min_f32_e32 v29, v162, v44
	v_min_f32_e32 v37, v165, v45
	v_dual_min_f32 v32, v163, v45 :: v_dual_min_f32 v33, v164, v44
	v_dual_min_f32 v20, v167, v45 :: v_dual_min_f32 v21, v168, v44
	;; [unrolled: 1-line block ×17, first 2 shown]
	v_dual_min_f32 v155, v170, v156 :: v_dual_max_f32 v174, v1, v1
	v_dual_min_f32 v1, v171, v157 :: v_dual_min_f32 v156, v172, v156
	v_dual_min_f32 v157, v173, v157 :: v_dual_min_f32 v158, v158, v0
	s_delay_alu instid0(VALU_DEP_3)
	v_dual_min_f32 v159, v159, v174 :: v_dual_min_f32 v160, v160, v0
	v_dual_min_f32 v161, v161, v174 :: v_dual_min_f32 v162, v162, v0
	;; [unrolled: 1-line block ×6, first 2 shown]
	v_min_f32_e32 v171, v171, v174
	v_dual_min_f32 v43, v172, v0 :: v_dual_min_f32 v46, v173, v174
	v_dual_min_f32 v38, v208, v175 :: v_dual_min_f32 v47, v209, v176
	v_max_f32_e32 v0, v39, v39
	v_dual_min_f32 v42, v213, v175 :: v_dual_max_f32 v215, v30, v30
	v_max_f32_e32 v172, v34, v34
	v_max_f32_e32 v216, v31, v31
	;; [unrolled: 1-line block ×3, first 2 shown]
	v_dual_min_f32 v34, v0, v176 :: v_dual_max_f32 v217, v26, v26
	v_min_f32_e32 v31, v215, v175
	v_dual_min_f32 v30, v172, v175 :: v_dual_max_f32 v219, v22, v22
	v_dual_max_f32 v218, v27, v27 :: v_dual_max_f32 v221, v18, v18
	v_max_f32_e32 v220, v23, v23
	v_dual_max_f32 v19, v19, v19 :: v_dual_max_f32 v222, v14, v14
	v_dual_max_f32 v223, v15, v15 :: v_dual_max_f32 v10, v10, v10
	;; [unrolled: 1-line block ×4, first 2 shown]
	v_max_f32_e32 v225, v3, v3
	v_min_f32_e32 v39, v216, v176
	v_dual_min_f32 v35, v214, v176 :: v_dual_min_f32 v18, v217, v175
	v_min_f32_e32 v183, v19, v176
	v_dual_min_f32 v173, v218, v176 :: v_dual_min_f32 v22, v219, v175
	v_dual_min_f32 v177, v213, v10 :: v_dual_min_f32 v174, v220, v176
	v_min_f32_e32 v23, v221, v175
	v_dual_min_f32 v175, v222, v175 :: v_dual_min_f32 v184, v223, v176
	;; [unrolled: 3-line block ×3, first 2 shown]
	v_dual_min_f32 v187, v214, v11 :: v_dual_min_f32 v180, v217, v10
	v_dual_min_f32 v188, v216, v11 :: v_dual_min_f32 v181, v219, v10
	;; [unrolled: 1-line block ×12, first 2 shown]
	v_min_f32_e32 v210, v19, v7
	v_dual_min_f32 v211, v223, v7 :: v_dual_min_f32 v208, v208, v224
	v_dual_min_f32 v212, v209, v225 :: v_dual_min_f32 v11, v215, v224
	v_min_f32_e32 v209, v213, v224
	v_dual_min_f32 v213, v0, v225 :: v_dual_min_f32 v2, v217, v224
	v_dual_min_f32 v10, v172, v224 :: v_dual_min_f32 v15, v19, v225
	;; [unrolled: 1-line block ×4, first 2 shown]
	v_min_f32_e32 v172, v218, v225
	v_dual_min_f32 v14, v220, v225 :: v_dual_min_f32 v7, v222, v224
	v_dual_min_f32 v19, v223, v225 :: v_dual_mov_b32 v0, 0
	s_or_b32 s4, s3, s4
	s_delay_alu instid0(SALU_CYCLE_1) | instskip(NEXT) | instid1(SALU_CYCLE_1)
	s_xor_b32 s4, s4, -1
	s_and_saveexec_b32 s5, s4
	s_cbranch_execz .LBB88_27
; %bb.39:                               ;   in Loop: Header=BB88_28 Depth=1
	v_add_co_u32 v214, s4, v129, v52
	s_delay_alu instid0(VALU_DEP_1)
	v_add_co_ci_u32_e64 v215, s4, 0, v130, s4
	flat_load_b32 v0, v[214:215] offset:48
	s_branch .LBB88_27
.LBB88_40:
	s_clause 0x2
	s_load_b64 s[2:3], s[0:1], 0x70
	s_load_b32 s12, s[0:1], 0x50
	s_load_b32 s9, s[0:1], 0x68
	ds_load_b128 v[32:35], v53 offset:5120
	ds_load_b128 v[28:31], v53 offset:5248
	;; [unrolled: 1-line block ×12, first 2 shown]
	v_add_nc_u32_e32 v117, s23, v51
	v_add_nc_u32_e32 v48, s22, v50
	v_cndmask_b32_e64 v100, 0, 1, s20
	s_delay_alu instid0(VALU_DEP_3)
	v_cmp_gt_i32_e64 s8, s17, v117
	s_waitcnt lgkmcnt(0)
	s_mul_i32 s0, s15, s3
	v_mad_i64_i32 v[51:52], null, v117, s12, 0
	v_mad_i64_i32 v[53:54], null, v117, s9, 0
	s_mul_hi_u32 s1, s15, s2
	s_mul_i32 s3, s21, s2
	s_add_i32 s1, s1, s0
	s_mul_i32 s0, s15, s2
	s_delay_alu instid0(VALU_DEP_2) | instskip(SKIP_1) | instid1(VALU_DEP_2)
	v_lshlrev_b64 v[49:50], 2, v[51:52]
	s_add_i32 s1, s1, s3
	v_lshlrev_b64 v[51:52], 2, v[53:54]
	s_lshl_b64 s[0:1], s[0:1], 2
	s_delay_alu instid0(SALU_CYCLE_1) | instskip(NEXT) | instid1(VALU_DEP_2)
	s_add_u32 s13, s6, s0
	v_add_co_u32 v124, vcc_lo, s10, v49
	v_add_co_ci_u32_e32 v125, vcc_lo, s11, v50, vcc_lo
	s_addc_u32 s14, s7, s1
	v_add_co_u32 v122, vcc_lo, s13, v51
	v_cmp_gt_i32_e64 s0, s16, v48
	v_add_co_ci_u32_e32 v123, vcc_lo, s14, v52, vcc_lo
	v_ashrrev_i32_e32 v49, 31, v48
	s_delay_alu instid0(VALU_DEP_3) | instskip(NEXT) | instid1(SALU_CYCLE_1)
	s_and_b32 s2, s0, s8
	s_and_saveexec_b32 s1, s2
	s_cbranch_execz .LBB88_45
; %bb.41:
	s_delay_alu instid0(VALU_DEP_1)
	v_lshlrev_b64 v[50:51], 2, v[48:49]
	s_and_not1_b32 vcc_lo, exec_lo, s20
	s_cbranch_vccnz .LBB88_43
; %bb.42:
	s_delay_alu instid0(VALU_DEP_1) | instskip(NEXT) | instid1(VALU_DEP_2)
	v_add_co_u32 v52, vcc_lo, v124, v50
	v_add_co_ci_u32_e32 v53, vcc_lo, v125, v51, vcc_lo
	flat_load_b32 v52, v[52:53]
	s_waitcnt vmcnt(0) lgkmcnt(0)
	v_mul_f32_e32 v52, s19, v52
	s_branch .LBB88_44
.LBB88_43:
	v_mov_b32_e32 v52, 0
.LBB88_44:
	v_dual_max_f32 v53, v45, v45 :: v_dual_max_f32 v126, v32, v32
	v_dual_max_f32 v54, v33, v33 :: v_dual_max_f32 v55, v44, v44
	;; [unrolled: 1-line block ×3, first 2 shown]
	v_add_co_u32 v50, vcc_lo, v122, v50
	s_delay_alu instid0(VALU_DEP_3) | instskip(SKIP_2) | instid1(VALU_DEP_3)
	v_min_f32_e32 v55, v126, v55
	v_add_co_ci_u32_e32 v51, vcc_lo, v123, v51, vcc_lo
	v_max_f32_e32 v129, v35, v35
	v_add_f32_e32 v55, v120, v55
	v_min_f32_e32 v53, v54, v53
	v_max_f32_e32 v54, v34, v34
	s_delay_alu instid0(VALU_DEP_1) | instskip(NEXT) | instid1(VALU_DEP_1)
	v_min_f32_e32 v54, v54, v127
	v_dual_add_f32 v54, v55, v54 :: v_dual_add_f32 v53, v121, v53
	v_min_f32_e32 v121, v129, v128
	s_delay_alu instid0(VALU_DEP_1) | instskip(NEXT) | instid1(VALU_DEP_1)
	v_add_f32_e32 v53, v53, v121
	v_add_f32_e32 v53, v54, v53
	s_delay_alu instid0(VALU_DEP_1)
	v_add_f32_e32 v52, v53, v52
	global_store_b32 v[50:51], v52, off
.LBB88_45:
	s_or_b32 exec_lo, exec_lo, s1
	v_add_nc_u32_e32 v50, 8, v48
	s_delay_alu instid0(VALU_DEP_1) | instskip(SKIP_1) | instid1(VALU_DEP_2)
	v_cmp_gt_i32_e64 s1, s16, v50
	v_ashrrev_i32_e32 v51, 31, v50
	s_and_b32 s3, s1, s8
	s_delay_alu instid0(SALU_CYCLE_1)
	s_and_saveexec_b32 s2, s3
	s_cbranch_execz .LBB88_50
; %bb.46:
	v_cmp_ne_u32_e32 vcc_lo, 1, v100
	v_lshlrev_b64 v[52:53], 2, v[50:51]
	s_cbranch_vccnz .LBB88_48
; %bb.47:
	s_delay_alu instid0(VALU_DEP_1) | instskip(NEXT) | instid1(VALU_DEP_2)
	v_add_co_u32 v54, vcc_lo, v124, v52
	v_add_co_ci_u32_e32 v55, vcc_lo, v125, v53, vcc_lo
	flat_load_b32 v54, v[54:55]
	s_waitcnt vmcnt(0) lgkmcnt(0)
	v_mul_f32_e32 v54, s19, v54
	s_branch .LBB88_49
.LBB88_48:
	v_mov_b32_e32 v54, 0
.LBB88_49:
	v_dual_max_f32 v55, v45, v45 :: v_dual_max_f32 v126, v28, v28
	v_dual_max_f32 v120, v29, v29 :: v_dual_max_f32 v121, v44, v44
	;; [unrolled: 1-line block ×3, first 2 shown]
	v_max_f32_e32 v129, v31, v31
	s_delay_alu instid0(VALU_DEP_3) | instskip(NEXT) | instid1(VALU_DEP_4)
	v_dual_min_f32 v55, v120, v55 :: v_dual_max_f32 v120, v30, v30
	v_min_f32_e32 v121, v126, v121
	v_add_co_u32 v52, vcc_lo, v122, v52
	s_delay_alu instid0(VALU_DEP_3) | instskip(NEXT) | instid1(VALU_DEP_4)
	v_add_f32_e32 v55, v118, v55
	v_min_f32_e32 v118, v120, v127
	s_delay_alu instid0(VALU_DEP_4) | instskip(SKIP_1) | instid1(VALU_DEP_2)
	v_dual_min_f32 v120, v129, v128 :: v_dual_add_f32 v119, v119, v121
	v_add_co_ci_u32_e32 v53, vcc_lo, v123, v53, vcc_lo
	v_add_f32_e32 v55, v55, v120
	s_delay_alu instid0(VALU_DEP_3) | instskip(NEXT) | instid1(VALU_DEP_1)
	v_add_f32_e32 v118, v119, v118
	v_add_f32_e32 v55, v118, v55
	s_delay_alu instid0(VALU_DEP_1)
	v_add_f32_e32 v54, v55, v54
	global_store_b32 v[52:53], v54, off
.LBB88_50:
	s_or_b32 exec_lo, exec_lo, s2
	v_add_nc_u32_e32 v52, 16, v48
	s_delay_alu instid0(VALU_DEP_1) | instskip(SKIP_1) | instid1(VALU_DEP_2)
	v_cmp_gt_i32_e64 s2, s16, v52
	v_ashrrev_i32_e32 v53, 31, v52
	s_and_b32 s4, s2, s8
	s_delay_alu instid0(SALU_CYCLE_1)
	s_and_saveexec_b32 s3, s4
	s_cbranch_execz .LBB88_55
; %bb.51:
	v_cmp_ne_u32_e32 vcc_lo, 1, v100
	v_lshlrev_b64 v[54:55], 2, v[52:53]
	s_cbranch_vccnz .LBB88_53
; %bb.52:
	s_delay_alu instid0(VALU_DEP_1) | instskip(NEXT) | instid1(VALU_DEP_2)
	v_add_co_u32 v118, vcc_lo, v124, v54
	v_add_co_ci_u32_e32 v119, vcc_lo, v125, v55, vcc_lo
	flat_load_b32 v118, v[118:119]
	s_waitcnt vmcnt(0) lgkmcnt(0)
	v_mul_f32_e32 v118, s19, v118
	s_branch .LBB88_54
.LBB88_53:
	v_mov_b32_e32 v118, 0
.LBB88_54:
	v_dual_max_f32 v119, v45, v45 :: v_dual_max_f32 v126, v24, v24
	v_dual_max_f32 v120, v25, v25 :: v_dual_max_f32 v121, v44, v44
	;; [unrolled: 1-line block ×3, first 2 shown]
	v_add_co_u32 v54, vcc_lo, v122, v54
	s_delay_alu instid0(VALU_DEP_3) | instskip(NEXT) | instid1(VALU_DEP_4)
	v_dual_min_f32 v119, v120, v119 :: v_dual_max_f32 v120, v26, v26
	v_min_f32_e32 v121, v126, v121
	v_add_co_ci_u32_e32 v55, vcc_lo, v123, v55, vcc_lo
	s_delay_alu instid0(VALU_DEP_3) | instskip(SKIP_3) | instid1(VALU_DEP_3)
	v_add_f32_e32 v56, v56, v119
	v_max_f32_e32 v129, v27, v27
	v_min_f32_e32 v119, v120, v127
	v_add_f32_e32 v57, v57, v121
	v_min_f32_e32 v120, v129, v128
	s_delay_alu instid0(VALU_DEP_1) | instskip(NEXT) | instid1(VALU_DEP_1)
	v_dual_add_f32 v57, v57, v119 :: v_dual_add_f32 v56, v56, v120
	v_add_f32_e32 v56, v57, v56
	s_delay_alu instid0(VALU_DEP_1)
	v_add_f32_e32 v56, v56, v118
	global_store_b32 v[54:55], v56, off
.LBB88_55:
	s_or_b32 exec_lo, exec_lo, s3
	v_add_nc_u32_e32 v54, 24, v48
	s_delay_alu instid0(VALU_DEP_1) | instskip(SKIP_1) | instid1(VALU_DEP_2)
	v_cmp_gt_i32_e64 s3, s16, v54
	v_ashrrev_i32_e32 v55, 31, v54
	s_and_b32 s5, s3, s8
	s_delay_alu instid0(SALU_CYCLE_1)
	s_and_saveexec_b32 s4, s5
	s_cbranch_execz .LBB88_60
; %bb.56:
	v_cmp_ne_u32_e32 vcc_lo, 1, v100
	v_lshlrev_b64 v[56:57], 2, v[54:55]
	s_cbranch_vccnz .LBB88_58
; %bb.57:
	s_delay_alu instid0(VALU_DEP_1) | instskip(NEXT) | instid1(VALU_DEP_2)
	v_add_co_u32 v118, vcc_lo, v124, v56
	v_add_co_ci_u32_e32 v119, vcc_lo, v125, v57, vcc_lo
	flat_load_b32 v118, v[118:119]
	s_waitcnt vmcnt(0) lgkmcnt(0)
	v_mul_f32_e32 v118, s19, v118
	s_branch .LBB88_59
.LBB88_58:
	v_mov_b32_e32 v118, 0
.LBB88_59:
	v_dual_max_f32 v119, v45, v45 :: v_dual_max_f32 v126, v20, v20
	v_dual_max_f32 v120, v21, v21 :: v_dual_max_f32 v121, v44, v44
	;; [unrolled: 1-line block ×3, first 2 shown]
	v_add_co_u32 v56, vcc_lo, v122, v56
	s_delay_alu instid0(VALU_DEP_3) | instskip(SKIP_1) | instid1(VALU_DEP_2)
	v_dual_min_f32 v119, v120, v119 :: v_dual_max_f32 v120, v22, v22
	v_add_co_ci_u32_e32 v57, vcc_lo, v123, v57, vcc_lo
	v_add_f32_e32 v58, v58, v119
	v_max_f32_e32 v129, v23, v23
	v_min_f32_e32 v121, v126, v121
	s_delay_alu instid0(VALU_DEP_2) | instskip(NEXT) | instid1(VALU_DEP_1)
	v_dual_min_f32 v119, v120, v127 :: v_dual_min_f32 v120, v129, v128
	v_dual_add_f32 v59, v59, v121 :: v_dual_add_f32 v58, v58, v120
	s_delay_alu instid0(VALU_DEP_1) | instskip(NEXT) | instid1(VALU_DEP_1)
	v_add_f32_e32 v59, v59, v119
	v_add_f32_e32 v58, v59, v58
	s_delay_alu instid0(VALU_DEP_1)
	v_add_f32_e32 v58, v58, v118
	global_store_b32 v[56:57], v58, off
.LBB88_60:
	s_or_b32 exec_lo, exec_lo, s4
	v_add_nc_u32_e32 v56, 32, v48
	s_delay_alu instid0(VALU_DEP_1) | instskip(SKIP_1) | instid1(VALU_DEP_2)
	v_cmp_gt_i32_e64 s4, s16, v56
	v_ashrrev_i32_e32 v57, 31, v56
	s_and_b32 s6, s4, s8
	s_delay_alu instid0(SALU_CYCLE_1)
	s_and_saveexec_b32 s5, s6
	s_cbranch_execz .LBB88_65
; %bb.61:
	v_cmp_ne_u32_e32 vcc_lo, 1, v100
	v_lshlrev_b64 v[58:59], 2, v[56:57]
	s_cbranch_vccnz .LBB88_63
; %bb.62:
	s_delay_alu instid0(VALU_DEP_1) | instskip(NEXT) | instid1(VALU_DEP_2)
	v_add_co_u32 v118, vcc_lo, v124, v58
	v_add_co_ci_u32_e32 v119, vcc_lo, v125, v59, vcc_lo
	flat_load_b32 v118, v[118:119]
	s_waitcnt vmcnt(0) lgkmcnt(0)
	v_mul_f32_e32 v118, s19, v118
	s_branch .LBB88_64
.LBB88_63:
	v_mov_b32_e32 v118, 0
.LBB88_64:
	v_dual_max_f32 v119, v45, v45 :: v_dual_max_f32 v126, v16, v16
	v_dual_max_f32 v120, v17, v17 :: v_dual_max_f32 v121, v44, v44
	;; [unrolled: 1-line block ×3, first 2 shown]
	v_add_co_u32 v58, vcc_lo, v122, v58
	s_delay_alu instid0(VALU_DEP_3) | instskip(NEXT) | instid1(VALU_DEP_4)
	v_dual_min_f32 v119, v120, v119 :: v_dual_max_f32 v120, v18, v18
	v_min_f32_e32 v121, v126, v121
	v_add_co_ci_u32_e32 v59, vcc_lo, v123, v59, vcc_lo
	s_delay_alu instid0(VALU_DEP_3) | instskip(SKIP_3) | instid1(VALU_DEP_3)
	v_add_f32_e32 v60, v60, v119
	v_max_f32_e32 v129, v19, v19
	v_min_f32_e32 v119, v120, v127
	v_add_f32_e32 v61, v61, v121
	v_min_f32_e32 v120, v129, v128
	s_delay_alu instid0(VALU_DEP_1) | instskip(NEXT) | instid1(VALU_DEP_1)
	v_dual_add_f32 v61, v61, v119 :: v_dual_add_f32 v60, v60, v120
	v_add_f32_e32 v60, v61, v60
	s_delay_alu instid0(VALU_DEP_1)
	v_add_f32_e32 v60, v60, v118
	global_store_b32 v[58:59], v60, off
.LBB88_65:
	s_or_b32 exec_lo, exec_lo, s5
	v_add_nc_u32_e32 v58, 40, v48
	s_delay_alu instid0(VALU_DEP_1) | instskip(SKIP_1) | instid1(VALU_DEP_2)
	v_cmp_gt_i32_e64 s5, s16, v58
	v_ashrrev_i32_e32 v59, 31, v58
	s_and_b32 s7, s5, s8
	s_delay_alu instid0(SALU_CYCLE_1)
	s_and_saveexec_b32 s6, s7
	s_cbranch_execz .LBB88_70
; %bb.66:
	v_cmp_ne_u32_e32 vcc_lo, 1, v100
	v_lshlrev_b64 v[60:61], 2, v[58:59]
	s_cbranch_vccnz .LBB88_68
; %bb.67:
	s_delay_alu instid0(VALU_DEP_1) | instskip(NEXT) | instid1(VALU_DEP_2)
	v_add_co_u32 v118, vcc_lo, v124, v60
	v_add_co_ci_u32_e32 v119, vcc_lo, v125, v61, vcc_lo
	flat_load_b32 v118, v[118:119]
	s_waitcnt vmcnt(0) lgkmcnt(0)
	v_mul_f32_e32 v118, s19, v118
	s_branch .LBB88_69
.LBB88_68:
	v_mov_b32_e32 v118, 0
.LBB88_69:
	v_dual_max_f32 v119, v45, v45 :: v_dual_max_f32 v126, v12, v12
	v_dual_max_f32 v120, v13, v13 :: v_dual_max_f32 v121, v44, v44
	;; [unrolled: 1-line block ×3, first 2 shown]
	v_add_co_u32 v60, vcc_lo, v122, v60
	s_delay_alu instid0(VALU_DEP_3) | instskip(NEXT) | instid1(VALU_DEP_4)
	v_dual_min_f32 v119, v120, v119 :: v_dual_max_f32 v120, v14, v14
	v_min_f32_e32 v121, v126, v121
	v_max_f32_e32 v129, v15, v15
	v_add_co_ci_u32_e32 v61, vcc_lo, v123, v61, vcc_lo
	s_delay_alu instid0(VALU_DEP_4) | instskip(NEXT) | instid1(VALU_DEP_4)
	v_add_f32_e32 v63, v63, v119
	v_dual_min_f32 v119, v120, v127 :: v_dual_add_f32 v62, v62, v121
	s_delay_alu instid0(VALU_DEP_4) | instskip(NEXT) | instid1(VALU_DEP_1)
	v_min_f32_e32 v120, v129, v128
	v_dual_add_f32 v62, v62, v119 :: v_dual_add_f32 v63, v63, v120
	s_delay_alu instid0(VALU_DEP_1) | instskip(NEXT) | instid1(VALU_DEP_1)
	v_add_f32_e32 v62, v62, v63
	v_add_f32_e32 v62, v62, v118
	global_store_b32 v[60:61], v62, off
.LBB88_70:
	s_or_b32 exec_lo, exec_lo, s6
	v_add_nc_u32_e32 v60, 48, v48
	s_delay_alu instid0(VALU_DEP_1) | instskip(SKIP_1) | instid1(VALU_DEP_2)
	v_cmp_gt_i32_e64 s6, s16, v60
	v_ashrrev_i32_e32 v61, 31, v60
	s_and_b32 s15, s6, s8
	s_delay_alu instid0(SALU_CYCLE_1)
	s_and_saveexec_b32 s7, s15
	s_cbranch_execz .LBB88_75
; %bb.71:
	v_cmp_ne_u32_e32 vcc_lo, 1, v100
	v_lshlrev_b64 v[62:63], 2, v[60:61]
	s_cbranch_vccnz .LBB88_73
; %bb.72:
	s_delay_alu instid0(VALU_DEP_1) | instskip(NEXT) | instid1(VALU_DEP_2)
	v_add_co_u32 v118, vcc_lo, v124, v62
	v_add_co_ci_u32_e32 v119, vcc_lo, v125, v63, vcc_lo
	flat_load_b32 v118, v[118:119]
	s_waitcnt vmcnt(0) lgkmcnt(0)
	v_mul_f32_e32 v118, s19, v118
	s_branch .LBB88_74
.LBB88_73:
	v_mov_b32_e32 v118, 0
.LBB88_74:
	v_dual_max_f32 v119, v45, v45 :: v_dual_max_f32 v126, v8, v8
	v_dual_max_f32 v120, v9, v9 :: v_dual_max_f32 v121, v44, v44
	;; [unrolled: 1-line block ×3, first 2 shown]
	v_add_co_u32 v62, vcc_lo, v122, v62
	s_delay_alu instid0(VALU_DEP_3) | instskip(NEXT) | instid1(VALU_DEP_4)
	v_dual_min_f32 v119, v120, v119 :: v_dual_max_f32 v120, v10, v10
	v_min_f32_e32 v121, v126, v121
	v_add_co_ci_u32_e32 v63, vcc_lo, v123, v63, vcc_lo
	s_delay_alu instid0(VALU_DEP_3) | instskip(SKIP_3) | instid1(VALU_DEP_3)
	v_add_f32_e32 v64, v64, v119
	v_max_f32_e32 v129, v11, v11
	v_min_f32_e32 v119, v120, v127
	v_add_f32_e32 v65, v65, v121
	v_min_f32_e32 v120, v129, v128
	s_delay_alu instid0(VALU_DEP_1) | instskip(NEXT) | instid1(VALU_DEP_1)
	v_dual_add_f32 v65, v65, v119 :: v_dual_add_f32 v64, v64, v120
	v_add_f32_e32 v64, v65, v64
	s_delay_alu instid0(VALU_DEP_1)
	v_add_f32_e32 v64, v64, v118
	global_store_b32 v[62:63], v64, off
.LBB88_75:
	s_or_b32 exec_lo, exec_lo, s7
	v_add_nc_u32_e32 v62, 56, v48
	s_delay_alu instid0(VALU_DEP_1) | instskip(SKIP_1) | instid1(VALU_DEP_2)
	v_cmp_gt_i32_e64 s7, s16, v62
	v_ashrrev_i32_e32 v63, 31, v62
	s_and_b32 s15, s7, s8
	s_delay_alu instid0(SALU_CYCLE_1)
	s_and_saveexec_b32 s8, s15
	s_cbranch_execz .LBB88_80
; %bb.76:
	v_cmp_ne_u32_e32 vcc_lo, 1, v100
	v_lshlrev_b64 v[64:65], 2, v[62:63]
	s_cbranch_vccnz .LBB88_78
; %bb.77:
	s_delay_alu instid0(VALU_DEP_1) | instskip(NEXT) | instid1(VALU_DEP_2)
	v_add_co_u32 v118, vcc_lo, v124, v64
	v_add_co_ci_u32_e32 v119, vcc_lo, v125, v65, vcc_lo
	flat_load_b32 v118, v[118:119]
	s_waitcnt vmcnt(0) lgkmcnt(0)
	v_mul_f32_e32 v118, s19, v118
	s_branch .LBB88_79
.LBB88_78:
	v_mov_b32_e32 v118, 0
.LBB88_79:
	v_dual_max_f32 v45, v45, v45 :: v_dual_max_f32 v44, v44, v44
	v_dual_max_f32 v119, v1, v1 :: v_dual_max_f32 v120, v0, v0
	s_delay_alu instid0(VALU_DEP_1) | instskip(NEXT) | instid1(VALU_DEP_2)
	v_dual_max_f32 v46, v46, v46 :: v_dual_min_f32 v45, v119, v45
	v_dual_max_f32 v119, v2, v2 :: v_dual_min_f32 v44, v120, v44
	v_max_f32_e32 v47, v47, v47
	s_delay_alu instid0(VALU_DEP_2) | instskip(NEXT) | instid1(VALU_DEP_3)
	v_dual_add_f32 v45, v115, v45 :: v_dual_add_f32 v44, v116, v44
	v_min_f32_e32 v46, v119, v46
	s_delay_alu instid0(VALU_DEP_1) | instskip(NEXT) | instid1(VALU_DEP_1)
	v_dual_max_f32 v121, v3, v3 :: v_dual_add_f32 v44, v44, v46
	v_min_f32_e32 v47, v121, v47
	s_delay_alu instid0(VALU_DEP_1) | instskip(NEXT) | instid1(VALU_DEP_1)
	v_add_f32_e32 v45, v45, v47
	v_add_f32_e32 v44, v44, v45
	s_delay_alu instid0(VALU_DEP_1)
	v_add_f32_e32 v46, v44, v118
	v_add_co_u32 v44, vcc_lo, v122, v64
	v_add_co_ci_u32_e32 v45, vcc_lo, v123, v65, vcc_lo
	global_store_b32 v[44:45], v46, off
.LBB88_80:
	s_or_b32 exec_lo, exec_lo, s8
	v_add_nc_u32_e32 v64, 32, v117
	s_delay_alu instid0(VALU_DEP_1) | instskip(SKIP_2) | instid1(VALU_DEP_3)
	v_mad_i64_i32 v[44:45], null, v64, s12, 0
	v_mad_i64_i32 v[46:47], null, v64, s9, 0
	v_cmp_gt_i32_e64 s8, s17, v64
	v_lshlrev_b64 v[44:45], 2, v[44:45]
	s_delay_alu instid0(VALU_DEP_2) | instskip(NEXT) | instid1(VALU_DEP_3)
	s_and_b32 s16, s0, s8
	v_lshlrev_b64 v[46:47], 2, v[46:47]
	s_delay_alu instid0(VALU_DEP_2) | instskip(NEXT) | instid1(VALU_DEP_3)
	v_add_co_u32 v64, vcc_lo, s10, v44
	v_add_co_ci_u32_e32 v65, vcc_lo, s11, v45, vcc_lo
	s_delay_alu instid0(VALU_DEP_3) | instskip(NEXT) | instid1(VALU_DEP_4)
	v_add_co_u32 v46, vcc_lo, s13, v46
	v_add_co_ci_u32_e32 v47, vcc_lo, s14, v47, vcc_lo
	s_and_saveexec_b32 s15, s16
	s_cbranch_execnz .LBB88_88
; %bb.81:
	s_or_b32 exec_lo, exec_lo, s15
	s_and_b32 s16, s1, s8
	s_delay_alu instid0(SALU_CYCLE_1)
	s_and_saveexec_b32 s15, s16
	s_cbranch_execnz .LBB88_92
.LBB88_82:
	s_or_b32 exec_lo, exec_lo, s15
	s_and_b32 s16, s2, s8
	s_delay_alu instid0(SALU_CYCLE_1)
	s_and_saveexec_b32 s15, s16
	s_cbranch_execnz .LBB88_96
.LBB88_83:
	s_or_b32 exec_lo, exec_lo, s15
	s_and_b32 s16, s3, s8
	s_delay_alu instid0(SALU_CYCLE_1)
	s_and_saveexec_b32 s15, s16
	s_cbranch_execnz .LBB88_100
.LBB88_84:
	s_or_b32 exec_lo, exec_lo, s15
	s_and_b32 s16, s4, s8
	s_delay_alu instid0(SALU_CYCLE_1)
	s_and_saveexec_b32 s15, s16
	s_cbranch_execnz .LBB88_104
.LBB88_85:
	s_or_b32 exec_lo, exec_lo, s15
	s_and_b32 s16, s5, s8
	s_delay_alu instid0(SALU_CYCLE_1)
	s_and_saveexec_b32 s15, s16
	s_cbranch_execnz .LBB88_108
.LBB88_86:
	s_or_b32 exec_lo, exec_lo, s15
	s_and_b32 s16, s6, s8
	s_delay_alu instid0(SALU_CYCLE_1)
	s_and_saveexec_b32 s15, s16
	s_cbranch_execnz .LBB88_112
.LBB88_87:
	s_or_b32 exec_lo, exec_lo, s15
	s_and_b32 s15, s7, s8
	s_delay_alu instid0(SALU_CYCLE_1)
	s_and_saveexec_b32 s8, s15
	s_cbranch_execnz .LBB88_116
	s_branch .LBB88_120
.LBB88_88:
	v_cmp_ne_u32_e32 vcc_lo, 1, v100
	v_lshlrev_b64 v[44:45], 2, v[48:49]
	s_cbranch_vccnz .LBB88_90
; %bb.89:
	s_delay_alu instid0(VALU_DEP_1) | instskip(NEXT) | instid1(VALU_DEP_2)
	v_add_co_u32 v115, vcc_lo, v64, v44
	v_add_co_ci_u32_e32 v116, vcc_lo, v65, v45, vcc_lo
	flat_load_b32 v115, v[115:116]
	s_waitcnt vmcnt(0) lgkmcnt(0)
	v_mul_f32_e32 v115, s19, v115
	s_branch .LBB88_91
.LBB88_90:
	v_mov_b32_e32 v115, 0
.LBB88_91:
	v_dual_max_f32 v116, v41, v41 :: v_dual_max_f32 v119, v40, v40
	v_dual_max_f32 v118, v33, v33 :: v_dual_max_f32 v121, v42, v42
	;; [unrolled: 1-line block ×3, first 2 shown]
	v_add_co_u32 v44, vcc_lo, v46, v44
	s_delay_alu instid0(VALU_DEP_2) | instskip(SKIP_2) | instid1(VALU_DEP_3)
	v_dual_min_f32 v116, v118, v116 :: v_dual_min_f32 v119, v120, v119
	v_max_f32_e32 v118, v34, v34
	v_add_co_ci_u32_e32 v45, vcc_lo, v47, v45, vcc_lo
	v_dual_add_f32 v114, v114, v116 :: v_dual_add_f32 v113, v113, v119
	s_delay_alu instid0(VALU_DEP_3) | instskip(NEXT) | instid1(VALU_DEP_1)
	v_min_f32_e32 v116, v118, v121
	v_dual_max_f32 v122, v43, v43 :: v_dual_add_f32 v113, v113, v116
	s_delay_alu instid0(VALU_DEP_1) | instskip(NEXT) | instid1(VALU_DEP_1)
	v_min_f32_e32 v118, v123, v122
	v_add_f32_e32 v114, v114, v118
	s_delay_alu instid0(VALU_DEP_1) | instskip(NEXT) | instid1(VALU_DEP_1)
	v_add_f32_e32 v113, v113, v114
	v_add_f32_e32 v113, v113, v115
	global_store_b32 v[44:45], v113, off
	s_or_b32 exec_lo, exec_lo, s15
	s_and_b32 s16, s1, s8
	s_delay_alu instid0(SALU_CYCLE_1)
	s_and_saveexec_b32 s15, s16
	s_cbranch_execz .LBB88_82
.LBB88_92:
	v_cmp_ne_u32_e32 vcc_lo, 1, v100
	v_lshlrev_b64 v[44:45], 2, v[50:51]
	s_cbranch_vccnz .LBB88_94
; %bb.93:
	s_delay_alu instid0(VALU_DEP_1) | instskip(NEXT) | instid1(VALU_DEP_2)
	v_add_co_u32 v113, vcc_lo, v64, v44
	v_add_co_ci_u32_e32 v114, vcc_lo, v65, v45, vcc_lo
	flat_load_b32 v113, v[113:114]
	s_waitcnt vmcnt(0) lgkmcnt(0)
	v_mul_f32_e32 v113, s19, v113
	s_branch .LBB88_95
.LBB88_94:
	v_mov_b32_e32 v113, 0
.LBB88_95:
	v_dual_max_f32 v114, v41, v41 :: v_dual_max_f32 v119, v42, v42
	v_dual_max_f32 v115, v29, v29 :: v_dual_max_f32 v116, v40, v40
	v_max_f32_e32 v118, v28, v28
	v_max_f32_e32 v120, v43, v43
	;; [unrolled: 1-line block ×3, first 2 shown]
	s_delay_alu instid0(VALU_DEP_4) | instskip(SKIP_3) | instid1(VALU_DEP_4)
	v_min_f32_e32 v114, v115, v114
	v_max_f32_e32 v115, v30, v30
	v_min_f32_e32 v116, v118, v116
	v_add_co_u32 v44, vcc_lo, v46, v44
	v_add_f32_e32 v111, v111, v114
	s_delay_alu instid0(VALU_DEP_4) | instskip(NEXT) | instid1(VALU_DEP_4)
	v_min_f32_e32 v114, v115, v119
	v_add_f32_e32 v112, v112, v116
	v_min_f32_e32 v115, v121, v120
	v_add_co_ci_u32_e32 v45, vcc_lo, v47, v45, vcc_lo
	s_delay_alu instid0(VALU_DEP_2) | instskip(NEXT) | instid1(VALU_DEP_1)
	v_dual_add_f32 v112, v112, v114 :: v_dual_add_f32 v111, v111, v115
	v_add_f32_e32 v111, v112, v111
	s_delay_alu instid0(VALU_DEP_1) | instskip(SKIP_3) | instid1(SALU_CYCLE_1)
	v_add_f32_e32 v111, v111, v113
	global_store_b32 v[44:45], v111, off
	s_or_b32 exec_lo, exec_lo, s15
	s_and_b32 s16, s2, s8
	s_and_saveexec_b32 s15, s16
	s_cbranch_execz .LBB88_83
.LBB88_96:
	v_cmp_ne_u32_e32 vcc_lo, 1, v100
	v_lshlrev_b64 v[44:45], 2, v[52:53]
	s_cbranch_vccnz .LBB88_98
; %bb.97:
	s_delay_alu instid0(VALU_DEP_1) | instskip(NEXT) | instid1(VALU_DEP_2)
	v_add_co_u32 v111, vcc_lo, v64, v44
	v_add_co_ci_u32_e32 v112, vcc_lo, v65, v45, vcc_lo
	flat_load_b32 v111, v[111:112]
	s_waitcnt vmcnt(0) lgkmcnt(0)
	v_mul_f32_e32 v111, s19, v111
	s_branch .LBB88_99
.LBB88_98:
	v_mov_b32_e32 v111, 0
.LBB88_99:
	v_dual_max_f32 v112, v41, v41 :: v_dual_max_f32 v115, v24, v24
	v_dual_max_f32 v113, v25, v25 :: v_dual_max_f32 v114, v40, v40
	;; [unrolled: 1-line block ×3, first 2 shown]
	v_add_co_u32 v44, vcc_lo, v46, v44
	s_delay_alu instid0(VALU_DEP_3) | instskip(SKIP_1) | instid1(VALU_DEP_2)
	v_dual_min_f32 v112, v113, v112 :: v_dual_max_f32 v113, v26, v26
	v_add_co_ci_u32_e32 v45, vcc_lo, v47, v45, vcc_lo
	v_add_f32_e32 v110, v110, v112
	s_delay_alu instid0(VALU_DEP_3) | instskip(SKIP_1) | instid1(VALU_DEP_1)
	v_min_f32_e32 v112, v113, v116
	v_min_f32_e32 v114, v115, v114
	v_dual_max_f32 v118, v43, v43 :: v_dual_add_f32 v109, v109, v114
	s_delay_alu instid0(VALU_DEP_1) | instskip(NEXT) | instid1(VALU_DEP_1)
	v_min_f32_e32 v113, v119, v118
	v_dual_add_f32 v109, v109, v112 :: v_dual_add_f32 v110, v110, v113
	s_delay_alu instid0(VALU_DEP_1) | instskip(NEXT) | instid1(VALU_DEP_1)
	v_add_f32_e32 v109, v109, v110
	v_add_f32_e32 v109, v109, v111
	global_store_b32 v[44:45], v109, off
	s_or_b32 exec_lo, exec_lo, s15
	s_and_b32 s16, s3, s8
	s_delay_alu instid0(SALU_CYCLE_1)
	s_and_saveexec_b32 s15, s16
	s_cbranch_execz .LBB88_84
.LBB88_100:
	v_cmp_ne_u32_e32 vcc_lo, 1, v100
	v_lshlrev_b64 v[44:45], 2, v[54:55]
	s_cbranch_vccnz .LBB88_102
; %bb.101:
	s_delay_alu instid0(VALU_DEP_1) | instskip(NEXT) | instid1(VALU_DEP_2)
	v_add_co_u32 v109, vcc_lo, v64, v44
	v_add_co_ci_u32_e32 v110, vcc_lo, v65, v45, vcc_lo
	flat_load_b32 v109, v[109:110]
	s_waitcnt vmcnt(0) lgkmcnt(0)
	v_mul_f32_e32 v109, s19, v109
	s_branch .LBB88_103
.LBB88_102:
	v_mov_b32_e32 v109, 0
.LBB88_103:
	v_dual_max_f32 v110, v41, v41 :: v_dual_max_f32 v113, v20, v20
	v_dual_max_f32 v111, v21, v21 :: v_dual_max_f32 v112, v40, v40
	;; [unrolled: 1-line block ×3, first 2 shown]
	v_max_f32_e32 v116, v23, v23
	s_delay_alu instid0(VALU_DEP_3) | instskip(NEXT) | instid1(VALU_DEP_4)
	v_min_f32_e32 v110, v111, v110
	v_dual_max_f32 v111, v22, v22 :: v_dual_min_f32 v112, v113, v112
	v_add_co_u32 v44, vcc_lo, v46, v44
	s_delay_alu instid0(VALU_DEP_3) | instskip(NEXT) | instid1(VALU_DEP_3)
	v_add_f32_e32 v107, v107, v110
	v_dual_min_f32 v110, v111, v114 :: v_dual_min_f32 v111, v116, v115
	s_delay_alu instid0(VALU_DEP_4) | instskip(SKIP_1) | instid1(VALU_DEP_2)
	v_add_f32_e32 v108, v108, v112
	v_add_co_ci_u32_e32 v45, vcc_lo, v47, v45, vcc_lo
	v_dual_add_f32 v107, v107, v111 :: v_dual_add_f32 v108, v108, v110
	s_delay_alu instid0(VALU_DEP_1) | instskip(NEXT) | instid1(VALU_DEP_1)
	v_add_f32_e32 v107, v108, v107
	v_add_f32_e32 v107, v107, v109
	global_store_b32 v[44:45], v107, off
	s_or_b32 exec_lo, exec_lo, s15
	s_and_b32 s16, s4, s8
	s_delay_alu instid0(SALU_CYCLE_1)
	s_and_saveexec_b32 s15, s16
	s_cbranch_execz .LBB88_85
.LBB88_104:
	v_cmp_ne_u32_e32 vcc_lo, 1, v100
	v_lshlrev_b64 v[44:45], 2, v[56:57]
	s_cbranch_vccnz .LBB88_106
; %bb.105:
	s_delay_alu instid0(VALU_DEP_1) | instskip(NEXT) | instid1(VALU_DEP_2)
	v_add_co_u32 v107, vcc_lo, v64, v44
	v_add_co_ci_u32_e32 v108, vcc_lo, v65, v45, vcc_lo
	flat_load_b32 v107, v[107:108]
	s_waitcnt vmcnt(0) lgkmcnt(0)
	v_mul_f32_e32 v107, s19, v107
	s_branch .LBB88_107
.LBB88_106:
	v_mov_b32_e32 v107, 0
.LBB88_107:
	v_dual_max_f32 v108, v41, v41 :: v_dual_max_f32 v111, v16, v16
	v_dual_max_f32 v109, v17, v17 :: v_dual_max_f32 v110, v40, v40
	;; [unrolled: 1-line block ×3, first 2 shown]
	v_add_co_u32 v44, vcc_lo, v46, v44
	s_delay_alu instid0(VALU_DEP_3) | instskip(SKIP_2) | instid1(VALU_DEP_3)
	v_dual_min_f32 v108, v109, v108 :: v_dual_max_f32 v109, v18, v18
	v_max_f32_e32 v114, v19, v19
	v_add_co_ci_u32_e32 v45, vcc_lo, v47, v45, vcc_lo
	v_dual_add_f32 v105, v105, v108 :: v_dual_min_f32 v110, v111, v110
	s_delay_alu instid0(VALU_DEP_3) | instskip(NEXT) | instid1(VALU_DEP_1)
	v_dual_min_f32 v108, v109, v112 :: v_dual_min_f32 v109, v114, v113
	v_dual_add_f32 v106, v106, v110 :: v_dual_add_f32 v105, v105, v109
	s_delay_alu instid0(VALU_DEP_1) | instskip(NEXT) | instid1(VALU_DEP_1)
	v_add_f32_e32 v106, v106, v108
	v_add_f32_e32 v105, v106, v105
	s_delay_alu instid0(VALU_DEP_1) | instskip(SKIP_3) | instid1(SALU_CYCLE_1)
	v_add_f32_e32 v105, v105, v107
	global_store_b32 v[44:45], v105, off
	s_or_b32 exec_lo, exec_lo, s15
	s_and_b32 s16, s5, s8
	s_and_saveexec_b32 s15, s16
	s_cbranch_execz .LBB88_86
.LBB88_108:
	v_cmp_ne_u32_e32 vcc_lo, 1, v100
	v_lshlrev_b64 v[44:45], 2, v[58:59]
	s_cbranch_vccnz .LBB88_110
; %bb.109:
	s_delay_alu instid0(VALU_DEP_1) | instskip(NEXT) | instid1(VALU_DEP_2)
	v_add_co_u32 v105, vcc_lo, v64, v44
	v_add_co_ci_u32_e32 v106, vcc_lo, v65, v45, vcc_lo
	flat_load_b32 v105, v[105:106]
	s_waitcnt vmcnt(0) lgkmcnt(0)
	v_mul_f32_e32 v105, s19, v105
	s_branch .LBB88_111
.LBB88_110:
	v_mov_b32_e32 v105, 0
.LBB88_111:
	v_dual_max_f32 v106, v41, v41 :: v_dual_max_f32 v109, v12, v12
	v_dual_max_f32 v107, v13, v13 :: v_dual_max_f32 v108, v40, v40
	;; [unrolled: 1-line block ×3, first 2 shown]
	v_max_f32_e32 v112, v15, v15
	s_delay_alu instid0(VALU_DEP_3) | instskip(NEXT) | instid1(VALU_DEP_4)
	v_min_f32_e32 v106, v107, v106
	v_dual_max_f32 v107, v14, v14 :: v_dual_min_f32 v108, v109, v108
	v_add_co_u32 v44, vcc_lo, v46, v44
	s_delay_alu instid0(VALU_DEP_3) | instskip(NEXT) | instid1(VALU_DEP_3)
	v_add_f32_e32 v104, v104, v106
	v_min_f32_e32 v106, v107, v110
	s_delay_alu instid0(VALU_DEP_4) | instskip(SKIP_2) | instid1(VALU_DEP_2)
	v_add_f32_e32 v103, v103, v108
	v_min_f32_e32 v107, v112, v111
	v_add_co_ci_u32_e32 v45, vcc_lo, v47, v45, vcc_lo
	v_dual_add_f32 v103, v103, v106 :: v_dual_add_f32 v104, v104, v107
	s_delay_alu instid0(VALU_DEP_1) | instskip(NEXT) | instid1(VALU_DEP_1)
	v_add_f32_e32 v103, v103, v104
	v_add_f32_e32 v103, v103, v105
	global_store_b32 v[44:45], v103, off
	s_or_b32 exec_lo, exec_lo, s15
	s_and_b32 s16, s6, s8
	s_delay_alu instid0(SALU_CYCLE_1)
	s_and_saveexec_b32 s15, s16
	s_cbranch_execz .LBB88_87
.LBB88_112:
	v_cmp_ne_u32_e32 vcc_lo, 1, v100
	v_lshlrev_b64 v[44:45], 2, v[60:61]
	s_cbranch_vccnz .LBB88_114
; %bb.113:
	s_delay_alu instid0(VALU_DEP_1) | instskip(NEXT) | instid1(VALU_DEP_2)
	v_add_co_u32 v103, vcc_lo, v64, v44
	v_add_co_ci_u32_e32 v104, vcc_lo, v65, v45, vcc_lo
	flat_load_b32 v103, v[103:104]
	s_waitcnt vmcnt(0) lgkmcnt(0)
	v_mul_f32_e32 v103, s19, v103
	s_branch .LBB88_115
.LBB88_114:
	v_mov_b32_e32 v103, 0
.LBB88_115:
	v_dual_max_f32 v104, v41, v41 :: v_dual_max_f32 v107, v8, v8
	v_dual_max_f32 v105, v9, v9 :: v_dual_max_f32 v106, v40, v40
	;; [unrolled: 1-line block ×3, first 2 shown]
	v_add_co_u32 v44, vcc_lo, v46, v44
	s_delay_alu instid0(VALU_DEP_3) | instskip(SKIP_2) | instid1(VALU_DEP_3)
	v_dual_min_f32 v104, v105, v104 :: v_dual_max_f32 v105, v10, v10
	v_max_f32_e32 v110, v11, v11
	v_add_co_ci_u32_e32 v45, vcc_lo, v47, v45, vcc_lo
	v_dual_add_f32 v101, v101, v104 :: v_dual_min_f32 v106, v107, v106
	s_delay_alu instid0(VALU_DEP_3) | instskip(NEXT) | instid1(VALU_DEP_1)
	v_dual_min_f32 v104, v105, v108 :: v_dual_min_f32 v105, v110, v109
	v_dual_add_f32 v102, v102, v106 :: v_dual_add_f32 v101, v101, v105
	s_delay_alu instid0(VALU_DEP_1) | instskip(NEXT) | instid1(VALU_DEP_1)
	v_add_f32_e32 v102, v102, v104
	v_add_f32_e32 v101, v102, v101
	s_delay_alu instid0(VALU_DEP_1) | instskip(SKIP_3) | instid1(SALU_CYCLE_1)
	v_add_f32_e32 v101, v101, v103
	global_store_b32 v[44:45], v101, off
	s_or_b32 exec_lo, exec_lo, s15
	s_and_b32 s15, s7, s8
	s_and_saveexec_b32 s8, s15
	s_cbranch_execz .LBB88_120
.LBB88_116:
	v_cmp_ne_u32_e32 vcc_lo, 1, v100
	v_lshlrev_b64 v[44:45], 2, v[62:63]
	s_cbranch_vccnz .LBB88_118
; %bb.117:
	s_delay_alu instid0(VALU_DEP_1) | instskip(NEXT) | instid1(VALU_DEP_2)
	v_add_co_u32 v64, vcc_lo, v64, v44
	v_add_co_ci_u32_e32 v65, vcc_lo, v65, v45, vcc_lo
	flat_load_b32 v64, v[64:65]
	s_waitcnt vmcnt(0) lgkmcnt(0)
	v_mul_f32_e32 v64, s19, v64
	s_branch .LBB88_119
.LBB88_118:
	v_mov_b32_e32 v64, 0
.LBB88_119:
	v_dual_max_f32 v41, v41, v41 :: v_dual_max_f32 v40, v40, v40
	v_dual_max_f32 v65, v1, v1 :: v_dual_max_f32 v42, v42, v42
	v_dual_max_f32 v101, v0, v0 :: v_dual_max_f32 v102, v3, v3
	s_delay_alu instid0(VALU_DEP_1) | instskip(NEXT) | instid1(VALU_DEP_1)
	v_dual_max_f32 v43, v43, v43 :: v_dual_min_f32 v40, v101, v40
	v_dual_min_f32 v41, v65, v41 :: v_dual_add_f32 v40, v98, v40
	s_delay_alu instid0(VALU_DEP_1) | instskip(NEXT) | instid1(VALU_DEP_3)
	v_add_f32_e32 v41, v99, v41
	v_min_f32_e32 v43, v102, v43
	s_delay_alu instid0(VALU_DEP_1) | instskip(SKIP_1) | instid1(VALU_DEP_1)
	v_add_f32_e32 v41, v41, v43
	v_max_f32_e32 v65, v2, v2
	v_min_f32_e32 v42, v65, v42
	s_delay_alu instid0(VALU_DEP_1) | instskip(NEXT) | instid1(VALU_DEP_1)
	v_add_f32_e32 v40, v40, v42
	v_add_f32_e32 v40, v40, v41
	s_delay_alu instid0(VALU_DEP_1)
	v_add_f32_e32 v42, v40, v64
	v_add_co_u32 v40, vcc_lo, v46, v44
	v_add_co_ci_u32_e32 v41, vcc_lo, v47, v45, vcc_lo
	global_store_b32 v[40:41], v42, off
.LBB88_120:
	s_or_b32 exec_lo, exec_lo, s8
	v_add_nc_u32_e32 v44, 64, v117
	s_delay_alu instid0(VALU_DEP_1) | instskip(SKIP_2) | instid1(VALU_DEP_3)
	v_mad_i64_i32 v[40:41], null, v44, s12, 0
	v_mad_i64_i32 v[42:43], null, v44, s9, 0
	v_cmp_gt_i32_e64 s8, s17, v44
	v_lshlrev_b64 v[40:41], 2, v[40:41]
	s_delay_alu instid0(VALU_DEP_2) | instskip(NEXT) | instid1(VALU_DEP_3)
	s_and_b32 s16, s0, s8
	v_lshlrev_b64 v[42:43], 2, v[42:43]
	s_delay_alu instid0(VALU_DEP_2) | instskip(NEXT) | instid1(VALU_DEP_3)
	v_add_co_u32 v44, vcc_lo, s10, v40
	v_add_co_ci_u32_e32 v45, vcc_lo, s11, v41, vcc_lo
	s_delay_alu instid0(VALU_DEP_3) | instskip(NEXT) | instid1(VALU_DEP_4)
	v_add_co_u32 v42, vcc_lo, s13, v42
	v_add_co_ci_u32_e32 v43, vcc_lo, s14, v43, vcc_lo
	s_and_saveexec_b32 s15, s16
	s_cbranch_execnz .LBB88_128
; %bb.121:
	s_or_b32 exec_lo, exec_lo, s15
	s_and_b32 s16, s1, s8
	s_delay_alu instid0(SALU_CYCLE_1)
	s_and_saveexec_b32 s15, s16
	s_cbranch_execnz .LBB88_132
.LBB88_122:
	s_or_b32 exec_lo, exec_lo, s15
	s_and_b32 s16, s2, s8
	s_delay_alu instid0(SALU_CYCLE_1)
	s_and_saveexec_b32 s15, s16
	s_cbranch_execnz .LBB88_136
.LBB88_123:
	s_or_b32 exec_lo, exec_lo, s15
	s_and_b32 s16, s3, s8
	s_delay_alu instid0(SALU_CYCLE_1)
	s_and_saveexec_b32 s15, s16
	s_cbranch_execnz .LBB88_140
.LBB88_124:
	s_or_b32 exec_lo, exec_lo, s15
	s_and_b32 s16, s4, s8
	s_delay_alu instid0(SALU_CYCLE_1)
	s_and_saveexec_b32 s15, s16
	s_cbranch_execnz .LBB88_144
.LBB88_125:
	s_or_b32 exec_lo, exec_lo, s15
	s_and_b32 s16, s5, s8
	s_delay_alu instid0(SALU_CYCLE_1)
	s_and_saveexec_b32 s15, s16
	s_cbranch_execnz .LBB88_148
.LBB88_126:
	s_or_b32 exec_lo, exec_lo, s15
	s_and_b32 s16, s6, s8
	s_delay_alu instid0(SALU_CYCLE_1)
	s_and_saveexec_b32 s15, s16
	s_cbranch_execnz .LBB88_152
.LBB88_127:
	s_or_b32 exec_lo, exec_lo, s15
	s_and_b32 s15, s7, s8
	s_delay_alu instid0(SALU_CYCLE_1)
	s_and_saveexec_b32 s8, s15
	s_cbranch_execnz .LBB88_156
	s_branch .LBB88_160
.LBB88_128:
	v_cmp_ne_u32_e32 vcc_lo, 1, v100
	v_lshlrev_b64 v[40:41], 2, v[48:49]
	s_cbranch_vccnz .LBB88_130
; %bb.129:
	s_delay_alu instid0(VALU_DEP_1) | instskip(NEXT) | instid1(VALU_DEP_2)
	v_add_co_u32 v46, vcc_lo, v44, v40
	v_add_co_ci_u32_e32 v47, vcc_lo, v45, v41, vcc_lo
	flat_load_b32 v46, v[46:47]
	s_waitcnt vmcnt(0) lgkmcnt(0)
	v_mul_f32_e32 v46, s19, v46
	s_branch .LBB88_131
.LBB88_130:
	v_mov_b32_e32 v46, 0
.LBB88_131:
	v_dual_max_f32 v47, v37, v37 :: v_dual_max_f32 v98, v32, v32
	v_dual_max_f32 v64, v33, v33 :: v_dual_max_f32 v65, v36, v36
	;; [unrolled: 1-line block ×3, first 2 shown]
	v_add_co_u32 v40, vcc_lo, v42, v40
	s_delay_alu instid0(VALU_DEP_3) | instskip(NEXT) | instid1(VALU_DEP_4)
	v_dual_min_f32 v47, v64, v47 :: v_dual_max_f32 v64, v34, v34
	v_min_f32_e32 v65, v98, v65
	v_add_co_ci_u32_e32 v41, vcc_lo, v43, v41, vcc_lo
	s_delay_alu instid0(VALU_DEP_3) | instskip(NEXT) | instid1(VALU_DEP_4)
	v_add_f32_e32 v47, v97, v47
	v_min_f32_e32 v64, v64, v99
	s_delay_alu instid0(VALU_DEP_4) | instskip(NEXT) | instid1(VALU_DEP_1)
	v_add_f32_e32 v65, v96, v65
	v_dual_max_f32 v101, v39, v39 :: v_dual_add_f32 v64, v65, v64
	s_delay_alu instid0(VALU_DEP_1) | instskip(NEXT) | instid1(VALU_DEP_1)
	v_min_f32_e32 v97, v102, v101
	v_add_f32_e32 v47, v47, v97
	s_delay_alu instid0(VALU_DEP_1) | instskip(NEXT) | instid1(VALU_DEP_1)
	v_add_f32_e32 v47, v64, v47
	v_add_f32_e32 v46, v47, v46
	global_store_b32 v[40:41], v46, off
	s_or_b32 exec_lo, exec_lo, s15
	s_and_b32 s16, s1, s8
	s_delay_alu instid0(SALU_CYCLE_1)
	s_and_saveexec_b32 s15, s16
	s_cbranch_execz .LBB88_122
.LBB88_132:
	v_cmp_ne_u32_e32 vcc_lo, 1, v100
	v_lshlrev_b64 v[40:41], 2, v[50:51]
	s_cbranch_vccnz .LBB88_134
; %bb.133:
	s_delay_alu instid0(VALU_DEP_1) | instskip(NEXT) | instid1(VALU_DEP_2)
	v_add_co_u32 v46, vcc_lo, v44, v40
	v_add_co_ci_u32_e32 v47, vcc_lo, v45, v41, vcc_lo
	flat_load_b32 v46, v[46:47]
	s_waitcnt vmcnt(0) lgkmcnt(0)
	v_mul_f32_e32 v46, s19, v46
	s_branch .LBB88_135
.LBB88_134:
	v_mov_b32_e32 v46, 0
.LBB88_135:
	v_dual_max_f32 v47, v37, v37 :: v_dual_max_f32 v96, v28, v28
	v_dual_max_f32 v64, v29, v29 :: v_dual_max_f32 v65, v36, v36
	;; [unrolled: 1-line block ×3, first 2 shown]
	v_add_co_u32 v40, vcc_lo, v42, v40
	s_delay_alu instid0(VALU_DEP_3) | instskip(SKIP_2) | instid1(VALU_DEP_3)
	v_dual_min_f32 v47, v64, v47 :: v_dual_max_f32 v64, v30, v30
	v_max_f32_e32 v99, v31, v31
	v_add_co_ci_u32_e32 v41, vcc_lo, v43, v41, vcc_lo
	v_min_f32_e32 v64, v64, v97
	v_min_f32_e32 v65, v96, v65
	s_delay_alu instid0(VALU_DEP_4) | instskip(NEXT) | instid1(VALU_DEP_2)
	v_dual_add_f32 v47, v94, v47 :: v_dual_min_f32 v94, v99, v98
	v_add_f32_e32 v65, v95, v65
	s_delay_alu instid0(VALU_DEP_1) | instskip(NEXT) | instid1(VALU_DEP_1)
	v_dual_add_f32 v64, v65, v64 :: v_dual_add_f32 v47, v47, v94
	v_add_f32_e32 v47, v64, v47
	s_delay_alu instid0(VALU_DEP_1) | instskip(SKIP_3) | instid1(SALU_CYCLE_1)
	v_add_f32_e32 v46, v47, v46
	global_store_b32 v[40:41], v46, off
	s_or_b32 exec_lo, exec_lo, s15
	s_and_b32 s16, s2, s8
	s_and_saveexec_b32 s15, s16
	s_cbranch_execz .LBB88_123
.LBB88_136:
	v_cmp_ne_u32_e32 vcc_lo, 1, v100
	v_lshlrev_b64 v[40:41], 2, v[52:53]
	s_cbranch_vccnz .LBB88_138
; %bb.137:
	s_delay_alu instid0(VALU_DEP_1) | instskip(NEXT) | instid1(VALU_DEP_2)
	v_add_co_u32 v46, vcc_lo, v44, v40
	v_add_co_ci_u32_e32 v47, vcc_lo, v45, v41, vcc_lo
	flat_load_b32 v46, v[46:47]
	s_waitcnt vmcnt(0) lgkmcnt(0)
	v_mul_f32_e32 v46, s19, v46
	s_branch .LBB88_139
.LBB88_138:
	v_mov_b32_e32 v46, 0
.LBB88_139:
	v_dual_max_f32 v47, v37, v37 :: v_dual_max_f32 v94, v24, v24
	v_dual_max_f32 v64, v25, v25 :: v_dual_max_f32 v65, v36, v36
	;; [unrolled: 1-line block ×3, first 2 shown]
	v_add_co_u32 v40, vcc_lo, v42, v40
	s_delay_alu instid0(VALU_DEP_3) | instskip(NEXT) | instid1(VALU_DEP_4)
	v_dual_min_f32 v47, v64, v47 :: v_dual_max_f32 v64, v26, v26
	v_min_f32_e32 v65, v94, v65
	v_add_co_ci_u32_e32 v41, vcc_lo, v43, v41, vcc_lo
	s_delay_alu instid0(VALU_DEP_2) | instskip(NEXT) | instid1(VALU_DEP_1)
	v_dual_min_f32 v64, v64, v95 :: v_dual_add_f32 v65, v93, v65
	v_dual_max_f32 v97, v27, v27 :: v_dual_add_f32 v64, v65, v64
	s_delay_alu instid0(VALU_DEP_1) | instskip(NEXT) | instid1(VALU_DEP_1)
	v_dual_add_f32 v47, v92, v47 :: v_dual_min_f32 v92, v97, v96
	v_add_f32_e32 v47, v47, v92
	s_delay_alu instid0(VALU_DEP_1) | instskip(NEXT) | instid1(VALU_DEP_1)
	v_add_f32_e32 v47, v64, v47
	v_add_f32_e32 v46, v47, v46
	global_store_b32 v[40:41], v46, off
	s_or_b32 exec_lo, exec_lo, s15
	s_and_b32 s16, s3, s8
	s_delay_alu instid0(SALU_CYCLE_1)
	s_and_saveexec_b32 s15, s16
	s_cbranch_execz .LBB88_124
.LBB88_140:
	v_cmp_ne_u32_e32 vcc_lo, 1, v100
	v_lshlrev_b64 v[40:41], 2, v[54:55]
	s_cbranch_vccnz .LBB88_142
; %bb.141:
	s_delay_alu instid0(VALU_DEP_1) | instskip(NEXT) | instid1(VALU_DEP_2)
	v_add_co_u32 v46, vcc_lo, v44, v40
	v_add_co_ci_u32_e32 v47, vcc_lo, v45, v41, vcc_lo
	flat_load_b32 v46, v[46:47]
	s_waitcnt vmcnt(0) lgkmcnt(0)
	v_mul_f32_e32 v46, s19, v46
	s_branch .LBB88_143
.LBB88_142:
	v_mov_b32_e32 v46, 0
.LBB88_143:
	v_dual_max_f32 v47, v37, v37 :: v_dual_max_f32 v92, v20, v20
	v_dual_max_f32 v64, v21, v21 :: v_dual_max_f32 v65, v36, v36
	;; [unrolled: 1-line block ×3, first 2 shown]
	v_add_co_u32 v40, vcc_lo, v42, v40
	s_delay_alu instid0(VALU_DEP_3) | instskip(SKIP_2) | instid1(VALU_DEP_3)
	v_dual_min_f32 v47, v64, v47 :: v_dual_max_f32 v64, v22, v22
	v_max_f32_e32 v95, v23, v23
	v_add_co_ci_u32_e32 v41, vcc_lo, v43, v41, vcc_lo
	v_min_f32_e32 v64, v64, v93
	v_min_f32_e32 v65, v92, v65
	s_delay_alu instid0(VALU_DEP_4) | instskip(NEXT) | instid1(VALU_DEP_2)
	v_dual_add_f32 v47, v90, v47 :: v_dual_min_f32 v90, v95, v94
	v_add_f32_e32 v65, v91, v65
	s_delay_alu instid0(VALU_DEP_1) | instskip(NEXT) | instid1(VALU_DEP_1)
	v_dual_add_f32 v64, v65, v64 :: v_dual_add_f32 v47, v47, v90
	v_add_f32_e32 v47, v64, v47
	s_delay_alu instid0(VALU_DEP_1) | instskip(SKIP_3) | instid1(SALU_CYCLE_1)
	v_add_f32_e32 v46, v47, v46
	global_store_b32 v[40:41], v46, off
	s_or_b32 exec_lo, exec_lo, s15
	s_and_b32 s16, s4, s8
	s_and_saveexec_b32 s15, s16
	s_cbranch_execz .LBB88_125
.LBB88_144:
	v_cmp_ne_u32_e32 vcc_lo, 1, v100
	v_lshlrev_b64 v[40:41], 2, v[56:57]
	s_cbranch_vccnz .LBB88_146
; %bb.145:
	s_delay_alu instid0(VALU_DEP_1) | instskip(NEXT) | instid1(VALU_DEP_2)
	v_add_co_u32 v46, vcc_lo, v44, v40
	v_add_co_ci_u32_e32 v47, vcc_lo, v45, v41, vcc_lo
	flat_load_b32 v46, v[46:47]
	s_waitcnt vmcnt(0) lgkmcnt(0)
	v_mul_f32_e32 v46, s19, v46
	s_branch .LBB88_147
.LBB88_146:
	v_mov_b32_e32 v46, 0
.LBB88_147:
	v_dual_max_f32 v47, v37, v37 :: v_dual_max_f32 v90, v16, v16
	v_dual_max_f32 v64, v17, v17 :: v_dual_max_f32 v65, v36, v36
	;; [unrolled: 1-line block ×3, first 2 shown]
	v_add_co_u32 v40, vcc_lo, v42, v40
	s_delay_alu instid0(VALU_DEP_3) | instskip(NEXT) | instid1(VALU_DEP_4)
	v_dual_min_f32 v47, v64, v47 :: v_dual_max_f32 v64, v18, v18
	v_min_f32_e32 v65, v90, v65
	v_add_co_ci_u32_e32 v41, vcc_lo, v43, v41, vcc_lo
	s_delay_alu instid0(VALU_DEP_3) | instskip(NEXT) | instid1(VALU_DEP_4)
	v_add_f32_e32 v47, v89, v47
	v_min_f32_e32 v64, v64, v91
	s_delay_alu instid0(VALU_DEP_4) | instskip(NEXT) | instid1(VALU_DEP_1)
	v_add_f32_e32 v65, v88, v65
	v_dual_max_f32 v93, v19, v19 :: v_dual_add_f32 v64, v65, v64
	s_delay_alu instid0(VALU_DEP_1) | instskip(NEXT) | instid1(VALU_DEP_1)
	v_min_f32_e32 v89, v93, v92
	v_add_f32_e32 v47, v47, v89
	s_delay_alu instid0(VALU_DEP_1) | instskip(NEXT) | instid1(VALU_DEP_1)
	v_add_f32_e32 v47, v64, v47
	v_add_f32_e32 v46, v47, v46
	global_store_b32 v[40:41], v46, off
	s_or_b32 exec_lo, exec_lo, s15
	s_and_b32 s16, s5, s8
	s_delay_alu instid0(SALU_CYCLE_1)
	s_and_saveexec_b32 s15, s16
	s_cbranch_execz .LBB88_126
.LBB88_148:
	v_cmp_ne_u32_e32 vcc_lo, 1, v100
	v_lshlrev_b64 v[40:41], 2, v[58:59]
	s_cbranch_vccnz .LBB88_150
; %bb.149:
	s_delay_alu instid0(VALU_DEP_1) | instskip(NEXT) | instid1(VALU_DEP_2)
	v_add_co_u32 v46, vcc_lo, v44, v40
	v_add_co_ci_u32_e32 v47, vcc_lo, v45, v41, vcc_lo
	flat_load_b32 v46, v[46:47]
	s_waitcnt vmcnt(0) lgkmcnt(0)
	v_mul_f32_e32 v46, s19, v46
	s_branch .LBB88_151
.LBB88_150:
	v_mov_b32_e32 v46, 0
.LBB88_151:
	v_dual_max_f32 v47, v37, v37 :: v_dual_max_f32 v88, v12, v12
	v_dual_max_f32 v64, v13, v13 :: v_dual_max_f32 v65, v36, v36
	;; [unrolled: 1-line block ×3, first 2 shown]
	v_add_co_u32 v40, vcc_lo, v42, v40
	s_delay_alu instid0(VALU_DEP_3) | instskip(SKIP_3) | instid1(VALU_DEP_4)
	v_dual_min_f32 v47, v64, v47 :: v_dual_max_f32 v64, v14, v14
	v_max_f32_e32 v91, v15, v15
	v_min_f32_e32 v65, v88, v65
	v_add_co_ci_u32_e32 v41, vcc_lo, v43, v41, vcc_lo
	v_min_f32_e32 v64, v64, v89
	s_delay_alu instid0(VALU_DEP_3) | instskip(SKIP_1) | instid1(VALU_DEP_2)
	v_add_f32_e32 v65, v86, v65
	v_add_f32_e32 v47, v87, v47
	v_dual_min_f32 v87, v91, v90 :: v_dual_add_f32 v64, v65, v64
	s_delay_alu instid0(VALU_DEP_1) | instskip(NEXT) | instid1(VALU_DEP_1)
	v_add_f32_e32 v47, v47, v87
	v_add_f32_e32 v47, v64, v47
	s_delay_alu instid0(VALU_DEP_1) | instskip(SKIP_3) | instid1(SALU_CYCLE_1)
	v_add_f32_e32 v46, v47, v46
	global_store_b32 v[40:41], v46, off
	s_or_b32 exec_lo, exec_lo, s15
	s_and_b32 s16, s6, s8
	s_and_saveexec_b32 s15, s16
	s_cbranch_execz .LBB88_127
.LBB88_152:
	v_cmp_ne_u32_e32 vcc_lo, 1, v100
	v_lshlrev_b64 v[40:41], 2, v[60:61]
	s_cbranch_vccnz .LBB88_154
; %bb.153:
	s_delay_alu instid0(VALU_DEP_1) | instskip(NEXT) | instid1(VALU_DEP_2)
	v_add_co_u32 v46, vcc_lo, v44, v40
	v_add_co_ci_u32_e32 v47, vcc_lo, v45, v41, vcc_lo
	flat_load_b32 v46, v[46:47]
	s_waitcnt vmcnt(0) lgkmcnt(0)
	v_mul_f32_e32 v46, s19, v46
	s_branch .LBB88_155
.LBB88_154:
	v_mov_b32_e32 v46, 0
.LBB88_155:
	v_dual_max_f32 v47, v37, v37 :: v_dual_max_f32 v86, v8, v8
	v_dual_max_f32 v64, v9, v9 :: v_dual_max_f32 v65, v36, v36
	;; [unrolled: 1-line block ×3, first 2 shown]
	v_add_co_u32 v40, vcc_lo, v42, v40
	s_delay_alu instid0(VALU_DEP_3) | instskip(NEXT) | instid1(VALU_DEP_4)
	v_dual_min_f32 v47, v64, v47 :: v_dual_max_f32 v64, v10, v10
	v_min_f32_e32 v65, v86, v65
	v_add_co_ci_u32_e32 v41, vcc_lo, v43, v41, vcc_lo
	s_delay_alu instid0(VALU_DEP_2) | instskip(NEXT) | instid1(VALU_DEP_1)
	v_dual_min_f32 v64, v64, v87 :: v_dual_add_f32 v65, v85, v65
	v_dual_max_f32 v89, v11, v11 :: v_dual_add_f32 v64, v65, v64
	s_delay_alu instid0(VALU_DEP_1) | instskip(NEXT) | instid1(VALU_DEP_1)
	v_dual_add_f32 v47, v84, v47 :: v_dual_min_f32 v84, v89, v88
	v_add_f32_e32 v47, v47, v84
	s_delay_alu instid0(VALU_DEP_1) | instskip(NEXT) | instid1(VALU_DEP_1)
	v_add_f32_e32 v47, v64, v47
	v_add_f32_e32 v46, v47, v46
	global_store_b32 v[40:41], v46, off
	s_or_b32 exec_lo, exec_lo, s15
	s_and_b32 s15, s7, s8
	s_delay_alu instid0(SALU_CYCLE_1)
	s_and_saveexec_b32 s8, s15
	s_cbranch_execz .LBB88_160
.LBB88_156:
	v_cmp_ne_u32_e32 vcc_lo, 1, v100
	v_lshlrev_b64 v[40:41], 2, v[62:63]
	s_cbranch_vccnz .LBB88_158
; %bb.157:
	s_delay_alu instid0(VALU_DEP_1) | instskip(NEXT) | instid1(VALU_DEP_2)
	v_add_co_u32 v44, vcc_lo, v44, v40
	v_add_co_ci_u32_e32 v45, vcc_lo, v45, v41, vcc_lo
	flat_load_b32 v44, v[44:45]
	s_waitcnt vmcnt(0) lgkmcnt(0)
	v_mul_f32_e32 v44, s19, v44
	s_branch .LBB88_159
.LBB88_158:
	v_mov_b32_e32 v44, 0
.LBB88_159:
	v_dual_max_f32 v37, v37, v37 :: v_dual_max_f32 v36, v36, v36
	v_dual_max_f32 v45, v1, v1 :: v_dual_max_f32 v46, v0, v0
	;; [unrolled: 1-line block ×3, first 2 shown]
	s_delay_alu instid0(VALU_DEP_2) | instskip(SKIP_1) | instid1(VALU_DEP_2)
	v_dual_min_f32 v37, v45, v37 :: v_dual_min_f32 v36, v46, v36
	v_max_f32_e32 v47, v3, v3
	v_dual_add_f32 v37, v83, v37 :: v_dual_add_f32 v36, v82, v36
	s_delay_alu instid0(VALU_DEP_2) | instskip(NEXT) | instid1(VALU_DEP_1)
	v_min_f32_e32 v39, v47, v39
	v_add_f32_e32 v37, v37, v39
	v_max_f32_e32 v45, v2, v2
	s_delay_alu instid0(VALU_DEP_1) | instskip(NEXT) | instid1(VALU_DEP_1)
	v_min_f32_e32 v38, v45, v38
	v_add_f32_e32 v36, v36, v38
	s_delay_alu instid0(VALU_DEP_1) | instskip(NEXT) | instid1(VALU_DEP_1)
	v_add_f32_e32 v36, v36, v37
	v_add_f32_e32 v38, v36, v44
	v_add_co_u32 v36, vcc_lo, v42, v40
	v_add_co_ci_u32_e32 v37, vcc_lo, v43, v41, vcc_lo
	global_store_b32 v[36:37], v38, off
.LBB88_160:
	s_or_b32 exec_lo, exec_lo, s8
	v_add_nc_u32_e32 v40, 0x60, v117
	s_delay_alu instid0(VALU_DEP_1) | instskip(SKIP_2) | instid1(VALU_DEP_3)
	v_mad_i64_i32 v[36:37], null, v40, s12, 0
	v_mad_i64_i32 v[38:39], null, v40, s9, 0
	v_cmp_gt_i32_e64 s8, s17, v40
	v_lshlrev_b64 v[36:37], 2, v[36:37]
	s_delay_alu instid0(VALU_DEP_2) | instskip(NEXT) | instid1(VALU_DEP_3)
	s_and_b32 s9, s0, s8
	v_lshlrev_b64 v[38:39], 2, v[38:39]
	s_delay_alu instid0(VALU_DEP_2) | instskip(NEXT) | instid1(VALU_DEP_3)
	v_add_co_u32 v40, vcc_lo, s10, v36
	v_add_co_ci_u32_e32 v41, vcc_lo, s11, v37, vcc_lo
	s_delay_alu instid0(VALU_DEP_3) | instskip(NEXT) | instid1(VALU_DEP_4)
	v_add_co_u32 v38, vcc_lo, s13, v38
	v_add_co_ci_u32_e32 v39, vcc_lo, s14, v39, vcc_lo
	s_and_saveexec_b32 s0, s9
	s_cbranch_execnz .LBB88_169
; %bb.161:
	s_or_b32 exec_lo, exec_lo, s0
	s_and_b32 s1, s1, s8
	s_delay_alu instid0(SALU_CYCLE_1)
	s_and_saveexec_b32 s0, s1
	s_cbranch_execnz .LBB88_173
.LBB88_162:
	s_or_b32 exec_lo, exec_lo, s0
	s_and_b32 s1, s2, s8
	s_delay_alu instid0(SALU_CYCLE_1)
	s_and_saveexec_b32 s0, s1
	s_cbranch_execnz .LBB88_177
.LBB88_163:
	s_or_b32 exec_lo, exec_lo, s0
	s_and_b32 s1, s3, s8
	s_delay_alu instid0(SALU_CYCLE_1)
	s_and_saveexec_b32 s0, s1
	s_cbranch_execnz .LBB88_181
.LBB88_164:
	s_or_b32 exec_lo, exec_lo, s0
	s_and_b32 s1, s4, s8
	s_delay_alu instid0(SALU_CYCLE_1)
	s_and_saveexec_b32 s0, s1
	s_cbranch_execnz .LBB88_185
.LBB88_165:
	s_or_b32 exec_lo, exec_lo, s0
	s_and_b32 s1, s5, s8
	s_delay_alu instid0(SALU_CYCLE_1)
	s_and_saveexec_b32 s0, s1
	s_cbranch_execnz .LBB88_189
.LBB88_166:
	s_or_b32 exec_lo, exec_lo, s0
	s_and_b32 s1, s6, s8
	s_delay_alu instid0(SALU_CYCLE_1)
	s_and_saveexec_b32 s0, s1
	s_cbranch_execnz .LBB88_193
.LBB88_167:
	s_or_b32 exec_lo, exec_lo, s0
	s_and_b32 s0, s7, s8
	s_delay_alu instid0(SALU_CYCLE_1)
	s_and_saveexec_b32 s1, s0
	s_cbranch_execnz .LBB88_197
.LBB88_168:
	s_nop 0
	s_sendmsg sendmsg(MSG_DEALLOC_VGPRS)
	s_endpgm
.LBB88_169:
	v_cmp_ne_u32_e32 vcc_lo, 1, v100
	v_lshlrev_b64 v[36:37], 2, v[48:49]
	s_cbranch_vccnz .LBB88_171
; %bb.170:
	s_delay_alu instid0(VALU_DEP_1) | instskip(NEXT) | instid1(VALU_DEP_2)
	v_add_co_u32 v42, vcc_lo, v40, v36
	v_add_co_ci_u32_e32 v43, vcc_lo, v41, v37, vcc_lo
	flat_load_b32 v42, v[42:43]
	s_waitcnt vmcnt(0) lgkmcnt(0)
	v_mul_f32_e32 v42, s19, v42
	s_branch .LBB88_172
.LBB88_171:
	v_mov_b32_e32 v42, 0
.LBB88_172:
	v_dual_max_f32 v43, v5, v5 :: v_dual_max_f32 v44, v4, v4
	v_dual_max_f32 v33, v33, v33 :: v_dual_max_f32 v32, v32, v32
	v_max_f32_e32 v45, v6, v6
	s_delay_alu instid0(VALU_DEP_2) | instskip(NEXT) | instid1(VALU_DEP_3)
	v_dual_max_f32 v34, v34, v34 :: v_dual_min_f32 v33, v33, v43
	v_dual_min_f32 v32, v32, v44 :: v_dual_max_f32 v43, v7, v7
	s_delay_alu instid0(VALU_DEP_2) | instskip(NEXT) | instid1(VALU_DEP_2)
	v_dual_min_f32 v34, v34, v45 :: v_dual_max_f32 v35, v35, v35
	v_dual_add_f32 v33, v80, v33 :: v_dual_add_f32 v32, v81, v32
	s_delay_alu instid0(VALU_DEP_1) | instskip(NEXT) | instid1(VALU_DEP_1)
	v_dual_min_f32 v35, v35, v43 :: v_dual_add_f32 v32, v32, v34
	v_add_f32_e32 v33, v33, v35
	s_delay_alu instid0(VALU_DEP_1) | instskip(NEXT) | instid1(VALU_DEP_1)
	v_add_f32_e32 v32, v32, v33
	v_add_f32_e32 v34, v32, v42
	v_add_co_u32 v32, vcc_lo, v38, v36
	v_add_co_ci_u32_e32 v33, vcc_lo, v39, v37, vcc_lo
	global_store_b32 v[32:33], v34, off
	s_or_b32 exec_lo, exec_lo, s0
	s_and_b32 s1, s1, s8
	s_delay_alu instid0(SALU_CYCLE_1)
	s_and_saveexec_b32 s0, s1
	s_cbranch_execz .LBB88_162
.LBB88_173:
	v_cmp_ne_u32_e32 vcc_lo, 1, v100
	v_lshlrev_b64 v[32:33], 2, v[50:51]
	s_cbranch_vccnz .LBB88_175
; %bb.174:
	s_delay_alu instid0(VALU_DEP_1) | instskip(NEXT) | instid1(VALU_DEP_2)
	v_add_co_u32 v34, vcc_lo, v40, v32
	v_add_co_ci_u32_e32 v35, vcc_lo, v41, v33, vcc_lo
	flat_load_b32 v34, v[34:35]
	s_waitcnt vmcnt(0) lgkmcnt(0)
	v_mul_f32_e32 v34, s19, v34
	s_branch .LBB88_176
.LBB88_175:
	v_mov_b32_e32 v34, 0
.LBB88_176:
	v_dual_max_f32 v35, v5, v5 :: v_dual_max_f32 v36, v4, v4
	v_dual_max_f32 v29, v29, v29 :: v_dual_max_f32 v28, v28, v28
	v_max_f32_e32 v37, v6, v6
	s_delay_alu instid0(VALU_DEP_2) | instskip(NEXT) | instid1(VALU_DEP_3)
	v_dual_max_f32 v30, v30, v30 :: v_dual_min_f32 v29, v29, v35
	v_dual_min_f32 v28, v28, v36 :: v_dual_max_f32 v35, v7, v7
	s_delay_alu instid0(VALU_DEP_2) | instskip(NEXT) | instid1(VALU_DEP_2)
	v_dual_min_f32 v30, v30, v37 :: v_dual_max_f32 v31, v31, v31
	v_dual_add_f32 v28, v78, v28 :: v_dual_add_f32 v29, v79, v29
	s_delay_alu instid0(VALU_DEP_1) | instskip(NEXT) | instid1(VALU_DEP_1)
	v_dual_add_f32 v28, v28, v30 :: v_dual_min_f32 v31, v31, v35
	v_add_f32_e32 v29, v29, v31
	s_delay_alu instid0(VALU_DEP_1) | instskip(NEXT) | instid1(VALU_DEP_1)
	v_add_f32_e32 v28, v28, v29
	v_add_f32_e32 v30, v28, v34
	v_add_co_u32 v28, vcc_lo, v38, v32
	v_add_co_ci_u32_e32 v29, vcc_lo, v39, v33, vcc_lo
	global_store_b32 v[28:29], v30, off
	s_or_b32 exec_lo, exec_lo, s0
	s_and_b32 s1, s2, s8
	s_delay_alu instid0(SALU_CYCLE_1)
	s_and_saveexec_b32 s0, s1
	s_cbranch_execz .LBB88_163
.LBB88_177:
	v_cmp_ne_u32_e32 vcc_lo, 1, v100
	v_lshlrev_b64 v[28:29], 2, v[52:53]
	s_cbranch_vccnz .LBB88_179
; %bb.178:
	s_delay_alu instid0(VALU_DEP_1) | instskip(NEXT) | instid1(VALU_DEP_2)
	v_add_co_u32 v30, vcc_lo, v40, v28
	v_add_co_ci_u32_e32 v31, vcc_lo, v41, v29, vcc_lo
	flat_load_b32 v30, v[30:31]
	s_waitcnt vmcnt(0) lgkmcnt(0)
	v_mul_f32_e32 v30, s19, v30
	s_branch .LBB88_180
.LBB88_179:
	v_mov_b32_e32 v30, 0
.LBB88_180:
	v_dual_max_f32 v31, v5, v5 :: v_dual_max_f32 v32, v4, v4
	v_dual_max_f32 v25, v25, v25 :: v_dual_max_f32 v24, v24, v24
	v_max_f32_e32 v33, v6, v6
	s_delay_alu instid0(VALU_DEP_2) | instskip(NEXT) | instid1(VALU_DEP_3)
	v_dual_max_f32 v26, v26, v26 :: v_dual_min_f32 v25, v25, v31
	v_dual_min_f32 v24, v24, v32 :: v_dual_max_f32 v31, v7, v7
	s_delay_alu instid0(VALU_DEP_2) | instskip(NEXT) | instid1(VALU_DEP_2)
	v_dual_min_f32 v26, v26, v33 :: v_dual_max_f32 v27, v27, v27
	v_dual_add_f32 v25, v76, v25 :: v_dual_add_f32 v24, v77, v24
	s_delay_alu instid0(VALU_DEP_1) | instskip(NEXT) | instid1(VALU_DEP_1)
	v_dual_min_f32 v27, v27, v31 :: v_dual_add_f32 v24, v24, v26
	v_add_f32_e32 v25, v25, v27
	s_delay_alu instid0(VALU_DEP_1) | instskip(NEXT) | instid1(VALU_DEP_1)
	v_add_f32_e32 v24, v24, v25
	v_add_f32_e32 v26, v24, v30
	v_add_co_u32 v24, vcc_lo, v38, v28
	v_add_co_ci_u32_e32 v25, vcc_lo, v39, v29, vcc_lo
	global_store_b32 v[24:25], v26, off
	s_or_b32 exec_lo, exec_lo, s0
	s_and_b32 s1, s3, s8
	s_delay_alu instid0(SALU_CYCLE_1)
	s_and_saveexec_b32 s0, s1
	s_cbranch_execz .LBB88_164
.LBB88_181:
	v_cmp_ne_u32_e32 vcc_lo, 1, v100
	v_lshlrev_b64 v[24:25], 2, v[54:55]
	s_cbranch_vccnz .LBB88_183
; %bb.182:
	s_delay_alu instid0(VALU_DEP_1) | instskip(NEXT) | instid1(VALU_DEP_2)
	v_add_co_u32 v26, vcc_lo, v40, v24
	v_add_co_ci_u32_e32 v27, vcc_lo, v41, v25, vcc_lo
	flat_load_b32 v26, v[26:27]
	s_waitcnt vmcnt(0) lgkmcnt(0)
	v_mul_f32_e32 v26, s19, v26
	s_branch .LBB88_184
.LBB88_183:
	v_mov_b32_e32 v26, 0
.LBB88_184:
	v_dual_max_f32 v27, v5, v5 :: v_dual_max_f32 v28, v4, v4
	v_dual_max_f32 v21, v21, v21 :: v_dual_max_f32 v20, v20, v20
	v_max_f32_e32 v29, v6, v6
	s_delay_alu instid0(VALU_DEP_2) | instskip(NEXT) | instid1(VALU_DEP_3)
	v_dual_max_f32 v22, v22, v22 :: v_dual_min_f32 v21, v21, v27
	v_dual_min_f32 v20, v20, v28 :: v_dual_max_f32 v27, v7, v7
	s_delay_alu instid0(VALU_DEP_2) | instskip(NEXT) | instid1(VALU_DEP_2)
	v_min_f32_e32 v22, v22, v29
	v_dual_add_f32 v21, v74, v21 :: v_dual_add_f32 v20, v75, v20
	s_delay_alu instid0(VALU_DEP_1) | instskip(NEXT) | instid1(VALU_DEP_1)
	v_dual_max_f32 v23, v23, v23 :: v_dual_add_f32 v20, v20, v22
	v_min_f32_e32 v23, v23, v27
	s_delay_alu instid0(VALU_DEP_1) | instskip(NEXT) | instid1(VALU_DEP_1)
	v_add_f32_e32 v21, v21, v23
	v_add_f32_e32 v20, v20, v21
	s_delay_alu instid0(VALU_DEP_1)
	v_add_f32_e32 v22, v20, v26
	v_add_co_u32 v20, vcc_lo, v38, v24
	v_add_co_ci_u32_e32 v21, vcc_lo, v39, v25, vcc_lo
	global_store_b32 v[20:21], v22, off
	s_or_b32 exec_lo, exec_lo, s0
	s_and_b32 s1, s4, s8
	s_delay_alu instid0(SALU_CYCLE_1)
	s_and_saveexec_b32 s0, s1
	s_cbranch_execz .LBB88_165
.LBB88_185:
	v_cmp_ne_u32_e32 vcc_lo, 1, v100
	v_lshlrev_b64 v[20:21], 2, v[56:57]
	s_cbranch_vccnz .LBB88_187
; %bb.186:
	s_delay_alu instid0(VALU_DEP_1) | instskip(NEXT) | instid1(VALU_DEP_2)
	v_add_co_u32 v22, vcc_lo, v40, v20
	v_add_co_ci_u32_e32 v23, vcc_lo, v41, v21, vcc_lo
	flat_load_b32 v22, v[22:23]
	s_waitcnt vmcnt(0) lgkmcnt(0)
	v_mul_f32_e32 v22, s19, v22
	s_branch .LBB88_188
.LBB88_187:
	v_mov_b32_e32 v22, 0
.LBB88_188:
	v_dual_max_f32 v23, v5, v5 :: v_dual_max_f32 v24, v4, v4
	v_dual_max_f32 v17, v17, v17 :: v_dual_max_f32 v16, v16, v16
	v_max_f32_e32 v25, v6, v6
	s_delay_alu instid0(VALU_DEP_2) | instskip(NEXT) | instid1(VALU_DEP_3)
	v_dual_max_f32 v18, v18, v18 :: v_dual_min_f32 v17, v17, v23
	v_dual_min_f32 v16, v16, v24 :: v_dual_max_f32 v23, v7, v7
	s_delay_alu instid0(VALU_DEP_2) | instskip(NEXT) | instid1(VALU_DEP_2)
	v_dual_min_f32 v18, v18, v25 :: v_dual_max_f32 v19, v19, v19
	v_dual_add_f32 v16, v72, v16 :: v_dual_add_f32 v17, v73, v17
	s_delay_alu instid0(VALU_DEP_1) | instskip(NEXT) | instid1(VALU_DEP_1)
	v_dual_add_f32 v16, v16, v18 :: v_dual_min_f32 v19, v19, v23
	v_add_f32_e32 v17, v17, v19
	s_delay_alu instid0(VALU_DEP_1) | instskip(NEXT) | instid1(VALU_DEP_1)
	v_add_f32_e32 v16, v16, v17
	v_add_f32_e32 v18, v16, v22
	v_add_co_u32 v16, vcc_lo, v38, v20
	v_add_co_ci_u32_e32 v17, vcc_lo, v39, v21, vcc_lo
	global_store_b32 v[16:17], v18, off
	s_or_b32 exec_lo, exec_lo, s0
	s_and_b32 s1, s5, s8
	s_delay_alu instid0(SALU_CYCLE_1)
	s_and_saveexec_b32 s0, s1
	s_cbranch_execz .LBB88_166
.LBB88_189:
	v_cmp_ne_u32_e32 vcc_lo, 1, v100
	v_lshlrev_b64 v[16:17], 2, v[58:59]
	s_cbranch_vccnz .LBB88_191
; %bb.190:
	s_delay_alu instid0(VALU_DEP_1) | instskip(NEXT) | instid1(VALU_DEP_2)
	v_add_co_u32 v18, vcc_lo, v40, v16
	v_add_co_ci_u32_e32 v19, vcc_lo, v41, v17, vcc_lo
	flat_load_b32 v18, v[18:19]
	s_waitcnt vmcnt(0) lgkmcnt(0)
	v_mul_f32_e32 v18, s19, v18
	s_branch .LBB88_192
.LBB88_191:
	v_mov_b32_e32 v18, 0
.LBB88_192:
	v_dual_max_f32 v19, v5, v5 :: v_dual_max_f32 v20, v4, v4
	v_dual_max_f32 v13, v13, v13 :: v_dual_max_f32 v12, v12, v12
	v_max_f32_e32 v21, v6, v6
	s_delay_alu instid0(VALU_DEP_2) | instskip(NEXT) | instid1(VALU_DEP_3)
	v_dual_max_f32 v14, v14, v14 :: v_dual_min_f32 v13, v13, v19
	v_dual_min_f32 v12, v12, v20 :: v_dual_max_f32 v19, v7, v7
	s_delay_alu instid0(VALU_DEP_2) | instskip(NEXT) | instid1(VALU_DEP_2)
	v_min_f32_e32 v14, v14, v21
	v_dual_add_f32 v13, v70, v13 :: v_dual_add_f32 v12, v71, v12
	s_delay_alu instid0(VALU_DEP_1) | instskip(NEXT) | instid1(VALU_DEP_1)
	v_dual_max_f32 v15, v15, v15 :: v_dual_add_f32 v12, v12, v14
	v_min_f32_e32 v15, v15, v19
	s_delay_alu instid0(VALU_DEP_1) | instskip(NEXT) | instid1(VALU_DEP_1)
	v_add_f32_e32 v13, v13, v15
	v_add_f32_e32 v12, v12, v13
	s_delay_alu instid0(VALU_DEP_1)
	v_add_f32_e32 v14, v12, v18
	v_add_co_u32 v12, vcc_lo, v38, v16
	v_add_co_ci_u32_e32 v13, vcc_lo, v39, v17, vcc_lo
	global_store_b32 v[12:13], v14, off
	s_or_b32 exec_lo, exec_lo, s0
	s_and_b32 s1, s6, s8
	s_delay_alu instid0(SALU_CYCLE_1)
	s_and_saveexec_b32 s0, s1
	s_cbranch_execz .LBB88_167
.LBB88_193:
	v_cmp_ne_u32_e32 vcc_lo, 1, v100
	v_lshlrev_b64 v[12:13], 2, v[60:61]
	s_cbranch_vccnz .LBB88_195
; %bb.194:
	s_delay_alu instid0(VALU_DEP_1) | instskip(NEXT) | instid1(VALU_DEP_2)
	v_add_co_u32 v14, vcc_lo, v40, v12
	v_add_co_ci_u32_e32 v15, vcc_lo, v41, v13, vcc_lo
	flat_load_b32 v14, v[14:15]
	s_waitcnt vmcnt(0) lgkmcnt(0)
	v_mul_f32_e32 v14, s19, v14
	s_branch .LBB88_196
.LBB88_195:
	v_mov_b32_e32 v14, 0
.LBB88_196:
	v_dual_max_f32 v15, v5, v5 :: v_dual_max_f32 v16, v4, v4
	v_dual_max_f32 v9, v9, v9 :: v_dual_max_f32 v8, v8, v8
	v_max_f32_e32 v17, v6, v6
	s_delay_alu instid0(VALU_DEP_2) | instskip(NEXT) | instid1(VALU_DEP_3)
	v_dual_max_f32 v10, v10, v10 :: v_dual_min_f32 v9, v9, v15
	v_dual_min_f32 v8, v8, v16 :: v_dual_max_f32 v15, v7, v7
	s_delay_alu instid0(VALU_DEP_2) | instskip(NEXT) | instid1(VALU_DEP_2)
	v_dual_min_f32 v10, v10, v17 :: v_dual_max_f32 v11, v11, v11
	v_dual_add_f32 v8, v68, v8 :: v_dual_add_f32 v9, v69, v9
	s_delay_alu instid0(VALU_DEP_1) | instskip(NEXT) | instid1(VALU_DEP_1)
	v_dual_add_f32 v8, v8, v10 :: v_dual_min_f32 v11, v11, v15
	v_add_f32_e32 v9, v9, v11
	s_delay_alu instid0(VALU_DEP_1) | instskip(NEXT) | instid1(VALU_DEP_1)
	v_add_f32_e32 v8, v8, v9
	v_add_f32_e32 v10, v8, v14
	v_add_co_u32 v8, vcc_lo, v38, v12
	v_add_co_ci_u32_e32 v9, vcc_lo, v39, v13, vcc_lo
	global_store_b32 v[8:9], v10, off
	s_or_b32 exec_lo, exec_lo, s0
	s_and_b32 s0, s7, s8
	s_delay_alu instid0(SALU_CYCLE_1)
	s_and_saveexec_b32 s1, s0
	s_cbranch_execz .LBB88_168
.LBB88_197:
	v_cmp_ne_u32_e32 vcc_lo, 1, v100
	v_lshlrev_b64 v[8:9], 2, v[62:63]
	s_cbranch_vccnz .LBB88_199
; %bb.198:
	s_delay_alu instid0(VALU_DEP_1) | instskip(NEXT) | instid1(VALU_DEP_2)
	v_add_co_u32 v10, vcc_lo, v40, v8
	v_add_co_ci_u32_e32 v11, vcc_lo, v41, v9, vcc_lo
	flat_load_b32 v10, v[10:11]
	s_waitcnt vmcnt(0) lgkmcnt(0)
	v_mul_f32_e32 v10, s19, v10
	s_branch .LBB88_200
.LBB88_199:
	v_mov_b32_e32 v10, 0
.LBB88_200:
	v_dual_max_f32 v5, v5, v5 :: v_dual_max_f32 v4, v4, v4
	v_dual_max_f32 v1, v1, v1 :: v_dual_max_f32 v0, v0, v0
	v_max_f32_e32 v6, v6, v6
	v_dual_max_f32 v2, v2, v2 :: v_dual_max_f32 v3, v3, v3
	s_delay_alu instid0(VALU_DEP_3) | instskip(NEXT) | instid1(VALU_DEP_2)
	v_dual_min_f32 v1, v1, v5 :: v_dual_min_f32 v0, v0, v4
	v_dual_max_f32 v5, v7, v7 :: v_dual_min_f32 v2, v2, v6
	s_delay_alu instid0(VALU_DEP_2) | instskip(NEXT) | instid1(VALU_DEP_1)
	v_dual_add_f32 v1, v67, v1 :: v_dual_add_f32 v0, v66, v0
	v_dual_min_f32 v3, v3, v5 :: v_dual_add_f32 v0, v0, v2
	s_delay_alu instid0(VALU_DEP_1) | instskip(NEXT) | instid1(VALU_DEP_1)
	v_add_f32_e32 v1, v1, v3
	v_add_f32_e32 v0, v0, v1
	s_delay_alu instid0(VALU_DEP_1)
	v_add_f32_e32 v2, v0, v10
	v_add_co_u32 v0, vcc_lo, v38, v8
	v_add_co_ci_u32_e32 v1, vcc_lo, v39, v9, vcc_lo
	global_store_b32 v[0:1], v2, off
	s_nop 0
	s_sendmsg sendmsg(MSG_DEALLOC_VGPRS)
	s_endpgm
	.section	.rodata,"a",@progbits
	.p2align	6, 0x0
	.amdhsa_kernel _ZN12_GLOBAL__N_120geam_min_plus_kernelIf15HIP_vector_typeIfLj2EES2_Li8ELi32ELi64ELi128ELi4ELi4ELi64ELi4ELi64ELc84ELc78ELb1ELb1ELb0EfKffEEviiiT16_PT17_ilS6_ilS4_S6_ilPT18_ili26rocblas_geam_ex_operation_
		.amdhsa_group_segment_fixed_size 6144
		.amdhsa_private_segment_fixed_size 0
		.amdhsa_kernarg_size 128
		.amdhsa_user_sgpr_count 14
		.amdhsa_user_sgpr_dispatch_ptr 0
		.amdhsa_user_sgpr_queue_ptr 0
		.amdhsa_user_sgpr_kernarg_segment_ptr 1
		.amdhsa_user_sgpr_dispatch_id 0
		.amdhsa_user_sgpr_private_segment_size 0
		.amdhsa_wavefront_size32 1
		.amdhsa_uses_dynamic_stack 0
		.amdhsa_enable_private_segment 0
		.amdhsa_system_sgpr_workgroup_id_x 1
		.amdhsa_system_sgpr_workgroup_id_y 0
		.amdhsa_system_sgpr_workgroup_id_z 1
		.amdhsa_system_sgpr_workgroup_info 0
		.amdhsa_system_vgpr_workitem_id 1
		.amdhsa_next_free_vgpr 226
		.amdhsa_next_free_sgpr 28
		.amdhsa_reserve_vcc 1
		.amdhsa_float_round_mode_32 0
		.amdhsa_float_round_mode_16_64 0
		.amdhsa_float_denorm_mode_32 3
		.amdhsa_float_denorm_mode_16_64 3
		.amdhsa_dx10_clamp 1
		.amdhsa_ieee_mode 1
		.amdhsa_fp16_overflow 0
		.amdhsa_workgroup_processor_mode 1
		.amdhsa_memory_ordered 1
		.amdhsa_forward_progress 0
		.amdhsa_shared_vgpr_count 0
		.amdhsa_exception_fp_ieee_invalid_op 0
		.amdhsa_exception_fp_denorm_src 0
		.amdhsa_exception_fp_ieee_div_zero 0
		.amdhsa_exception_fp_ieee_overflow 0
		.amdhsa_exception_fp_ieee_underflow 0
		.amdhsa_exception_fp_ieee_inexact 0
		.amdhsa_exception_int_div_zero 0
	.end_amdhsa_kernel
	.section	.text._ZN12_GLOBAL__N_120geam_min_plus_kernelIf15HIP_vector_typeIfLj2EES2_Li8ELi32ELi64ELi128ELi4ELi4ELi64ELi4ELi64ELc84ELc78ELb1ELb1ELb0EfKffEEviiiT16_PT17_ilS6_ilS4_S6_ilPT18_ili26rocblas_geam_ex_operation_,"axG",@progbits,_ZN12_GLOBAL__N_120geam_min_plus_kernelIf15HIP_vector_typeIfLj2EES2_Li8ELi32ELi64ELi128ELi4ELi4ELi64ELi4ELi64ELc84ELc78ELb1ELb1ELb0EfKffEEviiiT16_PT17_ilS6_ilS4_S6_ilPT18_ili26rocblas_geam_ex_operation_,comdat
.Lfunc_end88:
	.size	_ZN12_GLOBAL__N_120geam_min_plus_kernelIf15HIP_vector_typeIfLj2EES2_Li8ELi32ELi64ELi128ELi4ELi4ELi64ELi4ELi64ELc84ELc78ELb1ELb1ELb0EfKffEEviiiT16_PT17_ilS6_ilS4_S6_ilPT18_ili26rocblas_geam_ex_operation_, .Lfunc_end88-_ZN12_GLOBAL__N_120geam_min_plus_kernelIf15HIP_vector_typeIfLj2EES2_Li8ELi32ELi64ELi128ELi4ELi4ELi64ELi4ELi64ELc84ELc78ELb1ELb1ELb0EfKffEEviiiT16_PT17_ilS6_ilS4_S6_ilPT18_ili26rocblas_geam_ex_operation_
                                        ; -- End function
	.section	.AMDGPU.csdata,"",@progbits
; Kernel info:
; codeLenInByte = 13212
; NumSgprs: 30
; NumVgprs: 226
; ScratchSize: 0
; MemoryBound: 0
; FloatMode: 240
; IeeeMode: 1
; LDSByteSize: 6144 bytes/workgroup (compile time only)
; SGPRBlocks: 3
; VGPRBlocks: 28
; NumSGPRsForWavesPerEU: 30
; NumVGPRsForWavesPerEU: 226
; Occupancy: 6
; WaveLimiterHint : 0
; COMPUTE_PGM_RSRC2:SCRATCH_EN: 0
; COMPUTE_PGM_RSRC2:USER_SGPR: 14
; COMPUTE_PGM_RSRC2:TRAP_HANDLER: 0
; COMPUTE_PGM_RSRC2:TGID_X_EN: 1
; COMPUTE_PGM_RSRC2:TGID_Y_EN: 0
; COMPUTE_PGM_RSRC2:TGID_Z_EN: 1
; COMPUTE_PGM_RSRC2:TIDIG_COMP_CNT: 1
	.section	.text._ZN12_GLOBAL__N_120geam_min_plus_kernelIf15HIP_vector_typeIfLj2EES2_Li8ELi32ELi64ELi128ELi4ELi4ELi64ELi4ELi64ELc84ELc78ELb0ELb1ELb0EfKffEEviiiT16_PT17_ilS6_ilS4_S6_ilPT18_ili26rocblas_geam_ex_operation_,"axG",@progbits,_ZN12_GLOBAL__N_120geam_min_plus_kernelIf15HIP_vector_typeIfLj2EES2_Li8ELi32ELi64ELi128ELi4ELi4ELi64ELi4ELi64ELc84ELc78ELb0ELb1ELb0EfKffEEviiiT16_PT17_ilS6_ilS4_S6_ilPT18_ili26rocblas_geam_ex_operation_,comdat
	.globl	_ZN12_GLOBAL__N_120geam_min_plus_kernelIf15HIP_vector_typeIfLj2EES2_Li8ELi32ELi64ELi128ELi4ELi4ELi64ELi4ELi64ELc84ELc78ELb0ELb1ELb0EfKffEEviiiT16_PT17_ilS6_ilS4_S6_ilPT18_ili26rocblas_geam_ex_operation_ ; -- Begin function _ZN12_GLOBAL__N_120geam_min_plus_kernelIf15HIP_vector_typeIfLj2EES2_Li8ELi32ELi64ELi128ELi4ELi4ELi64ELi4ELi64ELc84ELc78ELb0ELb1ELb0EfKffEEviiiT16_PT17_ilS6_ilS4_S6_ilPT18_ili26rocblas_geam_ex_operation_
	.p2align	8
	.type	_ZN12_GLOBAL__N_120geam_min_plus_kernelIf15HIP_vector_typeIfLj2EES2_Li8ELi32ELi64ELi128ELi4ELi4ELi64ELi4ELi64ELc84ELc78ELb0ELb1ELb0EfKffEEviiiT16_PT17_ilS6_ilS4_S6_ilPT18_ili26rocblas_geam_ex_operation_,@function
_ZN12_GLOBAL__N_120geam_min_plus_kernelIf15HIP_vector_typeIfLj2EES2_Li8ELi32ELi64ELi128ELi4ELi4ELi64ELi4ELi64ELc84ELc78ELb0ELb1ELb0EfKffEEviiiT16_PT17_ilS6_ilS4_S6_ilPT18_ili26rocblas_geam_ex_operation_: ; @_ZN12_GLOBAL__N_120geam_min_plus_kernelIf15HIP_vector_typeIfLj2EES2_Li8ELi32ELi64ELi128ELi4ELi4ELi64ELi4ELi64ELc84ELc78ELb0ELb1ELb0EfKffEEviiiT16_PT17_ilS6_ilS4_S6_ilPT18_ili26rocblas_geam_ex_operation_
; %bb.0:
	s_clause 0x1
	s_load_b128 s[16:19], s[0:1], 0x0
	s_load_b128 s[4:7], s[0:1], 0x20
	s_waitcnt lgkmcnt(0)
	v_cmp_eq_f32_e64 s2, s19, 0
	v_cmp_neq_f32_e64 s23, s19, 0
	s_delay_alu instid0(VALU_DEP_2)
	s_and_b32 vcc_lo, exec_lo, s2
	s_cbranch_vccnz .LBB89_3
; %bb.1:
	s_load_b64 s[8:9], s[0:1], 0x10
	s_mul_i32 s3, s15, s5
	s_mul_hi_u32 s5, s15, s4
	s_mul_i32 s4, s15, s4
	s_add_i32 s5, s5, s3
	s_delay_alu instid0(SALU_CYCLE_1)
	s_lshl_b64 s[4:5], s[4:5], 2
	s_waitcnt lgkmcnt(0)
	s_add_u32 s12, s8, s4
	s_addc_u32 s13, s9, s5
	s_and_not1_b32 vcc_lo, exec_lo, s2
	s_cbranch_vccnz .LBB89_4
.LBB89_2:
	s_mov_b32 s22, 0
	s_mov_b64 s[8:9], 0
	s_cbranch_execz .LBB89_5
	s_branch .LBB89_6
.LBB89_3:
	s_mov_b64 s[12:13], 0
	s_and_not1_b32 vcc_lo, exec_lo, s2
	s_cbranch_vccz .LBB89_2
.LBB89_4:
	s_mov_b32 s22, -1
                                        ; implicit-def: $sgpr8_sgpr9
.LBB89_5:
	s_load_b64 s[2:3], s[0:1], 0x38
	s_mov_b32 s22, 0
	s_waitcnt lgkmcnt(0)
	s_mul_i32 s3, s15, s3
	s_mul_hi_u32 s4, s15, s2
	s_mul_i32 s2, s15, s2
	s_add_i32 s3, s4, s3
	s_delay_alu instid0(SALU_CYCLE_1) | instskip(NEXT) | instid1(SALU_CYCLE_1)
	s_lshl_b64 s[2:3], s[2:3], 2
	s_add_u32 s8, s6, s2
	s_addc_u32 s9, s7, s3
.LBB89_6:
	s_clause 0x1
	s_load_b32 s20, s[0:1], 0x40
	s_load_b128 s[4:7], s[0:1], 0x58
	s_waitcnt lgkmcnt(0)
	v_cmp_eq_f32_e64 s2, s20, 0
	v_cmp_neq_f32_e64 s21, s20, 0
	s_delay_alu instid0(VALU_DEP_2)
	s_and_b32 vcc_lo, exec_lo, s2
	s_cbranch_vccnz .LBB89_8
; %bb.7:
	s_load_b64 s[2:3], s[0:1], 0x48
	s_mul_i32 s5, s15, s5
	s_mul_hi_u32 s10, s15, s4
	s_delay_alu instid0(SALU_CYCLE_1) | instskip(SKIP_3) | instid1(SALU_CYCLE_1)
	s_add_i32 s5, s10, s5
	s_mul_i32 s10, s22, s4
	s_mul_i32 s4, s15, s4
	s_add_i32 s5, s5, s10
	s_lshl_b64 s[4:5], s[4:5], 2
	s_waitcnt lgkmcnt(0)
	s_add_u32 s10, s2, s4
	s_addc_u32 s11, s3, s5
	s_branch .LBB89_9
.LBB89_8:
	s_mov_b64 s[10:11], 0
.LBB89_9:
	s_add_i32 s2, s16, -1
	v_dual_mov_b32 v7, 0 :: v_dual_and_b32 v54, 0x3ff, v0
	s_ashr_i32 s3, s2, 31
	v_bfe_u32 v55, v0, 10, 10
	s_lshr_b32 s3, s3, 26
	s_load_b32 s28, s[0:1], 0x18
	s_add_i32 s2, s2, s3
	v_and_b32_e32 v56, 3, v54
	s_ashr_i32 s2, s2, 6
	v_lshl_add_u32 v0, v55, 3, v54
	s_add_i32 s4, s2, 1
	s_not_b32 s2, s2
	v_cvt_f32_u32_e32 v1, s4
	v_mov_b32_e32 v8, 0
	s_delay_alu instid0(VALU_DEP_2) | instskip(SKIP_2) | instid1(VALU_DEP_1)
	v_rcp_iflag_f32_e32 v1, v1
	s_waitcnt_depctr 0xfff
	v_mul_f32_e32 v1, 0x4f7ffffe, v1
	v_cvt_u32_f32_e32 v1, v1
	s_delay_alu instid0(VALU_DEP_1) | instskip(SKIP_2) | instid1(VALU_DEP_3)
	v_readfirstlane_b32 s3, v1
	v_lshrrev_b32_e32 v1, 2, v0
	v_lshlrev_b32_e32 v0, 2, v56
	s_mul_i32 s2, s2, s3
	s_delay_alu instid0(SALU_CYCLE_1) | instskip(NEXT) | instid1(SALU_CYCLE_1)
	s_mul_hi_u32 s2, s3, s2
	s_add_i32 s3, s3, s2
	s_delay_alu instid0(SALU_CYCLE_1) | instskip(NEXT) | instid1(SALU_CYCLE_1)
	s_mul_hi_u32 s2, s14, s3
	s_mul_i32 s3, s2, s4
	s_add_i32 s5, s2, 1
	s_sub_i32 s3, s14, s3
	s_delay_alu instid0(SALU_CYCLE_1)
	s_sub_i32 s24, s3, s4
	s_cmp_ge_u32 s3, s4
	s_cselect_b32 s2, s5, s2
	s_cselect_b32 s3, s24, s3
	s_add_i32 s5, s2, 1
	s_cmp_ge_u32 s3, s4
	s_cselect_b32 s3, s5, s2
	s_delay_alu instid0(SALU_CYCLE_1) | instskip(NEXT) | instid1(SALU_CYCLE_1)
	s_mul_i32 s29, s3, s4
	s_sub_i32 s2, s14, s29
	s_delay_alu instid0(SALU_CYCLE_1) | instskip(SKIP_2) | instid1(VALU_DEP_1)
	s_lshl_b32 s4, s2, 6
	v_cmp_gt_i32_e64 s2, s18, v56
	v_add_nc_u32_e32 v5, s4, v1
	v_cmp_gt_i32_e32 vcc_lo, s16, v5
	s_delay_alu instid0(VALU_DEP_3) | instskip(NEXT) | instid1(SALU_CYCLE_1)
	s_and_b32 s2, s2, vcc_lo
	s_and_b32 s2, s23, s2
	s_delay_alu instid0(SALU_CYCLE_1)
	s_and_saveexec_b32 s5, s2
	s_cbranch_execz .LBB89_11
; %bb.10:
	s_waitcnt lgkmcnt(0)
	v_mad_i64_i32 v[2:3], null, v5, s28, 0
	s_delay_alu instid0(VALU_DEP_1) | instskip(NEXT) | instid1(VALU_DEP_1)
	v_lshlrev_b64 v[2:3], 2, v[2:3]
	v_add_co_u32 v2, s2, s12, v2
	s_delay_alu instid0(VALU_DEP_1) | instskip(NEXT) | instid1(VALU_DEP_2)
	v_add_co_ci_u32_e64 v3, s2, s13, v3, s2
	v_add_co_u32 v2, s2, v2, v0
	s_delay_alu instid0(VALU_DEP_1)
	v_add_co_ci_u32_e64 v3, s2, 0, v3, s2
	flat_load_b32 v2, v[2:3]
	s_waitcnt vmcnt(0) lgkmcnt(0)
	v_mul_f32_e32 v8, s19, v2
.LBB89_11:
	s_or_b32 exec_lo, exec_lo, s5
	s_add_i32 s24, s18, -1
	s_load_b32 s30, s[0:1], 0x30
	v_min_i32_e32 v3, s24, v56
	s_lshl_b32 s5, s3, 7
	s_xor_b32 s26, s23, -1
	v_add_nc_u32_e32 v2, s5, v1
	v_cmp_le_i32_e64 s2, s18, v56
	v_ashrrev_i32_e32 v4, 31, v3
	s_delay_alu instid0(VALU_DEP_3) | instskip(NEXT) | instid1(VALU_DEP_2)
	v_cmp_le_i32_e64 s3, s17, v2
	v_lshlrev_b64 v[3:4], 2, v[3:4]
	s_delay_alu instid0(VALU_DEP_2) | instskip(NEXT) | instid1(VALU_DEP_1)
	s_or_b32 s25, s3, s26
	v_add_co_u32 v6, s3, s8, v3
	s_delay_alu instid0(VALU_DEP_1) | instskip(SKIP_1) | instid1(SALU_CYCLE_1)
	v_add_co_ci_u32_e64 v10, s3, s9, v4, s3
	s_or_b32 s3, s2, s25
	s_xor_b32 s3, s3, -1
	s_delay_alu instid0(SALU_CYCLE_1)
	s_and_saveexec_b32 s27, s3
	s_cbranch_execz .LBB89_13
; %bb.12:
	s_waitcnt lgkmcnt(0)
	v_mad_i64_i32 v[3:4], null, v2, s30, 0
	s_delay_alu instid0(VALU_DEP_1) | instskip(NEXT) | instid1(VALU_DEP_1)
	v_lshlrev_b64 v[3:4], 2, v[3:4]
	v_add_co_u32 v3, s3, v6, v3
	s_delay_alu instid0(VALU_DEP_1)
	v_add_co_ci_u32_e64 v4, s3, v10, v4, s3
	flat_load_b32 v3, v[3:4]
	s_waitcnt vmcnt(0) lgkmcnt(0)
	v_mul_f32_e32 v7, s19, v3
.LBB89_13:
	s_or_b32 exec_lo, exec_lo, s27
	v_dual_mov_b32 v4, 0 :: v_dual_add_nc_u32 v3, 64, v2
	v_mov_b32_e32 v9, 0
	s_delay_alu instid0(VALU_DEP_2) | instskip(NEXT) | instid1(VALU_DEP_1)
	v_cmp_le_i32_e64 s3, s17, v3
	s_or_b32 s26, s3, s26
	s_delay_alu instid0(SALU_CYCLE_1) | instskip(NEXT) | instid1(SALU_CYCLE_1)
	s_or_b32 s2, s2, s26
	s_xor_b32 s2, s2, -1
	s_delay_alu instid0(SALU_CYCLE_1)
	s_and_saveexec_b32 s3, s2
	s_cbranch_execz .LBB89_15
; %bb.14:
	s_waitcnt lgkmcnt(0)
	v_mad_i64_i32 v[11:12], null, v3, s30, 0
	s_delay_alu instid0(VALU_DEP_1) | instskip(NEXT) | instid1(VALU_DEP_1)
	v_lshlrev_b64 v[11:12], 2, v[11:12]
	v_add_co_u32 v9, s2, v6, v11
	s_delay_alu instid0(VALU_DEP_1)
	v_add_co_ci_u32_e64 v10, s2, v10, v12, s2
	flat_load_b32 v6, v[9:10]
	s_waitcnt vmcnt(0) lgkmcnt(0)
	v_mul_f32_e32 v9, s19, v6
.LBB89_15:
	s_or_b32 exec_lo, exec_lo, s3
	v_or_b32_e32 v6, 4, v56
	s_delay_alu instid0(VALU_DEP_1) | instskip(NEXT) | instid1(VALU_DEP_1)
	v_cmp_gt_i32_e64 s2, s18, v6
	s_and_b32 s2, s2, vcc_lo
	s_delay_alu instid0(SALU_CYCLE_1) | instskip(NEXT) | instid1(SALU_CYCLE_1)
	s_and_b32 s2, s23, s2
	s_and_saveexec_b32 s3, s2
	s_cbranch_execz .LBB89_17
; %bb.16:
	s_waitcnt lgkmcnt(0)
	v_mad_i64_i32 v[10:11], null, v5, s28, 0
	s_delay_alu instid0(VALU_DEP_1) | instskip(NEXT) | instid1(VALU_DEP_1)
	v_lshlrev_b64 v[4:5], 2, v[10:11]
	v_add_co_u32 v4, s2, s12, v4
	s_delay_alu instid0(VALU_DEP_1) | instskip(NEXT) | instid1(VALU_DEP_2)
	v_add_co_ci_u32_e64 v5, s2, s13, v5, s2
	v_add_co_u32 v4, s2, v4, v0
	s_delay_alu instid0(VALU_DEP_1)
	v_add_co_ci_u32_e64 v5, s2, 0, v5, s2
	flat_load_b32 v4, v[4:5] offset:16
	s_waitcnt vmcnt(0) lgkmcnt(0)
	v_mul_f32_e32 v4, s19, v4
.LBB89_17:
	s_or_b32 exec_lo, exec_lo, s3
	v_min_i32_e32 v10, s24, v6
	v_cmp_le_i32_e64 s2, s18, v6
	v_dual_mov_b32 v5, 0 :: v_dual_mov_b32 v6, 0
	s_delay_alu instid0(VALU_DEP_3) | instskip(NEXT) | instid1(VALU_DEP_1)
	v_ashrrev_i32_e32 v11, 31, v10
	v_lshlrev_b64 v[10:11], 2, v[10:11]
	s_delay_alu instid0(VALU_DEP_1) | instskip(NEXT) | instid1(VALU_DEP_1)
	v_add_co_u32 v10, s3, s8, v10
	v_add_co_ci_u32_e64 v11, s3, s9, v11, s3
	s_or_b32 s3, s2, s25
	s_delay_alu instid0(SALU_CYCLE_1) | instskip(NEXT) | instid1(SALU_CYCLE_1)
	s_xor_b32 s3, s3, -1
	s_and_saveexec_b32 s27, s3
	s_cbranch_execz .LBB89_19
; %bb.18:
	s_waitcnt lgkmcnt(0)
	v_mad_i64_i32 v[12:13], null, v2, s30, 0
	s_delay_alu instid0(VALU_DEP_1) | instskip(NEXT) | instid1(VALU_DEP_1)
	v_lshlrev_b64 v[12:13], 2, v[12:13]
	v_add_co_u32 v12, s3, v10, v12
	s_delay_alu instid0(VALU_DEP_1)
	v_add_co_ci_u32_e64 v13, s3, v11, v13, s3
	flat_load_b32 v6, v[12:13]
	s_waitcnt vmcnt(0) lgkmcnt(0)
	v_mul_f32_e32 v6, s19, v6
.LBB89_19:
	s_or_b32 exec_lo, exec_lo, s27
	s_or_b32 s2, s2, s26
	s_delay_alu instid0(SALU_CYCLE_1) | instskip(NEXT) | instid1(SALU_CYCLE_1)
	s_xor_b32 s2, s2, -1
	s_and_saveexec_b32 s3, s2
	s_cbranch_execz .LBB89_21
; %bb.20:
	s_waitcnt lgkmcnt(0)
	v_mad_i64_i32 v[12:13], null, v3, s30, 0
	s_delay_alu instid0(VALU_DEP_1) | instskip(NEXT) | instid1(VALU_DEP_1)
	v_lshlrev_b64 v[12:13], 2, v[12:13]
	v_add_co_u32 v10, s2, v10, v12
	s_delay_alu instid0(VALU_DEP_1)
	v_add_co_ci_u32_e64 v11, s2, v11, v13, s2
	flat_load_b32 v5, v[10:11]
	s_waitcnt vmcnt(0) lgkmcnt(0)
	v_mul_f32_e32 v5, s19, v5
.LBB89_21:
	s_or_b32 exec_lo, exec_lo, s3
	v_lshl_or_b32 v59, v1, 4, v0
	v_lshlrev_b32_e32 v58, 4, v55
	v_lshlrev_b32_e32 v57, 4, v54
	s_mov_b32 s27, 0
	s_cmp_lt_i32 s18, 9
	ds_store_b32 v59, v8 offset:4096
	ds_store_2addr_stride64_b32 v59, v7, v9 offset1:4
	s_waitcnt lgkmcnt(0)
	s_barrier
	buffer_gl0_inv
	ds_load_b128 v[7:10], v58
	ds_load_b128 v[11:14], v57 offset:4096
	ds_load_b128 v[15:18], v57 offset:4224
	;; [unrolled: 1-line block ×11, first 2 shown]
	ds_store_b32 v59, v4 offset:5120
	ds_store_2addr_stride64_b32 v59, v6, v5 offset0:8 offset1:12
	s_waitcnt lgkmcnt(0)
	s_barrier
	buffer_gl0_inv
	v_dual_max_f32 v8, v8, v8 :: v_dual_max_f32 v7, v7, v7
	v_dual_max_f32 v12, v12, v12 :: v_dual_max_f32 v15, v15, v15
	;; [unrolled: 1-line block ×3, first 2 shown]
	s_delay_alu instid0(VALU_DEP_2) | instskip(NEXT) | instid1(VALU_DEP_3)
	v_dual_max_f32 v19, v19, v19 :: v_dual_min_f32 v52, v12, v8
	v_dual_min_f32 v53, v15, v7 :: v_dual_max_f32 v24, v24, v24
	v_max_f32_e32 v27, v27, v27
	v_dual_max_f32 v31, v31, v31 :: v_dual_max_f32 v36, v36, v36
	v_dual_min_f32 v51, v11, v7 :: v_dual_max_f32 v20, v20, v20
	v_dual_min_f32 v64, v16, v8 :: v_dual_min_f32 v65, v19, v7
	v_dual_max_f32 v28, v28, v28 :: v_dual_max_f32 v23, v23, v23
	s_delay_alu instid0(VALU_DEP_3)
	v_min_f32_e32 v66, v20, v8
	v_dual_min_f32 v68, v24, v8 :: v_dual_min_f32 v69, v27, v7
	v_dual_max_f32 v32, v32, v32 :: v_dual_max_f32 v35, v35, v35
	v_dual_max_f32 v39, v39, v39 :: v_dual_min_f32 v74, v36, v8
	v_dual_min_f32 v71, v31, v7 :: v_dual_max_f32 v40, v40, v40
	v_max_f32_e32 v43, v43, v43
	v_dual_max_f32 v47, v47, v47 :: v_dual_max_f32 v38, v38, v38
	v_dual_min_f32 v67, v23, v7 :: v_dual_min_f32 v70, v28, v8
	v_dual_min_f32 v72, v32, v8 :: v_dual_min_f32 v73, v35, v7
	v_dual_max_f32 v10, v10, v10 :: v_dual_min_f32 v7, v39, v7
	v_dual_max_f32 v44, v44, v44 :: v_dual_max_f32 v9, v9, v9
	v_dual_min_f32 v8, v40, v8 :: v_dual_min_f32 v75, v11, v43
	v_dual_max_f32 v14, v14, v14 :: v_dual_max_f32 v13, v13, v13
	s_delay_alu instid0(VALU_DEP_3)
	v_dual_min_f32 v76, v12, v44 :: v_dual_min_f32 v77, v15, v43
	v_dual_max_f32 v18, v18, v18 :: v_dual_min_f32 v79, v19, v43
	v_dual_max_f32 v22, v22, v22 :: v_dual_min_f32 v81, v23, v43
	;; [unrolled: 1-line block ×7, first 2 shown]
	v_dual_max_f32 v60, v60, v60 :: v_dual_max_f32 v17, v17, v17
	v_dual_min_f32 v78, v16, v44 :: v_dual_max_f32 v21, v21, v21
	v_dual_min_f32 v80, v20, v44 :: v_dual_max_f32 v25, v25, v25
	;; [unrolled: 1-line block ×3, first 2 shown]
	v_min_f32_e32 v88, v11, v47
	v_dual_min_f32 v89, v15, v47 :: v_dual_max_f32 v50, v50, v50
	v_dual_max_f32 v45, v45, v45 :: v_dual_min_f32 v90, v19, v47
	v_dual_max_f32 v49, v49, v49 :: v_dual_max_f32 v100, v62, v62
	v_dual_max_f32 v61, v61, v61 :: v_dual_min_f32 v126, v27, v47
	v_dual_max_f32 v117, v63, v63 :: v_dual_min_f32 v92, v36, v44
	v_min_f32_e32 v127, v31, v47
	v_dual_min_f32 v128, v35, v47 :: v_dual_min_f32 v93, v12, v48
	v_dual_min_f32 v47, v39, v47 :: v_dual_min_f32 v94, v16, v48
	v_dual_min_f32 v11, v11, v60 :: v_dual_min_f32 v12, v12, v61
	v_dual_min_f32 v15, v15, v60 :: v_dual_min_f32 v16, v16, v61
	v_min_f32_e32 v19, v19, v60
	v_min_f32_e32 v23, v23, v60
	v_min_f32_e32 v27, v27, v60
	v_min_f32_e32 v31, v31, v60
	v_min_f32_e32 v35, v35, v60
	v_dual_min_f32 v39, v39, v60 :: v_dual_min_f32 v62, v13, v9
	v_min_f32_e32 v95, v20, v48
	v_dual_min_f32 v130, v28, v48 :: v_dual_add_f32 v51, 0, v51
	v_add_f32_e32 v52, 0, v52
	v_dual_min_f32 v60, v14, v10 :: v_dual_add_f32 v63, 0, v64
	v_dual_min_f32 v64, v18, v10 :: v_dual_max_f32 v29, v29, v29
	v_dual_min_f32 v84, v28, v44 :: v_dual_max_f32 v33, v33, v33
	v_min_f32_e32 v86, v32, v44
	v_min_f32_e32 v44, v40, v44
	v_dual_min_f32 v129, v24, v48 :: v_dual_add_f32 v124, v51, v62
	v_min_f32_e32 v131, v32, v48
	v_dual_min_f32 v132, v36, v48 :: v_dual_add_f32 v51, 0, v53
	v_dual_min_f32 v48, v40, v48 :: v_dual_add_f32 v53, 0, v66
	v_min_f32_e32 v20, v20, v61
	v_min_f32_e32 v24, v24, v61
	;; [unrolled: 1-line block ×6, first 2 shown]
	v_dual_add_f32 v122, v63, v64 :: v_dual_add_f32 v61, 0, v65
	v_add_f32_e32 v65, 0, v67
	v_dual_add_f32 v125, v52, v60 :: v_dual_min_f32 v60, v22, v10
	v_min_f32_e32 v52, v17, v9
	v_dual_min_f32 v62, v21, v9 :: v_dual_add_f32 v63, 0, v68
	v_min_f32_e32 v64, v26, v10
	v_min_f32_e32 v66, v25, v9
	v_dual_max_f32 v41, v41, v41 :: v_dual_max_f32 v46, v46, v46
	v_add_f32_e32 v123, v51, v52
	v_dual_add_f32 v120, v53, v60 :: v_dual_add_f32 v51, 0, v70
	s_delay_alu instid0(VALU_DEP_4)
	v_add_f32_e32 v119, v65, v66
	v_dual_min_f32 v52, v30, v10 :: v_dual_add_f32 v53, 0, v69
	v_dual_add_f32 v121, v61, v62 :: v_dual_add_f32 v118, v63, v64
	v_dual_min_f32 v61, v29, v9 :: v_dual_add_f32 v62, 0, v72
	v_dual_min_f32 v63, v34, v10 :: v_dual_add_f32 v64, 0, v71
	;; [unrolled: 1-line block ×3, first 2 shown]
	s_delay_alu instid0(VALU_DEP_3) | instskip(SKIP_1) | instid1(VALU_DEP_3)
	v_add_f32_e32 v61, v53, v61
	v_dual_min_f32 v67, v38, v10 :: v_dual_add_f32 v60, v51, v52
	v_dual_add_f32 v63, v62, v63 :: v_dual_add_f32 v62, v64, v65
	s_delay_alu instid0(VALU_DEP_2) | instskip(SKIP_4) | instid1(VALU_DEP_4)
	v_dual_add_f32 v51, 0, v73 :: v_dual_add_f32 v64, v66, v67
	v_dual_min_f32 v52, v37, v9 :: v_dual_add_f32 v7, 0, v7
	v_dual_add_f32 v8, 0, v8 :: v_dual_min_f32 v9, v41, v9
	v_dual_min_f32 v10, v42, v10 :: v_dual_add_f32 v53, 0, v76
	v_dual_min_f32 v66, v14, v46 :: v_dual_add_f32 v67, 0, v75
	;; [unrolled: 1-line block ×3, first 2 shown]
	s_delay_alu instid0(VALU_DEP_3)
	v_dual_add_f32 v115, v8, v10 :: v_dual_add_f32 v116, v7, v9
	v_dual_add_f32 v7, 0, v78 :: v_dual_min_f32 v10, v17, v45
	v_dual_min_f32 v8, v18, v46 :: v_dual_add_f32 v9, 0, v77
	v_dual_add_f32 v51, 0, v80 :: v_dual_min_f32 v52, v22, v46
	v_dual_add_f32 v114, v53, v66 :: v_dual_add_f32 v113, v67, v68
	v_dual_add_f32 v53, 0, v79 :: v_dual_min_f32 v66, v21, v45
	s_delay_alu instid0(VALU_DEP_3)
	v_dual_add_f32 v67, 0, v82 :: v_dual_add_f32 v110, v51, v52
	v_dual_min_f32 v68, v26, v46 :: v_dual_add_f32 v111, v7, v8
	v_dual_add_f32 v112, v9, v10 :: v_dual_add_f32 v7, 0, v81
	v_min_f32_e32 v10, v30, v46
	v_dual_min_f32 v8, v25, v45 :: v_dual_add_f32 v9, 0, v84
	v_dual_add_f32 v51, 0, v83 :: v_dual_min_f32 v52, v29, v45
	s_delay_alu instid0(VALU_DEP_2)
	v_dual_add_f32 v109, v53, v66 :: v_dual_add_f32 v108, v7, v8
	v_add_f32_e32 v107, v67, v68
	v_dual_add_f32 v53, 0, v86 :: v_dual_min_f32 v68, v33, v45
	v_dual_min_f32 v66, v34, v46 :: v_dual_add_f32 v67, 0, v85
	v_dual_add_f32 v105, v9, v10 :: v_dual_add_f32 v106, v51, v52
	v_dual_add_f32 v7, 0, v92 :: v_dual_min_f32 v8, v38, v46
	v_dual_add_f32 v9, 0, v87 :: v_dual_min_f32 v10, v37, v45
	v_dual_add_f32 v44, 0, v44 :: v_dual_add_f32 v43, 0, v43
	v_dual_min_f32 v46, v42, v46 :: v_dual_min_f32 v45, v41, v45
	v_dual_add_f32 v51, 0, v93 :: v_dual_min_f32 v52, v14, v50
	s_delay_alu instid0(VALU_DEP_4) | instskip(NEXT) | instid1(VALU_DEP_3)
	v_dual_add_f32 v101, v7, v8 :: v_dual_add_f32 v102, v9, v10
	v_dual_add_f32 v99, v44, v46 :: v_dual_add_f32 v98, v43, v45
	s_delay_alu instid0(VALU_DEP_3) | instskip(SKIP_3) | instid1(VALU_DEP_3)
	v_dual_add_f32 v96, v51, v52 :: v_dual_add_f32 v9, 0, v94
	v_dual_add_f32 v7, 0, v88 :: v_dual_min_f32 v8, v13, v49
	v_dual_min_f32 v10, v18, v50 :: v_dual_add_f32 v43, 0, v89
	v_dual_min_f32 v44, v17, v49 :: v_dual_add_f32 v45, 0, v95
	;; [unrolled: 1-line block ×3, first 2 shown]
	v_dual_add_f32 v51, 0, v90 :: v_dual_min_f32 v52, v21, v49
	s_delay_alu instid0(VALU_DEP_3) | instskip(NEXT) | instid1(VALU_DEP_3)
	v_dual_add_f32 v94, v9, v10 :: v_dual_add_f32 v95, v43, v44
	v_dual_add_f32 v92, v45, v46 :: v_dual_add_f32 v7, 0, v129
	v_min_f32_e32 v8, v26, v50
	v_dual_add_f32 v43, 0, v130 :: v_dual_min_f32 v46, v29, v49
	v_add_f32_e32 v45, 0, v126
	v_dual_add_f32 v9, 0, v91 :: v_dual_min_f32 v10, v25, v49
	v_min_f32_e32 v44, v30, v50
	v_add_f32_e32 v90, v7, v8
	s_delay_alu instid0(VALU_DEP_4)
	v_dual_add_f32 v88, v45, v46 :: v_dual_add_f32 v7, 0, v127
	v_dual_min_f32 v8, v33, v49 :: v_dual_add_f32 v93, v51, v52
	v_dual_add_f32 v51, 0, v131 :: v_dual_min_f32 v52, v34, v50
	v_add_f32_e32 v89, v43, v44
	v_add_f32_e32 v91, v9, v10
	v_dual_add_f32 v9, 0, v132 :: v_dual_min_f32 v10, v38, v50
	v_dual_add_f32 v43, 0, v128 :: v_dual_min_f32 v44, v37, v49
	;; [unrolled: 1-line block ×3, first 2 shown]
	v_add_f32_e32 v87, v7, v8
	v_dual_add_f32 v7, 0, v11 :: v_dual_add_f32 v8, 0, v12
	v_dual_add_f32 v11, 0, v19 :: v_dual_add_f32 v12, 0, v20
	;; [unrolled: 1-line block ×3, first 2 shown]
	v_dual_add_f32 v27, 0, v35 :: v_dual_min_f32 v14, v14, v117
	v_dual_add_f32 v84, v9, v10 :: v_dual_add_f32 v85, v43, v44
	v_dual_add_f32 v9, 0, v15 :: v_dual_add_f32 v10, 0, v16
	s_delay_alu instid0(VALU_DEP_3)
	v_dual_min_f32 v13, v13, v100 :: v_dual_add_f32 v80, v8, v14
	v_dual_min_f32 v8, v18, v117 :: v_dual_add_f32 v15, 0, v23
	v_dual_add_f32 v16, 0, v24 :: v_dual_add_f32 v23, 0, v31
	v_add_f32_e32 v24, 0, v32
	v_add_f32_e32 v32, 0, v40
	v_dual_min_f32 v14, v17, v100 :: v_dual_add_f32 v81, v7, v13
	v_min_f32_e32 v17, v22, v117
	v_min_f32_e32 v7, v21, v100
	s_delay_alu instid0(VALU_DEP_3) | instskip(SKIP_1) | instid1(VALU_DEP_3)
	v_dual_add_f32 v79, v10, v8 :: v_dual_add_f32 v78, v9, v14
	v_min_f32_e32 v8, v26, v117
	v_dual_add_f32 v76, v12, v17 :: v_dual_add_f32 v77, v11, v7
	v_min_f32_e32 v7, v25, v100
	v_dual_min_f32 v9, v30, v117 :: v_dual_min_f32 v10, v29, v100
	s_delay_alu instid0(VALU_DEP_4)
	v_add_f32_e32 v74, v16, v8
	v_min_f32_e32 v8, v34, v117
	v_dual_min_f32 v46, v42, v50 :: v_dual_add_f32 v47, 0, v47
	v_dual_add_f32 v28, 0, v36 :: v_dual_add_f32 v31, 0, v39
	v_add_f32_e32 v75, v15, v7
	v_dual_add_f32 v73, v20, v9 :: v_dual_add_f32 v72, v19, v10
	v_min_f32_e32 v7, v33, v100
	v_add_f32_e32 v70, v24, v8
	v_dual_min_f32 v8, v38, v117 :: v_dual_min_f32 v9, v37, v100
	v_dual_min_f32 v10, v42, v117 :: v_dual_min_f32 v11, v41, v100
	v_dual_add_f32 v104, v53, v66 :: v_dual_add_f32 v103, v67, v68
	v_dual_add_f32 v86, v51, v52 :: v_dual_add_f32 v83, v45, v46
	v_add_f32_e32 v82, v47, v48
	v_add_f32_e32 v71, v23, v7
	v_dual_add_f32 v69, v28, v8 :: v_dual_add_f32 v68, v27, v9
	v_dual_add_f32 v67, v32, v10 :: v_dual_add_f32 v66, v31, v11
	s_cbranch_scc1 .LBB89_36
; %bb.22:
	v_lshl_add_u32 v1, s14, 6, v1
	s_lshl_b32 s2, s29, 6
	v_mad_i64_i32 v[6:7], null, v2, s30, 0
	v_add_nc_u32_e32 v100, 0x1000, v59
	s_delay_alu instid0(VALU_DEP_3)
	v_subrev_nc_u32_e32 v1, s2, v1
	v_add_nc_u32_e32 v117, 0x1000, v57
	v_add_nc_u32_e32 v126, 0x1400, v59
	;; [unrolled: 1-line block ×3, first 2 shown]
	v_lshl_add_u32 v128, v54, 4, 0x1400
	v_mad_i64_i32 v[4:5], null, s28, v1, 0
	v_lshlrev_b64 v[48:49], 2, v[6:7]
	v_lshl_add_u32 v129, v55, 4, 0x800
	s_delay_alu instid0(VALU_DEP_3) | instskip(SKIP_1) | instid1(VALU_DEP_2)
	v_lshlrev_b64 v[1:2], 2, v[4:5]
	v_mad_i64_i32 v[4:5], null, v3, s30, 0
	v_add_co_u32 v0, s2, v1, v0
	s_delay_alu instid0(VALU_DEP_1) | instskip(NEXT) | instid1(VALU_DEP_3)
	v_add_co_ci_u32_e64 v1, s2, 0, v2, s2
	v_lshlrev_b64 v[50:51], 2, v[4:5]
	s_delay_alu instid0(VALU_DEP_3) | instskip(NEXT) | instid1(VALU_DEP_1)
	v_add_co_u32 v0, s2, v0, s12
	v_add_co_ci_u32_e64 v1, s2, s13, v1, s2
	s_add_i32 s12, s18, -8
	s_delay_alu instid0(VALU_DEP_2) | instskip(NEXT) | instid1(VALU_DEP_1)
	v_add_co_u32 v52, s2, v0, 48
	v_add_co_ci_u32_e64 v53, s2, 0, v1, s2
	s_branch .LBB89_24
.LBB89_23:                              ;   in Loop: Header=BB89_24 Depth=1
	s_or_b32 exec_lo, exec_lo, s3
	v_dual_add_f32 v40, v125, v40 :: v_dual_add_f32 v33, v119, v33
	v_dual_add_f32 v28, v122, v28 :: v_dual_add_f32 v29, v121, v29
	;; [unrolled: 1-line block ×14, first 2 shown]
	v_add_f32_e32 v105, v29, v30
	v_dual_add_f32 v108, v20, v174 :: v_dual_add_f32 v113, v25, v23
	v_dual_add_f32 v111, v21, v22 :: v_dual_add_f32 v112, v8, v184
	;; [unrolled: 1-line block ×3, first 2 shown]
	ds_load_b128 v[20:23], v58
	ds_load_b128 v[28:31], v117
	v_dual_add_f32 v76, v76, v26 :: v_dual_add_f32 v75, v75, v11
	v_dual_add_f32 v77, v77, v10 :: v_dual_add_f32 v74, v74, v27
	ds_load_b128 v[8:11], v117 offset:128
	v_dual_add_f32 v32, v120, v32 :: v_dual_add_f32 v37, v118, v37
	v_dual_add_f32 v4, v101, v4 :: v_dual_add_f32 v5, v98, v5
	v_dual_add_f32 v88, v88, v152 :: v_dual_add_f32 v83, v83, v158
	v_dual_add_f32 v72, v72, v167 :: v_dual_add_f32 v73, v73, v168
	v_dual_add_f32 v71, v71, v169 :: v_dual_add_f32 v70, v70, v170
	v_dual_add_f32 v68, v68, v171 :: v_dual_add_f32 v69, v69, v172
	v_dual_add_f32 v43, v66, v43 :: v_dual_add_f32 v46, v67, v46
	v_dual_add_f32 v36, v124, v36 :: v_dual_add_f32 v41, v123, v41
	v_dual_add_f32 v60, v109, v134 :: v_dual_add_f32 v61, v110, v135
	v_dual_add_f32 v102, v102, v142 :: v_dual_add_f32 v97, v97, v144
	v_dual_add_f32 v101, v32, v35 :: v_dual_add_f32 v116, v17, v186
	v_dual_add_f32 v109, v16, v18 :: v_dual_add_f32 v118, v13, v177
	v_add_f32_e32 v110, v24, v175
	s_delay_alu instid0(VALU_DEP_4)
	v_dual_add_f32 v121, v4, v200 :: v_dual_add_f32 v102, v102, v183
	v_dual_add_f32 v88, v88, v197 :: v_dual_add_f32 v123, v1, v211
	;; [unrolled: 1-line block ×5, first 2 shown]
	s_waitcnt lgkmcnt(2)
	v_dual_add_f32 v124, v46, v19 :: v_dual_max_f32 v21, v21, v21
	ds_load_b128 v[1:4], v117 offset:256
	ds_load_b128 v[12:15], v117 offset:384
	;; [unrolled: 1-line block ×5, first 2 shown]
	v_dual_add_f32 v125, v43, v7 :: v_dual_max_f32 v20, v20, v20
	s_waitcnt lgkmcnt(6)
	v_dual_max_f32 v28, v28, v28 :: v_dual_max_f32 v29, v29, v29
	s_waitcnt lgkmcnt(5)
	v_dual_max_f32 v133, v8, v8 :: v_dual_add_f32 v98, v99, v143
	v_dual_add_f32 v93, v93, v148 :: v_dual_add_f32 v66, v40, v47
	v_add_f32_e32 v99, v41, v42
	v_dual_add_f32 v67, v36, v38 :: v_dual_add_f32 v106, v37, v39
	v_dual_min_f32 v132, v28, v20 :: v_dual_max_f32 v9, v9, v9
	v_min_f32_e32 v134, v29, v21
	v_min_f32_e32 v135, v133, v20
	s_waitcnt lgkmcnt(4)
	v_dual_max_f32 v1, v1, v1 :: v_dual_max_f32 v2, v2, v2
	v_dual_add_f32 v67, v67, v132 :: v_dual_min_f32 v132, v9, v21
	s_delay_alu instid0(VALU_DEP_3)
	v_dual_add_f32 v66, v66, v134 :: v_dual_add_f32 v99, v99, v135
	s_waitcnt lgkmcnt(3)
	v_max_f32_e32 v12, v12, v12
	ds_load_b128 v[36:39], v117 offset:768
	ds_load_b128 v[40:43], v117 offset:896
	v_dual_add_f32 v84, v84, v132 :: v_dual_max_f32 v13, v13, v13
	v_dual_min_f32 v132, v2, v21 :: v_dual_min_f32 v135, v12, v20
	v_min_f32_e32 v134, v1, v20
	s_waitcnt lgkmcnt(4)
	v_dual_max_f32 v16, v16, v16 :: v_dual_max_f32 v17, v17, v17
	s_delay_alu instid0(VALU_DEP_3) | instskip(SKIP_1) | instid1(VALU_DEP_3)
	v_add_f32_e32 v101, v101, v132
	v_add_f32_e32 v107, v107, v135
	v_dual_add_f32 v105, v105, v134 :: v_dual_min_f32 v132, v16, v20
	s_waitcnt lgkmcnt(3)
	v_dual_max_f32 v24, v24, v24 :: v_dual_max_f32 v25, v25, v25
	v_dual_add_f32 v119, v45, v187 :: v_dual_add_f32 v120, v44, v178
	s_delay_alu instid0(VALU_DEP_3) | instskip(NEXT) | instid1(VALU_DEP_3)
	v_add_f32_e32 v109, v109, v132
	v_dual_min_f32 v132, v24, v20 :: v_dual_min_f32 v135, v25, v21
	s_waitcnt lgkmcnt(1)
	v_max_f32_e32 v37, v37, v37
	v_min_f32_e32 v134, v13, v21
	v_max_f32_e32 v36, v36, v36
	v_add_f32_e32 v111, v111, v132
	s_waitcnt lgkmcnt(0)
	v_dual_max_f32 v40, v40, v40 :: v_dual_max_f32 v33, v33, v33
	v_add_f32_e32 v106, v106, v134
	v_min_f32_e32 v134, v17, v21
	v_max_f32_e32 v41, v41, v41
	v_dual_add_f32 v92, v92, v149 :: v_dual_add_f32 v87, v87, v154
	v_add_f32_e32 v122, v5, v192
	s_delay_alu instid0(VALU_DEP_4)
	v_add_f32_e32 v108, v108, v134
	v_min_f32_e32 v134, v36, v20
	ds_load_b128 v[5:8], v58 offset:1024
	ds_load_b128 v[44:47], v58 offset:1536
	v_dual_add_f32 v103, v103, v140 :: v_dual_add_f32 v104, v104, v141
	v_dual_add_f32 v63, v63, v189 :: v_dual_add_f32 v62, v62, v180
	v_min_f32_e32 v132, v37, v21
	v_dual_max_f32 v32, v32, v32 :: v_dual_min_f32 v21, v41, v21
	v_min_f32_e32 v20, v40, v20
	v_dual_add_f32 v104, v104, v191 :: v_dual_add_f32 v103, v103, v182
	v_dual_add_f32 v110, v110, v135 :: v_dual_add_f32 v113, v113, v134
	v_min_f32_e32 v134, v29, v33
	s_delay_alu instid0(VALU_DEP_4) | instskip(SKIP_2) | instid1(VALU_DEP_4)
	v_dual_add_f32 v21, v114, v21 :: v_dual_add_f32 v20, v115, v20
	v_min_f32_e32 v115, v133, v32
	v_dual_add_f32 v61, v61, v188 :: v_dual_add_f32 v60, v60, v179
	v_add_f32_e32 v114, v116, v134
	v_dual_add_f32 v96, v96, v145 :: v_dual_add_f32 v95, v95, v146
	s_delay_alu instid0(VALU_DEP_4) | instskip(SKIP_3) | instid1(VALU_DEP_3)
	v_dual_add_f32 v134, v120, v115 :: v_dual_min_f32 v115, v1, v32
	s_waitcnt lgkmcnt(1)
	v_dual_min_f32 v120, v12, v32 :: v_dual_max_f32 v5, v5, v5
	v_dual_add_f32 v94, v94, v147 :: v_dual_add_f32 v91, v91, v150
	v_add_f32_e32 v136, v60, v115
	s_delay_alu instid0(VALU_DEP_3) | instskip(SKIP_4) | instid1(VALU_DEP_4)
	v_add_f32_e32 v138, v62, v120
	v_min_f32_e32 v62, v24, v32
	v_dual_add_f32 v98, v98, v201 :: v_dual_add_f32 v95, v95, v194
	v_max_f32_e32 v23, v23, v23
	v_dual_add_f32 v94, v94, v203 :: v_dual_add_f32 v91, v91, v196
	v_dual_add_f32 v103, v103, v62 :: v_dual_min_f32 v62, v133, v5
	v_min_f32_e32 v116, v9, v33
	v_dual_add_f32 v65, v65, v190 :: v_dual_add_f32 v64, v64, v181
	v_dual_add_f32 v96, v96, v202 :: v_dual_add_f32 v97, v97, v193
	s_delay_alu instid0(VALU_DEP_4) | instskip(NEXT) | instid1(VALU_DEP_4)
	v_add_f32_e32 v95, v95, v62
	v_dual_add_f32 v135, v119, v116 :: v_dual_min_f32 v116, v13, v33
	v_max_f32_e32 v6, v6, v6
	v_dual_add_f32 v90, v90, v151 :: v_dual_add_f32 v89, v89, v153
	v_dual_add_f32 v86, v86, v155 :: v_dual_add_f32 v85, v85, v156
	s_delay_alu instid0(VALU_DEP_4) | instskip(SKIP_4) | instid1(VALU_DEP_3)
	v_add_f32_e32 v139, v63, v116
	v_add_f32_e32 v112, v112, v132
	v_dual_min_f32 v132, v28, v32 :: v_dual_min_f32 v63, v25, v33
	v_dual_add_f32 v82, v82, v157 :: v_dual_add_f32 v81, v81, v159
	v_dual_add_f32 v92, v92, v204 :: v_dual_add_f32 v93, v93, v195
	v_add_f32_e32 v132, v118, v132
	s_delay_alu instid0(VALU_DEP_4) | instskip(SKIP_4) | instid1(VALU_DEP_3)
	v_add_f32_e32 v104, v104, v63
	v_min_f32_e32 v63, v12, v5
	v_min_f32_e32 v118, v2, v33
	v_dual_add_f32 v90, v90, v205 :: v_dual_add_f32 v89, v89, v206
	v_dual_add_f32 v85, v85, v199 :: v_dual_add_f32 v82, v82, v208
	v_add_f32_e32 v137, v61, v118
	v_dual_min_f32 v61, v17, v33 :: v_dual_min_f32 v62, v2, v6
	v_add_f32_e32 v91, v91, v63
	s_waitcnt lgkmcnt(0)
	v_dual_min_f32 v63, v25, v6 :: v_dual_max_f32 v44, v44, v44
	s_delay_alu instid0(VALU_DEP_3) | instskip(SKIP_4) | instid1(VALU_DEP_4)
	v_add_f32_e32 v141, v65, v61
	v_min_f32_e32 v61, v37, v33
	v_dual_min_f32 v33, v41, v33 :: v_dual_min_f32 v60, v16, v32
	v_add_f32_e32 v87, v87, v198
	v_add_f32_e32 v92, v92, v62
	;; [unrolled: 1-line block ×3, first 2 shown]
	v_min_f32_e32 v61, v29, v6
	v_add_f32_e32 v33, v98, v33
	v_dual_min_f32 v62, v24, v5 :: v_dual_max_f32 v31, v31, v31
	v_dual_add_f32 v80, v80, v160 :: v_dual_add_f32 v79, v79, v162
	s_delay_alu instid0(VALU_DEP_4) | instskip(SKIP_3) | instid1(VALU_DEP_3)
	v_add_f32_e32 v96, v96, v61
	v_dual_min_f32 v61, v1, v5 :: v_dual_add_f32 v140, v64, v60
	v_min_f32_e32 v60, v36, v32
	v_dual_min_f32 v32, v40, v32 :: v_dual_add_f32 v87, v87, v62
	v_add_f32_e32 v93, v93, v61
	s_delay_alu instid0(VALU_DEP_3) | instskip(SKIP_1) | instid1(VALU_DEP_4)
	v_dual_min_f32 v61, v16, v5 :: v_dual_add_f32 v102, v102, v60
	v_dual_min_f32 v60, v28, v5 :: v_dual_min_f32 v1, v1, v44
	v_add_f32_e32 v32, v122, v32
	s_delay_alu instid0(VALU_DEP_3) | instskip(NEXT) | instid1(VALU_DEP_3)
	v_dual_add_f32 v88, v88, v61 :: v_dual_max_f32 v11, v11, v11
	v_add_f32_e32 v97, v97, v60
	v_dual_min_f32 v60, v9, v6 :: v_dual_min_f32 v61, v36, v5
	v_min_f32_e32 v5, v40, v5
	v_max_f32_e32 v45, v45, v45
	v_dual_add_f32 v80, v80, v213 :: v_dual_add_f32 v79, v79, v214
	s_delay_alu instid0(VALU_DEP_4) | instskip(NEXT) | instid1(VALU_DEP_4)
	v_add_f32_e32 v94, v94, v60
	v_dual_min_f32 v60, v13, v6 :: v_dual_add_f32 v5, v82, v5
	s_delay_alu instid0(VALU_DEP_4) | instskip(SKIP_1) | instid1(VALU_DEP_3)
	v_min_f32_e32 v29, v29, v45
	v_dual_min_f32 v13, v13, v45 :: v_dual_min_f32 v28, v28, v44
	v_dual_add_f32 v1, v77, v1 :: v_dual_add_f32 v90, v90, v60
	v_min_f32_e32 v9, v9, v45
	s_delay_alu instid0(VALU_DEP_4) | instskip(SKIP_2) | instid1(VALU_DEP_3)
	v_dual_min_f32 v60, v17, v6 :: v_dual_add_f32 v29, v80, v29
	v_dual_min_f32 v12, v12, v44 :: v_dual_min_f32 v25, v25, v45
	v_min_f32_e32 v16, v16, v44
	v_add_f32_e32 v89, v89, v60
	v_dual_min_f32 v60, v37, v6 :: v_dual_add_f32 v13, v74, v13
	v_dual_min_f32 v24, v24, v44 :: v_dual_max_f32 v19, v19, v19
	v_dual_min_f32 v40, v40, v44 :: v_dual_max_f32 v27, v27, v27
	s_delay_alu instid0(VALU_DEP_3)
	v_dual_add_f32 v143, v123, v60 :: v_dual_max_f32 v22, v22, v22
	v_max_f32_e32 v30, v30, v30
	v_min_f32_e32 v60, v133, v44
	v_dual_max_f32 v10, v10, v10 :: v_dual_max_f32 v39, v39, v39
	v_max_f32_e32 v14, v14, v14
	v_min_f32_e32 v36, v36, v44
	v_min_f32_e32 v44, v31, v23
	v_dual_min_f32 v2, v2, v45 :: v_dual_max_f32 v3, v3, v3
	v_max_f32_e32 v18, v18, v18
	v_add_f32_e32 v40, v125, v40
	s_delay_alu instid0(VALU_DEP_4) | instskip(SKIP_3) | instid1(VALU_DEP_3)
	v_add_f32_e32 v125, v66, v44
	v_dual_min_f32 v44, v10, v22 :: v_dual_max_f32 v43, v43, v43
	v_dual_add_f32 v86, v86, v207 :: v_dual_add_f32 v83, v83, v212
	v_dual_min_f32 v6, v41, v6 :: v_dual_add_f32 v25, v70, v25
	v_add_f32_e32 v123, v99, v44
	v_dual_min_f32 v44, v3, v22 :: v_dual_add_f32 v81, v81, v209
	v_add_f32_e32 v78, v78, v210
	s_delay_alu instid0(VALU_DEP_4) | instskip(SKIP_4) | instid1(VALU_DEP_4)
	v_dual_add_f32 v6, v83, v6 :: v_dual_min_f32 v17, v17, v45
	v_dual_add_f32 v12, v75, v12 :: v_dual_min_f32 v41, v41, v45
	v_dual_min_f32 v37, v37, v45 :: v_dual_max_f32 v4, v4, v4
	v_add_f32_e32 v121, v105, v44
	v_dual_min_f32 v45, v30, v22 :: v_dual_add_f32 v28, v81, v28
	v_dual_add_f32 v41, v124, v41 :: v_dual_add_f32 v24, v71, v24
	v_dual_add_f32 v78, v78, v60 :: v_dual_add_f32 v17, v73, v17
	s_delay_alu instid0(VALU_DEP_3) | instskip(SKIP_3) | instid1(VALU_DEP_4)
	v_dual_add_f32 v124, v67, v45 :: v_dual_min_f32 v45, v4, v23
	v_dual_add_f32 v16, v72, v16 :: v_dual_max_f32 v15, v15, v15
	v_min_f32_e32 v60, v11, v23
	v_dual_max_f32 v34, v34, v34 :: v_dual_max_f32 v7, v7, v7
	v_dual_add_f32 v120, v101, v45 :: v_dual_min_f32 v45, v14, v22
	v_add_f32_e32 v36, v68, v36
	s_delay_alu instid0(VALU_DEP_4) | instskip(SKIP_4) | instid1(VALU_DEP_4)
	v_dual_add_f32 v122, v84, v60 :: v_dual_max_f32 v35, v35, v35
	v_min_f32_e32 v60, v15, v23
	v_min_f32_e32 v44, v19, v23
	v_add_f32_e32 v119, v107, v45
	v_min_f32_e32 v45, v18, v22
	v_dual_add_f32 v85, v85, v61 :: v_dual_add_f32 v118, v106, v60
	s_delay_alu instid0(VALU_DEP_4) | instskip(NEXT) | instid1(VALU_DEP_3)
	v_add_f32_e32 v60, v108, v44
	v_dual_min_f32 v44, v27, v23 :: v_dual_add_f32 v61, v109, v45
	v_min_f32_e32 v45, v39, v23
	v_min_f32_e32 v23, v43, v23
	v_dual_add_f32 v86, v86, v63 :: v_dual_add_f32 v9, v79, v9
	v_max_f32_e32 v8, v8, v8
	s_delay_alu instid0(VALU_DEP_3) | instskip(SKIP_4) | instid1(VALU_DEP_3)
	v_dual_add_f32 v64, v112, v45 :: v_dual_add_f32 v115, v21, v23
	v_dual_min_f32 v21, v11, v35 :: v_dual_max_f32 v26, v26, v26
	v_dual_min_f32 v23, v15, v35 :: v_dual_max_f32 v38, v38, v38
	v_min_f32_e32 v45, v30, v34
	v_dual_add_f32 v2, v76, v2 :: v_dual_add_f32 v37, v69, v37
	v_dual_min_f32 v62, v26, v22 :: v_dual_add_f32 v107, v139, v23
	v_add_co_u32 v52, s2, v52, 32
	s_delay_alu instid0(VALU_DEP_1) | instskip(NEXT) | instid1(VALU_DEP_3)
	v_add_co_ci_u32_e64 v53, s2, 0, v53, s2
	v_add_f32_e32 v62, v111, v62
	v_add_f32_e32 v111, v135, v21
	v_min_f32_e32 v21, v4, v35
	v_min_f32_e32 v23, v26, v34
	v_add_f32_e32 v63, v110, v44
	v_min_f32_e32 v44, v38, v22
	v_max_f32_e32 v42, v42, v42
	v_dual_add_f32 v110, v137, v21 :: v_dual_min_f32 v21, v19, v35
	v_add_f32_e32 v103, v103, v23
	s_delay_alu instid0(VALU_DEP_3) | instskip(SKIP_1) | instid1(VALU_DEP_4)
	v_dual_add_f32 v65, v113, v44 :: v_dual_min_f32 v22, v42, v22
	v_min_f32_e32 v23, v30, v7
	v_add_f32_e32 v105, v141, v21
	v_min_f32_e32 v21, v39, v35
	v_dual_min_f32 v44, v31, v35 :: v_dual_add_f32 v113, v132, v45
	s_delay_alu instid0(VALU_DEP_4) | instskip(SKIP_1) | instid1(VALU_DEP_4)
	v_add_f32_e32 v97, v97, v23
	v_min_f32_e32 v23, v15, v8
	v_add_f32_e32 v101, v142, v21
	v_dual_min_f32 v21, v43, v35 :: v_dual_add_f32 v116, v20, v22
	v_min_f32_e32 v20, v10, v34
	v_add_f32_e32 v114, v114, v44
	s_delay_alu instid0(VALU_DEP_3) | instskip(SKIP_1) | instid1(VALU_DEP_4)
	v_dual_min_f32 v22, v3, v34 :: v_dual_add_f32 v99, v33, v21
	v_min_f32_e32 v21, v11, v8
	v_add_f32_e32 v112, v134, v20
	v_min_f32_e32 v20, v14, v34
	v_add_f32_e32 v90, v90, v23
	v_min_f32_e32 v23, v26, v7
	v_dual_add_f32 v94, v94, v21 :: v_dual_min_f32 v21, v3, v7
	s_delay_alu instid0(VALU_DEP_4) | instskip(NEXT) | instid1(VALU_DEP_3)
	v_add_f32_e32 v108, v138, v20
	v_dual_min_f32 v20, v18, v34 :: v_dual_add_f32 v87, v87, v23
	v_add_f32_e32 v109, v136, v22
	s_delay_alu instid0(VALU_DEP_4) | instskip(SKIP_1) | instid1(VALU_DEP_4)
	v_add_f32_e32 v93, v93, v21
	v_min_f32_e32 v21, v19, v8
	v_add_f32_e32 v106, v140, v20
	v_min_f32_e32 v20, v38, v34
	v_min_f32_e32 v22, v27, v35
	s_add_i32 s27, s27, 8
	v_add_f32_e32 v89, v89, v21
	v_min_f32_e32 v21, v39, v8
	v_add_f32_e32 v102, v102, v20
	v_min_f32_e32 v20, v31, v8
	s_cmp_ge_i32 s27, s12
	ds_store_b32 v126, v130
	ds_store_2addr_stride64_b32 v127, v131, v0 offset1:4
	v_dual_add_f32 v84, v143, v21 :: v_dual_max_f32 v21, v46, v46
	v_add_f32_e32 v96, v96, v20
	v_min_f32_e32 v20, v10, v7
	s_waitcnt lgkmcnt(0)
	s_barrier
	v_min_f32_e32 v3, v3, v21
	buffer_gl0_inv
	v_dual_add_f32 v95, v95, v20 :: v_dual_min_f32 v20, v14, v7
	v_dual_add_f32 v104, v104, v22 :: v_dual_add_f32 v77, v1, v3
	v_min_f32_e32 v1, v14, v21
	s_delay_alu instid0(VALU_DEP_3) | instskip(NEXT) | instid1(VALU_DEP_2)
	v_add_f32_e32 v91, v91, v20
	v_dual_min_f32 v20, v27, v8 :: v_dual_add_f32 v75, v12, v1
	v_min_f32_e32 v1, v26, v21
	s_delay_alu instid0(VALU_DEP_2) | instskip(SKIP_1) | instid1(VALU_DEP_3)
	v_add_f32_e32 v86, v86, v20
	v_min_f32_e32 v20, v38, v7
	v_dual_min_f32 v22, v42, v34 :: v_dual_add_f32 v71, v24, v1
	s_delay_alu instid0(VALU_DEP_1) | instskip(SKIP_2) | instid1(VALU_DEP_2)
	v_dual_add_f32 v85, v85, v20 :: v_dual_add_f32 v98, v32, v22
	v_min_f32_e32 v22, v4, v8
	v_min_f32_e32 v8, v43, v8
	v_add_f32_e32 v92, v92, v22
	v_min_f32_e32 v22, v18, v7
	v_min_f32_e32 v7, v42, v7
	s_delay_alu instid0(VALU_DEP_2) | instskip(SKIP_1) | instid1(VALU_DEP_3)
	v_dual_add_f32 v83, v6, v8 :: v_dual_add_f32 v88, v88, v22
	v_max_f32_e32 v22, v47, v47
	v_dual_add_f32 v82, v5, v7 :: v_dual_min_f32 v5, v30, v21
	s_delay_alu instid0(VALU_DEP_2) | instskip(SKIP_2) | instid1(VALU_DEP_4)
	v_dual_min_f32 v7, v10, v21 :: v_dual_min_f32 v4, v4, v22
	v_min_f32_e32 v23, v31, v22
	v_min_f32_e32 v3, v19, v22
	v_dual_min_f32 v6, v11, v22 :: v_dual_add_f32 v81, v28, v5
	s_delay_alu instid0(VALU_DEP_4) | instskip(SKIP_4) | instid1(VALU_DEP_4)
	v_add_f32_e32 v76, v2, v4
	v_min_f32_e32 v2, v15, v22
	v_min_f32_e32 v4, v18, v21
	v_dual_add_f32 v80, v29, v23 :: v_dual_min_f32 v5, v42, v21
	v_add_f32_e32 v73, v17, v3
	v_add_f32_e32 v74, v13, v2
	v_min_f32_e32 v2, v27, v22
	v_dual_add_f32 v72, v16, v4 :: v_dual_min_f32 v3, v38, v21
	v_min_f32_e32 v4, v43, v22
	v_add_f32_e32 v79, v9, v6
	s_delay_alu instid0(VALU_DEP_4) | instskip(SKIP_3) | instid1(VALU_DEP_3)
	v_add_f32_e32 v70, v25, v2
	v_min_f32_e32 v2, v39, v22
	v_add_f32_e32 v78, v78, v7
	v_dual_add_f32 v68, v36, v3 :: v_dual_add_f32 v67, v41, v4
	v_dual_add_f32 v66, v40, v5 :: v_dual_add_f32 v69, v37, v2
	s_cbranch_scc1 .LBB89_36
.LBB89_24:                              ; =>This Inner Loop Header: Depth=1
	v_dual_mov_b32 v131, 0 :: v_dual_add_nc_u32 v130, s27, v56
	s_delay_alu instid0(VALU_DEP_1) | instskip(NEXT) | instid1(VALU_DEP_1)
	v_add_nc_u32_e32 v0, 8, v130
	v_cmp_gt_i32_e64 s2, s18, v0
	s_delay_alu instid0(VALU_DEP_1) | instskip(NEXT) | instid1(SALU_CYCLE_1)
	s_and_b32 s2, s2, vcc_lo
	s_and_b32 s2, s23, s2
	s_delay_alu instid0(SALU_CYCLE_1)
	s_and_saveexec_b32 s3, s2
	s_cbranch_execz .LBB89_26
; %bb.25:                               ;   in Loop: Header=BB89_24 Depth=1
	v_add_co_u32 v1, s2, -16, v52
	s_delay_alu instid0(VALU_DEP_1)
	v_add_co_ci_u32_e64 v2, s2, -1, v53, s2
	flat_load_b32 v1, v[1:2]
	s_waitcnt vmcnt(0) lgkmcnt(0)
	v_mul_f32_e32 v131, s19, v1
.LBB89_26:                              ;   in Loop: Header=BB89_24 Depth=1
	s_or_b32 exec_lo, exec_lo, s3
	v_min_i32_e32 v1, s24, v0
	v_cmp_le_i32_e64 s2, s18, v0
	v_dual_mov_b32 v132, 0 :: v_dual_mov_b32 v133, 0
	s_delay_alu instid0(VALU_DEP_3) | instskip(NEXT) | instid1(VALU_DEP_1)
	v_ashrrev_i32_e32 v2, 31, v1
	v_lshlrev_b64 v[1:2], 2, v[1:2]
	s_delay_alu instid0(VALU_DEP_1) | instskip(NEXT) | instid1(VALU_DEP_1)
	v_add_co_u32 v0, s3, s8, v1
	v_add_co_ci_u32_e64 v1, s3, s9, v2, s3
	s_or_b32 s3, s25, s2
	s_delay_alu instid0(SALU_CYCLE_1) | instskip(NEXT) | instid1(SALU_CYCLE_1)
	s_xor_b32 s3, s3, -1
	s_and_saveexec_b32 s13, s3
	s_cbranch_execz .LBB89_28
; %bb.27:                               ;   in Loop: Header=BB89_24 Depth=1
	v_add_co_u32 v2, s3, v0, v48
	s_delay_alu instid0(VALU_DEP_1)
	v_add_co_ci_u32_e64 v3, s3, v1, v49, s3
	flat_load_b32 v2, v[2:3]
	s_waitcnt vmcnt(0) lgkmcnt(0)
	v_mul_f32_e32 v133, s19, v2
.LBB89_28:                              ;   in Loop: Header=BB89_24 Depth=1
	s_or_b32 exec_lo, exec_lo, s13
	s_or_b32 s2, s26, s2
	s_delay_alu instid0(SALU_CYCLE_1) | instskip(NEXT) | instid1(SALU_CYCLE_1)
	s_xor_b32 s2, s2, -1
	s_and_saveexec_b32 s3, s2
	s_cbranch_execz .LBB89_30
; %bb.29:                               ;   in Loop: Header=BB89_24 Depth=1
	v_add_co_u32 v0, s2, v0, v50
	s_delay_alu instid0(VALU_DEP_1)
	v_add_co_ci_u32_e64 v1, s2, v1, v51, s2
	flat_load_b32 v0, v[0:1]
	s_waitcnt vmcnt(0) lgkmcnt(0)
	v_mul_f32_e32 v132, s19, v0
.LBB89_30:                              ;   in Loop: Header=BB89_24 Depth=1
	s_or_b32 exec_lo, exec_lo, s3
	ds_load_b128 v[40:43], v128
	ds_load_b128 v[36:39], v128 offset:128
	ds_load_b128 v[32:35], v128 offset:256
	;; [unrolled: 1-line block ×7, first 2 shown]
	ds_load_b128 v[44:47], v129
	ds_load_b128 v[8:11], v129 offset:512
	ds_load_b128 v[4:7], v129 offset:1024
	;; [unrolled: 1-line block ×3, first 2 shown]
	v_add_nc_u32_e32 v134, 12, v130
	ds_store_b32 v100, v131
	v_dual_mov_b32 v131, 0 :: v_dual_mov_b32 v130, 0
	ds_store_2addr_stride64_b32 v59, v133, v132 offset1:4
	v_cmp_gt_i32_e64 s2, s18, v134
	s_waitcnt lgkmcnt(0)
	s_barrier
	buffer_gl0_inv
	s_and_b32 s2, s2, vcc_lo
	s_delay_alu instid0(SALU_CYCLE_1) | instskip(NEXT) | instid1(SALU_CYCLE_1)
	s_and_b32 s3, s23, s2
	s_and_saveexec_b32 s2, s3
	s_cbranch_execz .LBB89_32
; %bb.31:                               ;   in Loop: Header=BB89_24 Depth=1
	flat_load_b32 v130, v[52:53]
	s_waitcnt vmcnt(0) lgkmcnt(0)
	v_mul_f32_e32 v130, s19, v130
.LBB89_32:                              ;   in Loop: Header=BB89_24 Depth=1
	s_or_b32 exec_lo, exec_lo, s2
	v_min_i32_e32 v132, s24, v134
	v_cmp_le_i32_e64 s2, s18, v134
	s_delay_alu instid0(VALU_DEP_2) | instskip(NEXT) | instid1(VALU_DEP_1)
	v_ashrrev_i32_e32 v133, 31, v132
	v_lshlrev_b64 v[132:133], 2, v[132:133]
	s_delay_alu instid0(VALU_DEP_1) | instskip(NEXT) | instid1(VALU_DEP_1)
	v_add_co_u32 v132, s3, s8, v132
	v_add_co_ci_u32_e64 v133, s3, s9, v133, s3
	s_or_b32 s3, s25, s2
	s_delay_alu instid0(SALU_CYCLE_1) | instskip(NEXT) | instid1(SALU_CYCLE_1)
	s_xor_b32 s3, s3, -1
	s_and_saveexec_b32 s13, s3
	s_cbranch_execz .LBB89_34
; %bb.33:                               ;   in Loop: Header=BB89_24 Depth=1
	v_add_co_u32 v134, s3, v132, v48
	s_delay_alu instid0(VALU_DEP_1)
	v_add_co_ci_u32_e64 v135, s3, v133, v49, s3
	flat_load_b32 v131, v[134:135]
	s_waitcnt vmcnt(0) lgkmcnt(0)
	v_mul_f32_e32 v131, s19, v131
.LBB89_34:                              ;   in Loop: Header=BB89_24 Depth=1
	s_or_b32 exec_lo, exec_lo, s13
	v_dual_max_f32 v44, v44, v44 :: v_dual_max_f32 v45, v45, v45
	v_dual_max_f32 v169, v20, v20 :: v_dual_max_f32 v170, v21, v21
	v_max_f32_e32 v171, v16, v16
	v_dual_max_f32 v159, v40, v40 :: v_dual_max_f32 v160, v41, v41
	v_dual_max_f32 v161, v36, v36 :: v_dual_max_f32 v162, v37, v37
	;; [unrolled: 1-line block ×5, first 2 shown]
	v_dual_min_f32 v24, v170, v45 :: v_dual_min_f32 v25, v171, v44
	v_dual_max_f32 v172, v17, v17 :: v_dual_max_f32 v173, v12, v12
	v_dual_max_f32 v174, v13, v13 :: v_dual_max_f32 v143, v8, v8
	;; [unrolled: 1-line block ×3, first 2 shown]
	v_max_f32_e32 v158, v5, v5
	v_dual_max_f32 v0, v0, v0 :: v_dual_max_f32 v175, v1, v1
	v_dual_max_f32 v176, v46, v46 :: v_dual_max_f32 v177, v47, v47
	;; [unrolled: 1-line block ×3, first 2 shown]
	v_dual_min_f32 v36, v159, v44 :: v_dual_min_f32 v37, v166, v45
	v_dual_min_f32 v40, v160, v45 :: v_dual_min_f32 v41, v161, v44
	;; [unrolled: 1-line block ×30, first 2 shown]
	v_dual_max_f32 v209, v42, v42 :: v_dual_max_f32 v210, v43, v43
	v_dual_max_f32 v214, v38, v38 :: v_dual_min_f32 v43, v173, v0
	v_dual_max_f32 v0, v39, v39 :: v_dual_max_f32 v173, v34, v34
	v_dual_min_f32 v31, v216, v176 :: v_dual_max_f32 v218, v26, v26
	v_dual_min_f32 v39, v217, v177 :: v_dual_max_f32 v220, v22, v22
	s_delay_alu instid0(VALU_DEP_4) | instskip(NEXT) | instid1(VALU_DEP_4)
	v_dual_min_f32 v42, v214, v176 :: v_dual_max_f32 v215, v35, v35
	v_dual_min_f32 v34, v0, v177 :: v_dual_max_f32 v219, v27, v27
	;; [unrolled: 1-line block ×3, first 2 shown]
	v_max_f32_e32 v222, v18, v18
	v_dual_min_f32 v18, v218, v176 :: v_dual_max_f32 v19, v19, v19
	v_dual_min_f32 v22, v220, v176 :: v_dual_max_f32 v223, v14, v14
	v_dual_max_f32 v10, v10, v10 :: v_dual_max_f32 v11, v11, v11
	v_max_f32_e32 v224, v15, v15
	v_dual_min_f32 v46, v174, v175 :: v_dual_min_f32 v35, v215, v177
	v_dual_min_f32 v38, v209, v176 :: v_dual_min_f32 v47, v210, v177
	v_min_f32_e32 v175, v221, v177
	v_dual_min_f32 v174, v219, v177 :: v_dual_min_f32 v23, v222, v176
	v_dual_min_f32 v184, v19, v177 :: v_dual_min_f32 v187, v0, v11
	;; [unrolled: 1-line block ×3, first 2 shown]
	v_min_f32_e32 v177, v209, v10
	v_dual_min_f32 v182, v220, v10 :: v_dual_max_f32 v7, v7, v7
	v_dual_max_f32 v6, v6, v6 :: v_dual_min_f32 v201, v224, v11
	v_dual_max_f32 v225, v2, v2 :: v_dual_max_f32 v226, v3, v3
	v_dual_min_f32 v186, v210, v11 :: v_dual_min_f32 v179, v173, v10
	v_dual_min_f32 v178, v214, v10 :: v_dual_min_f32 v189, v217, v11
	;; [unrolled: 1-line block ×22, first 2 shown]
	v_mov_b32_e32 v0, 0
	s_or_b32 s2, s26, s2
	s_delay_alu instid0(SALU_CYCLE_1) | instskip(NEXT) | instid1(SALU_CYCLE_1)
	s_xor_b32 s2, s2, -1
	s_and_saveexec_b32 s3, s2
	s_cbranch_execz .LBB89_23
; %bb.35:                               ;   in Loop: Header=BB89_24 Depth=1
	v_add_co_u32 v132, s2, v132, v50
	s_delay_alu instid0(VALU_DEP_1)
	v_add_co_ci_u32_e64 v133, s2, v133, v51, s2
	flat_load_b32 v0, v[132:133]
	s_waitcnt vmcnt(0) lgkmcnt(0)
	v_mul_f32_e32 v0, s19, v0
	s_branch .LBB89_23
.LBB89_36:
	s_clause 0x2
	s_load_b64 s[2:3], s[0:1], 0x70
	s_load_b32 s12, s[0:1], 0x50
	s_load_b32 s9, s[0:1], 0x68
	ds_load_b128 v[32:35], v57 offset:5120
	ds_load_b128 v[28:31], v57 offset:5248
	;; [unrolled: 1-line block ×12, first 2 shown]
	v_add_nc_u32_e32 v117, s5, v55
	v_add_nc_u32_e32 v48, s4, v54
	v_cndmask_b32_e64 v100, 0, 1, s21
	s_delay_alu instid0(VALU_DEP_3)
	v_cmp_gt_i32_e64 s8, s17, v117
	s_waitcnt lgkmcnt(0)
	s_mul_i32 s0, s15, s3
	v_mad_i64_i32 v[49:50], null, v117, s12, 0
	v_mad_i64_i32 v[51:52], null, v117, s9, 0
	s_mul_hi_u32 s1, s15, s2
	s_mul_i32 s3, s22, s2
	s_add_i32 s1, s1, s0
	s_mul_i32 s0, s15, s2
	s_delay_alu instid0(VALU_DEP_2) | instskip(SKIP_1) | instid1(VALU_DEP_2)
	v_lshlrev_b64 v[49:50], 2, v[49:50]
	s_add_i32 s1, s1, s3
	v_lshlrev_b64 v[51:52], 2, v[51:52]
	s_lshl_b64 s[0:1], s[0:1], 2
	s_delay_alu instid0(SALU_CYCLE_1) | instskip(NEXT) | instid1(VALU_DEP_2)
	s_add_u32 s13, s6, s0
	v_add_co_u32 v128, vcc_lo, s10, v49
	v_add_co_ci_u32_e32 v129, vcc_lo, s11, v50, vcc_lo
	s_addc_u32 s14, s7, s1
	v_add_co_u32 v126, vcc_lo, s13, v51
	v_cmp_gt_i32_e64 s0, s16, v48
	v_add_co_ci_u32_e32 v127, vcc_lo, s14, v52, vcc_lo
	v_ashrrev_i32_e32 v49, 31, v48
	s_delay_alu instid0(VALU_DEP_3) | instskip(NEXT) | instid1(SALU_CYCLE_1)
	s_and_b32 s2, s0, s8
	s_and_saveexec_b32 s1, s2
	s_cbranch_execz .LBB89_41
; %bb.37:
	s_delay_alu instid0(VALU_DEP_1)
	v_lshlrev_b64 v[50:51], 2, v[48:49]
	s_and_not1_b32 vcc_lo, exec_lo, s21
	s_cbranch_vccnz .LBB89_39
; %bb.38:
	s_delay_alu instid0(VALU_DEP_1) | instskip(NEXT) | instid1(VALU_DEP_2)
	v_add_co_u32 v52, vcc_lo, v128, v50
	v_add_co_ci_u32_e32 v53, vcc_lo, v129, v51, vcc_lo
	flat_load_b32 v52, v[52:53]
	s_waitcnt vmcnt(0) lgkmcnt(0)
	v_mul_f32_e32 v52, s20, v52
	s_branch .LBB89_40
.LBB89_39:
	v_mov_b32_e32 v52, 0
.LBB89_40:
	v_dual_max_f32 v53, v45, v45 :: v_dual_max_f32 v56, v32, v32
	v_dual_max_f32 v54, v33, v33 :: v_dual_max_f32 v55, v44, v44
	;; [unrolled: 1-line block ×3, first 2 shown]
	v_max_f32_e32 v59, v35, v35
	s_delay_alu instid0(VALU_DEP_3) | instskip(NEXT) | instid1(VALU_DEP_4)
	v_min_f32_e32 v53, v54, v53
	v_dual_max_f32 v54, v34, v34 :: v_dual_min_f32 v55, v56, v55
	v_add_co_u32 v50, vcc_lo, v126, v50
	v_add_co_ci_u32_e32 v51, vcc_lo, v127, v51, vcc_lo
	s_delay_alu instid0(VALU_DEP_3) | instskip(NEXT) | instid1(VALU_DEP_4)
	v_min_f32_e32 v54, v54, v57
	v_dual_min_f32 v56, v59, v58 :: v_dual_add_f32 v55, v124, v55
	s_delay_alu instid0(VALU_DEP_1) | instskip(NEXT) | instid1(VALU_DEP_1)
	v_dual_add_f32 v53, v125, v53 :: v_dual_add_f32 v54, v55, v54
	v_add_f32_e32 v53, v53, v56
	s_delay_alu instid0(VALU_DEP_1) | instskip(NEXT) | instid1(VALU_DEP_1)
	v_add_f32_e32 v53, v54, v53
	v_add_f32_e32 v52, v53, v52
	global_store_b32 v[50:51], v52, off
.LBB89_41:
	s_or_b32 exec_lo, exec_lo, s1
	v_add_nc_u32_e32 v50, 8, v48
	s_delay_alu instid0(VALU_DEP_1) | instskip(SKIP_1) | instid1(VALU_DEP_2)
	v_cmp_gt_i32_e64 s1, s16, v50
	v_ashrrev_i32_e32 v51, 31, v50
	s_and_b32 s3, s1, s8
	s_delay_alu instid0(SALU_CYCLE_1)
	s_and_saveexec_b32 s2, s3
	s_cbranch_execz .LBB89_46
; %bb.42:
	v_cmp_ne_u32_e32 vcc_lo, 1, v100
	v_lshlrev_b64 v[52:53], 2, v[50:51]
	s_cbranch_vccnz .LBB89_44
; %bb.43:
	s_delay_alu instid0(VALU_DEP_1) | instskip(NEXT) | instid1(VALU_DEP_2)
	v_add_co_u32 v54, vcc_lo, v128, v52
	v_add_co_ci_u32_e32 v55, vcc_lo, v129, v53, vcc_lo
	flat_load_b32 v54, v[54:55]
	s_waitcnt vmcnt(0) lgkmcnt(0)
	v_mul_f32_e32 v54, s20, v54
	s_branch .LBB89_45
.LBB89_44:
	v_mov_b32_e32 v54, 0
.LBB89_45:
	v_dual_max_f32 v55, v45, v45 :: v_dual_max_f32 v58, v28, v28
	v_dual_max_f32 v56, v29, v29 :: v_dual_max_f32 v57, v44, v44
	;; [unrolled: 1-line block ×3, first 2 shown]
	v_add_co_u32 v52, vcc_lo, v126, v52
	s_delay_alu instid0(VALU_DEP_3) | instskip(NEXT) | instid1(VALU_DEP_4)
	v_dual_min_f32 v55, v56, v55 :: v_dual_max_f32 v56, v30, v30
	v_min_f32_e32 v57, v58, v57
	v_add_co_ci_u32_e32 v53, vcc_lo, v127, v53, vcc_lo
	s_delay_alu instid0(VALU_DEP_2) | instskip(NEXT) | instid1(VALU_DEP_1)
	v_dual_min_f32 v56, v56, v59 :: v_dual_add_f32 v57, v123, v57
	v_dual_max_f32 v125, v31, v31 :: v_dual_add_f32 v56, v57, v56
	s_delay_alu instid0(VALU_DEP_1) | instskip(NEXT) | instid1(VALU_DEP_1)
	v_dual_add_f32 v55, v122, v55 :: v_dual_min_f32 v58, v125, v124
	v_add_f32_e32 v55, v55, v58
	s_delay_alu instid0(VALU_DEP_1) | instskip(NEXT) | instid1(VALU_DEP_1)
	v_add_f32_e32 v55, v56, v55
	v_add_f32_e32 v54, v55, v54
	global_store_b32 v[52:53], v54, off
.LBB89_46:
	s_or_b32 exec_lo, exec_lo, s2
	v_add_nc_u32_e32 v52, 16, v48
	s_delay_alu instid0(VALU_DEP_1) | instskip(SKIP_1) | instid1(VALU_DEP_2)
	v_cmp_gt_i32_e64 s2, s16, v52
	v_ashrrev_i32_e32 v53, 31, v52
	s_and_b32 s4, s2, s8
	s_delay_alu instid0(SALU_CYCLE_1)
	s_and_saveexec_b32 s3, s4
	s_cbranch_execz .LBB89_51
; %bb.47:
	v_cmp_ne_u32_e32 vcc_lo, 1, v100
	v_lshlrev_b64 v[54:55], 2, v[52:53]
	s_cbranch_vccnz .LBB89_49
; %bb.48:
	s_delay_alu instid0(VALU_DEP_1) | instskip(NEXT) | instid1(VALU_DEP_2)
	v_add_co_u32 v56, vcc_lo, v128, v54
	v_add_co_ci_u32_e32 v57, vcc_lo, v129, v55, vcc_lo
	flat_load_b32 v56, v[56:57]
	s_waitcnt vmcnt(0) lgkmcnt(0)
	v_mul_f32_e32 v56, s20, v56
	s_branch .LBB89_50
.LBB89_49:
	v_mov_b32_e32 v56, 0
.LBB89_50:
	v_dual_max_f32 v57, v45, v45 :: v_dual_max_f32 v122, v24, v24
	v_dual_max_f32 v58, v25, v25 :: v_dual_max_f32 v59, v44, v44
	;; [unrolled: 1-line block ×3, first 2 shown]
	v_max_f32_e32 v125, v27, v27
	s_delay_alu instid0(VALU_DEP_3) | instskip(SKIP_3) | instid1(VALU_DEP_4)
	v_min_f32_e32 v57, v58, v57
	v_max_f32_e32 v58, v26, v26
	v_min_f32_e32 v59, v122, v59
	v_add_co_u32 v54, vcc_lo, v126, v54
	v_dual_add_f32 v57, v120, v57 :: v_dual_min_f32 v120, v125, v124
	s_delay_alu instid0(VALU_DEP_4) | instskip(NEXT) | instid1(VALU_DEP_4)
	v_min_f32_e32 v58, v58, v123
	v_add_f32_e32 v59, v121, v59
	v_add_co_ci_u32_e32 v55, vcc_lo, v127, v55, vcc_lo
	s_delay_alu instid0(VALU_DEP_2) | instskip(NEXT) | instid1(VALU_DEP_1)
	v_dual_add_f32 v57, v57, v120 :: v_dual_add_f32 v58, v59, v58
	v_add_f32_e32 v57, v58, v57
	s_delay_alu instid0(VALU_DEP_1)
	v_add_f32_e32 v56, v57, v56
	global_store_b32 v[54:55], v56, off
.LBB89_51:
	s_or_b32 exec_lo, exec_lo, s3
	v_add_nc_u32_e32 v54, 24, v48
	s_delay_alu instid0(VALU_DEP_1) | instskip(SKIP_1) | instid1(VALU_DEP_2)
	v_cmp_gt_i32_e64 s3, s16, v54
	v_ashrrev_i32_e32 v55, 31, v54
	s_and_b32 s5, s3, s8
	s_delay_alu instid0(SALU_CYCLE_1)
	s_and_saveexec_b32 s4, s5
	s_cbranch_execz .LBB89_56
; %bb.52:
	v_cmp_ne_u32_e32 vcc_lo, 1, v100
	v_lshlrev_b64 v[56:57], 2, v[54:55]
	s_cbranch_vccnz .LBB89_54
; %bb.53:
	s_delay_alu instid0(VALU_DEP_1) | instskip(NEXT) | instid1(VALU_DEP_2)
	v_add_co_u32 v58, vcc_lo, v128, v56
	v_add_co_ci_u32_e32 v59, vcc_lo, v129, v57, vcc_lo
	flat_load_b32 v58, v[58:59]
	s_waitcnt vmcnt(0) lgkmcnt(0)
	v_mul_f32_e32 v58, s20, v58
	s_branch .LBB89_55
.LBB89_54:
	v_mov_b32_e32 v58, 0
.LBB89_55:
	v_dual_max_f32 v59, v45, v45 :: v_dual_max_f32 v122, v20, v20
	v_dual_max_f32 v120, v21, v21 :: v_dual_max_f32 v121, v44, v44
	;; [unrolled: 1-line block ×3, first 2 shown]
	v_max_f32_e32 v125, v23, v23
	s_delay_alu instid0(VALU_DEP_3) | instskip(NEXT) | instid1(VALU_DEP_4)
	v_dual_min_f32 v59, v120, v59 :: v_dual_max_f32 v120, v22, v22
	v_min_f32_e32 v121, v122, v121
	v_add_co_u32 v56, vcc_lo, v126, v56
	s_delay_alu instid0(VALU_DEP_3) | instskip(NEXT) | instid1(VALU_DEP_4)
	v_add_f32_e32 v59, v118, v59
	v_min_f32_e32 v118, v120, v123
	s_delay_alu instid0(VALU_DEP_4) | instskip(SKIP_1) | instid1(VALU_DEP_2)
	v_dual_min_f32 v120, v125, v124 :: v_dual_add_f32 v119, v119, v121
	v_add_co_ci_u32_e32 v57, vcc_lo, v127, v57, vcc_lo
	v_add_f32_e32 v59, v59, v120
	s_delay_alu instid0(VALU_DEP_3) | instskip(NEXT) | instid1(VALU_DEP_1)
	v_add_f32_e32 v118, v119, v118
	v_add_f32_e32 v59, v118, v59
	s_delay_alu instid0(VALU_DEP_1)
	v_add_f32_e32 v58, v59, v58
	global_store_b32 v[56:57], v58, off
.LBB89_56:
	s_or_b32 exec_lo, exec_lo, s4
	v_add_nc_u32_e32 v56, 32, v48
	s_delay_alu instid0(VALU_DEP_1) | instskip(SKIP_1) | instid1(VALU_DEP_2)
	v_cmp_gt_i32_e64 s4, s16, v56
	v_ashrrev_i32_e32 v57, 31, v56
	s_and_b32 s6, s4, s8
	s_delay_alu instid0(SALU_CYCLE_1)
	s_and_saveexec_b32 s5, s6
	s_cbranch_execz .LBB89_61
; %bb.57:
	v_cmp_ne_u32_e32 vcc_lo, 1, v100
	v_lshlrev_b64 v[58:59], 2, v[56:57]
	s_cbranch_vccnz .LBB89_59
; %bb.58:
	s_delay_alu instid0(VALU_DEP_1) | instskip(NEXT) | instid1(VALU_DEP_2)
	v_add_co_u32 v118, vcc_lo, v128, v58
	v_add_co_ci_u32_e32 v119, vcc_lo, v129, v59, vcc_lo
	flat_load_b32 v118, v[118:119]
	s_waitcnt vmcnt(0) lgkmcnt(0)
	v_mul_f32_e32 v118, s20, v118
	s_branch .LBB89_60
.LBB89_59:
	v_mov_b32_e32 v118, 0
.LBB89_60:
	v_dual_max_f32 v119, v45, v45 :: v_dual_max_f32 v122, v16, v16
	v_dual_max_f32 v120, v17, v17 :: v_dual_max_f32 v121, v44, v44
	;; [unrolled: 1-line block ×3, first 2 shown]
	v_add_co_u32 v58, vcc_lo, v126, v58
	s_delay_alu instid0(VALU_DEP_3) | instskip(NEXT) | instid1(VALU_DEP_4)
	v_dual_min_f32 v119, v120, v119 :: v_dual_max_f32 v120, v18, v18
	v_min_f32_e32 v121, v122, v121
	v_add_co_ci_u32_e32 v59, vcc_lo, v127, v59, vcc_lo
	s_delay_alu instid0(VALU_DEP_3) | instskip(SKIP_3) | instid1(VALU_DEP_3)
	v_add_f32_e32 v60, v60, v119
	v_max_f32_e32 v125, v19, v19
	v_min_f32_e32 v119, v120, v123
	v_add_f32_e32 v61, v61, v121
	v_min_f32_e32 v120, v125, v124
	s_delay_alu instid0(VALU_DEP_1) | instskip(NEXT) | instid1(VALU_DEP_1)
	v_dual_add_f32 v61, v61, v119 :: v_dual_add_f32 v60, v60, v120
	v_add_f32_e32 v60, v61, v60
	s_delay_alu instid0(VALU_DEP_1)
	v_add_f32_e32 v60, v60, v118
	global_store_b32 v[58:59], v60, off
.LBB89_61:
	s_or_b32 exec_lo, exec_lo, s5
	v_add_nc_u32_e32 v58, 40, v48
	s_delay_alu instid0(VALU_DEP_1) | instskip(SKIP_1) | instid1(VALU_DEP_2)
	v_cmp_gt_i32_e64 s5, s16, v58
	v_ashrrev_i32_e32 v59, 31, v58
	s_and_b32 s7, s5, s8
	s_delay_alu instid0(SALU_CYCLE_1)
	s_and_saveexec_b32 s6, s7
	s_cbranch_execz .LBB89_66
; %bb.62:
	v_cmp_ne_u32_e32 vcc_lo, 1, v100
	v_lshlrev_b64 v[60:61], 2, v[58:59]
	s_cbranch_vccnz .LBB89_64
; %bb.63:
	s_delay_alu instid0(VALU_DEP_1) | instskip(NEXT) | instid1(VALU_DEP_2)
	v_add_co_u32 v118, vcc_lo, v128, v60
	v_add_co_ci_u32_e32 v119, vcc_lo, v129, v61, vcc_lo
	flat_load_b32 v118, v[118:119]
	s_waitcnt vmcnt(0) lgkmcnt(0)
	v_mul_f32_e32 v118, s20, v118
	s_branch .LBB89_65
.LBB89_64:
	v_mov_b32_e32 v118, 0
.LBB89_65:
	v_dual_max_f32 v119, v45, v45 :: v_dual_max_f32 v122, v12, v12
	v_dual_max_f32 v120, v13, v13 :: v_dual_max_f32 v121, v44, v44
	;; [unrolled: 1-line block ×3, first 2 shown]
	v_add_co_u32 v60, vcc_lo, v126, v60
	s_delay_alu instid0(VALU_DEP_3) | instskip(NEXT) | instid1(VALU_DEP_4)
	v_dual_min_f32 v119, v120, v119 :: v_dual_max_f32 v120, v14, v14
	v_min_f32_e32 v121, v122, v121
	v_max_f32_e32 v125, v15, v15
	v_add_co_ci_u32_e32 v61, vcc_lo, v127, v61, vcc_lo
	s_delay_alu instid0(VALU_DEP_4) | instskip(NEXT) | instid1(VALU_DEP_4)
	v_add_f32_e32 v63, v63, v119
	v_dual_min_f32 v119, v120, v123 :: v_dual_add_f32 v62, v62, v121
	s_delay_alu instid0(VALU_DEP_4) | instskip(NEXT) | instid1(VALU_DEP_1)
	v_min_f32_e32 v120, v125, v124
	v_dual_add_f32 v62, v62, v119 :: v_dual_add_f32 v63, v63, v120
	s_delay_alu instid0(VALU_DEP_1) | instskip(NEXT) | instid1(VALU_DEP_1)
	v_add_f32_e32 v62, v62, v63
	v_add_f32_e32 v62, v62, v118
	global_store_b32 v[60:61], v62, off
.LBB89_66:
	s_or_b32 exec_lo, exec_lo, s6
	v_add_nc_u32_e32 v60, 48, v48
	s_delay_alu instid0(VALU_DEP_1) | instskip(SKIP_1) | instid1(VALU_DEP_2)
	v_cmp_gt_i32_e64 s6, s16, v60
	v_ashrrev_i32_e32 v61, 31, v60
	s_and_b32 s15, s6, s8
	s_delay_alu instid0(SALU_CYCLE_1)
	s_and_saveexec_b32 s7, s15
	s_cbranch_execz .LBB89_71
; %bb.67:
	v_cmp_ne_u32_e32 vcc_lo, 1, v100
	v_lshlrev_b64 v[62:63], 2, v[60:61]
	s_cbranch_vccnz .LBB89_69
; %bb.68:
	s_delay_alu instid0(VALU_DEP_1) | instskip(NEXT) | instid1(VALU_DEP_2)
	v_add_co_u32 v118, vcc_lo, v128, v62
	v_add_co_ci_u32_e32 v119, vcc_lo, v129, v63, vcc_lo
	flat_load_b32 v118, v[118:119]
	s_waitcnt vmcnt(0) lgkmcnt(0)
	v_mul_f32_e32 v118, s20, v118
	s_branch .LBB89_70
.LBB89_69:
	v_mov_b32_e32 v118, 0
.LBB89_70:
	v_dual_max_f32 v119, v45, v45 :: v_dual_max_f32 v122, v8, v8
	v_dual_max_f32 v120, v9, v9 :: v_dual_max_f32 v121, v44, v44
	;; [unrolled: 1-line block ×3, first 2 shown]
	v_add_co_u32 v62, vcc_lo, v126, v62
	s_delay_alu instid0(VALU_DEP_3) | instskip(NEXT) | instid1(VALU_DEP_4)
	v_dual_min_f32 v119, v120, v119 :: v_dual_max_f32 v120, v10, v10
	v_min_f32_e32 v121, v122, v121
	v_add_co_ci_u32_e32 v63, vcc_lo, v127, v63, vcc_lo
	s_delay_alu instid0(VALU_DEP_3) | instskip(SKIP_3) | instid1(VALU_DEP_3)
	v_add_f32_e32 v64, v64, v119
	v_max_f32_e32 v125, v11, v11
	v_min_f32_e32 v119, v120, v123
	v_add_f32_e32 v65, v65, v121
	v_min_f32_e32 v120, v125, v124
	s_delay_alu instid0(VALU_DEP_1) | instskip(NEXT) | instid1(VALU_DEP_1)
	v_dual_add_f32 v65, v65, v119 :: v_dual_add_f32 v64, v64, v120
	v_add_f32_e32 v64, v65, v64
	s_delay_alu instid0(VALU_DEP_1)
	v_add_f32_e32 v64, v64, v118
	global_store_b32 v[62:63], v64, off
.LBB89_71:
	s_or_b32 exec_lo, exec_lo, s7
	v_add_nc_u32_e32 v62, 56, v48
	s_delay_alu instid0(VALU_DEP_1) | instskip(SKIP_1) | instid1(VALU_DEP_2)
	v_cmp_gt_i32_e64 s7, s16, v62
	v_ashrrev_i32_e32 v63, 31, v62
	s_and_b32 s15, s7, s8
	s_delay_alu instid0(SALU_CYCLE_1)
	s_and_saveexec_b32 s8, s15
	s_cbranch_execz .LBB89_76
; %bb.72:
	v_cmp_ne_u32_e32 vcc_lo, 1, v100
	v_lshlrev_b64 v[64:65], 2, v[62:63]
	s_cbranch_vccnz .LBB89_74
; %bb.73:
	s_delay_alu instid0(VALU_DEP_1) | instskip(NEXT) | instid1(VALU_DEP_2)
	v_add_co_u32 v118, vcc_lo, v128, v64
	v_add_co_ci_u32_e32 v119, vcc_lo, v129, v65, vcc_lo
	flat_load_b32 v118, v[118:119]
	s_waitcnt vmcnt(0) lgkmcnt(0)
	v_mul_f32_e32 v118, s20, v118
	s_branch .LBB89_75
.LBB89_74:
	v_mov_b32_e32 v118, 0
.LBB89_75:
	v_dual_max_f32 v45, v45, v45 :: v_dual_max_f32 v44, v44, v44
	v_dual_max_f32 v119, v1, v1 :: v_dual_max_f32 v120, v0, v0
	s_delay_alu instid0(VALU_DEP_1) | instskip(NEXT) | instid1(VALU_DEP_2)
	v_dual_max_f32 v46, v46, v46 :: v_dual_min_f32 v45, v119, v45
	v_dual_max_f32 v119, v2, v2 :: v_dual_min_f32 v44, v120, v44
	v_max_f32_e32 v47, v47, v47
	s_delay_alu instid0(VALU_DEP_2) | instskip(NEXT) | instid1(VALU_DEP_3)
	v_dual_add_f32 v45, v115, v45 :: v_dual_add_f32 v44, v116, v44
	v_min_f32_e32 v46, v119, v46
	s_delay_alu instid0(VALU_DEP_1) | instskip(NEXT) | instid1(VALU_DEP_1)
	v_dual_max_f32 v121, v3, v3 :: v_dual_add_f32 v44, v44, v46
	v_min_f32_e32 v47, v121, v47
	s_delay_alu instid0(VALU_DEP_1) | instskip(NEXT) | instid1(VALU_DEP_1)
	v_add_f32_e32 v45, v45, v47
	v_add_f32_e32 v44, v44, v45
	s_delay_alu instid0(VALU_DEP_1)
	v_add_f32_e32 v46, v44, v118
	v_add_co_u32 v44, vcc_lo, v126, v64
	v_add_co_ci_u32_e32 v45, vcc_lo, v127, v65, vcc_lo
	global_store_b32 v[44:45], v46, off
.LBB89_76:
	s_or_b32 exec_lo, exec_lo, s8
	v_add_nc_u32_e32 v64, 32, v117
	s_delay_alu instid0(VALU_DEP_1) | instskip(SKIP_2) | instid1(VALU_DEP_3)
	v_mad_i64_i32 v[44:45], null, v64, s12, 0
	v_mad_i64_i32 v[46:47], null, v64, s9, 0
	v_cmp_gt_i32_e64 s8, s17, v64
	v_lshlrev_b64 v[44:45], 2, v[44:45]
	s_delay_alu instid0(VALU_DEP_2) | instskip(NEXT) | instid1(VALU_DEP_3)
	s_and_b32 s16, s0, s8
	v_lshlrev_b64 v[46:47], 2, v[46:47]
	s_delay_alu instid0(VALU_DEP_2) | instskip(NEXT) | instid1(VALU_DEP_3)
	v_add_co_u32 v64, vcc_lo, s10, v44
	v_add_co_ci_u32_e32 v65, vcc_lo, s11, v45, vcc_lo
	s_delay_alu instid0(VALU_DEP_3) | instskip(NEXT) | instid1(VALU_DEP_4)
	v_add_co_u32 v46, vcc_lo, s13, v46
	v_add_co_ci_u32_e32 v47, vcc_lo, s14, v47, vcc_lo
	s_and_saveexec_b32 s15, s16
	s_cbranch_execnz .LBB89_84
; %bb.77:
	s_or_b32 exec_lo, exec_lo, s15
	s_and_b32 s16, s1, s8
	s_delay_alu instid0(SALU_CYCLE_1)
	s_and_saveexec_b32 s15, s16
	s_cbranch_execnz .LBB89_88
.LBB89_78:
	s_or_b32 exec_lo, exec_lo, s15
	s_and_b32 s16, s2, s8
	s_delay_alu instid0(SALU_CYCLE_1)
	s_and_saveexec_b32 s15, s16
	s_cbranch_execnz .LBB89_92
.LBB89_79:
	s_or_b32 exec_lo, exec_lo, s15
	s_and_b32 s16, s3, s8
	s_delay_alu instid0(SALU_CYCLE_1)
	s_and_saveexec_b32 s15, s16
	s_cbranch_execnz .LBB89_96
.LBB89_80:
	s_or_b32 exec_lo, exec_lo, s15
	s_and_b32 s16, s4, s8
	s_delay_alu instid0(SALU_CYCLE_1)
	s_and_saveexec_b32 s15, s16
	s_cbranch_execnz .LBB89_100
.LBB89_81:
	s_or_b32 exec_lo, exec_lo, s15
	s_and_b32 s16, s5, s8
	s_delay_alu instid0(SALU_CYCLE_1)
	s_and_saveexec_b32 s15, s16
	s_cbranch_execnz .LBB89_104
.LBB89_82:
	s_or_b32 exec_lo, exec_lo, s15
	s_and_b32 s16, s6, s8
	s_delay_alu instid0(SALU_CYCLE_1)
	s_and_saveexec_b32 s15, s16
	s_cbranch_execnz .LBB89_108
.LBB89_83:
	s_or_b32 exec_lo, exec_lo, s15
	s_and_b32 s15, s7, s8
	s_delay_alu instid0(SALU_CYCLE_1)
	s_and_saveexec_b32 s8, s15
	s_cbranch_execnz .LBB89_112
	s_branch .LBB89_116
.LBB89_84:
	v_cmp_ne_u32_e32 vcc_lo, 1, v100
	v_lshlrev_b64 v[44:45], 2, v[48:49]
	s_cbranch_vccnz .LBB89_86
; %bb.85:
	s_delay_alu instid0(VALU_DEP_1) | instskip(NEXT) | instid1(VALU_DEP_2)
	v_add_co_u32 v115, vcc_lo, v64, v44
	v_add_co_ci_u32_e32 v116, vcc_lo, v65, v45, vcc_lo
	flat_load_b32 v115, v[115:116]
	s_waitcnt vmcnt(0) lgkmcnt(0)
	v_mul_f32_e32 v115, s20, v115
	s_branch .LBB89_87
.LBB89_86:
	v_mov_b32_e32 v115, 0
.LBB89_87:
	v_dual_max_f32 v116, v41, v41 :: v_dual_max_f32 v119, v40, v40
	v_dual_max_f32 v118, v33, v33 :: v_dual_max_f32 v121, v42, v42
	;; [unrolled: 1-line block ×3, first 2 shown]
	v_add_co_u32 v44, vcc_lo, v46, v44
	s_delay_alu instid0(VALU_DEP_2) | instskip(SKIP_2) | instid1(VALU_DEP_3)
	v_dual_min_f32 v116, v118, v116 :: v_dual_min_f32 v119, v120, v119
	v_max_f32_e32 v118, v34, v34
	v_add_co_ci_u32_e32 v45, vcc_lo, v47, v45, vcc_lo
	v_dual_add_f32 v114, v114, v116 :: v_dual_add_f32 v113, v113, v119
	s_delay_alu instid0(VALU_DEP_3) | instskip(NEXT) | instid1(VALU_DEP_1)
	v_min_f32_e32 v116, v118, v121
	v_dual_max_f32 v122, v43, v43 :: v_dual_add_f32 v113, v113, v116
	s_delay_alu instid0(VALU_DEP_1) | instskip(NEXT) | instid1(VALU_DEP_1)
	v_min_f32_e32 v118, v123, v122
	v_add_f32_e32 v114, v114, v118
	s_delay_alu instid0(VALU_DEP_1) | instskip(NEXT) | instid1(VALU_DEP_1)
	v_add_f32_e32 v113, v113, v114
	v_add_f32_e32 v113, v113, v115
	global_store_b32 v[44:45], v113, off
	s_or_b32 exec_lo, exec_lo, s15
	s_and_b32 s16, s1, s8
	s_delay_alu instid0(SALU_CYCLE_1)
	s_and_saveexec_b32 s15, s16
	s_cbranch_execz .LBB89_78
.LBB89_88:
	v_cmp_ne_u32_e32 vcc_lo, 1, v100
	v_lshlrev_b64 v[44:45], 2, v[50:51]
	s_cbranch_vccnz .LBB89_90
; %bb.89:
	s_delay_alu instid0(VALU_DEP_1) | instskip(NEXT) | instid1(VALU_DEP_2)
	v_add_co_u32 v113, vcc_lo, v64, v44
	v_add_co_ci_u32_e32 v114, vcc_lo, v65, v45, vcc_lo
	flat_load_b32 v113, v[113:114]
	s_waitcnt vmcnt(0) lgkmcnt(0)
	v_mul_f32_e32 v113, s20, v113
	s_branch .LBB89_91
.LBB89_90:
	v_mov_b32_e32 v113, 0
.LBB89_91:
	v_dual_max_f32 v114, v41, v41 :: v_dual_max_f32 v119, v42, v42
	v_dual_max_f32 v115, v29, v29 :: v_dual_max_f32 v116, v40, v40
	v_max_f32_e32 v118, v28, v28
	v_max_f32_e32 v120, v43, v43
	;; [unrolled: 1-line block ×3, first 2 shown]
	s_delay_alu instid0(VALU_DEP_4) | instskip(SKIP_3) | instid1(VALU_DEP_4)
	v_min_f32_e32 v114, v115, v114
	v_max_f32_e32 v115, v30, v30
	v_min_f32_e32 v116, v118, v116
	v_add_co_u32 v44, vcc_lo, v46, v44
	v_add_f32_e32 v111, v111, v114
	s_delay_alu instid0(VALU_DEP_4) | instskip(NEXT) | instid1(VALU_DEP_4)
	v_min_f32_e32 v114, v115, v119
	v_add_f32_e32 v112, v112, v116
	v_min_f32_e32 v115, v121, v120
	v_add_co_ci_u32_e32 v45, vcc_lo, v47, v45, vcc_lo
	s_delay_alu instid0(VALU_DEP_2) | instskip(NEXT) | instid1(VALU_DEP_1)
	v_dual_add_f32 v112, v112, v114 :: v_dual_add_f32 v111, v111, v115
	v_add_f32_e32 v111, v112, v111
	s_delay_alu instid0(VALU_DEP_1) | instskip(SKIP_3) | instid1(SALU_CYCLE_1)
	v_add_f32_e32 v111, v111, v113
	global_store_b32 v[44:45], v111, off
	s_or_b32 exec_lo, exec_lo, s15
	s_and_b32 s16, s2, s8
	s_and_saveexec_b32 s15, s16
	s_cbranch_execz .LBB89_79
.LBB89_92:
	v_cmp_ne_u32_e32 vcc_lo, 1, v100
	v_lshlrev_b64 v[44:45], 2, v[52:53]
	s_cbranch_vccnz .LBB89_94
; %bb.93:
	s_delay_alu instid0(VALU_DEP_1) | instskip(NEXT) | instid1(VALU_DEP_2)
	v_add_co_u32 v111, vcc_lo, v64, v44
	v_add_co_ci_u32_e32 v112, vcc_lo, v65, v45, vcc_lo
	flat_load_b32 v111, v[111:112]
	s_waitcnt vmcnt(0) lgkmcnt(0)
	v_mul_f32_e32 v111, s20, v111
	s_branch .LBB89_95
.LBB89_94:
	v_mov_b32_e32 v111, 0
.LBB89_95:
	v_dual_max_f32 v112, v41, v41 :: v_dual_max_f32 v115, v24, v24
	v_dual_max_f32 v113, v25, v25 :: v_dual_max_f32 v114, v40, v40
	;; [unrolled: 1-line block ×3, first 2 shown]
	v_add_co_u32 v44, vcc_lo, v46, v44
	s_delay_alu instid0(VALU_DEP_3) | instskip(SKIP_1) | instid1(VALU_DEP_2)
	v_dual_min_f32 v112, v113, v112 :: v_dual_max_f32 v113, v26, v26
	v_add_co_ci_u32_e32 v45, vcc_lo, v47, v45, vcc_lo
	v_add_f32_e32 v110, v110, v112
	s_delay_alu instid0(VALU_DEP_3) | instskip(SKIP_1) | instid1(VALU_DEP_1)
	v_min_f32_e32 v112, v113, v116
	v_min_f32_e32 v114, v115, v114
	v_dual_max_f32 v118, v43, v43 :: v_dual_add_f32 v109, v109, v114
	s_delay_alu instid0(VALU_DEP_1) | instskip(NEXT) | instid1(VALU_DEP_1)
	v_min_f32_e32 v113, v119, v118
	v_dual_add_f32 v109, v109, v112 :: v_dual_add_f32 v110, v110, v113
	s_delay_alu instid0(VALU_DEP_1) | instskip(NEXT) | instid1(VALU_DEP_1)
	v_add_f32_e32 v109, v109, v110
	v_add_f32_e32 v109, v109, v111
	global_store_b32 v[44:45], v109, off
	s_or_b32 exec_lo, exec_lo, s15
	s_and_b32 s16, s3, s8
	s_delay_alu instid0(SALU_CYCLE_1)
	s_and_saveexec_b32 s15, s16
	s_cbranch_execz .LBB89_80
.LBB89_96:
	v_cmp_ne_u32_e32 vcc_lo, 1, v100
	v_lshlrev_b64 v[44:45], 2, v[54:55]
	s_cbranch_vccnz .LBB89_98
; %bb.97:
	s_delay_alu instid0(VALU_DEP_1) | instskip(NEXT) | instid1(VALU_DEP_2)
	v_add_co_u32 v109, vcc_lo, v64, v44
	v_add_co_ci_u32_e32 v110, vcc_lo, v65, v45, vcc_lo
	flat_load_b32 v109, v[109:110]
	s_waitcnt vmcnt(0) lgkmcnt(0)
	v_mul_f32_e32 v109, s20, v109
	s_branch .LBB89_99
.LBB89_98:
	v_mov_b32_e32 v109, 0
.LBB89_99:
	v_dual_max_f32 v110, v41, v41 :: v_dual_max_f32 v113, v20, v20
	v_dual_max_f32 v111, v21, v21 :: v_dual_max_f32 v112, v40, v40
	;; [unrolled: 1-line block ×3, first 2 shown]
	v_max_f32_e32 v116, v23, v23
	s_delay_alu instid0(VALU_DEP_3) | instskip(NEXT) | instid1(VALU_DEP_4)
	v_min_f32_e32 v110, v111, v110
	v_dual_max_f32 v111, v22, v22 :: v_dual_min_f32 v112, v113, v112
	v_add_co_u32 v44, vcc_lo, v46, v44
	s_delay_alu instid0(VALU_DEP_3) | instskip(NEXT) | instid1(VALU_DEP_3)
	v_add_f32_e32 v107, v107, v110
	v_dual_min_f32 v110, v111, v114 :: v_dual_min_f32 v111, v116, v115
	s_delay_alu instid0(VALU_DEP_4) | instskip(SKIP_1) | instid1(VALU_DEP_2)
	v_add_f32_e32 v108, v108, v112
	v_add_co_ci_u32_e32 v45, vcc_lo, v47, v45, vcc_lo
	v_dual_add_f32 v107, v107, v111 :: v_dual_add_f32 v108, v108, v110
	s_delay_alu instid0(VALU_DEP_1) | instskip(NEXT) | instid1(VALU_DEP_1)
	v_add_f32_e32 v107, v108, v107
	v_add_f32_e32 v107, v107, v109
	global_store_b32 v[44:45], v107, off
	s_or_b32 exec_lo, exec_lo, s15
	s_and_b32 s16, s4, s8
	s_delay_alu instid0(SALU_CYCLE_1)
	s_and_saveexec_b32 s15, s16
	s_cbranch_execz .LBB89_81
.LBB89_100:
	v_cmp_ne_u32_e32 vcc_lo, 1, v100
	v_lshlrev_b64 v[44:45], 2, v[56:57]
	s_cbranch_vccnz .LBB89_102
; %bb.101:
	s_delay_alu instid0(VALU_DEP_1) | instskip(NEXT) | instid1(VALU_DEP_2)
	v_add_co_u32 v107, vcc_lo, v64, v44
	v_add_co_ci_u32_e32 v108, vcc_lo, v65, v45, vcc_lo
	flat_load_b32 v107, v[107:108]
	s_waitcnt vmcnt(0) lgkmcnt(0)
	v_mul_f32_e32 v107, s20, v107
	s_branch .LBB89_103
.LBB89_102:
	v_mov_b32_e32 v107, 0
.LBB89_103:
	v_dual_max_f32 v108, v41, v41 :: v_dual_max_f32 v111, v16, v16
	v_dual_max_f32 v109, v17, v17 :: v_dual_max_f32 v110, v40, v40
	;; [unrolled: 1-line block ×3, first 2 shown]
	v_add_co_u32 v44, vcc_lo, v46, v44
	s_delay_alu instid0(VALU_DEP_3) | instskip(SKIP_2) | instid1(VALU_DEP_3)
	v_dual_min_f32 v108, v109, v108 :: v_dual_max_f32 v109, v18, v18
	v_max_f32_e32 v114, v19, v19
	v_add_co_ci_u32_e32 v45, vcc_lo, v47, v45, vcc_lo
	v_dual_add_f32 v105, v105, v108 :: v_dual_min_f32 v110, v111, v110
	s_delay_alu instid0(VALU_DEP_3) | instskip(NEXT) | instid1(VALU_DEP_1)
	v_dual_min_f32 v108, v109, v112 :: v_dual_min_f32 v109, v114, v113
	v_dual_add_f32 v106, v106, v110 :: v_dual_add_f32 v105, v105, v109
	s_delay_alu instid0(VALU_DEP_1) | instskip(NEXT) | instid1(VALU_DEP_1)
	v_add_f32_e32 v106, v106, v108
	v_add_f32_e32 v105, v106, v105
	s_delay_alu instid0(VALU_DEP_1) | instskip(SKIP_3) | instid1(SALU_CYCLE_1)
	v_add_f32_e32 v105, v105, v107
	global_store_b32 v[44:45], v105, off
	s_or_b32 exec_lo, exec_lo, s15
	s_and_b32 s16, s5, s8
	s_and_saveexec_b32 s15, s16
	s_cbranch_execz .LBB89_82
.LBB89_104:
	v_cmp_ne_u32_e32 vcc_lo, 1, v100
	v_lshlrev_b64 v[44:45], 2, v[58:59]
	s_cbranch_vccnz .LBB89_106
; %bb.105:
	s_delay_alu instid0(VALU_DEP_1) | instskip(NEXT) | instid1(VALU_DEP_2)
	v_add_co_u32 v105, vcc_lo, v64, v44
	v_add_co_ci_u32_e32 v106, vcc_lo, v65, v45, vcc_lo
	flat_load_b32 v105, v[105:106]
	s_waitcnt vmcnt(0) lgkmcnt(0)
	v_mul_f32_e32 v105, s20, v105
	s_branch .LBB89_107
.LBB89_106:
	v_mov_b32_e32 v105, 0
.LBB89_107:
	v_dual_max_f32 v106, v41, v41 :: v_dual_max_f32 v109, v12, v12
	v_dual_max_f32 v107, v13, v13 :: v_dual_max_f32 v108, v40, v40
	v_dual_max_f32 v110, v42, v42 :: v_dual_max_f32 v111, v43, v43
	v_max_f32_e32 v112, v15, v15
	s_delay_alu instid0(VALU_DEP_3) | instskip(NEXT) | instid1(VALU_DEP_4)
	v_min_f32_e32 v106, v107, v106
	v_dual_max_f32 v107, v14, v14 :: v_dual_min_f32 v108, v109, v108
	v_add_co_u32 v44, vcc_lo, v46, v44
	s_delay_alu instid0(VALU_DEP_3) | instskip(NEXT) | instid1(VALU_DEP_3)
	v_add_f32_e32 v104, v104, v106
	v_min_f32_e32 v106, v107, v110
	s_delay_alu instid0(VALU_DEP_4) | instskip(SKIP_2) | instid1(VALU_DEP_2)
	v_add_f32_e32 v103, v103, v108
	v_min_f32_e32 v107, v112, v111
	v_add_co_ci_u32_e32 v45, vcc_lo, v47, v45, vcc_lo
	v_dual_add_f32 v103, v103, v106 :: v_dual_add_f32 v104, v104, v107
	s_delay_alu instid0(VALU_DEP_1) | instskip(NEXT) | instid1(VALU_DEP_1)
	v_add_f32_e32 v103, v103, v104
	v_add_f32_e32 v103, v103, v105
	global_store_b32 v[44:45], v103, off
	s_or_b32 exec_lo, exec_lo, s15
	s_and_b32 s16, s6, s8
	s_delay_alu instid0(SALU_CYCLE_1)
	s_and_saveexec_b32 s15, s16
	s_cbranch_execz .LBB89_83
.LBB89_108:
	v_cmp_ne_u32_e32 vcc_lo, 1, v100
	v_lshlrev_b64 v[44:45], 2, v[60:61]
	s_cbranch_vccnz .LBB89_110
; %bb.109:
	s_delay_alu instid0(VALU_DEP_1) | instskip(NEXT) | instid1(VALU_DEP_2)
	v_add_co_u32 v103, vcc_lo, v64, v44
	v_add_co_ci_u32_e32 v104, vcc_lo, v65, v45, vcc_lo
	flat_load_b32 v103, v[103:104]
	s_waitcnt vmcnt(0) lgkmcnt(0)
	v_mul_f32_e32 v103, s20, v103
	s_branch .LBB89_111
.LBB89_110:
	v_mov_b32_e32 v103, 0
.LBB89_111:
	v_dual_max_f32 v104, v41, v41 :: v_dual_max_f32 v107, v8, v8
	v_dual_max_f32 v105, v9, v9 :: v_dual_max_f32 v106, v40, v40
	;; [unrolled: 1-line block ×3, first 2 shown]
	v_add_co_u32 v44, vcc_lo, v46, v44
	s_delay_alu instid0(VALU_DEP_3) | instskip(SKIP_2) | instid1(VALU_DEP_3)
	v_dual_min_f32 v104, v105, v104 :: v_dual_max_f32 v105, v10, v10
	v_max_f32_e32 v110, v11, v11
	v_add_co_ci_u32_e32 v45, vcc_lo, v47, v45, vcc_lo
	v_dual_add_f32 v101, v101, v104 :: v_dual_min_f32 v106, v107, v106
	s_delay_alu instid0(VALU_DEP_3) | instskip(NEXT) | instid1(VALU_DEP_1)
	v_dual_min_f32 v104, v105, v108 :: v_dual_min_f32 v105, v110, v109
	v_dual_add_f32 v102, v102, v106 :: v_dual_add_f32 v101, v101, v105
	s_delay_alu instid0(VALU_DEP_1) | instskip(NEXT) | instid1(VALU_DEP_1)
	v_add_f32_e32 v102, v102, v104
	v_add_f32_e32 v101, v102, v101
	s_delay_alu instid0(VALU_DEP_1) | instskip(SKIP_3) | instid1(SALU_CYCLE_1)
	v_add_f32_e32 v101, v101, v103
	global_store_b32 v[44:45], v101, off
	s_or_b32 exec_lo, exec_lo, s15
	s_and_b32 s15, s7, s8
	s_and_saveexec_b32 s8, s15
	s_cbranch_execz .LBB89_116
.LBB89_112:
	v_cmp_ne_u32_e32 vcc_lo, 1, v100
	v_lshlrev_b64 v[44:45], 2, v[62:63]
	s_cbranch_vccnz .LBB89_114
; %bb.113:
	s_delay_alu instid0(VALU_DEP_1) | instskip(NEXT) | instid1(VALU_DEP_2)
	v_add_co_u32 v64, vcc_lo, v64, v44
	v_add_co_ci_u32_e32 v65, vcc_lo, v65, v45, vcc_lo
	flat_load_b32 v64, v[64:65]
	s_waitcnt vmcnt(0) lgkmcnt(0)
	v_mul_f32_e32 v64, s20, v64
	s_branch .LBB89_115
.LBB89_114:
	v_mov_b32_e32 v64, 0
.LBB89_115:
	v_dual_max_f32 v41, v41, v41 :: v_dual_max_f32 v40, v40, v40
	v_dual_max_f32 v65, v1, v1 :: v_dual_max_f32 v42, v42, v42
	;; [unrolled: 1-line block ×3, first 2 shown]
	s_delay_alu instid0(VALU_DEP_1) | instskip(NEXT) | instid1(VALU_DEP_1)
	v_dual_max_f32 v43, v43, v43 :: v_dual_min_f32 v40, v101, v40
	v_dual_min_f32 v41, v65, v41 :: v_dual_add_f32 v40, v98, v40
	s_delay_alu instid0(VALU_DEP_1) | instskip(NEXT) | instid1(VALU_DEP_3)
	v_add_f32_e32 v41, v99, v41
	v_min_f32_e32 v43, v102, v43
	s_delay_alu instid0(VALU_DEP_1) | instskip(SKIP_1) | instid1(VALU_DEP_1)
	v_add_f32_e32 v41, v41, v43
	v_max_f32_e32 v65, v2, v2
	v_min_f32_e32 v42, v65, v42
	s_delay_alu instid0(VALU_DEP_1) | instskip(NEXT) | instid1(VALU_DEP_1)
	v_add_f32_e32 v40, v40, v42
	v_add_f32_e32 v40, v40, v41
	s_delay_alu instid0(VALU_DEP_1)
	v_add_f32_e32 v42, v40, v64
	v_add_co_u32 v40, vcc_lo, v46, v44
	v_add_co_ci_u32_e32 v41, vcc_lo, v47, v45, vcc_lo
	global_store_b32 v[40:41], v42, off
.LBB89_116:
	s_or_b32 exec_lo, exec_lo, s8
	v_add_nc_u32_e32 v44, 64, v117
	s_delay_alu instid0(VALU_DEP_1) | instskip(SKIP_2) | instid1(VALU_DEP_3)
	v_mad_i64_i32 v[40:41], null, v44, s12, 0
	v_mad_i64_i32 v[42:43], null, v44, s9, 0
	v_cmp_gt_i32_e64 s8, s17, v44
	v_lshlrev_b64 v[40:41], 2, v[40:41]
	s_delay_alu instid0(VALU_DEP_2) | instskip(NEXT) | instid1(VALU_DEP_3)
	s_and_b32 s16, s0, s8
	v_lshlrev_b64 v[42:43], 2, v[42:43]
	s_delay_alu instid0(VALU_DEP_2) | instskip(NEXT) | instid1(VALU_DEP_3)
	v_add_co_u32 v44, vcc_lo, s10, v40
	v_add_co_ci_u32_e32 v45, vcc_lo, s11, v41, vcc_lo
	s_delay_alu instid0(VALU_DEP_3) | instskip(NEXT) | instid1(VALU_DEP_4)
	v_add_co_u32 v42, vcc_lo, s13, v42
	v_add_co_ci_u32_e32 v43, vcc_lo, s14, v43, vcc_lo
	s_and_saveexec_b32 s15, s16
	s_cbranch_execnz .LBB89_124
; %bb.117:
	s_or_b32 exec_lo, exec_lo, s15
	s_and_b32 s16, s1, s8
	s_delay_alu instid0(SALU_CYCLE_1)
	s_and_saveexec_b32 s15, s16
	s_cbranch_execnz .LBB89_128
.LBB89_118:
	s_or_b32 exec_lo, exec_lo, s15
	s_and_b32 s16, s2, s8
	s_delay_alu instid0(SALU_CYCLE_1)
	s_and_saveexec_b32 s15, s16
	s_cbranch_execnz .LBB89_132
.LBB89_119:
	s_or_b32 exec_lo, exec_lo, s15
	s_and_b32 s16, s3, s8
	s_delay_alu instid0(SALU_CYCLE_1)
	s_and_saveexec_b32 s15, s16
	s_cbranch_execnz .LBB89_136
.LBB89_120:
	s_or_b32 exec_lo, exec_lo, s15
	s_and_b32 s16, s4, s8
	s_delay_alu instid0(SALU_CYCLE_1)
	s_and_saveexec_b32 s15, s16
	s_cbranch_execnz .LBB89_140
.LBB89_121:
	s_or_b32 exec_lo, exec_lo, s15
	s_and_b32 s16, s5, s8
	s_delay_alu instid0(SALU_CYCLE_1)
	s_and_saveexec_b32 s15, s16
	s_cbranch_execnz .LBB89_144
.LBB89_122:
	s_or_b32 exec_lo, exec_lo, s15
	s_and_b32 s16, s6, s8
	s_delay_alu instid0(SALU_CYCLE_1)
	s_and_saveexec_b32 s15, s16
	s_cbranch_execnz .LBB89_148
.LBB89_123:
	s_or_b32 exec_lo, exec_lo, s15
	s_and_b32 s15, s7, s8
	s_delay_alu instid0(SALU_CYCLE_1)
	s_and_saveexec_b32 s8, s15
	s_cbranch_execnz .LBB89_152
	s_branch .LBB89_156
.LBB89_124:
	v_cmp_ne_u32_e32 vcc_lo, 1, v100
	v_lshlrev_b64 v[40:41], 2, v[48:49]
	s_cbranch_vccnz .LBB89_126
; %bb.125:
	s_delay_alu instid0(VALU_DEP_1) | instskip(NEXT) | instid1(VALU_DEP_2)
	v_add_co_u32 v46, vcc_lo, v44, v40
	v_add_co_ci_u32_e32 v47, vcc_lo, v45, v41, vcc_lo
	flat_load_b32 v46, v[46:47]
	s_waitcnt vmcnt(0) lgkmcnt(0)
	v_mul_f32_e32 v46, s20, v46
	s_branch .LBB89_127
.LBB89_126:
	v_mov_b32_e32 v46, 0
.LBB89_127:
	v_dual_max_f32 v47, v37, v37 :: v_dual_max_f32 v98, v32, v32
	v_dual_max_f32 v64, v33, v33 :: v_dual_max_f32 v65, v36, v36
	;; [unrolled: 1-line block ×3, first 2 shown]
	v_add_co_u32 v40, vcc_lo, v42, v40
	s_delay_alu instid0(VALU_DEP_3) | instskip(NEXT) | instid1(VALU_DEP_4)
	v_dual_min_f32 v47, v64, v47 :: v_dual_max_f32 v64, v34, v34
	v_min_f32_e32 v65, v98, v65
	v_add_co_ci_u32_e32 v41, vcc_lo, v43, v41, vcc_lo
	s_delay_alu instid0(VALU_DEP_2) | instskip(NEXT) | instid1(VALU_DEP_1)
	v_dual_min_f32 v64, v64, v99 :: v_dual_add_f32 v65, v97, v65
	v_dual_max_f32 v101, v39, v39 :: v_dual_add_f32 v64, v65, v64
	s_delay_alu instid0(VALU_DEP_1) | instskip(NEXT) | instid1(VALU_DEP_1)
	v_dual_add_f32 v47, v96, v47 :: v_dual_min_f32 v96, v102, v101
	v_add_f32_e32 v47, v47, v96
	s_delay_alu instid0(VALU_DEP_1) | instskip(NEXT) | instid1(VALU_DEP_1)
	v_add_f32_e32 v47, v64, v47
	v_add_f32_e32 v46, v47, v46
	global_store_b32 v[40:41], v46, off
	s_or_b32 exec_lo, exec_lo, s15
	s_and_b32 s16, s1, s8
	s_delay_alu instid0(SALU_CYCLE_1)
	s_and_saveexec_b32 s15, s16
	s_cbranch_execz .LBB89_118
.LBB89_128:
	v_cmp_ne_u32_e32 vcc_lo, 1, v100
	v_lshlrev_b64 v[40:41], 2, v[50:51]
	s_cbranch_vccnz .LBB89_130
; %bb.129:
	s_delay_alu instid0(VALU_DEP_1) | instskip(NEXT) | instid1(VALU_DEP_2)
	v_add_co_u32 v46, vcc_lo, v44, v40
	v_add_co_ci_u32_e32 v47, vcc_lo, v45, v41, vcc_lo
	flat_load_b32 v46, v[46:47]
	s_waitcnt vmcnt(0) lgkmcnt(0)
	v_mul_f32_e32 v46, s20, v46
	s_branch .LBB89_131
.LBB89_130:
	v_mov_b32_e32 v46, 0
.LBB89_131:
	v_dual_max_f32 v47, v37, v37 :: v_dual_max_f32 v96, v28, v28
	v_dual_max_f32 v64, v29, v29 :: v_dual_max_f32 v65, v36, v36
	v_dual_max_f32 v97, v38, v38 :: v_dual_max_f32 v98, v39, v39
	v_add_co_u32 v40, vcc_lo, v42, v40
	s_delay_alu instid0(VALU_DEP_3) | instskip(SKIP_2) | instid1(VALU_DEP_3)
	v_dual_min_f32 v47, v64, v47 :: v_dual_max_f32 v64, v30, v30
	v_max_f32_e32 v99, v31, v31
	v_add_co_ci_u32_e32 v41, vcc_lo, v43, v41, vcc_lo
	v_min_f32_e32 v64, v64, v97
	v_min_f32_e32 v65, v96, v65
	s_delay_alu instid0(VALU_DEP_4) | instskip(NEXT) | instid1(VALU_DEP_2)
	v_dual_add_f32 v47, v94, v47 :: v_dual_min_f32 v94, v99, v98
	v_add_f32_e32 v65, v95, v65
	s_delay_alu instid0(VALU_DEP_1) | instskip(NEXT) | instid1(VALU_DEP_1)
	v_dual_add_f32 v64, v65, v64 :: v_dual_add_f32 v47, v47, v94
	v_add_f32_e32 v47, v64, v47
	s_delay_alu instid0(VALU_DEP_1) | instskip(SKIP_3) | instid1(SALU_CYCLE_1)
	v_add_f32_e32 v46, v47, v46
	global_store_b32 v[40:41], v46, off
	s_or_b32 exec_lo, exec_lo, s15
	s_and_b32 s16, s2, s8
	s_and_saveexec_b32 s15, s16
	s_cbranch_execz .LBB89_119
.LBB89_132:
	v_cmp_ne_u32_e32 vcc_lo, 1, v100
	v_lshlrev_b64 v[40:41], 2, v[52:53]
	s_cbranch_vccnz .LBB89_134
; %bb.133:
	s_delay_alu instid0(VALU_DEP_1) | instskip(NEXT) | instid1(VALU_DEP_2)
	v_add_co_u32 v46, vcc_lo, v44, v40
	v_add_co_ci_u32_e32 v47, vcc_lo, v45, v41, vcc_lo
	flat_load_b32 v46, v[46:47]
	s_waitcnt vmcnt(0) lgkmcnt(0)
	v_mul_f32_e32 v46, s20, v46
	s_branch .LBB89_135
.LBB89_134:
	v_mov_b32_e32 v46, 0
.LBB89_135:
	v_dual_max_f32 v47, v37, v37 :: v_dual_max_f32 v94, v24, v24
	v_dual_max_f32 v64, v25, v25 :: v_dual_max_f32 v65, v36, v36
	v_dual_max_f32 v95, v38, v38 :: v_dual_max_f32 v96, v39, v39
	v_add_co_u32 v40, vcc_lo, v42, v40
	s_delay_alu instid0(VALU_DEP_3) | instskip(NEXT) | instid1(VALU_DEP_4)
	v_dual_min_f32 v47, v64, v47 :: v_dual_max_f32 v64, v26, v26
	v_min_f32_e32 v65, v94, v65
	v_add_co_ci_u32_e32 v41, vcc_lo, v43, v41, vcc_lo
	s_delay_alu instid0(VALU_DEP_2) | instskip(NEXT) | instid1(VALU_DEP_1)
	v_dual_min_f32 v64, v64, v95 :: v_dual_add_f32 v65, v93, v65
	v_dual_max_f32 v97, v27, v27 :: v_dual_add_f32 v64, v65, v64
	s_delay_alu instid0(VALU_DEP_1) | instskip(NEXT) | instid1(VALU_DEP_1)
	v_dual_add_f32 v47, v92, v47 :: v_dual_min_f32 v92, v97, v96
	v_add_f32_e32 v47, v47, v92
	s_delay_alu instid0(VALU_DEP_1) | instskip(NEXT) | instid1(VALU_DEP_1)
	v_add_f32_e32 v47, v64, v47
	v_add_f32_e32 v46, v47, v46
	global_store_b32 v[40:41], v46, off
	s_or_b32 exec_lo, exec_lo, s15
	s_and_b32 s16, s3, s8
	s_delay_alu instid0(SALU_CYCLE_1)
	s_and_saveexec_b32 s15, s16
	s_cbranch_execz .LBB89_120
.LBB89_136:
	v_cmp_ne_u32_e32 vcc_lo, 1, v100
	v_lshlrev_b64 v[40:41], 2, v[54:55]
	s_cbranch_vccnz .LBB89_138
; %bb.137:
	s_delay_alu instid0(VALU_DEP_1) | instskip(NEXT) | instid1(VALU_DEP_2)
	v_add_co_u32 v46, vcc_lo, v44, v40
	v_add_co_ci_u32_e32 v47, vcc_lo, v45, v41, vcc_lo
	flat_load_b32 v46, v[46:47]
	s_waitcnt vmcnt(0) lgkmcnt(0)
	v_mul_f32_e32 v46, s20, v46
	s_branch .LBB89_139
.LBB89_138:
	v_mov_b32_e32 v46, 0
.LBB89_139:
	v_dual_max_f32 v47, v37, v37 :: v_dual_max_f32 v92, v20, v20
	v_dual_max_f32 v64, v21, v21 :: v_dual_max_f32 v65, v36, v36
	;; [unrolled: 1-line block ×3, first 2 shown]
	v_add_co_u32 v40, vcc_lo, v42, v40
	s_delay_alu instid0(VALU_DEP_3) | instskip(SKIP_2) | instid1(VALU_DEP_3)
	v_dual_min_f32 v47, v64, v47 :: v_dual_max_f32 v64, v22, v22
	v_max_f32_e32 v95, v23, v23
	v_add_co_ci_u32_e32 v41, vcc_lo, v43, v41, vcc_lo
	v_min_f32_e32 v64, v64, v93
	v_min_f32_e32 v65, v92, v65
	s_delay_alu instid0(VALU_DEP_4) | instskip(NEXT) | instid1(VALU_DEP_2)
	v_dual_add_f32 v47, v90, v47 :: v_dual_min_f32 v90, v95, v94
	v_add_f32_e32 v65, v91, v65
	s_delay_alu instid0(VALU_DEP_1) | instskip(NEXT) | instid1(VALU_DEP_1)
	v_dual_add_f32 v64, v65, v64 :: v_dual_add_f32 v47, v47, v90
	v_add_f32_e32 v47, v64, v47
	s_delay_alu instid0(VALU_DEP_1) | instskip(SKIP_3) | instid1(SALU_CYCLE_1)
	v_add_f32_e32 v46, v47, v46
	global_store_b32 v[40:41], v46, off
	s_or_b32 exec_lo, exec_lo, s15
	s_and_b32 s16, s4, s8
	s_and_saveexec_b32 s15, s16
	s_cbranch_execz .LBB89_121
.LBB89_140:
	v_cmp_ne_u32_e32 vcc_lo, 1, v100
	v_lshlrev_b64 v[40:41], 2, v[56:57]
	s_cbranch_vccnz .LBB89_142
; %bb.141:
	s_delay_alu instid0(VALU_DEP_1) | instskip(NEXT) | instid1(VALU_DEP_2)
	v_add_co_u32 v46, vcc_lo, v44, v40
	v_add_co_ci_u32_e32 v47, vcc_lo, v45, v41, vcc_lo
	flat_load_b32 v46, v[46:47]
	s_waitcnt vmcnt(0) lgkmcnt(0)
	v_mul_f32_e32 v46, s20, v46
	s_branch .LBB89_143
.LBB89_142:
	v_mov_b32_e32 v46, 0
.LBB89_143:
	v_dual_max_f32 v47, v37, v37 :: v_dual_max_f32 v90, v16, v16
	v_dual_max_f32 v64, v17, v17 :: v_dual_max_f32 v65, v36, v36
	;; [unrolled: 1-line block ×3, first 2 shown]
	v_add_co_u32 v40, vcc_lo, v42, v40
	s_delay_alu instid0(VALU_DEP_3) | instskip(NEXT) | instid1(VALU_DEP_4)
	v_dual_min_f32 v47, v64, v47 :: v_dual_max_f32 v64, v18, v18
	v_min_f32_e32 v65, v90, v65
	v_add_co_ci_u32_e32 v41, vcc_lo, v43, v41, vcc_lo
	s_delay_alu instid0(VALU_DEP_3) | instskip(NEXT) | instid1(VALU_DEP_4)
	v_add_f32_e32 v47, v89, v47
	v_min_f32_e32 v64, v64, v91
	s_delay_alu instid0(VALU_DEP_4) | instskip(NEXT) | instid1(VALU_DEP_1)
	v_add_f32_e32 v65, v88, v65
	v_dual_max_f32 v93, v19, v19 :: v_dual_add_f32 v64, v65, v64
	s_delay_alu instid0(VALU_DEP_1) | instskip(NEXT) | instid1(VALU_DEP_1)
	v_min_f32_e32 v89, v93, v92
	v_add_f32_e32 v47, v47, v89
	s_delay_alu instid0(VALU_DEP_1) | instskip(NEXT) | instid1(VALU_DEP_1)
	v_add_f32_e32 v47, v64, v47
	v_add_f32_e32 v46, v47, v46
	global_store_b32 v[40:41], v46, off
	s_or_b32 exec_lo, exec_lo, s15
	s_and_b32 s16, s5, s8
	s_delay_alu instid0(SALU_CYCLE_1)
	s_and_saveexec_b32 s15, s16
	s_cbranch_execz .LBB89_122
.LBB89_144:
	v_cmp_ne_u32_e32 vcc_lo, 1, v100
	v_lshlrev_b64 v[40:41], 2, v[58:59]
	s_cbranch_vccnz .LBB89_146
; %bb.145:
	s_delay_alu instid0(VALU_DEP_1) | instskip(NEXT) | instid1(VALU_DEP_2)
	v_add_co_u32 v46, vcc_lo, v44, v40
	v_add_co_ci_u32_e32 v47, vcc_lo, v45, v41, vcc_lo
	flat_load_b32 v46, v[46:47]
	s_waitcnt vmcnt(0) lgkmcnt(0)
	v_mul_f32_e32 v46, s20, v46
	s_branch .LBB89_147
.LBB89_146:
	v_mov_b32_e32 v46, 0
.LBB89_147:
	v_dual_max_f32 v47, v37, v37 :: v_dual_max_f32 v88, v12, v12
	v_dual_max_f32 v64, v13, v13 :: v_dual_max_f32 v65, v36, v36
	;; [unrolled: 1-line block ×3, first 2 shown]
	v_add_co_u32 v40, vcc_lo, v42, v40
	s_delay_alu instid0(VALU_DEP_3) | instskip(SKIP_2) | instid1(VALU_DEP_3)
	v_dual_min_f32 v47, v64, v47 :: v_dual_max_f32 v64, v14, v14
	v_max_f32_e32 v91, v15, v15
	v_add_co_ci_u32_e32 v41, vcc_lo, v43, v41, vcc_lo
	v_min_f32_e32 v64, v64, v89
	v_min_f32_e32 v65, v88, v65
	s_delay_alu instid0(VALU_DEP_4) | instskip(NEXT) | instid1(VALU_DEP_2)
	v_dual_add_f32 v47, v86, v47 :: v_dual_min_f32 v86, v91, v90
	v_add_f32_e32 v65, v87, v65
	s_delay_alu instid0(VALU_DEP_1) | instskip(NEXT) | instid1(VALU_DEP_1)
	v_dual_add_f32 v64, v65, v64 :: v_dual_add_f32 v47, v47, v86
	v_add_f32_e32 v47, v64, v47
	s_delay_alu instid0(VALU_DEP_1) | instskip(SKIP_3) | instid1(SALU_CYCLE_1)
	v_add_f32_e32 v46, v47, v46
	global_store_b32 v[40:41], v46, off
	s_or_b32 exec_lo, exec_lo, s15
	s_and_b32 s16, s6, s8
	s_and_saveexec_b32 s15, s16
	s_cbranch_execz .LBB89_123
.LBB89_148:
	v_cmp_ne_u32_e32 vcc_lo, 1, v100
	v_lshlrev_b64 v[40:41], 2, v[60:61]
	s_cbranch_vccnz .LBB89_150
; %bb.149:
	s_delay_alu instid0(VALU_DEP_1) | instskip(NEXT) | instid1(VALU_DEP_2)
	v_add_co_u32 v46, vcc_lo, v44, v40
	v_add_co_ci_u32_e32 v47, vcc_lo, v45, v41, vcc_lo
	flat_load_b32 v46, v[46:47]
	s_waitcnt vmcnt(0) lgkmcnt(0)
	v_mul_f32_e32 v46, s20, v46
	s_branch .LBB89_151
.LBB89_150:
	v_mov_b32_e32 v46, 0
.LBB89_151:
	v_dual_max_f32 v47, v37, v37 :: v_dual_max_f32 v86, v8, v8
	v_dual_max_f32 v64, v9, v9 :: v_dual_max_f32 v65, v36, v36
	;; [unrolled: 1-line block ×3, first 2 shown]
	v_add_co_u32 v40, vcc_lo, v42, v40
	s_delay_alu instid0(VALU_DEP_3) | instskip(NEXT) | instid1(VALU_DEP_4)
	v_dual_min_f32 v47, v64, v47 :: v_dual_max_f32 v64, v10, v10
	v_min_f32_e32 v65, v86, v65
	v_add_co_ci_u32_e32 v41, vcc_lo, v43, v41, vcc_lo
	s_delay_alu instid0(VALU_DEP_2) | instskip(NEXT) | instid1(VALU_DEP_1)
	v_dual_min_f32 v64, v64, v87 :: v_dual_add_f32 v65, v85, v65
	v_dual_max_f32 v89, v11, v11 :: v_dual_add_f32 v64, v65, v64
	s_delay_alu instid0(VALU_DEP_1) | instskip(NEXT) | instid1(VALU_DEP_1)
	v_dual_add_f32 v47, v84, v47 :: v_dual_min_f32 v84, v89, v88
	v_add_f32_e32 v47, v47, v84
	s_delay_alu instid0(VALU_DEP_1) | instskip(NEXT) | instid1(VALU_DEP_1)
	v_add_f32_e32 v47, v64, v47
	v_add_f32_e32 v46, v47, v46
	global_store_b32 v[40:41], v46, off
	s_or_b32 exec_lo, exec_lo, s15
	s_and_b32 s15, s7, s8
	s_delay_alu instid0(SALU_CYCLE_1)
	s_and_saveexec_b32 s8, s15
	s_cbranch_execz .LBB89_156
.LBB89_152:
	v_cmp_ne_u32_e32 vcc_lo, 1, v100
	v_lshlrev_b64 v[40:41], 2, v[62:63]
	s_cbranch_vccnz .LBB89_154
; %bb.153:
	s_delay_alu instid0(VALU_DEP_1) | instskip(NEXT) | instid1(VALU_DEP_2)
	v_add_co_u32 v44, vcc_lo, v44, v40
	v_add_co_ci_u32_e32 v45, vcc_lo, v45, v41, vcc_lo
	flat_load_b32 v44, v[44:45]
	s_waitcnt vmcnt(0) lgkmcnt(0)
	v_mul_f32_e32 v44, s20, v44
	s_branch .LBB89_155
.LBB89_154:
	v_mov_b32_e32 v44, 0
.LBB89_155:
	v_dual_max_f32 v37, v37, v37 :: v_dual_max_f32 v36, v36, v36
	v_dual_max_f32 v45, v1, v1 :: v_dual_max_f32 v46, v0, v0
	;; [unrolled: 1-line block ×3, first 2 shown]
	s_delay_alu instid0(VALU_DEP_2) | instskip(SKIP_1) | instid1(VALU_DEP_2)
	v_dual_min_f32 v37, v45, v37 :: v_dual_min_f32 v36, v46, v36
	v_max_f32_e32 v47, v3, v3
	v_dual_add_f32 v37, v83, v37 :: v_dual_add_f32 v36, v82, v36
	s_delay_alu instid0(VALU_DEP_2) | instskip(NEXT) | instid1(VALU_DEP_1)
	v_min_f32_e32 v39, v47, v39
	v_add_f32_e32 v37, v37, v39
	v_max_f32_e32 v45, v2, v2
	s_delay_alu instid0(VALU_DEP_1) | instskip(NEXT) | instid1(VALU_DEP_1)
	v_min_f32_e32 v38, v45, v38
	v_add_f32_e32 v36, v36, v38
	s_delay_alu instid0(VALU_DEP_1) | instskip(NEXT) | instid1(VALU_DEP_1)
	v_add_f32_e32 v36, v36, v37
	v_add_f32_e32 v38, v36, v44
	v_add_co_u32 v36, vcc_lo, v42, v40
	v_add_co_ci_u32_e32 v37, vcc_lo, v43, v41, vcc_lo
	global_store_b32 v[36:37], v38, off
.LBB89_156:
	s_or_b32 exec_lo, exec_lo, s8
	v_add_nc_u32_e32 v40, 0x60, v117
	s_delay_alu instid0(VALU_DEP_1) | instskip(SKIP_2) | instid1(VALU_DEP_3)
	v_mad_i64_i32 v[36:37], null, v40, s12, 0
	v_mad_i64_i32 v[38:39], null, v40, s9, 0
	v_cmp_gt_i32_e64 s8, s17, v40
	v_lshlrev_b64 v[36:37], 2, v[36:37]
	s_delay_alu instid0(VALU_DEP_2) | instskip(NEXT) | instid1(VALU_DEP_3)
	s_and_b32 s9, s0, s8
	v_lshlrev_b64 v[38:39], 2, v[38:39]
	s_delay_alu instid0(VALU_DEP_2) | instskip(NEXT) | instid1(VALU_DEP_3)
	v_add_co_u32 v40, vcc_lo, s10, v36
	v_add_co_ci_u32_e32 v41, vcc_lo, s11, v37, vcc_lo
	s_delay_alu instid0(VALU_DEP_3) | instskip(NEXT) | instid1(VALU_DEP_4)
	v_add_co_u32 v38, vcc_lo, s13, v38
	v_add_co_ci_u32_e32 v39, vcc_lo, s14, v39, vcc_lo
	s_and_saveexec_b32 s0, s9
	s_cbranch_execnz .LBB89_165
; %bb.157:
	s_or_b32 exec_lo, exec_lo, s0
	s_and_b32 s1, s1, s8
	s_delay_alu instid0(SALU_CYCLE_1)
	s_and_saveexec_b32 s0, s1
	s_cbranch_execnz .LBB89_169
.LBB89_158:
	s_or_b32 exec_lo, exec_lo, s0
	s_and_b32 s1, s2, s8
	s_delay_alu instid0(SALU_CYCLE_1)
	s_and_saveexec_b32 s0, s1
	s_cbranch_execnz .LBB89_173
.LBB89_159:
	s_or_b32 exec_lo, exec_lo, s0
	s_and_b32 s1, s3, s8
	s_delay_alu instid0(SALU_CYCLE_1)
	s_and_saveexec_b32 s0, s1
	s_cbranch_execnz .LBB89_177
.LBB89_160:
	s_or_b32 exec_lo, exec_lo, s0
	s_and_b32 s1, s4, s8
	s_delay_alu instid0(SALU_CYCLE_1)
	s_and_saveexec_b32 s0, s1
	s_cbranch_execnz .LBB89_181
.LBB89_161:
	s_or_b32 exec_lo, exec_lo, s0
	s_and_b32 s1, s5, s8
	s_delay_alu instid0(SALU_CYCLE_1)
	s_and_saveexec_b32 s0, s1
	s_cbranch_execnz .LBB89_185
.LBB89_162:
	s_or_b32 exec_lo, exec_lo, s0
	s_and_b32 s1, s6, s8
	s_delay_alu instid0(SALU_CYCLE_1)
	s_and_saveexec_b32 s0, s1
	s_cbranch_execnz .LBB89_189
.LBB89_163:
	s_or_b32 exec_lo, exec_lo, s0
	s_and_b32 s0, s7, s8
	s_delay_alu instid0(SALU_CYCLE_1)
	s_and_saveexec_b32 s1, s0
	s_cbranch_execnz .LBB89_193
.LBB89_164:
	s_nop 0
	s_sendmsg sendmsg(MSG_DEALLOC_VGPRS)
	s_endpgm
.LBB89_165:
	v_cmp_ne_u32_e32 vcc_lo, 1, v100
	v_lshlrev_b64 v[36:37], 2, v[48:49]
	s_cbranch_vccnz .LBB89_167
; %bb.166:
	s_delay_alu instid0(VALU_DEP_1) | instskip(NEXT) | instid1(VALU_DEP_2)
	v_add_co_u32 v42, vcc_lo, v40, v36
	v_add_co_ci_u32_e32 v43, vcc_lo, v41, v37, vcc_lo
	flat_load_b32 v42, v[42:43]
	s_waitcnt vmcnt(0) lgkmcnt(0)
	v_mul_f32_e32 v42, s20, v42
	s_branch .LBB89_168
.LBB89_167:
	v_mov_b32_e32 v42, 0
.LBB89_168:
	v_dual_max_f32 v43, v5, v5 :: v_dual_max_f32 v44, v4, v4
	v_dual_max_f32 v33, v33, v33 :: v_dual_max_f32 v32, v32, v32
	v_max_f32_e32 v45, v6, v6
	s_delay_alu instid0(VALU_DEP_2) | instskip(NEXT) | instid1(VALU_DEP_3)
	v_dual_max_f32 v34, v34, v34 :: v_dual_min_f32 v33, v33, v43
	v_dual_min_f32 v32, v32, v44 :: v_dual_max_f32 v43, v7, v7
	s_delay_alu instid0(VALU_DEP_2) | instskip(NEXT) | instid1(VALU_DEP_2)
	v_dual_min_f32 v34, v34, v45 :: v_dual_max_f32 v35, v35, v35
	v_dual_add_f32 v33, v80, v33 :: v_dual_add_f32 v32, v81, v32
	s_delay_alu instid0(VALU_DEP_1) | instskip(NEXT) | instid1(VALU_DEP_1)
	v_dual_min_f32 v35, v35, v43 :: v_dual_add_f32 v32, v32, v34
	v_add_f32_e32 v33, v33, v35
	s_delay_alu instid0(VALU_DEP_1) | instskip(NEXT) | instid1(VALU_DEP_1)
	v_add_f32_e32 v32, v32, v33
	v_add_f32_e32 v34, v32, v42
	v_add_co_u32 v32, vcc_lo, v38, v36
	v_add_co_ci_u32_e32 v33, vcc_lo, v39, v37, vcc_lo
	global_store_b32 v[32:33], v34, off
	s_or_b32 exec_lo, exec_lo, s0
	s_and_b32 s1, s1, s8
	s_delay_alu instid0(SALU_CYCLE_1)
	s_and_saveexec_b32 s0, s1
	s_cbranch_execz .LBB89_158
.LBB89_169:
	v_cmp_ne_u32_e32 vcc_lo, 1, v100
	v_lshlrev_b64 v[32:33], 2, v[50:51]
	s_cbranch_vccnz .LBB89_171
; %bb.170:
	s_delay_alu instid0(VALU_DEP_1) | instskip(NEXT) | instid1(VALU_DEP_2)
	v_add_co_u32 v34, vcc_lo, v40, v32
	v_add_co_ci_u32_e32 v35, vcc_lo, v41, v33, vcc_lo
	flat_load_b32 v34, v[34:35]
	s_waitcnt vmcnt(0) lgkmcnt(0)
	v_mul_f32_e32 v34, s20, v34
	s_branch .LBB89_172
.LBB89_171:
	v_mov_b32_e32 v34, 0
.LBB89_172:
	v_dual_max_f32 v35, v5, v5 :: v_dual_max_f32 v36, v4, v4
	v_dual_max_f32 v29, v29, v29 :: v_dual_max_f32 v28, v28, v28
	v_max_f32_e32 v37, v6, v6
	s_delay_alu instid0(VALU_DEP_2) | instskip(NEXT) | instid1(VALU_DEP_3)
	v_dual_max_f32 v30, v30, v30 :: v_dual_min_f32 v29, v29, v35
	v_dual_min_f32 v28, v28, v36 :: v_dual_max_f32 v35, v7, v7
	s_delay_alu instid0(VALU_DEP_2) | instskip(NEXT) | instid1(VALU_DEP_2)
	v_dual_min_f32 v30, v30, v37 :: v_dual_max_f32 v31, v31, v31
	v_dual_add_f32 v28, v78, v28 :: v_dual_add_f32 v29, v79, v29
	s_delay_alu instid0(VALU_DEP_1) | instskip(NEXT) | instid1(VALU_DEP_1)
	v_dual_add_f32 v28, v28, v30 :: v_dual_min_f32 v31, v31, v35
	v_add_f32_e32 v29, v29, v31
	s_delay_alu instid0(VALU_DEP_1) | instskip(NEXT) | instid1(VALU_DEP_1)
	v_add_f32_e32 v28, v28, v29
	v_add_f32_e32 v30, v28, v34
	v_add_co_u32 v28, vcc_lo, v38, v32
	v_add_co_ci_u32_e32 v29, vcc_lo, v39, v33, vcc_lo
	global_store_b32 v[28:29], v30, off
	s_or_b32 exec_lo, exec_lo, s0
	s_and_b32 s1, s2, s8
	s_delay_alu instid0(SALU_CYCLE_1)
	s_and_saveexec_b32 s0, s1
	s_cbranch_execz .LBB89_159
.LBB89_173:
	v_cmp_ne_u32_e32 vcc_lo, 1, v100
	v_lshlrev_b64 v[28:29], 2, v[52:53]
	s_cbranch_vccnz .LBB89_175
; %bb.174:
	s_delay_alu instid0(VALU_DEP_1) | instskip(NEXT) | instid1(VALU_DEP_2)
	v_add_co_u32 v30, vcc_lo, v40, v28
	v_add_co_ci_u32_e32 v31, vcc_lo, v41, v29, vcc_lo
	flat_load_b32 v30, v[30:31]
	s_waitcnt vmcnt(0) lgkmcnt(0)
	v_mul_f32_e32 v30, s20, v30
	s_branch .LBB89_176
.LBB89_175:
	v_mov_b32_e32 v30, 0
.LBB89_176:
	v_dual_max_f32 v31, v5, v5 :: v_dual_max_f32 v32, v4, v4
	v_dual_max_f32 v25, v25, v25 :: v_dual_max_f32 v24, v24, v24
	v_max_f32_e32 v33, v6, v6
	s_delay_alu instid0(VALU_DEP_2) | instskip(NEXT) | instid1(VALU_DEP_3)
	v_dual_max_f32 v26, v26, v26 :: v_dual_min_f32 v25, v25, v31
	v_dual_min_f32 v24, v24, v32 :: v_dual_max_f32 v31, v7, v7
	s_delay_alu instid0(VALU_DEP_2) | instskip(NEXT) | instid1(VALU_DEP_2)
	v_dual_min_f32 v26, v26, v33 :: v_dual_max_f32 v27, v27, v27
	v_dual_add_f32 v25, v76, v25 :: v_dual_add_f32 v24, v77, v24
	s_delay_alu instid0(VALU_DEP_1) | instskip(NEXT) | instid1(VALU_DEP_1)
	v_dual_min_f32 v27, v27, v31 :: v_dual_add_f32 v24, v24, v26
	v_add_f32_e32 v25, v25, v27
	s_delay_alu instid0(VALU_DEP_1) | instskip(NEXT) | instid1(VALU_DEP_1)
	v_add_f32_e32 v24, v24, v25
	v_add_f32_e32 v26, v24, v30
	v_add_co_u32 v24, vcc_lo, v38, v28
	v_add_co_ci_u32_e32 v25, vcc_lo, v39, v29, vcc_lo
	global_store_b32 v[24:25], v26, off
	s_or_b32 exec_lo, exec_lo, s0
	s_and_b32 s1, s3, s8
	s_delay_alu instid0(SALU_CYCLE_1)
	s_and_saveexec_b32 s0, s1
	s_cbranch_execz .LBB89_160
.LBB89_177:
	v_cmp_ne_u32_e32 vcc_lo, 1, v100
	v_lshlrev_b64 v[24:25], 2, v[54:55]
	s_cbranch_vccnz .LBB89_179
; %bb.178:
	s_delay_alu instid0(VALU_DEP_1) | instskip(NEXT) | instid1(VALU_DEP_2)
	v_add_co_u32 v26, vcc_lo, v40, v24
	v_add_co_ci_u32_e32 v27, vcc_lo, v41, v25, vcc_lo
	flat_load_b32 v26, v[26:27]
	s_waitcnt vmcnt(0) lgkmcnt(0)
	v_mul_f32_e32 v26, s20, v26
	s_branch .LBB89_180
.LBB89_179:
	v_mov_b32_e32 v26, 0
.LBB89_180:
	v_dual_max_f32 v27, v5, v5 :: v_dual_max_f32 v28, v4, v4
	v_dual_max_f32 v21, v21, v21 :: v_dual_max_f32 v20, v20, v20
	v_max_f32_e32 v29, v6, v6
	s_delay_alu instid0(VALU_DEP_2) | instskip(NEXT) | instid1(VALU_DEP_3)
	v_dual_max_f32 v22, v22, v22 :: v_dual_min_f32 v21, v21, v27
	v_dual_min_f32 v20, v20, v28 :: v_dual_max_f32 v27, v7, v7
	s_delay_alu instid0(VALU_DEP_2) | instskip(NEXT) | instid1(VALU_DEP_2)
	v_min_f32_e32 v22, v22, v29
	v_dual_add_f32 v21, v74, v21 :: v_dual_add_f32 v20, v75, v20
	s_delay_alu instid0(VALU_DEP_1) | instskip(NEXT) | instid1(VALU_DEP_1)
	v_dual_max_f32 v23, v23, v23 :: v_dual_add_f32 v20, v20, v22
	v_min_f32_e32 v23, v23, v27
	s_delay_alu instid0(VALU_DEP_1) | instskip(NEXT) | instid1(VALU_DEP_1)
	v_add_f32_e32 v21, v21, v23
	v_add_f32_e32 v20, v20, v21
	s_delay_alu instid0(VALU_DEP_1)
	v_add_f32_e32 v22, v20, v26
	v_add_co_u32 v20, vcc_lo, v38, v24
	v_add_co_ci_u32_e32 v21, vcc_lo, v39, v25, vcc_lo
	global_store_b32 v[20:21], v22, off
	s_or_b32 exec_lo, exec_lo, s0
	s_and_b32 s1, s4, s8
	s_delay_alu instid0(SALU_CYCLE_1)
	s_and_saveexec_b32 s0, s1
	s_cbranch_execz .LBB89_161
.LBB89_181:
	v_cmp_ne_u32_e32 vcc_lo, 1, v100
	v_lshlrev_b64 v[20:21], 2, v[56:57]
	s_cbranch_vccnz .LBB89_183
; %bb.182:
	s_delay_alu instid0(VALU_DEP_1) | instskip(NEXT) | instid1(VALU_DEP_2)
	v_add_co_u32 v22, vcc_lo, v40, v20
	v_add_co_ci_u32_e32 v23, vcc_lo, v41, v21, vcc_lo
	flat_load_b32 v22, v[22:23]
	s_waitcnt vmcnt(0) lgkmcnt(0)
	v_mul_f32_e32 v22, s20, v22
	s_branch .LBB89_184
.LBB89_183:
	v_mov_b32_e32 v22, 0
.LBB89_184:
	v_dual_max_f32 v23, v5, v5 :: v_dual_max_f32 v24, v4, v4
	v_dual_max_f32 v17, v17, v17 :: v_dual_max_f32 v16, v16, v16
	v_max_f32_e32 v25, v6, v6
	s_delay_alu instid0(VALU_DEP_2) | instskip(NEXT) | instid1(VALU_DEP_3)
	v_dual_max_f32 v18, v18, v18 :: v_dual_min_f32 v17, v17, v23
	v_dual_min_f32 v16, v16, v24 :: v_dual_max_f32 v23, v7, v7
	s_delay_alu instid0(VALU_DEP_2) | instskip(NEXT) | instid1(VALU_DEP_2)
	v_dual_min_f32 v18, v18, v25 :: v_dual_max_f32 v19, v19, v19
	v_dual_add_f32 v16, v72, v16 :: v_dual_add_f32 v17, v73, v17
	s_delay_alu instid0(VALU_DEP_1) | instskip(NEXT) | instid1(VALU_DEP_1)
	v_dual_add_f32 v16, v16, v18 :: v_dual_min_f32 v19, v19, v23
	v_add_f32_e32 v17, v17, v19
	s_delay_alu instid0(VALU_DEP_1) | instskip(NEXT) | instid1(VALU_DEP_1)
	v_add_f32_e32 v16, v16, v17
	v_add_f32_e32 v18, v16, v22
	v_add_co_u32 v16, vcc_lo, v38, v20
	v_add_co_ci_u32_e32 v17, vcc_lo, v39, v21, vcc_lo
	global_store_b32 v[16:17], v18, off
	s_or_b32 exec_lo, exec_lo, s0
	s_and_b32 s1, s5, s8
	s_delay_alu instid0(SALU_CYCLE_1)
	s_and_saveexec_b32 s0, s1
	s_cbranch_execz .LBB89_162
.LBB89_185:
	v_cmp_ne_u32_e32 vcc_lo, 1, v100
	v_lshlrev_b64 v[16:17], 2, v[58:59]
	s_cbranch_vccnz .LBB89_187
; %bb.186:
	s_delay_alu instid0(VALU_DEP_1) | instskip(NEXT) | instid1(VALU_DEP_2)
	v_add_co_u32 v18, vcc_lo, v40, v16
	v_add_co_ci_u32_e32 v19, vcc_lo, v41, v17, vcc_lo
	flat_load_b32 v18, v[18:19]
	s_waitcnt vmcnt(0) lgkmcnt(0)
	v_mul_f32_e32 v18, s20, v18
	s_branch .LBB89_188
.LBB89_187:
	v_mov_b32_e32 v18, 0
.LBB89_188:
	v_dual_max_f32 v19, v5, v5 :: v_dual_max_f32 v20, v4, v4
	v_dual_max_f32 v13, v13, v13 :: v_dual_max_f32 v12, v12, v12
	v_max_f32_e32 v21, v6, v6
	s_delay_alu instid0(VALU_DEP_2) | instskip(NEXT) | instid1(VALU_DEP_3)
	v_dual_max_f32 v14, v14, v14 :: v_dual_min_f32 v13, v13, v19
	v_dual_min_f32 v12, v12, v20 :: v_dual_max_f32 v19, v7, v7
	s_delay_alu instid0(VALU_DEP_2) | instskip(NEXT) | instid1(VALU_DEP_2)
	v_min_f32_e32 v14, v14, v21
	v_dual_add_f32 v13, v70, v13 :: v_dual_add_f32 v12, v71, v12
	s_delay_alu instid0(VALU_DEP_1) | instskip(NEXT) | instid1(VALU_DEP_1)
	v_dual_max_f32 v15, v15, v15 :: v_dual_add_f32 v12, v12, v14
	v_min_f32_e32 v15, v15, v19
	s_delay_alu instid0(VALU_DEP_1) | instskip(NEXT) | instid1(VALU_DEP_1)
	v_add_f32_e32 v13, v13, v15
	v_add_f32_e32 v12, v12, v13
	s_delay_alu instid0(VALU_DEP_1)
	v_add_f32_e32 v14, v12, v18
	v_add_co_u32 v12, vcc_lo, v38, v16
	v_add_co_ci_u32_e32 v13, vcc_lo, v39, v17, vcc_lo
	global_store_b32 v[12:13], v14, off
	s_or_b32 exec_lo, exec_lo, s0
	s_and_b32 s1, s6, s8
	s_delay_alu instid0(SALU_CYCLE_1)
	s_and_saveexec_b32 s0, s1
	s_cbranch_execz .LBB89_163
.LBB89_189:
	v_cmp_ne_u32_e32 vcc_lo, 1, v100
	v_lshlrev_b64 v[12:13], 2, v[60:61]
	s_cbranch_vccnz .LBB89_191
; %bb.190:
	s_delay_alu instid0(VALU_DEP_1) | instskip(NEXT) | instid1(VALU_DEP_2)
	v_add_co_u32 v14, vcc_lo, v40, v12
	v_add_co_ci_u32_e32 v15, vcc_lo, v41, v13, vcc_lo
	flat_load_b32 v14, v[14:15]
	s_waitcnt vmcnt(0) lgkmcnt(0)
	v_mul_f32_e32 v14, s20, v14
	s_branch .LBB89_192
.LBB89_191:
	v_mov_b32_e32 v14, 0
.LBB89_192:
	v_dual_max_f32 v15, v5, v5 :: v_dual_max_f32 v16, v4, v4
	v_dual_max_f32 v9, v9, v9 :: v_dual_max_f32 v8, v8, v8
	v_max_f32_e32 v17, v6, v6
	s_delay_alu instid0(VALU_DEP_2) | instskip(NEXT) | instid1(VALU_DEP_3)
	v_dual_max_f32 v10, v10, v10 :: v_dual_min_f32 v9, v9, v15
	v_dual_min_f32 v8, v8, v16 :: v_dual_max_f32 v15, v7, v7
	s_delay_alu instid0(VALU_DEP_2) | instskip(NEXT) | instid1(VALU_DEP_2)
	v_dual_min_f32 v10, v10, v17 :: v_dual_max_f32 v11, v11, v11
	v_dual_add_f32 v8, v68, v8 :: v_dual_add_f32 v9, v69, v9
	s_delay_alu instid0(VALU_DEP_1) | instskip(NEXT) | instid1(VALU_DEP_1)
	v_dual_add_f32 v8, v8, v10 :: v_dual_min_f32 v11, v11, v15
	v_add_f32_e32 v9, v9, v11
	s_delay_alu instid0(VALU_DEP_1) | instskip(NEXT) | instid1(VALU_DEP_1)
	v_add_f32_e32 v8, v8, v9
	v_add_f32_e32 v10, v8, v14
	v_add_co_u32 v8, vcc_lo, v38, v12
	v_add_co_ci_u32_e32 v9, vcc_lo, v39, v13, vcc_lo
	global_store_b32 v[8:9], v10, off
	s_or_b32 exec_lo, exec_lo, s0
	s_and_b32 s0, s7, s8
	s_delay_alu instid0(SALU_CYCLE_1)
	s_and_saveexec_b32 s1, s0
	s_cbranch_execz .LBB89_164
.LBB89_193:
	v_cmp_ne_u32_e32 vcc_lo, 1, v100
	v_lshlrev_b64 v[8:9], 2, v[62:63]
	s_cbranch_vccnz .LBB89_195
; %bb.194:
	s_delay_alu instid0(VALU_DEP_1) | instskip(NEXT) | instid1(VALU_DEP_2)
	v_add_co_u32 v10, vcc_lo, v40, v8
	v_add_co_ci_u32_e32 v11, vcc_lo, v41, v9, vcc_lo
	flat_load_b32 v10, v[10:11]
	s_waitcnt vmcnt(0) lgkmcnt(0)
	v_mul_f32_e32 v10, s20, v10
	s_branch .LBB89_196
.LBB89_195:
	v_mov_b32_e32 v10, 0
.LBB89_196:
	v_dual_max_f32 v5, v5, v5 :: v_dual_max_f32 v4, v4, v4
	v_dual_max_f32 v1, v1, v1 :: v_dual_max_f32 v0, v0, v0
	v_max_f32_e32 v6, v6, v6
	v_dual_max_f32 v2, v2, v2 :: v_dual_max_f32 v3, v3, v3
	s_delay_alu instid0(VALU_DEP_3) | instskip(NEXT) | instid1(VALU_DEP_2)
	v_dual_min_f32 v1, v1, v5 :: v_dual_min_f32 v0, v0, v4
	v_dual_max_f32 v5, v7, v7 :: v_dual_min_f32 v2, v2, v6
	s_delay_alu instid0(VALU_DEP_2) | instskip(NEXT) | instid1(VALU_DEP_1)
	v_dual_add_f32 v1, v67, v1 :: v_dual_add_f32 v0, v66, v0
	v_dual_min_f32 v3, v3, v5 :: v_dual_add_f32 v0, v0, v2
	s_delay_alu instid0(VALU_DEP_1) | instskip(NEXT) | instid1(VALU_DEP_1)
	v_add_f32_e32 v1, v1, v3
	v_add_f32_e32 v0, v0, v1
	s_delay_alu instid0(VALU_DEP_1)
	v_add_f32_e32 v2, v0, v10
	v_add_co_u32 v0, vcc_lo, v38, v8
	v_add_co_ci_u32_e32 v1, vcc_lo, v39, v9, vcc_lo
	global_store_b32 v[0:1], v2, off
	s_nop 0
	s_sendmsg sendmsg(MSG_DEALLOC_VGPRS)
	s_endpgm
	.section	.rodata,"a",@progbits
	.p2align	6, 0x0
	.amdhsa_kernel _ZN12_GLOBAL__N_120geam_min_plus_kernelIf15HIP_vector_typeIfLj2EES2_Li8ELi32ELi64ELi128ELi4ELi4ELi64ELi4ELi64ELc84ELc78ELb0ELb1ELb0EfKffEEviiiT16_PT17_ilS6_ilS4_S6_ilPT18_ili26rocblas_geam_ex_operation_
		.amdhsa_group_segment_fixed_size 6144
		.amdhsa_private_segment_fixed_size 0
		.amdhsa_kernarg_size 128
		.amdhsa_user_sgpr_count 14
		.amdhsa_user_sgpr_dispatch_ptr 0
		.amdhsa_user_sgpr_queue_ptr 0
		.amdhsa_user_sgpr_kernarg_segment_ptr 1
		.amdhsa_user_sgpr_dispatch_id 0
		.amdhsa_user_sgpr_private_segment_size 0
		.amdhsa_wavefront_size32 1
		.amdhsa_uses_dynamic_stack 0
		.amdhsa_enable_private_segment 0
		.amdhsa_system_sgpr_workgroup_id_x 1
		.amdhsa_system_sgpr_workgroup_id_y 0
		.amdhsa_system_sgpr_workgroup_id_z 1
		.amdhsa_system_sgpr_workgroup_info 0
		.amdhsa_system_vgpr_workitem_id 1
		.amdhsa_next_free_vgpr 227
		.amdhsa_next_free_sgpr 31
		.amdhsa_reserve_vcc 1
		.amdhsa_float_round_mode_32 0
		.amdhsa_float_round_mode_16_64 0
		.amdhsa_float_denorm_mode_32 3
		.amdhsa_float_denorm_mode_16_64 3
		.amdhsa_dx10_clamp 1
		.amdhsa_ieee_mode 1
		.amdhsa_fp16_overflow 0
		.amdhsa_workgroup_processor_mode 1
		.amdhsa_memory_ordered 1
		.amdhsa_forward_progress 0
		.amdhsa_shared_vgpr_count 0
		.amdhsa_exception_fp_ieee_invalid_op 0
		.amdhsa_exception_fp_denorm_src 0
		.amdhsa_exception_fp_ieee_div_zero 0
		.amdhsa_exception_fp_ieee_overflow 0
		.amdhsa_exception_fp_ieee_underflow 0
		.amdhsa_exception_fp_ieee_inexact 0
		.amdhsa_exception_int_div_zero 0
	.end_amdhsa_kernel
	.section	.text._ZN12_GLOBAL__N_120geam_min_plus_kernelIf15HIP_vector_typeIfLj2EES2_Li8ELi32ELi64ELi128ELi4ELi4ELi64ELi4ELi64ELc84ELc78ELb0ELb1ELb0EfKffEEviiiT16_PT17_ilS6_ilS4_S6_ilPT18_ili26rocblas_geam_ex_operation_,"axG",@progbits,_ZN12_GLOBAL__N_120geam_min_plus_kernelIf15HIP_vector_typeIfLj2EES2_Li8ELi32ELi64ELi128ELi4ELi4ELi64ELi4ELi64ELc84ELc78ELb0ELb1ELb0EfKffEEviiiT16_PT17_ilS6_ilS4_S6_ilPT18_ili26rocblas_geam_ex_operation_,comdat
.Lfunc_end89:
	.size	_ZN12_GLOBAL__N_120geam_min_plus_kernelIf15HIP_vector_typeIfLj2EES2_Li8ELi32ELi64ELi128ELi4ELi4ELi64ELi4ELi64ELc84ELc78ELb0ELb1ELb0EfKffEEviiiT16_PT17_ilS6_ilS4_S6_ilPT18_ili26rocblas_geam_ex_operation_, .Lfunc_end89-_ZN12_GLOBAL__N_120geam_min_plus_kernelIf15HIP_vector_typeIfLj2EES2_Li8ELi32ELi64ELi128ELi4ELi4ELi64ELi4ELi64ELc84ELc78ELb0ELb1ELb0EfKffEEviiiT16_PT17_ilS6_ilS4_S6_ilPT18_ili26rocblas_geam_ex_operation_
                                        ; -- End function
	.section	.AMDGPU.csdata,"",@progbits
; Kernel info:
; codeLenInByte = 13328
; NumSgprs: 33
; NumVgprs: 227
; ScratchSize: 0
; MemoryBound: 0
; FloatMode: 240
; IeeeMode: 1
; LDSByteSize: 6144 bytes/workgroup (compile time only)
; SGPRBlocks: 4
; VGPRBlocks: 28
; NumSGPRsForWavesPerEU: 33
; NumVGPRsForWavesPerEU: 227
; Occupancy: 6
; WaveLimiterHint : 0
; COMPUTE_PGM_RSRC2:SCRATCH_EN: 0
; COMPUTE_PGM_RSRC2:USER_SGPR: 14
; COMPUTE_PGM_RSRC2:TRAP_HANDLER: 0
; COMPUTE_PGM_RSRC2:TGID_X_EN: 1
; COMPUTE_PGM_RSRC2:TGID_Y_EN: 0
; COMPUTE_PGM_RSRC2:TGID_Z_EN: 1
; COMPUTE_PGM_RSRC2:TIDIG_COMP_CNT: 1
	.section	.text._ZN12_GLOBAL__N_120geam_min_plus_kernelIf15HIP_vector_typeIfLj2EES2_Li8ELi32ELi64ELi128ELi4ELi64ELi4ELi64ELi4ELc78ELc84ELb0ELb0ELb0EPKfS3_fEEviiiT16_PT17_ilS7_ilS5_S7_ilPT18_ili26rocblas_geam_ex_operation_,"axG",@progbits,_ZN12_GLOBAL__N_120geam_min_plus_kernelIf15HIP_vector_typeIfLj2EES2_Li8ELi32ELi64ELi128ELi4ELi64ELi4ELi64ELi4ELc78ELc84ELb0ELb0ELb0EPKfS3_fEEviiiT16_PT17_ilS7_ilS5_S7_ilPT18_ili26rocblas_geam_ex_operation_,comdat
	.globl	_ZN12_GLOBAL__N_120geam_min_plus_kernelIf15HIP_vector_typeIfLj2EES2_Li8ELi32ELi64ELi128ELi4ELi64ELi4ELi64ELi4ELc78ELc84ELb0ELb0ELb0EPKfS3_fEEviiiT16_PT17_ilS7_ilS5_S7_ilPT18_ili26rocblas_geam_ex_operation_ ; -- Begin function _ZN12_GLOBAL__N_120geam_min_plus_kernelIf15HIP_vector_typeIfLj2EES2_Li8ELi32ELi64ELi128ELi4ELi64ELi4ELi64ELi4ELc78ELc84ELb0ELb0ELb0EPKfS3_fEEviiiT16_PT17_ilS7_ilS5_S7_ilPT18_ili26rocblas_geam_ex_operation_
	.p2align	8
	.type	_ZN12_GLOBAL__N_120geam_min_plus_kernelIf15HIP_vector_typeIfLj2EES2_Li8ELi32ELi64ELi128ELi4ELi64ELi4ELi64ELi4ELc78ELc84ELb0ELb0ELb0EPKfS3_fEEviiiT16_PT17_ilS7_ilS5_S7_ilPT18_ili26rocblas_geam_ex_operation_,@function
_ZN12_GLOBAL__N_120geam_min_plus_kernelIf15HIP_vector_typeIfLj2EES2_Li8ELi32ELi64ELi128ELi4ELi64ELi4ELi64ELi4ELc78ELc84ELb0ELb0ELb0EPKfS3_fEEviiiT16_PT17_ilS7_ilS5_S7_ilPT18_ili26rocblas_geam_ex_operation_: ; @_ZN12_GLOBAL__N_120geam_min_plus_kernelIf15HIP_vector_typeIfLj2EES2_Li8ELi32ELi64ELi128ELi4ELi64ELi4ELi64ELi4ELc78ELc84ELb0ELb0ELb0EPKfS3_fEEviiiT16_PT17_ilS7_ilS5_S7_ilPT18_ili26rocblas_geam_ex_operation_
; %bb.0:
	s_clause 0x1
	s_load_b128 s[16:19], s[0:1], 0x10
	s_load_b128 s[4:7], s[0:1], 0x28
	s_mov_b32 s12, s15
	s_mov_b32 s13, 0
	s_delay_alu instid0(SALU_CYCLE_1)
	s_lshl_b64 s[2:3], s[12:13], 2
	s_waitcnt lgkmcnt(0)
	s_add_u32 s8, s16, s2
	s_addc_u32 s9, s17, s3
	s_mov_b64 s[16:17], 0
	s_load_b32 s15, s[8:9], 0x0
	s_clause 0x1
	s_load_b128 s[8:11], s[0:1], 0x40
	s_load_b64 s[20:21], s[0:1], 0x50
	s_waitcnt lgkmcnt(0)
	v_cmp_eq_f32_e64 s13, s15, 0
	v_cmp_neq_f32_e64 s22, s15, 0
	s_add_u32 s2, s10, s2
	s_addc_u32 s3, s11, s3
	s_mov_b64 s[10:11], 0
	s_and_b32 vcc_lo, exec_lo, s13
	s_cbranch_vccnz .LBB90_2
; %bb.1:
	s_mul_i32 s5, s12, s5
	s_mul_hi_u32 s10, s12, s4
	s_mul_i32 s4, s12, s4
	s_add_i32 s5, s10, s5
	s_delay_alu instid0(SALU_CYCLE_1) | instskip(NEXT) | instid1(SALU_CYCLE_1)
	s_lshl_b64 s[4:5], s[4:5], 2
	s_add_u32 s10, s18, s4
	s_addc_u32 s11, s19, s5
.LBB90_2:
	s_load_b32 s13, s[2:3], 0x0
	v_cndmask_b32_e64 v1, 0, 1, s22
	s_and_not1_b32 vcc_lo, exec_lo, s22
	s_delay_alu instid0(VALU_DEP_1)
	v_cmp_ne_u32_e64 s3, 1, v1
	s_cbranch_vccnz .LBB90_4
; %bb.3:
	s_mul_i32 s2, s12, s9
	s_mul_hi_u32 s4, s12, s8
	s_delay_alu instid0(SALU_CYCLE_1) | instskip(SKIP_1) | instid1(SALU_CYCLE_1)
	s_add_i32 s5, s4, s2
	s_mul_i32 s4, s12, s8
	s_lshl_b64 s[4:5], s[4:5], 2
	s_delay_alu instid0(SALU_CYCLE_1)
	s_add_u32 s16, s6, s4
	s_addc_u32 s17, s7, s5
.LBB90_4:
	s_load_b128 s[4:7], s[0:1], 0x60
	s_waitcnt lgkmcnt(0)
	v_cmp_eq_f32_e64 s2, s13, 0
	s_delay_alu instid0(VALU_DEP_1) | instskip(NEXT) | instid1(SALU_CYCLE_1)
	s_and_b32 s2, exec_lo, s2
	s_mov_b32 vcc_lo, s2
	s_cbranch_vccnz .LBB90_6
; %bb.5:
	s_mul_i32 s5, s12, s5
	s_mul_hi_u32 s8, s12, s4
	s_mul_i32 s4, s12, s4
	s_add_i32 s5, s8, s5
	s_delay_alu instid0(SALU_CYCLE_1) | instskip(NEXT) | instid1(SALU_CYCLE_1)
	s_lshl_b64 s[4:5], s[4:5], 2
	s_add_u32 s4, s20, s4
	s_addc_u32 s5, s21, s5
	s_branch .LBB90_7
.LBB90_6:
	s_mov_b64 s[4:5], 0
.LBB90_7:
	s_clause 0x1
	s_load_b32 s8, s[0:1], 0x0
	s_load_b32 s18, s[0:1], 0x20
	v_and_b32_e32 v56, 0x3ff, v0
	v_bfe_u32 v57, v0, 10, 10
	s_waitcnt lgkmcnt(0)
	s_add_i32 s8, s8, -1
	s_ashr_i32 s19, s18, 31
	s_ashr_i32 s9, s8, 31
	s_delay_alu instid0(SALU_CYCLE_1) | instskip(NEXT) | instid1(SALU_CYCLE_1)
	s_lshr_b32 s9, s9, 26
	s_add_i32 s8, s8, s9
	s_delay_alu instid0(SALU_CYCLE_1) | instskip(NEXT) | instid1(SALU_CYCLE_1)
	s_ashr_i32 s8, s8, 6
	s_add_i32 s20, s8, 1
	s_not_b32 s8, s8
	v_cvt_f32_u32_e32 v1, s20
	s_delay_alu instid0(VALU_DEP_1) | instskip(SKIP_2) | instid1(VALU_DEP_1)
	v_rcp_iflag_f32_e32 v1, v1
	s_waitcnt_depctr 0xfff
	v_mul_f32_e32 v1, 0x4f7ffffe, v1
	v_cvt_u32_f32_e32 v1, v1
	s_delay_alu instid0(VALU_DEP_1) | instskip(SKIP_1) | instid1(VALU_DEP_2)
	v_readfirstlane_b32 s9, v1
	v_lshl_add_u32 v1, v57, 3, v56
	s_mul_i32 s8, s8, s9
	s_delay_alu instid0(VALU_DEP_1) | instskip(SKIP_3) | instid1(SALU_CYCLE_1)
	v_and_b32_e32 v5, 63, v1
	s_mul_hi_u32 s8, s9, s8
	v_lshrrev_b32_e32 v4, 6, v1
	s_add_i32 s9, s9, s8
	s_mul_hi_u32 s8, s14, s9
	s_delay_alu instid0(SALU_CYCLE_1) | instskip(SKIP_2) | instid1(SALU_CYCLE_1)
	s_mul_i32 s9, s8, s20
	s_add_i32 s21, s8, 1
	s_sub_i32 s9, s14, s9
	s_sub_i32 s22, s9, s20
	s_cmp_ge_u32 s9, s20
	s_cselect_b32 s8, s21, s8
	s_cselect_b32 s9, s22, s9
	s_add_i32 s21, s8, 1
	s_cmp_ge_u32 s9, s20
	s_cselect_b32 s9, s21, s8
	s_and_b32 vcc_lo, exec_lo, s3
	s_mul_i32 s23, s9, s20
	s_delay_alu instid0(SALU_CYCLE_1) | instskip(NEXT) | instid1(SALU_CYCLE_1)
	s_sub_i32 s8, s14, s23
	s_lshl_b32 s20, s8, 6
	s_delay_alu instid0(SALU_CYCLE_1) | instskip(NEXT) | instid1(VALU_DEP_1)
	v_or_b32_e32 v0, s20, v5
	v_ashrrev_i32_e32 v1, 31, v0
	s_cbranch_vccnz .LBB90_9
; %bb.8:
	v_mad_i64_i32 v[2:3], null, s18, v4, 0
	s_delay_alu instid0(VALU_DEP_2) | instskip(NEXT) | instid1(VALU_DEP_2)
	v_lshlrev_b64 v[6:7], 2, v[0:1]
	v_lshlrev_b64 v[2:3], 2, v[2:3]
	s_delay_alu instid0(VALU_DEP_1) | instskip(NEXT) | instid1(VALU_DEP_2)
	v_add_co_u32 v2, vcc_lo, s10, v2
	v_add_co_ci_u32_e32 v3, vcc_lo, s11, v3, vcc_lo
	s_delay_alu instid0(VALU_DEP_2) | instskip(NEXT) | instid1(VALU_DEP_2)
	v_add_co_u32 v2, vcc_lo, v2, v6
	v_add_co_ci_u32_e32 v3, vcc_lo, v3, v7, vcc_lo
	flat_load_b32 v2, v[2:3]
	s_waitcnt vmcnt(0) lgkmcnt(0)
	v_mul_f32_e32 v6, s15, v2
	s_branch .LBB90_10
.LBB90_9:
	v_mov_b32_e32 v6, 0
.LBB90_10:
	s_load_b32 s8, s[0:1], 0x38
	s_lshl_b32 s21, s9, 7
	s_and_b32 vcc_lo, exec_lo, s3
	v_or_b32_e32 v2, s21, v5
	s_delay_alu instid0(VALU_DEP_1)
	v_ashrrev_i32_e32 v3, 31, v2
	s_waitcnt lgkmcnt(0)
	s_ashr_i32 s9, s8, 31
	s_cbranch_vccnz .LBB90_14
; %bb.11:
	v_mad_i64_i32 v[7:8], null, s8, v4, 0
	v_lshlrev_b64 v[9:10], 2, v[2:3]
	s_delay_alu instid0(VALU_DEP_2) | instskip(NEXT) | instid1(VALU_DEP_1)
	v_lshlrev_b64 v[7:8], 2, v[7:8]
	v_add_co_u32 v7, vcc_lo, s16, v7
	s_delay_alu instid0(VALU_DEP_2) | instskip(NEXT) | instid1(VALU_DEP_2)
	v_add_co_ci_u32_e32 v8, vcc_lo, s17, v8, vcc_lo
	v_add_co_u32 v7, vcc_lo, v7, v9
	s_delay_alu instid0(VALU_DEP_2)
	v_add_co_ci_u32_e32 v8, vcc_lo, v8, v10, vcc_lo
	s_clause 0x1
	flat_load_b32 v9, v[7:8]
	flat_load_b32 v8, v[7:8] offset:256
	s_waitcnt vmcnt(0) lgkmcnt(0)
	v_dual_mul_f32 v7, s15, v9 :: v_dual_mul_f32 v8, s15, v8
	v_add_nc_u32_e32 v9, 4, v4
	s_and_b32 vcc_lo, exec_lo, s3
	s_cbranch_vccnz .LBB90_15
.LBB90_12:
	s_delay_alu instid0(VALU_DEP_1) | instskip(SKIP_1) | instid1(VALU_DEP_2)
	v_mad_i64_i32 v[10:11], null, s18, v9, 0
	v_lshlrev_b64 v[0:1], 2, v[0:1]
	v_lshlrev_b64 v[10:11], 2, v[10:11]
	s_delay_alu instid0(VALU_DEP_1) | instskip(NEXT) | instid1(VALU_DEP_2)
	v_add_co_u32 v10, vcc_lo, s10, v10
	v_add_co_ci_u32_e32 v11, vcc_lo, s11, v11, vcc_lo
	s_delay_alu instid0(VALU_DEP_2) | instskip(NEXT) | instid1(VALU_DEP_2)
	v_add_co_u32 v0, vcc_lo, v10, v0
	v_add_co_ci_u32_e32 v1, vcc_lo, v11, v1, vcc_lo
	flat_load_b32 v0, v[0:1]
	s_waitcnt vmcnt(0) lgkmcnt(0)
	v_mul_f32_e32 v0, s15, v0
	s_and_b32 vcc_lo, exec_lo, s3
	s_cbranch_vccnz .LBB90_16
.LBB90_13:
	v_mad_i64_i32 v[10:11], null, s8, v9, 0
	v_lshlrev_b64 v[1:2], 2, v[2:3]
	s_delay_alu instid0(VALU_DEP_2) | instskip(NEXT) | instid1(VALU_DEP_1)
	v_lshlrev_b64 v[9:10], 2, v[10:11]
	v_add_co_u32 v3, vcc_lo, s16, v9
	s_delay_alu instid0(VALU_DEP_2) | instskip(NEXT) | instid1(VALU_DEP_2)
	v_add_co_ci_u32_e32 v9, vcc_lo, s17, v10, vcc_lo
	v_add_co_u32 v1, vcc_lo, v3, v1
	s_delay_alu instid0(VALU_DEP_2)
	v_add_co_ci_u32_e32 v2, vcc_lo, v9, v2, vcc_lo
	s_clause 0x1
	flat_load_b32 v3, v[1:2]
	flat_load_b32 v2, v[1:2] offset:256
	s_waitcnt vmcnt(0) lgkmcnt(0)
	v_dual_mul_f32 v1, s15, v3 :: v_dual_mul_f32 v2, s15, v2
	s_branch .LBB90_17
.LBB90_14:
	v_dual_mov_b32 v7, 0 :: v_dual_mov_b32 v8, 0
	v_add_nc_u32_e32 v9, 4, v4
	s_and_b32 vcc_lo, exec_lo, s3
	s_cbranch_vccz .LBB90_12
.LBB90_15:
	v_mov_b32_e32 v0, 0
	s_and_b32 vcc_lo, exec_lo, s3
	s_cbranch_vccz .LBB90_13
.LBB90_16:
	v_dual_mov_b32 v1, 0 :: v_dual_mov_b32 v2, 0
.LBB90_17:
	v_lshlrev_b32_e32 v3, 2, v4
	v_lshlrev_b32_e32 v58, 4, v57
	;; [unrolled: 1-line block ×3, first 2 shown]
	s_load_b32 s22, s[0:1], 0x8
	s_delay_alu instid0(VALU_DEP_3)
	v_lshl_add_u32 v73, v5, 4, v3
	ds_store_b32 v73, v6 offset:4096
	ds_store_2addr_stride64_b32 v73, v7, v8 offset1:4
	s_waitcnt lgkmcnt(0)
	s_barrier
	buffer_gl0_inv
	ds_load_b128 v[6:9], v58
	ds_load_b128 v[10:13], v59 offset:4096
	ds_load_b128 v[14:17], v59 offset:4224
	;; [unrolled: 1-line block ×11, first 2 shown]
	ds_store_b32 v73, v0 offset:5120
	ds_store_2addr_stride64_b32 v73, v1, v2 offset0:8 offset1:12
	s_waitcnt lgkmcnt(0)
	s_barrier
	buffer_gl0_inv
	v_max_f32_e32 v3, v6, v6
	v_max_f32_e32 v6, v10, v10
	v_dual_max_f32 v10, v11, v11 :: v_dual_max_f32 v11, v14, v14
	v_dual_max_f32 v14, v15, v15 :: v_dual_max_f32 v15, v18, v18
	;; [unrolled: 1-line block ×3, first 2 shown]
	v_max_f32_e32 v22, v23, v23
	v_dual_max_f32 v7, v7, v7 :: v_dual_max_f32 v26, v26, v26
	v_dual_max_f32 v31, v31, v31 :: v_dual_max_f32 v16, v16, v16
	s_delay_alu instid0(VALU_DEP_4)
	v_dual_min_f32 v63, v19, v3 :: v_dual_max_f32 v42, v42, v42
	v_max_f32_e32 v43, v43, v43
	v_dual_min_f32 v23, v6, v3 :: v_dual_max_f32 v8, v8, v8
	v_dual_min_f32 v54, v10, v7 :: v_dual_max_f32 v9, v9, v9
	;; [unrolled: 1-line block ×5, first 2 shown]
	v_dual_max_f32 v27, v27, v27 :: v_dual_max_f32 v38, v38, v38
	v_dual_min_f32 v62, v18, v7 :: v_dual_max_f32 v17, v17, v17
	v_dual_min_f32 v65, v26, v3 :: v_dual_max_f32 v12, v12, v12
	v_dual_min_f32 v80, v26, v42 :: v_dual_min_f32 v83, v31, v43
	v_dual_max_f32 v46, v46, v46 :: v_dual_max_f32 v47, v47, v47
	v_dual_max_f32 v48, v48, v48 :: v_dual_max_f32 v49, v49, v49
	v_max_f32_e32 v50, v50, v50
	v_dual_min_f32 v64, v22, v7 :: v_dual_max_f32 v21, v21, v21
	v_dual_min_f32 v66, v27, v7 :: v_dual_min_f32 v71, v6, v42
	v_dual_max_f32 v35, v35, v35 :: v_dual_max_f32 v20, v20, v20
	v_dual_min_f32 v67, v30, v3 :: v_dual_min_f32 v74, v11, v42
	v_dual_min_f32 v68, v31, v7 :: v_dual_max_f32 v25, v25, v25
	v_dual_min_f32 v69, v34, v3 :: v_dual_min_f32 v76, v15, v42
	v_dual_min_f32 v3, v38, v3 :: v_dual_min_f32 v78, v19, v42
	v_dual_max_f32 v39, v39, v39 :: v_dual_max_f32 v24, v24, v24
	v_dual_min_f32 v81, v27, v43 :: v_dual_min_f32 v82, v30, v42
	v_dual_max_f32 v37, v37, v37 :: v_dual_min_f32 v84, v34, v42
	v_dual_min_f32 v42, v38, v42 :: v_dual_max_f32 v41, v41, v41
	v_dual_min_f32 v85, v6, v46 :: v_dual_max_f32 v44, v44, v44
	;; [unrolled: 1-line block ×4, first 2 shown]
	v_dual_min_f32 v125, v19, v46 :: v_dual_min_f32 v88, v10, v47
	v_dual_max_f32 v51, v51, v51 :: v_dual_min_f32 v126, v26, v46
	v_dual_max_f32 v53, v53, v53 :: v_dual_min_f32 v128, v34, v46
	v_min_f32_e32 v127, v30, v46
	v_min_f32_e32 v46, v38, v46
	v_dual_min_f32 v38, v38, v50 :: v_dual_min_f32 v91, v13, v9
	v_dual_min_f32 v89, v14, v47 :: v_dual_add_f32 v54, 0, v54
	v_dual_min_f32 v129, v22, v47 :: v_dual_min_f32 v92, v12, v8
	v_dual_min_f32 v130, v27, v47 :: v_dual_min_f32 v93, v17, v9
	v_dual_add_f32 v23, 0, v23 :: v_dual_add_f32 v60, 0, v60
	v_dual_min_f32 v70, v35, v7 :: v_dual_max_f32 v29, v29, v29
	v_dual_min_f32 v7, v39, v7 :: v_dual_max_f32 v28, v28, v28
	v_dual_min_f32 v72, v10, v43 :: v_dual_max_f32 v33, v33, v33
	v_dual_min_f32 v75, v14, v43 :: v_dual_max_f32 v32, v32, v32
	v_dual_min_f32 v77, v18, v43 :: v_dual_max_f32 v36, v36, v36
	v_dual_min_f32 v79, v22, v43 :: v_dual_max_f32 v40, v40, v40
	v_dual_min_f32 v6, v6, v50 :: v_dual_min_f32 v131, v31, v47
	v_dual_min_f32 v11, v11, v50 :: v_dual_min_f32 v90, v18, v47
	;; [unrolled: 1-line block ×4, first 2 shown]
	v_min_f32_e32 v26, v26, v50
	v_dual_min_f32 v30, v30, v50 :: v_dual_min_f32 v27, v27, v51
	v_dual_min_f32 v34, v34, v50 :: v_dual_min_f32 v31, v31, v51
	v_min_f32_e32 v50, v35, v43
	v_min_f32_e32 v43, v39, v43
	v_dual_min_f32 v132, v35, v47 :: v_dual_add_f32 v121, v93, v60
	v_min_f32_e32 v47, v39, v47
	v_dual_min_f32 v18, v18, v51 :: v_dual_add_f32 v123, v91, v54
	v_min_f32_e32 v22, v22, v51
	v_dual_min_f32 v35, v35, v51 :: v_dual_add_f32 v54, 0, v62
	v_dual_min_f32 v39, v39, v51 :: v_dual_add_f32 v60, 0, v61
	v_add_f32_e32 v124, v92, v23
	v_dual_add_f32 v23, 0, v55 :: v_dual_add_f32 v62, 0, v64
	v_min_f32_e32 v51, v16, v8
	v_min_f32_e32 v55, v21, v9
	v_dual_min_f32 v61, v20, v8 :: v_dual_min_f32 v64, v25, v9
	v_add_f32_e32 v63, 0, v63
	s_delay_alu instid0(VALU_DEP_4) | instskip(NEXT) | instid1(VALU_DEP_4)
	v_dual_min_f32 v91, v24, v8 :: v_dual_add_f32 v122, v51, v23
	v_dual_add_f32 v119, v55, v54 :: v_dual_add_f32 v54, 0, v65
	s_delay_alu instid0(VALU_DEP_4) | instskip(NEXT) | instid1(VALU_DEP_3)
	v_dual_add_f32 v120, v61, v60 :: v_dual_add_f32 v117, v64, v62
	v_dual_add_f32 v118, v91, v63 :: v_dual_add_f32 v23, 0, v66
	v_dual_add_f32 v60, 0, v68 :: v_dual_min_f32 v51, v29, v9
	v_dual_add_f32 v62, 0, v67 :: v_dual_min_f32 v55, v28, v8
	;; [unrolled: 1-line block ×3, first 2 shown]
	v_min_f32_e32 v63, v32, v8
	s_delay_alu instid0(VALU_DEP_4) | instskip(NEXT) | instid1(VALU_DEP_4)
	v_add_f32_e32 v115, v51, v23
	v_dual_add_f32 v116, v55, v54 :: v_dual_add_f32 v23, 0, v69
	v_add_f32_e32 v54, 0, v72
	v_min_f32_e32 v51, v36, v8
	v_add_f32_e32 v113, v61, v60
	v_dual_min_f32 v55, v13, v45 :: v_dual_add_f32 v60, 0, v71
	v_dual_min_f32 v65, v37, v9 :: v_dual_add_f32 v114, v63, v62
	v_min_f32_e32 v9, v41, v9
	v_min_f32_e32 v61, v12, v44
	v_dual_add_f32 v7, 0, v7 :: v_dual_min_f32 v8, v40, v8
	v_add_f32_e32 v42, 0, v42
	s_cmp_lt_i32 s22, 9
	s_delay_alu instid0(VALU_DEP_3)
	v_add_f32_e32 v108, v61, v60
	v_dual_add_f32 v60, 0, v79 :: v_dual_min_f32 v61, v25, v45
	v_dual_add_f32 v107, v55, v54 :: v_dual_add_f32 v54, 0, v76
	v_add_f32_e32 v109, v9, v7
	v_min_f32_e32 v9, v16, v44
	v_add_f32_e32 v3, 0, v3
	v_add_f32_e32 v111, v65, v64
	v_min_f32_e32 v7, v17, v45
	v_min_f32_e32 v55, v20, v44
	v_add_f32_e32 v100, v61, v60
	v_add_f32_e32 v110, v8, v3
	v_dual_add_f32 v3, 0, v75 :: v_dual_add_f32 v60, 0, v82
	v_add_f32_e32 v8, 0, v74
	v_add_f32_e32 v104, v55, v54
	;; [unrolled: 1-line block ×3, first 2 shown]
	s_delay_alu instid0(VALU_DEP_4) | instskip(SKIP_4) | instid1(VALU_DEP_3)
	v_add_f32_e32 v105, v7, v3
	v_add_f32_e32 v3, 0, v78
	v_dual_min_f32 v7, v24, v44 :: v_dual_add_f32 v112, v51, v23
	v_min_f32_e32 v51, v21, v45
	v_min_f32_e32 v61, v32, v44
	v_dual_add_f32 v23, 0, v77 :: v_dual_add_f32 v102, v7, v3
	v_add_f32_e32 v106, v9, v8
	v_add_f32_e32 v8, 0, v81
	s_delay_alu instid0(VALU_DEP_4)
	v_add_f32_e32 v98, v61, v60
	v_min_f32_e32 v9, v29, v45
	v_add_f32_e32 v3, 0, v50
	v_min_f32_e32 v7, v37, v45
	v_min_f32_e32 v55, v33, v45
	;; [unrolled: 1-line block ×3, first 2 shown]
	v_add_f32_e32 v99, v9, v8
	v_add_f32_e32 v8, 0, v84
	v_min_f32_e32 v9, v36, v44
	v_add_f32_e32 v103, v51, v23
	v_min_f32_e32 v51, v28, v44
	v_add_f32_e32 v95, v7, v3
	v_add_f32_e32 v3, 0, v85
	v_min_f32_e32 v7, v12, v48
	v_add_f32_e32 v23, 0, v80
	v_dual_min_f32 v44, v40, v44 :: v_dual_min_f32 v13, v13, v53
	v_min_f32_e32 v12, v12, v52
	s_delay_alu instid0(VALU_DEP_4) | instskip(NEXT) | instid1(VALU_DEP_4)
	v_add_f32_e32 v92, v7, v3
	v_add_f32_e32 v101, v51, v23
	;; [unrolled: 1-line block ×3, first 2 shown]
	v_min_f32_e32 v43, v41, v45
	v_add_f32_e32 v45, 0, v88
	v_add_f32_e32 v3, 0, v129
	v_dual_min_f32 v7, v25, v49 :: v_dual_add_f32 v94, v44, v42
	s_delay_alu instid0(VALU_DEP_4) | instskip(NEXT) | instid1(VALU_DEP_4)
	v_add_f32_e32 v93, v43, v23
	v_add_f32_e32 v91, v50, v45
	v_dual_add_f32 v45, 0, v87 :: v_dual_min_f32 v50, v20, v48
	s_delay_alu instid0(VALU_DEP_4) | instskip(SKIP_2) | instid1(VALU_DEP_4)
	v_add_f32_e32 v85, v7, v3
	v_add_f32_e32 v3, 0, v127
	v_min_f32_e32 v7, v32, v48
	v_dual_add_f32 v23, 0, v86 :: v_dual_add_f32 v88, v50, v45
	v_min_f32_e32 v50, v33, v49
	v_add_f32_e32 v96, v9, v8
	v_add_f32_e32 v8, 0, v89
	v_dual_min_f32 v9, v17, v49 :: v_dual_add_f32 v82, v7, v3
	v_dual_min_f32 v42, v16, v48 :: v_dual_add_f32 v43, 0, v90
	v_min_f32_e32 v44, v21, v49
	s_delay_alu instid0(VALU_DEP_3)
	v_dual_add_f32 v89, v9, v8 :: v_dual_add_f32 v8, 0, v125
	v_min_f32_e32 v9, v24, v48
	v_add_f32_e32 v3, 0, v6
	v_dual_add_f32 v6, 0, v10 :: v_dual_add_f32 v7, 0, v11
	v_add_f32_e32 v11, 0, v19
	v_dual_add_f32 v19, 0, v30 :: v_dual_add_f32 v30, 0, v39
	v_add_f32_e32 v86, v9, v8
	v_dual_add_f32 v8, 0, v132 :: v_dual_min_f32 v9, v37, v49
	v_add_f32_e32 v97, v55, v54
	v_add_f32_e32 v10, 0, v18
	;; [unrolled: 1-line block ×4, first 2 shown]
	v_dual_min_f32 v42, v29, v49 :: v_dual_add_f32 v23, 0, v130
	v_dual_add_f32 v79, v9, v8 :: v_dual_add_f32 v8, 0, v14
	v_add_f32_e32 v14, 0, v22
	v_add_f32_e32 v22, 0, v31
	;; [unrolled: 1-line block ×5, first 2 shown]
	v_min_f32_e32 v6, v17, v53
	v_dual_min_f32 v44, v28, v48 :: v_dual_add_f32 v83, v42, v23
	v_dual_add_f32 v45, 0, v131 :: v_dual_min_f32 v42, v36, v48
	s_delay_alu instid0(VALU_DEP_3) | instskip(SKIP_1) | instid1(VALU_DEP_4)
	v_add_f32_e32 v72, v6, v8
	v_min_f32_e32 v6, v25, v53
	v_add_f32_e32 v84, v44, v43
	v_add_f32_e32 v43, 0, v47
	v_dual_min_f32 v13, v16, v52 :: v_dual_min_f32 v16, v21, v53
	s_delay_alu instid0(VALU_DEP_4)
	v_add_f32_e32 v68, v6, v14
	v_min_f32_e32 v6, v33, v53
	v_dual_add_f32 v80, v50, v45 :: v_dual_add_f32 v45, 0, v46
	v_add_f32_e32 v77, v12, v3
	v_min_f32_e32 v3, v20, v52
	v_min_f32_e32 v8, v28, v52
	v_add_f32_e32 v62, v6, v22
	v_dual_min_f32 v6, v37, v53 :: v_dual_add_f32 v23, 0, v128
	v_add_f32_e32 v74, v13, v7
	v_add_f32_e32 v9, 0, v15
	v_dual_add_f32 v15, 0, v26 :: v_dual_add_f32 v26, 0, v35
	s_delay_alu instid0(VALU_DEP_4) | instskip(SKIP_1) | instid1(VALU_DEP_3)
	v_add_f32_e32 v81, v42, v23
	v_min_f32_e32 v7, v29, v53
	v_dual_min_f32 v44, v41, v49 :: v_dual_add_f32 v67, v8, v15
	v_min_f32_e32 v8, v41, v53
	v_dual_add_f32 v64, v6, v26 :: v_dual_add_f32 v71, v3, v9
	v_min_f32_e32 v3, v24, v52
	v_dual_min_f32 v46, v40, v48 :: v_dual_add_f32 v23, 0, v34
	v_add_f32_e32 v27, 0, v38
	v_dual_add_f32 v66, v7, v18 :: v_dual_min_f32 v7, v36, v52
	v_min_f32_e32 v9, v40, v52
	v_add_f32_e32 v60, v8, v30
	v_dual_add_f32 v70, v3, v11 :: v_dual_min_f32 v3, v32, v52
	v_add_f32_e32 v76, v44, v43
	v_dual_add_f32 v78, v46, v45 :: v_dual_add_f32 v69, v16, v10
	v_add_f32_e32 v63, v7, v23
	s_delay_alu instid0(VALU_DEP_4)
	v_add_f32_e32 v65, v3, v19
	v_add_f32_e32 v61, v9, v27
	s_cbranch_scc1 .LBB90_31
; %bb.18:
	v_add_nc_u32_e32 v6, 12, v4
	v_add_nc_u32_e32 v2, s21, v5
	v_lshl_or_b32 v5, s14, 6, v5
	s_lshl_b32 s14, s23, 6
	v_add_nc_u32_e32 v10, 8, v4
	v_mad_i64_i32 v[0:1], null, v6, s8, 0
	v_ashrrev_i32_e32 v3, 31, v2
	v_or_b32_e32 v125, 0x1000, v73
	s_delay_alu instid0(VALU_DEP_4) | instskip(SKIP_1) | instid1(VALU_DEP_4)
	v_mad_i64_i32 v[8:9], null, v10, s18, 0
	v_add_nc_u32_e32 v126, 0x1000, v59
	v_lshlrev_b64 v[2:3], 2, v[2:3]
	v_lshlrev_b64 v[48:49], 2, v[0:1]
	v_subrev_nc_u32_e32 v0, s14, v5
	v_mad_i64_i32 v[4:5], null, v6, s18, 0
	v_mad_i64_i32 v[6:7], null, v10, s8, 0
	s_delay_alu instid0(VALU_DEP_3) | instskip(SKIP_2) | instid1(VALU_DEP_3)
	v_ashrrev_i32_e32 v1, 31, v0
	v_add_co_u32 v131, vcc_lo, s16, v2
	v_add_co_ci_u32_e32 v132, vcc_lo, s17, v3, vcc_lo
	v_lshlrev_b64 v[0:1], 2, v[0:1]
	v_lshlrev_b64 v[50:51], 2, v[4:5]
	;; [unrolled: 1-line block ×4, first 2 shown]
	v_add_nc_u32_e32 v127, 0x1400, v73
	v_or_b32_e32 v128, 0x800, v73
	v_add_co_u32 v133, vcc_lo, s10, v0
	v_lshl_add_u32 v129, v56, 4, 0x1400
	v_lshl_add_u32 v130, v57, 4, 0x800
	v_add_co_ci_u32_e32 v134, vcc_lo, s11, v1, vcc_lo
	s_add_i32 s22, s22, -8
	s_lshl_b64 s[8:9], s[8:9], 5
	s_lshl_b64 s[10:11], s[18:19], 5
	s_mov_b32 s14, 0
	s_branch .LBB90_21
.LBB90_19:                              ;   in Loop: Header=BB90_21 Depth=1
	v_add_co_u32 v0, vcc_lo, v131, v48
	v_add_co_ci_u32_e32 v1, vcc_lo, v132, v49, vcc_lo
	s_clause 0x1
	flat_load_b32 v218, v[0:1]
	flat_load_b32 v1, v[0:1] offset:256
	s_waitcnt vmcnt(0) lgkmcnt(0)
	v_dual_mul_f32 v0, s15, v218 :: v_dual_mul_f32 v1, s15, v1
.LBB90_20:                              ;   in Loop: Header=BB90_21 Depth=1
	v_dual_add_f32 v36, v36, v124 :: v_dual_add_f32 v41, v41, v122
	v_dual_add_f32 v40, v40, v123 :: v_dual_add_f32 v29, v29, v120
	;; [unrolled: 1-line block ×13, first 2 shown]
	ds_load_b128 v[20:23], v58
	ds_load_b128 v[28:31], v126
	v_dual_add_f32 v78, v160, v78 :: v_dual_add_f32 v77, v162, v77
	v_dual_add_f32 v74, v164, v74 :: v_dual_add_f32 v71, v166, v71
	;; [unrolled: 1-line block ×16, first 2 shown]
	s_waitcnt lgkmcnt(0)
	v_dual_add_f32 v70, v11, v70 :: v_dual_max_f32 v29, v29, v29
	ds_load_b128 v[8:11], v126 offset:128
	v_dual_add_f32 v104, v136, v104 :: v_dual_add_f32 v103, v137, v103
	v_dual_add_f32 v102, v138, v102 :: v_dual_add_f32 v101, v140, v101
	;; [unrolled: 1-line block ×13, first 2 shown]
	v_dual_add_f32 v68, v27, v68 :: v_dual_max_f32 v21, v21, v21
	v_add_f32_e32 v136, v14, v62
	s_waitcnt lgkmcnt(0)
	v_dual_add_f32 v64, v15, v64 :: v_dual_max_f32 v9, v9, v9
	v_dual_add_f32 v6, v6, v63 :: v_dual_add_f32 v137, v19, v46
	ds_load_b128 v[2:5], v126 offset:256
	ds_load_b128 v[12:15], v126 offset:384
	;; [unrolled: 1-line block ×5, first 2 shown]
	v_max_f32_e32 v20, v20, v20
	v_max_f32_e32 v28, v28, v28
	v_dual_add_f32 v94, v47, v40 :: v_dual_add_f32 v121, v190, v45
	v_dual_add_f32 v66, v176, v66 :: v_dual_add_f32 v7, v7, v43
	ds_load_b128 v[36:39], v126 offset:768
	ds_load_b128 v[40:43], v126 offset:896
	v_min_f32_e32 v139, v29, v21
	v_dual_add_f32 v122, v181, v44 :: v_dual_add_f32 v101, v184, v101
	ds_load_b128 v[44:47], v58 offset:1024
	ds_load_b128 v[60:63], v58 offset:1536
	v_dual_add_f32 v92, v146, v92 :: v_dual_add_f32 v91, v147, v91
	v_dual_add_f32 v100, v192, v100 :: v_dual_add_f32 v97, v194, v97
	s_waitcnt lgkmcnt(8)
	v_dual_max_f32 v2, v2, v2 :: v_dual_max_f32 v3, v3, v3
	s_waitcnt lgkmcnt(6)
	v_dual_max_f32 v17, v17, v17 :: v_dual_min_f32 v138, v28, v20
	v_dual_max_f32 v13, v13, v13 :: v_dual_max_f32 v16, v16, v16
	s_waitcnt lgkmcnt(4)
	v_dual_max_f32 v24, v24, v24 :: v_dual_max_f32 v33, v33, v33
	s_delay_alu instid0(VALU_DEP_3) | instskip(SKIP_4) | instid1(VALU_DEP_3)
	v_dual_add_f32 v95, v138, v95 :: v_dual_add_f32 v94, v139, v94
	v_dual_min_f32 v139, v2, v20 :: v_dual_min_f32 v138, v9, v21
	v_max_f32_e32 v8, v8, v8
	s_waitcnt lgkmcnt(3)
	v_dual_max_f32 v36, v36, v36 :: v_dual_max_f32 v25, v25, v25
	v_dual_add_f32 v108, v139, v108 :: v_dual_add_f32 v105, v138, v105
	s_delay_alu instid0(VALU_DEP_3)
	v_dual_min_f32 v140, v8, v20 :: v_dual_min_f32 v139, v13, v21
	v_max_f32_e32 v12, v12, v12
	v_min_f32_e32 v138, v3, v21
	v_max_f32_e32 v37, v37, v37
	s_waitcnt lgkmcnt(2)
	v_max_f32_e32 v41, v41, v41
	v_add_f32_e32 v109, v139, v109
	v_dual_min_f32 v139, v17, v21 :: v_dual_max_f32 v32, v32, v32
	v_max_f32_e32 v40, v40, v40
	v_dual_add_f32 v88, v150, v88 :: v_dual_add_f32 v87, v151, v87
	s_delay_alu instid0(VALU_DEP_3) | instskip(SKIP_4) | instid1(VALU_DEP_4)
	v_add_f32_e32 v111, v139, v111
	v_min_f32_e32 v139, v36, v20
	v_dual_add_f32 v106, v140, v106 :: v_dual_add_f32 v107, v138, v107
	v_min_f32_e32 v140, v12, v20
	v_min_f32_e32 v138, v16, v20
	v_dual_add_f32 v139, v139, v116 :: v_dual_min_f32 v116, v29, v33
	v_dual_add_f32 v86, v152, v86 :: v_dual_add_f32 v85, v153, v85
	s_delay_alu instid0(VALU_DEP_4)
	v_add_f32_e32 v110, v140, v110
	v_min_f32_e32 v140, v25, v21
	v_add_f32_e32 v112, v138, v112
	v_min_f32_e32 v138, v24, v20
	v_dual_add_f32 v96, v186, v96 :: v_dual_add_f32 v91, v205, v91
	v_dual_add_f32 v104, v182, v104 :: v_dual_add_f32 v93, v204, v93
	s_delay_alu instid0(VALU_DEP_3)
	v_add_f32_e32 v114, v138, v114
	v_min_f32_e32 v138, v37, v21
	v_dual_min_f32 v21, v41, v21 :: v_dual_add_f32 v88, v198, v88
	v_add_f32_e32 v85, v208, v85
	s_waitcnt lgkmcnt(1)
	v_max_f32_e32 v44, v44, v44
	v_dual_add_f32 v90, v148, v90 :: v_dual_add_f32 v89, v149, v89
	v_add_f32_e32 v21, v21, v117
	v_min_f32_e32 v117, v3, v33
	v_dual_max_f32 v45, v45, v45 :: v_dual_add_f32 v92, v196, v92
	s_delay_alu instid0(VALU_DEP_4) | instskip(SKIP_1) | instid1(VALU_DEP_4)
	v_dual_add_f32 v89, v206, v89 :: v_dual_add_f32 v90, v197, v90
	v_add_f32_e32 v87, v207, v87
	v_add_f32_e32 v103, v117, v103
	v_dual_min_f32 v117, v24, v32 :: v_dual_add_f32 v138, v138, v115
	v_min_f32_e32 v115, v28, v32
	v_add_f32_e32 v113, v140, v113
	v_dual_add_f32 v82, v156, v82 :: v_dual_add_f32 v81, v158, v81
	v_add_f32_e32 v84, v200, v84
	s_delay_alu instid0(VALU_DEP_4) | instskip(NEXT) | instid1(VALU_DEP_3)
	v_dual_add_f32 v140, v115, v120 :: v_dual_min_f32 v115, v9, v33
	v_dual_min_f32 v20, v40, v20 :: v_dual_add_f32 v81, v202, v81
	s_waitcnt lgkmcnt(0)
	v_dual_max_f32 v61, v61, v61 :: v_dual_max_f32 v60, v60, v60
	s_delay_alu instid0(VALU_DEP_3) | instskip(NEXT) | instid1(VALU_DEP_3)
	v_add_f32_e32 v143, v115, v121
	v_dual_min_f32 v115, v13, v33 :: v_dual_add_f32 v20, v20, v118
	v_min_f32_e32 v118, v8, v32
	v_dual_add_f32 v80, v157, v80 :: v_dual_add_f32 v79, v159, v79
	s_delay_alu instid0(VALU_DEP_3) | instskip(SKIP_2) | instid1(VALU_DEP_4)
	v_dual_add_f32 v100, v115, v100 :: v_dual_min_f32 v115, v17, v33
	v_add_f32_e32 v86, v199, v86
	v_max_f32_e32 v23, v23, v23
	v_add_f32_e32 v79, v214, v79
	v_max_f32_e32 v31, v31, v31
	v_add_f32_e32 v99, v115, v99
	v_dual_add_f32 v141, v116, v119 :: v_dual_min_f32 v116, v2, v32
	v_dual_min_f32 v115, v37, v33 :: v_dual_add_f32 v142, v118, v122
	v_min_f32_e32 v118, v12, v32
	v_dual_add_f32 v80, v210, v80 :: v_dual_add_f32 v75, v216, v75
	s_delay_alu instid0(VALU_DEP_3) | instskip(NEXT) | instid1(VALU_DEP_3)
	v_dual_add_f32 v144, v115, v123 :: v_dual_min_f32 v115, v28, v44
	v_add_f32_e32 v102, v118, v102
	v_min_f32_e32 v118, v25, v33
	v_dual_min_f32 v33, v41, v33 :: v_dual_add_f32 v104, v116, v104
	v_min_f32_e32 v116, v16, v32
	v_max_f32_e32 v22, v22, v22
	s_delay_alu instid0(VALU_DEP_3) | instskip(SKIP_1) | instid1(VALU_DEP_4)
	v_dual_max_f32 v30, v30, v30 :: v_dual_add_f32 v33, v33, v93
	v_min_f32_e32 v93, v9, v45
	v_add_f32_e32 v101, v116, v101
	v_min_f32_e32 v116, v36, v32
	v_dual_min_f32 v32, v40, v32 :: v_dual_max_f32 v11, v11, v11
	s_delay_alu instid0(VALU_DEP_4) | instskip(NEXT) | instid1(VALU_DEP_3)
	v_add_f32_e32 v89, v93, v89
	v_dual_min_f32 v93, v13, v45 :: v_dual_add_f32 v96, v116, v96
	v_dual_max_f32 v10, v10, v10 :: v_dual_max_f32 v5, v5, v5
	v_dual_max_f32 v4, v4, v4 :: v_dual_max_f32 v15, v15, v15
	s_delay_alu instid0(VALU_DEP_3)
	v_add_f32_e32 v85, v93, v85
	v_dual_add_f32 v98, v117, v98 :: v_dual_min_f32 v117, v8, v44
	v_min_f32_e32 v116, v29, v45
	v_min_f32_e32 v93, v17, v45
	;; [unrolled: 1-line block ×4, first 2 shown]
	v_dual_add_f32 v90, v117, v90 :: v_dual_min_f32 v117, v12, v44
	v_dual_add_f32 v91, v116, v91 :: v_dual_min_f32 v116, v3, v45
	v_add_f32_e32 v92, v115, v92
	v_min_f32_e32 v115, v2, v44
	v_dual_min_f32 v12, v12, v60 :: v_dual_add_f32 v83, v93, v83
	v_min_f32_e32 v93, v37, v45
	s_delay_alu instid0(VALU_DEP_3) | instskip(SKIP_1) | instid1(VALU_DEP_4)
	v_dual_min_f32 v37, v37, v61 :: v_dual_add_f32 v88, v115, v88
	v_min_f32_e32 v115, v16, v44
	v_add_f32_e32 v12, v12, v70
	v_add_f32_e32 v32, v32, v124
	v_dual_min_f32 v28, v28, v60 :: v_dual_min_f32 v9, v9, v61
	s_delay_alu instid0(VALU_DEP_4)
	v_add_f32_e32 v84, v115, v84
	v_min_f32_e32 v115, v36, v44
	v_add_f32_e32 v87, v116, v87
	v_min_f32_e32 v116, v24, v44
	v_min_f32_e32 v36, v36, v60
	;; [unrolled: 1-line block ×3, first 2 shown]
	v_dual_add_f32 v86, v117, v86 :: v_dual_add_f32 v81, v115, v81
	s_delay_alu instid0(VALU_DEP_3) | instskip(SKIP_3) | instid1(VALU_DEP_4)
	v_dual_min_f32 v117, v25, v45 :: v_dual_add_f32 v6, v36, v6
	v_add_f32_e32 v36, v37, v64
	v_min_f32_e32 v37, v40, v60
	v_dual_min_f32 v44, v40, v44 :: v_dual_min_f32 v45, v41, v45
	v_dual_add_f32 v80, v117, v80 :: v_dual_min_f32 v3, v3, v61
	s_delay_alu instid0(VALU_DEP_3)
	v_add_f32_e32 v7, v37, v7
	v_dual_min_f32 v37, v31, v23 :: v_dual_min_f32 v40, v41, v61
	v_dual_min_f32 v41, v30, v22 :: v_dual_min_f32 v8, v8, v60
	v_dual_add_f32 v29, v29, v75 :: v_dual_min_f32 v2, v2, v60
	v_dual_add_f32 v3, v3, v69 :: v_dual_min_f32 v16, v16, v60
	v_min_f32_e32 v25, v25, v61
	v_dual_add_f32 v40, v40, v137 :: v_dual_add_f32 v123, v37, v94
	v_dual_min_f32 v60, v11, v23 :: v_dual_min_f32 v37, v10, v22
	v_add_f32_e32 v124, v41, v95
	v_dual_min_f32 v41, v5, v23 :: v_dual_max_f32 v14, v14, v14
	s_delay_alu instid0(VALU_DEP_3) | instskip(SKIP_2) | instid1(VALU_DEP_4)
	v_dual_max_f32 v19, v19, v19 :: v_dual_add_f32 v122, v37, v106
	v_min_f32_e32 v37, v4, v22
	v_dual_add_f32 v121, v60, v105 :: v_dual_min_f32 v60, v15, v23
	v_dual_add_f32 v119, v41, v107 :: v_dual_max_f32 v18, v18, v18
	s_delay_alu instid0(VALU_DEP_3) | instskip(SKIP_3) | instid1(VALU_DEP_3)
	v_dual_min_f32 v41, v14, v22 :: v_dual_add_f32 v120, v37, v108
	v_dual_min_f32 v37, v19, v23 :: v_dual_max_f32 v26, v26, v26
	v_max_f32_e32 v27, v27, v27
	v_dual_add_f32 v117, v60, v109 :: v_dual_max_f32 v38, v38, v38
	v_add_f32_e32 v115, v37, v111
	s_delay_alu instid0(VALU_DEP_4) | instskip(NEXT) | instid1(VALU_DEP_4)
	v_dual_max_f32 v37, v39, v39 :: v_dual_min_f32 v60, v26, v22
	v_dual_min_f32 v39, v27, v23 :: v_dual_add_f32 v82, v201, v82
	v_add_f32_e32 v77, v212, v77
	v_dual_add_f32 v97, v118, v97 :: v_dual_add_f32 v118, v41, v110
	s_delay_alu instid0(VALU_DEP_3) | instskip(SKIP_4) | instid1(VALU_DEP_3)
	v_dual_add_f32 v114, v60, v114 :: v_dual_add_f32 v113, v39, v113
	v_min_f32_e32 v39, v38, v22
	v_min_f32_e32 v41, v18, v22
	v_dual_add_f32 v82, v116, v82 :: v_dual_add_f32 v79, v93, v79
	v_dual_max_f32 v35, v35, v35 :: v_dual_max_f32 v34, v34, v34
	v_add_f32_e32 v116, v41, v112
	v_min_f32_e32 v41, v37, v23
	v_dual_max_f32 v43, v43, v43 :: v_dual_add_f32 v44, v44, v78
	v_dual_add_f32 v45, v45, v76 :: v_dual_add_f32 v28, v28, v77
	v_add_f32_e32 v9, v9, v72
	s_delay_alu instid0(VALU_DEP_4) | instskip(SKIP_3) | instid1(VALU_DEP_3)
	v_add_f32_e32 v111, v41, v138
	v_max_f32_e32 v41, v42, v42
	v_dual_min_f32 v42, v30, v34 :: v_dual_min_f32 v23, v43, v23
	v_dual_add_f32 v16, v16, v67 :: v_dual_add_f32 v17, v17, v66
	v_min_f32_e32 v22, v41, v22
	s_delay_alu instid0(VALU_DEP_3) | instskip(SKIP_2) | instid1(VALU_DEP_4)
	v_add_f32_e32 v108, v42, v140
	v_dual_add_f32 v8, v8, v74 :: v_dual_min_f32 v13, v13, v61
	v_add_f32_e32 v2, v2, v71
	v_add_f32_e32 v110, v22, v20
	v_dual_min_f32 v20, v10, v34 :: v_dual_add_f32 v109, v23, v21
	v_min_f32_e32 v21, v11, v35
	v_dual_min_f32 v23, v15, v35 :: v_dual_min_f32 v22, v4, v34
	s_delay_alu instid0(VALU_DEP_3) | instskip(NEXT) | instid1(VALU_DEP_3)
	v_add_f32_e32 v106, v20, v142
	v_dual_min_f32 v20, v14, v34 :: v_dual_add_f32 v105, v21, v143
	s_delay_alu instid0(VALU_DEP_3) | instskip(SKIP_1) | instid1(VALU_DEP_3)
	v_dual_min_f32 v21, v5, v35 :: v_dual_add_f32 v104, v22, v104
	v_min_f32_e32 v22, v27, v35
	v_add_f32_e32 v102, v20, v102
	v_dual_min_f32 v20, v18, v34 :: v_dual_add_f32 v13, v13, v68
	v_dual_add_f32 v24, v24, v65 :: v_dual_add_f32 v25, v25, v136
	s_delay_alu instid0(VALU_DEP_4) | instskip(NEXT) | instid1(VALU_DEP_3)
	v_add_f32_e32 v97, v22, v97
	v_dual_add_f32 v101, v20, v101 :: v_dual_min_f32 v20, v38, v34
	v_add_f32_e32 v100, v23, v100
	v_add_f32_e32 v112, v39, v139
	v_min_f32_e32 v39, v31, v35
	s_delay_alu instid0(VALU_DEP_4) | instskip(SKIP_2) | instid1(VALU_DEP_4)
	v_dual_min_f32 v23, v26, v34 :: v_dual_add_f32 v96, v20, v96
	v_add_f32_e32 v103, v21, v103
	v_dual_min_f32 v21, v19, v35 :: v_dual_max_f32 v22, v46, v46
	v_dual_add_f32 v107, v39, v141 :: v_dual_min_f32 v34, v41, v34
	s_delay_alu instid0(VALU_DEP_2) | instskip(SKIP_2) | instid1(VALU_DEP_4)
	v_dual_add_f32 v98, v23, v98 :: v_dual_add_f32 v99, v21, v99
	v_min_f32_e32 v21, v37, v35
	v_add_co_u32 v131, vcc_lo, v131, s8
	v_add_f32_e32 v94, v34, v32
	v_add_co_ci_u32_e32 v132, vcc_lo, s9, v132, vcc_lo
	s_delay_alu instid0(VALU_DEP_4) | instskip(SKIP_3) | instid1(VALU_DEP_3)
	v_add_f32_e32 v95, v21, v144
	v_max_f32_e32 v21, v47, v47
	v_add_co_u32 v133, vcc_lo, v133, s10
	v_add_co_ci_u32_e32 v134, vcc_lo, s11, v134, vcc_lo
	v_min_f32_e32 v20, v31, v21
	s_add_i32 s14, s14, 8
	ds_store_b32 v127, v135
	ds_store_2addr_stride64_b32 v128, v0, v1 offset1:4
	s_cmp_ge_i32 s14, s22
	s_waitcnt lgkmcnt(0)
	v_dual_add_f32 v91, v20, v91 :: v_dual_min_f32 v20, v10, v22
	s_barrier
	buffer_gl0_inv
	v_dual_add_f32 v90, v20, v90 :: v_dual_min_f32 v23, v43, v35
	v_min_f32_e32 v32, v5, v21
	s_delay_alu instid0(VALU_DEP_2) | instskip(SKIP_1) | instid1(VALU_DEP_3)
	v_dual_min_f32 v20, v14, v22 :: v_dual_add_f32 v93, v23, v33
	v_min_f32_e32 v23, v11, v21
	v_dual_add_f32 v87, v32, v87 :: v_dual_min_f32 v32, v18, v22
	s_delay_alu instid0(VALU_DEP_3) | instskip(NEXT) | instid1(VALU_DEP_3)
	v_dual_min_f32 v33, v15, v21 :: v_dual_add_f32 v86, v20, v86
	v_add_f32_e32 v89, v23, v89
	v_dual_min_f32 v23, v4, v22 :: v_dual_min_f32 v20, v27, v21
	s_delay_alu instid0(VALU_DEP_4) | instskip(SKIP_1) | instid1(VALU_DEP_3)
	v_add_f32_e32 v84, v32, v84
	v_dual_max_f32 v32, v63, v63 :: v_dual_min_f32 v35, v30, v22
	v_add_f32_e32 v88, v23, v88
	v_min_f32_e32 v23, v19, v21
	v_dual_add_f32 v85, v33, v85 :: v_dual_add_f32 v80, v20, v80
	s_delay_alu instid0(VALU_DEP_4) | instskip(NEXT) | instid1(VALU_DEP_3)
	v_dual_min_f32 v20, v38, v22 :: v_dual_min_f32 v11, v11, v32
	v_add_f32_e32 v83, v23, v83
	v_min_f32_e32 v23, v37, v21
	v_min_f32_e32 v21, v43, v21
	;; [unrolled: 1-line block ×4, first 2 shown]
	v_dual_add_f32 v72, v11, v9 :: v_dual_min_f32 v5, v5, v32
	v_add_f32_e32 v92, v35, v92
	s_delay_alu instid0(VALU_DEP_3) | instskip(SKIP_4) | instid1(VALU_DEP_4)
	v_dual_add_f32 v78, v22, v44 :: v_dual_add_f32 v79, v23, v79
	v_max_f32_e32 v23, v62, v62
	v_min_f32_e32 v31, v31, v32
	v_add_f32_e32 v69, v5, v3
	v_min_f32_e32 v3, v15, v32
	v_dual_add_f32 v81, v20, v81 :: v_dual_min_f32 v10, v10, v23
	s_delay_alu instid0(VALU_DEP_4) | instskip(SKIP_2) | instid1(VALU_DEP_4)
	v_dual_add_f32 v75, v31, v29 :: v_dual_min_f32 v4, v4, v23
	v_min_f32_e32 v20, v30, v23
	v_add_f32_e32 v76, v21, v45
	v_add_f32_e32 v74, v10, v8
	s_delay_alu instid0(VALU_DEP_4) | instskip(SKIP_2) | instid1(VALU_DEP_3)
	v_dual_min_f32 v8, v41, v23 :: v_dual_add_f32 v71, v4, v2
	v_min_f32_e32 v4, v19, v32
	v_dual_min_f32 v2, v14, v23 :: v_dual_add_f32 v77, v20, v28
	v_dual_add_f32 v82, v33, v82 :: v_dual_add_f32 v61, v8, v7
	s_delay_alu instid0(VALU_DEP_3)
	v_add_f32_e32 v66, v4, v17
	v_min_f32_e32 v4, v38, v23
	v_add_f32_e32 v68, v3, v13
	v_min_f32_e32 v3, v27, v32
	v_min_f32_e32 v5, v18, v23
	v_add_f32_e32 v70, v2, v12
	v_dual_min_f32 v2, v26, v23 :: v_dual_add_f32 v63, v4, v6
	s_delay_alu instid0(VALU_DEP_3) | instskip(SKIP_2) | instid1(VALU_DEP_4)
	v_dual_add_f32 v62, v3, v25 :: v_dual_add_f32 v67, v5, v16
	v_min_f32_e32 v3, v37, v32
	v_min_f32_e32 v5, v43, v32
	v_add_f32_e32 v65, v2, v24
	s_delay_alu instid0(VALU_DEP_3) | instskip(NEXT) | instid1(VALU_DEP_3)
	v_add_f32_e32 v64, v3, v36
	v_add_f32_e32 v60, v5, v40
	s_cbranch_scc1 .LBB90_31
.LBB90_21:                              ; =>This Inner Loop Header: Depth=1
	s_and_b32 vcc_lo, exec_lo, s3
	s_cbranch_vccnz .LBB90_24
; %bb.22:                               ;   in Loop: Header=BB90_21 Depth=1
	v_add_co_u32 v0, vcc_lo, v133, v54
	v_add_co_ci_u32_e32 v1, vcc_lo, v134, v55, vcc_lo
	flat_load_b32 v0, v[0:1]
	s_waitcnt vmcnt(0) lgkmcnt(0)
	v_mul_f32_e32 v135, s15, v0
	s_and_b32 vcc_lo, exec_lo, s3
	s_cbranch_vccnz .LBB90_25
.LBB90_23:                              ;   in Loop: Header=BB90_21 Depth=1
	v_add_co_u32 v0, vcc_lo, v131, v52
	v_add_co_ci_u32_e32 v1, vcc_lo, v132, v53, vcc_lo
	s_clause 0x1
	flat_load_b32 v2, v[0:1]
	flat_load_b32 v0, v[0:1] offset:256
	s_waitcnt vmcnt(0) lgkmcnt(0)
	v_dual_mul_f32 v136, s15, v2 :: v_dual_mul_f32 v137, s15, v0
	s_branch .LBB90_26
.LBB90_24:                              ;   in Loop: Header=BB90_21 Depth=1
	v_mov_b32_e32 v135, 0
	s_and_b32 vcc_lo, exec_lo, s3
	s_cbranch_vccz .LBB90_23
.LBB90_25:                              ;   in Loop: Header=BB90_21 Depth=1
	v_dual_mov_b32 v136, 0 :: v_dual_mov_b32 v137, 0
.LBB90_26:                              ;   in Loop: Header=BB90_21 Depth=1
	ds_load_b128 v[40:43], v129
	ds_load_b128 v[36:39], v129 offset:128
	ds_load_b128 v[32:35], v129 offset:256
	;; [unrolled: 1-line block ×7, first 2 shown]
	ds_load_b128 v[44:47], v130
	ds_load_b128 v[8:11], v130 offset:512
	ds_load_b128 v[4:7], v130 offset:1024
	;; [unrolled: 1-line block ×3, first 2 shown]
	s_and_b32 vcc_lo, exec_lo, s3
	ds_store_b32 v125, v135
	ds_store_2addr_stride64_b32 v73, v136, v137 offset1:4
	s_waitcnt lgkmcnt(0)
	s_barrier
	buffer_gl0_inv
	s_cbranch_vccnz .LBB90_28
; %bb.27:                               ;   in Loop: Header=BB90_21 Depth=1
	v_add_co_u32 v135, vcc_lo, v133, v50
	v_add_co_ci_u32_e32 v136, vcc_lo, v134, v51, vcc_lo
	flat_load_b32 v135, v[135:136]
	s_waitcnt vmcnt(0) lgkmcnt(0)
	v_mul_f32_e32 v135, s15, v135
	s_branch .LBB90_29
.LBB90_28:                              ;   in Loop: Header=BB90_21 Depth=1
	v_mov_b32_e32 v135, 0
.LBB90_29:                              ;   in Loop: Header=BB90_21 Depth=1
	v_dual_max_f32 v44, v44, v44 :: v_dual_max_f32 v45, v45, v45
	v_dual_max_f32 v162, v40, v40 :: v_dual_max_f32 v163, v41, v41
	;; [unrolled: 1-line block ×6, first 2 shown]
	v_dual_min_f32 v36, v162, v44 :: v_dual_max_f32 v167, v33, v33
	v_dual_max_f32 v166, v32, v32 :: v_dual_max_f32 v169, v29, v29
	v_max_f32_e32 v168, v28, v28
	v_dual_max_f32 v172, v20, v20 :: v_dual_max_f32 v173, v21, v21
	v_dual_min_f32 v16, v170, v44 :: v_dual_max_f32 v177, v13, v13
	v_dual_max_f32 v145, v8, v8 :: v_dual_max_f32 v146, v9, v9
	v_max_f32_e32 v176, v12, v12
	v_dual_min_f32 v158, v174, v160 :: v_dual_max_f32 v1, v1, v1
	v_dual_max_f32 v0, v0, v0 :: v_dual_min_f32 v159, v175, v161
	v_dual_max_f32 v179, v46, v46 :: v_dual_max_f32 v180, v47, v47
	v_dual_max_f32 v218, v30, v30 :: v_dual_max_f32 v219, v31, v31
	v_dual_min_f32 v40, v163, v45 :: v_dual_min_f32 v41, v164, v44
	v_dual_min_f32 v28, v165, v45 :: v_dual_min_f32 v29, v166, v44
	v_min_f32_e32 v37, v169, v45
	v_dual_min_f32 v32, v167, v45 :: v_dual_min_f32 v33, v168, v44
	v_dual_min_f32 v20, v171, v45 :: v_dual_min_f32 v21, v172, v44
	;; [unrolled: 1-line block ×4, first 2 shown]
	v_min_f32_e32 v13, v162, v145
	v_dual_min_f32 v8, v175, v45 :: v_dual_min_f32 v9, v176, v44
	v_dual_min_f32 v44, v164, v145 :: v_dual_min_f32 v45, v165, v146
	;; [unrolled: 1-line block ×6, first 2 shown]
	v_min_f32_e32 v144, v174, v145
	v_dual_min_f32 v4, v175, v146 :: v_dual_min_f32 v5, v176, v145
	v_dual_min_f32 v145, v177, v146 :: v_dual_min_f32 v146, v162, v160
	;; [unrolled: 1-line block ×14, first 2 shown]
	v_dual_min_f32 v175, v175, v1 :: v_dual_max_f32 v212, v42, v42
	v_max_f32_e32 v213, v43, v43
	v_dual_max_f32 v217, v38, v38 :: v_dual_min_f32 v46, v177, v1
	v_dual_min_f32 v43, v176, v0 :: v_dual_max_f32 v0, v39, v39
	v_max_f32_e32 v1, v34, v34
	v_dual_min_f32 v39, v219, v180 :: v_dual_max_f32 v220, v26, v26
	v_dual_max_f32 v223, v23, v23 :: v_dual_max_f32 v224, v18, v18
	v_dual_max_f32 v19, v19, v19 :: v_dual_max_f32 v10, v10, v10
	;; [unrolled: 1-line block ×3, first 2 shown]
	v_dual_min_f32 v160, v176, v160 :: v_dual_min_f32 v161, v177, v161
	v_dual_max_f32 v221, v27, v27 :: v_dual_max_f32 v222, v22, v22
	v_max_f32_e32 v176, v35, v35
	v_dual_min_f32 v18, v220, v179 :: v_dual_max_f32 v225, v14, v14
	v_dual_max_f32 v226, v15, v15 :: v_dual_min_f32 v181, v217, v10
	v_max_f32_e32 v11, v11, v11
	v_dual_min_f32 v210, v223, v7 :: v_dual_max_f32 v227, v2, v2
	s_delay_alu instid0(VALU_DEP_4)
	v_dual_max_f32 v228, v3, v3 :: v_dual_min_f32 v211, v225, v6
	v_dual_min_f32 v38, v212, v179 :: v_dual_min_f32 v47, v213, v180
	v_min_f32_e32 v42, v217, v179
	v_dual_min_f32 v34, v0, v180 :: v_dual_min_f32 v31, v218, v179
	v_min_f32_e32 v177, v221, v180
	v_dual_min_f32 v30, v1, v179 :: v_dual_min_f32 v35, v176, v180
	v_dual_min_f32 v22, v222, v179 :: v_dual_min_f32 v187, v19, v180
	;; [unrolled: 1-line block ×5, first 2 shown]
	v_min_f32_e32 v184, v220, v10
	v_dual_min_f32 v190, v0, v11 :: v_dual_min_f32 v183, v218, v10
	v_dual_min_f32 v182, v1, v10 :: v_dual_min_f32 v191, v176, v11
	v_dual_min_f32 v192, v219, v11 :: v_dual_min_f32 v185, v222, v10
	v_dual_min_f32 v193, v221, v11 :: v_dual_min_f32 v186, v224, v10
	v_dual_min_f32 v194, v223, v11 :: v_dual_min_f32 v195, v225, v10
	v_dual_min_f32 v203, v19, v11 :: v_dual_min_f32 v196, v212, v6
	v_dual_min_f32 v204, v226, v11 :: v_dual_min_f32 v197, v217, v6
	v_dual_min_f32 v205, v213, v7 :: v_dual_min_f32 v200, v220, v6
	v_dual_min_f32 v206, v0, v7 :: v_dual_min_f32 v199, v218, v6
	v_dual_min_f32 v198, v1, v6 :: v_dual_min_f32 v207, v176, v7
	v_dual_min_f32 v208, v219, v7 :: v_dual_min_f32 v201, v222, v6
	v_dual_min_f32 v209, v221, v7 :: v_dual_min_f32 v202, v224, v6
	v_min_f32_e32 v214, v19, v7
	v_dual_min_f32 v215, v226, v7 :: v_dual_min_f32 v216, v213, v228
	v_dual_min_f32 v212, v212, v227 :: v_dual_min_f32 v27, v219, v228
	;; [unrolled: 1-line block ×4, first 2 shown]
	v_min_f32_e32 v15, v19, v228
	v_dual_min_f32 v11, v218, v227 :: v_dual_min_f32 v176, v221, v228
	v_dual_min_f32 v2, v220, v227 :: v_dual_min_f32 v19, v226, v228
	;; [unrolled: 1-line block ×3, first 2 shown]
	v_min_f32_e32 v6, v224, v227
	v_min_f32_e32 v7, v225, v227
	s_and_b32 vcc_lo, exec_lo, s3
	s_cbranch_vccz .LBB90_19
; %bb.30:                               ;   in Loop: Header=BB90_21 Depth=1
	v_dual_mov_b32 v0, 0 :: v_dual_mov_b32 v1, 0
	s_branch .LBB90_20
.LBB90_31:
	s_load_b32 s8, s[0:1], 0x58
	v_add_nc_u32_e32 v48, s21, v57
	ds_load_b128 v[0:3], v59 offset:5120
	ds_load_b128 v[40:43], v58 offset:2048
	v_add_nc_u32_e32 v46, s20, v56
	v_cmp_neq_f32_e64 s9, s13, 0
	v_mov_b32_e32 v52, 0
	v_mov_b32_e32 v50, 0
	s_delay_alu instid0(VALU_DEP_4) | instskip(NEXT) | instid1(VALU_DEP_4)
	v_ashrrev_i32_e32 v47, 31, v46
	s_and_b32 vcc_lo, exec_lo, s9
	s_delay_alu instid0(VALU_DEP_1) | instskip(SKIP_2) | instid1(VALU_DEP_1)
	v_lshlrev_b64 v[44:45], 2, v[46:47]
	s_waitcnt lgkmcnt(0)
	v_mad_i64_i32 v[4:5], null, v48, s8, 0
	v_lshlrev_b64 v[4:5], 2, v[4:5]
	s_delay_alu instid0(VALU_DEP_1) | instskip(NEXT) | instid1(VALU_DEP_1)
	v_add_co_u32 v125, s3, s4, v4
	v_add_co_ci_u32_e64 v126, s3, s5, v5, s3
	s_cbranch_vccz .LBB90_33
; %bb.32:
	s_delay_alu instid0(VALU_DEP_2) | instskip(NEXT) | instid1(VALU_DEP_2)
	v_add_co_u32 v4, vcc_lo, v125, v44
	v_add_co_ci_u32_e32 v5, vcc_lo, v126, v45, vcc_lo
	flat_load_b32 v4, v[4:5]
	s_waitcnt vmcnt(0) lgkmcnt(0)
	v_mul_f32_e32 v50, s13, v4
.LBB90_33:
	s_clause 0x1
	s_load_b64 s[10:11], s[0:1], 0x78
	s_load_b32 s1, s[0:1], 0x70
	v_dual_max_f32 v127, v40, v40 :: v_dual_max_f32 v128, v41, v41
	v_max_f32_e32 v47, v0, v0
	v_max_f32_e32 v49, v1, v1
	;; [unrolled: 1-line block ×3, first 2 shown]
	ds_load_b128 v[36:39], v59 offset:5248
	ds_load_b128 v[32:35], v59 offset:5376
	;; [unrolled: 1-line block ×9, first 2 shown]
	v_min_f32_e32 v0, v47, v127
	s_delay_alu instid0(VALU_DEP_1) | instskip(SKIP_4) | instid1(VALU_DEP_2)
	v_dual_add_f32 v51, v0, v124 :: v_dual_max_f32 v124, v42, v42
	v_dual_max_f32 v42, v2, v2 :: v_dual_min_f32 v1, v49, v128
	s_waitcnt lgkmcnt(0)
	s_mul_i32 s0, s12, s11
	v_mad_i64_i32 v[40:41], null, v48, s1, 0
	v_add_f32_e32 v53, v1, v123
	v_max_f32_e32 v43, v3, v3
	v_min_f32_e32 v55, v42, v124
	s_mul_hi_u32 s3, s12, s10
	ds_load_b128 v[0:3], v58 offset:3584
	s_mul_i32 s10, s12, s10
	v_min_f32_e32 v54, v43, v129
	s_add_i32 s11, s3, s0
	v_lshlrev_b64 v[40:41], 2, v[40:41]
	v_add_f32_e32 v51, v55, v51
	s_lshl_b64 s[10:11], s[10:11], 2
	v_dual_add_f32 v56, v54, v53 :: v_dual_add_nc_u32 v53, 8, v46
	s_add_u32 s3, s6, s10
	s_addc_u32 s6, s7, s11
	v_add_co_u32 v123, vcc_lo, s3, v40
	s_delay_alu instid0(VALU_DEP_2) | instskip(SKIP_3) | instid1(VALU_DEP_4)
	v_add_f32_e32 v51, v51, v56
	v_ashrrev_i32_e32 v54, 31, v53
	v_cndmask_b32_e64 v55, 0, 1, s9
	v_add_co_ci_u32_e32 v130, vcc_lo, s6, v41, vcc_lo
	v_add_f32_e32 v56, v51, v50
	v_add_co_u32 v50, vcc_lo, v123, v44
	v_lshlrev_b64 v[40:41], 2, v[53:54]
	v_cmp_ne_u32_e64 s0, 1, v55
	v_add_co_ci_u32_e32 v51, vcc_lo, v130, v45, vcc_lo
	s_and_not1_b32 vcc_lo, exec_lo, s9
	global_store_b32 v[50:51], v56, off
	s_cbranch_vccnz .LBB90_35
; %bb.34:
	v_add_co_u32 v50, vcc_lo, v125, v40
	v_add_co_ci_u32_e32 v51, vcc_lo, v126, v41, vcc_lo
	flat_load_b32 v50, v[50:51]
	s_waitcnt vmcnt(0) lgkmcnt(0)
	v_mul_f32_e32 v52, s13, v50
.LBB90_35:
	v_dual_max_f32 v51, v37, v37 :: v_dual_max_f32 v50, v36, v36
	v_dual_max_f32 v38, v38, v38 :: v_dual_max_f32 v39, v39, v39
	v_add_co_u32 v57, vcc_lo, v123, v40
	s_delay_alu instid0(VALU_DEP_3) | instskip(NEXT) | instid1(VALU_DEP_3)
	v_dual_min_f32 v36, v51, v128 :: v_dual_min_f32 v37, v50, v127
	v_dual_min_f32 v53, v38, v124 :: v_dual_min_f32 v54, v39, v129
	v_add_co_ci_u32_e32 v58, vcc_lo, v130, v41, vcc_lo
	s_delay_alu instid0(VALU_DEP_3) | instskip(NEXT) | instid1(VALU_DEP_4)
	v_dual_add_f32 v55, v36, v121 :: v_dual_add_nc_u32 v36, 16, v46
	v_dual_add_f32 v37, v37, v122 :: v_dual_mov_b32 v56, 0
	s_and_b32 vcc_lo, exec_lo, s0
	s_delay_alu instid0(VALU_DEP_1) | instskip(NEXT) | instid1(VALU_DEP_3)
	v_dual_add_f32 v54, v54, v55 :: v_dual_add_f32 v53, v53, v37
	v_ashrrev_i32_e32 v37, 31, v36
	s_delay_alu instid0(VALU_DEP_2) | instskip(NEXT) | instid1(VALU_DEP_2)
	v_dual_add_f32 v53, v53, v54 :: v_dual_mov_b32 v54, 0
	v_lshlrev_b64 v[36:37], 2, v[36:37]
	s_delay_alu instid0(VALU_DEP_2)
	v_add_f32_e32 v52, v53, v52
	global_store_b32 v[57:58], v52, off
	s_cbranch_vccnz .LBB90_37
; %bb.36:
	v_add_co_u32 v52, vcc_lo, v125, v36
	v_add_co_ci_u32_e32 v53, vcc_lo, v126, v37, vcc_lo
	flat_load_b32 v52, v[52:53]
	s_waitcnt vmcnt(0) lgkmcnt(0)
	v_mul_f32_e32 v54, s13, v52
.LBB90_37:
	v_dual_max_f32 v53, v33, v33 :: v_dual_max_f32 v52, v32, v32
	v_dual_max_f32 v34, v34, v34 :: v_dual_max_f32 v35, v35, v35
	s_delay_alu instid0(VALU_DEP_2) | instskip(NEXT) | instid1(VALU_DEP_2)
	v_dual_min_f32 v32, v53, v128 :: v_dual_min_f32 v33, v52, v127
	v_min_f32_e32 v55, v34, v124
	s_delay_alu instid0(VALU_DEP_2) | instskip(NEXT) | instid1(VALU_DEP_3)
	v_dual_min_f32 v57, v35, v129 :: v_dual_add_f32 v58, v32, v119
	v_dual_add_f32 v33, v33, v120 :: v_dual_add_nc_u32 v32, 24, v46
	s_delay_alu instid0(VALU_DEP_2) | instskip(NEXT) | instid1(VALU_DEP_2)
	v_add_f32_e32 v57, v57, v58
	v_add_f32_e32 v55, v55, v33
	s_delay_alu instid0(VALU_DEP_3) | instskip(NEXT) | instid1(VALU_DEP_2)
	v_ashrrev_i32_e32 v33, 31, v32
	v_add_f32_e32 v55, v55, v57
	v_add_co_u32 v57, vcc_lo, v123, v36
	s_delay_alu instid0(VALU_DEP_3) | instskip(SKIP_1) | instid1(VALU_DEP_4)
	v_lshlrev_b64 v[32:33], 2, v[32:33]
	v_add_co_ci_u32_e32 v58, vcc_lo, v130, v37, vcc_lo
	v_add_f32_e32 v54, v55, v54
	s_and_b32 vcc_lo, exec_lo, s0
	global_store_b32 v[57:58], v54, off
	s_cbranch_vccnz .LBB90_39
; %bb.38:
	v_add_co_u32 v54, vcc_lo, v125, v32
	v_add_co_ci_u32_e32 v55, vcc_lo, v126, v33, vcc_lo
	flat_load_b32 v54, v[54:55]
	s_waitcnt vmcnt(0) lgkmcnt(0)
	v_mul_f32_e32 v56, s13, v54
.LBB90_39:
	v_dual_max_f32 v55, v29, v29 :: v_dual_max_f32 v54, v28, v28
	v_dual_max_f32 v30, v30, v30 :: v_dual_max_f32 v31, v31, v31
	s_delay_alu instid0(VALU_DEP_2) | instskip(NEXT) | instid1(VALU_DEP_2)
	v_dual_min_f32 v28, v55, v128 :: v_dual_min_f32 v29, v54, v127
	v_dual_min_f32 v57, v30, v124 :: v_dual_min_f32 v58, v31, v129
	s_delay_alu instid0(VALU_DEP_2) | instskip(NEXT) | instid1(VALU_DEP_3)
	v_dual_add_f32 v59, v28, v117 :: v_dual_add_nc_u32 v28, 32, v46
	v_add_f32_e32 v29, v29, v118
	v_add_co_u32 v117, vcc_lo, v123, v32
	s_delay_alu instid0(VALU_DEP_3) | instskip(SKIP_1) | instid1(VALU_DEP_4)
	v_add_f32_e32 v58, v58, v59
	v_add_co_ci_u32_e32 v118, vcc_lo, v130, v33, vcc_lo
	v_add_f32_e32 v57, v57, v29
	v_ashrrev_i32_e32 v29, 31, v28
	s_and_b32 vcc_lo, exec_lo, s0
	s_delay_alu instid0(VALU_DEP_2) | instskip(NEXT) | instid1(VALU_DEP_2)
	v_dual_add_f32 v57, v57, v58 :: v_dual_mov_b32 v58, 0
	v_lshlrev_b64 v[28:29], 2, v[28:29]
	s_delay_alu instid0(VALU_DEP_2)
	v_dual_mov_b32 v73, 0 :: v_dual_add_f32 v56, v57, v56
	global_store_b32 v[117:118], v56, off
	s_cbranch_vccnz .LBB90_41
; %bb.40:
	v_add_co_u32 v56, vcc_lo, v125, v28
	v_add_co_ci_u32_e32 v57, vcc_lo, v126, v29, vcc_lo
	flat_load_b32 v56, v[56:57]
	s_waitcnt vmcnt(0) lgkmcnt(0)
	v_mul_f32_e32 v58, s13, v56
.LBB90_41:
	v_dual_max_f32 v57, v25, v25 :: v_dual_max_f32 v56, v24, v24
	v_dual_max_f32 v26, v26, v26 :: v_dual_max_f32 v27, v27, v27
	s_delay_alu instid0(VALU_DEP_2) | instskip(NEXT) | instid1(VALU_DEP_2)
	v_dual_min_f32 v24, v57, v128 :: v_dual_min_f32 v25, v56, v127
	v_min_f32_e32 v59, v26, v124
	s_delay_alu instid0(VALU_DEP_3) | instskip(NEXT) | instid1(VALU_DEP_3)
	v_min_f32_e32 v117, v27, v129
	v_add_f32_e32 v115, v24, v115
	s_delay_alu instid0(VALU_DEP_4) | instskip(NEXT) | instid1(VALU_DEP_2)
	v_dual_add_f32 v25, v25, v116 :: v_dual_add_nc_u32 v24, 40, v46
	v_add_f32_e32 v115, v117, v115
	s_delay_alu instid0(VALU_DEP_2) | instskip(NEXT) | instid1(VALU_DEP_3)
	v_add_f32_e32 v59, v59, v25
	v_ashrrev_i32_e32 v25, 31, v24
	s_delay_alu instid0(VALU_DEP_2) | instskip(SKIP_1) | instid1(VALU_DEP_3)
	v_add_f32_e32 v59, v59, v115
	v_add_co_u32 v115, vcc_lo, v123, v28
	v_lshlrev_b64 v[24:25], 2, v[24:25]
	v_add_co_ci_u32_e32 v116, vcc_lo, v130, v29, vcc_lo
	s_delay_alu instid0(VALU_DEP_4)
	v_add_f32_e32 v58, v59, v58
	s_and_b32 vcc_lo, exec_lo, s0
	global_store_b32 v[115:116], v58, off
	s_cbranch_vccnz .LBB90_43
; %bb.42:
	v_add_co_u32 v58, vcc_lo, v125, v24
	v_add_co_ci_u32_e32 v59, vcc_lo, v126, v25, vcc_lo
	flat_load_b32 v58, v[58:59]
	s_waitcnt vmcnt(0) lgkmcnt(0)
	v_mul_f32_e32 v73, s13, v58
.LBB90_43:
	v_dual_max_f32 v59, v21, v21 :: v_dual_max_f32 v58, v20, v20
	v_dual_max_f32 v22, v22, v22 :: v_dual_max_f32 v23, v23, v23
	s_delay_alu instid0(VALU_DEP_2) | instskip(NEXT) | instid1(VALU_DEP_2)
	v_dual_min_f32 v20, v59, v128 :: v_dual_min_f32 v21, v58, v127
	v_dual_min_f32 v115, v22, v124 :: v_dual_min_f32 v116, v23, v129
	s_delay_alu instid0(VALU_DEP_2) | instskip(NEXT) | instid1(VALU_DEP_3)
	v_dual_add_f32 v113, v20, v113 :: v_dual_add_nc_u32 v20, 48, v46
	v_add_f32_e32 v21, v21, v114
	s_delay_alu instid0(VALU_DEP_2) | instskip(SKIP_1) | instid1(VALU_DEP_3)
	v_add_f32_e32 v113, v116, v113
	v_add_co_u32 v116, vcc_lo, v123, v24
	v_dual_add_f32 v114, v115, v21 :: v_dual_mov_b32 v115, 0
	v_ashrrev_i32_e32 v21, 31, v20
	v_add_co_ci_u32_e32 v117, vcc_lo, v130, v25, vcc_lo
	s_delay_alu instid0(VALU_DEP_3) | instskip(NEXT) | instid1(VALU_DEP_3)
	v_dual_add_f32 v113, v114, v113 :: v_dual_mov_b32 v114, 0
	v_lshlrev_b64 v[20:21], 2, v[20:21]
	s_and_b32 vcc_lo, exec_lo, s0
	s_delay_alu instid0(VALU_DEP_2)
	v_add_f32_e32 v73, v113, v73
	global_store_b32 v[116:117], v73, off
	s_cbranch_vccnz .LBB90_45
; %bb.44:
	v_add_co_u32 v115, vcc_lo, v125, v20
	v_add_co_ci_u32_e32 v116, vcc_lo, v126, v21, vcc_lo
	flat_load_b32 v73, v[115:116]
	s_waitcnt vmcnt(0) lgkmcnt(0)
	v_mul_f32_e32 v115, s13, v73
.LBB90_45:
	v_dual_max_f32 v113, v17, v17 :: v_dual_max_f32 v18, v18, v18
	v_max_f32_e32 v73, v16, v16
	s_delay_alu instid0(VALU_DEP_2) | instskip(NEXT) | instid1(VALU_DEP_1)
	v_dual_max_f32 v19, v19, v19 :: v_dual_min_f32 v16, v113, v128
	v_dual_min_f32 v116, v18, v124 :: v_dual_min_f32 v117, v19, v129
	s_delay_alu instid0(VALU_DEP_2) | instskip(NEXT) | instid1(VALU_DEP_4)
	v_dual_add_f32 v111, v16, v111 :: v_dual_add_nc_u32 v16, 56, v46
	v_min_f32_e32 v17, v73, v127
	s_delay_alu instid0(VALU_DEP_2) | instskip(NEXT) | instid1(VALU_DEP_2)
	v_add_f32_e32 v46, v117, v111
	v_add_f32_e32 v17, v17, v112
	s_delay_alu instid0(VALU_DEP_1) | instskip(SKIP_1) | instid1(VALU_DEP_2)
	v_add_f32_e32 v111, v116, v17
	v_ashrrev_i32_e32 v17, 31, v16
	v_add_f32_e32 v46, v111, v46
	v_add_co_u32 v111, vcc_lo, v123, v20
	s_delay_alu instid0(VALU_DEP_3) | instskip(SKIP_1) | instid1(VALU_DEP_4)
	v_lshlrev_b64 v[16:17], 2, v[16:17]
	v_add_co_ci_u32_e32 v112, vcc_lo, v130, v21, vcc_lo
	v_add_f32_e32 v46, v46, v115
	s_and_b32 vcc_lo, exec_lo, s0
	global_store_b32 v[111:112], v46, off
	s_cbranch_vccnz .LBB90_47
; %bb.46:
	v_add_co_u32 v111, vcc_lo, v125, v16
	v_add_co_ci_u32_e32 v112, vcc_lo, v126, v17, vcc_lo
	flat_load_b32 v46, v[111:112]
	s_waitcnt vmcnt(0) lgkmcnt(0)
	v_mul_f32_e32 v114, s13, v46
.LBB90_47:
	v_dual_max_f32 v12, v12, v12 :: v_dual_max_f32 v13, v13, v13
	v_dual_max_f32 v14, v14, v14 :: v_dual_add_nc_u32 v115, 32, v48
	v_max_f32_e32 v15, v15, v15
	s_delay_alu instid0(VALU_DEP_3) | instskip(NEXT) | instid1(VALU_DEP_4)
	v_min_f32_e32 v46, v12, v127
	v_min_f32_e32 v116, v13, v128
	s_delay_alu instid0(VALU_DEP_4) | instskip(SKIP_2) | instid1(VALU_DEP_4)
	v_min_f32_e32 v117, v14, v124
	v_mad_i64_i32 v[111:112], null, v115, s8, 0
	v_min_f32_e32 v118, v15, v129
	v_add_f32_e32 v116, v116, v109
	v_add_f32_e32 v46, v46, v110
	s_delay_alu instid0(VALU_DEP_4) | instskip(NEXT) | instid1(VALU_DEP_3)
	v_lshlrev_b64 v[109:110], 2, v[111:112]
	v_add_f32_e32 v116, v118, v116
	s_delay_alu instid0(VALU_DEP_3) | instskip(SKIP_2) | instid1(VALU_DEP_3)
	v_add_f32_e32 v46, v117, v46
	v_add_co_u32 v111, vcc_lo, v123, v16
	v_add_co_ci_u32_e32 v112, vcc_lo, v130, v17, vcc_lo
	v_add_f32_e32 v116, v46, v116
	v_add_co_u32 v46, vcc_lo, s4, v109
	v_add_co_ci_u32_e32 v109, vcc_lo, s5, v110, vcc_lo
	s_delay_alu instid0(VALU_DEP_3)
	v_add_f32_e32 v110, v116, v114
	v_mov_b32_e32 v114, 0
	v_mov_b32_e32 v116, 0
	s_and_b32 vcc_lo, exec_lo, s0
	global_store_b32 v[111:112], v110, off
	s_cbranch_vccnz .LBB90_49
; %bb.48:
	v_add_co_u32 v110, vcc_lo, v46, v44
	v_add_co_ci_u32_e32 v111, vcc_lo, v109, v45, vcc_lo
	flat_load_b32 v110, v[110:111]
	s_waitcnt vmcnt(0) lgkmcnt(0)
	v_mul_f32_e32 v116, s13, v110
.LBB90_49:
	v_dual_max_f32 v110, v8, v8 :: v_dual_max_f32 v111, v9, v9
	v_max_f32_e32 v112, v10, v10
	v_mad_i64_i32 v[9:10], null, v115, s1, 0
	s_delay_alu instid0(VALU_DEP_3) | instskip(NEXT) | instid1(VALU_DEP_3)
	v_min_f32_e32 v117, v49, v111
	v_dual_max_f32 v8, v11, v11 :: v_dual_min_f32 v115, v42, v112
	v_min_f32_e32 v11, v47, v110
	s_delay_alu instid0(VALU_DEP_2) | instskip(SKIP_1) | instid1(VALU_DEP_3)
	v_dual_add_f32 v107, v117, v107 :: v_dual_min_f32 v118, v43, v8
	v_lshlrev_b64 v[9:10], 2, v[9:10]
	v_add_f32_e32 v11, v11, v108
	s_delay_alu instid0(VALU_DEP_3) | instskip(NEXT) | instid1(VALU_DEP_2)
	v_add_f32_e32 v107, v118, v107
	v_add_f32_e32 v11, v115, v11
	s_delay_alu instid0(VALU_DEP_4) | instskip(SKIP_1) | instid1(VALU_DEP_3)
	v_add_co_u32 v9, vcc_lo, s3, v9
	v_add_co_ci_u32_e32 v10, vcc_lo, s6, v10, vcc_lo
	v_add_f32_e32 v11, v11, v107
	s_delay_alu instid0(VALU_DEP_3) | instskip(NEXT) | instid1(VALU_DEP_3)
	v_add_co_u32 v107, vcc_lo, v9, v44
	v_add_co_ci_u32_e32 v108, vcc_lo, v10, v45, vcc_lo
	s_delay_alu instid0(VALU_DEP_3)
	v_add_f32_e32 v11, v11, v116
	s_and_b32 vcc_lo, exec_lo, s0
	global_store_b32 v[107:108], v11, off
	s_cbranch_vccnz .LBB90_51
; %bb.50:
	v_add_co_u32 v107, vcc_lo, v46, v40
	v_add_co_ci_u32_e32 v108, vcc_lo, v109, v41, vcc_lo
	flat_load_b32 v11, v[107:108]
	s_waitcnt vmcnt(0) lgkmcnt(0)
	v_mul_f32_e32 v114, s13, v11
.LBB90_51:
	v_dual_min_f32 v11, v51, v111 :: v_dual_min_f32 v108, v38, v112
	v_min_f32_e32 v107, v50, v110
	v_min_f32_e32 v115, v39, v8
	s_delay_alu instid0(VALU_DEP_3) | instskip(NEXT) | instid1(VALU_DEP_3)
	v_add_f32_e32 v11, v11, v105
	v_add_f32_e32 v105, v107, v106
	v_add_co_u32 v106, vcc_lo, v9, v40
	s_delay_alu instid0(VALU_DEP_3) | instskip(SKIP_1) | instid1(VALU_DEP_4)
	v_add_f32_e32 v11, v115, v11
	v_add_co_ci_u32_e32 v107, vcc_lo, v10, v41, vcc_lo
	v_add_f32_e32 v105, v108, v105
	s_and_b32 vcc_lo, exec_lo, s0
	s_delay_alu instid0(VALU_DEP_1) | instskip(NEXT) | instid1(VALU_DEP_1)
	v_add_f32_e32 v11, v105, v11
	v_dual_mov_b32 v105, 0 :: v_dual_add_f32 v108, v11, v114
	v_mov_b32_e32 v11, 0
	global_store_b32 v[106:107], v108, off
	s_cbranch_vccnz .LBB90_53
; %bb.52:
	v_add_co_u32 v105, vcc_lo, v46, v36
	v_add_co_ci_u32_e32 v106, vcc_lo, v109, v37, vcc_lo
	flat_load_b32 v105, v[105:106]
	s_waitcnt vmcnt(0) lgkmcnt(0)
	v_mul_f32_e32 v105, s13, v105
.LBB90_53:
	v_dual_min_f32 v106, v53, v111 :: v_dual_min_f32 v107, v52, v110
	s_delay_alu instid0(VALU_DEP_1) | instskip(NEXT) | instid1(VALU_DEP_1)
	v_dual_min_f32 v114, v35, v8 :: v_dual_add_f32 v103, v106, v103
	v_dual_add_f32 v104, v107, v104 :: v_dual_add_f32 v103, v114, v103
	v_min_f32_e32 v108, v34, v112
	s_delay_alu instid0(VALU_DEP_1) | instskip(NEXT) | instid1(VALU_DEP_1)
	v_add_f32_e32 v104, v108, v104
	v_add_f32_e32 v103, v104, v103
	s_delay_alu instid0(VALU_DEP_1)
	v_add_f32_e32 v105, v103, v105
	v_add_co_u32 v103, vcc_lo, v9, v36
	v_add_co_ci_u32_e32 v104, vcc_lo, v10, v37, vcc_lo
	s_and_b32 vcc_lo, exec_lo, s0
	global_store_b32 v[103:104], v105, off
	s_cbranch_vccnz .LBB90_55
; %bb.54:
	v_add_co_u32 v103, vcc_lo, v46, v32
	v_add_co_ci_u32_e32 v104, vcc_lo, v109, v33, vcc_lo
	flat_load_b32 v11, v[103:104]
	s_waitcnt vmcnt(0) lgkmcnt(0)
	v_mul_f32_e32 v11, s13, v11
.LBB90_55:
	v_dual_min_f32 v103, v55, v111 :: v_dual_min_f32 v104, v54, v110
	v_min_f32_e32 v105, v30, v112
	v_min_f32_e32 v106, v31, v8
	s_delay_alu instid0(VALU_DEP_3) | instskip(NEXT) | instid1(VALU_DEP_4)
	v_add_f32_e32 v100, v103, v100
	v_add_f32_e32 v102, v104, v102
	s_delay_alu instid0(VALU_DEP_2) | instskip(NEXT) | instid1(VALU_DEP_2)
	v_add_f32_e32 v100, v106, v100
	v_add_f32_e32 v102, v105, v102
	s_delay_alu instid0(VALU_DEP_1) | instskip(SKIP_2) | instid1(VALU_DEP_3)
	v_add_f32_e32 v100, v102, v100
	v_add_co_u32 v102, vcc_lo, v9, v32
	v_add_co_ci_u32_e32 v103, vcc_lo, v10, v33, vcc_lo
	v_dual_add_f32 v104, v100, v11 :: v_dual_mov_b32 v11, 0
	v_mov_b32_e32 v100, 0
	s_and_b32 vcc_lo, exec_lo, s0
	global_store_b32 v[102:103], v104, off
	s_cbranch_vccnz .LBB90_57
; %bb.56:
	v_add_co_u32 v102, vcc_lo, v46, v28
	v_add_co_ci_u32_e32 v103, vcc_lo, v109, v29, vcc_lo
	flat_load_b32 v100, v[102:103]
	s_waitcnt vmcnt(0) lgkmcnt(0)
	v_mul_f32_e32 v100, s13, v100
.LBB90_57:
	v_dual_min_f32 v102, v57, v111 :: v_dual_min_f32 v103, v56, v110
	v_min_f32_e32 v104, v26, v112
	v_min_f32_e32 v105, v27, v8
	s_delay_alu instid0(VALU_DEP_3) | instskip(NEXT) | instid1(VALU_DEP_4)
	v_add_f32_e32 v99, v102, v99
	v_add_f32_e32 v101, v103, v101
	s_delay_alu instid0(VALU_DEP_2) | instskip(NEXT) | instid1(VALU_DEP_2)
	v_add_f32_e32 v99, v105, v99
	v_add_f32_e32 v101, v104, v101
	s_delay_alu instid0(VALU_DEP_1) | instskip(NEXT) | instid1(VALU_DEP_1)
	v_add_f32_e32 v99, v101, v99
	v_add_f32_e32 v101, v99, v100
	v_add_co_u32 v99, vcc_lo, v9, v28
	v_add_co_ci_u32_e32 v100, vcc_lo, v10, v29, vcc_lo
	s_and_b32 vcc_lo, exec_lo, s0
	global_store_b32 v[99:100], v101, off
	s_cbranch_vccnz .LBB90_59
; %bb.58:
	v_add_co_u32 v99, vcc_lo, v46, v24
	v_add_co_ci_u32_e32 v100, vcc_lo, v109, v25, vcc_lo
	flat_load_b32 v11, v[99:100]
	s_waitcnt vmcnt(0) lgkmcnt(0)
	v_mul_f32_e32 v11, s13, v11
.LBB90_59:
	v_dual_min_f32 v99, v59, v111 :: v_dual_min_f32 v100, v58, v110
	s_delay_alu instid0(VALU_DEP_1) | instskip(NEXT) | instid1(VALU_DEP_1)
	v_dual_min_f32 v101, v22, v112 :: v_dual_add_f32 v98, v100, v98
	v_dual_add_f32 v97, v99, v97 :: v_dual_add_f32 v98, v101, v98
	v_min_f32_e32 v102, v23, v8
	s_delay_alu instid0(VALU_DEP_1) | instskip(NEXT) | instid1(VALU_DEP_1)
	v_add_f32_e32 v97, v102, v97
	v_add_f32_e32 v97, v98, v97
	v_add_co_u32 v98, vcc_lo, v9, v24
	v_add_co_ci_u32_e32 v99, vcc_lo, v10, v25, vcc_lo
	s_delay_alu instid0(VALU_DEP_3)
	v_dual_add_f32 v100, v97, v11 :: v_dual_mov_b32 v11, 0
	v_mov_b32_e32 v97, 0
	s_and_b32 vcc_lo, exec_lo, s0
	global_store_b32 v[98:99], v100, off
	s_cbranch_vccnz .LBB90_61
; %bb.60:
	v_add_co_u32 v97, vcc_lo, v46, v20
	v_add_co_ci_u32_e32 v98, vcc_lo, v109, v21, vcc_lo
	flat_load_b32 v97, v[97:98]
	s_waitcnt vmcnt(0) lgkmcnt(0)
	v_mul_f32_e32 v97, s13, v97
.LBB90_61:
	v_dual_min_f32 v98, v113, v111 :: v_dual_min_f32 v101, v19, v8
	v_dual_min_f32 v99, v73, v110 :: v_dual_min_f32 v100, v18, v112
	s_delay_alu instid0(VALU_DEP_1) | instskip(NEXT) | instid1(VALU_DEP_1)
	v_dual_add_f32 v95, v98, v95 :: v_dual_add_f32 v96, v99, v96
	v_dual_add_f32 v95, v101, v95 :: v_dual_add_f32 v96, v100, v96
	s_delay_alu instid0(VALU_DEP_1) | instskip(NEXT) | instid1(VALU_DEP_1)
	v_add_f32_e32 v95, v96, v95
	v_add_f32_e32 v97, v95, v97
	v_add_co_u32 v95, vcc_lo, v9, v20
	v_add_co_ci_u32_e32 v96, vcc_lo, v10, v21, vcc_lo
	s_and_b32 vcc_lo, exec_lo, s0
	global_store_b32 v[95:96], v97, off
	s_cbranch_vccnz .LBB90_63
; %bb.62:
	v_add_co_u32 v95, vcc_lo, v46, v16
	v_add_co_ci_u32_e32 v96, vcc_lo, v109, v17, vcc_lo
	flat_load_b32 v11, v[95:96]
	s_waitcnt vmcnt(0) lgkmcnt(0)
	v_mul_f32_e32 v11, s13, v11
.LBB90_63:
	v_dual_min_f32 v46, v12, v110 :: v_dual_min_f32 v97, v14, v112
	v_dual_min_f32 v96, v13, v111 :: v_dual_add_nc_u32 v95, 64, v48
	v_min_f32_e32 v8, v15, v8
	s_delay_alu instid0(VALU_DEP_3) | instskip(NEXT) | instid1(VALU_DEP_3)
	v_add_f32_e32 v46, v46, v94
	v_add_f32_e32 v96, v96, v93
	s_delay_alu instid0(VALU_DEP_4) | instskip(NEXT) | instid1(VALU_DEP_3)
	v_mad_i64_i32 v[93:94], null, v95, s8, 0
	v_add_f32_e32 v46, v97, v46
	s_delay_alu instid0(VALU_DEP_3) | instskip(SKIP_3) | instid1(VALU_DEP_4)
	v_add_f32_e32 v8, v8, v96
	v_add_co_u32 v96, vcc_lo, v9, v16
	v_add_co_ci_u32_e32 v97, vcc_lo, v10, v17, vcc_lo
	v_lshlrev_b64 v[93:94], 2, v[93:94]
	v_add_f32_e32 v8, v46, v8
	s_delay_alu instid0(VALU_DEP_1) | instskip(NEXT) | instid1(VALU_DEP_3)
	v_add_f32_e32 v10, v8, v11
	v_add_co_u32 v8, vcc_lo, s4, v93
	v_mov_b32_e32 v93, 0
	v_add_co_ci_u32_e32 v9, vcc_lo, s5, v94, vcc_lo
	v_mov_b32_e32 v94, 0
	s_and_b32 vcc_lo, exec_lo, s0
	global_store_b32 v[96:97], v10, off
	s_cbranch_vccnz .LBB90_65
; %bb.64:
	v_add_co_u32 v10, vcc_lo, v8, v44
	v_add_co_ci_u32_e32 v11, vcc_lo, v9, v45, vcc_lo
	flat_load_b32 v10, v[10:11]
	s_waitcnt vmcnt(0) lgkmcnt(0)
	v_mul_f32_e32 v94, s13, v10
.LBB90_65:
	v_dual_max_f32 v10, v4, v4 :: v_dual_max_f32 v11, v5, v5
	v_max_f32_e32 v4, v7, v7
	v_max_f32_e32 v46, v6, v6
	v_mad_i64_i32 v[5:6], null, v95, s1, 0
	s_delay_alu instid0(VALU_DEP_4) | instskip(NEXT) | instid1(VALU_DEP_4)
	v_dual_min_f32 v7, v47, v10 :: v_dual_min_f32 v96, v49, v11
	v_min_f32_e32 v97, v43, v4
	s_delay_alu instid0(VALU_DEP_4) | instskip(NEXT) | instid1(VALU_DEP_3)
	v_min_f32_e32 v95, v42, v46
	v_add_f32_e32 v7, v7, v92
	s_delay_alu instid0(VALU_DEP_4) | instskip(SKIP_1) | instid1(VALU_DEP_3)
	v_add_f32_e32 v91, v96, v91
	v_lshlrev_b64 v[5:6], 2, v[5:6]
	v_add_f32_e32 v7, v95, v7
	s_delay_alu instid0(VALU_DEP_3) | instskip(NEXT) | instid1(VALU_DEP_3)
	v_add_f32_e32 v91, v97, v91
	v_add_co_u32 v5, vcc_lo, s3, v5
	s_delay_alu instid0(VALU_DEP_4) | instskip(NEXT) | instid1(VALU_DEP_3)
	v_add_co_ci_u32_e32 v6, vcc_lo, s6, v6, vcc_lo
	v_add_f32_e32 v7, v7, v91
	s_delay_alu instid0(VALU_DEP_3) | instskip(NEXT) | instid1(VALU_DEP_3)
	v_add_co_u32 v91, vcc_lo, v5, v44
	v_add_co_ci_u32_e32 v92, vcc_lo, v6, v45, vcc_lo
	s_delay_alu instid0(VALU_DEP_3)
	v_add_f32_e32 v7, v7, v94
	s_and_b32 vcc_lo, exec_lo, s0
	global_store_b32 v[91:92], v7, off
	s_cbranch_vccnz .LBB90_67
; %bb.66:
	v_add_co_u32 v91, vcc_lo, v8, v40
	v_add_co_ci_u32_e32 v92, vcc_lo, v9, v41, vcc_lo
	flat_load_b32 v7, v[91:92]
	s_waitcnt vmcnt(0) lgkmcnt(0)
	v_mul_f32_e32 v93, s13, v7
.LBB90_67:
	v_dual_min_f32 v7, v51, v11 :: v_dual_min_f32 v92, v38, v46
	v_dual_min_f32 v91, v50, v10 :: v_dual_min_f32 v94, v39, v4
	s_delay_alu instid0(VALU_DEP_2) | instskip(NEXT) | instid1(VALU_DEP_2)
	v_add_f32_e32 v7, v7, v89
	v_add_f32_e32 v89, v91, v90
	v_add_co_u32 v90, vcc_lo, v5, v40
	s_delay_alu instid0(VALU_DEP_3) | instskip(SKIP_1) | instid1(VALU_DEP_4)
	v_add_f32_e32 v7, v94, v7
	v_add_co_ci_u32_e32 v91, vcc_lo, v6, v41, vcc_lo
	v_add_f32_e32 v89, v92, v89
	s_and_b32 vcc_lo, exec_lo, s0
	s_delay_alu instid0(VALU_DEP_1) | instskip(NEXT) | instid1(VALU_DEP_1)
	v_add_f32_e32 v7, v89, v7
	v_dual_mov_b32 v89, 0 :: v_dual_add_f32 v92, v7, v93
	v_mov_b32_e32 v7, 0
	global_store_b32 v[90:91], v92, off
	s_cbranch_vccnz .LBB90_69
; %bb.68:
	v_add_co_u32 v89, vcc_lo, v8, v36
	v_add_co_ci_u32_e32 v90, vcc_lo, v9, v37, vcc_lo
	flat_load_b32 v89, v[89:90]
	s_waitcnt vmcnt(0) lgkmcnt(0)
	v_mul_f32_e32 v89, s13, v89
.LBB90_69:
	v_dual_min_f32 v90, v53, v11 :: v_dual_min_f32 v91, v52, v10
	v_dual_min_f32 v92, v34, v46 :: v_dual_min_f32 v93, v35, v4
	s_delay_alu instid0(VALU_DEP_2) | instskip(NEXT) | instid1(VALU_DEP_1)
	v_dual_add_f32 v87, v90, v87 :: v_dual_add_f32 v88, v91, v88
	v_dual_add_f32 v87, v93, v87 :: v_dual_add_f32 v88, v92, v88
	s_delay_alu instid0(VALU_DEP_1) | instskip(NEXT) | instid1(VALU_DEP_1)
	v_add_f32_e32 v87, v88, v87
	v_add_f32_e32 v89, v87, v89
	v_add_co_u32 v87, vcc_lo, v5, v36
	v_add_co_ci_u32_e32 v88, vcc_lo, v6, v37, vcc_lo
	s_and_b32 vcc_lo, exec_lo, s0
	global_store_b32 v[87:88], v89, off
	s_cbranch_vccnz .LBB90_71
; %bb.70:
	v_add_co_u32 v87, vcc_lo, v8, v32
	v_add_co_ci_u32_e32 v88, vcc_lo, v9, v33, vcc_lo
	flat_load_b32 v7, v[87:88]
	s_waitcnt vmcnt(0) lgkmcnt(0)
	v_mul_f32_e32 v7, s13, v7
.LBB90_71:
	v_dual_min_f32 v87, v55, v11 :: v_dual_min_f32 v88, v54, v10
	v_dual_min_f32 v89, v30, v46 :: v_dual_min_f32 v90, v31, v4
	s_delay_alu instid0(VALU_DEP_2) | instskip(NEXT) | instid1(VALU_DEP_1)
	v_dual_add_f32 v85, v87, v85 :: v_dual_add_f32 v86, v88, v86
	v_dual_add_f32 v85, v90, v85 :: v_dual_add_f32 v86, v89, v86
	s_delay_alu instid0(VALU_DEP_1) | instskip(SKIP_2) | instid1(VALU_DEP_3)
	v_add_f32_e32 v85, v86, v85
	v_add_co_u32 v86, vcc_lo, v5, v32
	v_add_co_ci_u32_e32 v87, vcc_lo, v6, v33, vcc_lo
	v_dual_add_f32 v88, v85, v7 :: v_dual_mov_b32 v7, 0
	v_mov_b32_e32 v85, 0
	s_and_b32 vcc_lo, exec_lo, s0
	global_store_b32 v[86:87], v88, off
	s_cbranch_vccnz .LBB90_73
; %bb.72:
	v_add_co_u32 v85, vcc_lo, v8, v28
	v_add_co_ci_u32_e32 v86, vcc_lo, v9, v29, vcc_lo
	flat_load_b32 v85, v[85:86]
	s_waitcnt vmcnt(0) lgkmcnt(0)
	v_mul_f32_e32 v85, s13, v85
.LBB90_73:
	v_dual_min_f32 v86, v57, v11 :: v_dual_min_f32 v87, v56, v10
	v_dual_min_f32 v88, v26, v46 :: v_dual_min_f32 v89, v27, v4
	s_delay_alu instid0(VALU_DEP_2) | instskip(NEXT) | instid1(VALU_DEP_1)
	v_dual_add_f32 v83, v86, v83 :: v_dual_add_f32 v84, v87, v84
	v_dual_add_f32 v83, v89, v83 :: v_dual_add_f32 v84, v88, v84
	s_delay_alu instid0(VALU_DEP_1) | instskip(NEXT) | instid1(VALU_DEP_1)
	v_add_f32_e32 v83, v84, v83
	v_add_f32_e32 v85, v83, v85
	v_add_co_u32 v83, vcc_lo, v5, v28
	v_add_co_ci_u32_e32 v84, vcc_lo, v6, v29, vcc_lo
	s_and_b32 vcc_lo, exec_lo, s0
	global_store_b32 v[83:84], v85, off
	s_cbranch_vccnz .LBB90_75
; %bb.74:
	v_add_co_u32 v83, vcc_lo, v8, v24
	v_add_co_ci_u32_e32 v84, vcc_lo, v9, v25, vcc_lo
	flat_load_b32 v7, v[83:84]
	s_waitcnt vmcnt(0) lgkmcnt(0)
	v_mul_f32_e32 v7, s13, v7
.LBB90_75:
	v_dual_min_f32 v83, v59, v11 :: v_dual_min_f32 v84, v58, v10
	v_dual_min_f32 v85, v22, v46 :: v_dual_min_f32 v86, v23, v4
	s_delay_alu instid0(VALU_DEP_2) | instskip(NEXT) | instid1(VALU_DEP_3)
	v_add_f32_e32 v80, v83, v80
	v_add_f32_e32 v82, v84, v82
	s_delay_alu instid0(VALU_DEP_2) | instskip(NEXT) | instid1(VALU_DEP_2)
	v_add_f32_e32 v80, v86, v80
	v_add_f32_e32 v82, v85, v82
	s_delay_alu instid0(VALU_DEP_1) | instskip(SKIP_2) | instid1(VALU_DEP_3)
	v_add_f32_e32 v80, v82, v80
	v_add_co_u32 v82, vcc_lo, v5, v24
	v_add_co_ci_u32_e32 v83, vcc_lo, v6, v25, vcc_lo
	v_dual_add_f32 v84, v80, v7 :: v_dual_mov_b32 v7, 0
	v_mov_b32_e32 v80, 0
	s_and_b32 vcc_lo, exec_lo, s0
	global_store_b32 v[82:83], v84, off
	s_cbranch_vccnz .LBB90_77
; %bb.76:
	v_add_co_u32 v82, vcc_lo, v8, v20
	v_add_co_ci_u32_e32 v83, vcc_lo, v9, v21, vcc_lo
	flat_load_b32 v80, v[82:83]
	s_waitcnt vmcnt(0) lgkmcnt(0)
	v_mul_f32_e32 v80, s13, v80
.LBB90_77:
	v_dual_min_f32 v82, v113, v11 :: v_dual_min_f32 v85, v19, v4
	v_min_f32_e32 v83, v73, v10
	v_min_f32_e32 v84, v18, v46
	s_delay_alu instid0(VALU_DEP_3) | instskip(NEXT) | instid1(VALU_DEP_3)
	v_add_f32_e32 v79, v82, v79
	v_add_f32_e32 v81, v83, v81
	s_delay_alu instid0(VALU_DEP_2) | instskip(NEXT) | instid1(VALU_DEP_2)
	v_add_f32_e32 v79, v85, v79
	v_add_f32_e32 v81, v84, v81
	s_delay_alu instid0(VALU_DEP_1) | instskip(NEXT) | instid1(VALU_DEP_1)
	v_add_f32_e32 v79, v81, v79
	v_add_f32_e32 v81, v79, v80
	v_add_co_u32 v79, vcc_lo, v5, v20
	v_add_co_ci_u32_e32 v80, vcc_lo, v6, v21, vcc_lo
	s_and_b32 vcc_lo, exec_lo, s0
	global_store_b32 v[79:80], v81, off
	s_cbranch_vccnz .LBB90_79
; %bb.78:
	v_add_co_u32 v7, vcc_lo, v8, v16
	v_add_co_ci_u32_e32 v8, vcc_lo, v9, v17, vcc_lo
	flat_load_b32 v7, v[7:8]
	s_waitcnt vmcnt(0) lgkmcnt(0)
	v_mul_f32_e32 v7, s13, v7
.LBB90_79:
	v_dual_min_f32 v8, v12, v10 :: v_dual_add_nc_u32 v9, 0x60, v48
	v_min_f32_e32 v10, v13, v11
	v_min_f32_e32 v46, v14, v46
	;; [unrolled: 1-line block ×3, first 2 shown]
	s_delay_alu instid0(VALU_DEP_4) | instskip(SKIP_3) | instid1(VALU_DEP_4)
	v_add_f32_e32 v8, v8, v78
	v_add_co_u32 v78, vcc_lo, v5, v16
	v_add_f32_e32 v48, v10, v76
	v_mad_i64_i32 v[10:11], null, v9, s8, 0
	v_add_f32_e32 v8, v46, v8
	v_add_co_ci_u32_e32 v79, vcc_lo, v6, v17, vcc_lo
	s_delay_alu instid0(VALU_DEP_4) | instskip(NEXT) | instid1(VALU_DEP_4)
	v_add_f32_e32 v4, v4, v48
	v_lshlrev_b64 v[10:11], 2, v[10:11]
	s_delay_alu instid0(VALU_DEP_2) | instskip(SKIP_1) | instid1(VALU_DEP_2)
	v_add_f32_e32 v4, v8, v4
	v_mov_b32_e32 v8, 0
	v_add_f32_e32 v6, v4, v7
	s_delay_alu instid0(VALU_DEP_4)
	v_add_co_u32 v4, vcc_lo, s4, v10
	v_add_co_ci_u32_e32 v5, vcc_lo, s5, v11, vcc_lo
	v_mov_b32_e32 v10, 0
	s_and_b32 vcc_lo, exec_lo, s0
	global_store_b32 v[78:79], v6, off
	s_cbranch_vccnz .LBB90_81
; %bb.80:
	v_add_co_u32 v6, vcc_lo, v4, v44
	v_add_co_ci_u32_e32 v7, vcc_lo, v5, v45, vcc_lo
	flat_load_b32 v6, v[6:7]
	s_waitcnt vmcnt(0) lgkmcnt(0)
	v_mul_f32_e32 v10, s13, v6
.LBB90_81:
	s_waitcnt lgkmcnt(0)
	v_dual_max_f32 v0, v0, v0 :: v_dual_max_f32 v1, v1, v1
	v_dual_max_f32 v2, v2, v2 :: v_dual_max_f32 v3, v3, v3
	v_mad_i64_i32 v[6:7], null, v9, s1, 0
	s_delay_alu instid0(VALU_DEP_3) | instskip(NEXT) | instid1(VALU_DEP_3)
	v_dual_min_f32 v11, v47, v0 :: v_dual_min_f32 v46, v49, v1
	v_dual_min_f32 v9, v42, v2 :: v_dual_min_f32 v42, v43, v3
	s_delay_alu instid0(VALU_DEP_2) | instskip(NEXT) | instid1(VALU_DEP_3)
	v_add_f32_e32 v43, v46, v75
	v_add_f32_e32 v11, v11, v77
	v_lshlrev_b64 v[6:7], 2, v[6:7]
	s_delay_alu instid0(VALU_DEP_3) | instskip(NEXT) | instid1(VALU_DEP_3)
	v_add_f32_e32 v42, v42, v43
	v_add_f32_e32 v9, v9, v11
	s_delay_alu instid0(VALU_DEP_3) | instskip(NEXT) | instid1(VALU_DEP_4)
	v_add_co_u32 v6, vcc_lo, s3, v6
	v_add_co_ci_u32_e32 v7, vcc_lo, s6, v7, vcc_lo
	s_delay_alu instid0(VALU_DEP_3) | instskip(NEXT) | instid1(VALU_DEP_1)
	v_add_f32_e32 v9, v9, v42
	v_add_f32_e32 v11, v9, v10
	s_delay_alu instid0(VALU_DEP_4) | instskip(NEXT) | instid1(VALU_DEP_4)
	v_add_co_u32 v9, vcc_lo, v6, v44
	v_add_co_ci_u32_e32 v10, vcc_lo, v7, v45, vcc_lo
	s_and_b32 vcc_lo, exec_lo, s0
	global_store_b32 v[9:10], v11, off
	s_cbranch_vccnz .LBB90_83
; %bb.82:
	v_add_co_u32 v8, vcc_lo, v4, v40
	v_add_co_ci_u32_e32 v9, vcc_lo, v5, v41, vcc_lo
	flat_load_b32 v8, v[8:9]
	s_waitcnt vmcnt(0) lgkmcnt(0)
	v_mul_f32_e32 v8, s13, v8
.LBB90_83:
	v_dual_min_f32 v9, v51, v1 :: v_dual_min_f32 v10, v50, v0
	v_dual_min_f32 v11, v38, v2 :: v_dual_min_f32 v38, v39, v3
	s_delay_alu instid0(VALU_DEP_2) | instskip(NEXT) | instid1(VALU_DEP_1)
	v_dual_add_f32 v9, v9, v72 :: v_dual_add_f32 v10, v10, v74
	v_dual_add_f32 v9, v38, v9 :: v_dual_add_f32 v10, v11, v10
	s_delay_alu instid0(VALU_DEP_1) | instskip(SKIP_2) | instid1(VALU_DEP_3)
	v_add_f32_e32 v9, v10, v9
	v_add_co_u32 v10, vcc_lo, v6, v40
	v_add_co_ci_u32_e32 v11, vcc_lo, v7, v41, vcc_lo
	v_dual_add_f32 v38, v9, v8 :: v_dual_mov_b32 v9, 0
	v_mov_b32_e32 v8, 0
	s_and_b32 vcc_lo, exec_lo, s0
	global_store_b32 v[10:11], v38, off
	s_cbranch_vccnz .LBB90_85
; %bb.84:
	v_add_co_u32 v9, vcc_lo, v4, v36
	v_add_co_ci_u32_e32 v10, vcc_lo, v5, v37, vcc_lo
	flat_load_b32 v9, v[9:10]
	s_waitcnt vmcnt(0) lgkmcnt(0)
	v_mul_f32_e32 v9, s13, v9
.LBB90_85:
	v_dual_min_f32 v10, v53, v1 :: v_dual_min_f32 v11, v52, v0
	v_dual_min_f32 v34, v34, v2 :: v_dual_min_f32 v35, v35, v3
	s_delay_alu instid0(VALU_DEP_2) | instskip(NEXT) | instid1(VALU_DEP_1)
	v_dual_add_f32 v10, v10, v69 :: v_dual_add_f32 v11, v11, v71
	v_dual_add_f32 v10, v35, v10 :: v_dual_add_f32 v11, v34, v11
	s_delay_alu instid0(VALU_DEP_1) | instskip(NEXT) | instid1(VALU_DEP_1)
	v_add_f32_e32 v10, v11, v10
	v_add_f32_e32 v11, v10, v9
	v_add_co_u32 v9, vcc_lo, v6, v36
	v_add_co_ci_u32_e32 v10, vcc_lo, v7, v37, vcc_lo
	s_and_b32 vcc_lo, exec_lo, s0
	global_store_b32 v[9:10], v11, off
	s_cbranch_vccnz .LBB90_87
; %bb.86:
	v_add_co_u32 v8, vcc_lo, v4, v32
	v_add_co_ci_u32_e32 v9, vcc_lo, v5, v33, vcc_lo
	flat_load_b32 v8, v[8:9]
	s_waitcnt vmcnt(0) lgkmcnt(0)
	v_mul_f32_e32 v8, s13, v8
.LBB90_87:
	v_dual_min_f32 v9, v55, v1 :: v_dual_min_f32 v10, v54, v0
	v_dual_min_f32 v11, v30, v2 :: v_dual_min_f32 v30, v31, v3
	s_delay_alu instid0(VALU_DEP_2) | instskip(NEXT) | instid1(VALU_DEP_1)
	v_dual_add_f32 v9, v9, v68 :: v_dual_add_f32 v10, v10, v70
	v_dual_add_f32 v9, v30, v9 :: v_dual_add_f32 v10, v11, v10
	s_delay_alu instid0(VALU_DEP_1) | instskip(SKIP_2) | instid1(VALU_DEP_3)
	v_add_f32_e32 v9, v10, v9
	v_add_co_u32 v10, vcc_lo, v6, v32
	v_add_co_ci_u32_e32 v11, vcc_lo, v7, v33, vcc_lo
	v_dual_add_f32 v30, v9, v8 :: v_dual_mov_b32 v9, 0
	v_mov_b32_e32 v8, 0
	s_and_b32 vcc_lo, exec_lo, s0
	global_store_b32 v[10:11], v30, off
	s_cbranch_vccnz .LBB90_89
; %bb.88:
	v_add_co_u32 v9, vcc_lo, v4, v28
	v_add_co_ci_u32_e32 v10, vcc_lo, v5, v29, vcc_lo
	flat_load_b32 v9, v[9:10]
	s_waitcnt vmcnt(0) lgkmcnt(0)
	v_mul_f32_e32 v9, s13, v9
.LBB90_89:
	v_dual_min_f32 v10, v57, v1 :: v_dual_min_f32 v11, v56, v0
	v_dual_min_f32 v26, v26, v2 :: v_dual_min_f32 v27, v27, v3
	s_delay_alu instid0(VALU_DEP_2) | instskip(NEXT) | instid1(VALU_DEP_1)
	v_dual_add_f32 v10, v10, v66 :: v_dual_add_f32 v11, v11, v67
	v_dual_add_f32 v10, v27, v10 :: v_dual_add_f32 v11, v26, v11
	s_delay_alu instid0(VALU_DEP_1) | instskip(NEXT) | instid1(VALU_DEP_1)
	v_add_f32_e32 v10, v11, v10
	v_add_f32_e32 v11, v10, v9
	v_add_co_u32 v9, vcc_lo, v6, v28
	v_add_co_ci_u32_e32 v10, vcc_lo, v7, v29, vcc_lo
	s_and_b32 vcc_lo, exec_lo, s0
	global_store_b32 v[9:10], v11, off
	s_cbranch_vccnz .LBB90_91
; %bb.90:
	v_add_co_u32 v8, vcc_lo, v4, v24
	v_add_co_ci_u32_e32 v9, vcc_lo, v5, v25, vcc_lo
	flat_load_b32 v8, v[8:9]
	s_waitcnt vmcnt(0) lgkmcnt(0)
	v_mul_f32_e32 v8, s13, v8
.LBB90_91:
	v_dual_min_f32 v9, v59, v1 :: v_dual_min_f32 v10, v58, v0
	v_dual_min_f32 v11, v22, v2 :: v_dual_min_f32 v22, v23, v3
	v_min_f32_e32 v18, v18, v2
	s_delay_alu instid0(VALU_DEP_3) | instskip(SKIP_1) | instid1(VALU_DEP_2)
	v_dual_add_f32 v9, v9, v62 :: v_dual_add_f32 v10, v10, v65
	v_min_f32_e32 v23, v113, v1
	v_dual_min_f32 v26, v73, v0 :: v_dual_add_f32 v9, v22, v9
	s_delay_alu instid0(VALU_DEP_3) | instskip(NEXT) | instid1(VALU_DEP_3)
	v_add_f32_e32 v10, v11, v10
	v_add_f32_e32 v23, v23, v64
	v_min_f32_e32 v11, v19, v3
	s_delay_alu instid0(VALU_DEP_4) | instskip(NEXT) | instid1(VALU_DEP_4)
	v_add_f32_e32 v19, v26, v63
	v_add_f32_e32 v22, v10, v9
	v_add_co_u32 v9, vcc_lo, v6, v24
	s_delay_alu instid0(VALU_DEP_4) | instskip(NEXT) | instid1(VALU_DEP_4)
	v_add_f32_e32 v11, v11, v23
	v_add_f32_e32 v18, v18, v19
	v_add_co_ci_u32_e32 v10, vcc_lo, v7, v25, vcc_lo
	v_add_f32_e32 v19, v22, v8
	s_mov_b32 vcc_lo, s2
	s_delay_alu instid0(VALU_DEP_3)
	v_add_f32_e32 v8, v18, v11
	global_store_b32 v[9:10], v19, off
	s_cbranch_vccz .LBB90_94
; %bb.92:
	v_add_co_u32 v9, vcc_lo, v6, v20
	v_add_f32_e32 v11, 0, v8
	v_add_co_ci_u32_e32 v10, vcc_lo, v7, v21, vcc_lo
	s_mov_b32 s0, 0
	global_store_b32 v[9:10], v11, off
	s_cbranch_execz .LBB90_95
; %bb.93:
	v_mov_b32_e32 v4, s0
	s_branch .LBB90_96
.LBB90_94:
	s_mov_b32 s0, -1
.LBB90_95:
	v_add_co_u32 v9, vcc_lo, v4, v20
	v_add_co_ci_u32_e32 v10, vcc_lo, v5, v21, vcc_lo
	flat_load_b32 v11, v[9:10]
	v_add_co_u32 v9, vcc_lo, v6, v20
	v_add_co_ci_u32_e32 v10, vcc_lo, v7, v21, vcc_lo
	v_add_co_u32 v4, vcc_lo, v4, v16
	v_add_co_ci_u32_e32 v5, vcc_lo, v5, v17, vcc_lo
	s_waitcnt vmcnt(0) lgkmcnt(0)
	v_fmac_f32_e32 v8, s13, v11
	global_store_b32 v[9:10], v8, off
	flat_load_b32 v4, v[4:5]
	s_waitcnt vmcnt(0) lgkmcnt(0)
	v_mul_f32_e32 v4, s13, v4
.LBB90_96:
	v_dual_min_f32 v1, v13, v1 :: v_dual_min_f32 v0, v12, v0
	v_dual_min_f32 v2, v14, v2 :: v_dual_min_f32 v3, v15, v3
	s_delay_alu instid0(VALU_DEP_2) | instskip(NEXT) | instid1(VALU_DEP_1)
	v_dual_add_f32 v1, v1, v60 :: v_dual_add_f32 v0, v0, v61
	v_dual_add_f32 v1, v3, v1 :: v_dual_add_f32 v0, v2, v0
	s_delay_alu instid0(VALU_DEP_1) | instskip(NEXT) | instid1(VALU_DEP_1)
	v_add_f32_e32 v0, v0, v1
	v_add_f32_e32 v2, v0, v4
	v_add_co_u32 v0, vcc_lo, v6, v16
	v_add_co_ci_u32_e32 v1, vcc_lo, v7, v17, vcc_lo
	global_store_b32 v[0:1], v2, off
	s_nop 0
	s_sendmsg sendmsg(MSG_DEALLOC_VGPRS)
	s_endpgm
	.section	.rodata,"a",@progbits
	.p2align	6, 0x0
	.amdhsa_kernel _ZN12_GLOBAL__N_120geam_min_plus_kernelIf15HIP_vector_typeIfLj2EES2_Li8ELi32ELi64ELi128ELi4ELi64ELi4ELi64ELi4ELc78ELc84ELb0ELb0ELb0EPKfS3_fEEviiiT16_PT17_ilS7_ilS5_S7_ilPT18_ili26rocblas_geam_ex_operation_
		.amdhsa_group_segment_fixed_size 6144
		.amdhsa_private_segment_fixed_size 0
		.amdhsa_kernarg_size 136
		.amdhsa_user_sgpr_count 14
		.amdhsa_user_sgpr_dispatch_ptr 0
		.amdhsa_user_sgpr_queue_ptr 0
		.amdhsa_user_sgpr_kernarg_segment_ptr 1
		.amdhsa_user_sgpr_dispatch_id 0
		.amdhsa_user_sgpr_private_segment_size 0
		.amdhsa_wavefront_size32 1
		.amdhsa_uses_dynamic_stack 0
		.amdhsa_enable_private_segment 0
		.amdhsa_system_sgpr_workgroup_id_x 1
		.amdhsa_system_sgpr_workgroup_id_y 0
		.amdhsa_system_sgpr_workgroup_id_z 1
		.amdhsa_system_sgpr_workgroup_info 0
		.amdhsa_system_vgpr_workitem_id 1
		.amdhsa_next_free_vgpr 229
		.amdhsa_next_free_sgpr 24
		.amdhsa_reserve_vcc 1
		.amdhsa_float_round_mode_32 0
		.amdhsa_float_round_mode_16_64 0
		.amdhsa_float_denorm_mode_32 3
		.amdhsa_float_denorm_mode_16_64 3
		.amdhsa_dx10_clamp 1
		.amdhsa_ieee_mode 1
		.amdhsa_fp16_overflow 0
		.amdhsa_workgroup_processor_mode 1
		.amdhsa_memory_ordered 1
		.amdhsa_forward_progress 0
		.amdhsa_shared_vgpr_count 0
		.amdhsa_exception_fp_ieee_invalid_op 0
		.amdhsa_exception_fp_denorm_src 0
		.amdhsa_exception_fp_ieee_div_zero 0
		.amdhsa_exception_fp_ieee_overflow 0
		.amdhsa_exception_fp_ieee_underflow 0
		.amdhsa_exception_fp_ieee_inexact 0
		.amdhsa_exception_int_div_zero 0
	.end_amdhsa_kernel
	.section	.text._ZN12_GLOBAL__N_120geam_min_plus_kernelIf15HIP_vector_typeIfLj2EES2_Li8ELi32ELi64ELi128ELi4ELi64ELi4ELi64ELi4ELc78ELc84ELb0ELb0ELb0EPKfS3_fEEviiiT16_PT17_ilS7_ilS5_S7_ilPT18_ili26rocblas_geam_ex_operation_,"axG",@progbits,_ZN12_GLOBAL__N_120geam_min_plus_kernelIf15HIP_vector_typeIfLj2EES2_Li8ELi32ELi64ELi128ELi4ELi64ELi4ELi64ELi4ELc78ELc84ELb0ELb0ELb0EPKfS3_fEEviiiT16_PT17_ilS7_ilS5_S7_ilPT18_ili26rocblas_geam_ex_operation_,comdat
.Lfunc_end90:
	.size	_ZN12_GLOBAL__N_120geam_min_plus_kernelIf15HIP_vector_typeIfLj2EES2_Li8ELi32ELi64ELi128ELi4ELi64ELi4ELi64ELi4ELc78ELc84ELb0ELb0ELb0EPKfS3_fEEviiiT16_PT17_ilS7_ilS5_S7_ilPT18_ili26rocblas_geam_ex_operation_, .Lfunc_end90-_ZN12_GLOBAL__N_120geam_min_plus_kernelIf15HIP_vector_typeIfLj2EES2_Li8ELi32ELi64ELi128ELi4ELi64ELi4ELi64ELi4ELc78ELc84ELb0ELb0ELb0EPKfS3_fEEviiiT16_PT17_ilS7_ilS5_S7_ilPT18_ili26rocblas_geam_ex_operation_
                                        ; -- End function
	.section	.AMDGPU.csdata,"",@progbits
; Kernel info:
; codeLenInByte = 10276
; NumSgprs: 26
; NumVgprs: 229
; ScratchSize: 0
; MemoryBound: 0
; FloatMode: 240
; IeeeMode: 1
; LDSByteSize: 6144 bytes/workgroup (compile time only)
; SGPRBlocks: 3
; VGPRBlocks: 28
; NumSGPRsForWavesPerEU: 26
; NumVGPRsForWavesPerEU: 229
; Occupancy: 6
; WaveLimiterHint : 1
; COMPUTE_PGM_RSRC2:SCRATCH_EN: 0
; COMPUTE_PGM_RSRC2:USER_SGPR: 14
; COMPUTE_PGM_RSRC2:TRAP_HANDLER: 0
; COMPUTE_PGM_RSRC2:TGID_X_EN: 1
; COMPUTE_PGM_RSRC2:TGID_Y_EN: 0
; COMPUTE_PGM_RSRC2:TGID_Z_EN: 1
; COMPUTE_PGM_RSRC2:TIDIG_COMP_CNT: 1
	.section	.text._ZN12_GLOBAL__N_120geam_min_plus_kernelIf15HIP_vector_typeIfLj2EES2_Li8ELi32ELi64ELi128ELi4ELi64ELi4ELi64ELi4ELc78ELc84ELb1ELb0ELb0EfKffEEviiiT16_PT17_ilS6_ilS4_S6_ilPT18_ili26rocblas_geam_ex_operation_,"axG",@progbits,_ZN12_GLOBAL__N_120geam_min_plus_kernelIf15HIP_vector_typeIfLj2EES2_Li8ELi32ELi64ELi128ELi4ELi64ELi4ELi64ELi4ELc78ELc84ELb1ELb0ELb0EfKffEEviiiT16_PT17_ilS6_ilS4_S6_ilPT18_ili26rocblas_geam_ex_operation_,comdat
	.globl	_ZN12_GLOBAL__N_120geam_min_plus_kernelIf15HIP_vector_typeIfLj2EES2_Li8ELi32ELi64ELi128ELi4ELi64ELi4ELi64ELi4ELc78ELc84ELb1ELb0ELb0EfKffEEviiiT16_PT17_ilS6_ilS4_S6_ilPT18_ili26rocblas_geam_ex_operation_ ; -- Begin function _ZN12_GLOBAL__N_120geam_min_plus_kernelIf15HIP_vector_typeIfLj2EES2_Li8ELi32ELi64ELi128ELi4ELi64ELi4ELi64ELi4ELc78ELc84ELb1ELb0ELb0EfKffEEviiiT16_PT17_ilS6_ilS4_S6_ilPT18_ili26rocblas_geam_ex_operation_
	.p2align	8
	.type	_ZN12_GLOBAL__N_120geam_min_plus_kernelIf15HIP_vector_typeIfLj2EES2_Li8ELi32ELi64ELi128ELi4ELi64ELi4ELi64ELi4ELc78ELc84ELb1ELb0ELb0EfKffEEviiiT16_PT17_ilS6_ilS4_S6_ilPT18_ili26rocblas_geam_ex_operation_,@function
_ZN12_GLOBAL__N_120geam_min_plus_kernelIf15HIP_vector_typeIfLj2EES2_Li8ELi32ELi64ELi128ELi4ELi64ELi4ELi64ELi4ELc78ELc84ELb1ELb0ELb0EfKffEEviiiT16_PT17_ilS6_ilS4_S6_ilPT18_ili26rocblas_geam_ex_operation_: ; @_ZN12_GLOBAL__N_120geam_min_plus_kernelIf15HIP_vector_typeIfLj2EES2_Li8ELi32ELi64ELi128ELi4ELi64ELi4ELi64ELi4ELc78ELc84ELb1ELb0ELb0EfKffEEviiiT16_PT17_ilS6_ilS4_S6_ilPT18_ili26rocblas_geam_ex_operation_
; %bb.0:
	s_clause 0x1
	s_load_b64 s[8:9], s[0:1], 0x8
	s_load_b128 s[4:7], s[0:1], 0x20
	s_waitcnt lgkmcnt(0)
	v_cmp_eq_f32_e64 s2, s9, 0
	s_delay_alu instid0(VALU_DEP_1)
	s_and_b32 vcc_lo, exec_lo, s2
	s_cbranch_vccnz .LBB91_3
; %bb.1:
	s_load_b64 s[10:11], s[0:1], 0x10
	s_mul_i32 s3, s15, s5
	s_mul_hi_u32 s5, s15, s4
	s_mul_i32 s4, s15, s4
	s_add_i32 s5, s5, s3
	s_delay_alu instid0(SALU_CYCLE_1)
	s_lshl_b64 s[4:5], s[4:5], 2
	s_waitcnt lgkmcnt(0)
	s_add_u32 s10, s10, s4
	s_addc_u32 s11, s11, s5
	s_and_not1_b32 vcc_lo, exec_lo, s2
	s_cbranch_vccnz .LBB91_4
.LBB91_2:
	s_mov_b32 s21, 0
	s_mov_b64 s[12:13], 0
	s_cbranch_execz .LBB91_5
	s_branch .LBB91_6
.LBB91_3:
	s_mov_b64 s[10:11], 0
	s_and_not1_b32 vcc_lo, exec_lo, s2
	s_cbranch_vccz .LBB91_2
.LBB91_4:
	s_mov_b32 s21, -1
                                        ; implicit-def: $sgpr12_sgpr13
.LBB91_5:
	s_load_b64 s[2:3], s[0:1], 0x38
	s_mov_b32 s21, 0
	s_waitcnt lgkmcnt(0)
	s_mul_i32 s3, s15, s3
	s_mul_hi_u32 s4, s15, s2
	s_mul_i32 s2, s15, s2
	s_add_i32 s3, s4, s3
	s_delay_alu instid0(SALU_CYCLE_1) | instskip(NEXT) | instid1(SALU_CYCLE_1)
	s_lshl_b64 s[2:3], s[2:3], 2
	s_add_u32 s12, s6, s2
	s_addc_u32 s13, s7, s3
.LBB91_6:
	s_clause 0x1
	s_load_b32 s20, s[0:1], 0x40
	s_load_b128 s[4:7], s[0:1], 0x58
	s_waitcnt lgkmcnt(0)
	v_cmp_eq_f32_e64 s2, s20, 0
	s_delay_alu instid0(VALU_DEP_1) | instskip(NEXT) | instid1(SALU_CYCLE_1)
	s_and_b32 s2, exec_lo, s2
	s_mov_b32 vcc_lo, s2
	s_cbranch_vccnz .LBB91_8
; %bb.7:
	s_load_b64 s[16:17], s[0:1], 0x48
	s_mul_i32 s3, s15, s5
	s_mul_hi_u32 s5, s15, s4
	s_delay_alu instid0(SALU_CYCLE_1) | instskip(SKIP_3) | instid1(SALU_CYCLE_1)
	s_add_i32 s3, s5, s3
	s_mul_i32 s5, s21, s4
	s_mul_i32 s4, s15, s4
	s_add_i32 s5, s3, s5
	s_lshl_b64 s[4:5], s[4:5], 2
	s_waitcnt lgkmcnt(0)
	s_add_u32 s4, s16, s4
	s_addc_u32 s5, s17, s5
	s_branch .LBB91_9
.LBB91_8:
	s_mov_b64 s[4:5], 0
.LBB91_9:
	s_clause 0x2
	s_load_b32 s3, s[0:1], 0x0
	s_load_b32 s16, s[0:1], 0x18
	;; [unrolled: 1-line block ×3, first 2 shown]
	v_and_b32_e32 v72, 0x3ff, v0
	v_bfe_u32 v75, v0, 10, 10
	s_delay_alu instid0(VALU_DEP_2) | instskip(NEXT) | instid1(VALU_DEP_2)
	v_lshlrev_b32_e32 v79, 4, v72
	v_lshl_add_u32 v0, v75, 3, v72
	v_lshlrev_b32_e32 v76, 4, v75
	s_delay_alu instid0(VALU_DEP_2) | instskip(SKIP_1) | instid1(VALU_DEP_2)
	v_lshrrev_b32_e32 v4, 6, v0
	v_and_b32_e32 v11, 63, v0
	v_add_nc_u32_e32 v12, 4, v4
	s_waitcnt lgkmcnt(0)
	s_add_i32 s3, s3, -1
	s_delay_alu instid0(SALU_CYCLE_1) | instskip(SKIP_2) | instid1(SALU_CYCLE_1)
	s_ashr_i32 s9, s3, 31
	v_mad_i64_i32 v[2:3], null, s18, v4, 0
	s_lshr_b32 s9, s9, 26
	s_add_i32 s3, s3, s9
	s_delay_alu instid0(SALU_CYCLE_1) | instskip(NEXT) | instid1(SALU_CYCLE_1)
	s_ashr_i32 s3, s3, 6
	s_add_i32 s9, s3, 1
	s_not_b32 s3, s3
	v_cvt_f32_u32_e32 v1, s9
	s_delay_alu instid0(VALU_DEP_2) | instskip(NEXT) | instid1(VALU_DEP_2)
	v_lshlrev_b64 v[2:3], 2, v[2:3]
	v_rcp_iflag_f32_e32 v1, v1
	s_waitcnt_depctr 0xfff
	v_mul_f32_e32 v1, 0x4f7ffffe, v1
	s_delay_alu instid0(VALU_DEP_1) | instskip(NEXT) | instid1(VALU_DEP_1)
	v_cvt_u32_f32_e32 v1, v1
	v_readfirstlane_b32 s17, v1
	v_mad_i64_i32 v[0:1], null, s16, v4, 0
	s_delay_alu instid0(VALU_DEP_2) | instskip(NEXT) | instid1(SALU_CYCLE_1)
	s_mul_i32 s3, s3, s17
	s_mul_hi_u32 s3, s17, s3
	s_delay_alu instid0(SALU_CYCLE_1) | instskip(NEXT) | instid1(VALU_DEP_1)
	s_add_i32 s17, s17, s3
	v_lshlrev_b64 v[0:1], 2, v[0:1]
	s_mul_hi_u32 s3, s14, s17
	s_delay_alu instid0(SALU_CYCLE_1) | instskip(SKIP_2) | instid1(VALU_DEP_1)
	s_mul_i32 s17, s3, s9
	s_add_i32 s19, s3, 1
	s_sub_i32 s17, s14, s17
	v_add_co_u32 v9, vcc_lo, s10, v0
	s_sub_i32 s22, s17, s9
	s_cmp_ge_u32 s17, s9
	v_add_co_ci_u32_e32 v10, vcc_lo, s11, v1, vcc_lo
	s_cselect_b32 s3, s19, s3
	s_cselect_b32 s17, s22, s17
	s_add_i32 s19, s3, 1
	s_cmp_ge_u32 s17, s9
	s_cselect_b32 s3, s19, s3
	s_delay_alu instid0(SALU_CYCLE_1)
	s_mul_i32 s9, s3, s9
	s_lshl_b32 s22, s3, 7
	s_sub_i32 s3, s14, s9
	v_or_b32_e32 v5, s22, v11
	s_lshl_b32 s14, s3, 6
	s_cmp_lt_i32 s8, 9
	v_or_b32_e32 v7, s14, v11
	s_delay_alu instid0(VALU_DEP_2) | instskip(NEXT) | instid1(VALU_DEP_2)
	v_ashrrev_i32_e32 v6, 31, v5
	v_ashrrev_i32_e32 v8, 31, v7
	s_delay_alu instid0(VALU_DEP_2) | instskip(SKIP_2) | instid1(VALU_DEP_4)
	v_lshlrev_b64 v[0:1], 2, v[5:6]
	v_add_co_u32 v5, vcc_lo, s12, v2
	v_add_co_ci_u32_e32 v6, vcc_lo, s13, v3, vcc_lo
	v_lshlrev_b64 v[2:3], 2, v[7:8]
	s_delay_alu instid0(VALU_DEP_3) | instskip(NEXT) | instid1(VALU_DEP_3)
	v_add_co_u32 v5, vcc_lo, v5, v0
	v_add_co_ci_u32_e32 v6, vcc_lo, v6, v1, vcc_lo
	s_delay_alu instid0(VALU_DEP_3) | instskip(NEXT) | instid1(VALU_DEP_4)
	v_add_co_u32 v7, vcc_lo, v9, v2
	v_add_co_ci_u32_e32 v8, vcc_lo, v10, v3, vcc_lo
	v_mad_i64_i32 v[9:10], null, s16, v12, 0
	s_clause 0x1
	flat_load_b32 v13, v[5:6]
	flat_load_b32 v14, v[5:6] offset:256
	flat_load_b32 v8, v[7:8]
	v_lshlrev_b64 v[5:6], 2, v[9:10]
	v_lshlrev_b32_e32 v9, 2, v4
	s_delay_alu instid0(VALU_DEP_2) | instskip(NEXT) | instid1(VALU_DEP_3)
	v_add_co_u32 v5, vcc_lo, s10, v5
	v_add_co_ci_u32_e32 v6, vcc_lo, s11, v6, vcc_lo
	s_delay_alu instid0(VALU_DEP_3) | instskip(NEXT) | instid1(VALU_DEP_3)
	v_lshl_add_u32 v88, v11, 4, v9
	v_add_co_u32 v5, vcc_lo, v5, v2
	s_delay_alu instid0(VALU_DEP_3) | instskip(SKIP_2) | instid1(VALU_DEP_1)
	v_add_co_ci_u32_e32 v6, vcc_lo, v6, v3, vcc_lo
	flat_load_b32 v55, v[5:6]
	v_mad_i64_i32 v[5:6], null, s18, v12, 0
	v_lshlrev_b64 v[5:6], 2, v[5:6]
	s_delay_alu instid0(VALU_DEP_1) | instskip(NEXT) | instid1(VALU_DEP_2)
	v_add_co_u32 v5, vcc_lo, s12, v5
	v_add_co_ci_u32_e32 v7, vcc_lo, s13, v6, vcc_lo
	s_delay_alu instid0(VALU_DEP_2) | instskip(NEXT) | instid1(VALU_DEP_2)
	v_add_co_u32 v6, vcc_lo, v5, v0
	v_add_co_ci_u32_e32 v7, vcc_lo, v7, v1, vcc_lo
	s_clause 0x1
	flat_load_b32 v5, v[6:7]
	flat_load_b32 v6, v[6:7] offset:256
	s_waitcnt vmcnt(4) lgkmcnt(4)
	ds_store_2addr_stride64_b32 v88, v13, v14 offset1:4
	s_waitcnt vmcnt(3) lgkmcnt(4)
	ds_store_b32 v88, v8 offset:4096
	s_waitcnt vmcnt(0) lgkmcnt(0)
	s_barrier
	buffer_gl0_inv
	ds_load_b128 v[7:10], v76
	ds_load_b128 v[11:14], v79 offset:4096
	ds_load_b128 v[15:18], v79 offset:4224
	;; [unrolled: 1-line block ×11, first 2 shown]
	s_waitcnt lgkmcnt(10)
	v_dual_max_f32 v7, v7, v7 :: v_dual_max_f32 v14, v14, v14
	v_dual_max_f32 v11, v11, v11 :: v_dual_max_f32 v8, v8, v8
	s_waitcnt lgkmcnt(9)
	v_dual_max_f32 v12, v12, v12 :: v_dual_max_f32 v15, v15, v15
	s_waitcnt lgkmcnt(8)
	;; [unrolled: 2-line block ×10, first 2 shown]
	v_dual_max_f32 v48, v48, v48 :: v_dual_max_f32 v51, v51, v51
	v_dual_max_f32 v52, v52, v52 :: v_dual_max_f32 v13, v13, v13
	ds_store_b32 v88, v55 offset:5120
	v_dual_max_f32 v9, v9, v9 :: v_dual_max_f32 v10, v10, v10
	v_dual_max_f32 v17, v17, v17 :: v_dual_max_f32 v22, v22, v22
	;; [unrolled: 1-line block ×11, first 2 shown]
	v_dual_min_f32 v56, v12, v8 :: v_dual_min_f32 v55, v11, v7
	v_dual_min_f32 v58, v16, v8 :: v_dual_min_f32 v57, v15, v7
	;; [unrolled: 1-line block ×10, first 2 shown]
	v_min_f32_e32 v92, v32, v44
	v_dual_min_f32 v73, v16, v44 :: v_dual_min_f32 v74, v19, v43
	v_dual_min_f32 v77, v20, v44 :: v_dual_min_f32 v78, v23, v43
	v_min_f32_e32 v81, v27, v43
	v_min_f32_e32 v82, v31, v43
	v_dual_min_f32 v83, v35, v43 :: v_dual_min_f32 v94, v12, v48
	v_dual_min_f32 v43, v39, v43 :: v_dual_min_f32 v96, v20, v48
	v_dual_min_f32 v84, v11, v47 :: v_dual_min_f32 v93, v36, v44
	v_dual_min_f32 v85, v15, v47 :: v_dual_min_f32 v98, v28, v48
	v_dual_min_f32 v86, v19, v47 :: v_dual_min_f32 v95, v16, v48
	v_dual_min_f32 v87, v23, v47 :: v_dual_min_f32 v100, v36, v48
	v_min_f32_e32 v89, v27, v47
	v_dual_min_f32 v90, v31, v47 :: v_dual_min_f32 v97, v24, v48
	v_dual_min_f32 v91, v35, v47 :: v_dual_min_f32 v12, v12, v52
	;; [unrolled: 1-line block ×5, first 2 shown]
	v_min_f32_e32 v19, v19, v51
	v_min_f32_e32 v23, v23, v51
	v_dual_min_f32 v27, v27, v51 :: v_dual_min_f32 v36, v36, v52
	v_min_f32_e32 v31, v31, v51
	v_min_f32_e32 v35, v35, v51
	v_dual_min_f32 v39, v39, v51 :: v_dual_min_f32 v102, v21, v9
	;; [unrolled: 3-line block ×3, first 2 shown]
	v_min_f32_e32 v48, v40, v48
	v_min_f32_e32 v28, v28, v52
	;; [unrolled: 1-line block ×5, first 2 shown]
	v_dual_min_f32 v101, v17, v9 :: v_dual_min_f32 v112, v22, v10
	v_dual_min_f32 v103, v25, v9 :: v_dual_min_f32 v114, v30, v10
	;; [unrolled: 1-line block ×3, first 2 shown]
	v_min_f32_e32 v106, v37, v9
	v_min_f32_e32 v9, v41, v9
	v_dual_min_f32 v107, v13, v45 :: v_dual_min_f32 v144, v18, v46
	v_dual_min_f32 v108, v17, v45 :: v_dual_min_f32 v111, v18, v10
	;; [unrolled: 1-line block ×6, first 2 shown]
	v_min_f32_e32 v131, v37, v45
	v_dual_min_f32 v45, v41, v45 :: v_dual_min_f32 v150, v14, v50
	v_dual_min_f32 v132, v13, v49 :: v_dual_min_f32 v143, v14, v46
	;; [unrolled: 1-line block ×9, first 2 shown]
	v_min_f32_e32 v13, v13, v53
	v_min_f32_e32 v17, v17, v53
	v_dual_min_f32 v21, v21, v53 :: v_dual_min_f32 v18, v18, v54
	v_dual_min_f32 v25, v25, v53 :: v_dual_min_f32 v22, v22, v54
	v_min_f32_e32 v29, v29, v53
	v_dual_min_f32 v33, v33, v53 :: v_dual_min_f32 v30, v30, v54
	v_min_f32_e32 v37, v37, v53
	;; [unrolled: 2-line block ×3, first 2 shown]
	v_min_f32_e32 v10, v42, v10
	v_min_f32_e32 v46, v42, v46
	;; [unrolled: 1-line block ×8, first 2 shown]
	v_dual_min_f32 v42, v42, v54 :: v_dual_add_f32 v55, 0, v55
	v_add_f32_e32 v54, 0, v56
	v_dual_add_f32 v56, 0, v58 :: v_dual_add_f32 v57, 0, v57
	v_dual_add_f32 v58, 0, v60 :: v_dual_add_f32 v59, 0, v59
	v_dual_add_f32 v60, 0, v62 :: v_dual_add_f32 v61, 0, v61
	v_dual_add_f32 v62, 0, v64 :: v_dual_add_f32 v63, 0, v63
	v_dual_add_f32 v64, 0, v66 :: v_dual_add_f32 v65, 0, v65
	v_dual_add_f32 v66, 0, v68 :: v_dual_add_f32 v67, 0, v67
	v_dual_add_f32 v8, 0, v8 :: v_dual_add_f32 v7, 0, v7
	v_dual_add_f32 v68, 0, v70 :: v_dual_add_f32 v69, 0, v69
	v_add_f32_e32 v74, 0, v74
	v_dual_add_f32 v70, 0, v73 :: v_dual_add_f32 v71, 0, v71
	v_dual_add_f32 v73, 0, v77 :: v_dual_add_f32 v78, 0, v78
	;; [unrolled: 1-line block ×23, first 2 shown]
	v_add_f32_e32 v39, 0, v39
	v_dual_add_f32 v141, v53, v54 :: v_dual_add_f32 v142, v52, v55
	v_dual_add_f32 v137, v111, v56 :: v_dual_add_f32 v128, v102, v59
	;; [unrolled: 1-line block ×4, first 2 shown]
	v_add_f32_e32 v125, v113, v60
	v_dual_add_f32 v123, v114, v62 :: v_dual_add_f32 v118, v9, v7
	v_dual_add_f32 v121, v115, v64 :: v_dual_add_f32 v112, v109, v74
	v_add_f32_e32 v119, v116, v66
	v_dual_add_f32 v117, v10, v8 :: v_dual_add_f32 v104, v131, v83
	v_dual_add_f32 v115, v143, v68 :: v_dual_add_f32 v110, v110, v78
	;; [unrolled: 1-line block ×3, first 2 shown]
	v_add_f32_e32 v102, v45, v43
	v_dual_add_f32 v114, v108, v71 :: v_dual_add_f32 v111, v145, v73
	v_add_f32_e32 v106, v130, v82
	v_dual_add_f32 v109, v146, v77 :: v_dual_add_f32 v100, v132, v84
	v_dual_add_f32 v107, v147, v51 :: v_dual_add_f32 v98, v133, v85
	;; [unrolled: 1-line block ×10, first 2 shown]
	v_add_f32_e32 v78, v21, v19
	v_dual_add_f32 v89, v155, v159 :: v_dual_add_f32 v80, v18, v16
	v_dual_add_f32 v87, v140, v161 :: v_dual_add_f32 v74, v25, v23
	;; [unrolled: 1-line block ×6, first 2 shown]
	v_add_f32_e32 v73, v26, v24
	v_add_f32_e32 v71, v29, v27
	;; [unrolled: 1-line block ×5, first 2 shown]
	ds_store_2addr_stride64_b32 v88, v5, v6 offset0:8 offset1:12
	s_waitcnt lgkmcnt(0)
	s_barrier
	buffer_gl0_inv
	s_cbranch_scc1 .LBB91_12
; %bb.10:
	v_add_nc_u32_e32 v10, 8, v4
	v_add_nc_u32_e32 v12, 12, v4
	v_add_co_u32 v133, vcc_lo, s10, v2
	v_add_co_ci_u32_e32 v134, vcc_lo, s11, v3, vcc_lo
	s_delay_alu instid0(VALU_DEP_4) | instskip(NEXT) | instid1(VALU_DEP_4)
	v_mad_i64_i32 v[4:5], null, v10, s18, 0
	v_mad_i64_i32 v[6:7], null, v12, s16, 0
	;; [unrolled: 1-line block ×4, first 2 shown]
	v_add_co_u32 v138, vcc_lo, s12, v0
	v_lshlrev_b64 v[48:49], 2, v[4:5]
	v_lshlrev_b64 v[50:51], 2, v[6:7]
	;; [unrolled: 1-line block ×3, first 2 shown]
	v_or_b32_e32 v129, 0x1000, v88
	v_lshlrev_b64 v[54:55], 2, v[10:11]
	v_add_nc_u32_e32 v130, 0x1000, v79
	v_add_nc_u32_e32 v131, 0x1400, v88
	v_or_b32_e32 v132, 0x800, v88
	v_lshl_add_u32 v135, v72, 4, 0x1400
	v_lshl_add_u32 v136, v75, 4, 0x800
	v_add_co_ci_u32_e32 v140, vcc_lo, s13, v1, vcc_lo
	s_ashr_i32 s17, s16, 31
	s_ashr_i32 s19, s18, 31
	s_add_i32 s23, s8, -8
	s_lshl_b64 s[8:9], s[18:19], 5
	s_lshl_b64 s[10:11], s[16:17], 5
	s_mov_b32 s12, 0
.LBB91_11:                              ; =>This Inner Loop Header: Depth=1
	v_add_co_u32 v56, vcc_lo, v133, v52
	v_add_co_ci_u32_e32 v57, vcc_lo, v134, v53, vcc_lo
	v_add_co_u32 v58, vcc_lo, v138, v48
	v_add_co_ci_u32_e32 v59, vcc_lo, v140, v49, vcc_lo
	ds_load_b128 v[40:43], v135
	ds_load_b128 v[36:39], v135 offset:128
	ds_load_b128 v[32:35], v135 offset:256
	;; [unrolled: 1-line block ×7, first 2 shown]
	ds_load_b128 v[44:47], v136
	ds_load_b128 v[8:11], v136 offset:512
	ds_load_b128 v[4:7], v136 offset:1024
	ds_load_b128 v[0:3], v136 offset:1536
	flat_load_b32 v56, v[56:57]
	s_clause 0x1
	flat_load_b32 v57, v[58:59]
	flat_load_b32 v58, v[58:59] offset:256
	v_add_co_u32 v60, vcc_lo, v133, v50
	v_add_co_ci_u32_e32 v61, vcc_lo, v134, v51, vcc_lo
	v_add_co_u32 v62, vcc_lo, v138, v54
	s_waitcnt lgkmcnt(14)
	v_dual_max_f32 v40, v40, v40 :: v_dual_max_f32 v41, v41, v41
	s_waitcnt lgkmcnt(13)
	v_dual_max_f32 v36, v36, v36 :: v_dual_max_f32 v37, v37, v37
	;; [unrolled: 2-line block ×5, first 2 shown]
	v_dual_max_f32 v24, v24, v24 :: v_dual_max_f32 v25, v25, v25
	v_dual_max_f32 v20, v20, v20 :: v_dual_max_f32 v21, v21, v21
	;; [unrolled: 1-line block ×4, first 2 shown]
	s_waitcnt lgkmcnt(5)
	v_dual_max_f32 v8, v8, v8 :: v_dual_max_f32 v9, v9, v9
	s_waitcnt lgkmcnt(4)
	v_dual_max_f32 v4, v4, v4 :: v_dual_max_f32 v5, v5, v5
	;; [unrolled: 2-line block ×3, first 2 shown]
	v_dual_max_f32 v46, v46, v46 :: v_dual_max_f32 v47, v47, v47
	v_dual_max_f32 v42, v42, v42 :: v_dual_max_f32 v43, v43, v43
	;; [unrolled: 1-line block ×12, first 2 shown]
	v_min_f32_e32 v59, v40, v44
	v_dual_min_f32 v143, v36, v44 :: v_dual_min_f32 v164, v33, v45
	v_dual_min_f32 v144, v32, v44 :: v_dual_min_f32 v163, v37, v45
	;; [unrolled: 1-line block ×6, first 2 shown]
	v_min_f32_e32 v44, v12, v44
	v_dual_min_f32 v149, v40, v8 :: v_dual_min_f32 v170, v37, v9
	v_dual_min_f32 v150, v36, v8 :: v_dual_min_f32 v169, v41, v9
	;; [unrolled: 1-line block ×16, first 2 shown]
	v_min_f32_e32 v40, v40, v0
	v_dual_min_f32 v36, v36, v0 :: v_dual_min_f32 v37, v37, v1
	v_dual_min_f32 v32, v32, v0 :: v_dual_min_f32 v33, v33, v1
	;; [unrolled: 1-line block ×6, first 2 shown]
	v_min_f32_e32 v0, v12, v0
	v_min_f32_e32 v12, v41, v45
	;; [unrolled: 1-line block ×6, first 2 shown]
	v_dual_min_f32 v183, v38, v46 :: v_dual_min_f32 v204, v35, v47
	v_dual_min_f32 v184, v34, v46 :: v_dual_min_f32 v203, v39, v47
	;; [unrolled: 1-line block ×6, first 2 shown]
	v_min_f32_e32 v46, v14, v46
	v_dual_min_f32 v189, v42, v10 :: v_dual_min_f32 v210, v39, v11
	v_dual_min_f32 v190, v38, v10 :: v_dual_min_f32 v209, v43, v11
	;; [unrolled: 1-line block ×16, first 2 shown]
	v_min_f32_e32 v42, v42, v2
	v_dual_min_f32 v38, v38, v2 :: v_dual_min_f32 v39, v39, v3
	v_dual_min_f32 v34, v34, v2 :: v_dual_min_f32 v35, v35, v3
	;; [unrolled: 1-line block ×6, first 2 shown]
	v_min_f32_e32 v2, v14, v2
	v_min_f32_e32 v14, v43, v47
	;; [unrolled: 1-line block ×4, first 2 shown]
	v_dual_add_f32 v137, v163, v137 :: v_dual_add_f32 v126, v145, v126
	v_dual_add_f32 v45, v45, v117 :: v_dual_add_f32 v114, v150, v114
	;; [unrolled: 1-line block ×7, first 2 shown]
	v_add_f32_e32 v1, v1, v64
	v_add_co_ci_u32_e32 v63, vcc_lo, v140, v55, vcc_lo
	v_min_f32_e32 v47, v15, v47
	v_dual_add_f32 v15, v59, v142 :: v_dual_add_f32 v12, v12, v141
	v_dual_add_f32 v59, v143, v139 :: v_dual_add_f32 v128, v144, v128
	;; [unrolled: 1-line block ×9, first 2 shown]
	v_add_f32_e32 v110, v192, v110
	v_dual_add_f32 v101, v190, v114 :: v_dual_add_f32 v104, v195, v104
	v_dual_add_f32 v95, v218, v95 :: v_dual_add_f32 v114, v7, v5
	v_add_f32_e32 v115, v6, v4
	v_add_f32_e32 v139, v3, v1
	;; [unrolled: 1-line block ×3, first 2 shown]
	v_dual_add_f32 v127, v164, v127 :: v_dual_add_f32 v124, v146, v124
	v_dual_add_f32 v125, v165, v125 :: v_dual_add_f32 v122, v147, v122
	;; [unrolled: 1-line block ×32, first 2 shown]
	v_add_f32_e32 v128, v19, v17
	v_dual_add_f32 v103, v175, v103 :: v_dual_add_f32 v100, v156, v100
	v_dual_add_f32 v99, v176, v99 :: v_dual_add_f32 v98, v157, v98
	;; [unrolled: 1-line block ×3, first 2 shown]
	v_add_f32_e32 v109, v212, v109
	s_delay_alu instid0(VALU_DEP_4) | instskip(SKIP_1) | instid1(VALU_DEP_4)
	v_dual_add_f32 v105, v214, v105 :: v_dual_add_f32 v100, v196, v100
	v_dual_add_f32 v103, v215, v103 :: v_dual_add_f32 v96, v198, v96
	;; [unrolled: 1-line block ×5, first 2 shown]
	v_add_f32_e32 v86, v222, v86
	v_add_co_u32 v133, vcc_lo, v133, s10
	v_add_co_u32 v138, s3, v138, s8
	s_delay_alu instid0(VALU_DEP_1)
	v_add_co_ci_u32_e64 v140, s3, s9, v140, s3
	v_add_co_ci_u32_e32 v134, vcc_lo, s11, v134, vcc_lo
	s_add_i32 s12, s12, 8
	s_waitcnt vmcnt(2) lgkmcnt(2)
	ds_store_b32 v129, v56
	s_waitcnt vmcnt(0) lgkmcnt(1)
	ds_store_2addr_stride64_b32 v88, v57, v58 offset1:4
	s_waitcnt lgkmcnt(0)
	s_barrier
	buffer_gl0_inv
	ds_load_b128 v[0:3], v76
	ds_load_b128 v[4:7], v130
	flat_load_b32 v56, v[60:61]
	s_clause 0x1
	flat_load_b32 v57, v[62:63]
	flat_load_b32 v58, v[62:63] offset:256
	v_add_f32_e32 v89, v221, v89
	s_cmp_ge_i32 s12, s23
	s_waitcnt lgkmcnt(4)
	v_dual_max_f32 v0, v0, v0 :: v_dual_max_f32 v1, v1, v1
	v_max_f32_e32 v2, v2, v2
	v_add_f32_e32 v127, v22, v20
	v_add_f32_e32 v137, v18, v16
	s_waitcnt lgkmcnt(3)
	v_max_f32_e32 v5, v5, v5
	v_add_f32_e32 v125, v26, v24
	ds_load_b128 v[8:11], v130 offset:128
	ds_load_b128 v[12:15], v130 offset:256
	;; [unrolled: 1-line block ×10, first 2 shown]
	v_dual_max_f32 v4, v4, v4 :: v_dual_max_f32 v3, v3, v3
	v_dual_max_f32 v6, v6, v6 :: v_dual_max_f32 v7, v7, v7
	s_waitcnt vmcnt(2) lgkmcnt(12)
	ds_store_b32 v131, v56
	s_waitcnt vmcnt(0) lgkmcnt(11)
	ds_store_2addr_stride64_b32 v132, v57, v58 offset1:4
	s_waitcnt lgkmcnt(11)
	v_max_f32_e32 v10, v10, v10
	v_dual_max_f32 v8, v8, v8 :: v_dual_max_f32 v9, v9, v9
	s_waitcnt lgkmcnt(10)
	v_dual_max_f32 v12, v12, v12 :: v_dual_max_f32 v13, v13, v13
	s_waitcnt lgkmcnt(9)
	;; [unrolled: 2-line block ×9, first 2 shown]
	v_dual_max_f32 v44, v44, v44 :: v_dual_max_f32 v45, v45, v45
	v_dual_max_f32 v46, v46, v46 :: v_dual_max_f32 v11, v11, v11
	;; [unrolled: 1-line block ×10, first 2 shown]
	v_dual_min_f32 v60, v4, v0 :: v_dual_max_f32 v47, v47, v47
	v_min_f32_e32 v62, v12, v0
	v_dual_min_f32 v61, v8, v0 :: v_dual_min_f32 v166, v9, v37
	v_dual_min_f32 v63, v16, v0 :: v_dual_min_f32 v168, v17, v37
	;; [unrolled: 1-line block ×7, first 2 shown]
	v_min_f32_e32 v146, v8, v36
	v_dual_min_f32 v147, v12, v36 :: v_dual_min_f32 v174, v13, v41
	v_dual_min_f32 v148, v16, v36 :: v_dual_min_f32 v165, v5, v37
	;; [unrolled: 1-line block ×15, first 2 shown]
	v_min_f32_e32 v8, v8, v44
	v_dual_min_f32 v12, v12, v44 :: v_dual_min_f32 v9, v9, v45
	v_min_f32_e32 v16, v16, v44
	v_dual_min_f32 v20, v20, v44 :: v_dual_min_f32 v17, v17, v45
	;; [unrolled: 2-line block ×3, first 2 shown]
	v_min_f32_e32 v32, v32, v44
	v_min_f32_e32 v44, v5, v1
	;; [unrolled: 1-line block ×12, first 2 shown]
	v_dual_min_f32 v179, v10, v2 :: v_dual_min_f32 v200, v15, v3
	v_dual_min_f32 v181, v18, v2 :: v_dual_min_f32 v202, v23, v3
	;; [unrolled: 1-line block ×3, first 2 shown]
	v_min_f32_e32 v2, v34, v2
	v_dual_min_f32 v185, v6, v38 :: v_dual_min_f32 v206, v11, v39
	v_dual_min_f32 v186, v10, v38 :: v_dual_min_f32 v199, v11, v3
	;; [unrolled: 1-line block ×7, first 2 shown]
	v_min_f32_e32 v38, v34, v38
	v_dual_min_f32 v192, v6, v42 :: v_dual_min_f32 v205, v7, v39
	v_dual_min_f32 v193, v10, v42 :: v_dual_min_f32 v214, v15, v43
	;; [unrolled: 1-line block ×12, first 2 shown]
	v_min_f32_e32 v22, v22, v46
	v_dual_min_f32 v26, v26, v46 :: v_dual_min_f32 v11, v11, v47
	v_dual_min_f32 v30, v30, v46 :: v_dual_min_f32 v15, v15, v47
	;; [unrolled: 1-line block ×3, first 2 shown]
	v_min_f32_e32 v46, v7, v3
	v_min_f32_e32 v3, v35, v3
	;; [unrolled: 1-line block ×3, first 2 shown]
	v_dual_min_f32 v23, v23, v47 :: v_dual_add_f32 v44, v44, v64
	v_dual_min_f32 v27, v27, v47 :: v_dual_add_f32 v64, v161, v69
	v_min_f32_e32 v31, v31, v47
	v_dual_min_f32 v35, v35, v47 :: v_dual_add_f32 v0, v0, v82
	v_dual_add_f32 v47, v60, v65 :: v_dual_add_f32 v60, v159, v66
	v_add_f32_e32 v59, v61, v59
	v_dual_add_f32 v61, v62, v68 :: v_dual_add_f32 v62, v160, v67
	v_dual_add_f32 v63, v63, v70 :: v_dual_add_f32 v66, v162, v71
	v_add_f32_e32 v65, v142, v73
	v_add_f32_e32 v67, v143, v77
	v_dual_add_f32 v68, v163, v74 :: v_dual_add_f32 v69, v144, v80
	v_add_f32_e32 v74, v146, v101
	v_dual_add_f32 v70, v164, v78 :: v_dual_add_f32 v1, v1, v81
	v_dual_add_f32 v80, v167, v102 :: v_dual_add_f32 v71, v145, v84
	v_dual_add_f32 v82, v168, v109 :: v_dual_add_f32 v73, v165, v83
	v_dual_add_f32 v102, v151, v104 :: v_dual_add_f32 v77, v166, v85
	v_add_f32_e32 v100, v152, v100
	v_dual_add_f32 v78, v147, v111 :: v_dual_add_f32 v81, v148, v110
	v_add_f32_e32 v96, v154, v96
	v_dual_add_f32 v83, v149, v108 :: v_dual_add_f32 v36, v36, v113
	v_dual_add_f32 v84, v169, v107 :: v_dual_add_f32 v85, v150, v106
	;; [unrolled: 1-line block ×4, first 2 shown]
	v_add_f32_e32 v90, v157, v90
	v_dual_add_f32 v37, v37, v112 :: v_dual_add_f32 v94, v155, v94
	v_dual_add_f32 v99, v172, v99 :: v_dual_add_f32 v86, v178, v86
	;; [unrolled: 1-line block ×5, first 2 shown]
	v_add_f32_e32 v91, v176, v91
	v_dual_add_f32 v89, v177, v89 :: v_dual_add_f32 v16, v16, v123
	v_dual_add_f32 v87, v158, v87 :: v_dual_add_f32 v12, v12, v121
	;; [unrolled: 1-line block ×6, first 2 shown]
	v_add_f32_e32 v17, v17, v122
	v_dual_add_f32 v21, v21, v124 :: v_dual_add_f32 v122, v183, v67
	v_dual_add_f32 v25, v25, v126 :: v_dual_add_f32 v120, v184, v69
	;; [unrolled: 1-line block ×9, first 2 shown]
	v_add_f32_e32 v112, v187, v78
	v_dual_add_f32 v123, v202, v66 :: v_dual_add_f32 v108, v189, v83
	v_dual_add_f32 v124, v182, v65 :: v_dual_add_f32 v121, v203, v68
	;; [unrolled: 1-line block ×13, first 2 shown]
	v_add_f32_e32 v84, v43, v41
	v_dual_add_f32 v97, v213, v97 :: v_dual_add_f32 v74, v18, v16
	v_dual_add_f32 v95, v214, v95 :: v_dual_add_f32 v82, v7, v5
	;; [unrolled: 1-line block ×4, first 2 shown]
	v_add_f32_e32 v89, v217, v89
	v_dual_add_f32 v87, v198, v87 :: v_dual_add_f32 v70, v23, v21
	v_dual_add_f32 v85, v42, v40 :: v_dual_add_f32 v68, v27, v25
	;; [unrolled: 1-line block ×3, first 2 shown]
	v_add_f32_e32 v81, v10, v8
	v_add_f32_e32 v77, v15, v13
	;; [unrolled: 1-line block ×7, first 2 shown]
	s_waitcnt lgkmcnt(0)
	s_barrier
	buffer_gl0_inv
	s_cbranch_scc0 .LBB91_11
.LBB91_12:
	s_load_b32 s8, s[0:1], 0x50
	v_add_nc_u32_e32 v48, s22, v75
	ds_load_b128 v[0:3], v79 offset:5120
	ds_load_b128 v[40:43], v76 offset:2048
	v_add_nc_u32_e32 v46, s14, v72
	v_cmp_neq_f32_e64 s9, s20, 0
	v_mov_b32_e32 v52, 0
	v_mov_b32_e32 v50, 0
	s_delay_alu instid0(VALU_DEP_4) | instskip(NEXT) | instid1(VALU_DEP_4)
	v_ashrrev_i32_e32 v47, 31, v46
	s_and_b32 vcc_lo, exec_lo, s9
	s_delay_alu instid0(VALU_DEP_1) | instskip(SKIP_2) | instid1(VALU_DEP_1)
	v_lshlrev_b64 v[44:45], 2, v[46:47]
	s_waitcnt lgkmcnt(0)
	v_mad_i64_i32 v[4:5], null, v48, s8, 0
	v_lshlrev_b64 v[4:5], 2, v[4:5]
	s_delay_alu instid0(VALU_DEP_1) | instskip(NEXT) | instid1(VALU_DEP_1)
	v_add_co_u32 v62, s3, s4, v4
	v_add_co_ci_u32_e64 v63, s3, s5, v5, s3
	s_cbranch_vccz .LBB91_14
; %bb.13:
	s_delay_alu instid0(VALU_DEP_2) | instskip(NEXT) | instid1(VALU_DEP_2)
	v_add_co_u32 v4, vcc_lo, v62, v44
	v_add_co_ci_u32_e32 v5, vcc_lo, v63, v45, vcc_lo
	flat_load_b32 v4, v[4:5]
	s_waitcnt vmcnt(0) lgkmcnt(0)
	v_mul_f32_e32 v50, s20, v4
.LBB91_14:
	s_clause 0x1
	s_load_b64 s[10:11], s[0:1], 0x70
	s_load_b32 s1, s[0:1], 0x68
	v_dual_max_f32 v72, v40, v40 :: v_dual_max_f32 v75, v41, v41
	v_dual_max_f32 v47, v0, v0 :: v_dual_max_f32 v88, v42, v42
	v_max_f32_e32 v49, v1, v1
	ds_load_b128 v[36:39], v79 offset:5248
	ds_load_b128 v[32:35], v79 offset:5376
	;; [unrolled: 1-line block ×7, first 2 shown]
	v_dual_max_f32 v79, v43, v43 :: v_dual_max_f32 v42, v2, v2
	v_dual_min_f32 v0, v47, v72 :: v_dual_min_f32 v1, v49, v75
	ds_load_b128 v[8:11], v76 offset:2560
	ds_load_b128 v[4:7], v76 offset:3072
	v_min_f32_e32 v55, v42, v88
	v_add_f32_e32 v53, v1, v141
	v_max_f32_e32 v43, v3, v3
	v_add_f32_e32 v51, v0, v142
	ds_load_b128 v[0:3], v76 offset:3584
	s_waitcnt lgkmcnt(0)
	s_mul_i32 s0, s15, s11
	v_mad_i64_i32 v[40:41], null, v48, s1, 0
	v_min_f32_e32 v54, v43, v79
	s_mul_hi_u32 s3, s15, s10
	s_mul_i32 s11, s21, s10
	s_add_i32 s0, s3, s0
	s_mul_i32 s10, s15, s10
	s_add_i32 s11, s0, s11
	s_delay_alu instid0(VALU_DEP_2)
	v_lshlrev_b64 v[40:41], 2, v[40:41]
	v_dual_add_f32 v56, v54, v53 :: v_dual_add_f32 v51, v55, v51
	s_lshl_b64 s[10:11], s[10:11], 2
	v_add_nc_u32_e32 v53, 8, v46
	s_add_u32 s3, s6, s10
	s_addc_u32 s6, s7, s11
	v_add_f32_e32 v51, v51, v56
	v_add_co_u32 v76, vcc_lo, s3, v40
	v_ashrrev_i32_e32 v54, 31, v53
	v_cndmask_b32_e64 v55, 0, 1, s9
	v_add_co_ci_u32_e32 v129, vcc_lo, s6, v41, vcc_lo
	v_add_f32_e32 v56, v51, v50
	v_add_co_u32 v50, vcc_lo, v76, v44
	v_lshlrev_b64 v[40:41], 2, v[53:54]
	v_cmp_ne_u32_e64 s0, 1, v55
	v_add_co_ci_u32_e32 v51, vcc_lo, v129, v45, vcc_lo
	s_and_not1_b32 vcc_lo, exec_lo, s9
	global_store_b32 v[50:51], v56, off
	s_cbranch_vccnz .LBB91_16
; %bb.15:
	v_add_co_u32 v50, vcc_lo, v62, v40
	v_add_co_ci_u32_e32 v51, vcc_lo, v63, v41, vcc_lo
	flat_load_b32 v50, v[50:51]
	s_waitcnt vmcnt(0) lgkmcnt(0)
	v_mul_f32_e32 v52, s20, v50
.LBB91_16:
	v_dual_max_f32 v51, v37, v37 :: v_dual_max_f32 v50, v36, v36
	v_dual_max_f32 v38, v38, v38 :: v_dual_max_f32 v39, v39, v39
	v_add_co_u32 v57, vcc_lo, v76, v40
	s_delay_alu instid0(VALU_DEP_3) | instskip(NEXT) | instid1(VALU_DEP_3)
	v_dual_min_f32 v36, v51, v75 :: v_dual_min_f32 v37, v50, v72
	v_dual_min_f32 v53, v38, v88 :: v_dual_min_f32 v54, v39, v79
	s_delay_alu instid0(VALU_DEP_2) | instskip(NEXT) | instid1(VALU_DEP_3)
	v_dual_mov_b32 v56, 0 :: v_dual_add_f32 v55, v36, v137
	v_dual_add_f32 v37, v37, v139 :: v_dual_add_nc_u32 v36, 16, v46
	v_add_co_ci_u32_e32 v58, vcc_lo, v129, v41, vcc_lo
	s_delay_alu instid0(VALU_DEP_3) | instskip(SKIP_1) | instid1(VALU_DEP_3)
	v_add_f32_e32 v54, v54, v55
	s_and_b32 vcc_lo, exec_lo, s0
	v_add_f32_e32 v53, v53, v37
	v_ashrrev_i32_e32 v37, 31, v36
	s_delay_alu instid0(VALU_DEP_2) | instskip(NEXT) | instid1(VALU_DEP_2)
	v_dual_add_f32 v53, v53, v54 :: v_dual_mov_b32 v54, 0
	v_lshlrev_b64 v[36:37], 2, v[36:37]
	s_delay_alu instid0(VALU_DEP_2)
	v_add_f32_e32 v52, v53, v52
	global_store_b32 v[57:58], v52, off
	s_cbranch_vccnz .LBB91_18
; %bb.17:
	v_add_co_u32 v52, vcc_lo, v62, v36
	v_add_co_ci_u32_e32 v53, vcc_lo, v63, v37, vcc_lo
	flat_load_b32 v52, v[52:53]
	s_waitcnt vmcnt(0) lgkmcnt(0)
	v_mul_f32_e32 v54, s20, v52
.LBB91_18:
	v_dual_max_f32 v53, v33, v33 :: v_dual_max_f32 v52, v32, v32
	v_dual_max_f32 v34, v34, v34 :: v_dual_max_f32 v35, v35, v35
	s_delay_alu instid0(VALU_DEP_2) | instskip(NEXT) | instid1(VALU_DEP_2)
	v_dual_min_f32 v32, v53, v75 :: v_dual_min_f32 v33, v52, v72
	v_min_f32_e32 v55, v34, v88
	s_delay_alu instid0(VALU_DEP_3) | instskip(NEXT) | instid1(VALU_DEP_3)
	v_min_f32_e32 v57, v35, v79
	v_add_f32_e32 v58, v32, v127
	s_delay_alu instid0(VALU_DEP_4) | instskip(NEXT) | instid1(VALU_DEP_2)
	v_dual_add_f32 v33, v33, v128 :: v_dual_add_nc_u32 v32, 24, v46
	v_add_f32_e32 v57, v57, v58
	s_delay_alu instid0(VALU_DEP_2) | instskip(NEXT) | instid1(VALU_DEP_3)
	v_add_f32_e32 v55, v55, v33
	v_ashrrev_i32_e32 v33, 31, v32
	s_delay_alu instid0(VALU_DEP_2) | instskip(SKIP_1) | instid1(VALU_DEP_3)
	v_add_f32_e32 v55, v55, v57
	v_add_co_u32 v57, vcc_lo, v76, v36
	v_lshlrev_b64 v[32:33], 2, v[32:33]
	v_add_co_ci_u32_e32 v58, vcc_lo, v129, v37, vcc_lo
	s_delay_alu instid0(VALU_DEP_4)
	v_add_f32_e32 v54, v55, v54
	s_and_b32 vcc_lo, exec_lo, s0
	global_store_b32 v[57:58], v54, off
	s_cbranch_vccnz .LBB91_20
; %bb.19:
	v_add_co_u32 v54, vcc_lo, v62, v32
	v_add_co_ci_u32_e32 v55, vcc_lo, v63, v33, vcc_lo
	flat_load_b32 v54, v[54:55]
	s_waitcnt vmcnt(0) lgkmcnt(0)
	v_mul_f32_e32 v56, s20, v54
.LBB91_20:
	v_dual_max_f32 v55, v29, v29 :: v_dual_max_f32 v54, v28, v28
	v_dual_max_f32 v30, v30, v30 :: v_dual_max_f32 v31, v31, v31
	v_mov_b32_e32 v60, 0
	s_delay_alu instid0(VALU_DEP_3) | instskip(NEXT) | instid1(VALU_DEP_3)
	v_dual_min_f32 v28, v55, v75 :: v_dual_min_f32 v29, v54, v72
	v_dual_min_f32 v57, v30, v88 :: v_dual_min_f32 v58, v31, v79
	s_delay_alu instid0(VALU_DEP_2) | instskip(NEXT) | instid1(VALU_DEP_3)
	v_dual_add_f32 v59, v28, v125 :: v_dual_add_nc_u32 v28, 32, v46
	v_add_f32_e32 v29, v29, v126
	v_add_co_u32 v125, vcc_lo, v76, v32
	s_delay_alu instid0(VALU_DEP_3) | instskip(SKIP_1) | instid1(VALU_DEP_4)
	v_add_f32_e32 v58, v58, v59
	v_add_co_ci_u32_e32 v126, vcc_lo, v129, v33, vcc_lo
	v_add_f32_e32 v57, v57, v29
	v_ashrrev_i32_e32 v29, 31, v28
	s_and_b32 vcc_lo, exec_lo, s0
	s_delay_alu instid0(VALU_DEP_2) | instskip(NEXT) | instid1(VALU_DEP_2)
	v_dual_add_f32 v57, v57, v58 :: v_dual_mov_b32 v58, 0
	v_lshlrev_b64 v[28:29], 2, v[28:29]
	s_delay_alu instid0(VALU_DEP_2)
	v_add_f32_e32 v56, v57, v56
	global_store_b32 v[125:126], v56, off
	s_cbranch_vccnz .LBB91_22
; %bb.21:
	v_add_co_u32 v56, vcc_lo, v62, v28
	v_add_co_ci_u32_e32 v57, vcc_lo, v63, v29, vcc_lo
	flat_load_b32 v56, v[56:57]
	s_waitcnt vmcnt(0) lgkmcnt(0)
	v_mul_f32_e32 v58, s20, v56
.LBB91_22:
	v_dual_max_f32 v57, v25, v25 :: v_dual_max_f32 v56, v24, v24
	v_dual_max_f32 v26, v26, v26 :: v_dual_max_f32 v27, v27, v27
	s_delay_alu instid0(VALU_DEP_2) | instskip(NEXT) | instid1(VALU_DEP_2)
	v_dual_min_f32 v24, v57, v75 :: v_dual_min_f32 v25, v56, v72
	v_min_f32_e32 v59, v26, v88
	s_delay_alu instid0(VALU_DEP_3) | instskip(NEXT) | instid1(VALU_DEP_3)
	v_min_f32_e32 v61, v27, v79
	v_add_f32_e32 v123, v24, v123
	s_delay_alu instid0(VALU_DEP_4) | instskip(NEXT) | instid1(VALU_DEP_2)
	v_dual_add_f32 v25, v25, v124 :: v_dual_add_nc_u32 v24, 40, v46
	v_add_f32_e32 v61, v61, v123
	s_delay_alu instid0(VALU_DEP_2) | instskip(NEXT) | instid1(VALU_DEP_3)
	v_add_f32_e32 v59, v59, v25
	v_ashrrev_i32_e32 v25, 31, v24
	v_add_co_u32 v123, vcc_lo, v76, v28
	v_add_co_ci_u32_e32 v124, vcc_lo, v129, v29, vcc_lo
	s_delay_alu instid0(VALU_DEP_4) | instskip(NEXT) | instid1(VALU_DEP_4)
	v_add_f32_e32 v59, v59, v61
	v_lshlrev_b64 v[24:25], 2, v[24:25]
	s_and_b32 vcc_lo, exec_lo, s0
	s_delay_alu instid0(VALU_DEP_2)
	v_add_f32_e32 v58, v59, v58
	global_store_b32 v[123:124], v58, off
	s_cbranch_vccnz .LBB91_24
; %bb.23:
	v_add_co_u32 v58, vcc_lo, v62, v24
	v_add_co_ci_u32_e32 v59, vcc_lo, v63, v25, vcc_lo
	flat_load_b32 v58, v[58:59]
	s_waitcnt vmcnt(0) lgkmcnt(0)
	v_mul_f32_e32 v60, s20, v58
.LBB91_24:
	v_dual_max_f32 v59, v21, v21 :: v_dual_max_f32 v58, v20, v20
	v_dual_max_f32 v22, v22, v22 :: v_dual_max_f32 v23, v23, v23
	s_delay_alu instid0(VALU_DEP_2) | instskip(NEXT) | instid1(VALU_DEP_2)
	v_dual_min_f32 v20, v59, v75 :: v_dual_min_f32 v21, v58, v72
	v_min_f32_e32 v61, v22, v88
	s_delay_alu instid0(VALU_DEP_3) | instskip(NEXT) | instid1(VALU_DEP_3)
	v_min_f32_e32 v123, v23, v79
	v_add_f32_e32 v121, v20, v121
	s_delay_alu instid0(VALU_DEP_4) | instskip(NEXT) | instid1(VALU_DEP_2)
	v_dual_add_f32 v21, v21, v122 :: v_dual_mov_b32 v122, 0
	v_dual_add_f32 v121, v123, v121 :: v_dual_add_nc_u32 v20, 48, v46
	s_delay_alu instid0(VALU_DEP_2) | instskip(SKIP_1) | instid1(VALU_DEP_3)
	v_add_f32_e32 v61, v61, v21
	v_add_co_u32 v123, vcc_lo, v76, v24
	v_ashrrev_i32_e32 v21, 31, v20
	v_add_co_ci_u32_e32 v124, vcc_lo, v129, v25, vcc_lo
	s_delay_alu instid0(VALU_DEP_4) | instskip(SKIP_1) | instid1(VALU_DEP_4)
	v_add_f32_e32 v61, v61, v121
	v_mov_b32_e32 v121, 0
	v_lshlrev_b64 v[20:21], 2, v[20:21]
	s_and_b32 vcc_lo, exec_lo, s0
	s_delay_alu instid0(VALU_DEP_3)
	v_add_f32_e32 v60, v61, v60
	global_store_b32 v[123:124], v60, off
	s_cbranch_vccnz .LBB91_26
; %bb.25:
	v_add_co_u32 v60, vcc_lo, v62, v20
	v_add_co_ci_u32_e32 v61, vcc_lo, v63, v21, vcc_lo
	flat_load_b32 v60, v[60:61]
	s_waitcnt vmcnt(0) lgkmcnt(0)
	v_mul_f32_e32 v122, s20, v60
.LBB91_26:
	v_dual_max_f32 v61, v17, v17 :: v_dual_max_f32 v60, v16, v16
	v_dual_max_f32 v18, v18, v18 :: v_dual_max_f32 v19, v19, v19
	s_delay_alu instid0(VALU_DEP_2) | instskip(NEXT) | instid1(VALU_DEP_2)
	v_dual_min_f32 v16, v61, v75 :: v_dual_min_f32 v17, v60, v72
	v_dual_min_f32 v123, v18, v88 :: v_dual_min_f32 v124, v19, v79
	s_delay_alu instid0(VALU_DEP_2) | instskip(NEXT) | instid1(VALU_DEP_1)
	v_dual_add_f32 v119, v16, v119 :: v_dual_add_nc_u32 v16, 56, v46
	v_dual_add_f32 v17, v17, v120 :: v_dual_add_f32 v46, v124, v119
	s_delay_alu instid0(VALU_DEP_1) | instskip(NEXT) | instid1(VALU_DEP_3)
	v_add_f32_e32 v119, v123, v17
	v_ashrrev_i32_e32 v17, 31, v16
	s_delay_alu instid0(VALU_DEP_2) | instskip(SKIP_1) | instid1(VALU_DEP_3)
	v_add_f32_e32 v46, v119, v46
	v_add_co_u32 v119, vcc_lo, v76, v20
	v_lshlrev_b64 v[16:17], 2, v[16:17]
	v_add_co_ci_u32_e32 v120, vcc_lo, v129, v21, vcc_lo
	s_delay_alu instid0(VALU_DEP_4)
	v_add_f32_e32 v46, v46, v122
	s_and_b32 vcc_lo, exec_lo, s0
	global_store_b32 v[119:120], v46, off
	s_cbranch_vccnz .LBB91_28
; %bb.27:
	v_add_co_u32 v62, vcc_lo, v62, v16
	v_add_co_ci_u32_e32 v63, vcc_lo, v63, v17, vcc_lo
	flat_load_b32 v46, v[62:63]
	s_waitcnt vmcnt(0) lgkmcnt(0)
	v_mul_f32_e32 v121, s20, v46
.LBB91_28:
	v_dual_max_f32 v12, v12, v12 :: v_dual_max_f32 v13, v13, v13
	v_dual_max_f32 v14, v14, v14 :: v_dual_add_nc_u32 v119, 32, v48
	s_delay_alu instid0(VALU_DEP_2) | instskip(NEXT) | instid1(VALU_DEP_2)
	v_dual_max_f32 v15, v15, v15 :: v_dual_min_f32 v46, v12, v72
	v_dual_min_f32 v72, v13, v75 :: v_dual_min_f32 v75, v14, v88
	s_delay_alu instid0(VALU_DEP_3) | instskip(NEXT) | instid1(VALU_DEP_2)
	v_mad_i64_i32 v[62:63], null, v119, s8, 0
	v_dual_min_f32 v79, v15, v79 :: v_dual_add_f32 v72, v72, v117
	s_delay_alu instid0(VALU_DEP_4) | instskip(SKIP_2) | instid1(VALU_DEP_4)
	v_add_f32_e32 v46, v46, v118
	v_add_co_u32 v117, vcc_lo, v76, v16
	v_add_co_ci_u32_e32 v118, vcc_lo, v129, v17, vcc_lo
	v_dual_add_f32 v72, v79, v72 :: v_dual_mov_b32 v79, 0
	s_delay_alu instid0(VALU_DEP_4) | instskip(SKIP_2) | instid1(VALU_DEP_3)
	v_add_f32_e32 v46, v75, v46
	v_lshlrev_b64 v[62:63], 2, v[62:63]
	v_mov_b32_e32 v76, 0
	v_add_f32_e32 v72, v46, v72
	s_delay_alu instid0(VALU_DEP_3) | instskip(NEXT) | instid1(VALU_DEP_4)
	v_add_co_u32 v46, vcc_lo, s4, v62
	v_add_co_ci_u32_e32 v62, vcc_lo, s5, v63, vcc_lo
	s_delay_alu instid0(VALU_DEP_3)
	v_add_f32_e32 v63, v72, v121
	s_and_b32 vcc_lo, exec_lo, s0
	global_store_b32 v[117:118], v63, off
	s_cbranch_vccnz .LBB91_30
; %bb.29:
	v_add_co_u32 v117, vcc_lo, v46, v44
	v_add_co_ci_u32_e32 v118, vcc_lo, v62, v45, vcc_lo
	flat_load_b32 v63, v[117:118]
	s_waitcnt vmcnt(0) lgkmcnt(0)
	v_mul_f32_e32 v79, s20, v63
.LBB91_30:
	v_dual_max_f32 v63, v8, v8 :: v_dual_max_f32 v72, v9, v9
	v_dual_max_f32 v75, v10, v10 :: v_dual_max_f32 v8, v11, v11
	v_mad_i64_i32 v[9:10], null, v119, s1, 0
	s_delay_alu instid0(VALU_DEP_3) | instskip(NEXT) | instid1(VALU_DEP_3)
	v_dual_min_f32 v11, v47, v63 :: v_dual_min_f32 v88, v49, v72
	v_dual_min_f32 v117, v42, v75 :: v_dual_min_f32 v118, v43, v8
	s_delay_alu instid0(VALU_DEP_2) | instskip(NEXT) | instid1(VALU_DEP_4)
	v_dual_add_f32 v11, v11, v116 :: v_dual_add_f32 v88, v88, v115
	v_lshlrev_b64 v[9:10], 2, v[9:10]
	s_delay_alu instid0(VALU_DEP_2) | instskip(NEXT) | instid1(VALU_DEP_2)
	v_dual_add_f32 v11, v117, v11 :: v_dual_add_f32 v88, v118, v88
	v_add_co_u32 v9, vcc_lo, s3, v9
	s_delay_alu instid0(VALU_DEP_3) | instskip(NEXT) | instid1(VALU_DEP_3)
	v_add_co_ci_u32_e32 v10, vcc_lo, s6, v10, vcc_lo
	v_add_f32_e32 v11, v11, v88
	s_delay_alu instid0(VALU_DEP_3) | instskip(NEXT) | instid1(VALU_DEP_3)
	v_add_co_u32 v115, vcc_lo, v9, v44
	v_add_co_ci_u32_e32 v116, vcc_lo, v10, v45, vcc_lo
	s_delay_alu instid0(VALU_DEP_3)
	v_add_f32_e32 v11, v11, v79
	s_and_b32 vcc_lo, exec_lo, s0
	global_store_b32 v[115:116], v11, off
	s_cbranch_vccnz .LBB91_32
; %bb.31:
	v_add_co_u32 v115, vcc_lo, v46, v40
	v_add_co_ci_u32_e32 v116, vcc_lo, v62, v41, vcc_lo
	flat_load_b32 v11, v[115:116]
	s_waitcnt vmcnt(0) lgkmcnt(0)
	v_mul_f32_e32 v76, s20, v11
.LBB91_32:
	v_dual_min_f32 v11, v51, v72 :: v_dual_min_f32 v88, v38, v75
	v_min_f32_e32 v79, v50, v63
	v_min_f32_e32 v115, v39, v8
	s_delay_alu instid0(VALU_DEP_3) | instskip(SKIP_1) | instid1(VALU_DEP_4)
	v_add_f32_e32 v11, v11, v113
	v_add_co_u32 v113, vcc_lo, v9, v40
	v_add_f32_e32 v79, v79, v114
	v_add_co_ci_u32_e32 v114, vcc_lo, v10, v41, vcc_lo
	s_delay_alu instid0(VALU_DEP_4) | instskip(SKIP_1) | instid1(VALU_DEP_3)
	v_add_f32_e32 v11, v115, v11
	s_and_b32 vcc_lo, exec_lo, s0
	v_add_f32_e32 v79, v88, v79
	s_delay_alu instid0(VALU_DEP_1) | instskip(NEXT) | instid1(VALU_DEP_1)
	v_add_f32_e32 v11, v79, v11
	v_dual_add_f32 v79, v11, v76 :: v_dual_mov_b32 v76, 0
	v_mov_b32_e32 v11, 0
	global_store_b32 v[113:114], v79, off
	s_cbranch_vccnz .LBB91_34
; %bb.33:
	v_add_co_u32 v113, vcc_lo, v46, v36
	v_add_co_ci_u32_e32 v114, vcc_lo, v62, v37, vcc_lo
	flat_load_b32 v76, v[113:114]
	s_waitcnt vmcnt(0) lgkmcnt(0)
	v_mul_f32_e32 v76, s20, v76
.LBB91_34:
	v_dual_min_f32 v79, v53, v72 :: v_dual_min_f32 v88, v52, v63
	v_dual_min_f32 v113, v34, v75 :: v_dual_min_f32 v114, v35, v8
	s_delay_alu instid0(VALU_DEP_2) | instskip(SKIP_2) | instid1(VALU_DEP_3)
	v_dual_add_f32 v79, v79, v111 :: v_dual_add_f32 v88, v88, v112
	v_add_co_u32 v111, vcc_lo, v9, v36
	v_add_co_ci_u32_e32 v112, vcc_lo, v10, v37, vcc_lo
	v_dual_add_f32 v79, v114, v79 :: v_dual_add_f32 v88, v113, v88
	s_and_b32 vcc_lo, exec_lo, s0
	s_delay_alu instid0(VALU_DEP_1) | instskip(NEXT) | instid1(VALU_DEP_1)
	v_add_f32_e32 v79, v88, v79
	v_add_f32_e32 v76, v79, v76
	global_store_b32 v[111:112], v76, off
	s_cbranch_vccnz .LBB91_36
; %bb.35:
	v_add_co_u32 v111, vcc_lo, v46, v32
	v_add_co_ci_u32_e32 v112, vcc_lo, v62, v33, vcc_lo
	flat_load_b32 v11, v[111:112]
	s_waitcnt vmcnt(0) lgkmcnt(0)
	v_mul_f32_e32 v11, s20, v11
.LBB91_36:
	v_dual_min_f32 v76, v55, v72 :: v_dual_min_f32 v79, v54, v63
	v_dual_min_f32 v88, v30, v75 :: v_dual_min_f32 v111, v31, v8
	s_delay_alu instid0(VALU_DEP_2) | instskip(SKIP_2) | instid1(VALU_DEP_3)
	v_dual_add_f32 v76, v76, v109 :: v_dual_add_f32 v79, v79, v110
	v_add_co_u32 v109, vcc_lo, v9, v32
	v_add_co_ci_u32_e32 v110, vcc_lo, v10, v33, vcc_lo
	v_dual_add_f32 v76, v111, v76 :: v_dual_add_f32 v79, v88, v79
	s_and_b32 vcc_lo, exec_lo, s0
	s_delay_alu instid0(VALU_DEP_1) | instskip(NEXT) | instid1(VALU_DEP_1)
	v_add_f32_e32 v76, v79, v76
	v_dual_add_f32 v79, v76, v11 :: v_dual_mov_b32 v76, 0
	v_mov_b32_e32 v11, 0
	global_store_b32 v[109:110], v79, off
	s_cbranch_vccnz .LBB91_38
; %bb.37:
	v_add_co_u32 v109, vcc_lo, v46, v28
	v_add_co_ci_u32_e32 v110, vcc_lo, v62, v29, vcc_lo
	flat_load_b32 v76, v[109:110]
	s_waitcnt vmcnt(0) lgkmcnt(0)
	v_mul_f32_e32 v76, s20, v76
.LBB91_38:
	v_dual_min_f32 v79, v57, v72 :: v_dual_min_f32 v88, v56, v63
	v_dual_min_f32 v109, v26, v75 :: v_dual_min_f32 v110, v27, v8
	s_delay_alu instid0(VALU_DEP_2) | instskip(SKIP_2) | instid1(VALU_DEP_3)
	v_dual_add_f32 v79, v79, v107 :: v_dual_add_f32 v88, v88, v108
	v_add_co_u32 v107, vcc_lo, v9, v28
	v_add_co_ci_u32_e32 v108, vcc_lo, v10, v29, vcc_lo
	v_dual_add_f32 v79, v110, v79 :: v_dual_add_f32 v88, v109, v88
	s_and_b32 vcc_lo, exec_lo, s0
	s_delay_alu instid0(VALU_DEP_1) | instskip(NEXT) | instid1(VALU_DEP_1)
	v_add_f32_e32 v79, v88, v79
	v_add_f32_e32 v76, v79, v76
	global_store_b32 v[107:108], v76, off
	s_cbranch_vccnz .LBB91_40
; %bb.39:
	v_add_co_u32 v107, vcc_lo, v46, v24
	v_add_co_ci_u32_e32 v108, vcc_lo, v62, v25, vcc_lo
	flat_load_b32 v11, v[107:108]
	s_waitcnt vmcnt(0) lgkmcnt(0)
	v_mul_f32_e32 v11, s20, v11
.LBB91_40:
	v_dual_min_f32 v76, v59, v72 :: v_dual_min_f32 v79, v58, v63
	v_dual_min_f32 v88, v22, v75 :: v_dual_min_f32 v107, v23, v8
	s_delay_alu instid0(VALU_DEP_2) | instskip(SKIP_2) | instid1(VALU_DEP_3)
	v_dual_add_f32 v76, v76, v105 :: v_dual_add_f32 v79, v79, v106
	v_add_co_u32 v105, vcc_lo, v9, v24
	v_add_co_ci_u32_e32 v106, vcc_lo, v10, v25, vcc_lo
	v_dual_add_f32 v76, v107, v76 :: v_dual_add_f32 v79, v88, v79
	s_and_b32 vcc_lo, exec_lo, s0
	s_delay_alu instid0(VALU_DEP_1) | instskip(NEXT) | instid1(VALU_DEP_1)
	v_add_f32_e32 v76, v79, v76
	v_dual_add_f32 v79, v76, v11 :: v_dual_mov_b32 v76, 0
	v_mov_b32_e32 v11, 0
	global_store_b32 v[105:106], v79, off
	s_cbranch_vccnz .LBB91_42
; %bb.41:
	v_add_co_u32 v105, vcc_lo, v46, v20
	v_add_co_ci_u32_e32 v106, vcc_lo, v62, v21, vcc_lo
	flat_load_b32 v76, v[105:106]
	s_waitcnt vmcnt(0) lgkmcnt(0)
	v_mul_f32_e32 v76, s20, v76
.LBB91_42:
	v_dual_min_f32 v79, v61, v72 :: v_dual_min_f32 v88, v60, v63
	v_dual_min_f32 v105, v18, v75 :: v_dual_min_f32 v106, v19, v8
	s_delay_alu instid0(VALU_DEP_2) | instskip(SKIP_2) | instid1(VALU_DEP_3)
	v_dual_add_f32 v79, v79, v103 :: v_dual_add_f32 v88, v88, v104
	v_add_co_u32 v103, vcc_lo, v9, v20
	v_add_co_ci_u32_e32 v104, vcc_lo, v10, v21, vcc_lo
	v_dual_add_f32 v79, v106, v79 :: v_dual_add_f32 v88, v105, v88
	s_and_b32 vcc_lo, exec_lo, s0
	s_delay_alu instid0(VALU_DEP_1) | instskip(NEXT) | instid1(VALU_DEP_1)
	v_add_f32_e32 v79, v88, v79
	v_add_f32_e32 v76, v79, v76
	global_store_b32 v[103:104], v76, off
	s_cbranch_vccnz .LBB91_44
; %bb.43:
	v_add_co_u32 v103, vcc_lo, v46, v16
	v_add_co_ci_u32_e32 v104, vcc_lo, v62, v17, vcc_lo
	flat_load_b32 v11, v[103:104]
	s_waitcnt vmcnt(0) lgkmcnt(0)
	v_mul_f32_e32 v11, s20, v11
.LBB91_44:
	v_dual_min_f32 v46, v12, v63 :: v_dual_add_nc_u32 v63, 64, v48
	v_min_f32_e32 v62, v13, v72
	v_min_f32_e32 v72, v14, v75
	;; [unrolled: 1-line block ×3, first 2 shown]
	s_delay_alu instid0(VALU_DEP_4) | instskip(SKIP_3) | instid1(VALU_DEP_4)
	v_add_f32_e32 v46, v46, v102
	v_mad_i64_i32 v[75:76], null, v63, s8, 0
	v_add_f32_e32 v62, v62, v101
	v_add_co_u32 v101, vcc_lo, v9, v16
	v_add_f32_e32 v46, v72, v46
	v_add_co_ci_u32_e32 v102, vcc_lo, v10, v17, vcc_lo
	s_delay_alu instid0(VALU_DEP_4) | instskip(SKIP_3) | instid1(VALU_DEP_4)
	v_add_f32_e32 v8, v8, v62
	v_lshlrev_b64 v[75:76], 2, v[75:76]
	v_mov_b32_e32 v62, 0
	v_mov_b32_e32 v72, 0
	v_add_f32_e32 v8, v46, v8
	s_delay_alu instid0(VALU_DEP_1)
	v_add_f32_e32 v10, v8, v11
	v_add_co_u32 v8, vcc_lo, s4, v75
	v_add_co_ci_u32_e32 v9, vcc_lo, s5, v76, vcc_lo
	s_and_b32 vcc_lo, exec_lo, s0
	global_store_b32 v[101:102], v10, off
	s_cbranch_vccnz .LBB91_46
; %bb.45:
	v_add_co_u32 v10, vcc_lo, v8, v44
	v_add_co_ci_u32_e32 v11, vcc_lo, v9, v45, vcc_lo
	flat_load_b32 v10, v[10:11]
	s_waitcnt vmcnt(0) lgkmcnt(0)
	v_mul_f32_e32 v72, s20, v10
.LBB91_46:
	v_dual_max_f32 v10, v4, v4 :: v_dual_max_f32 v11, v5, v5
	v_max_f32_e32 v46, v6, v6
	v_mad_i64_i32 v[5:6], null, v63, s1, 0
	s_delay_alu instid0(VALU_DEP_3) | instskip(NEXT) | instid1(VALU_DEP_3)
	v_min_f32_e32 v75, v49, v11
	v_dual_max_f32 v4, v7, v7 :: v_dual_min_f32 v63, v42, v46
	v_min_f32_e32 v7, v47, v10
	s_delay_alu instid0(VALU_DEP_3) | instskip(NEXT) | instid1(VALU_DEP_3)
	v_add_f32_e32 v75, v75, v99
	v_min_f32_e32 v76, v43, v4
	v_lshlrev_b64 v[5:6], 2, v[5:6]
	s_delay_alu instid0(VALU_DEP_4) | instskip(NEXT) | instid1(VALU_DEP_3)
	v_add_f32_e32 v7, v7, v100
	v_add_f32_e32 v75, v76, v75
	s_delay_alu instid0(VALU_DEP_2) | instskip(NEXT) | instid1(VALU_DEP_4)
	v_add_f32_e32 v7, v63, v7
	v_add_co_u32 v5, vcc_lo, s3, v5
	v_add_co_ci_u32_e32 v6, vcc_lo, s6, v6, vcc_lo
	s_delay_alu instid0(VALU_DEP_3) | instskip(NEXT) | instid1(VALU_DEP_3)
	v_add_f32_e32 v7, v7, v75
	v_add_co_u32 v75, vcc_lo, v5, v44
	s_delay_alu instid0(VALU_DEP_3) | instskip(NEXT) | instid1(VALU_DEP_3)
	v_add_co_ci_u32_e32 v76, vcc_lo, v6, v45, vcc_lo
	v_add_f32_e32 v7, v7, v72
	s_and_b32 vcc_lo, exec_lo, s0
	global_store_b32 v[75:76], v7, off
	s_cbranch_vccnz .LBB91_48
; %bb.47:
	v_add_co_u32 v62, vcc_lo, v8, v40
	v_add_co_ci_u32_e32 v63, vcc_lo, v9, v41, vcc_lo
	flat_load_b32 v7, v[62:63]
	s_waitcnt vmcnt(0) lgkmcnt(0)
	v_mul_f32_e32 v62, s20, v7
.LBB91_48:
	v_dual_min_f32 v7, v51, v11 :: v_dual_min_f32 v72, v38, v46
	v_min_f32_e32 v63, v50, v10
	v_min_f32_e32 v75, v39, v4
	s_delay_alu instid0(VALU_DEP_3) | instskip(NEXT) | instid1(VALU_DEP_3)
	v_add_f32_e32 v7, v7, v97
	v_add_f32_e32 v63, v63, v98
	s_delay_alu instid0(VALU_DEP_2) | instskip(SKIP_1) | instid1(VALU_DEP_3)
	v_add_f32_e32 v7, v75, v7
	v_add_co_u32 v75, vcc_lo, v5, v40
	v_add_f32_e32 v63, v72, v63
	v_add_co_ci_u32_e32 v76, vcc_lo, v6, v41, vcc_lo
	s_and_b32 vcc_lo, exec_lo, s0
	s_delay_alu instid0(VALU_DEP_2) | instskip(NEXT) | instid1(VALU_DEP_1)
	v_add_f32_e32 v7, v63, v7
	v_dual_add_f32 v63, v7, v62 :: v_dual_mov_b32 v62, 0
	v_mov_b32_e32 v7, 0
	global_store_b32 v[75:76], v63, off
	s_cbranch_vccnz .LBB91_50
; %bb.49:
	v_add_co_u32 v62, vcc_lo, v8, v36
	v_add_co_ci_u32_e32 v63, vcc_lo, v9, v37, vcc_lo
	flat_load_b32 v62, v[62:63]
	s_waitcnt vmcnt(0) lgkmcnt(0)
	v_mul_f32_e32 v62, s20, v62
.LBB91_50:
	v_dual_min_f32 v63, v53, v11 :: v_dual_min_f32 v72, v52, v10
	v_dual_min_f32 v75, v34, v46 :: v_dual_min_f32 v76, v35, v4
	s_delay_alu instid0(VALU_DEP_2) | instskip(NEXT) | instid1(VALU_DEP_1)
	v_dual_add_f32 v63, v63, v95 :: v_dual_add_f32 v72, v72, v96
	v_dual_add_f32 v63, v76, v63 :: v_dual_add_f32 v72, v75, v72
	s_delay_alu instid0(VALU_DEP_1) | instskip(NEXT) | instid1(VALU_DEP_1)
	v_add_f32_e32 v63, v72, v63
	v_add_f32_e32 v72, v63, v62
	v_add_co_u32 v62, vcc_lo, v5, v36
	v_add_co_ci_u32_e32 v63, vcc_lo, v6, v37, vcc_lo
	s_and_b32 vcc_lo, exec_lo, s0
	global_store_b32 v[62:63], v72, off
	s_cbranch_vccnz .LBB91_52
; %bb.51:
	v_add_co_u32 v62, vcc_lo, v8, v32
	v_add_co_ci_u32_e32 v63, vcc_lo, v9, v33, vcc_lo
	flat_load_b32 v7, v[62:63]
	s_waitcnt vmcnt(0) lgkmcnt(0)
	v_mul_f32_e32 v7, s20, v7
.LBB91_52:
	v_dual_min_f32 v62, v55, v11 :: v_dual_min_f32 v63, v54, v10
	v_dual_min_f32 v72, v30, v46 :: v_dual_min_f32 v75, v31, v4
	s_delay_alu instid0(VALU_DEP_2) | instskip(NEXT) | instid1(VALU_DEP_1)
	v_dual_add_f32 v62, v62, v93 :: v_dual_add_f32 v63, v63, v94
	v_dual_add_f32 v62, v75, v62 :: v_dual_add_f32 v63, v72, v63
	v_add_co_u32 v75, vcc_lo, v5, v32
	v_add_co_ci_u32_e32 v76, vcc_lo, v6, v33, vcc_lo
	s_delay_alu instid0(VALU_DEP_3) | instskip(SKIP_1) | instid1(VALU_DEP_1)
	v_add_f32_e32 v62, v63, v62
	s_and_b32 vcc_lo, exec_lo, s0
	v_dual_add_f32 v63, v62, v7 :: v_dual_mov_b32 v62, 0
	v_mov_b32_e32 v7, 0
	global_store_b32 v[75:76], v63, off
	s_cbranch_vccnz .LBB91_54
; %bb.53:
	v_add_co_u32 v62, vcc_lo, v8, v28
	v_add_co_ci_u32_e32 v63, vcc_lo, v9, v29, vcc_lo
	flat_load_b32 v62, v[62:63]
	s_waitcnt vmcnt(0) lgkmcnt(0)
	v_mul_f32_e32 v62, s20, v62
.LBB91_54:
	v_dual_min_f32 v63, v57, v11 :: v_dual_min_f32 v72, v56, v10
	v_dual_min_f32 v75, v26, v46 :: v_dual_min_f32 v76, v27, v4
	s_delay_alu instid0(VALU_DEP_2) | instskip(NEXT) | instid1(VALU_DEP_1)
	v_dual_add_f32 v63, v63, v91 :: v_dual_add_f32 v72, v72, v92
	v_dual_add_f32 v63, v76, v63 :: v_dual_add_f32 v72, v75, v72
	s_delay_alu instid0(VALU_DEP_1) | instskip(NEXT) | instid1(VALU_DEP_1)
	v_add_f32_e32 v63, v72, v63
	v_add_f32_e32 v72, v63, v62
	v_add_co_u32 v62, vcc_lo, v5, v28
	v_add_co_ci_u32_e32 v63, vcc_lo, v6, v29, vcc_lo
	s_and_b32 vcc_lo, exec_lo, s0
	global_store_b32 v[62:63], v72, off
	s_cbranch_vccnz .LBB91_56
; %bb.55:
	v_add_co_u32 v62, vcc_lo, v8, v24
	v_add_co_ci_u32_e32 v63, vcc_lo, v9, v25, vcc_lo
	flat_load_b32 v7, v[62:63]
	s_waitcnt vmcnt(0) lgkmcnt(0)
	v_mul_f32_e32 v7, s20, v7
.LBB91_56:
	v_dual_min_f32 v62, v59, v11 :: v_dual_min_f32 v63, v58, v10
	v_dual_min_f32 v72, v22, v46 :: v_dual_min_f32 v75, v23, v4
	s_delay_alu instid0(VALU_DEP_2) | instskip(NEXT) | instid1(VALU_DEP_1)
	v_dual_add_f32 v62, v62, v89 :: v_dual_add_f32 v63, v63, v90
	v_dual_add_f32 v62, v75, v62 :: v_dual_add_f32 v63, v72, v63
	v_add_co_u32 v75, vcc_lo, v5, v24
	v_add_co_ci_u32_e32 v76, vcc_lo, v6, v25, vcc_lo
	s_delay_alu instid0(VALU_DEP_3) | instskip(SKIP_1) | instid1(VALU_DEP_1)
	v_add_f32_e32 v62, v63, v62
	s_and_b32 vcc_lo, exec_lo, s0
	v_dual_add_f32 v63, v62, v7 :: v_dual_mov_b32 v62, 0
	v_mov_b32_e32 v7, 0
	global_store_b32 v[75:76], v63, off
	s_cbranch_vccnz .LBB91_58
; %bb.57:
	v_add_co_u32 v62, vcc_lo, v8, v20
	v_add_co_ci_u32_e32 v63, vcc_lo, v9, v21, vcc_lo
	flat_load_b32 v62, v[62:63]
	s_waitcnt vmcnt(0) lgkmcnt(0)
	v_mul_f32_e32 v62, s20, v62
.LBB91_58:
	v_dual_min_f32 v63, v61, v11 :: v_dual_min_f32 v72, v60, v10
	v_dual_min_f32 v75, v18, v46 :: v_dual_min_f32 v76, v19, v4
	s_delay_alu instid0(VALU_DEP_2) | instskip(NEXT) | instid1(VALU_DEP_1)
	v_dual_add_f32 v63, v63, v86 :: v_dual_add_f32 v72, v72, v87
	v_dual_add_f32 v63, v76, v63 :: v_dual_add_f32 v72, v75, v72
	s_delay_alu instid0(VALU_DEP_1) | instskip(NEXT) | instid1(VALU_DEP_1)
	v_add_f32_e32 v63, v72, v63
	v_add_f32_e32 v72, v63, v62
	v_add_co_u32 v62, vcc_lo, v5, v20
	v_add_co_ci_u32_e32 v63, vcc_lo, v6, v21, vcc_lo
	s_and_b32 vcc_lo, exec_lo, s0
	global_store_b32 v[62:63], v72, off
	s_cbranch_vccnz .LBB91_60
; %bb.59:
	v_add_co_u32 v7, vcc_lo, v8, v16
	v_add_co_ci_u32_e32 v8, vcc_lo, v9, v17, vcc_lo
	flat_load_b32 v7, v[7:8]
	s_waitcnt vmcnt(0) lgkmcnt(0)
	v_mul_f32_e32 v7, s20, v7
.LBB91_60:
	v_dual_min_f32 v8, v12, v10 :: v_dual_add_nc_u32 v9, 0x60, v48
	v_min_f32_e32 v10, v13, v11
	v_min_f32_e32 v46, v14, v46
	;; [unrolled: 1-line block ×3, first 2 shown]
	s_delay_alu instid0(VALU_DEP_4) | instskip(SKIP_3) | instid1(VALU_DEP_4)
	v_add_f32_e32 v8, v8, v85
	v_add_co_u32 v62, vcc_lo, v5, v16
	v_add_f32_e32 v48, v10, v84
	v_mad_i64_i32 v[10:11], null, v9, s8, 0
	v_add_f32_e32 v8, v46, v8
	v_add_co_ci_u32_e32 v63, vcc_lo, v6, v17, vcc_lo
	s_delay_alu instid0(VALU_DEP_4) | instskip(NEXT) | instid1(VALU_DEP_4)
	v_add_f32_e32 v4, v4, v48
	v_lshlrev_b64 v[10:11], 2, v[10:11]
	s_delay_alu instid0(VALU_DEP_2) | instskip(SKIP_1) | instid1(VALU_DEP_2)
	v_add_f32_e32 v4, v8, v4
	v_mov_b32_e32 v8, 0
	v_add_f32_e32 v6, v4, v7
	s_delay_alu instid0(VALU_DEP_4)
	v_add_co_u32 v4, vcc_lo, s4, v10
	v_add_co_ci_u32_e32 v5, vcc_lo, s5, v11, vcc_lo
	v_mov_b32_e32 v10, 0
	s_and_b32 vcc_lo, exec_lo, s0
	global_store_b32 v[62:63], v6, off
	s_cbranch_vccnz .LBB91_62
; %bb.61:
	v_add_co_u32 v6, vcc_lo, v4, v44
	v_add_co_ci_u32_e32 v7, vcc_lo, v5, v45, vcc_lo
	flat_load_b32 v6, v[6:7]
	s_waitcnt vmcnt(0) lgkmcnt(0)
	v_mul_f32_e32 v10, s20, v6
.LBB91_62:
	v_dual_max_f32 v0, v0, v0 :: v_dual_max_f32 v1, v1, v1
	v_dual_max_f32 v2, v2, v2 :: v_dual_max_f32 v3, v3, v3
	v_mad_i64_i32 v[6:7], null, v9, s1, 0
	s_delay_alu instid0(VALU_DEP_3) | instskip(NEXT) | instid1(VALU_DEP_3)
	v_dual_min_f32 v11, v47, v0 :: v_dual_min_f32 v46, v49, v1
	v_dual_min_f32 v9, v42, v2 :: v_dual_min_f32 v42, v43, v3
	s_delay_alu instid0(VALU_DEP_2) | instskip(NEXT) | instid1(VALU_DEP_3)
	v_add_f32_e32 v11, v11, v83
	v_add_f32_e32 v43, v46, v82
	v_lshlrev_b64 v[6:7], 2, v[6:7]
	s_delay_alu instid0(VALU_DEP_3) | instskip(NEXT) | instid1(VALU_DEP_3)
	v_add_f32_e32 v9, v9, v11
	v_add_f32_e32 v42, v42, v43
	s_delay_alu instid0(VALU_DEP_3) | instskip(NEXT) | instid1(VALU_DEP_4)
	v_add_co_u32 v6, vcc_lo, s3, v6
	v_add_co_ci_u32_e32 v7, vcc_lo, s6, v7, vcc_lo
	s_delay_alu instid0(VALU_DEP_3) | instskip(NEXT) | instid1(VALU_DEP_1)
	v_add_f32_e32 v9, v9, v42
	v_add_f32_e32 v11, v9, v10
	s_delay_alu instid0(VALU_DEP_4) | instskip(NEXT) | instid1(VALU_DEP_4)
	v_add_co_u32 v9, vcc_lo, v6, v44
	v_add_co_ci_u32_e32 v10, vcc_lo, v7, v45, vcc_lo
	s_and_b32 vcc_lo, exec_lo, s0
	global_store_b32 v[9:10], v11, off
	s_cbranch_vccnz .LBB91_64
; %bb.63:
	v_add_co_u32 v8, vcc_lo, v4, v40
	v_add_co_ci_u32_e32 v9, vcc_lo, v5, v41, vcc_lo
	flat_load_b32 v8, v[8:9]
	s_waitcnt vmcnt(0) lgkmcnt(0)
	v_mul_f32_e32 v8, s20, v8
.LBB91_64:
	v_dual_min_f32 v9, v51, v1 :: v_dual_min_f32 v10, v50, v0
	v_dual_min_f32 v11, v38, v2 :: v_dual_min_f32 v38, v39, v3
	s_delay_alu instid0(VALU_DEP_2) | instskip(NEXT) | instid1(VALU_DEP_1)
	v_dual_add_f32 v9, v9, v80 :: v_dual_add_f32 v10, v10, v81
	v_dual_add_f32 v9, v38, v9 :: v_dual_add_f32 v10, v11, v10
	s_delay_alu instid0(VALU_DEP_1) | instskip(SKIP_2) | instid1(VALU_DEP_3)
	v_add_f32_e32 v9, v10, v9
	v_add_co_u32 v10, vcc_lo, v6, v40
	v_add_co_ci_u32_e32 v11, vcc_lo, v7, v41, vcc_lo
	v_dual_add_f32 v38, v9, v8 :: v_dual_mov_b32 v9, 0
	v_mov_b32_e32 v8, 0
	s_and_b32 vcc_lo, exec_lo, s0
	global_store_b32 v[10:11], v38, off
	s_cbranch_vccnz .LBB91_66
; %bb.65:
	v_add_co_u32 v9, vcc_lo, v4, v36
	v_add_co_ci_u32_e32 v10, vcc_lo, v5, v37, vcc_lo
	flat_load_b32 v9, v[9:10]
	s_waitcnt vmcnt(0) lgkmcnt(0)
	v_mul_f32_e32 v9, s20, v9
.LBB91_66:
	v_dual_min_f32 v10, v53, v1 :: v_dual_min_f32 v11, v52, v0
	v_dual_min_f32 v34, v34, v2 :: v_dual_min_f32 v35, v35, v3
	s_delay_alu instid0(VALU_DEP_2) | instskip(NEXT) | instid1(VALU_DEP_1)
	v_dual_add_f32 v10, v10, v77 :: v_dual_add_f32 v11, v11, v78
	v_dual_add_f32 v10, v35, v10 :: v_dual_add_f32 v11, v34, v11
	s_delay_alu instid0(VALU_DEP_1) | instskip(NEXT) | instid1(VALU_DEP_1)
	v_add_f32_e32 v10, v11, v10
	v_add_f32_e32 v11, v10, v9
	v_add_co_u32 v9, vcc_lo, v6, v36
	v_add_co_ci_u32_e32 v10, vcc_lo, v7, v37, vcc_lo
	s_and_b32 vcc_lo, exec_lo, s0
	global_store_b32 v[9:10], v11, off
	s_cbranch_vccnz .LBB91_68
; %bb.67:
	v_add_co_u32 v8, vcc_lo, v4, v32
	v_add_co_ci_u32_e32 v9, vcc_lo, v5, v33, vcc_lo
	flat_load_b32 v8, v[8:9]
	s_waitcnt vmcnt(0) lgkmcnt(0)
	v_mul_f32_e32 v8, s20, v8
.LBB91_68:
	v_dual_min_f32 v9, v55, v1 :: v_dual_min_f32 v10, v54, v0
	v_dual_min_f32 v11, v30, v2 :: v_dual_min_f32 v30, v31, v3
	s_delay_alu instid0(VALU_DEP_2) | instskip(NEXT) | instid1(VALU_DEP_1)
	v_dual_add_f32 v9, v9, v73 :: v_dual_add_f32 v10, v10, v74
	v_dual_add_f32 v9, v30, v9 :: v_dual_add_f32 v10, v11, v10
	s_delay_alu instid0(VALU_DEP_1) | instskip(SKIP_2) | instid1(VALU_DEP_3)
	v_add_f32_e32 v9, v10, v9
	v_add_co_u32 v10, vcc_lo, v6, v32
	v_add_co_ci_u32_e32 v11, vcc_lo, v7, v33, vcc_lo
	v_dual_add_f32 v30, v9, v8 :: v_dual_mov_b32 v9, 0
	v_mov_b32_e32 v8, 0
	s_and_b32 vcc_lo, exec_lo, s0
	global_store_b32 v[10:11], v30, off
	s_cbranch_vccnz .LBB91_70
; %bb.69:
	v_add_co_u32 v9, vcc_lo, v4, v28
	v_add_co_ci_u32_e32 v10, vcc_lo, v5, v29, vcc_lo
	flat_load_b32 v9, v[9:10]
	s_waitcnt vmcnt(0) lgkmcnt(0)
	v_mul_f32_e32 v9, s20, v9
.LBB91_70:
	v_dual_min_f32 v10, v57, v1 :: v_dual_min_f32 v11, v56, v0
	v_dual_min_f32 v26, v26, v2 :: v_dual_min_f32 v27, v27, v3
	s_delay_alu instid0(VALU_DEP_2) | instskip(NEXT) | instid1(VALU_DEP_1)
	v_dual_add_f32 v10, v10, v70 :: v_dual_add_f32 v11, v11, v71
	v_dual_add_f32 v10, v27, v10 :: v_dual_add_f32 v11, v26, v11
	s_delay_alu instid0(VALU_DEP_1) | instskip(NEXT) | instid1(VALU_DEP_1)
	v_add_f32_e32 v10, v11, v10
	v_add_f32_e32 v11, v10, v9
	v_add_co_u32 v9, vcc_lo, v6, v28
	v_add_co_ci_u32_e32 v10, vcc_lo, v7, v29, vcc_lo
	s_and_b32 vcc_lo, exec_lo, s0
	global_store_b32 v[9:10], v11, off
	s_cbranch_vccnz .LBB91_72
; %bb.71:
	v_add_co_u32 v8, vcc_lo, v4, v24
	v_add_co_ci_u32_e32 v9, vcc_lo, v5, v25, vcc_lo
	flat_load_b32 v8, v[8:9]
	s_waitcnt vmcnt(0) lgkmcnt(0)
	v_mul_f32_e32 v8, s20, v8
.LBB91_72:
	v_dual_min_f32 v9, v59, v1 :: v_dual_min_f32 v10, v58, v0
	v_dual_min_f32 v11, v22, v2 :: v_dual_min_f32 v22, v23, v3
	;; [unrolled: 1-line block ×3, first 2 shown]
	s_delay_alu instid0(VALU_DEP_3) | instskip(NEXT) | instid1(VALU_DEP_2)
	v_dual_add_f32 v9, v9, v68 :: v_dual_add_f32 v10, v10, v69
	v_dual_min_f32 v18, v18, v2 :: v_dual_add_f32 v23, v23, v67
	s_delay_alu instid0(VALU_DEP_2) | instskip(SKIP_2) | instid1(VALU_DEP_2)
	v_dual_add_f32 v9, v22, v9 :: v_dual_add_f32 v10, v11, v10
	v_min_f32_e32 v11, v19, v3
	v_add_f32_e32 v19, v26, v66
	v_dual_add_f32 v22, v10, v9 :: v_dual_add_f32 v11, v11, v23
	s_delay_alu instid0(VALU_DEP_2) | instskip(SKIP_2) | instid1(VALU_DEP_4)
	v_add_f32_e32 v18, v18, v19
	v_add_co_u32 v9, vcc_lo, v6, v24
	v_add_co_ci_u32_e32 v10, vcc_lo, v7, v25, vcc_lo
	v_add_f32_e32 v19, v22, v8
	s_delay_alu instid0(VALU_DEP_4)
	v_add_f32_e32 v8, v18, v11
	s_mov_b32 vcc_lo, s2
	global_store_b32 v[9:10], v19, off
	s_cbranch_vccz .LBB91_75
; %bb.73:
	v_add_co_u32 v9, vcc_lo, v6, v20
	v_add_f32_e32 v11, 0, v8
	v_add_co_ci_u32_e32 v10, vcc_lo, v7, v21, vcc_lo
	s_mov_b32 s0, 0
	global_store_b32 v[9:10], v11, off
	s_cbranch_execz .LBB91_76
; %bb.74:
	v_mov_b32_e32 v4, s0
	s_branch .LBB91_77
.LBB91_75:
	s_mov_b32 s0, -1
.LBB91_76:
	v_add_co_u32 v9, vcc_lo, v4, v20
	v_add_co_ci_u32_e32 v10, vcc_lo, v5, v21, vcc_lo
	flat_load_b32 v11, v[9:10]
	v_add_co_u32 v9, vcc_lo, v6, v20
	v_add_co_ci_u32_e32 v10, vcc_lo, v7, v21, vcc_lo
	v_add_co_u32 v4, vcc_lo, v4, v16
	v_add_co_ci_u32_e32 v5, vcc_lo, v5, v17, vcc_lo
	s_waitcnt vmcnt(0) lgkmcnt(0)
	v_fmac_f32_e32 v8, s20, v11
	global_store_b32 v[9:10], v8, off
	flat_load_b32 v4, v[4:5]
	s_waitcnt vmcnt(0) lgkmcnt(0)
	v_mul_f32_e32 v4, s20, v4
.LBB91_77:
	v_dual_min_f32 v1, v13, v1 :: v_dual_min_f32 v0, v12, v0
	v_dual_min_f32 v2, v14, v2 :: v_dual_min_f32 v3, v15, v3
	s_delay_alu instid0(VALU_DEP_2) | instskip(NEXT) | instid1(VALU_DEP_1)
	v_dual_add_f32 v1, v1, v64 :: v_dual_add_f32 v0, v0, v65
	v_dual_add_f32 v1, v3, v1 :: v_dual_add_f32 v0, v2, v0
	s_delay_alu instid0(VALU_DEP_1) | instskip(NEXT) | instid1(VALU_DEP_1)
	v_add_f32_e32 v0, v0, v1
	v_add_f32_e32 v2, v0, v4
	v_add_co_u32 v0, vcc_lo, v6, v16
	v_add_co_ci_u32_e32 v1, vcc_lo, v7, v17, vcc_lo
	global_store_b32 v[0:1], v2, off
	s_nop 0
	s_sendmsg sendmsg(MSG_DEALLOC_VGPRS)
	s_endpgm
	.section	.rodata,"a",@progbits
	.p2align	6, 0x0
	.amdhsa_kernel _ZN12_GLOBAL__N_120geam_min_plus_kernelIf15HIP_vector_typeIfLj2EES2_Li8ELi32ELi64ELi128ELi4ELi64ELi4ELi64ELi4ELc78ELc84ELb1ELb0ELb0EfKffEEviiiT16_PT17_ilS6_ilS4_S6_ilPT18_ili26rocblas_geam_ex_operation_
		.amdhsa_group_segment_fixed_size 6144
		.amdhsa_private_segment_fixed_size 0
		.amdhsa_kernarg_size 128
		.amdhsa_user_sgpr_count 14
		.amdhsa_user_sgpr_dispatch_ptr 0
		.amdhsa_user_sgpr_queue_ptr 0
		.amdhsa_user_sgpr_kernarg_segment_ptr 1
		.amdhsa_user_sgpr_dispatch_id 0
		.amdhsa_user_sgpr_private_segment_size 0
		.amdhsa_wavefront_size32 1
		.amdhsa_uses_dynamic_stack 0
		.amdhsa_enable_private_segment 0
		.amdhsa_system_sgpr_workgroup_id_x 1
		.amdhsa_system_sgpr_workgroup_id_y 0
		.amdhsa_system_sgpr_workgroup_id_z 1
		.amdhsa_system_sgpr_workgroup_info 0
		.amdhsa_system_vgpr_workitem_id 1
		.amdhsa_next_free_vgpr 223
		.amdhsa_next_free_sgpr 24
		.amdhsa_reserve_vcc 1
		.amdhsa_float_round_mode_32 0
		.amdhsa_float_round_mode_16_64 0
		.amdhsa_float_denorm_mode_32 3
		.amdhsa_float_denorm_mode_16_64 3
		.amdhsa_dx10_clamp 1
		.amdhsa_ieee_mode 1
		.amdhsa_fp16_overflow 0
		.amdhsa_workgroup_processor_mode 1
		.amdhsa_memory_ordered 1
		.amdhsa_forward_progress 0
		.amdhsa_shared_vgpr_count 0
		.amdhsa_exception_fp_ieee_invalid_op 0
		.amdhsa_exception_fp_denorm_src 0
		.amdhsa_exception_fp_ieee_div_zero 0
		.amdhsa_exception_fp_ieee_overflow 0
		.amdhsa_exception_fp_ieee_underflow 0
		.amdhsa_exception_fp_ieee_inexact 0
		.amdhsa_exception_int_div_zero 0
	.end_amdhsa_kernel
	.section	.text._ZN12_GLOBAL__N_120geam_min_plus_kernelIf15HIP_vector_typeIfLj2EES2_Li8ELi32ELi64ELi128ELi4ELi64ELi4ELi64ELi4ELc78ELc84ELb1ELb0ELb0EfKffEEviiiT16_PT17_ilS6_ilS4_S6_ilPT18_ili26rocblas_geam_ex_operation_,"axG",@progbits,_ZN12_GLOBAL__N_120geam_min_plus_kernelIf15HIP_vector_typeIfLj2EES2_Li8ELi32ELi64ELi128ELi4ELi64ELi4ELi64ELi4ELc78ELc84ELb1ELb0ELb0EfKffEEviiiT16_PT17_ilS6_ilS4_S6_ilPT18_ili26rocblas_geam_ex_operation_,comdat
.Lfunc_end91:
	.size	_ZN12_GLOBAL__N_120geam_min_plus_kernelIf15HIP_vector_typeIfLj2EES2_Li8ELi32ELi64ELi128ELi4ELi64ELi4ELi64ELi4ELc78ELc84ELb1ELb0ELb0EfKffEEviiiT16_PT17_ilS6_ilS4_S6_ilPT18_ili26rocblas_geam_ex_operation_, .Lfunc_end91-_ZN12_GLOBAL__N_120geam_min_plus_kernelIf15HIP_vector_typeIfLj2EES2_Li8ELi32ELi64ELi128ELi4ELi64ELi4ELi64ELi4ELc78ELc84ELb1ELb0ELb0EfKffEEviiiT16_PT17_ilS6_ilS4_S6_ilPT18_ili26rocblas_geam_ex_operation_
                                        ; -- End function
	.section	.AMDGPU.csdata,"",@progbits
; Kernel info:
; codeLenInByte = 9808
; NumSgprs: 26
; NumVgprs: 223
; ScratchSize: 0
; MemoryBound: 0
; FloatMode: 240
; IeeeMode: 1
; LDSByteSize: 6144 bytes/workgroup (compile time only)
; SGPRBlocks: 3
; VGPRBlocks: 27
; NumSGPRsForWavesPerEU: 26
; NumVGPRsForWavesPerEU: 223
; Occupancy: 6
; WaveLimiterHint : 1
; COMPUTE_PGM_RSRC2:SCRATCH_EN: 0
; COMPUTE_PGM_RSRC2:USER_SGPR: 14
; COMPUTE_PGM_RSRC2:TRAP_HANDLER: 0
; COMPUTE_PGM_RSRC2:TGID_X_EN: 1
; COMPUTE_PGM_RSRC2:TGID_Y_EN: 0
; COMPUTE_PGM_RSRC2:TGID_Z_EN: 1
; COMPUTE_PGM_RSRC2:TIDIG_COMP_CNT: 1
	.section	.text._ZN12_GLOBAL__N_120geam_min_plus_kernelIf15HIP_vector_typeIfLj2EES2_Li8ELi32ELi64ELi128ELi4ELi64ELi4ELi64ELi4ELc78ELc84ELb0ELb0ELb0EfKffEEviiiT16_PT17_ilS6_ilS4_S6_ilPT18_ili26rocblas_geam_ex_operation_,"axG",@progbits,_ZN12_GLOBAL__N_120geam_min_plus_kernelIf15HIP_vector_typeIfLj2EES2_Li8ELi32ELi64ELi128ELi4ELi64ELi4ELi64ELi4ELc78ELc84ELb0ELb0ELb0EfKffEEviiiT16_PT17_ilS6_ilS4_S6_ilPT18_ili26rocblas_geam_ex_operation_,comdat
	.globl	_ZN12_GLOBAL__N_120geam_min_plus_kernelIf15HIP_vector_typeIfLj2EES2_Li8ELi32ELi64ELi128ELi4ELi64ELi4ELi64ELi4ELc78ELc84ELb0ELb0ELb0EfKffEEviiiT16_PT17_ilS6_ilS4_S6_ilPT18_ili26rocblas_geam_ex_operation_ ; -- Begin function _ZN12_GLOBAL__N_120geam_min_plus_kernelIf15HIP_vector_typeIfLj2EES2_Li8ELi32ELi64ELi128ELi4ELi64ELi4ELi64ELi4ELc78ELc84ELb0ELb0ELb0EfKffEEviiiT16_PT17_ilS6_ilS4_S6_ilPT18_ili26rocblas_geam_ex_operation_
	.p2align	8
	.type	_ZN12_GLOBAL__N_120geam_min_plus_kernelIf15HIP_vector_typeIfLj2EES2_Li8ELi32ELi64ELi128ELi4ELi64ELi4ELi64ELi4ELc78ELc84ELb0ELb0ELb0EfKffEEviiiT16_PT17_ilS6_ilS4_S6_ilPT18_ili26rocblas_geam_ex_operation_,@function
_ZN12_GLOBAL__N_120geam_min_plus_kernelIf15HIP_vector_typeIfLj2EES2_Li8ELi32ELi64ELi128ELi4ELi64ELi4ELi64ELi4ELc78ELc84ELb0ELb0ELb0EfKffEEviiiT16_PT17_ilS6_ilS4_S6_ilPT18_ili26rocblas_geam_ex_operation_: ; @_ZN12_GLOBAL__N_120geam_min_plus_kernelIf15HIP_vector_typeIfLj2EES2_Li8ELi32ELi64ELi128ELi4ELi64ELi4ELi64ELi4ELc78ELc84ELb0ELb0ELb0EfKffEEviiiT16_PT17_ilS6_ilS4_S6_ilPT18_ili26rocblas_geam_ex_operation_
; %bb.0:
	s_clause 0x1
	s_load_b64 s[8:9], s[0:1], 0x8
	s_load_b128 s[4:7], s[0:1], 0x20
	s_waitcnt lgkmcnt(0)
	v_cmp_eq_f32_e64 s2, s9, 0
	s_delay_alu instid0(VALU_DEP_1)
	s_and_b32 vcc_lo, exec_lo, s2
	s_cbranch_vccnz .LBB92_3
; %bb.1:
	s_load_b64 s[10:11], s[0:1], 0x10
	s_mul_i32 s3, s15, s5
	s_mul_hi_u32 s5, s15, s4
	s_mul_i32 s4, s15, s4
	s_add_i32 s5, s5, s3
	s_delay_alu instid0(SALU_CYCLE_1)
	s_lshl_b64 s[4:5], s[4:5], 2
	s_waitcnt lgkmcnt(0)
	s_add_u32 s10, s10, s4
	s_addc_u32 s11, s11, s5
	s_and_not1_b32 vcc_lo, exec_lo, s2
	s_cbranch_vccnz .LBB92_4
.LBB92_2:
	s_mov_b32 s21, 0
	s_mov_b64 s[12:13], 0
	s_cbranch_execz .LBB92_5
	s_branch .LBB92_6
.LBB92_3:
	s_mov_b64 s[10:11], 0
	s_and_not1_b32 vcc_lo, exec_lo, s2
	s_cbranch_vccz .LBB92_2
.LBB92_4:
	s_mov_b32 s21, -1
                                        ; implicit-def: $sgpr12_sgpr13
.LBB92_5:
	s_load_b64 s[2:3], s[0:1], 0x38
	s_mov_b32 s21, 0
	s_waitcnt lgkmcnt(0)
	s_mul_i32 s3, s15, s3
	s_mul_hi_u32 s4, s15, s2
	s_mul_i32 s2, s15, s2
	s_add_i32 s3, s4, s3
	s_delay_alu instid0(SALU_CYCLE_1) | instskip(NEXT) | instid1(SALU_CYCLE_1)
	s_lshl_b64 s[2:3], s[2:3], 2
	s_add_u32 s12, s6, s2
	s_addc_u32 s13, s7, s3
.LBB92_6:
	s_clause 0x1
	s_load_b32 s20, s[0:1], 0x40
	s_load_b128 s[4:7], s[0:1], 0x58
	v_cmp_neq_f32_e64 s18, s9, 0
	s_waitcnt lgkmcnt(0)
	v_cmp_eq_f32_e64 s2, s20, 0
	s_delay_alu instid0(VALU_DEP_1) | instskip(NEXT) | instid1(SALU_CYCLE_1)
	s_and_b32 s2, exec_lo, s2
	s_mov_b32 vcc_lo, s2
	s_cbranch_vccnz .LBB92_8
; %bb.7:
	s_load_b64 s[16:17], s[0:1], 0x48
	s_mul_i32 s3, s15, s5
	s_mul_hi_u32 s5, s15, s4
	s_delay_alu instid0(SALU_CYCLE_1) | instskip(SKIP_3) | instid1(SALU_CYCLE_1)
	s_add_i32 s3, s5, s3
	s_mul_i32 s5, s21, s4
	s_mul_i32 s4, s15, s4
	s_add_i32 s5, s3, s5
	s_lshl_b64 s[4:5], s[4:5], 2
	s_waitcnt lgkmcnt(0)
	s_add_u32 s4, s16, s4
	s_addc_u32 s5, s17, s5
	s_branch .LBB92_9
.LBB92_8:
	s_mov_b64 s[4:5], 0
.LBB92_9:
	s_clause 0x1
	s_load_b32 s3, s[0:1], 0x0
	s_load_b32 s16, s[0:1], 0x18
	v_and_b32_e32 v56, 0x3ff, v0
	v_bfe_u32 v57, v0, 10, 10
	v_cndmask_b32_e64 v2, 0, 1, s18
	s_waitcnt lgkmcnt(0)
	s_add_i32 s3, s3, -1
	s_delay_alu instid0(SALU_CYCLE_1) | instskip(NEXT) | instid1(SALU_CYCLE_1)
	s_ashr_i32 s17, s3, 31
	s_lshr_b32 s17, s17, 26
	s_delay_alu instid0(SALU_CYCLE_1) | instskip(NEXT) | instid1(SALU_CYCLE_1)
	s_add_i32 s3, s3, s17
	s_ashr_i32 s3, s3, 6
	s_delay_alu instid0(SALU_CYCLE_1) | instskip(SKIP_2) | instid1(VALU_DEP_1)
	s_add_i32 s22, s3, 1
	s_not_b32 s3, s3
	v_cvt_f32_u32_e32 v1, s22
	v_rcp_iflag_f32_e32 v1, v1
	s_waitcnt_depctr 0xfff
	v_mul_f32_e32 v1, 0x4f7ffffe, v1
	s_delay_alu instid0(VALU_DEP_1) | instskip(NEXT) | instid1(VALU_DEP_1)
	v_cvt_u32_f32_e32 v1, v1
	v_readfirstlane_b32 s17, v1
	v_lshl_add_u32 v1, v57, 3, v56
	s_delay_alu instid0(VALU_DEP_2) | instskip(NEXT) | instid1(VALU_DEP_1)
	s_mul_i32 s3, s3, s17
	v_and_b32_e32 v5, 63, v1
	s_mul_hi_u32 s3, s17, s3
	v_lshrrev_b32_e32 v4, 6, v1
	s_add_i32 s17, s17, s3
	s_delay_alu instid0(SALU_CYCLE_1) | instskip(SKIP_4) | instid1(SALU_CYCLE_1)
	s_mul_hi_u32 s3, s14, s17
	s_ashr_i32 s17, s16, 31
	s_mul_i32 s19, s3, s22
	s_add_i32 s23, s3, 1
	s_sub_i32 s19, s14, s19
	s_sub_i32 s24, s19, s22
	s_cmp_ge_u32 s19, s22
	s_cselect_b32 s3, s23, s3
	s_cselect_b32 s19, s24, s19
	s_add_i32 s23, s3, 1
	s_cmp_ge_u32 s19, s22
	s_cselect_b32 s19, s23, s3
	s_and_not1_b32 vcc_lo, exec_lo, s18
	s_mul_i32 s24, s19, s22
	s_delay_alu instid0(SALU_CYCLE_1) | instskip(NEXT) | instid1(SALU_CYCLE_1)
	s_sub_i32 s3, s14, s24
	s_lshl_b32 s22, s3, 6
	v_cmp_ne_u32_e64 s3, 1, v2
	v_or_b32_e32 v0, s22, v5
	s_delay_alu instid0(VALU_DEP_1)
	v_ashrrev_i32_e32 v1, 31, v0
	s_cbranch_vccnz .LBB92_11
; %bb.10:
	v_mad_i64_i32 v[2:3], null, s16, v4, 0
	s_delay_alu instid0(VALU_DEP_2) | instskip(NEXT) | instid1(VALU_DEP_2)
	v_lshlrev_b64 v[6:7], 2, v[0:1]
	v_lshlrev_b64 v[2:3], 2, v[2:3]
	s_delay_alu instid0(VALU_DEP_1) | instskip(NEXT) | instid1(VALU_DEP_2)
	v_add_co_u32 v2, vcc_lo, s10, v2
	v_add_co_ci_u32_e32 v3, vcc_lo, s11, v3, vcc_lo
	s_delay_alu instid0(VALU_DEP_2) | instskip(NEXT) | instid1(VALU_DEP_2)
	v_add_co_u32 v2, vcc_lo, v2, v6
	v_add_co_ci_u32_e32 v3, vcc_lo, v3, v7, vcc_lo
	flat_load_b32 v2, v[2:3]
	s_waitcnt vmcnt(0) lgkmcnt(0)
	v_mul_f32_e32 v6, s9, v2
	s_branch .LBB92_12
.LBB92_11:
	v_mov_b32_e32 v6, 0
.LBB92_12:
	s_load_b32 s18, s[0:1], 0x30
	s_lshl_b32 s23, s19, 7
	s_and_b32 vcc_lo, exec_lo, s3
	v_or_b32_e32 v2, s23, v5
	s_delay_alu instid0(VALU_DEP_1)
	v_ashrrev_i32_e32 v3, 31, v2
	s_waitcnt lgkmcnt(0)
	s_ashr_i32 s19, s18, 31
	s_cbranch_vccnz .LBB92_16
; %bb.13:
	v_mad_i64_i32 v[7:8], null, s18, v4, 0
	v_lshlrev_b64 v[9:10], 2, v[2:3]
	s_delay_alu instid0(VALU_DEP_2) | instskip(NEXT) | instid1(VALU_DEP_1)
	v_lshlrev_b64 v[7:8], 2, v[7:8]
	v_add_co_u32 v7, vcc_lo, s12, v7
	s_delay_alu instid0(VALU_DEP_2) | instskip(NEXT) | instid1(VALU_DEP_2)
	v_add_co_ci_u32_e32 v8, vcc_lo, s13, v8, vcc_lo
	v_add_co_u32 v7, vcc_lo, v7, v9
	s_delay_alu instid0(VALU_DEP_2)
	v_add_co_ci_u32_e32 v8, vcc_lo, v8, v10, vcc_lo
	s_clause 0x1
	flat_load_b32 v9, v[7:8]
	flat_load_b32 v8, v[7:8] offset:256
	s_waitcnt vmcnt(0) lgkmcnt(0)
	v_dual_mul_f32 v7, s9, v9 :: v_dual_mul_f32 v8, s9, v8
	v_add_nc_u32_e32 v9, 4, v4
	s_and_b32 vcc_lo, exec_lo, s3
	s_cbranch_vccnz .LBB92_17
.LBB92_14:
	s_delay_alu instid0(VALU_DEP_1) | instskip(SKIP_1) | instid1(VALU_DEP_2)
	v_mad_i64_i32 v[10:11], null, s16, v9, 0
	v_lshlrev_b64 v[0:1], 2, v[0:1]
	v_lshlrev_b64 v[10:11], 2, v[10:11]
	s_delay_alu instid0(VALU_DEP_1) | instskip(NEXT) | instid1(VALU_DEP_2)
	v_add_co_u32 v10, vcc_lo, s10, v10
	v_add_co_ci_u32_e32 v11, vcc_lo, s11, v11, vcc_lo
	s_delay_alu instid0(VALU_DEP_2) | instskip(NEXT) | instid1(VALU_DEP_2)
	v_add_co_u32 v0, vcc_lo, v10, v0
	v_add_co_ci_u32_e32 v1, vcc_lo, v11, v1, vcc_lo
	flat_load_b32 v0, v[0:1]
	s_waitcnt vmcnt(0) lgkmcnt(0)
	v_mul_f32_e32 v0, s9, v0
	s_and_b32 vcc_lo, exec_lo, s3
	s_cbranch_vccnz .LBB92_18
.LBB92_15:
	v_mad_i64_i32 v[10:11], null, s18, v9, 0
	v_lshlrev_b64 v[1:2], 2, v[2:3]
	s_delay_alu instid0(VALU_DEP_2) | instskip(NEXT) | instid1(VALU_DEP_1)
	v_lshlrev_b64 v[9:10], 2, v[10:11]
	v_add_co_u32 v3, vcc_lo, s12, v9
	s_delay_alu instid0(VALU_DEP_2) | instskip(NEXT) | instid1(VALU_DEP_2)
	v_add_co_ci_u32_e32 v9, vcc_lo, s13, v10, vcc_lo
	v_add_co_u32 v1, vcc_lo, v3, v1
	s_delay_alu instid0(VALU_DEP_2)
	v_add_co_ci_u32_e32 v2, vcc_lo, v9, v2, vcc_lo
	s_clause 0x1
	flat_load_b32 v3, v[1:2]
	flat_load_b32 v2, v[1:2] offset:256
	s_waitcnt vmcnt(0) lgkmcnt(0)
	v_dual_mul_f32 v1, s9, v3 :: v_dual_mul_f32 v2, s9, v2
	s_branch .LBB92_19
.LBB92_16:
	v_dual_mov_b32 v7, 0 :: v_dual_mov_b32 v8, 0
	v_add_nc_u32_e32 v9, 4, v4
	s_and_b32 vcc_lo, exec_lo, s3
	s_cbranch_vccz .LBB92_14
.LBB92_17:
	v_mov_b32_e32 v0, 0
	s_and_b32 vcc_lo, exec_lo, s3
	s_cbranch_vccz .LBB92_15
.LBB92_18:
	v_dual_mov_b32 v1, 0 :: v_dual_mov_b32 v2, 0
.LBB92_19:
	v_lshlrev_b32_e32 v3, 2, v4
	v_lshlrev_b32_e32 v58, 4, v57
	v_lshlrev_b32_e32 v59, 4, v56
	s_cmp_lt_i32 s8, 9
	s_delay_alu instid0(VALU_DEP_3)
	v_lshl_add_u32 v74, v5, 4, v3
	ds_store_b32 v74, v6 offset:4096
	ds_store_2addr_stride64_b32 v74, v7, v8 offset1:4
	s_waitcnt lgkmcnt(0)
	s_barrier
	buffer_gl0_inv
	ds_load_b128 v[6:9], v58
	ds_load_b128 v[10:13], v59 offset:4096
	ds_load_b128 v[14:17], v59 offset:4224
	;; [unrolled: 1-line block ×11, first 2 shown]
	ds_store_b32 v74, v0 offset:5120
	ds_store_2addr_stride64_b32 v74, v1, v2 offset0:8 offset1:12
	s_waitcnt lgkmcnt(0)
	s_barrier
	buffer_gl0_inv
	v_max_f32_e32 v3, v6, v6
	v_max_f32_e32 v6, v10, v10
	;; [unrolled: 1-line block ×4, first 2 shown]
	v_dual_max_f32 v11, v14, v14 :: v_dual_max_f32 v14, v15, v15
	v_dual_max_f32 v15, v18, v18 :: v_dual_max_f32 v18, v19, v19
	;; [unrolled: 1-line block ×3, first 2 shown]
	v_max_f32_e32 v26, v26, v26
	v_dual_min_f32 v23, v6, v3 :: v_dual_max_f32 v8, v8, v8
	v_dual_min_f32 v54, v10, v7 :: v_dual_max_f32 v9, v9, v9
	v_dual_min_f32 v55, v11, v3 :: v_dual_max_f32 v30, v30, v30
	v_dual_min_f32 v60, v14, v7 :: v_dual_max_f32 v13, v13, v13
	v_dual_min_f32 v61, v15, v3 :: v_dual_max_f32 v34, v34, v34
	v_dual_max_f32 v27, v27, v27 :: v_dual_max_f32 v38, v38, v38
	v_dual_min_f32 v64, v22, v7 :: v_dual_max_f32 v17, v17, v17
	v_dual_min_f32 v65, v26, v3 :: v_dual_max_f32 v12, v12, v12
	v_dual_max_f32 v31, v31, v31 :: v_dual_max_f32 v16, v16, v16
	v_dual_max_f32 v35, v35, v35 :: v_dual_max_f32 v20, v20, v20
	v_dual_max_f32 v43, v43, v43 :: v_dual_max_f32 v28, v28, v28
	v_dual_max_f32 v47, v47, v47 :: v_dual_max_f32 v50, v50, v50
	v_dual_min_f32 v63, v19, v3 :: v_dual_max_f32 v42, v42, v42
	v_min_f32_e32 v62, v18, v7
	v_min_f32_e32 v67, v30, v3
	v_dual_min_f32 v68, v31, v7 :: v_dual_max_f32 v21, v21, v21
	s_delay_alu instid0(VALU_DEP_4)
	v_dual_min_f32 v69, v34, v3 :: v_dual_min_f32 v78, v19, v42
	v_dual_min_f32 v70, v35, v7 :: v_dual_max_f32 v25, v25, v25
	v_dual_min_f32 v3, v38, v3 :: v_dual_max_f32 v24, v24, v24
	v_dual_max_f32 v39, v39, v39 :: v_dual_min_f32 v80, v26, v42
	v_dual_min_f32 v81, v27, v43 :: v_dual_max_f32 v46, v46, v46
	v_max_f32_e32 v51, v51, v51
	v_dual_min_f32 v89, v14, v47 :: v_dual_add_f32 v54, 0, v54
	v_dual_min_f32 v129, v22, v47 :: v_dual_min_f32 v92, v12, v8
	v_dual_min_f32 v130, v27, v47 :: v_dual_min_f32 v91, v13, v9
	;; [unrolled: 1-line block ×3, first 2 shown]
	v_dual_add_f32 v23, 0, v23 :: v_dual_add_f32 v60, 0, v60
	v_dual_min_f32 v66, v27, v7 :: v_dual_min_f32 v71, v6, v42
	v_dual_min_f32 v7, v39, v7 :: v_dual_min_f32 v82, v30, v42
	v_dual_min_f32 v72, v10, v43 :: v_dual_max_f32 v29, v29, v29
	v_min_f32_e32 v73, v11, v42
	v_dual_min_f32 v75, v14, v43 :: v_dual_max_f32 v32, v32, v32
	v_dual_min_f32 v76, v15, v42 :: v_dual_min_f32 v77, v18, v43
	v_dual_max_f32 v36, v36, v36 :: v_dual_min_f32 v79, v22, v43
	v_dual_max_f32 v40, v40, v40 :: v_dual_max_f32 v33, v33, v33
	v_dual_min_f32 v84, v34, v42 :: v_dual_min_f32 v83, v31, v43
	v_dual_min_f32 v42, v38, v42 :: v_dual_max_f32 v37, v37, v37
	v_min_f32_e32 v86, v11, v46
	v_dual_min_f32 v85, v6, v46 :: v_dual_max_f32 v44, v44, v44
	v_dual_min_f32 v87, v15, v46 :: v_dual_min_f32 v88, v10, v47
	v_dual_min_f32 v125, v19, v46 :: v_dual_min_f32 v90, v18, v47
	v_dual_max_f32 v49, v49, v49 :: v_dual_min_f32 v126, v26, v46
	v_max_f32_e32 v53, v53, v53
	v_min_f32_e32 v127, v30, v46
	v_min_f32_e32 v128, v34, v46
	;; [unrolled: 1-line block ×4, first 2 shown]
	v_dual_min_f32 v11, v11, v50 :: v_dual_min_f32 v10, v10, v51
	v_dual_min_f32 v15, v15, v50 :: v_dual_min_f32 v14, v14, v51
	;; [unrolled: 1-line block ×7, first 2 shown]
	v_min_f32_e32 v50, v35, v43
	v_min_f32_e32 v43, v39, v43
	v_dual_min_f32 v22, v22, v51 :: v_dual_add_f32 v123, v91, v54
	v_dual_min_f32 v35, v35, v51 :: v_dual_add_f32 v54, 0, v62
	v_min_f32_e32 v39, v39, v51
	v_dual_add_f32 v124, v92, v23 :: v_dual_add_f32 v121, v93, v60
	v_dual_add_f32 v23, 0, v55 :: v_dual_add_f32 v62, 0, v64
	v_dual_min_f32 v51, v16, v8 :: v_dual_min_f32 v64, v25, v9
	v_min_f32_e32 v55, v21, v9
	v_dual_add_f32 v60, 0, v61 :: v_dual_add_f32 v63, 0, v63
	s_delay_alu instid0(VALU_DEP_3) | instskip(NEXT) | instid1(VALU_DEP_3)
	v_dual_min_f32 v91, v24, v8 :: v_dual_add_f32 v122, v51, v23
	v_add_f32_e32 v119, v55, v54
	v_dual_add_f32 v117, v64, v62 :: v_dual_add_f32 v62, 0, v67
	v_dual_add_f32 v54, 0, v65 :: v_dual_min_f32 v61, v20, v8
	s_delay_alu instid0(VALU_DEP_4) | instskip(SKIP_1) | instid1(VALU_DEP_3)
	v_dual_add_f32 v118, v91, v63 :: v_dual_min_f32 v63, v32, v8
	v_dual_max_f32 v45, v45, v45 :: v_dual_max_f32 v52, v52, v52
	v_add_f32_e32 v120, v61, v60
	s_delay_alu instid0(VALU_DEP_3)
	v_dual_min_f32 v55, v28, v8 :: v_dual_add_f32 v114, v63, v62
	v_dual_add_f32 v60, 0, v68 :: v_dual_min_f32 v61, v33, v9
	v_dual_max_f32 v41, v41, v41 :: v_dual_max_f32 v48, v48, v48
	v_add_f32_e32 v23, 0, v66
	v_dual_min_f32 v51, v29, v9 :: v_dual_add_f32 v64, 0, v70
	v_dual_min_f32 v65, v37, v9 :: v_dual_add_f32 v116, v55, v54
	v_add_f32_e32 v54, 0, v72
	v_add_f32_e32 v113, v61, v60
	v_dual_min_f32 v55, v13, v45 :: v_dual_add_f32 v60, 0, v71
	v_min_f32_e32 v61, v12, v44
	v_add_f32_e32 v115, v51, v23
	v_add_f32_e32 v23, 0, v69
	v_min_f32_e32 v51, v36, v8
	v_dual_min_f32 v9, v41, v9 :: v_dual_min_f32 v8, v40, v8
	v_add_f32_e32 v108, v61, v60
	v_dual_add_f32 v60, 0, v79 :: v_dual_min_f32 v61, v25, v45
	v_dual_add_f32 v107, v55, v54 :: v_dual_add_f32 v54, 0, v76
	v_min_f32_e32 v55, v20, v44
	s_delay_alu instid0(VALU_DEP_3) | instskip(SKIP_1) | instid1(VALU_DEP_3)
	v_dual_add_f32 v3, 0, v3 :: v_dual_add_f32 v100, v61, v60
	v_dual_add_f32 v60, 0, v82 :: v_dual_min_f32 v61, v32, v44
	v_dual_add_f32 v104, v55, v54 :: v_dual_add_f32 v111, v65, v64
	s_delay_alu instid0(VALU_DEP_3) | instskip(SKIP_4) | instid1(VALU_DEP_4)
	v_add_f32_e32 v110, v8, v3
	v_dual_add_f32 v8, 0, v73 :: v_dual_add_f32 v7, 0, v7
	v_add_f32_e32 v112, v51, v23
	v_dual_add_f32 v3, 0, v75 :: v_dual_add_f32 v98, v61, v60
	v_dual_add_f32 v23, 0, v77 :: v_dual_add_f32 v42, 0, v42
	v_add_f32_e32 v109, v9, v7
	v_min_f32_e32 v9, v16, v44
	v_min_f32_e32 v7, v17, v45
	;; [unrolled: 1-line block ×3, first 2 shown]
	v_dual_min_f32 v55, v33, v45 :: v_dual_add_f32 v54, 0, v83
	s_delay_alu instid0(VALU_DEP_4) | instskip(SKIP_4) | instid1(VALU_DEP_3)
	v_add_f32_e32 v106, v9, v8
	v_add_f32_e32 v8, 0, v81
	v_min_f32_e32 v9, v29, v45
	v_add_f32_e32 v103, v51, v23
	v_min_f32_e32 v51, v28, v44
	v_add_f32_e32 v99, v9, v8
	v_add_f32_e32 v8, 0, v84
	v_min_f32_e32 v9, v36, v44
	v_add_f32_e32 v105, v7, v3
	v_add_f32_e32 v3, 0, v78
	v_min_f32_e32 v7, v24, v44
	v_min_f32_e32 v44, v40, v44
	v_add_f32_e32 v96, v9, v8
	v_add_f32_e32 v8, 0, v89
	s_delay_alu instid0(VALU_DEP_3) | instskip(SKIP_3) | instid1(VALU_DEP_4)
	v_dual_min_f32 v9, v17, v49 :: v_dual_add_f32 v94, v44, v42
	v_min_f32_e32 v42, v16, v48
	v_min_f32_e32 v44, v21, v49
	v_dual_add_f32 v102, v7, v3 :: v_dual_min_f32 v7, v37, v45
	v_dual_add_f32 v89, v9, v8 :: v_dual_add_f32 v8, 0, v125
	v_min_f32_e32 v9, v24, v48
	v_dual_add_f32 v3, 0, v50 :: v_dual_min_f32 v50, v13, v49
	v_min_f32_e32 v13, v13, v53
	s_delay_alu instid0(VALU_DEP_2) | instskip(SKIP_4) | instid1(VALU_DEP_3)
	v_add_f32_e32 v95, v7, v3
	v_add_f32_e32 v3, 0, v85
	v_min_f32_e32 v7, v12, v48
	v_add_f32_e32 v23, 0, v80
	v_min_f32_e32 v12, v12, v52
	v_add_f32_e32 v92, v7, v3
	s_delay_alu instid0(VALU_DEP_3)
	v_add_f32_e32 v101, v51, v23
	v_add_f32_e32 v23, 0, v43
	v_min_f32_e32 v43, v41, v45
	v_add_f32_e32 v3, 0, v129
	v_min_f32_e32 v7, v25, v49
	v_add_f32_e32 v45, 0, v88
	s_delay_alu instid0(VALU_DEP_4) | instskip(SKIP_3) | instid1(VALU_DEP_2)
	v_add_f32_e32 v93, v43, v23
	v_dual_add_f32 v23, 0, v86 :: v_dual_add_f32 v86, v9, v8
	v_dual_add_f32 v8, 0, v132 :: v_dual_min_f32 v9, v37, v49
	v_add_f32_e32 v43, 0, v90
	v_dual_add_f32 v79, v9, v8 :: v_dual_add_f32 v8, 0, v14
	v_dual_add_f32 v9, 0, v15 :: v_dual_add_f32 v14, 0, v22
	;; [unrolled: 1-line block ×3, first 2 shown]
	v_add_f32_e32 v85, v7, v3
	v_add_f32_e32 v3, 0, v127
	v_min_f32_e32 v7, v32, v48
	v_add_f32_e32 v91, v50, v45
	v_dual_add_f32 v45, 0, v87 :: v_dual_min_f32 v50, v20, v48
	v_add_f32_e32 v22, 0, v31
	s_delay_alu instid0(VALU_DEP_4) | instskip(SKIP_4) | instid1(VALU_DEP_4)
	v_dual_add_f32 v82, v7, v3 :: v_dual_add_f32 v3, 0, v6
	v_add_f32_e32 v6, 0, v10
	v_dual_add_f32 v10, 0, v18 :: v_dual_add_f32 v87, v44, v43
	v_add_f32_e32 v18, 0, v27
	;; [unrolled: 2-line block ×3, first 2 shown]
	v_min_f32_e32 v6, v17, v53
	v_add_f32_e32 v88, v50, v45
	v_dual_min_f32 v42, v29, v49 :: v_dual_add_f32 v43, 0, v126
	v_add_f32_e32 v45, 0, v131
	v_add_f32_e32 v7, 0, v11
	v_min_f32_e32 v13, v16, v52
	v_add_f32_e32 v77, v12, v3
	v_min_f32_e32 v3, v20, v52
	;; [unrolled: 2-line block ×3, first 2 shown]
	v_dual_min_f32 v44, v28, v48 :: v_dual_add_f32 v97, v55, v54
	v_dual_min_f32 v50, v33, v49 :: v_dual_add_f32 v83, v42, v23
	;; [unrolled: 1-line block ×3, first 2 shown]
	v_add_f32_e32 v73, v13, v7
	v_add_f32_e32 v71, v3, v9
	v_min_f32_e32 v3, v24, v52
	v_dual_min_f32 v7, v29, v53 :: v_dual_min_f32 v8, v28, v52
	v_add_f32_e32 v68, v6, v14
	v_dual_min_f32 v6, v33, v53 :: v_dual_add_f32 v23, 0, v128
	v_add_f32_e32 v84, v44, v43
	v_dual_add_f32 v80, v50, v45 :: v_dual_add_f32 v43, 0, v47
	v_dual_min_f32 v44, v41, v49 :: v_dual_add_f32 v45, 0, v46
	v_dual_min_f32 v46, v40, v48 :: v_dual_add_f32 v19, 0, v30
	v_dual_add_f32 v27, 0, v38 :: v_dual_add_f32 v30, 0, v39
	v_min_f32_e32 v16, v21, v53
	v_add_f32_e32 v70, v3, v11
	v_dual_add_f32 v66, v7, v18 :: v_dual_add_f32 v67, v8, v15
	v_dual_min_f32 v8, v41, v53 :: v_dual_min_f32 v3, v32, v52
	v_add_f32_e32 v62, v6, v22
	v_add_f32_e32 v81, v42, v23
	;; [unrolled: 1-line block ×3, first 2 shown]
	s_delay_alu instid0(VALU_DEP_4) | instskip(SKIP_4) | instid1(VALU_DEP_4)
	v_add_f32_e32 v60, v8, v30
	v_dual_min_f32 v6, v37, v53 :: v_dual_min_f32 v7, v36, v52
	v_min_f32_e32 v9, v40, v52
	v_add_f32_e32 v76, v44, v43
	v_dual_add_f32 v78, v46, v45 :: v_dual_add_f32 v69, v16, v10
	v_dual_add_f32 v65, v3, v19 :: v_dual_add_f32 v64, v6, v26
	v_add_f32_e32 v63, v7, v23
	v_add_f32_e32 v61, v9, v27
	s_cbranch_scc1 .LBB92_33
; %bb.20:
	v_add_nc_u32_e32 v6, 12, v4
	v_add_nc_u32_e32 v2, s23, v5
	v_lshl_or_b32 v5, s14, 6, v5
	s_lshl_b32 s14, s24, 6
	v_add_nc_u32_e32 v10, 8, v4
	v_mad_i64_i32 v[0:1], null, v6, s18, 0
	v_ashrrev_i32_e32 v3, 31, v2
	v_or_b32_e32 v125, 0x1000, v74
	s_delay_alu instid0(VALU_DEP_4) | instskip(SKIP_1) | instid1(VALU_DEP_4)
	v_mad_i64_i32 v[8:9], null, v10, s16, 0
	v_add_nc_u32_e32 v126, 0x1000, v59
	v_lshlrev_b64 v[2:3], 2, v[2:3]
	v_lshlrev_b64 v[48:49], 2, v[0:1]
	v_subrev_nc_u32_e32 v0, s14, v5
	v_mad_i64_i32 v[4:5], null, v6, s16, 0
	v_mad_i64_i32 v[6:7], null, v10, s18, 0
	s_delay_alu instid0(VALU_DEP_3) | instskip(SKIP_2) | instid1(VALU_DEP_3)
	v_ashrrev_i32_e32 v1, 31, v0
	v_add_co_u32 v131, vcc_lo, s12, v2
	v_add_co_ci_u32_e32 v132, vcc_lo, s13, v3, vcc_lo
	v_lshlrev_b64 v[0:1], 2, v[0:1]
	v_lshlrev_b64 v[50:51], 2, v[4:5]
	;; [unrolled: 1-line block ×4, first 2 shown]
	v_add_nc_u32_e32 v127, 0x1400, v74
	v_or_b32_e32 v128, 0x800, v74
	v_add_co_u32 v133, vcc_lo, s10, v0
	v_lshl_add_u32 v129, v56, 4, 0x1400
	v_lshl_add_u32 v130, v57, 4, 0x800
	v_add_co_ci_u32_e32 v134, vcc_lo, s11, v1, vcc_lo
	s_add_i32 s8, s8, -8
	s_lshl_b64 s[10:11], s[18:19], 5
	s_lshl_b64 s[12:13], s[16:17], 5
	s_mov_b32 s14, 0
	s_branch .LBB92_23
.LBB92_21:                              ;   in Loop: Header=BB92_23 Depth=1
	v_add_co_u32 v0, vcc_lo, v131, v48
	v_add_co_ci_u32_e32 v1, vcc_lo, v132, v49, vcc_lo
	s_clause 0x1
	flat_load_b32 v218, v[0:1]
	flat_load_b32 v1, v[0:1] offset:256
	s_waitcnt vmcnt(0) lgkmcnt(0)
	v_dual_mul_f32 v0, s9, v218 :: v_dual_mul_f32 v1, s9, v1
.LBB92_22:                              ;   in Loop: Header=BB92_23 Depth=1
	v_dual_add_f32 v36, v36, v124 :: v_dual_add_f32 v41, v41, v122
	v_dual_add_f32 v40, v40, v123 :: v_dual_add_f32 v29, v29, v120
	;; [unrolled: 1-line block ×13, first 2 shown]
	ds_load_b128 v[20:23], v58
	ds_load_b128 v[28:31], v126
	v_dual_add_f32 v32, v32, v119 :: v_dual_add_f32 v37, v37, v117
	v_dual_add_f32 v12, v12, v109 :: v_dual_add_f32 v17, v17, v107
	;; [unrolled: 1-line block ×26, first 2 shown]
	ds_load_b128 v[8:11], v126 offset:128
	v_dual_add_f32 v136, v14, v62 :: v_dual_add_f32 v65, v3, v65
	s_waitcnt lgkmcnt(2)
	v_dual_add_f32 v64, v15, v64 :: v_dual_max_f32 v21, v21, v21
	v_dual_add_f32 v6, v6, v63 :: v_dual_add_f32 v137, v19, v46
	ds_load_b128 v[2:5], v126 offset:256
	ds_load_b128 v[12:15], v126 offset:384
	;; [unrolled: 1-line block ×5, first 2 shown]
	v_dual_add_f32 v7, v7, v43 :: v_dual_max_f32 v20, v20, v20
	s_waitcnt lgkmcnt(6)
	v_dual_max_f32 v28, v28, v28 :: v_dual_max_f32 v29, v29, v29
	v_dual_add_f32 v100, v139, v100 :: v_dual_add_f32 v99, v141, v99
	ds_load_b128 v[36:39], v126 offset:768
	ds_load_b128 v[40:43], v126 offset:896
	v_dual_min_f32 v138, v28, v20 :: v_dual_min_f32 v139, v29, v21
	v_dual_add_f32 v121, v190, v45 :: v_dual_add_f32 v122, v181, v44
	ds_load_b128 v[44:47], v58 offset:1024
	ds_load_b128 v[60:63], v58 offset:1536
	s_waitcnt lgkmcnt(9)
	v_dual_max_f32 v8, v8, v8 :: v_dual_max_f32 v9, v9, v9
	v_add_f32_e32 v95, v138, v95
	s_waitcnt lgkmcnt(8)
	v_dual_max_f32 v2, v2, v2 :: v_dual_max_f32 v3, v3, v3
	v_add_f32_e32 v94, v139, v94
	s_waitcnt lgkmcnt(7)
	v_dual_max_f32 v12, v12, v12 :: v_dual_max_f32 v13, v13, v13
	s_delay_alu instid0(VALU_DEP_3)
	v_min_f32_e32 v139, v2, v20
	s_waitcnt lgkmcnt(6)
	v_dual_max_f32 v16, v16, v16 :: v_dual_max_f32 v17, v17, v17
	v_min_f32_e32 v140, v8, v20
	s_waitcnt lgkmcnt(5)
	v_max_f32_e32 v24, v24, v24
	v_dual_add_f32 v108, v139, v108 :: v_dual_min_f32 v139, v13, v21
	s_waitcnt lgkmcnt(2)
	v_dual_max_f32 v36, v36, v36 :: v_dual_max_f32 v41, v41, v41
	v_max_f32_e32 v25, v25, v25
	v_max_f32_e32 v37, v37, v37
	v_add_f32_e32 v109, v139, v109
	v_min_f32_e32 v139, v17, v21
	v_min_f32_e32 v138, v9, v21
	v_max_f32_e32 v40, v40, v40
	v_dual_max_f32 v32, v32, v32 :: v_dual_max_f32 v33, v33, v33
	s_delay_alu instid0(VALU_DEP_4) | instskip(NEXT) | instid1(VALU_DEP_4)
	v_dual_add_f32 v111, v139, v111 :: v_dual_add_f32 v106, v140, v106
	v_add_f32_e32 v105, v138, v105
	v_dual_min_f32 v138, v3, v21 :: v_dual_min_f32 v139, v36, v20
	v_min_f32_e32 v140, v12, v20
	v_dual_add_f32 v98, v142, v98 :: v_dual_add_f32 v97, v143, v97
	s_delay_alu instid0(VALU_DEP_3) | instskip(NEXT) | instid1(VALU_DEP_3)
	v_dual_add_f32 v107, v138, v107 :: v_dual_min_f32 v138, v16, v20
	v_add_f32_e32 v110, v140, v110
	v_dual_min_f32 v140, v25, v21 :: v_dual_add_f32 v139, v139, v116
	s_delay_alu instid0(VALU_DEP_4) | instskip(NEXT) | instid1(VALU_DEP_4)
	v_dual_add_f32 v100, v192, v100 :: v_dual_add_f32 v97, v194, v97
	v_add_f32_e32 v112, v138, v112
	v_min_f32_e32 v138, v24, v20
	s_delay_alu instid0(VALU_DEP_4) | instskip(SKIP_2) | instid1(VALU_DEP_4)
	v_dual_add_f32 v113, v140, v113 :: v_dual_add_f32 v104, v182, v104
	v_add_f32_e32 v99, v193, v99
	v_dual_add_f32 v101, v184, v101 :: v_dual_add_f32 v98, v185, v98
	v_add_f32_e32 v114, v138, v114
	v_min_f32_e32 v138, v37, v21
	v_dual_min_f32 v21, v41, v21 :: v_dual_min_f32 v20, v40, v20
	s_waitcnt lgkmcnt(1)
	v_max_f32_e32 v44, v44, v44
	v_dual_add_f32 v96, v186, v96 :: v_dual_add_f32 v93, v204, v93
	s_delay_alu instid0(VALU_DEP_3) | instskip(SKIP_4) | instid1(VALU_DEP_4)
	v_dual_add_f32 v138, v138, v115 :: v_dual_add_f32 v21, v21, v117
	v_min_f32_e32 v117, v3, v33
	v_dual_min_f32 v115, v28, v32 :: v_dual_min_f32 v116, v29, v33
	v_dual_max_f32 v45, v45, v45 :: v_dual_add_f32 v88, v150, v88
	v_add_f32_e32 v87, v151, v87
	v_add_f32_e32 v103, v117, v103
	v_min_f32_e32 v117, v24, v32
	v_dual_add_f32 v140, v115, v120 :: v_dual_add_f32 v141, v116, v119
	v_dual_min_f32 v115, v9, v33 :: v_dual_add_f32 v20, v20, v118
	v_min_f32_e32 v118, v8, v32
	v_dual_add_f32 v86, v152, v86 :: v_dual_add_f32 v85, v153, v85
	s_delay_alu instid0(VALU_DEP_3) | instskip(NEXT) | instid1(VALU_DEP_3)
	v_add_f32_e32 v143, v115, v121
	v_dual_min_f32 v115, v13, v33 :: v_dual_add_f32 v142, v118, v122
	v_min_f32_e32 v118, v12, v32
	v_dual_add_f32 v92, v196, v92 :: v_dual_add_f32 v89, v206, v89
	s_delay_alu instid0(VALU_DEP_3) | instskip(SKIP_3) | instid1(VALU_DEP_4)
	v_dual_add_f32 v100, v115, v100 :: v_dual_min_f32 v115, v17, v33
	v_min_f32_e32 v116, v2, v32
	v_dual_add_f32 v84, v154, v84 :: v_dual_add_f32 v83, v155, v83
	v_dual_add_f32 v87, v207, v87 :: v_dual_add_f32 v88, v198, v88
	v_add_f32_e32 v99, v115, v99
	v_dual_min_f32 v115, v37, v33 :: v_dual_add_f32 v102, v118, v102
	v_min_f32_e32 v118, v25, v33
	v_min_f32_e32 v33, v41, v33
	v_dual_add_f32 v85, v208, v85 :: v_dual_add_f32 v86, v199, v86
	s_delay_alu instid0(VALU_DEP_4) | instskip(NEXT) | instid1(VALU_DEP_4)
	v_dual_add_f32 v144, v115, v123 :: v_dual_min_f32 v115, v28, v44
	v_dual_add_f32 v104, v116, v104 :: v_dual_add_f32 v97, v118, v97
	s_delay_alu instid0(VALU_DEP_4) | instskip(SKIP_2) | instid1(VALU_DEP_3)
	v_dual_min_f32 v116, v16, v32 :: v_dual_add_f32 v33, v33, v93
	v_min_f32_e32 v93, v9, v45
	v_dual_add_f32 v98, v117, v98 :: v_dual_min_f32 v117, v8, v44
	v_add_f32_e32 v101, v116, v101
	v_min_f32_e32 v116, v36, v32
	s_delay_alu instid0(VALU_DEP_4) | instskip(NEXT) | instid1(VALU_DEP_4)
	v_dual_min_f32 v32, v40, v32 :: v_dual_add_f32 v89, v93, v89
	v_dual_add_f32 v90, v117, v90 :: v_dual_min_f32 v117, v12, v44
	s_delay_alu instid0(VALU_DEP_3) | instskip(SKIP_1) | instid1(VALU_DEP_4)
	v_add_f32_e32 v96, v116, v96
	v_min_f32_e32 v116, v29, v45
	v_dual_add_f32 v32, v32, v124 :: v_dual_min_f32 v93, v13, v45
	v_add_f32_e32 v92, v115, v92
	v_min_f32_e32 v115, v2, v44
	s_delay_alu instid0(VALU_DEP_4)
	v_add_f32_e32 v91, v116, v91
	v_dual_add_f32 v82, v156, v82 :: v_dual_add_f32 v81, v158, v81
	v_dual_add_f32 v80, v157, v80 :: v_dual_add_f32 v79, v159, v79
	;; [unrolled: 1-line block ×3, first 2 shown]
	v_min_f32_e32 v116, v3, v45
	v_dual_add_f32 v88, v115, v88 :: v_dual_add_f32 v85, v93, v85
	v_min_f32_e32 v115, v16, v44
	s_waitcnt lgkmcnt(0)
	v_dual_min_f32 v93, v17, v45 :: v_dual_max_f32 v60, v60, v60
	v_max_f32_e32 v61, v61, v61
	v_dual_add_f32 v82, v201, v82 :: v_dual_add_f32 v79, v214, v79
	v_dual_add_f32 v87, v116, v87 :: v_dual_add_f32 v86, v117, v86
	v_dual_min_f32 v116, v24, v44 :: v_dual_min_f32 v117, v25, v45
	v_add_f32_e32 v84, v115, v84
	v_min_f32_e32 v115, v36, v44
	s_delay_alu instid0(VALU_DEP_3) | instskip(SKIP_3) | instid1(VALU_DEP_2)
	v_dual_add_f32 v83, v93, v83 :: v_dual_add_f32 v82, v116, v82
	v_dual_min_f32 v93, v37, v45 :: v_dual_min_f32 v44, v40, v44
	v_dual_min_f32 v25, v25, v61 :: v_dual_min_f32 v36, v36, v60
	v_dual_min_f32 v37, v37, v61 :: v_dual_max_f32 v22, v22, v22
	v_dual_max_f32 v30, v30, v30 :: v_dual_add_f32 v25, v25, v136
	s_delay_alu instid0(VALU_DEP_3) | instskip(NEXT) | instid1(VALU_DEP_3)
	v_add_f32_e32 v6, v36, v6
	v_dual_add_f32 v36, v37, v64 :: v_dual_max_f32 v23, v23, v23
	v_min_f32_e32 v37, v40, v60
	v_dual_min_f32 v45, v41, v45 :: v_dual_min_f32 v28, v28, v60
	v_dual_max_f32 v31, v31, v31 :: v_dual_min_f32 v40, v41, v61
	v_dual_max_f32 v11, v11, v11 :: v_dual_max_f32 v10, v10, v10
	v_min_f32_e32 v41, v30, v22
	v_dual_max_f32 v5, v5, v5 :: v_dual_max_f32 v14, v14, v14
	v_dual_min_f32 v29, v29, v61 :: v_dual_min_f32 v8, v8, v60
	v_dual_min_f32 v9, v9, v61 :: v_dual_min_f32 v2, v2, v60
	;; [unrolled: 1-line block ×5, first 2 shown]
	v_dual_add_f32 v7, v37, v7 :: v_dual_add_f32 v40, v40, v137
	v_dual_min_f32 v37, v31, v23 :: v_dual_max_f32 v4, v4, v4
	v_min_f32_e32 v60, v11, v23
	v_add_f32_e32 v124, v41, v95
	v_dual_min_f32 v41, v5, v23 :: v_dual_max_f32 v18, v18, v18
	v_max_f32_e32 v15, v15, v15
	v_add_f32_e32 v123, v37, v94
	v_min_f32_e32 v37, v10, v22
	s_delay_alu instid0(VALU_DEP_4) | instskip(SKIP_1) | instid1(VALU_DEP_3)
	v_dual_add_f32 v119, v41, v107 :: v_dual_max_f32 v26, v26, v26
	v_min_f32_e32 v41, v14, v22
	v_dual_add_f32 v121, v60, v105 :: v_dual_add_f32 v122, v37, v106
	v_dual_max_f32 v19, v19, v19 :: v_dual_add_f32 v76, v161, v76
	s_delay_alu instid0(VALU_DEP_3) | instskip(SKIP_2) | instid1(VALU_DEP_3)
	v_dual_add_f32 v75, v163, v75 :: v_dual_add_f32 v118, v41, v110
	v_min_f32_e32 v41, v18, v22
	v_dual_min_f32 v37, v4, v22 :: v_dual_add_f32 v80, v210, v80
	v_add_f32_e32 v75, v216, v75
	v_dual_add_f32 v81, v202, v81 :: v_dual_add_f32 v76, v215, v76
	s_delay_alu instid0(VALU_DEP_4) | instskip(NEXT) | instid1(VALU_DEP_4)
	v_add_f32_e32 v116, v41, v112
	v_dual_add_f32 v120, v37, v108 :: v_dual_min_f32 v37, v19, v23
	v_max_f32_e32 v38, v38, v38
	s_delay_alu instid0(VALU_DEP_4) | instskip(SKIP_1) | instid1(VALU_DEP_4)
	v_dual_add_f32 v80, v117, v80 :: v_dual_add_f32 v81, v115, v81
	v_min_f32_e32 v60, v15, v23
	v_dual_add_f32 v115, v37, v111 :: v_dual_max_f32 v34, v34, v34
	v_max_f32_e32 v37, v39, v39
	v_max_f32_e32 v35, v35, v35
	s_delay_alu instid0(VALU_DEP_4) | instskip(SKIP_1) | instid1(VALU_DEP_4)
	v_dual_add_f32 v117, v60, v109 :: v_dual_min_f32 v60, v26, v22
	v_max_f32_e32 v27, v27, v27
	v_min_f32_e32 v41, v37, v23
	v_dual_max_f32 v43, v43, v43 :: v_dual_add_f32 v78, v160, v78
	s_delay_alu instid0(VALU_DEP_4) | instskip(NEXT) | instid1(VALU_DEP_4)
	v_dual_add_f32 v77, v162, v77 :: v_dual_add_f32 v114, v60, v114
	v_min_f32_e32 v39, v27, v23
	s_delay_alu instid0(VALU_DEP_4)
	v_add_f32_e32 v111, v41, v138
	v_max_f32_e32 v41, v42, v42
	v_min_f32_e32 v42, v30, v34
	v_dual_add_f32 v78, v211, v78 :: v_dual_add_f32 v77, v212, v77
	v_add_f32_e32 v113, v39, v113
	v_min_f32_e32 v39, v38, v22
	v_min_f32_e32 v22, v41, v22
	s_delay_alu instid0(VALU_DEP_4) | instskip(SKIP_1) | instid1(VALU_DEP_3)
	v_dual_add_f32 v79, v93, v79 :: v_dual_add_f32 v44, v44, v78
	v_dual_add_f32 v45, v45, v76 :: v_dual_add_f32 v28, v28, v77
	v_add_f32_e32 v110, v22, v20
	v_min_f32_e32 v20, v10, v34
	v_dual_min_f32 v22, v4, v34 :: v_dual_min_f32 v23, v43, v23
	v_dual_add_f32 v3, v3, v69 :: v_dual_add_f32 v12, v12, v70
	s_delay_alu instid0(VALU_DEP_3) | instskip(SKIP_1) | instid1(VALU_DEP_4)
	v_add_f32_e32 v106, v20, v142
	v_min_f32_e32 v20, v14, v34
	v_add_f32_e32 v104, v22, v104
	v_min_f32_e32 v22, v27, v35
	;; [unrolled: 2-line block ×3, first 2 shown]
	v_dual_add_f32 v109, v23, v21 :: v_dual_add_f32 v102, v20, v102
	v_dual_min_f32 v21, v11, v35 :: v_dual_min_f32 v20, v18, v34
	s_delay_alu instid0(VALU_DEP_3)
	v_add_f32_e32 v107, v39, v141
	v_add_f32_e32 v97, v22, v97
	v_max_f32_e32 v22, v46, v46
	v_dual_add_f32 v17, v17, v66 :: v_dual_add_f32 v24, v24, v65
	v_dual_add_f32 v101, v20, v101 :: v_dual_min_f32 v20, v38, v34
	v_dual_add_f32 v9, v9, v72 :: v_dual_add_f32 v2, v2, v71
	v_dual_add_f32 v13, v13, v68 :: v_dual_add_f32 v16, v16, v67
	s_delay_alu instid0(VALU_DEP_3) | instskip(SKIP_2) | instid1(VALU_DEP_3)
	v_dual_add_f32 v96, v20, v96 :: v_dual_min_f32 v23, v15, v35
	v_dual_add_f32 v29, v29, v75 :: v_dual_add_f32 v8, v8, v73
	v_add_co_u32 v131, vcc_lo, v131, s10
	v_dual_add_f32 v100, v23, v100 :: v_dual_min_f32 v23, v26, v34
	v_add_f32_e32 v105, v21, v143
	v_min_f32_e32 v21, v5, v35
	v_min_f32_e32 v34, v41, v34
	v_add_co_ci_u32_e32 v132, vcc_lo, s11, v132, vcc_lo
	s_delay_alu instid0(VALU_DEP_3) | instskip(NEXT) | instid1(VALU_DEP_3)
	v_dual_add_f32 v98, v23, v98 :: v_dual_add_f32 v103, v21, v103
	v_dual_min_f32 v21, v19, v35 :: v_dual_add_f32 v94, v34, v32
	v_add_co_u32 v133, vcc_lo, v133, s12
	s_delay_alu instid0(VALU_DEP_2)
	v_dual_add_f32 v108, v42, v140 :: v_dual_add_f32 v99, v21, v99
	v_min_f32_e32 v21, v37, v35
	v_add_co_ci_u32_e32 v134, vcc_lo, s13, v134, vcc_lo
	s_add_i32 s14, s14, 8
	ds_store_b32 v127, v135
	ds_store_2addr_stride64_b32 v128, v0, v1 offset1:4
	v_add_f32_e32 v95, v21, v144
	v_max_f32_e32 v21, v47, v47
	s_cmp_ge_i32 s14, s8
	s_waitcnt lgkmcnt(0)
	s_barrier
	buffer_gl0_inv
	v_min_f32_e32 v20, v31, v21
	s_delay_alu instid0(VALU_DEP_1) | instskip(NEXT) | instid1(VALU_DEP_1)
	v_dual_add_f32 v91, v20, v91 :: v_dual_min_f32 v20, v10, v22
	v_add_f32_e32 v90, v20, v90
	v_min_f32_e32 v20, v14, v22
	s_delay_alu instid0(VALU_DEP_1) | instskip(SKIP_1) | instid1(VALU_DEP_1)
	v_dual_add_f32 v86, v20, v86 :: v_dual_min_f32 v23, v43, v35
	v_dual_min_f32 v32, v5, v21 :: v_dual_min_f32 v35, v30, v22
	v_dual_min_f32 v20, v27, v21 :: v_dual_add_f32 v87, v32, v87
	s_delay_alu instid0(VALU_DEP_3) | instskip(NEXT) | instid1(VALU_DEP_2)
	v_dual_min_f32 v32, v18, v22 :: v_dual_add_f32 v93, v23, v33
	v_dual_min_f32 v23, v11, v21 :: v_dual_add_f32 v80, v20, v80
	s_delay_alu instid0(VALU_DEP_2) | instskip(SKIP_1) | instid1(VALU_DEP_3)
	v_dual_min_f32 v33, v15, v21 :: v_dual_add_f32 v84, v32, v84
	v_max_f32_e32 v32, v63, v63
	v_dual_add_f32 v89, v23, v89 :: v_dual_min_f32 v20, v38, v22
	v_min_f32_e32 v23, v4, v22
	s_delay_alu instid0(VALU_DEP_4) | instskip(NEXT) | instid1(VALU_DEP_4)
	v_add_f32_e32 v85, v33, v85
	v_min_f32_e32 v11, v11, v32
	v_min_f32_e32 v5, v5, v32
	v_add_f32_e32 v92, v35, v92
	v_add_f32_e32 v88, v23, v88
	v_min_f32_e32 v23, v19, v21
	s_delay_alu instid0(VALU_DEP_4) | instskip(SKIP_1) | instid1(VALU_DEP_3)
	v_dual_add_f32 v72, v11, v9 :: v_dual_add_f32 v69, v5, v3
	v_min_f32_e32 v3, v15, v32
	v_add_f32_e32 v83, v23, v83
	v_min_f32_e32 v23, v37, v21
	s_delay_alu instid0(VALU_DEP_3) | instskip(SKIP_1) | instid1(VALU_DEP_3)
	v_add_f32_e32 v68, v3, v13
	v_min_f32_e32 v3, v27, v32
	v_add_f32_e32 v79, v23, v79
	v_max_f32_e32 v23, v62, v62
	v_min_f32_e32 v33, v26, v22
	v_min_f32_e32 v21, v43, v21
	;; [unrolled: 1-line block ×3, first 2 shown]
	v_add_f32_e32 v81, v20, v81
	v_min_f32_e32 v4, v4, v23
	v_min_f32_e32 v20, v30, v23
	;; [unrolled: 1-line block ×3, first 2 shown]
	v_dual_min_f32 v5, v18, v23 :: v_dual_min_f32 v22, v41, v22
	s_delay_alu instid0(VALU_DEP_4)
	v_dual_add_f32 v71, v4, v2 :: v_dual_min_f32 v2, v14, v23
	v_min_f32_e32 v4, v19, v32
	v_add_f32_e32 v75, v31, v29
	v_dual_add_f32 v77, v20, v28 :: v_dual_add_f32 v62, v3, v25
	v_dual_add_f32 v73, v10, v8 :: v_dual_min_f32 v8, v41, v23
	v_add_f32_e32 v70, v2, v12
	v_dual_add_f32 v66, v4, v17 :: v_dual_add_f32 v67, v5, v16
	v_dual_min_f32 v2, v26, v23 :: v_dual_min_f32 v3, v37, v32
	v_dual_min_f32 v4, v38, v23 :: v_dual_min_f32 v5, v43, v32
	v_add_f32_e32 v82, v33, v82
	v_add_f32_e32 v76, v21, v45
	;; [unrolled: 1-line block ×4, first 2 shown]
	v_dual_add_f32 v64, v3, v36 :: v_dual_add_f32 v63, v4, v6
	v_dual_add_f32 v60, v5, v40 :: v_dual_add_f32 v61, v8, v7
	s_cbranch_scc1 .LBB92_33
.LBB92_23:                              ; =>This Inner Loop Header: Depth=1
	s_and_b32 vcc_lo, exec_lo, s3
	s_cbranch_vccnz .LBB92_26
; %bb.24:                               ;   in Loop: Header=BB92_23 Depth=1
	v_add_co_u32 v0, vcc_lo, v133, v54
	v_add_co_ci_u32_e32 v1, vcc_lo, v134, v55, vcc_lo
	flat_load_b32 v0, v[0:1]
	s_waitcnt vmcnt(0) lgkmcnt(0)
	v_mul_f32_e32 v135, s9, v0
	s_and_b32 vcc_lo, exec_lo, s3
	s_cbranch_vccnz .LBB92_27
.LBB92_25:                              ;   in Loop: Header=BB92_23 Depth=1
	v_add_co_u32 v0, vcc_lo, v131, v52
	v_add_co_ci_u32_e32 v1, vcc_lo, v132, v53, vcc_lo
	s_clause 0x1
	flat_load_b32 v2, v[0:1]
	flat_load_b32 v0, v[0:1] offset:256
	s_waitcnt vmcnt(0) lgkmcnt(0)
	v_dual_mul_f32 v136, s9, v2 :: v_dual_mul_f32 v137, s9, v0
	s_branch .LBB92_28
.LBB92_26:                              ;   in Loop: Header=BB92_23 Depth=1
	v_mov_b32_e32 v135, 0
	s_and_b32 vcc_lo, exec_lo, s3
	s_cbranch_vccz .LBB92_25
.LBB92_27:                              ;   in Loop: Header=BB92_23 Depth=1
	v_dual_mov_b32 v136, 0 :: v_dual_mov_b32 v137, 0
.LBB92_28:                              ;   in Loop: Header=BB92_23 Depth=1
	ds_load_b128 v[40:43], v129
	ds_load_b128 v[36:39], v129 offset:128
	ds_load_b128 v[32:35], v129 offset:256
	;; [unrolled: 1-line block ×7, first 2 shown]
	ds_load_b128 v[44:47], v130
	ds_load_b128 v[8:11], v130 offset:512
	ds_load_b128 v[4:7], v130 offset:1024
	;; [unrolled: 1-line block ×3, first 2 shown]
	s_and_b32 vcc_lo, exec_lo, s3
	ds_store_b32 v125, v135
	ds_store_2addr_stride64_b32 v74, v136, v137 offset1:4
	s_waitcnt lgkmcnt(0)
	s_barrier
	buffer_gl0_inv
	s_cbranch_vccnz .LBB92_30
; %bb.29:                               ;   in Loop: Header=BB92_23 Depth=1
	v_add_co_u32 v135, vcc_lo, v133, v50
	v_add_co_ci_u32_e32 v136, vcc_lo, v134, v51, vcc_lo
	flat_load_b32 v135, v[135:136]
	s_waitcnt vmcnt(0) lgkmcnt(0)
	v_mul_f32_e32 v135, s9, v135
	s_branch .LBB92_31
.LBB92_30:                              ;   in Loop: Header=BB92_23 Depth=1
	v_mov_b32_e32 v135, 0
.LBB92_31:                              ;   in Loop: Header=BB92_23 Depth=1
	v_dual_max_f32 v44, v44, v44 :: v_dual_max_f32 v45, v45, v45
	v_dual_max_f32 v162, v40, v40 :: v_dual_max_f32 v163, v41, v41
	;; [unrolled: 1-line block ×6, first 2 shown]
	v_dual_min_f32 v36, v162, v44 :: v_dual_max_f32 v167, v33, v33
	v_dual_max_f32 v166, v32, v32 :: v_dual_max_f32 v169, v29, v29
	v_max_f32_e32 v168, v28, v28
	v_dual_max_f32 v172, v20, v20 :: v_dual_max_f32 v173, v21, v21
	v_dual_min_f32 v16, v170, v44 :: v_dual_max_f32 v177, v13, v13
	v_dual_max_f32 v145, v8, v8 :: v_dual_max_f32 v146, v9, v9
	v_max_f32_e32 v176, v12, v12
	v_dual_min_f32 v158, v174, v160 :: v_dual_max_f32 v1, v1, v1
	v_dual_max_f32 v0, v0, v0 :: v_dual_min_f32 v159, v175, v161
	v_dual_max_f32 v179, v46, v46 :: v_dual_max_f32 v180, v47, v47
	v_dual_max_f32 v218, v30, v30 :: v_dual_max_f32 v219, v31, v31
	v_dual_min_f32 v40, v163, v45 :: v_dual_min_f32 v41, v164, v44
	v_dual_min_f32 v28, v165, v45 :: v_dual_min_f32 v29, v166, v44
	v_min_f32_e32 v37, v169, v45
	v_dual_min_f32 v32, v167, v45 :: v_dual_min_f32 v33, v168, v44
	v_dual_min_f32 v20, v171, v45 :: v_dual_min_f32 v21, v172, v44
	;; [unrolled: 1-line block ×4, first 2 shown]
	v_min_f32_e32 v13, v162, v145
	v_dual_min_f32 v8, v175, v45 :: v_dual_min_f32 v9, v176, v44
	v_dual_min_f32 v44, v164, v145 :: v_dual_min_f32 v45, v165, v146
	;; [unrolled: 1-line block ×6, first 2 shown]
	v_min_f32_e32 v144, v174, v145
	v_dual_min_f32 v4, v175, v146 :: v_dual_min_f32 v5, v176, v145
	v_dual_min_f32 v145, v177, v146 :: v_dual_min_f32 v146, v162, v160
	;; [unrolled: 1-line block ×14, first 2 shown]
	v_dual_min_f32 v175, v175, v1 :: v_dual_max_f32 v212, v42, v42
	v_max_f32_e32 v213, v43, v43
	v_dual_max_f32 v217, v38, v38 :: v_dual_min_f32 v46, v177, v1
	v_dual_min_f32 v43, v176, v0 :: v_dual_max_f32 v0, v39, v39
	v_max_f32_e32 v1, v34, v34
	v_dual_min_f32 v39, v219, v180 :: v_dual_max_f32 v220, v26, v26
	v_dual_max_f32 v223, v23, v23 :: v_dual_max_f32 v224, v18, v18
	v_dual_max_f32 v19, v19, v19 :: v_dual_max_f32 v10, v10, v10
	;; [unrolled: 1-line block ×3, first 2 shown]
	v_dual_min_f32 v160, v176, v160 :: v_dual_min_f32 v161, v177, v161
	v_dual_max_f32 v221, v27, v27 :: v_dual_max_f32 v222, v22, v22
	v_max_f32_e32 v176, v35, v35
	v_dual_min_f32 v18, v220, v179 :: v_dual_max_f32 v225, v14, v14
	v_dual_max_f32 v226, v15, v15 :: v_dual_min_f32 v181, v217, v10
	v_max_f32_e32 v11, v11, v11
	v_dual_min_f32 v210, v223, v7 :: v_dual_max_f32 v227, v2, v2
	s_delay_alu instid0(VALU_DEP_4)
	v_dual_max_f32 v228, v3, v3 :: v_dual_min_f32 v211, v225, v6
	v_dual_min_f32 v38, v212, v179 :: v_dual_min_f32 v47, v213, v180
	v_min_f32_e32 v42, v217, v179
	v_dual_min_f32 v34, v0, v180 :: v_dual_min_f32 v31, v218, v179
	v_min_f32_e32 v177, v221, v180
	v_dual_min_f32 v30, v1, v179 :: v_dual_min_f32 v35, v176, v180
	v_dual_min_f32 v22, v222, v179 :: v_dual_min_f32 v187, v19, v180
	;; [unrolled: 1-line block ×5, first 2 shown]
	v_min_f32_e32 v184, v220, v10
	v_dual_min_f32 v190, v0, v11 :: v_dual_min_f32 v183, v218, v10
	v_dual_min_f32 v182, v1, v10 :: v_dual_min_f32 v191, v176, v11
	;; [unrolled: 1-line block ×12, first 2 shown]
	v_min_f32_e32 v214, v19, v7
	v_dual_min_f32 v215, v226, v7 :: v_dual_min_f32 v216, v213, v228
	v_dual_min_f32 v212, v212, v227 :: v_dual_min_f32 v27, v219, v228
	;; [unrolled: 1-line block ×4, first 2 shown]
	v_min_f32_e32 v15, v19, v228
	v_dual_min_f32 v11, v218, v227 :: v_dual_min_f32 v176, v221, v228
	v_dual_min_f32 v2, v220, v227 :: v_dual_min_f32 v19, v226, v228
	;; [unrolled: 1-line block ×3, first 2 shown]
	v_min_f32_e32 v6, v224, v227
	v_min_f32_e32 v7, v225, v227
	s_and_b32 vcc_lo, exec_lo, s3
	s_cbranch_vccz .LBB92_21
; %bb.32:                               ;   in Loop: Header=BB92_23 Depth=1
	v_dual_mov_b32 v0, 0 :: v_dual_mov_b32 v1, 0
	s_branch .LBB92_22
.LBB92_33:
	s_load_b32 s8, s[0:1], 0x50
	v_add_nc_u32_e32 v48, s23, v57
	ds_load_b128 v[0:3], v59 offset:5120
	ds_load_b128 v[40:43], v58 offset:2048
	v_add_nc_u32_e32 v46, s22, v56
	v_cmp_neq_f32_e64 s9, s20, 0
	v_mov_b32_e32 v52, 0
	v_mov_b32_e32 v50, 0
	s_delay_alu instid0(VALU_DEP_4) | instskip(NEXT) | instid1(VALU_DEP_4)
	v_ashrrev_i32_e32 v47, 31, v46
	s_and_b32 vcc_lo, exec_lo, s9
	s_delay_alu instid0(VALU_DEP_1) | instskip(SKIP_2) | instid1(VALU_DEP_1)
	v_lshlrev_b64 v[44:45], 2, v[46:47]
	s_waitcnt lgkmcnt(0)
	v_mad_i64_i32 v[4:5], null, v48, s8, 0
	v_lshlrev_b64 v[4:5], 2, v[4:5]
	s_delay_alu instid0(VALU_DEP_1) | instskip(NEXT) | instid1(VALU_DEP_1)
	v_add_co_u32 v125, s3, s4, v4
	v_add_co_ci_u32_e64 v126, s3, s5, v5, s3
	s_cbranch_vccz .LBB92_35
; %bb.34:
	s_delay_alu instid0(VALU_DEP_2) | instskip(NEXT) | instid1(VALU_DEP_2)
	v_add_co_u32 v4, vcc_lo, v125, v44
	v_add_co_ci_u32_e32 v5, vcc_lo, v126, v45, vcc_lo
	flat_load_b32 v4, v[4:5]
	s_waitcnt vmcnt(0) lgkmcnt(0)
	v_mul_f32_e32 v50, s20, v4
.LBB92_35:
	s_clause 0x1
	s_load_b64 s[10:11], s[0:1], 0x70
	s_load_b32 s1, s[0:1], 0x68
	v_dual_max_f32 v127, v40, v40 :: v_dual_max_f32 v128, v41, v41
	v_max_f32_e32 v47, v0, v0
	v_max_f32_e32 v49, v1, v1
	;; [unrolled: 1-line block ×3, first 2 shown]
	ds_load_b128 v[36:39], v59 offset:5248
	ds_load_b128 v[32:35], v59 offset:5376
	;; [unrolled: 1-line block ×9, first 2 shown]
	v_min_f32_e32 v0, v47, v127
	s_delay_alu instid0(VALU_DEP_1) | instskip(SKIP_4) | instid1(VALU_DEP_2)
	v_dual_add_f32 v51, v0, v124 :: v_dual_max_f32 v124, v42, v42
	v_dual_max_f32 v42, v2, v2 :: v_dual_min_f32 v1, v49, v128
	s_waitcnt lgkmcnt(0)
	s_mul_i32 s0, s15, s11
	v_mad_i64_i32 v[40:41], null, v48, s1, 0
	v_add_f32_e32 v53, v1, v123
	v_max_f32_e32 v43, v3, v3
	s_mul_hi_u32 s3, s15, s10
	v_min_f32_e32 v55, v42, v124
	s_mul_i32 s11, s21, s10
	s_add_i32 s0, s3, s0
	v_min_f32_e32 v54, v43, v129
	ds_load_b128 v[0:3], v58 offset:3584
	s_mul_i32 s10, s15, s10
	s_add_i32 s11, s0, s11
	v_lshlrev_b64 v[40:41], 2, v[40:41]
	v_dual_add_f32 v56, v54, v53 :: v_dual_add_f32 v51, v55, v51
	s_lshl_b64 s[10:11], s[10:11], 2
	v_add_nc_u32_e32 v53, 8, v46
	s_add_u32 s3, s6, s10
	s_addc_u32 s6, s7, s11
	v_add_f32_e32 v51, v51, v56
	v_add_co_u32 v123, vcc_lo, s3, v40
	v_ashrrev_i32_e32 v54, 31, v53
	v_cndmask_b32_e64 v55, 0, 1, s9
	v_add_co_ci_u32_e32 v130, vcc_lo, s6, v41, vcc_lo
	v_add_f32_e32 v56, v51, v50
	v_add_co_u32 v50, vcc_lo, v123, v44
	v_lshlrev_b64 v[40:41], 2, v[53:54]
	v_cmp_ne_u32_e64 s0, 1, v55
	v_add_co_ci_u32_e32 v51, vcc_lo, v130, v45, vcc_lo
	s_and_not1_b32 vcc_lo, exec_lo, s9
	global_store_b32 v[50:51], v56, off
	s_cbranch_vccnz .LBB92_37
; %bb.36:
	v_add_co_u32 v50, vcc_lo, v125, v40
	v_add_co_ci_u32_e32 v51, vcc_lo, v126, v41, vcc_lo
	flat_load_b32 v50, v[50:51]
	s_waitcnt vmcnt(0) lgkmcnt(0)
	v_mul_f32_e32 v52, s20, v50
.LBB92_37:
	v_dual_max_f32 v51, v37, v37 :: v_dual_max_f32 v50, v36, v36
	v_dual_max_f32 v38, v38, v38 :: v_dual_max_f32 v39, v39, v39
	v_add_co_u32 v57, vcc_lo, v123, v40
	s_delay_alu instid0(VALU_DEP_3) | instskip(NEXT) | instid1(VALU_DEP_3)
	v_dual_min_f32 v36, v51, v128 :: v_dual_min_f32 v37, v50, v127
	v_dual_min_f32 v53, v38, v124 :: v_dual_min_f32 v54, v39, v129
	v_add_co_ci_u32_e32 v58, vcc_lo, v130, v41, vcc_lo
	s_delay_alu instid0(VALU_DEP_3) | instskip(NEXT) | instid1(VALU_DEP_4)
	v_dual_add_f32 v55, v36, v121 :: v_dual_add_nc_u32 v36, 16, v46
	v_dual_add_f32 v37, v37, v122 :: v_dual_mov_b32 v56, 0
	s_and_b32 vcc_lo, exec_lo, s0
	s_delay_alu instid0(VALU_DEP_1) | instskip(NEXT) | instid1(VALU_DEP_3)
	v_dual_add_f32 v54, v54, v55 :: v_dual_add_f32 v53, v53, v37
	v_ashrrev_i32_e32 v37, 31, v36
	s_delay_alu instid0(VALU_DEP_2) | instskip(NEXT) | instid1(VALU_DEP_2)
	v_dual_add_f32 v53, v53, v54 :: v_dual_mov_b32 v54, 0
	v_lshlrev_b64 v[36:37], 2, v[36:37]
	s_delay_alu instid0(VALU_DEP_2)
	v_add_f32_e32 v52, v53, v52
	global_store_b32 v[57:58], v52, off
	s_cbranch_vccnz .LBB92_39
; %bb.38:
	v_add_co_u32 v52, vcc_lo, v125, v36
	v_add_co_ci_u32_e32 v53, vcc_lo, v126, v37, vcc_lo
	flat_load_b32 v52, v[52:53]
	s_waitcnt vmcnt(0) lgkmcnt(0)
	v_mul_f32_e32 v54, s20, v52
.LBB92_39:
	v_dual_max_f32 v53, v33, v33 :: v_dual_max_f32 v52, v32, v32
	v_dual_max_f32 v34, v34, v34 :: v_dual_max_f32 v35, v35, v35
	s_delay_alu instid0(VALU_DEP_2) | instskip(NEXT) | instid1(VALU_DEP_2)
	v_dual_min_f32 v32, v53, v128 :: v_dual_min_f32 v33, v52, v127
	v_min_f32_e32 v55, v34, v124
	s_delay_alu instid0(VALU_DEP_2) | instskip(NEXT) | instid1(VALU_DEP_3)
	v_dual_min_f32 v57, v35, v129 :: v_dual_add_f32 v58, v32, v119
	v_dual_add_f32 v33, v33, v120 :: v_dual_add_nc_u32 v32, 24, v46
	s_delay_alu instid0(VALU_DEP_2) | instskip(NEXT) | instid1(VALU_DEP_2)
	v_add_f32_e32 v57, v57, v58
	v_add_f32_e32 v55, v55, v33
	s_delay_alu instid0(VALU_DEP_3) | instskip(NEXT) | instid1(VALU_DEP_2)
	v_ashrrev_i32_e32 v33, 31, v32
	v_add_f32_e32 v55, v55, v57
	v_add_co_u32 v57, vcc_lo, v123, v36
	s_delay_alu instid0(VALU_DEP_3) | instskip(SKIP_1) | instid1(VALU_DEP_4)
	v_lshlrev_b64 v[32:33], 2, v[32:33]
	v_add_co_ci_u32_e32 v58, vcc_lo, v130, v37, vcc_lo
	v_add_f32_e32 v54, v55, v54
	s_and_b32 vcc_lo, exec_lo, s0
	global_store_b32 v[57:58], v54, off
	s_cbranch_vccnz .LBB92_41
; %bb.40:
	v_add_co_u32 v54, vcc_lo, v125, v32
	v_add_co_ci_u32_e32 v55, vcc_lo, v126, v33, vcc_lo
	flat_load_b32 v54, v[54:55]
	s_waitcnt vmcnt(0) lgkmcnt(0)
	v_mul_f32_e32 v56, s20, v54
.LBB92_41:
	v_dual_max_f32 v55, v29, v29 :: v_dual_max_f32 v54, v28, v28
	v_dual_max_f32 v30, v30, v30 :: v_dual_max_f32 v31, v31, v31
	v_mov_b32_e32 v74, 0
	s_delay_alu instid0(VALU_DEP_3) | instskip(NEXT) | instid1(VALU_DEP_3)
	v_dual_min_f32 v28, v55, v128 :: v_dual_min_f32 v29, v54, v127
	v_dual_min_f32 v57, v30, v124 :: v_dual_min_f32 v58, v31, v129
	s_delay_alu instid0(VALU_DEP_2) | instskip(NEXT) | instid1(VALU_DEP_3)
	v_dual_add_f32 v59, v28, v117 :: v_dual_add_nc_u32 v28, 32, v46
	v_add_f32_e32 v29, v29, v118
	v_add_co_u32 v117, vcc_lo, v123, v32
	s_delay_alu instid0(VALU_DEP_3) | instskip(SKIP_1) | instid1(VALU_DEP_4)
	v_add_f32_e32 v58, v58, v59
	v_add_co_ci_u32_e32 v118, vcc_lo, v130, v33, vcc_lo
	v_add_f32_e32 v57, v57, v29
	v_ashrrev_i32_e32 v29, 31, v28
	s_and_b32 vcc_lo, exec_lo, s0
	s_delay_alu instid0(VALU_DEP_2) | instskip(NEXT) | instid1(VALU_DEP_2)
	v_dual_add_f32 v57, v57, v58 :: v_dual_mov_b32 v58, 0
	v_lshlrev_b64 v[28:29], 2, v[28:29]
	s_delay_alu instid0(VALU_DEP_2)
	v_add_f32_e32 v56, v57, v56
	global_store_b32 v[117:118], v56, off
	s_cbranch_vccnz .LBB92_43
; %bb.42:
	v_add_co_u32 v56, vcc_lo, v125, v28
	v_add_co_ci_u32_e32 v57, vcc_lo, v126, v29, vcc_lo
	flat_load_b32 v56, v[56:57]
	s_waitcnt vmcnt(0) lgkmcnt(0)
	v_mul_f32_e32 v58, s20, v56
.LBB92_43:
	v_dual_max_f32 v57, v25, v25 :: v_dual_max_f32 v56, v24, v24
	v_dual_max_f32 v26, v26, v26 :: v_dual_max_f32 v27, v27, v27
	s_delay_alu instid0(VALU_DEP_2) | instskip(NEXT) | instid1(VALU_DEP_2)
	v_dual_min_f32 v24, v57, v128 :: v_dual_min_f32 v25, v56, v127
	v_min_f32_e32 v59, v26, v124
	s_delay_alu instid0(VALU_DEP_3) | instskip(NEXT) | instid1(VALU_DEP_3)
	v_min_f32_e32 v117, v27, v129
	v_add_f32_e32 v115, v24, v115
	s_delay_alu instid0(VALU_DEP_4) | instskip(NEXT) | instid1(VALU_DEP_2)
	v_dual_add_f32 v25, v25, v116 :: v_dual_add_nc_u32 v24, 40, v46
	v_add_f32_e32 v115, v117, v115
	s_delay_alu instid0(VALU_DEP_2) | instskip(NEXT) | instid1(VALU_DEP_3)
	v_add_f32_e32 v59, v59, v25
	v_ashrrev_i32_e32 v25, 31, v24
	s_delay_alu instid0(VALU_DEP_2) | instskip(SKIP_1) | instid1(VALU_DEP_3)
	v_add_f32_e32 v59, v59, v115
	v_add_co_u32 v115, vcc_lo, v123, v28
	v_lshlrev_b64 v[24:25], 2, v[24:25]
	v_add_co_ci_u32_e32 v116, vcc_lo, v130, v29, vcc_lo
	s_delay_alu instid0(VALU_DEP_4)
	v_add_f32_e32 v58, v59, v58
	s_and_b32 vcc_lo, exec_lo, s0
	global_store_b32 v[115:116], v58, off
	s_cbranch_vccnz .LBB92_45
; %bb.44:
	v_add_co_u32 v58, vcc_lo, v125, v24
	v_add_co_ci_u32_e32 v59, vcc_lo, v126, v25, vcc_lo
	flat_load_b32 v58, v[58:59]
	s_waitcnt vmcnt(0) lgkmcnt(0)
	v_mul_f32_e32 v74, s20, v58
.LBB92_45:
	v_dual_max_f32 v59, v21, v21 :: v_dual_max_f32 v58, v20, v20
	v_dual_max_f32 v22, v22, v22 :: v_dual_max_f32 v23, v23, v23
	s_delay_alu instid0(VALU_DEP_2) | instskip(NEXT) | instid1(VALU_DEP_2)
	v_dual_min_f32 v20, v59, v128 :: v_dual_min_f32 v21, v58, v127
	v_dual_min_f32 v115, v22, v124 :: v_dual_min_f32 v116, v23, v129
	s_delay_alu instid0(VALU_DEP_2) | instskip(NEXT) | instid1(VALU_DEP_3)
	v_dual_add_f32 v113, v20, v113 :: v_dual_add_nc_u32 v20, 48, v46
	v_add_f32_e32 v21, v21, v114
	s_delay_alu instid0(VALU_DEP_2) | instskip(SKIP_1) | instid1(VALU_DEP_3)
	v_add_f32_e32 v113, v116, v113
	v_add_co_u32 v116, vcc_lo, v123, v24
	v_dual_add_f32 v114, v115, v21 :: v_dual_mov_b32 v115, 0
	v_ashrrev_i32_e32 v21, 31, v20
	v_add_co_ci_u32_e32 v117, vcc_lo, v130, v25, vcc_lo
	s_delay_alu instid0(VALU_DEP_3) | instskip(NEXT) | instid1(VALU_DEP_3)
	v_dual_add_f32 v113, v114, v113 :: v_dual_mov_b32 v114, 0
	v_lshlrev_b64 v[20:21], 2, v[20:21]
	s_and_b32 vcc_lo, exec_lo, s0
	s_delay_alu instid0(VALU_DEP_2)
	v_add_f32_e32 v74, v113, v74
	global_store_b32 v[116:117], v74, off
	s_cbranch_vccnz .LBB92_47
; %bb.46:
	v_add_co_u32 v115, vcc_lo, v125, v20
	v_add_co_ci_u32_e32 v116, vcc_lo, v126, v21, vcc_lo
	flat_load_b32 v74, v[115:116]
	s_waitcnt vmcnt(0) lgkmcnt(0)
	v_mul_f32_e32 v115, s20, v74
.LBB92_47:
	v_dual_max_f32 v113, v17, v17 :: v_dual_max_f32 v74, v16, v16
	v_dual_max_f32 v18, v18, v18 :: v_dual_max_f32 v19, v19, v19
	s_delay_alu instid0(VALU_DEP_2) | instskip(NEXT) | instid1(VALU_DEP_2)
	v_dual_min_f32 v16, v113, v128 :: v_dual_min_f32 v17, v74, v127
	v_dual_min_f32 v116, v18, v124 :: v_dual_min_f32 v117, v19, v129
	s_delay_alu instid0(VALU_DEP_2) | instskip(NEXT) | instid1(VALU_DEP_1)
	v_dual_add_f32 v111, v16, v111 :: v_dual_add_nc_u32 v16, 56, v46
	v_add_f32_e32 v46, v117, v111
	s_delay_alu instid0(VALU_DEP_4) | instskip(NEXT) | instid1(VALU_DEP_1)
	v_add_f32_e32 v17, v17, v112
	v_add_f32_e32 v111, v116, v17
	s_delay_alu instid0(VALU_DEP_4) | instskip(NEXT) | instid1(VALU_DEP_2)
	v_ashrrev_i32_e32 v17, 31, v16
	v_add_f32_e32 v46, v111, v46
	v_add_co_u32 v111, vcc_lo, v123, v20
	s_delay_alu instid0(VALU_DEP_3) | instskip(SKIP_1) | instid1(VALU_DEP_4)
	v_lshlrev_b64 v[16:17], 2, v[16:17]
	v_add_co_ci_u32_e32 v112, vcc_lo, v130, v21, vcc_lo
	v_add_f32_e32 v46, v46, v115
	s_and_b32 vcc_lo, exec_lo, s0
	global_store_b32 v[111:112], v46, off
	s_cbranch_vccnz .LBB92_49
; %bb.48:
	v_add_co_u32 v111, vcc_lo, v125, v16
	v_add_co_ci_u32_e32 v112, vcc_lo, v126, v17, vcc_lo
	flat_load_b32 v46, v[111:112]
	s_waitcnt vmcnt(0) lgkmcnt(0)
	v_mul_f32_e32 v114, s20, v46
.LBB92_49:
	v_dual_max_f32 v12, v12, v12 :: v_dual_max_f32 v13, v13, v13
	v_dual_max_f32 v14, v14, v14 :: v_dual_add_nc_u32 v115, 32, v48
	v_max_f32_e32 v15, v15, v15
	s_delay_alu instid0(VALU_DEP_3) | instskip(NEXT) | instid1(VALU_DEP_4)
	v_min_f32_e32 v46, v12, v127
	v_min_f32_e32 v116, v13, v128
	s_delay_alu instid0(VALU_DEP_4) | instskip(SKIP_2) | instid1(VALU_DEP_4)
	v_min_f32_e32 v117, v14, v124
	v_mad_i64_i32 v[111:112], null, v115, s8, 0
	v_min_f32_e32 v118, v15, v129
	v_add_f32_e32 v116, v116, v109
	v_add_f32_e32 v46, v46, v110
	s_delay_alu instid0(VALU_DEP_4) | instskip(NEXT) | instid1(VALU_DEP_3)
	v_lshlrev_b64 v[109:110], 2, v[111:112]
	v_add_f32_e32 v116, v118, v116
	s_delay_alu instid0(VALU_DEP_3) | instskip(SKIP_2) | instid1(VALU_DEP_3)
	v_add_f32_e32 v46, v117, v46
	v_add_co_u32 v111, vcc_lo, v123, v16
	v_add_co_ci_u32_e32 v112, vcc_lo, v130, v17, vcc_lo
	v_add_f32_e32 v116, v46, v116
	v_add_co_u32 v46, vcc_lo, s4, v109
	v_add_co_ci_u32_e32 v109, vcc_lo, s5, v110, vcc_lo
	s_delay_alu instid0(VALU_DEP_3)
	v_add_f32_e32 v110, v116, v114
	v_mov_b32_e32 v114, 0
	v_mov_b32_e32 v116, 0
	s_and_b32 vcc_lo, exec_lo, s0
	global_store_b32 v[111:112], v110, off
	s_cbranch_vccnz .LBB92_51
; %bb.50:
	v_add_co_u32 v110, vcc_lo, v46, v44
	v_add_co_ci_u32_e32 v111, vcc_lo, v109, v45, vcc_lo
	flat_load_b32 v110, v[110:111]
	s_waitcnt vmcnt(0) lgkmcnt(0)
	v_mul_f32_e32 v116, s20, v110
.LBB92_51:
	v_dual_max_f32 v110, v8, v8 :: v_dual_max_f32 v111, v9, v9
	v_max_f32_e32 v112, v10, v10
	v_mad_i64_i32 v[9:10], null, v115, s1, 0
	s_delay_alu instid0(VALU_DEP_3) | instskip(NEXT) | instid1(VALU_DEP_3)
	v_min_f32_e32 v117, v49, v111
	v_dual_max_f32 v8, v11, v11 :: v_dual_min_f32 v115, v42, v112
	v_min_f32_e32 v11, v47, v110
	s_delay_alu instid0(VALU_DEP_2) | instskip(SKIP_1) | instid1(VALU_DEP_3)
	v_dual_add_f32 v107, v117, v107 :: v_dual_min_f32 v118, v43, v8
	v_lshlrev_b64 v[9:10], 2, v[9:10]
	v_add_f32_e32 v11, v11, v108
	s_delay_alu instid0(VALU_DEP_3) | instskip(NEXT) | instid1(VALU_DEP_2)
	v_add_f32_e32 v107, v118, v107
	v_add_f32_e32 v11, v115, v11
	s_delay_alu instid0(VALU_DEP_4) | instskip(SKIP_1) | instid1(VALU_DEP_3)
	v_add_co_u32 v9, vcc_lo, s3, v9
	v_add_co_ci_u32_e32 v10, vcc_lo, s6, v10, vcc_lo
	v_add_f32_e32 v11, v11, v107
	s_delay_alu instid0(VALU_DEP_3) | instskip(NEXT) | instid1(VALU_DEP_3)
	v_add_co_u32 v107, vcc_lo, v9, v44
	v_add_co_ci_u32_e32 v108, vcc_lo, v10, v45, vcc_lo
	s_delay_alu instid0(VALU_DEP_3)
	v_add_f32_e32 v11, v11, v116
	s_and_b32 vcc_lo, exec_lo, s0
	global_store_b32 v[107:108], v11, off
	s_cbranch_vccnz .LBB92_53
; %bb.52:
	v_add_co_u32 v107, vcc_lo, v46, v40
	v_add_co_ci_u32_e32 v108, vcc_lo, v109, v41, vcc_lo
	flat_load_b32 v11, v[107:108]
	s_waitcnt vmcnt(0) lgkmcnt(0)
	v_mul_f32_e32 v114, s20, v11
.LBB92_53:
	v_dual_min_f32 v11, v51, v111 :: v_dual_min_f32 v108, v38, v112
	v_min_f32_e32 v107, v50, v110
	v_min_f32_e32 v115, v39, v8
	s_delay_alu instid0(VALU_DEP_3) | instskip(NEXT) | instid1(VALU_DEP_3)
	v_add_f32_e32 v11, v11, v105
	v_add_f32_e32 v105, v107, v106
	v_add_co_u32 v106, vcc_lo, v9, v40
	s_delay_alu instid0(VALU_DEP_3) | instskip(SKIP_1) | instid1(VALU_DEP_4)
	v_add_f32_e32 v11, v115, v11
	v_add_co_ci_u32_e32 v107, vcc_lo, v10, v41, vcc_lo
	v_add_f32_e32 v105, v108, v105
	s_and_b32 vcc_lo, exec_lo, s0
	s_delay_alu instid0(VALU_DEP_1) | instskip(NEXT) | instid1(VALU_DEP_1)
	v_add_f32_e32 v11, v105, v11
	v_dual_mov_b32 v105, 0 :: v_dual_add_f32 v108, v11, v114
	v_mov_b32_e32 v11, 0
	global_store_b32 v[106:107], v108, off
	s_cbranch_vccnz .LBB92_55
; %bb.54:
	v_add_co_u32 v105, vcc_lo, v46, v36
	v_add_co_ci_u32_e32 v106, vcc_lo, v109, v37, vcc_lo
	flat_load_b32 v105, v[105:106]
	s_waitcnt vmcnt(0) lgkmcnt(0)
	v_mul_f32_e32 v105, s20, v105
.LBB92_55:
	v_dual_min_f32 v106, v53, v111 :: v_dual_min_f32 v107, v52, v110
	s_delay_alu instid0(VALU_DEP_1) | instskip(NEXT) | instid1(VALU_DEP_1)
	v_dual_min_f32 v114, v35, v8 :: v_dual_add_f32 v103, v106, v103
	v_dual_add_f32 v104, v107, v104 :: v_dual_add_f32 v103, v114, v103
	v_min_f32_e32 v108, v34, v112
	s_delay_alu instid0(VALU_DEP_1) | instskip(NEXT) | instid1(VALU_DEP_1)
	v_add_f32_e32 v104, v108, v104
	v_add_f32_e32 v103, v104, v103
	s_delay_alu instid0(VALU_DEP_1)
	v_add_f32_e32 v105, v103, v105
	v_add_co_u32 v103, vcc_lo, v9, v36
	v_add_co_ci_u32_e32 v104, vcc_lo, v10, v37, vcc_lo
	s_and_b32 vcc_lo, exec_lo, s0
	global_store_b32 v[103:104], v105, off
	s_cbranch_vccnz .LBB92_57
; %bb.56:
	v_add_co_u32 v103, vcc_lo, v46, v32
	v_add_co_ci_u32_e32 v104, vcc_lo, v109, v33, vcc_lo
	flat_load_b32 v11, v[103:104]
	s_waitcnt vmcnt(0) lgkmcnt(0)
	v_mul_f32_e32 v11, s20, v11
.LBB92_57:
	v_dual_min_f32 v103, v55, v111 :: v_dual_min_f32 v104, v54, v110
	v_min_f32_e32 v105, v30, v112
	v_min_f32_e32 v106, v31, v8
	s_delay_alu instid0(VALU_DEP_3) | instskip(NEXT) | instid1(VALU_DEP_4)
	v_add_f32_e32 v100, v103, v100
	v_add_f32_e32 v102, v104, v102
	s_delay_alu instid0(VALU_DEP_2) | instskip(NEXT) | instid1(VALU_DEP_2)
	v_add_f32_e32 v100, v106, v100
	v_add_f32_e32 v102, v105, v102
	s_delay_alu instid0(VALU_DEP_1) | instskip(SKIP_2) | instid1(VALU_DEP_3)
	v_add_f32_e32 v100, v102, v100
	v_add_co_u32 v102, vcc_lo, v9, v32
	v_add_co_ci_u32_e32 v103, vcc_lo, v10, v33, vcc_lo
	v_dual_add_f32 v104, v100, v11 :: v_dual_mov_b32 v11, 0
	v_mov_b32_e32 v100, 0
	s_and_b32 vcc_lo, exec_lo, s0
	global_store_b32 v[102:103], v104, off
	s_cbranch_vccnz .LBB92_59
; %bb.58:
	v_add_co_u32 v102, vcc_lo, v46, v28
	v_add_co_ci_u32_e32 v103, vcc_lo, v109, v29, vcc_lo
	flat_load_b32 v100, v[102:103]
	s_waitcnt vmcnt(0) lgkmcnt(0)
	v_mul_f32_e32 v100, s20, v100
.LBB92_59:
	v_dual_min_f32 v102, v57, v111 :: v_dual_min_f32 v103, v56, v110
	v_min_f32_e32 v104, v26, v112
	v_min_f32_e32 v105, v27, v8
	s_delay_alu instid0(VALU_DEP_3) | instskip(NEXT) | instid1(VALU_DEP_4)
	v_add_f32_e32 v99, v102, v99
	v_add_f32_e32 v101, v103, v101
	s_delay_alu instid0(VALU_DEP_2) | instskip(NEXT) | instid1(VALU_DEP_2)
	v_add_f32_e32 v99, v105, v99
	v_add_f32_e32 v101, v104, v101
	s_delay_alu instid0(VALU_DEP_1) | instskip(NEXT) | instid1(VALU_DEP_1)
	v_add_f32_e32 v99, v101, v99
	v_add_f32_e32 v101, v99, v100
	v_add_co_u32 v99, vcc_lo, v9, v28
	v_add_co_ci_u32_e32 v100, vcc_lo, v10, v29, vcc_lo
	s_and_b32 vcc_lo, exec_lo, s0
	global_store_b32 v[99:100], v101, off
	s_cbranch_vccnz .LBB92_61
; %bb.60:
	v_add_co_u32 v99, vcc_lo, v46, v24
	v_add_co_ci_u32_e32 v100, vcc_lo, v109, v25, vcc_lo
	flat_load_b32 v11, v[99:100]
	s_waitcnt vmcnt(0) lgkmcnt(0)
	v_mul_f32_e32 v11, s20, v11
.LBB92_61:
	v_dual_min_f32 v99, v59, v111 :: v_dual_min_f32 v100, v58, v110
	s_delay_alu instid0(VALU_DEP_1) | instskip(NEXT) | instid1(VALU_DEP_1)
	v_dual_min_f32 v101, v22, v112 :: v_dual_add_f32 v98, v100, v98
	v_dual_add_f32 v97, v99, v97 :: v_dual_add_f32 v98, v101, v98
	v_min_f32_e32 v102, v23, v8
	s_delay_alu instid0(VALU_DEP_1) | instskip(NEXT) | instid1(VALU_DEP_1)
	v_add_f32_e32 v97, v102, v97
	v_add_f32_e32 v97, v98, v97
	v_add_co_u32 v98, vcc_lo, v9, v24
	v_add_co_ci_u32_e32 v99, vcc_lo, v10, v25, vcc_lo
	s_delay_alu instid0(VALU_DEP_3)
	v_dual_add_f32 v100, v97, v11 :: v_dual_mov_b32 v11, 0
	v_mov_b32_e32 v97, 0
	s_and_b32 vcc_lo, exec_lo, s0
	global_store_b32 v[98:99], v100, off
	s_cbranch_vccnz .LBB92_63
; %bb.62:
	v_add_co_u32 v97, vcc_lo, v46, v20
	v_add_co_ci_u32_e32 v98, vcc_lo, v109, v21, vcc_lo
	flat_load_b32 v97, v[97:98]
	s_waitcnt vmcnt(0) lgkmcnt(0)
	v_mul_f32_e32 v97, s20, v97
.LBB92_63:
	v_dual_min_f32 v98, v113, v111 :: v_dual_min_f32 v99, v74, v110
	v_min_f32_e32 v101, v19, v8
	s_delay_alu instid0(VALU_DEP_2) | instskip(NEXT) | instid1(VALU_DEP_1)
	v_dual_add_f32 v95, v98, v95 :: v_dual_add_f32 v96, v99, v96
	v_dual_min_f32 v100, v18, v112 :: v_dual_add_f32 v95, v101, v95
	s_delay_alu instid0(VALU_DEP_1) | instskip(NEXT) | instid1(VALU_DEP_1)
	v_add_f32_e32 v96, v100, v96
	v_add_f32_e32 v95, v96, v95
	s_delay_alu instid0(VALU_DEP_1)
	v_add_f32_e32 v97, v95, v97
	v_add_co_u32 v95, vcc_lo, v9, v20
	v_add_co_ci_u32_e32 v96, vcc_lo, v10, v21, vcc_lo
	s_and_b32 vcc_lo, exec_lo, s0
	global_store_b32 v[95:96], v97, off
	s_cbranch_vccnz .LBB92_65
; %bb.64:
	v_add_co_u32 v95, vcc_lo, v46, v16
	v_add_co_ci_u32_e32 v96, vcc_lo, v109, v17, vcc_lo
	flat_load_b32 v11, v[95:96]
	s_waitcnt vmcnt(0) lgkmcnt(0)
	v_mul_f32_e32 v11, s20, v11
.LBB92_65:
	v_dual_min_f32 v46, v12, v110 :: v_dual_min_f32 v97, v14, v112
	v_dual_min_f32 v96, v13, v111 :: v_dual_add_nc_u32 v95, 64, v48
	v_min_f32_e32 v8, v15, v8
	s_delay_alu instid0(VALU_DEP_3) | instskip(NEXT) | instid1(VALU_DEP_3)
	v_add_f32_e32 v46, v46, v94
	v_add_f32_e32 v96, v96, v93
	s_delay_alu instid0(VALU_DEP_4) | instskip(NEXT) | instid1(VALU_DEP_3)
	v_mad_i64_i32 v[93:94], null, v95, s8, 0
	v_add_f32_e32 v46, v97, v46
	s_delay_alu instid0(VALU_DEP_3) | instskip(SKIP_3) | instid1(VALU_DEP_4)
	v_add_f32_e32 v8, v8, v96
	v_add_co_u32 v96, vcc_lo, v9, v16
	v_add_co_ci_u32_e32 v97, vcc_lo, v10, v17, vcc_lo
	v_lshlrev_b64 v[93:94], 2, v[93:94]
	v_add_f32_e32 v8, v46, v8
	s_delay_alu instid0(VALU_DEP_1) | instskip(NEXT) | instid1(VALU_DEP_3)
	v_add_f32_e32 v10, v8, v11
	v_add_co_u32 v8, vcc_lo, s4, v93
	v_mov_b32_e32 v93, 0
	v_add_co_ci_u32_e32 v9, vcc_lo, s5, v94, vcc_lo
	v_mov_b32_e32 v94, 0
	s_and_b32 vcc_lo, exec_lo, s0
	global_store_b32 v[96:97], v10, off
	s_cbranch_vccnz .LBB92_67
; %bb.66:
	v_add_co_u32 v10, vcc_lo, v8, v44
	v_add_co_ci_u32_e32 v11, vcc_lo, v9, v45, vcc_lo
	flat_load_b32 v10, v[10:11]
	s_waitcnt vmcnt(0) lgkmcnt(0)
	v_mul_f32_e32 v94, s20, v10
.LBB92_67:
	v_dual_max_f32 v10, v4, v4 :: v_dual_max_f32 v11, v5, v5
	v_max_f32_e32 v4, v7, v7
	v_max_f32_e32 v46, v6, v6
	v_mad_i64_i32 v[5:6], null, v95, s1, 0
	s_delay_alu instid0(VALU_DEP_4) | instskip(NEXT) | instid1(VALU_DEP_4)
	v_dual_min_f32 v7, v47, v10 :: v_dual_min_f32 v96, v49, v11
	v_min_f32_e32 v97, v43, v4
	s_delay_alu instid0(VALU_DEP_4) | instskip(NEXT) | instid1(VALU_DEP_3)
	v_min_f32_e32 v95, v42, v46
	v_add_f32_e32 v7, v7, v92
	s_delay_alu instid0(VALU_DEP_4) | instskip(SKIP_1) | instid1(VALU_DEP_3)
	v_add_f32_e32 v91, v96, v91
	v_lshlrev_b64 v[5:6], 2, v[5:6]
	v_add_f32_e32 v7, v95, v7
	s_delay_alu instid0(VALU_DEP_3) | instskip(NEXT) | instid1(VALU_DEP_3)
	v_add_f32_e32 v91, v97, v91
	v_add_co_u32 v5, vcc_lo, s3, v5
	s_delay_alu instid0(VALU_DEP_4) | instskip(NEXT) | instid1(VALU_DEP_3)
	v_add_co_ci_u32_e32 v6, vcc_lo, s6, v6, vcc_lo
	v_add_f32_e32 v7, v7, v91
	s_delay_alu instid0(VALU_DEP_3) | instskip(NEXT) | instid1(VALU_DEP_3)
	v_add_co_u32 v91, vcc_lo, v5, v44
	v_add_co_ci_u32_e32 v92, vcc_lo, v6, v45, vcc_lo
	s_delay_alu instid0(VALU_DEP_3)
	v_add_f32_e32 v7, v7, v94
	s_and_b32 vcc_lo, exec_lo, s0
	global_store_b32 v[91:92], v7, off
	s_cbranch_vccnz .LBB92_69
; %bb.68:
	v_add_co_u32 v91, vcc_lo, v8, v40
	v_add_co_ci_u32_e32 v92, vcc_lo, v9, v41, vcc_lo
	flat_load_b32 v7, v[91:92]
	s_waitcnt vmcnt(0) lgkmcnt(0)
	v_mul_f32_e32 v93, s20, v7
.LBB92_69:
	v_dual_min_f32 v7, v51, v11 :: v_dual_min_f32 v92, v38, v46
	v_dual_min_f32 v91, v50, v10 :: v_dual_min_f32 v94, v39, v4
	s_delay_alu instid0(VALU_DEP_2) | instskip(NEXT) | instid1(VALU_DEP_2)
	v_add_f32_e32 v7, v7, v89
	v_add_f32_e32 v89, v91, v90
	v_add_co_u32 v90, vcc_lo, v5, v40
	s_delay_alu instid0(VALU_DEP_3) | instskip(SKIP_1) | instid1(VALU_DEP_4)
	v_add_f32_e32 v7, v94, v7
	v_add_co_ci_u32_e32 v91, vcc_lo, v6, v41, vcc_lo
	v_add_f32_e32 v89, v92, v89
	s_and_b32 vcc_lo, exec_lo, s0
	s_delay_alu instid0(VALU_DEP_1) | instskip(NEXT) | instid1(VALU_DEP_1)
	v_add_f32_e32 v7, v89, v7
	v_dual_mov_b32 v89, 0 :: v_dual_add_f32 v92, v7, v93
	v_mov_b32_e32 v7, 0
	global_store_b32 v[90:91], v92, off
	s_cbranch_vccnz .LBB92_71
; %bb.70:
	v_add_co_u32 v89, vcc_lo, v8, v36
	v_add_co_ci_u32_e32 v90, vcc_lo, v9, v37, vcc_lo
	flat_load_b32 v89, v[89:90]
	s_waitcnt vmcnt(0) lgkmcnt(0)
	v_mul_f32_e32 v89, s20, v89
.LBB92_71:
	v_dual_min_f32 v90, v53, v11 :: v_dual_min_f32 v91, v52, v10
	v_dual_min_f32 v92, v34, v46 :: v_dual_min_f32 v93, v35, v4
	s_delay_alu instid0(VALU_DEP_2) | instskip(NEXT) | instid1(VALU_DEP_1)
	v_dual_add_f32 v87, v90, v87 :: v_dual_add_f32 v88, v91, v88
	v_dual_add_f32 v87, v93, v87 :: v_dual_add_f32 v88, v92, v88
	s_delay_alu instid0(VALU_DEP_1) | instskip(NEXT) | instid1(VALU_DEP_1)
	v_add_f32_e32 v87, v88, v87
	v_add_f32_e32 v89, v87, v89
	v_add_co_u32 v87, vcc_lo, v5, v36
	v_add_co_ci_u32_e32 v88, vcc_lo, v6, v37, vcc_lo
	s_and_b32 vcc_lo, exec_lo, s0
	global_store_b32 v[87:88], v89, off
	s_cbranch_vccnz .LBB92_73
; %bb.72:
	v_add_co_u32 v87, vcc_lo, v8, v32
	v_add_co_ci_u32_e32 v88, vcc_lo, v9, v33, vcc_lo
	flat_load_b32 v7, v[87:88]
	s_waitcnt vmcnt(0) lgkmcnt(0)
	v_mul_f32_e32 v7, s20, v7
.LBB92_73:
	v_dual_min_f32 v87, v55, v11 :: v_dual_min_f32 v88, v54, v10
	v_dual_min_f32 v89, v30, v46 :: v_dual_min_f32 v90, v31, v4
	s_delay_alu instid0(VALU_DEP_2) | instskip(NEXT) | instid1(VALU_DEP_1)
	v_dual_add_f32 v85, v87, v85 :: v_dual_add_f32 v86, v88, v86
	v_dual_add_f32 v85, v90, v85 :: v_dual_add_f32 v86, v89, v86
	s_delay_alu instid0(VALU_DEP_1) | instskip(SKIP_2) | instid1(VALU_DEP_3)
	v_add_f32_e32 v85, v86, v85
	v_add_co_u32 v86, vcc_lo, v5, v32
	v_add_co_ci_u32_e32 v87, vcc_lo, v6, v33, vcc_lo
	v_dual_add_f32 v88, v85, v7 :: v_dual_mov_b32 v7, 0
	v_mov_b32_e32 v85, 0
	s_and_b32 vcc_lo, exec_lo, s0
	global_store_b32 v[86:87], v88, off
	s_cbranch_vccnz .LBB92_75
; %bb.74:
	v_add_co_u32 v85, vcc_lo, v8, v28
	v_add_co_ci_u32_e32 v86, vcc_lo, v9, v29, vcc_lo
	flat_load_b32 v85, v[85:86]
	s_waitcnt vmcnt(0) lgkmcnt(0)
	v_mul_f32_e32 v85, s20, v85
.LBB92_75:
	v_dual_min_f32 v86, v57, v11 :: v_dual_min_f32 v87, v56, v10
	v_dual_min_f32 v88, v26, v46 :: v_dual_min_f32 v89, v27, v4
	s_delay_alu instid0(VALU_DEP_2) | instskip(NEXT) | instid1(VALU_DEP_1)
	v_dual_add_f32 v83, v86, v83 :: v_dual_add_f32 v84, v87, v84
	v_dual_add_f32 v83, v89, v83 :: v_dual_add_f32 v84, v88, v84
	s_delay_alu instid0(VALU_DEP_1) | instskip(NEXT) | instid1(VALU_DEP_1)
	v_add_f32_e32 v83, v84, v83
	v_add_f32_e32 v85, v83, v85
	v_add_co_u32 v83, vcc_lo, v5, v28
	v_add_co_ci_u32_e32 v84, vcc_lo, v6, v29, vcc_lo
	s_and_b32 vcc_lo, exec_lo, s0
	global_store_b32 v[83:84], v85, off
	s_cbranch_vccnz .LBB92_77
; %bb.76:
	v_add_co_u32 v83, vcc_lo, v8, v24
	v_add_co_ci_u32_e32 v84, vcc_lo, v9, v25, vcc_lo
	flat_load_b32 v7, v[83:84]
	s_waitcnt vmcnt(0) lgkmcnt(0)
	v_mul_f32_e32 v7, s20, v7
.LBB92_77:
	v_dual_min_f32 v83, v59, v11 :: v_dual_min_f32 v84, v58, v10
	v_dual_min_f32 v85, v22, v46 :: v_dual_min_f32 v86, v23, v4
	s_delay_alu instid0(VALU_DEP_2) | instskip(NEXT) | instid1(VALU_DEP_3)
	v_add_f32_e32 v80, v83, v80
	v_add_f32_e32 v82, v84, v82
	s_delay_alu instid0(VALU_DEP_2) | instskip(NEXT) | instid1(VALU_DEP_2)
	v_add_f32_e32 v80, v86, v80
	v_add_f32_e32 v82, v85, v82
	s_delay_alu instid0(VALU_DEP_1) | instskip(SKIP_2) | instid1(VALU_DEP_3)
	v_add_f32_e32 v80, v82, v80
	v_add_co_u32 v82, vcc_lo, v5, v24
	v_add_co_ci_u32_e32 v83, vcc_lo, v6, v25, vcc_lo
	v_dual_add_f32 v84, v80, v7 :: v_dual_mov_b32 v7, 0
	v_mov_b32_e32 v80, 0
	s_and_b32 vcc_lo, exec_lo, s0
	global_store_b32 v[82:83], v84, off
	s_cbranch_vccnz .LBB92_79
; %bb.78:
	v_add_co_u32 v82, vcc_lo, v8, v20
	v_add_co_ci_u32_e32 v83, vcc_lo, v9, v21, vcc_lo
	flat_load_b32 v80, v[82:83]
	s_waitcnt vmcnt(0) lgkmcnt(0)
	v_mul_f32_e32 v80, s20, v80
.LBB92_79:
	v_dual_min_f32 v82, v113, v11 :: v_dual_min_f32 v83, v74, v10
	v_dual_min_f32 v84, v18, v46 :: v_dual_min_f32 v85, v19, v4
	s_delay_alu instid0(VALU_DEP_2) | instskip(NEXT) | instid1(VALU_DEP_3)
	v_add_f32_e32 v79, v82, v79
	v_add_f32_e32 v81, v83, v81
	s_delay_alu instid0(VALU_DEP_2) | instskip(NEXT) | instid1(VALU_DEP_2)
	v_add_f32_e32 v79, v85, v79
	v_add_f32_e32 v81, v84, v81
	s_delay_alu instid0(VALU_DEP_1) | instskip(NEXT) | instid1(VALU_DEP_1)
	v_add_f32_e32 v79, v81, v79
	v_add_f32_e32 v81, v79, v80
	v_add_co_u32 v79, vcc_lo, v5, v20
	v_add_co_ci_u32_e32 v80, vcc_lo, v6, v21, vcc_lo
	s_and_b32 vcc_lo, exec_lo, s0
	global_store_b32 v[79:80], v81, off
	s_cbranch_vccnz .LBB92_81
; %bb.80:
	v_add_co_u32 v7, vcc_lo, v8, v16
	v_add_co_ci_u32_e32 v8, vcc_lo, v9, v17, vcc_lo
	flat_load_b32 v7, v[7:8]
	s_waitcnt vmcnt(0) lgkmcnt(0)
	v_mul_f32_e32 v7, s20, v7
.LBB92_81:
	v_dual_min_f32 v8, v12, v10 :: v_dual_add_nc_u32 v9, 0x60, v48
	v_min_f32_e32 v10, v13, v11
	v_min_f32_e32 v46, v14, v46
	;; [unrolled: 1-line block ×3, first 2 shown]
	s_delay_alu instid0(VALU_DEP_4) | instskip(SKIP_3) | instid1(VALU_DEP_4)
	v_add_f32_e32 v8, v8, v78
	v_add_co_u32 v78, vcc_lo, v5, v16
	v_add_f32_e32 v48, v10, v76
	v_mad_i64_i32 v[10:11], null, v9, s8, 0
	v_add_f32_e32 v8, v46, v8
	v_add_co_ci_u32_e32 v79, vcc_lo, v6, v17, vcc_lo
	s_delay_alu instid0(VALU_DEP_4) | instskip(NEXT) | instid1(VALU_DEP_4)
	v_add_f32_e32 v4, v4, v48
	v_lshlrev_b64 v[10:11], 2, v[10:11]
	s_delay_alu instid0(VALU_DEP_2) | instskip(SKIP_1) | instid1(VALU_DEP_2)
	v_add_f32_e32 v4, v8, v4
	v_mov_b32_e32 v8, 0
	v_add_f32_e32 v6, v4, v7
	s_delay_alu instid0(VALU_DEP_4)
	v_add_co_u32 v4, vcc_lo, s4, v10
	v_add_co_ci_u32_e32 v5, vcc_lo, s5, v11, vcc_lo
	v_mov_b32_e32 v10, 0
	s_and_b32 vcc_lo, exec_lo, s0
	global_store_b32 v[78:79], v6, off
	s_cbranch_vccnz .LBB92_83
; %bb.82:
	v_add_co_u32 v6, vcc_lo, v4, v44
	v_add_co_ci_u32_e32 v7, vcc_lo, v5, v45, vcc_lo
	flat_load_b32 v6, v[6:7]
	s_waitcnt vmcnt(0) lgkmcnt(0)
	v_mul_f32_e32 v10, s20, v6
.LBB92_83:
	s_waitcnt lgkmcnt(0)
	v_dual_max_f32 v0, v0, v0 :: v_dual_max_f32 v1, v1, v1
	v_dual_max_f32 v2, v2, v2 :: v_dual_max_f32 v3, v3, v3
	v_mad_i64_i32 v[6:7], null, v9, s1, 0
	s_delay_alu instid0(VALU_DEP_3) | instskip(NEXT) | instid1(VALU_DEP_3)
	v_dual_min_f32 v11, v47, v0 :: v_dual_min_f32 v46, v49, v1
	v_dual_min_f32 v9, v42, v2 :: v_dual_min_f32 v42, v43, v3
	s_delay_alu instid0(VALU_DEP_2) | instskip(NEXT) | instid1(VALU_DEP_3)
	v_add_f32_e32 v43, v46, v75
	v_add_f32_e32 v11, v11, v77
	v_lshlrev_b64 v[6:7], 2, v[6:7]
	s_delay_alu instid0(VALU_DEP_3) | instskip(NEXT) | instid1(VALU_DEP_3)
	v_add_f32_e32 v42, v42, v43
	v_add_f32_e32 v9, v9, v11
	s_delay_alu instid0(VALU_DEP_3) | instskip(NEXT) | instid1(VALU_DEP_4)
	v_add_co_u32 v6, vcc_lo, s3, v6
	v_add_co_ci_u32_e32 v7, vcc_lo, s6, v7, vcc_lo
	s_delay_alu instid0(VALU_DEP_3) | instskip(NEXT) | instid1(VALU_DEP_1)
	v_add_f32_e32 v9, v9, v42
	v_add_f32_e32 v11, v9, v10
	s_delay_alu instid0(VALU_DEP_4) | instskip(NEXT) | instid1(VALU_DEP_4)
	v_add_co_u32 v9, vcc_lo, v6, v44
	v_add_co_ci_u32_e32 v10, vcc_lo, v7, v45, vcc_lo
	s_and_b32 vcc_lo, exec_lo, s0
	global_store_b32 v[9:10], v11, off
	s_cbranch_vccnz .LBB92_85
; %bb.84:
	v_add_co_u32 v8, vcc_lo, v4, v40
	v_add_co_ci_u32_e32 v9, vcc_lo, v5, v41, vcc_lo
	flat_load_b32 v8, v[8:9]
	s_waitcnt vmcnt(0) lgkmcnt(0)
	v_mul_f32_e32 v8, s20, v8
.LBB92_85:
	v_dual_min_f32 v9, v51, v1 :: v_dual_min_f32 v10, v50, v0
	v_dual_min_f32 v11, v38, v2 :: v_dual_min_f32 v38, v39, v3
	s_delay_alu instid0(VALU_DEP_2) | instskip(NEXT) | instid1(VALU_DEP_1)
	v_dual_add_f32 v9, v9, v72 :: v_dual_add_f32 v10, v10, v73
	v_dual_add_f32 v9, v38, v9 :: v_dual_add_f32 v10, v11, v10
	s_delay_alu instid0(VALU_DEP_1) | instskip(SKIP_2) | instid1(VALU_DEP_3)
	v_add_f32_e32 v9, v10, v9
	v_add_co_u32 v10, vcc_lo, v6, v40
	v_add_co_ci_u32_e32 v11, vcc_lo, v7, v41, vcc_lo
	v_dual_add_f32 v38, v9, v8 :: v_dual_mov_b32 v9, 0
	v_mov_b32_e32 v8, 0
	s_and_b32 vcc_lo, exec_lo, s0
	global_store_b32 v[10:11], v38, off
	s_cbranch_vccnz .LBB92_87
; %bb.86:
	v_add_co_u32 v9, vcc_lo, v4, v36
	v_add_co_ci_u32_e32 v10, vcc_lo, v5, v37, vcc_lo
	flat_load_b32 v9, v[9:10]
	s_waitcnt vmcnt(0) lgkmcnt(0)
	v_mul_f32_e32 v9, s20, v9
.LBB92_87:
	v_dual_min_f32 v10, v53, v1 :: v_dual_min_f32 v11, v52, v0
	v_dual_min_f32 v34, v34, v2 :: v_dual_min_f32 v35, v35, v3
	s_delay_alu instid0(VALU_DEP_2) | instskip(NEXT) | instid1(VALU_DEP_1)
	v_dual_add_f32 v10, v10, v69 :: v_dual_add_f32 v11, v11, v71
	v_dual_add_f32 v10, v35, v10 :: v_dual_add_f32 v11, v34, v11
	s_delay_alu instid0(VALU_DEP_1) | instskip(NEXT) | instid1(VALU_DEP_1)
	v_add_f32_e32 v10, v11, v10
	v_add_f32_e32 v11, v10, v9
	v_add_co_u32 v9, vcc_lo, v6, v36
	v_add_co_ci_u32_e32 v10, vcc_lo, v7, v37, vcc_lo
	s_and_b32 vcc_lo, exec_lo, s0
	global_store_b32 v[9:10], v11, off
	s_cbranch_vccnz .LBB92_89
; %bb.88:
	v_add_co_u32 v8, vcc_lo, v4, v32
	v_add_co_ci_u32_e32 v9, vcc_lo, v5, v33, vcc_lo
	flat_load_b32 v8, v[8:9]
	s_waitcnt vmcnt(0) lgkmcnt(0)
	v_mul_f32_e32 v8, s20, v8
.LBB92_89:
	v_dual_min_f32 v9, v55, v1 :: v_dual_min_f32 v10, v54, v0
	v_dual_min_f32 v11, v30, v2 :: v_dual_min_f32 v30, v31, v3
	s_delay_alu instid0(VALU_DEP_2) | instskip(NEXT) | instid1(VALU_DEP_1)
	v_dual_add_f32 v9, v9, v68 :: v_dual_add_f32 v10, v10, v70
	v_dual_add_f32 v9, v30, v9 :: v_dual_add_f32 v10, v11, v10
	s_delay_alu instid0(VALU_DEP_1) | instskip(SKIP_2) | instid1(VALU_DEP_3)
	v_add_f32_e32 v9, v10, v9
	v_add_co_u32 v10, vcc_lo, v6, v32
	v_add_co_ci_u32_e32 v11, vcc_lo, v7, v33, vcc_lo
	v_dual_add_f32 v30, v9, v8 :: v_dual_mov_b32 v9, 0
	v_mov_b32_e32 v8, 0
	s_and_b32 vcc_lo, exec_lo, s0
	global_store_b32 v[10:11], v30, off
	s_cbranch_vccnz .LBB92_91
; %bb.90:
	v_add_co_u32 v9, vcc_lo, v4, v28
	v_add_co_ci_u32_e32 v10, vcc_lo, v5, v29, vcc_lo
	flat_load_b32 v9, v[9:10]
	s_waitcnt vmcnt(0) lgkmcnt(0)
	v_mul_f32_e32 v9, s20, v9
.LBB92_91:
	v_dual_min_f32 v10, v57, v1 :: v_dual_min_f32 v11, v56, v0
	v_dual_min_f32 v26, v26, v2 :: v_dual_min_f32 v27, v27, v3
	s_delay_alu instid0(VALU_DEP_2) | instskip(NEXT) | instid1(VALU_DEP_1)
	v_dual_add_f32 v10, v10, v66 :: v_dual_add_f32 v11, v11, v67
	v_dual_add_f32 v10, v27, v10 :: v_dual_add_f32 v11, v26, v11
	s_delay_alu instid0(VALU_DEP_1) | instskip(NEXT) | instid1(VALU_DEP_1)
	v_add_f32_e32 v10, v11, v10
	v_add_f32_e32 v11, v10, v9
	v_add_co_u32 v9, vcc_lo, v6, v28
	v_add_co_ci_u32_e32 v10, vcc_lo, v7, v29, vcc_lo
	s_and_b32 vcc_lo, exec_lo, s0
	global_store_b32 v[9:10], v11, off
	s_cbranch_vccnz .LBB92_93
; %bb.92:
	v_add_co_u32 v8, vcc_lo, v4, v24
	v_add_co_ci_u32_e32 v9, vcc_lo, v5, v25, vcc_lo
	flat_load_b32 v8, v[8:9]
	s_waitcnt vmcnt(0) lgkmcnt(0)
	v_mul_f32_e32 v8, s20, v8
.LBB92_93:
	v_dual_min_f32 v9, v59, v1 :: v_dual_min_f32 v10, v58, v0
	v_dual_min_f32 v11, v22, v2 :: v_dual_min_f32 v22, v23, v3
	;; [unrolled: 1-line block ×3, first 2 shown]
	s_delay_alu instid0(VALU_DEP_3) | instskip(NEXT) | instid1(VALU_DEP_2)
	v_dual_add_f32 v9, v9, v62 :: v_dual_add_f32 v10, v10, v65
	v_dual_min_f32 v18, v18, v2 :: v_dual_add_f32 v23, v23, v64
	s_delay_alu instid0(VALU_DEP_2) | instskip(SKIP_2) | instid1(VALU_DEP_2)
	v_dual_add_f32 v9, v22, v9 :: v_dual_add_f32 v10, v11, v10
	v_min_f32_e32 v11, v19, v3
	v_add_f32_e32 v19, v26, v63
	v_dual_add_f32 v22, v10, v9 :: v_dual_add_f32 v11, v11, v23
	s_delay_alu instid0(VALU_DEP_2) | instskip(SKIP_2) | instid1(VALU_DEP_4)
	v_add_f32_e32 v18, v18, v19
	v_add_co_u32 v9, vcc_lo, v6, v24
	v_add_co_ci_u32_e32 v10, vcc_lo, v7, v25, vcc_lo
	v_add_f32_e32 v19, v22, v8
	s_delay_alu instid0(VALU_DEP_4)
	v_add_f32_e32 v8, v18, v11
	s_mov_b32 vcc_lo, s2
	global_store_b32 v[9:10], v19, off
	s_cbranch_vccz .LBB92_96
; %bb.94:
	v_add_co_u32 v9, vcc_lo, v6, v20
	v_add_f32_e32 v11, 0, v8
	v_add_co_ci_u32_e32 v10, vcc_lo, v7, v21, vcc_lo
	s_mov_b32 s0, 0
	global_store_b32 v[9:10], v11, off
	s_cbranch_execz .LBB92_97
; %bb.95:
	v_mov_b32_e32 v4, s0
	s_branch .LBB92_98
.LBB92_96:
	s_mov_b32 s0, -1
.LBB92_97:
	v_add_co_u32 v9, vcc_lo, v4, v20
	v_add_co_ci_u32_e32 v10, vcc_lo, v5, v21, vcc_lo
	flat_load_b32 v11, v[9:10]
	v_add_co_u32 v9, vcc_lo, v6, v20
	v_add_co_ci_u32_e32 v10, vcc_lo, v7, v21, vcc_lo
	v_add_co_u32 v4, vcc_lo, v4, v16
	v_add_co_ci_u32_e32 v5, vcc_lo, v5, v17, vcc_lo
	s_waitcnt vmcnt(0) lgkmcnt(0)
	v_fmac_f32_e32 v8, s20, v11
	global_store_b32 v[9:10], v8, off
	flat_load_b32 v4, v[4:5]
	s_waitcnt vmcnt(0) lgkmcnt(0)
	v_mul_f32_e32 v4, s20, v4
.LBB92_98:
	v_dual_min_f32 v1, v13, v1 :: v_dual_min_f32 v0, v12, v0
	v_dual_min_f32 v2, v14, v2 :: v_dual_min_f32 v3, v15, v3
	s_delay_alu instid0(VALU_DEP_2) | instskip(NEXT) | instid1(VALU_DEP_1)
	v_dual_add_f32 v1, v1, v60 :: v_dual_add_f32 v0, v0, v61
	v_dual_add_f32 v1, v3, v1 :: v_dual_add_f32 v0, v2, v0
	s_delay_alu instid0(VALU_DEP_1) | instskip(NEXT) | instid1(VALU_DEP_1)
	v_add_f32_e32 v0, v0, v1
	v_add_f32_e32 v2, v0, v4
	v_add_co_u32 v0, vcc_lo, v6, v16
	v_add_co_ci_u32_e32 v1, vcc_lo, v7, v17, vcc_lo
	global_store_b32 v[0:1], v2, off
	s_nop 0
	s_sendmsg sendmsg(MSG_DEALLOC_VGPRS)
	s_endpgm
	.section	.rodata,"a",@progbits
	.p2align	6, 0x0
	.amdhsa_kernel _ZN12_GLOBAL__N_120geam_min_plus_kernelIf15HIP_vector_typeIfLj2EES2_Li8ELi32ELi64ELi128ELi4ELi64ELi4ELi64ELi4ELc78ELc84ELb0ELb0ELb0EfKffEEviiiT16_PT17_ilS6_ilS4_S6_ilPT18_ili26rocblas_geam_ex_operation_
		.amdhsa_group_segment_fixed_size 6144
		.amdhsa_private_segment_fixed_size 0
		.amdhsa_kernarg_size 128
		.amdhsa_user_sgpr_count 14
		.amdhsa_user_sgpr_dispatch_ptr 0
		.amdhsa_user_sgpr_queue_ptr 0
		.amdhsa_user_sgpr_kernarg_segment_ptr 1
		.amdhsa_user_sgpr_dispatch_id 0
		.amdhsa_user_sgpr_private_segment_size 0
		.amdhsa_wavefront_size32 1
		.amdhsa_uses_dynamic_stack 0
		.amdhsa_enable_private_segment 0
		.amdhsa_system_sgpr_workgroup_id_x 1
		.amdhsa_system_sgpr_workgroup_id_y 0
		.amdhsa_system_sgpr_workgroup_id_z 1
		.amdhsa_system_sgpr_workgroup_info 0
		.amdhsa_system_vgpr_workitem_id 1
		.amdhsa_next_free_vgpr 229
		.amdhsa_next_free_sgpr 25
		.amdhsa_reserve_vcc 1
		.amdhsa_float_round_mode_32 0
		.amdhsa_float_round_mode_16_64 0
		.amdhsa_float_denorm_mode_32 3
		.amdhsa_float_denorm_mode_16_64 3
		.amdhsa_dx10_clamp 1
		.amdhsa_ieee_mode 1
		.amdhsa_fp16_overflow 0
		.amdhsa_workgroup_processor_mode 1
		.amdhsa_memory_ordered 1
		.amdhsa_forward_progress 0
		.amdhsa_shared_vgpr_count 0
		.amdhsa_exception_fp_ieee_invalid_op 0
		.amdhsa_exception_fp_denorm_src 0
		.amdhsa_exception_fp_ieee_div_zero 0
		.amdhsa_exception_fp_ieee_overflow 0
		.amdhsa_exception_fp_ieee_underflow 0
		.amdhsa_exception_fp_ieee_inexact 0
		.amdhsa_exception_int_div_zero 0
	.end_amdhsa_kernel
	.section	.text._ZN12_GLOBAL__N_120geam_min_plus_kernelIf15HIP_vector_typeIfLj2EES2_Li8ELi32ELi64ELi128ELi4ELi64ELi4ELi64ELi4ELc78ELc84ELb0ELb0ELb0EfKffEEviiiT16_PT17_ilS6_ilS4_S6_ilPT18_ili26rocblas_geam_ex_operation_,"axG",@progbits,_ZN12_GLOBAL__N_120geam_min_plus_kernelIf15HIP_vector_typeIfLj2EES2_Li8ELi32ELi64ELi128ELi4ELi64ELi4ELi64ELi4ELc78ELc84ELb0ELb0ELb0EfKffEEviiiT16_PT17_ilS6_ilS4_S6_ilPT18_ili26rocblas_geam_ex_operation_,comdat
.Lfunc_end92:
	.size	_ZN12_GLOBAL__N_120geam_min_plus_kernelIf15HIP_vector_typeIfLj2EES2_Li8ELi32ELi64ELi128ELi4ELi64ELi4ELi64ELi4ELc78ELc84ELb0ELb0ELb0EfKffEEviiiT16_PT17_ilS6_ilS4_S6_ilPT18_ili26rocblas_geam_ex_operation_, .Lfunc_end92-_ZN12_GLOBAL__N_120geam_min_plus_kernelIf15HIP_vector_typeIfLj2EES2_Li8ELi32ELi64ELi128ELi4ELi64ELi4ELi64ELi4ELc78ELc84ELb0ELb0ELb0EfKffEEviiiT16_PT17_ilS6_ilS4_S6_ilPT18_ili26rocblas_geam_ex_operation_
                                        ; -- End function
	.section	.AMDGPU.csdata,"",@progbits
; Kernel info:
; codeLenInByte = 10264
; NumSgprs: 27
; NumVgprs: 229
; ScratchSize: 0
; MemoryBound: 0
; FloatMode: 240
; IeeeMode: 1
; LDSByteSize: 6144 bytes/workgroup (compile time only)
; SGPRBlocks: 3
; VGPRBlocks: 28
; NumSGPRsForWavesPerEU: 27
; NumVGPRsForWavesPerEU: 229
; Occupancy: 6
; WaveLimiterHint : 1
; COMPUTE_PGM_RSRC2:SCRATCH_EN: 0
; COMPUTE_PGM_RSRC2:USER_SGPR: 14
; COMPUTE_PGM_RSRC2:TRAP_HANDLER: 0
; COMPUTE_PGM_RSRC2:TGID_X_EN: 1
; COMPUTE_PGM_RSRC2:TGID_Y_EN: 0
; COMPUTE_PGM_RSRC2:TGID_Z_EN: 1
; COMPUTE_PGM_RSRC2:TIDIG_COMP_CNT: 1
	.section	.text._ZN12_GLOBAL__N_120geam_min_plus_kernelIf15HIP_vector_typeIfLj2EES2_Li8ELi32ELi64ELi128ELi4ELi64ELi4ELi64ELi4ELc78ELc84ELb0ELb1ELb0EPKfS3_fEEviiiT16_PT17_ilS7_ilS5_S7_ilPT18_ili26rocblas_geam_ex_operation_,"axG",@progbits,_ZN12_GLOBAL__N_120geam_min_plus_kernelIf15HIP_vector_typeIfLj2EES2_Li8ELi32ELi64ELi128ELi4ELi64ELi4ELi64ELi4ELc78ELc84ELb0ELb1ELb0EPKfS3_fEEviiiT16_PT17_ilS7_ilS5_S7_ilPT18_ili26rocblas_geam_ex_operation_,comdat
	.globl	_ZN12_GLOBAL__N_120geam_min_plus_kernelIf15HIP_vector_typeIfLj2EES2_Li8ELi32ELi64ELi128ELi4ELi64ELi4ELi64ELi4ELc78ELc84ELb0ELb1ELb0EPKfS3_fEEviiiT16_PT17_ilS7_ilS5_S7_ilPT18_ili26rocblas_geam_ex_operation_ ; -- Begin function _ZN12_GLOBAL__N_120geam_min_plus_kernelIf15HIP_vector_typeIfLj2EES2_Li8ELi32ELi64ELi128ELi4ELi64ELi4ELi64ELi4ELc78ELc84ELb0ELb1ELb0EPKfS3_fEEviiiT16_PT17_ilS7_ilS5_S7_ilPT18_ili26rocblas_geam_ex_operation_
	.p2align	8
	.type	_ZN12_GLOBAL__N_120geam_min_plus_kernelIf15HIP_vector_typeIfLj2EES2_Li8ELi32ELi64ELi128ELi4ELi64ELi4ELi64ELi4ELc78ELc84ELb0ELb1ELb0EPKfS3_fEEviiiT16_PT17_ilS7_ilS5_S7_ilPT18_ili26rocblas_geam_ex_operation_,@function
_ZN12_GLOBAL__N_120geam_min_plus_kernelIf15HIP_vector_typeIfLj2EES2_Li8ELi32ELi64ELi128ELi4ELi64ELi4ELi64ELi4ELc78ELc84ELb0ELb1ELb0EPKfS3_fEEviiiT16_PT17_ilS7_ilS5_S7_ilPT18_ili26rocblas_geam_ex_operation_: ; @_ZN12_GLOBAL__N_120geam_min_plus_kernelIf15HIP_vector_typeIfLj2EES2_Li8ELi32ELi64ELi128ELi4ELi64ELi4ELi64ELi4ELc78ELc84ELb0ELb1ELb0EPKfS3_fEEviiiT16_PT17_ilS7_ilS5_S7_ilPT18_ili26rocblas_geam_ex_operation_
; %bb.0:
	s_clause 0x1
	s_load_b128 s[16:19], s[0:1], 0x10
	s_load_b128 s[4:7], s[0:1], 0x28
	s_mov_b32 s12, s15
	s_mov_b32 s13, 0
	s_mov_b64 s[22:23], 0
	s_lshl_b64 s[20:21], s[12:13], 2
	s_waitcnt lgkmcnt(0)
	s_add_u32 s2, s16, s20
	s_addc_u32 s3, s17, s21
	s_load_b32 s24, s[2:3], 0x0
	s_clause 0x1
	s_load_b128 s[8:11], s[0:1], 0x40
	s_load_b64 s[2:3], s[0:1], 0x50
	s_waitcnt lgkmcnt(0)
	v_cmp_eq_f32_e64 s13, s24, 0
	v_cmp_neq_f32_e64 s25, s24, 0
	s_add_u32 s10, s10, s20
	s_addc_u32 s11, s11, s21
	s_mov_b64 s[20:21], 0
	s_and_b32 vcc_lo, exec_lo, s13
	s_cbranch_vccnz .LBB93_2
; %bb.1:
	s_mul_i32 s5, s12, s5
	s_mul_hi_u32 s13, s12, s4
	s_mul_i32 s4, s12, s4
	s_add_i32 s5, s13, s5
	s_delay_alu instid0(SALU_CYCLE_1) | instskip(NEXT) | instid1(SALU_CYCLE_1)
	s_lshl_b64 s[4:5], s[4:5], 2
	s_add_u32 s22, s18, s4
	s_addc_u32 s23, s19, s5
.LBB93_2:
	s_load_b32 s13, s[10:11], 0x0
	s_and_not1_b32 vcc_lo, exec_lo, s25
	s_cbranch_vccnz .LBB93_4
; %bb.3:
	s_mul_i32 s4, s12, s9
	s_mul_hi_u32 s5, s12, s8
	s_delay_alu instid0(SALU_CYCLE_1) | instskip(SKIP_1) | instid1(SALU_CYCLE_1)
	s_add_i32 s5, s5, s4
	s_mul_i32 s4, s12, s8
	s_lshl_b64 s[4:5], s[4:5], 2
	s_delay_alu instid0(SALU_CYCLE_1)
	s_add_u32 s20, s6, s4
	s_addc_u32 s21, s7, s5
.LBB93_4:
	s_load_b128 s[4:7], s[0:1], 0x60
	s_waitcnt lgkmcnt(0)
	v_cmp_eq_f32_e64 s8, s13, 0
	v_cmp_neq_f32_e64 s15, s13, 0
	s_delay_alu instid0(VALU_DEP_2)
	s_and_b32 vcc_lo, exec_lo, s8
	s_cbranch_vccnz .LBB93_6
; %bb.5:
	s_mul_i32 s5, s12, s5
	s_mul_hi_u32 s8, s12, s4
	s_mul_i32 s4, s12, s4
	s_add_i32 s5, s8, s5
	s_delay_alu instid0(SALU_CYCLE_1) | instskip(NEXT) | instid1(SALU_CYCLE_1)
	s_lshl_b64 s[4:5], s[4:5], 2
	s_add_u32 s10, s2, s4
	s_addc_u32 s11, s3, s5
	s_branch .LBB93_7
.LBB93_6:
	s_mov_b64 s[10:11], 0
.LBB93_7:
	s_clause 0x1
	s_load_b128 s[16:19], s[0:1], 0x0
	s_load_b32 s8, s[0:1], 0x20
	v_dual_mov_b32 v9, 0 :: v_dual_and_b32 v54, 0x3ff, v0
	v_bfe_u32 v55, v0, 10, 10
	v_mov_b32_e32 v8, 0
	s_waitcnt lgkmcnt(0)
	s_add_i32 s2, s16, -1
	s_ashr_i32 s9, s8, 31
	s_ashr_i32 s3, s2, 31
	s_delay_alu instid0(SALU_CYCLE_1) | instskip(NEXT) | instid1(SALU_CYCLE_1)
	s_lshr_b32 s3, s3, 26
	s_add_i32 s2, s2, s3
	s_delay_alu instid0(SALU_CYCLE_1) | instskip(NEXT) | instid1(SALU_CYCLE_1)
	s_ashr_i32 s2, s2, 6
	s_add_i32 s4, s2, 1
	s_not_b32 s2, s2
	v_cvt_f32_u32_e32 v1, s4
	s_delay_alu instid0(VALU_DEP_1) | instskip(SKIP_2) | instid1(VALU_DEP_1)
	v_rcp_iflag_f32_e32 v1, v1
	s_waitcnt_depctr 0xfff
	v_mul_f32_e32 v1, 0x4f7ffffe, v1
	v_cvt_u32_f32_e32 v1, v1
	s_delay_alu instid0(VALU_DEP_1) | instskip(SKIP_1) | instid1(VALU_DEP_2)
	v_readfirstlane_b32 s3, v1
	v_lshl_add_u32 v1, v55, 3, v54
	s_mul_i32 s2, s2, s3
	s_delay_alu instid0(VALU_DEP_1) | instskip(SKIP_3) | instid1(SALU_CYCLE_1)
	v_and_b32_e32 v7, 63, v1
	s_mul_hi_u32 s2, s3, s2
	v_lshrrev_b32_e32 v56, 6, v1
	s_add_i32 s3, s3, s2
	s_mul_hi_u32 s2, s14, s3
	s_delay_alu instid0(SALU_CYCLE_1) | instskip(SKIP_2) | instid1(SALU_CYCLE_1)
	s_mul_i32 s3, s2, s4
	s_add_i32 s5, s2, 1
	s_sub_i32 s3, s14, s3
	s_sub_i32 s19, s3, s4
	s_cmp_ge_u32 s3, s4
	s_cselect_b32 s2, s5, s2
	s_cselect_b32 s3, s19, s3
	s_add_i32 s5, s2, 1
	s_cmp_ge_u32 s3, s4
	s_cselect_b32 s3, s5, s2
	s_delay_alu instid0(SALU_CYCLE_1) | instskip(NEXT) | instid1(SALU_CYCLE_1)
	s_mul_i32 s2, s3, s4
	s_sub_i32 s2, s14, s2
	s_delay_alu instid0(SALU_CYCLE_1) | instskip(SKIP_2) | instid1(VALU_DEP_1)
	s_lshl_b32 s14, s2, 6
	v_cmp_gt_i32_e64 s2, s18, v56
	v_or_b32_e32 v0, s14, v7
	v_cmp_gt_i32_e32 vcc_lo, s16, v0
	v_ashrrev_i32_e32 v1, 31, v0
	s_delay_alu instid0(VALU_DEP_4) | instskip(NEXT) | instid1(SALU_CYCLE_1)
	s_and_b32 s2, s2, vcc_lo
	s_and_b32 s2, s25, s2
	s_delay_alu instid0(SALU_CYCLE_1)
	s_and_saveexec_b32 s4, s2
	s_cbranch_execz .LBB93_9
; %bb.8:
	v_mad_i64_i32 v[2:3], null, s8, v56, 0
	v_lshlrev_b64 v[4:5], 2, v[0:1]
	s_delay_alu instid0(VALU_DEP_2) | instskip(NEXT) | instid1(VALU_DEP_1)
	v_lshlrev_b64 v[2:3], 2, v[2:3]
	v_add_co_u32 v2, s2, s22, v2
	s_delay_alu instid0(VALU_DEP_1) | instskip(NEXT) | instid1(VALU_DEP_2)
	v_add_co_ci_u32_e64 v3, s2, s23, v3, s2
	v_add_co_u32 v2, s2, v2, v4
	s_delay_alu instid0(VALU_DEP_1)
	v_add_co_ci_u32_e64 v3, s2, v3, v5, s2
	flat_load_b32 v2, v[2:3]
	s_waitcnt vmcnt(0) lgkmcnt(0)
	v_mul_f32_e32 v9, s24, v2
.LBB93_9:
	s_or_b32 exec_lo, exec_lo, s4
	s_load_b32 s26, s[0:1], 0x38
	s_add_i32 s27, s18, -1
	s_lshl_b32 s19, s3, 7
	v_min_i32_e32 v2, s27, v56
	v_cmp_le_i32_e64 s4, s18, v56
	s_xor_b32 s28, s25, -1
	s_waitcnt lgkmcnt(0)
	s_delay_alu instid0(VALU_DEP_2) | instskip(SKIP_1) | instid1(VALU_DEP_1)
	v_mad_i64_i32 v[3:4], null, s26, v2, 0
	v_or_b32_e32 v2, s19, v7
	v_cmp_le_i32_e64 s2, s17, v2
	s_delay_alu instid0(VALU_DEP_3) | instskip(NEXT) | instid1(VALU_DEP_2)
	v_lshlrev_b64 v[3:4], 2, v[3:4]
	s_or_b32 s5, s4, s2
	s_delay_alu instid0(VALU_DEP_1) | instskip(NEXT) | instid1(VALU_DEP_1)
	v_add_co_u32 v5, s3, s20, v3
	v_add_co_ci_u32_e64 v6, s3, s21, v4, s3
	v_ashrrev_i32_e32 v3, 31, v2
	s_or_b32 s3, s5, s28
	s_delay_alu instid0(SALU_CYCLE_1) | instskip(NEXT) | instid1(SALU_CYCLE_1)
	s_xor_b32 s3, s3, -1
	s_and_saveexec_b32 s5, s3
	s_cbranch_execz .LBB93_11
; %bb.10:
	v_lshlrev_b64 v[10:11], 2, v[2:3]
	s_delay_alu instid0(VALU_DEP_1) | instskip(NEXT) | instid1(VALU_DEP_1)
	v_add_co_u32 v10, s3, v5, v10
	v_add_co_ci_u32_e64 v11, s3, v6, v11, s3
	flat_load_b32 v4, v[10:11]
	s_waitcnt vmcnt(0) lgkmcnt(0)
	v_mul_f32_e32 v8, s24, v4
.LBB93_11:
	s_or_b32 exec_lo, exec_lo, s5
	v_or_b32_e32 v4, 64, v2
	v_mov_b32_e32 v10, 0
	s_delay_alu instid0(VALU_DEP_2) | instskip(SKIP_1) | instid1(VALU_DEP_2)
	v_cmp_le_i32_e64 s3, s17, v4
	v_mov_b32_e32 v4, 0
	s_or_b32 s4, s4, s3
	s_delay_alu instid0(SALU_CYCLE_1) | instskip(NEXT) | instid1(SALU_CYCLE_1)
	s_or_b32 s4, s4, s28
	s_xor_b32 s4, s4, -1
	s_delay_alu instid0(SALU_CYCLE_1)
	s_and_saveexec_b32 s5, s4
	s_cbranch_execz .LBB93_13
; %bb.12:
	v_lshlrev_b64 v[10:11], 2, v[2:3]
	s_delay_alu instid0(VALU_DEP_1) | instskip(NEXT) | instid1(VALU_DEP_1)
	v_add_co_u32 v5, s4, v5, v10
	v_add_co_ci_u32_e64 v6, s4, v6, v11, s4
	flat_load_b32 v5, v[5:6] offset:256
	s_waitcnt vmcnt(0) lgkmcnt(0)
	v_mul_f32_e32 v10, s24, v5
.LBB93_13:
	s_or_b32 exec_lo, exec_lo, s5
	v_add_nc_u32_e32 v5, 4, v56
	s_delay_alu instid0(VALU_DEP_1) | instskip(NEXT) | instid1(VALU_DEP_1)
	v_cmp_gt_i32_e64 s4, s18, v5
	s_and_b32 s4, vcc_lo, s4
	s_delay_alu instid0(SALU_CYCLE_1) | instskip(NEXT) | instid1(SALU_CYCLE_1)
	s_and_b32 s4, s25, s4
	s_and_saveexec_b32 s5, s4
	s_cbranch_execz .LBB93_15
; %bb.14:
	v_mad_u64_u32 v[11:12], null, s8, v5, 0
	s_delay_alu instid0(VALU_DEP_1) | instskip(NEXT) | instid1(VALU_DEP_1)
	v_mov_b32_e32 v4, v12
	v_mad_u64_u32 v[12:13], null, s9, v5, v[4:5]
	v_lshlrev_b64 v[13:14], 2, v[0:1]
	s_delay_alu instid0(VALU_DEP_2) | instskip(NEXT) | instid1(VALU_DEP_1)
	v_lshlrev_b64 v[11:12], 2, v[11:12]
	v_add_co_u32 v4, s4, s22, v11
	s_delay_alu instid0(VALU_DEP_1) | instskip(NEXT) | instid1(VALU_DEP_2)
	v_add_co_ci_u32_e64 v6, s4, s23, v12, s4
	v_add_co_u32 v11, s4, v4, v13
	s_delay_alu instid0(VALU_DEP_1)
	v_add_co_ci_u32_e64 v12, s4, v6, v14, s4
	flat_load_b32 v4, v[11:12]
	s_waitcnt vmcnt(0) lgkmcnt(0)
	v_mul_f32_e32 v4, s24, v4
.LBB93_15:
	s_or_b32 exec_lo, exec_lo, s5
	v_min_i32_e32 v6, s27, v5
	v_cmp_le_i32_e64 s4, s18, v5
	v_mov_b32_e32 v5, 0
	s_delay_alu instid0(VALU_DEP_3) | instskip(SKIP_1) | instid1(VALU_DEP_4)
	v_mad_i64_i32 v[11:12], null, s26, v6, 0
	v_mov_b32_e32 v6, 0
	s_or_b32 s29, s2, s4
	s_delay_alu instid0(VALU_DEP_2) | instskip(NEXT) | instid1(VALU_DEP_1)
	v_lshlrev_b64 v[11:12], 2, v[11:12]
	v_add_co_u32 v11, s5, s20, v11
	s_delay_alu instid0(VALU_DEP_1) | instskip(SKIP_1) | instid1(SALU_CYCLE_1)
	v_add_co_ci_u32_e64 v12, s5, s21, v12, s5
	s_or_b32 s5, s29, s28
	s_xor_b32 s5, s5, -1
	s_delay_alu instid0(SALU_CYCLE_1)
	s_and_saveexec_b32 s29, s5
	s_cbranch_execz .LBB93_17
; %bb.16:
	v_lshlrev_b64 v[13:14], 2, v[2:3]
	s_delay_alu instid0(VALU_DEP_1) | instskip(NEXT) | instid1(VALU_DEP_1)
	v_add_co_u32 v13, s5, v11, v13
	v_add_co_ci_u32_e64 v14, s5, v12, v14, s5
	flat_load_b32 v6, v[13:14]
	s_waitcnt vmcnt(0) lgkmcnt(0)
	v_mul_f32_e32 v6, s24, v6
.LBB93_17:
	s_or_b32 exec_lo, exec_lo, s29
	s_or_b32 s4, s3, s4
	s_delay_alu instid0(SALU_CYCLE_1) | instskip(NEXT) | instid1(SALU_CYCLE_1)
	s_or_b32 s4, s4, s28
	s_xor_b32 s4, s4, -1
	s_delay_alu instid0(SALU_CYCLE_1)
	s_and_saveexec_b32 s5, s4
	s_cbranch_execz .LBB93_19
; %bb.18:
	v_lshlrev_b64 v[13:14], 2, v[2:3]
	s_delay_alu instid0(VALU_DEP_1) | instskip(NEXT) | instid1(VALU_DEP_1)
	v_add_co_u32 v11, s4, v11, v13
	v_add_co_ci_u32_e64 v12, s4, v12, v14, s4
	flat_load_b32 v5, v[11:12] offset:256
	s_waitcnt vmcnt(0) lgkmcnt(0)
	v_mul_f32_e32 v5, s24, v5
.LBB93_19:
	s_or_b32 exec_lo, exec_lo, s5
	v_lshlrev_b32_e32 v11, 2, v56
	v_lshlrev_b32_e32 v58, 4, v55
	;; [unrolled: 1-line block ×3, first 2 shown]
	s_mov_b32 s29, 0
	s_cmp_lt_i32 s18, 9
	v_lshl_add_u32 v59, v7, 4, v11
	ds_store_b32 v59, v9 offset:4096
	ds_store_2addr_stride64_b32 v59, v8, v10 offset1:4
	s_waitcnt lgkmcnt(0)
	s_barrier
	buffer_gl0_inv
	ds_load_b128 v[7:10], v58
	ds_load_b128 v[11:14], v57 offset:4096
	ds_load_b128 v[15:18], v57 offset:4224
	;; [unrolled: 1-line block ×11, first 2 shown]
	ds_store_b32 v59, v4 offset:5120
	ds_store_2addr_stride64_b32 v59, v6, v5 offset0:8 offset1:12
	s_waitcnt lgkmcnt(0)
	s_barrier
	buffer_gl0_inv
	v_dual_max_f32 v8, v8, v8 :: v_dual_max_f32 v7, v7, v7
	v_dual_max_f32 v12, v12, v12 :: v_dual_max_f32 v19, v19, v19
	;; [unrolled: 1-line block ×4, first 2 shown]
	v_max_f32_e32 v35, v35, v35
	v_dual_max_f32 v11, v11, v11 :: v_dual_max_f32 v16, v16, v16
	v_dual_max_f32 v15, v15, v15 :: v_dual_max_f32 v20, v20, v20
	v_dual_max_f32 v23, v23, v23 :: v_dual_min_f32 v52, v12, v8
	v_dual_min_f32 v65, v19, v7 :: v_dual_max_f32 v28, v28, v28
	v_dual_min_f32 v68, v24, v8 :: v_dual_min_f32 v69, v27, v7
	v_dual_max_f32 v36, v36, v36 :: v_dual_min_f32 v71, v31, v7
	v_dual_max_f32 v40, v40, v40 :: v_dual_max_f32 v39, v39, v39
	v_min_f32_e32 v72, v32, v8
	s_delay_alu instid0(VALU_DEP_3) | instskip(SKIP_4) | instid1(VALU_DEP_4)
	v_dual_min_f32 v74, v36, v8 :: v_dual_min_f32 v73, v35, v7
	v_dual_max_f32 v44, v44, v44 :: v_dual_max_f32 v43, v43, v43
	v_max_f32_e32 v47, v47, v47
	v_dual_min_f32 v51, v11, v7 :: v_dual_min_f32 v64, v16, v8
	v_dual_max_f32 v9, v9, v9 :: v_dual_max_f32 v10, v10, v10
	v_dual_min_f32 v76, v12, v44 :: v_dual_min_f32 v75, v11, v43
	v_dual_max_f32 v14, v14, v14 :: v_dual_max_f32 v13, v13, v13
	;; [unrolled: 2-line block ×6, first 2 shown]
	v_dual_min_f32 v86, v32, v44 :: v_dual_min_f32 v85, v31, v43
	v_dual_max_f32 v34, v34, v34 :: v_dual_min_f32 v87, v35, v43
	v_dual_min_f32 v88, v36, v44 :: v_dual_min_f32 v43, v39, v43
	v_max_f32_e32 v48, v48, v48
	v_dual_min_f32 v44, v40, v44 :: v_dual_min_f32 v91, v19, v47
	v_dual_max_f32 v60, v60, v60 :: v_dual_min_f32 v53, v15, v7
	v_dual_min_f32 v66, v20, v8 :: v_dual_min_f32 v67, v23, v7
	v_dual_min_f32 v70, v28, v8 :: v_dual_min_f32 v7, v39, v7
	;; [unrolled: 1-line block ×3, first 2 shown]
	v_dual_max_f32 v46, v46, v46 :: v_dual_max_f32 v41, v41, v41
	v_min_f32_e32 v90, v15, v47
	v_dual_min_f32 v93, v23, v47 :: v_dual_max_f32 v100, v62, v62
	v_dual_max_f32 v49, v49, v49 :: v_dual_min_f32 v126, v27, v47
	v_dual_max_f32 v61, v61, v61 :: v_dual_min_f32 v128, v35, v47
	v_dual_min_f32 v127, v31, v47 :: v_dual_min_f32 v94, v16, v48
	v_dual_min_f32 v47, v39, v47 :: v_dual_min_f32 v130, v28, v48
	v_min_f32_e32 v11, v11, v60
	s_delay_alu instid0(VALU_DEP_4)
	v_dual_min_f32 v15, v15, v60 :: v_dual_min_f32 v16, v16, v61
	v_min_f32_e32 v19, v19, v60
	v_min_f32_e32 v23, v23, v60
	v_dual_min_f32 v27, v27, v60 :: v_dual_min_f32 v28, v28, v61
	v_min_f32_e32 v31, v31, v60
	v_dual_min_f32 v35, v35, v60 :: v_dual_min_f32 v62, v13, v9
	v_min_f32_e32 v39, v39, v60
	v_dual_min_f32 v132, v36, v48 :: v_dual_add_f32 v51, 0, v51
	v_add_f32_e32 v52, 0, v52
	v_dual_min_f32 v60, v14, v10 :: v_dual_max_f32 v117, v63, v63
	v_min_f32_e32 v92, v12, v48
	s_delay_alu instid0(VALU_DEP_4)
	v_dual_min_f32 v95, v20, v48 :: v_dual_add_f32 v124, v51, v62
	v_min_f32_e32 v129, v24, v48
	v_min_f32_e32 v131, v32, v48
	v_dual_min_f32 v48, v40, v48 :: v_dual_add_f32 v53, 0, v53
	v_min_f32_e32 v12, v12, v61
	v_min_f32_e32 v20, v20, v61
	v_min_f32_e32 v24, v24, v61
	v_min_f32_e32 v32, v32, v61
	v_dual_min_f32 v36, v36, v61 :: v_dual_add_f32 v51, 0, v64
	v_dual_min_f32 v40, v40, v61 :: v_dual_add_f32 v61, 0, v66
	v_dual_add_f32 v125, v52, v60 :: v_dual_min_f32 v62, v22, v10
	v_dual_min_f32 v52, v18, v10 :: v_dual_max_f32 v33, v33, v33
	v_max_f32_e32 v38, v38, v38
	v_min_f32_e32 v60, v17, v9
	v_dual_add_f32 v63, 0, v65 :: v_dual_min_f32 v66, v26, v10
	v_dual_min_f32 v64, v21, v9 :: v_dual_add_f32 v65, 0, v68
	v_dual_add_f32 v122, v51, v52 :: v_dual_add_f32 v51, 0, v67
	v_min_f32_e32 v52, v25, v9
	v_dual_max_f32 v37, v37, v37 :: v_dual_max_f32 v42, v42, v42
	v_dual_add_f32 v123, v53, v60 :: v_dual_min_f32 v60, v30, v10
	v_dual_add_f32 v120, v61, v62 :: v_dual_add_f32 v121, v63, v64
	v_dual_add_f32 v118, v65, v66 :: v_dual_add_f32 v61, 0, v69
	v_dual_add_f32 v53, 0, v70 :: v_dual_min_f32 v62, v29, v9
	v_add_f32_e32 v65, 0, v71
	v_dual_add_f32 v63, 0, v72 :: v_dual_min_f32 v64, v34, v10
	v_dual_add_f32 v119, v51, v52 :: v_dual_min_f32 v66, v33, v9
	v_dual_max_f32 v45, v45, v45 :: v_dual_max_f32 v50, v50, v50
	v_dual_add_f32 v60, v53, v60 :: v_dual_add_f32 v51, 0, v74
	v_dual_add_f32 v61, v61, v62 :: v_dual_add_f32 v8, 0, v8
	s_delay_alu instid0(VALU_DEP_4) | instskip(SKIP_4) | instid1(VALU_DEP_4)
	v_dual_add_f32 v63, v63, v64 :: v_dual_add_f32 v62, v65, v66
	v_dual_add_f32 v53, 0, v73 :: v_dual_min_f32 v52, v38, v10
	v_dual_min_f32 v65, v37, v9 :: v_dual_min_f32 v10, v42, v10
	v_add_f32_e32 v7, 0, v7
	v_dual_min_f32 v9, v41, v9 :: v_dual_add_f32 v66, 0, v76
	v_dual_min_f32 v67, v14, v46 :: v_dual_add_f32 v64, v51, v52
	s_delay_alu instid0(VALU_DEP_4) | instskip(NEXT) | instid1(VALU_DEP_3)
	v_add_f32_e32 v65, v53, v65
	v_dual_add_f32 v115, v8, v10 :: v_dual_add_f32 v116, v7, v9
	s_delay_alu instid0(VALU_DEP_3) | instskip(SKIP_4) | instid1(VALU_DEP_4)
	v_dual_add_f32 v113, v66, v67 :: v_dual_min_f32 v8, v13, v45
	v_dual_add_f32 v7, 0, v75 :: v_dual_min_f32 v52, v17, v45
	;; [unrolled: 1-line block ×3, first 2 shown]
	v_dual_min_f32 v10, v18, v46 :: v_dual_add_f32 v51, 0, v77
	v_dual_min_f32 v66, v22, v46 :: v_dual_add_f32 v53, 0, v80
	v_dual_add_f32 v67, 0, v79 :: v_dual_add_f32 v114, v7, v8
	s_delay_alu instid0(VALU_DEP_3) | instskip(SKIP_1) | instid1(VALU_DEP_3)
	v_dual_add_f32 v111, v9, v10 :: v_dual_add_f32 v112, v51, v52
	v_dual_add_f32 v7, 0, v82 :: v_dual_min_f32 v10, v25, v45
	v_dual_add_f32 v109, v67, v68 :: v_dual_min_f32 v8, v26, v46
	v_dual_add_f32 v110, v53, v66 :: v_dual_add_f32 v9, 0, v81
	v_dual_min_f32 v52, v30, v46 :: v_dual_add_f32 v51, 0, v84
	v_dual_min_f32 v66, v29, v45 :: v_dual_add_f32 v53, 0, v83
	v_min_f32_e32 v68, v34, v46
	v_add_f32_e32 v67, 0, v86
	v_dual_add_f32 v107, v7, v8 :: v_dual_add_f32 v108, v9, v10
	s_delay_alu instid0(VALU_DEP_4) | instskip(SKIP_1) | instid1(VALU_DEP_4)
	v_dual_add_f32 v105, v51, v52 :: v_dual_add_f32 v106, v53, v66
	v_dual_add_f32 v7, 0, v85 :: v_dual_add_f32 v44, 0, v44
	v_dual_min_f32 v8, v33, v45 :: v_dual_add_f32 v103, v67, v68
	v_dual_min_f32 v10, v38, v46 :: v_dual_add_f32 v9, 0, v88
	;; [unrolled: 1-line block ×4, first 2 shown]
	s_delay_alu instid0(VALU_DEP_4) | instskip(NEXT) | instid1(VALU_DEP_3)
	v_dual_add_f32 v104, v7, v8 :: v_dual_min_f32 v45, v41, v45
	v_dual_add_f32 v102, v51, v52 :: v_dual_add_f32 v101, v9, v10
	s_delay_alu instid0(VALU_DEP_3) | instskip(NEXT) | instid1(VALU_DEP_3)
	v_dual_add_f32 v99, v44, v46 :: v_dual_min_f32 v10, v13, v49
	v_dual_add_f32 v98, v43, v45 :: v_dual_add_f32 v7, 0, v92
	v_dual_min_f32 v8, v14, v50 :: v_dual_add_f32 v9, 0, v89
	v_min_f32_e32 v44, v18, v50
	v_dual_add_f32 v43, 0, v94 :: v_dual_min_f32 v46, v17, v49
	v_add_f32_e32 v45, 0, v90
	v_dual_add_f32 v51, 0, v95 :: v_dual_min_f32 v52, v22, v50
	v_dual_add_f32 v97, v7, v8 :: v_dual_add_f32 v96, v9, v10
	s_delay_alu instid0(VALU_DEP_3) | instskip(NEXT) | instid1(VALU_DEP_3)
	v_dual_add_f32 v94, v43, v44 :: v_dual_add_f32 v95, v45, v46
	v_dual_add_f32 v92, v51, v52 :: v_dual_add_f32 v7, 0, v91
	v_min_f32_e32 v8, v21, v49
	v_dual_add_f32 v9, 0, v129 :: v_dual_min_f32 v10, v26, v50
	v_dual_add_f32 v43, 0, v93 :: v_dual_min_f32 v46, v30, v50
	v_dual_min_f32 v44, v25, v49 :: v_dual_add_f32 v45, 0, v130
	v_dual_add_f32 v51, 0, v126 :: v_dual_min_f32 v52, v29, v49
	s_delay_alu instid0(VALU_DEP_4) | instskip(NEXT) | instid1(VALU_DEP_3)
	v_dual_add_f32 v93, v7, v8 :: v_dual_add_f32 v90, v9, v10
	v_dual_add_f32 v91, v43, v44 :: v_dual_min_f32 v8, v34, v50
	s_delay_alu instid0(VALU_DEP_3)
	v_dual_add_f32 v89, v45, v46 :: v_dual_add_f32 v88, v51, v52
	v_dual_add_f32 v7, 0, v131 :: v_dual_min_f32 v10, v33, v49
	v_dual_add_f32 v9, 0, v127 :: v_dual_min_f32 v44, v38, v50
	;; [unrolled: 1-line block ×4, first 2 shown]
	v_add_f32_e32 v48, 0, v48
	s_delay_alu instid0(VALU_DEP_4) | instskip(NEXT) | instid1(VALU_DEP_4)
	v_dual_add_f32 v87, v7, v8 :: v_dual_add_f32 v86, v9, v10
	v_dual_add_f32 v84, v43, v44 :: v_dual_add_f32 v7, 0, v47
	s_delay_alu instid0(VALU_DEP_4) | instskip(NEXT) | instid1(VALU_DEP_4)
	v_add_f32_e32 v85, v45, v46
	v_dual_add_f32 v82, v48, v50 :: v_dual_add_f32 v9, 0, v12
	v_dual_add_f32 v12, 0, v19 :: v_dual_add_f32 v19, 0, v24
	v_dual_add_f32 v24, 0, v31 :: v_dual_min_f32 v31, v41, v49
	v_dual_add_f32 v8, 0, v11 :: v_dual_add_f32 v11, 0, v16
	v_dual_add_f32 v16, 0, v23 :: v_dual_add_f32 v23, 0, v28
	v_add_f32_e32 v28, 0, v35
	s_delay_alu instid0(VALU_DEP_4)
	v_dual_min_f32 v14, v14, v117 :: v_dual_add_f32 v83, v7, v31
	v_dual_min_f32 v7, v13, v100 :: v_dual_add_f32 v10, 0, v15
	v_dual_add_f32 v15, 0, v20 :: v_dual_add_f32 v20, 0, v27
	v_add_f32_e32 v27, 0, v32
	v_dual_add_f32 v32, 0, v36 :: v_dual_add_f32 v35, 0, v39
	v_add_f32_e32 v36, 0, v40
	v_dual_add_f32 v80, v9, v14 :: v_dual_add_f32 v81, v8, v7
	v_min_f32_e32 v9, v18, v117
	v_dual_min_f32 v13, v17, v100 :: v_dual_min_f32 v14, v22, v117
	v_dual_min_f32 v7, v21, v100 :: v_dual_min_f32 v8, v26, v117
	s_delay_alu instid0(VALU_DEP_3) | instskip(NEXT) | instid1(VALU_DEP_3)
	v_add_f32_e32 v79, v11, v9
	v_add_f32_e32 v78, v10, v13
	v_min_f32_e32 v10, v29, v100
	s_delay_alu instid0(VALU_DEP_4) | instskip(SKIP_4) | instid1(VALU_DEP_4)
	v_dual_add_f32 v76, v15, v14 :: v_dual_add_f32 v77, v12, v7
	v_min_f32_e32 v7, v25, v100
	v_dual_min_f32 v9, v30, v117 :: v_dual_add_f32 v74, v19, v8
	v_min_f32_e32 v8, v34, v117
	v_add_f32_e32 v72, v20, v10
	v_add_f32_e32 v75, v16, v7
	s_delay_alu instid0(VALU_DEP_4) | instskip(SKIP_4) | instid1(VALU_DEP_4)
	v_add_f32_e32 v73, v23, v9
	v_min_f32_e32 v7, v33, v100
	v_add_f32_e32 v70, v27, v8
	v_dual_min_f32 v8, v38, v117 :: v_dual_min_f32 v9, v37, v100
	v_dual_min_f32 v10, v42, v117 :: v_dual_min_f32 v11, v41, v100
	v_add_f32_e32 v71, v24, v7
	s_delay_alu instid0(VALU_DEP_3) | instskip(NEXT) | instid1(VALU_DEP_3)
	v_add_f32_e32 v68, v28, v9
	v_dual_add_f32 v69, v32, v8 :: v_dual_add_f32 v66, v35, v11
	s_delay_alu instid0(VALU_DEP_4)
	v_add_f32_e32 v67, v36, v10
	s_cbranch_scc1 .LBB93_34
; %bb.20:
	v_add_nc_u32_e32 v6, 12, v56
	v_add_nc_u32_e32 v8, 8, v56
	v_lshlrev_b64 v[0:1], 2, v[0:1]
	v_lshlrev_b64 v[52:53], 2, v[2:3]
	v_or_b32_e32 v100, 0x1000, v59
	v_mad_i64_i32 v[4:5], null, v6, s8, 0
	v_mad_i64_i32 v[6:7], null, v8, s8, 0
	v_add_co_u32 v128, s4, s22, v0
	v_add_nc_u32_e32 v117, 0x1000, v57
	v_add_nc_u32_e32 v126, 0x1400, v59
	v_lshlrev_b64 v[48:49], 2, v[4:5]
	v_or_b32_e32 v127, 0x800, v59
	v_lshlrev_b64 v[50:51], 2, v[6:7]
	v_add_co_ci_u32_e64 v129, s4, s23, v1, s4
	v_lshl_add_u32 v130, v54, 4, 0x1400
	v_lshl_add_u32 v131, v55, 4, 0x800
	s_add_i32 s22, s18, -8
	s_lshl_b64 s[8:9], s[8:9], 5
	s_branch .LBB93_22
.LBB93_21:                              ;   in Loop: Header=BB93_22 Depth=1
	s_or_b32 exec_lo, exec_lo, s5
	v_dual_add_f32 v36, v124, v36 :: v_dual_add_f32 v41, v123, v41
	v_dual_add_f32 v40, v125, v40 :: v_dual_add_f32 v33, v119, v33
	;; [unrolled: 1-line block ×25, first 2 shown]
	ds_load_b128 v[20:23], v58
	ds_load_b128 v[28:31], v117
	v_dual_add_f32 v113, v12, v187 :: v_dual_add_f32 v114, v9, v178
	v_dual_add_f32 v80, v80, v215 :: v_dual_add_f32 v77, v77, v10
	;; [unrolled: 1-line block ×3, first 2 shown]
	ds_load_b128 v[8:11], v117 offset:128
	v_dual_add_f32 v32, v120, v32 :: v_dual_add_f32 v37, v118, v37
	v_dual_add_f32 v102, v102, v145 :: v_dual_add_f32 v97, v97, v148
	;; [unrolled: 1-line block ×5, first 2 shown]
	v_add_f32_e32 v70, v70, v172
	v_add_f32_e32 v46, v67, v46
	;; [unrolled: 1-line block ×3, first 2 shown]
	v_dual_add_f32 v105, v37, v39 :: v_dual_add_f32 v108, v16, v18
	v_dual_add_f32 v115, v17, v188 :: v_dual_add_f32 v60, v60, v181
	v_dual_add_f32 v116, v13, v179 :: v_dual_add_f32 v119, v44, v180
	v_dual_add_f32 v120, v4, v202 :: v_dual_add_f32 v97, v97, v204
	v_dual_add_f32 v102, v102, v185 :: v_dual_add_f32 v121, v5, v194
	v_dual_add_f32 v86, v86, v200 :: v_dual_add_f32 v123, v1, v210
	v_dual_add_f32 v122, v0, v213 :: v_dual_add_f32 v81, v81, v211
	s_waitcnt lgkmcnt(2)
	v_dual_add_f32 v76, v76, v19 :: v_dual_max_f32 v21, v21, v21
	v_dual_add_f32 v74, v74, v26 :: v_dual_add_f32 v73, v73, v27
	v_dual_add_f32 v72, v72, v2 :: v_dual_add_f32 v71, v71, v3
	;; [unrolled: 1-line block ×4, first 2 shown]
	ds_load_b128 v[0:3], v117 offset:256
	ds_load_b128 v[4:7], v117 offset:384
	;; [unrolled: 1-line block ×5, first 2 shown]
	s_waitcnt lgkmcnt(6)
	v_dual_max_f32 v20, v20, v20 :: v_dual_max_f32 v29, v29, v29
	s_waitcnt lgkmcnt(5)
	v_dual_max_f32 v28, v28, v28 :: v_dual_max_f32 v9, v9, v9
	v_dual_add_f32 v98, v99, v146 :: v_dual_add_f32 v93, v93, v151
	v_dual_add_f32 v99, v32, v35 :: v_dual_add_f32 v124, v46, v177
	s_delay_alu instid0(VALU_DEP_3)
	v_min_f32_e32 v135, v28, v20
	ds_load_b128 v[32:35], v117 offset:768
	ds_load_b128 v[36:39], v117 offset:896
	v_max_f32_e32 v8, v8, v8
	v_dual_add_f32 v118, v45, v189 :: v_dual_add_f32 v63, v63, v191
	v_dual_add_f32 v67, v67, v135 :: v_dual_min_f32 v136, v29, v21
	s_delay_alu instid0(VALU_DEP_3) | instskip(SKIP_2) | instid1(VALU_DEP_3)
	v_min_f32_e32 v137, v8, v20
	s_waitcnt lgkmcnt(6)
	v_dual_max_f32 v0, v0, v0 :: v_dual_max_f32 v1, v1, v1
	v_dual_min_f32 v135, v9, v21 :: v_dual_add_f32 v66, v66, v136
	s_waitcnt lgkmcnt(5)
	v_dual_max_f32 v4, v4, v4 :: v_dual_max_f32 v5, v5, v5
	s_delay_alu instid0(VALU_DEP_3) | instskip(NEXT) | instid1(VALU_DEP_3)
	v_min_f32_e32 v136, v0, v20
	v_dual_add_f32 v84, v84, v137 :: v_dual_add_f32 v83, v83, v135
	v_min_f32_e32 v135, v1, v21
	s_delay_alu instid0(VALU_DEP_4) | instskip(NEXT) | instid1(VALU_DEP_4)
	v_min_f32_e32 v137, v4, v20
	v_add_f32_e32 v101, v101, v136
	s_waitcnt lgkmcnt(4)
	v_max_f32_e32 v12, v12, v12
	v_dual_min_f32 v136, v5, v21 :: v_dual_add_f32 v99, v99, v135
	s_waitcnt lgkmcnt(3)
	v_dual_max_f32 v13, v13, v13 :: v_dual_max_f32 v16, v16, v16
	s_waitcnt lgkmcnt(1)
	v_dual_max_f32 v17, v17, v17 :: v_dual_max_f32 v32, v32, v32
	v_dual_add_f32 v106, v106, v137 :: v_dual_min_f32 v135, v12, v20
	v_add_f32_e32 v105, v105, v136
	v_min_f32_e32 v136, v13, v21
	s_waitcnt lgkmcnt(0)
	v_dual_min_f32 v137, v17, v21 :: v_dual_max_f32 v36, v36, v36
	v_dual_max_f32 v25, v25, v25 :: v_dual_add_f32 v108, v108, v135
	s_delay_alu instid0(VALU_DEP_3) | instskip(NEXT) | instid1(VALU_DEP_3)
	v_add_f32_e32 v107, v107, v136
	v_dual_min_f32 v136, v32, v20 :: v_dual_add_f32 v109, v109, v137
	v_min_f32_e32 v135, v16, v20
	v_dual_min_f32 v20, v36, v20 :: v_dual_max_f32 v37, v37, v37
	s_delay_alu instid0(VALU_DEP_3) | instskip(SKIP_1) | instid1(VALU_DEP_4)
	v_add_f32_e32 v112, v112, v136
	v_min_f32_e32 v136, v29, v25
	v_dual_max_f32 v33, v33, v33 :: v_dual_add_f32 v110, v110, v135
	v_max_f32_e32 v24, v24, v24
	v_add_f32_e32 v20, v114, v20
	ds_load_b128 v[40:43], v58 offset:1024
	ds_load_b128 v[44:47], v58 offset:1536
	v_min_f32_e32 v135, v33, v21
	v_dual_min_f32 v21, v37, v21 :: v_dual_min_f32 v114, v8, v24
	v_dual_add_f32 v104, v104, v143 :: v_dual_add_f32 v103, v103, v144
	s_delay_alu instid0(VALU_DEP_3) | instskip(SKIP_1) | instid1(VALU_DEP_4)
	v_add_f32_e32 v111, v111, v135
	v_min_f32_e32 v135, v28, v24
	v_add_f32_e32 v21, v113, v21
	v_add_f32_e32 v113, v115, v136
	;; [unrolled: 1-line block ×3, first 2 shown]
	v_dual_min_f32 v114, v0, v24 :: v_dual_add_f32 v61, v61, v190
	v_add_f32_e32 v64, v64, v183
	v_dual_add_f32 v62, v62, v182 :: v_dual_add_f32 v65, v65, v192
	s_delay_alu instid0(VALU_DEP_3) | instskip(SKIP_3) | instid1(VALU_DEP_3)
	v_add_f32_e32 v138, v60, v114
	v_dual_min_f32 v60, v12, v24 :: v_dual_add_f32 v103, v103, v193
	v_add_f32_e32 v104, v104, v184
	v_dual_add_f32 v96, v96, v147 :: v_dual_add_f32 v95, v95, v149
	v_add_f32_e32 v142, v64, v60
	v_min_f32_e32 v60, v32, v24
	v_dual_add_f32 v135, v116, v135 :: v_dual_min_f32 v116, v1, v25
	s_waitcnt lgkmcnt(1)
	v_max_f32_e32 v40, v40, v40
	v_dual_add_f32 v96, v96, v195 :: v_dual_add_f32 v93, v93, v197
	v_add_f32_e32 v102, v102, v60
	v_add_f32_e32 v139, v61, v116
	v_min_f32_e32 v61, v13, v25
	v_dual_max_f32 v41, v41, v41 :: v_dual_min_f32 v60, v28, v40
	v_dual_min_f32 v119, v4, v24 :: v_dual_add_f32 v94, v94, v150
	v_add_f32_e32 v91, v91, v153
	s_delay_alu instid0(VALU_DEP_4) | instskip(NEXT) | instid1(VALU_DEP_4)
	v_add_f32_e32 v143, v65, v61
	v_dual_min_f32 v61, v33, v25 :: v_dual_add_f32 v96, v96, v60
	v_min_f32_e32 v60, v9, v41
	v_dual_min_f32 v115, v9, v25 :: v_dual_add_f32 v140, v62, v119
	v_min_f32_e32 v62, v16, v24
	v_dual_add_f32 v92, v92, v152 :: v_dual_add_f32 v87, v87, v158
	s_delay_alu instid0(VALU_DEP_3)
	v_add_f32_e32 v137, v118, v115
	v_dual_add_f32 v90, v90, v154 :: v_dual_add_f32 v89, v89, v156
	v_dual_add_f32 v98, v98, v203 :: v_dual_add_f32 v95, v95, v196
	v_dual_min_f32 v115, v5, v25 :: v_dual_add_f32 v104, v104, v62
	v_min_f32_e32 v62, v8, v40
	v_dual_add_f32 v94, v94, v205 :: v_dual_add_f32 v91, v91, v198
	v_dual_add_f32 v92, v92, v206 :: v_dual_add_f32 v89, v89, v208
	s_delay_alu instid0(VALU_DEP_4)
	v_add_f32_e32 v141, v63, v115
	v_dual_min_f32 v63, v17, v25 :: v_dual_min_f32 v24, v36, v24
	v_dual_add_f32 v144, v120, v61 :: v_dual_add_f32 v95, v95, v62
	v_min_f32_e32 v62, v1, v41
	v_dual_min_f32 v61, v29, v41 :: v_dual_add_f32 v90, v90, v207
	v_add_f32_e32 v87, v87, v209
	v_add_f32_e32 v103, v103, v63
	v_dual_min_f32 v25, v37, v25 :: v_dual_add_f32 v94, v94, v60
	v_dual_min_f32 v63, v4, v40 :: v_dual_min_f32 v60, v5, v41
	v_dual_add_f32 v92, v92, v62 :: v_dual_add_f32 v97, v97, v61
	v_min_f32_e32 v61, v0, v40
	v_dual_add_f32 v88, v88, v199 :: v_dual_add_f32 v85, v85, v201
	s_delay_alu instid0(VALU_DEP_4) | instskip(SKIP_1) | instid1(VALU_DEP_4)
	v_add_f32_e32 v90, v90, v60
	v_min_f32_e32 v60, v13, v41
	v_add_f32_e32 v93, v93, v61
	v_dual_add_f32 v91, v91, v63 :: v_dual_min_f32 v62, v16, v40
	v_min_f32_e32 v61, v12, v40
	s_waitcnt lgkmcnt(0)
	v_dual_min_f32 v63, v17, v41 :: v_dual_max_f32 v44, v44, v44
	s_delay_alu instid0(VALU_DEP_3) | instskip(NEXT) | instid1(VALU_DEP_3)
	v_dual_max_f32 v45, v45, v45 :: v_dual_add_f32 v86, v86, v62
	v_dual_add_f32 v88, v88, v61 :: v_dual_add_f32 v89, v89, v60
	v_dual_min_f32 v61, v32, v40 :: v_dual_min_f32 v60, v33, v41
	s_delay_alu instid0(VALU_DEP_4)
	v_dual_min_f32 v40, v36, v40 :: v_dual_add_f32 v87, v87, v63
	v_dual_add_f32 v82, v82, v214 :: v_dual_add_f32 v79, v79, v216
	v_dual_min_f32 v28, v28, v44 :: v_dual_min_f32 v9, v9, v45
	v_dual_min_f32 v0, v0, v44 :: v_dual_min_f32 v13, v13, v45
	;; [unrolled: 1-line block ×4, first 2 shown]
	v_dual_max_f32 v23, v23, v23 :: v_dual_max_f32 v30, v30, v30
	v_dual_max_f32 v31, v31, v31 :: v_dual_max_f32 v10, v10, v10
	v_add_f32_e32 v145, v122, v60
	v_dual_min_f32 v41, v37, v41 :: v_dual_min_f32 v8, v8, v44
	v_dual_add_f32 v9, v79, v9 :: v_dual_min_f32 v4, v4, v44
	v_dual_min_f32 v1, v1, v45 :: v_dual_min_f32 v12, v12, v44
	v_dual_add_f32 v13, v73, v13 :: v_dual_min_f32 v36, v36, v44
	v_dual_add_f32 v32, v68, v32 :: v_dual_add_f32 v33, v69, v33
	v_max_f32_e32 v22, v22, v22
	v_dual_min_f32 v44, v31, v23 :: v_dual_add_f32 v17, v70, v17
	s_delay_alu instid0(VALU_DEP_4) | instskip(SKIP_1) | instid1(VALU_DEP_3)
	v_dual_add_f32 v36, v125, v36 :: v_dual_max_f32 v11, v11, v11
	v_dual_min_f32 v29, v29, v45 :: v_dual_add_f32 v8, v78, v8
	v_add_f32_e32 v125, v66, v44
	v_dual_min_f32 v44, v10, v22 :: v_dual_min_f32 v37, v37, v45
	s_delay_alu instid0(VALU_DEP_4) | instskip(SKIP_1) | instid1(VALU_DEP_3)
	v_dual_min_f32 v60, v11, v23 :: v_dual_min_f32 v5, v5, v45
	v_dual_add_f32 v4, v75, v4 :: v_dual_min_f32 v45, v30, v22
	v_dual_add_f32 v37, v124, v37 :: v_dual_max_f32 v2, v2, v2
	v_dual_max_f32 v3, v3, v3 :: v_dual_max_f32 v6, v6, v6
	v_max_f32_e32 v7, v7, v7
	v_dual_add_f32 v85, v85, v61 :: v_dual_add_f32 v40, v123, v40
	v_add_f32_e32 v122, v83, v60
	v_dual_add_f32 v124, v67, v45 :: v_dual_add_f32 v123, v84, v44
	v_min_f32_e32 v44, v2, v22
	v_min_f32_e32 v60, v7, v23
	;; [unrolled: 1-line block ×3, first 2 shown]
	v_dual_max_f32 v15, v15, v15 :: v_dual_max_f32 v14, v14, v14
	v_dual_add_f32 v24, v121, v24 :: v_dual_add_f32 v25, v98, v25
	s_delay_alu instid0(VALU_DEP_4) | instskip(NEXT) | instid1(VALU_DEP_4)
	v_add_f32_e32 v118, v105, v60
	v_dual_add_f32 v120, v99, v45 :: v_dual_min_f32 v45, v6, v22
	s_delay_alu instid0(VALU_DEP_4) | instskip(SKIP_1) | instid1(VALU_DEP_3)
	v_dual_add_f32 v121, v101, v44 :: v_dual_min_f32 v44, v15, v23
	v_dual_max_f32 v19, v19, v19 :: v_dual_max_f32 v18, v18, v18
	v_add_f32_e32 v119, v106, v45
	v_min_f32_e32 v45, v14, v22
	v_max_f32_e32 v35, v35, v35
	v_dual_max_f32 v39, v39, v39 :: v_dual_max_f32 v38, v38, v38
	v_add_f32_e32 v60, v107, v44
	v_min_f32_e32 v44, v19, v23
	v_min_f32_e32 v62, v18, v22
	v_dual_max_f32 v34, v34, v34 :: v_dual_add_f32 v61, v108, v45
	v_min_f32_e32 v45, v35, v23
	v_dual_max_f32 v27, v27, v27 :: v_dual_max_f32 v26, v26, v26
	v_min_f32_e32 v23, v39, v23
	s_delay_alu instid0(VALU_DEP_4) | instskip(SKIP_1) | instid1(VALU_DEP_3)
	v_dual_add_f32 v63, v109, v44 :: v_dual_min_f32 v44, v34, v22
	v_min_f32_e32 v22, v38, v22
	v_dual_add_f32 v62, v110, v62 :: v_dual_add_f32 v115, v21, v23
	v_min_f32_e32 v21, v11, v27
	s_delay_alu instid0(VALU_DEP_4) | instskip(NEXT) | instid1(VALU_DEP_4)
	v_dual_add_f32 v64, v111, v45 :: v_dual_add_f32 v65, v112, v44
	v_add_f32_e32 v116, v20, v22
	s_delay_alu instid0(VALU_DEP_3) | instskip(SKIP_1) | instid1(VALU_DEP_2)
	v_dual_min_f32 v20, v10, v26 :: v_dual_add_f32 v111, v137, v21
	v_dual_min_f32 v22, v2, v26 :: v_dual_min_f32 v21, v3, v27
	v_dual_min_f32 v23, v7, v27 :: v_dual_add_f32 v112, v136, v20
	v_min_f32_e32 v20, v6, v26
	s_delay_alu instid0(VALU_DEP_3) | instskip(SKIP_1) | instid1(VALU_DEP_3)
	v_dual_add_f32 v109, v138, v22 :: v_dual_add_f32 v110, v139, v21
	v_min_f32_e32 v21, v15, v27
	v_dual_add_f32 v107, v141, v23 :: v_dual_add_f32 v108, v140, v20
	v_min_f32_e32 v20, v14, v26
	v_dual_min_f32 v22, v19, v27 :: v_dual_min_f32 v23, v18, v26
	s_delay_alu instid0(VALU_DEP_4) | instskip(NEXT) | instid1(VALU_DEP_3)
	v_add_f32_e32 v105, v143, v21
	v_dual_min_f32 v21, v35, v27 :: v_dual_add_f32 v106, v142, v20
	v_min_f32_e32 v20, v34, v26
	s_delay_alu instid0(VALU_DEP_4) | instskip(NEXT) | instid1(VALU_DEP_3)
	v_dual_add_f32 v103, v103, v22 :: v_dual_add_f32 v104, v104, v23
	v_dual_add_f32 v101, v144, v21 :: v_dual_max_f32 v22, v42, v42
	v_max_f32_e32 v21, v43, v43
	s_delay_alu instid0(VALU_DEP_4) | instskip(SKIP_2) | instid1(VALU_DEP_4)
	v_dual_min_f32 v23, v39, v27 :: v_dual_add_f32 v102, v102, v20
	v_dual_min_f32 v44, v31, v27 :: v_dual_min_f32 v45, v30, v26
	v_min_f32_e32 v26, v38, v26
	v_dual_min_f32 v20, v31, v21 :: v_dual_min_f32 v27, v30, v22
	s_delay_alu instid0(VALU_DEP_4) | instskip(NEXT) | instid1(VALU_DEP_3)
	v_add_f32_e32 v99, v25, v23
	v_dual_min_f32 v23, v11, v21 :: v_dual_add_f32 v98, v24, v26
	s_delay_alu instid0(VALU_DEP_3) | instskip(NEXT) | instid1(VALU_DEP_4)
	v_dual_add_f32 v97, v97, v20 :: v_dual_min_f32 v20, v10, v22
	v_add_f32_e32 v96, v96, v27
	v_min_f32_e32 v24, v3, v21
	s_delay_alu instid0(VALU_DEP_4) | instskip(SKIP_2) | instid1(VALU_DEP_4)
	v_dual_add_f32 v94, v94, v23 :: v_dual_min_f32 v25, v7, v21
	v_min_f32_e32 v23, v2, v22
	v_dual_add_f32 v95, v95, v20 :: v_dual_min_f32 v20, v6, v22
	v_add_f32_e32 v92, v92, v24
	s_delay_alu instid0(VALU_DEP_3) | instskip(SKIP_1) | instid1(VALU_DEP_4)
	v_dual_add_f32 v90, v90, v25 :: v_dual_add_f32 v93, v93, v23
	v_dual_min_f32 v23, v15, v21 :: v_dual_min_f32 v24, v14, v22
	v_add_f32_e32 v91, v91, v20
	v_dual_min_f32 v20, v19, v21 :: v_dual_min_f32 v25, v18, v22
	s_delay_alu instid0(VALU_DEP_3) | instskip(SKIP_1) | instid1(VALU_DEP_3)
	v_dual_add_f32 v89, v89, v23 :: v_dual_add_f32 v88, v88, v24
	v_min_f32_e32 v23, v35, v21
	v_dual_add_f32 v87, v87, v20 :: v_dual_add_f32 v86, v86, v25
	v_min_f32_e32 v20, v34, v22
	v_max_f32_e32 v24, v47, v47
	s_delay_alu instid0(VALU_DEP_4) | instskip(SKIP_3) | instid1(VALU_DEP_3)
	v_dual_add_f32 v84, v145, v23 :: v_dual_min_f32 v21, v39, v21
	v_max_f32_e32 v23, v46, v46
	v_dual_add_f32 v41, v82, v41 :: v_dual_add_f32 v28, v81, v28
	v_dual_add_f32 v1, v76, v1 :: v_dual_add_f32 v16, v71, v16
	v_dual_add_f32 v85, v85, v20 :: v_dual_min_f32 v20, v30, v23
	v_dual_min_f32 v10, v10, v23 :: v_dual_min_f32 v3, v3, v24
	v_dual_add_f32 v29, v80, v29 :: v_dual_add_f32 v0, v77, v0
	v_dual_add_f32 v5, v74, v5 :: v_dual_add_f32 v12, v72, v12
	s_delay_alu instid0(VALU_DEP_4) | instskip(NEXT) | instid1(VALU_DEP_4)
	v_dual_add_f32 v81, v28, v20 :: v_dual_min_f32 v2, v2, v23
	v_dual_add_f32 v76, v1, v3 :: v_dual_min_f32 v1, v7, v24
	v_dual_min_f32 v22, v38, v22 :: v_dual_min_f32 v25, v31, v24
	s_delay_alu instid0(VALU_DEP_3) | instskip(SKIP_1) | instid1(VALU_DEP_4)
	v_dual_add_f32 v77, v0, v2 :: v_dual_min_f32 v0, v6, v23
	v_dual_min_f32 v2, v15, v24 :: v_dual_min_f32 v3, v14, v23
	v_dual_add_f32 v74, v5, v1 :: v_dual_min_f32 v1, v19, v24
	s_delay_alu instid0(VALU_DEP_4) | instskip(NEXT) | instid1(VALU_DEP_4)
	v_dual_add_f32 v80, v29, v25 :: v_dual_min_f32 v11, v11, v24
	v_dual_add_f32 v75, v4, v0 :: v_dual_min_f32 v0, v18, v23
	s_delay_alu instid0(VALU_DEP_4) | instskip(NEXT) | instid1(VALU_DEP_4)
	v_dual_add_f32 v73, v13, v2 :: v_dual_add_f32 v72, v12, v3
	v_dual_add_f32 v70, v17, v1 :: v_dual_min_f32 v1, v35, v24
	v_dual_min_f32 v2, v34, v23 :: v_dual_min_f32 v3, v39, v24
	s_delay_alu instid0(VALU_DEP_4)
	v_dual_min_f32 v4, v38, v23 :: v_dual_add_f32 v71, v16, v0
	v_add_co_u32 v128, s4, v128, s8
	v_dual_add_f32 v113, v113, v44 :: v_dual_add_f32 v114, v135, v45
	v_dual_add_f32 v82, v41, v21 :: v_dual_add_f32 v83, v40, v22
	;; [unrolled: 1-line block ×5, first 2 shown]
	v_add_co_ci_u32_e64 v129, s4, s9, v129, s4
	s_add_i32 s29, s29, 8
	ds_store_b32 v126, v132
	ds_store_2addr_stride64_b32 v127, v134, v133 offset1:4
	s_cmp_ge_i32 s29, s22
	s_waitcnt lgkmcnt(0)
	s_barrier
	buffer_gl0_inv
	s_cbranch_scc1 .LBB93_34
.LBB93_22:                              ; =>This Inner Loop Header: Depth=1
	v_dual_mov_b32 v134, 0 :: v_dual_add_nc_u32 v133, s29, v56
	s_delay_alu instid0(VALU_DEP_1) | instskip(NEXT) | instid1(VALU_DEP_1)
	v_dual_mov_b32 v135, 0 :: v_dual_add_nc_u32 v0, 8, v133
	v_cmp_gt_i32_e64 s4, s18, v0
	s_delay_alu instid0(VALU_DEP_1) | instskip(NEXT) | instid1(SALU_CYCLE_1)
	s_and_b32 s4, vcc_lo, s4
	s_and_b32 s4, s25, s4
	s_delay_alu instid0(SALU_CYCLE_1)
	s_and_saveexec_b32 s5, s4
	s_cbranch_execz .LBB93_24
; %bb.23:                               ;   in Loop: Header=BB93_22 Depth=1
	v_add_co_u32 v1, s4, v128, v50
	s_delay_alu instid0(VALU_DEP_1)
	v_add_co_ci_u32_e64 v2, s4, v129, v51, s4
	flat_load_b32 v1, v[1:2]
	s_waitcnt vmcnt(0) lgkmcnt(0)
	v_mul_f32_e32 v135, s24, v1
.LBB93_24:                              ;   in Loop: Header=BB93_22 Depth=1
	s_or_b32 exec_lo, exec_lo, s5
	v_min_i32_e32 v3, s27, v0
	v_cmp_le_i32_e64 s4, s18, v0
	s_delay_alu instid0(VALU_DEP_2) | instskip(NEXT) | instid1(VALU_DEP_2)
	v_mad_i64_i32 v[1:2], null, v3, s26, 0
	s_or_b32 s23, s2, s4
	s_delay_alu instid0(VALU_DEP_1) | instskip(NEXT) | instid1(VALU_DEP_1)
	v_lshlrev_b64 v[0:1], 2, v[1:2]
	v_add_co_u32 v0, s5, s20, v0
	s_delay_alu instid0(VALU_DEP_1) | instskip(SKIP_1) | instid1(SALU_CYCLE_1)
	v_add_co_ci_u32_e64 v1, s5, s21, v1, s5
	s_or_b32 s5, s23, s28
	s_xor_b32 s5, s5, -1
	s_delay_alu instid0(SALU_CYCLE_1)
	s_and_saveexec_b32 s23, s5
	s_cbranch_execz .LBB93_26
; %bb.25:                               ;   in Loop: Header=BB93_22 Depth=1
	v_add_co_u32 v2, s5, v0, v52
	s_delay_alu instid0(VALU_DEP_1)
	v_add_co_ci_u32_e64 v3, s5, v1, v53, s5
	flat_load_b32 v2, v[2:3]
	s_waitcnt vmcnt(0) lgkmcnt(0)
	v_mul_f32_e32 v134, s24, v2
.LBB93_26:                              ;   in Loop: Header=BB93_22 Depth=1
	s_or_b32 exec_lo, exec_lo, s23
	s_or_b32 s4, s3, s4
	v_mov_b32_e32 v132, 0
	v_mov_b32_e32 v136, 0
	s_or_b32 s4, s4, s28
	s_delay_alu instid0(SALU_CYCLE_1) | instskip(NEXT) | instid1(SALU_CYCLE_1)
	s_xor_b32 s4, s4, -1
	s_and_saveexec_b32 s5, s4
	s_cbranch_execz .LBB93_28
; %bb.27:                               ;   in Loop: Header=BB93_22 Depth=1
	v_add_co_u32 v0, s4, v0, v52
	s_delay_alu instid0(VALU_DEP_1)
	v_add_co_ci_u32_e64 v1, s4, v1, v53, s4
	flat_load_b32 v0, v[0:1] offset:256
	s_waitcnt vmcnt(0) lgkmcnt(0)
	v_mul_f32_e32 v136, s24, v0
.LBB93_28:                              ;   in Loop: Header=BB93_22 Depth=1
	s_or_b32 exec_lo, exec_lo, s5
	ds_load_b128 v[40:43], v130
	ds_load_b128 v[36:39], v130 offset:128
	ds_load_b128 v[32:35], v130 offset:256
	;; [unrolled: 1-line block ×7, first 2 shown]
	ds_load_b128 v[44:47], v131
	ds_load_b128 v[8:11], v131 offset:512
	ds_load_b128 v[4:7], v131 offset:1024
	;; [unrolled: 1-line block ×3, first 2 shown]
	v_add_nc_u32_e32 v133, 12, v133
	ds_store_b32 v100, v135
	ds_store_2addr_stride64_b32 v59, v134, v136 offset1:4
	s_waitcnt lgkmcnt(0)
	s_barrier
	buffer_gl0_inv
	v_cmp_gt_i32_e64 s4, s18, v133
	s_delay_alu instid0(VALU_DEP_1) | instskip(NEXT) | instid1(SALU_CYCLE_1)
	s_and_b32 s4, vcc_lo, s4
	s_and_b32 s4, s25, s4
	s_delay_alu instid0(SALU_CYCLE_1)
	s_and_saveexec_b32 s5, s4
	s_cbranch_execz .LBB93_30
; %bb.29:                               ;   in Loop: Header=BB93_22 Depth=1
	v_add_co_u32 v134, s4, v128, v48
	s_delay_alu instid0(VALU_DEP_1)
	v_add_co_ci_u32_e64 v135, s4, v129, v49, s4
	flat_load_b32 v132, v[134:135]
	s_waitcnt vmcnt(0) lgkmcnt(0)
	v_mul_f32_e32 v132, s24, v132
.LBB93_30:                              ;   in Loop: Header=BB93_22 Depth=1
	s_or_b32 exec_lo, exec_lo, s5
	v_min_i32_e32 v136, s27, v133
	v_cmp_le_i32_e64 s4, s18, v133
	v_mov_b32_e32 v133, 0
	s_delay_alu instid0(VALU_DEP_3) | instskip(NEXT) | instid1(VALU_DEP_3)
	v_mad_i64_i32 v[134:135], null, v136, s26, 0
	s_or_b32 s23, s2, s4
	s_delay_alu instid0(VALU_DEP_1) | instskip(SKIP_1) | instid1(VALU_DEP_2)
	v_lshlrev_b64 v[135:136], 2, v[134:135]
	v_mov_b32_e32 v134, 0
	v_add_co_u32 v135, s5, s20, v135
	s_delay_alu instid0(VALU_DEP_1) | instskip(SKIP_1) | instid1(SALU_CYCLE_1)
	v_add_co_ci_u32_e64 v136, s5, s21, v136, s5
	s_or_b32 s5, s23, s28
	s_xor_b32 s5, s5, -1
	s_delay_alu instid0(SALU_CYCLE_1)
	s_and_saveexec_b32 s23, s5
	s_cbranch_execz .LBB93_32
; %bb.31:                               ;   in Loop: Header=BB93_22 Depth=1
	v_add_co_u32 v137, s5, v135, v52
	s_delay_alu instid0(VALU_DEP_1)
	v_add_co_ci_u32_e64 v138, s5, v136, v53, s5
	flat_load_b32 v134, v[137:138]
	s_waitcnt vmcnt(0) lgkmcnt(0)
	v_mul_f32_e32 v134, s24, v134
.LBB93_32:                              ;   in Loop: Header=BB93_22 Depth=1
	s_or_b32 exec_lo, exec_lo, s23
	v_dual_max_f32 v44, v44, v44 :: v_dual_max_f32 v45, v45, v45
	v_dual_max_f32 v161, v40, v40 :: v_dual_max_f32 v162, v41, v41
	v_max_f32_e32 v163, v36, v36
	v_dual_max_f32 v169, v24, v24 :: v_dual_max_f32 v170, v25, v25
	v_max_f32_e32 v173, v16, v16
	v_dual_max_f32 v146, v8, v8 :: v_dual_max_f32 v147, v9, v9
	s_delay_alu instid0(VALU_DEP_4)
	v_dual_min_f32 v40, v162, v45 :: v_dual_min_f32 v41, v163, v44
	v_dual_max_f32 v164, v37, v37 :: v_dual_max_f32 v165, v32, v32
	v_dual_max_f32 v166, v33, v33 :: v_dual_max_f32 v167, v28, v28
	;; [unrolled: 1-line block ×3, first 2 shown]
	v_max_f32_e32 v172, v21, v21
	v_min_f32_e32 v20, v170, v45
	v_dual_max_f32 v174, v17, v17 :: v_dual_max_f32 v175, v12, v12
	v_max_f32_e32 v176, v13, v13
	v_dual_min_f32 v145, v173, v146 :: v_dual_max_f32 v160, v4, v4
	s_delay_alu instid0(VALU_DEP_3)
	v_dual_max_f32 v177, v5, v5 :: v_dual_min_f32 v4, v174, v147
	v_dual_min_f32 v36, v161, v44 :: v_dual_min_f32 v37, v168, v45
	v_dual_min_f32 v28, v164, v45 :: v_dual_min_f32 v29, v165, v44
	;; [unrolled: 1-line block ×7, first 2 shown]
	v_min_f32_e32 v13, v161, v146
	v_dual_min_f32 v44, v163, v146 :: v_dual_min_f32 v45, v164, v147
	v_dual_min_f32 v137, v165, v146 :: v_dual_min_f32 v138, v166, v147
	;; [unrolled: 1-line block ×12, first 2 shown]
	v_min_f32_e32 v159, v173, v160
	v_dual_max_f32 v178, v0, v0 :: v_dual_max_f32 v179, v1, v1
	v_dual_min_f32 v0, v174, v177 :: v_dual_min_f32 v1, v175, v160
	v_dual_min_f32 v160, v176, v177 :: v_dual_max_f32 v177, v46, v46
	v_dual_max_f32 v180, v47, v47 :: v_dual_max_f32 v211, v42, v42
	v_max_f32_e32 v212, v43, v43
	v_dual_max_f32 v216, v38, v38 :: v_dual_max_f32 v217, v39, v39
	v_dual_max_f32 v218, v34, v34 :: v_dual_max_f32 v219, v35, v35
	s_delay_alu instid0(VALU_DEP_3) | instskip(NEXT) | instid1(VALU_DEP_3)
	v_min_f32_e32 v47, v212, v180
	v_min_f32_e32 v42, v216, v177
	v_dual_max_f32 v220, v30, v30 :: v_dual_max_f32 v221, v31, v31
	v_dual_max_f32 v222, v26, v26 :: v_dual_max_f32 v27, v27, v27
	;; [unrolled: 1-line block ×4, first 2 shown]
	v_max_f32_e32 v227, v14, v14
	v_dual_max_f32 v10, v10, v10 :: v_dual_max_f32 v11, v11, v11
	v_dual_max_f32 v6, v6, v6 :: v_dual_max_f32 v7, v7, v7
	v_dual_min_f32 v161, v161, v178 :: v_dual_min_f32 v162, v162, v179
	v_dual_min_f32 v163, v163, v178 :: v_dual_min_f32 v164, v164, v179
	;; [unrolled: 1-line block ×12, first 2 shown]
	v_min_f32_e32 v22, v223, v177
	v_dual_min_f32 v176, v224, v180 :: v_dual_min_f32 v23, v225, v177
	v_dual_max_f32 v228, v15, v15 :: v_dual_min_f32 v181, v218, v10
	v_min_f32_e32 v178, v227, v177
	v_dual_min_f32 v208, v27, v7 :: v_dual_max_f32 v177, v2, v2
	v_max_f32_e32 v229, v3, v3
	s_or_b32 s4, s3, s4
	v_dual_min_f32 v186, v226, v180 :: v_dual_min_f32 v179, v211, v10
	v_min_f32_e32 v187, v228, v180
	v_dual_min_f32 v188, v212, v11 :: v_dual_min_f32 v183, v222, v10
	v_dual_min_f32 v180, v216, v10 :: v_dual_min_f32 v189, v217, v11
	;; [unrolled: 1-line block ×15, first 2 shown]
	v_min_f32_e32 v215, v212, v229
	v_min_f32_e32 v212, v216, v177
	;; [unrolled: 1-line block ×15, first 2 shown]
	s_or_b32 s4, s4, s28
	s_delay_alu instid0(SALU_CYCLE_1) | instskip(NEXT) | instid1(SALU_CYCLE_1)
	s_xor_b32 s4, s4, -1
	s_and_saveexec_b32 s5, s4
	s_cbranch_execz .LBB93_21
; %bb.33:                               ;   in Loop: Header=BB93_22 Depth=1
	v_add_co_u32 v135, s4, v135, v52
	s_delay_alu instid0(VALU_DEP_1)
	v_add_co_ci_u32_e64 v136, s4, v136, v53, s4
	flat_load_b32 v133, v[135:136] offset:256
	s_waitcnt vmcnt(0) lgkmcnt(0)
	v_mul_f32_e32 v133, s24, v133
	s_branch .LBB93_21
.LBB93_34:
	s_clause 0x2
	s_load_b64 s[2:3], s[0:1], 0x78
	s_load_b32 s18, s[0:1], 0x58
	s_load_b32 s9, s[0:1], 0x70
	v_add_nc_u32_e32 v117, s19, v55
	ds_load_b128 v[32:35], v57 offset:5120
	ds_load_b128 v[28:31], v57 offset:5248
	;; [unrolled: 1-line block ×12, first 2 shown]
	v_add_nc_u32_e32 v48, s14, v54
	v_cndmask_b32_e64 v100, 0, 1, s15
	v_cmp_gt_i32_e64 s8, s17, v117
	s_waitcnt lgkmcnt(0)
	s_mul_i32 s1, s12, s3
	v_mad_i64_i32 v[49:50], null, v117, s18, 0
	v_mad_i64_i32 v[51:52], null, v117, s9, 0
	s_mul_hi_u32 s3, s12, s2
	s_mul_i32 s0, s12, s2
	s_add_i32 s1, s3, s1
	s_delay_alu instid0(SALU_CYCLE_1) | instskip(NEXT) | instid1(VALU_DEP_2)
	s_lshl_b64 s[0:1], s[0:1], 2
	v_lshlrev_b64 v[49:50], 2, v[49:50]
	s_delay_alu instid0(VALU_DEP_2) | instskip(SKIP_3) | instid1(VALU_DEP_3)
	v_lshlrev_b64 v[51:52], 2, v[51:52]
	s_add_u32 s12, s6, s0
	s_addc_u32 s14, s7, s1
	v_cmp_gt_i32_e64 s0, s16, v48
	v_add_co_u32 v128, vcc_lo, s10, v49
	v_add_co_ci_u32_e32 v129, vcc_lo, s11, v50, vcc_lo
	v_add_co_u32 v126, vcc_lo, s12, v51
	v_add_co_ci_u32_e32 v127, vcc_lo, s14, v52, vcc_lo
	v_ashrrev_i32_e32 v49, 31, v48
	s_and_b32 s2, s0, s8
	s_delay_alu instid0(SALU_CYCLE_1)
	s_and_saveexec_b32 s1, s2
	s_cbranch_execz .LBB93_39
; %bb.35:
	s_delay_alu instid0(VALU_DEP_1)
	v_lshlrev_b64 v[50:51], 2, v[48:49]
	s_and_not1_b32 vcc_lo, exec_lo, s15
	s_cbranch_vccnz .LBB93_37
; %bb.36:
	s_delay_alu instid0(VALU_DEP_1) | instskip(NEXT) | instid1(VALU_DEP_2)
	v_add_co_u32 v52, vcc_lo, v128, v50
	v_add_co_ci_u32_e32 v53, vcc_lo, v129, v51, vcc_lo
	flat_load_b32 v52, v[52:53]
	s_waitcnt vmcnt(0) lgkmcnt(0)
	v_mul_f32_e32 v52, s13, v52
	s_branch .LBB93_38
.LBB93_37:
	v_mov_b32_e32 v52, 0
.LBB93_38:
	v_dual_max_f32 v53, v45, v45 :: v_dual_max_f32 v56, v32, v32
	v_dual_max_f32 v54, v33, v33 :: v_dual_max_f32 v55, v44, v44
	;; [unrolled: 1-line block ×3, first 2 shown]
	v_max_f32_e32 v59, v35, v35
	s_delay_alu instid0(VALU_DEP_3) | instskip(NEXT) | instid1(VALU_DEP_4)
	v_min_f32_e32 v53, v54, v53
	v_dual_max_f32 v54, v34, v34 :: v_dual_min_f32 v55, v56, v55
	v_add_co_u32 v50, vcc_lo, v126, v50
	v_add_co_ci_u32_e32 v51, vcc_lo, v127, v51, vcc_lo
	s_delay_alu instid0(VALU_DEP_3) | instskip(NEXT) | instid1(VALU_DEP_4)
	v_min_f32_e32 v54, v54, v57
	v_dual_min_f32 v56, v59, v58 :: v_dual_add_f32 v55, v124, v55
	s_delay_alu instid0(VALU_DEP_1) | instskip(NEXT) | instid1(VALU_DEP_1)
	v_dual_add_f32 v53, v125, v53 :: v_dual_add_f32 v54, v55, v54
	v_add_f32_e32 v53, v53, v56
	s_delay_alu instid0(VALU_DEP_1) | instskip(NEXT) | instid1(VALU_DEP_1)
	v_add_f32_e32 v53, v54, v53
	v_add_f32_e32 v52, v53, v52
	global_store_b32 v[50:51], v52, off
.LBB93_39:
	s_or_b32 exec_lo, exec_lo, s1
	v_add_nc_u32_e32 v50, 8, v48
	s_delay_alu instid0(VALU_DEP_1) | instskip(SKIP_1) | instid1(VALU_DEP_2)
	v_cmp_gt_i32_e64 s1, s16, v50
	v_ashrrev_i32_e32 v51, 31, v50
	s_and_b32 s3, s1, s8
	s_delay_alu instid0(SALU_CYCLE_1)
	s_and_saveexec_b32 s2, s3
	s_cbranch_execz .LBB93_44
; %bb.40:
	v_cmp_ne_u32_e32 vcc_lo, 1, v100
	v_lshlrev_b64 v[52:53], 2, v[50:51]
	s_cbranch_vccnz .LBB93_42
; %bb.41:
	s_delay_alu instid0(VALU_DEP_1) | instskip(NEXT) | instid1(VALU_DEP_2)
	v_add_co_u32 v54, vcc_lo, v128, v52
	v_add_co_ci_u32_e32 v55, vcc_lo, v129, v53, vcc_lo
	flat_load_b32 v54, v[54:55]
	s_waitcnt vmcnt(0) lgkmcnt(0)
	v_mul_f32_e32 v54, s13, v54
	s_branch .LBB93_43
.LBB93_42:
	v_mov_b32_e32 v54, 0
.LBB93_43:
	v_dual_max_f32 v55, v45, v45 :: v_dual_max_f32 v58, v28, v28
	v_dual_max_f32 v56, v29, v29 :: v_dual_max_f32 v57, v44, v44
	;; [unrolled: 1-line block ×3, first 2 shown]
	v_add_co_u32 v52, vcc_lo, v126, v52
	s_delay_alu instid0(VALU_DEP_3) | instskip(NEXT) | instid1(VALU_DEP_4)
	v_dual_min_f32 v55, v56, v55 :: v_dual_max_f32 v56, v30, v30
	v_min_f32_e32 v57, v58, v57
	v_add_co_ci_u32_e32 v53, vcc_lo, v127, v53, vcc_lo
	s_delay_alu instid0(VALU_DEP_2) | instskip(NEXT) | instid1(VALU_DEP_1)
	v_dual_min_f32 v56, v56, v59 :: v_dual_add_f32 v57, v123, v57
	v_dual_max_f32 v125, v31, v31 :: v_dual_add_f32 v56, v57, v56
	s_delay_alu instid0(VALU_DEP_1) | instskip(NEXT) | instid1(VALU_DEP_1)
	v_dual_add_f32 v55, v122, v55 :: v_dual_min_f32 v58, v125, v124
	v_add_f32_e32 v55, v55, v58
	s_delay_alu instid0(VALU_DEP_1) | instskip(NEXT) | instid1(VALU_DEP_1)
	v_add_f32_e32 v55, v56, v55
	v_add_f32_e32 v54, v55, v54
	global_store_b32 v[52:53], v54, off
.LBB93_44:
	s_or_b32 exec_lo, exec_lo, s2
	v_add_nc_u32_e32 v52, 16, v48
	s_delay_alu instid0(VALU_DEP_1) | instskip(SKIP_1) | instid1(VALU_DEP_2)
	v_cmp_gt_i32_e64 s2, s16, v52
	v_ashrrev_i32_e32 v53, 31, v52
	s_and_b32 s4, s2, s8
	s_delay_alu instid0(SALU_CYCLE_1)
	s_and_saveexec_b32 s3, s4
	s_cbranch_execz .LBB93_49
; %bb.45:
	v_cmp_ne_u32_e32 vcc_lo, 1, v100
	v_lshlrev_b64 v[54:55], 2, v[52:53]
	s_cbranch_vccnz .LBB93_47
; %bb.46:
	s_delay_alu instid0(VALU_DEP_1) | instskip(NEXT) | instid1(VALU_DEP_2)
	v_add_co_u32 v56, vcc_lo, v128, v54
	v_add_co_ci_u32_e32 v57, vcc_lo, v129, v55, vcc_lo
	flat_load_b32 v56, v[56:57]
	s_waitcnt vmcnt(0) lgkmcnt(0)
	v_mul_f32_e32 v56, s13, v56
	s_branch .LBB93_48
.LBB93_47:
	v_mov_b32_e32 v56, 0
.LBB93_48:
	v_dual_max_f32 v57, v45, v45 :: v_dual_max_f32 v122, v24, v24
	v_dual_max_f32 v58, v25, v25 :: v_dual_max_f32 v59, v44, v44
	;; [unrolled: 1-line block ×3, first 2 shown]
	v_max_f32_e32 v125, v27, v27
	s_delay_alu instid0(VALU_DEP_3) | instskip(SKIP_3) | instid1(VALU_DEP_4)
	v_min_f32_e32 v57, v58, v57
	v_max_f32_e32 v58, v26, v26
	v_min_f32_e32 v59, v122, v59
	v_add_co_u32 v54, vcc_lo, v126, v54
	v_dual_add_f32 v57, v120, v57 :: v_dual_min_f32 v120, v125, v124
	s_delay_alu instid0(VALU_DEP_4) | instskip(NEXT) | instid1(VALU_DEP_4)
	v_min_f32_e32 v58, v58, v123
	v_add_f32_e32 v59, v121, v59
	v_add_co_ci_u32_e32 v55, vcc_lo, v127, v55, vcc_lo
	s_delay_alu instid0(VALU_DEP_2) | instskip(NEXT) | instid1(VALU_DEP_1)
	v_dual_add_f32 v57, v57, v120 :: v_dual_add_f32 v58, v59, v58
	v_add_f32_e32 v57, v58, v57
	s_delay_alu instid0(VALU_DEP_1)
	v_add_f32_e32 v56, v57, v56
	global_store_b32 v[54:55], v56, off
.LBB93_49:
	s_or_b32 exec_lo, exec_lo, s3
	v_add_nc_u32_e32 v54, 24, v48
	s_delay_alu instid0(VALU_DEP_1) | instskip(SKIP_1) | instid1(VALU_DEP_2)
	v_cmp_gt_i32_e64 s3, s16, v54
	v_ashrrev_i32_e32 v55, 31, v54
	s_and_b32 s5, s3, s8
	s_delay_alu instid0(SALU_CYCLE_1)
	s_and_saveexec_b32 s4, s5
	s_cbranch_execz .LBB93_54
; %bb.50:
	v_cmp_ne_u32_e32 vcc_lo, 1, v100
	v_lshlrev_b64 v[56:57], 2, v[54:55]
	s_cbranch_vccnz .LBB93_52
; %bb.51:
	s_delay_alu instid0(VALU_DEP_1) | instskip(NEXT) | instid1(VALU_DEP_2)
	v_add_co_u32 v58, vcc_lo, v128, v56
	v_add_co_ci_u32_e32 v59, vcc_lo, v129, v57, vcc_lo
	flat_load_b32 v58, v[58:59]
	s_waitcnt vmcnt(0) lgkmcnt(0)
	v_mul_f32_e32 v58, s13, v58
	s_branch .LBB93_53
.LBB93_52:
	v_mov_b32_e32 v58, 0
.LBB93_53:
	v_dual_max_f32 v59, v45, v45 :: v_dual_max_f32 v122, v20, v20
	v_dual_max_f32 v120, v21, v21 :: v_dual_max_f32 v121, v44, v44
	;; [unrolled: 1-line block ×3, first 2 shown]
	v_max_f32_e32 v125, v23, v23
	s_delay_alu instid0(VALU_DEP_3) | instskip(NEXT) | instid1(VALU_DEP_4)
	v_dual_min_f32 v59, v120, v59 :: v_dual_max_f32 v120, v22, v22
	v_min_f32_e32 v121, v122, v121
	v_add_co_u32 v56, vcc_lo, v126, v56
	s_delay_alu instid0(VALU_DEP_3) | instskip(NEXT) | instid1(VALU_DEP_4)
	v_add_f32_e32 v59, v118, v59
	v_min_f32_e32 v118, v120, v123
	s_delay_alu instid0(VALU_DEP_4) | instskip(SKIP_1) | instid1(VALU_DEP_2)
	v_dual_min_f32 v120, v125, v124 :: v_dual_add_f32 v119, v119, v121
	v_add_co_ci_u32_e32 v57, vcc_lo, v127, v57, vcc_lo
	v_add_f32_e32 v59, v59, v120
	s_delay_alu instid0(VALU_DEP_3) | instskip(NEXT) | instid1(VALU_DEP_1)
	v_add_f32_e32 v118, v119, v118
	v_add_f32_e32 v59, v118, v59
	s_delay_alu instid0(VALU_DEP_1)
	v_add_f32_e32 v58, v59, v58
	global_store_b32 v[56:57], v58, off
.LBB93_54:
	s_or_b32 exec_lo, exec_lo, s4
	v_add_nc_u32_e32 v56, 32, v48
	s_delay_alu instid0(VALU_DEP_1) | instskip(SKIP_1) | instid1(VALU_DEP_2)
	v_cmp_gt_i32_e64 s4, s16, v56
	v_ashrrev_i32_e32 v57, 31, v56
	s_and_b32 s6, s4, s8
	s_delay_alu instid0(SALU_CYCLE_1)
	s_and_saveexec_b32 s5, s6
	s_cbranch_execz .LBB93_59
; %bb.55:
	v_cmp_ne_u32_e32 vcc_lo, 1, v100
	v_lshlrev_b64 v[58:59], 2, v[56:57]
	s_cbranch_vccnz .LBB93_57
; %bb.56:
	s_delay_alu instid0(VALU_DEP_1) | instskip(NEXT) | instid1(VALU_DEP_2)
	v_add_co_u32 v118, vcc_lo, v128, v58
	v_add_co_ci_u32_e32 v119, vcc_lo, v129, v59, vcc_lo
	flat_load_b32 v118, v[118:119]
	s_waitcnt vmcnt(0) lgkmcnt(0)
	v_mul_f32_e32 v118, s13, v118
	s_branch .LBB93_58
.LBB93_57:
	v_mov_b32_e32 v118, 0
.LBB93_58:
	v_dual_max_f32 v119, v45, v45 :: v_dual_max_f32 v122, v16, v16
	v_dual_max_f32 v120, v17, v17 :: v_dual_max_f32 v121, v44, v44
	;; [unrolled: 1-line block ×3, first 2 shown]
	v_add_co_u32 v58, vcc_lo, v126, v58
	s_delay_alu instid0(VALU_DEP_3) | instskip(NEXT) | instid1(VALU_DEP_4)
	v_dual_min_f32 v119, v120, v119 :: v_dual_max_f32 v120, v18, v18
	v_min_f32_e32 v121, v122, v121
	v_add_co_ci_u32_e32 v59, vcc_lo, v127, v59, vcc_lo
	s_delay_alu instid0(VALU_DEP_3) | instskip(SKIP_3) | instid1(VALU_DEP_3)
	v_add_f32_e32 v60, v60, v119
	v_max_f32_e32 v125, v19, v19
	v_min_f32_e32 v119, v120, v123
	v_add_f32_e32 v61, v61, v121
	v_min_f32_e32 v120, v125, v124
	s_delay_alu instid0(VALU_DEP_1) | instskip(NEXT) | instid1(VALU_DEP_1)
	v_dual_add_f32 v61, v61, v119 :: v_dual_add_f32 v60, v60, v120
	v_add_f32_e32 v60, v61, v60
	s_delay_alu instid0(VALU_DEP_1)
	v_add_f32_e32 v60, v60, v118
	global_store_b32 v[58:59], v60, off
.LBB93_59:
	s_or_b32 exec_lo, exec_lo, s5
	v_add_nc_u32_e32 v58, 40, v48
	s_delay_alu instid0(VALU_DEP_1) | instskip(SKIP_1) | instid1(VALU_DEP_2)
	v_cmp_gt_i32_e64 s5, s16, v58
	v_ashrrev_i32_e32 v59, 31, v58
	s_and_b32 s7, s5, s8
	s_delay_alu instid0(SALU_CYCLE_1)
	s_and_saveexec_b32 s6, s7
	s_cbranch_execz .LBB93_64
; %bb.60:
	v_cmp_ne_u32_e32 vcc_lo, 1, v100
	v_lshlrev_b64 v[60:61], 2, v[58:59]
	s_cbranch_vccnz .LBB93_62
; %bb.61:
	s_delay_alu instid0(VALU_DEP_1) | instskip(NEXT) | instid1(VALU_DEP_2)
	v_add_co_u32 v118, vcc_lo, v128, v60
	v_add_co_ci_u32_e32 v119, vcc_lo, v129, v61, vcc_lo
	flat_load_b32 v118, v[118:119]
	s_waitcnt vmcnt(0) lgkmcnt(0)
	v_mul_f32_e32 v118, s13, v118
	s_branch .LBB93_63
.LBB93_62:
	v_mov_b32_e32 v118, 0
.LBB93_63:
	v_dual_max_f32 v119, v45, v45 :: v_dual_max_f32 v122, v12, v12
	v_dual_max_f32 v120, v13, v13 :: v_dual_max_f32 v121, v44, v44
	;; [unrolled: 1-line block ×3, first 2 shown]
	v_add_co_u32 v60, vcc_lo, v126, v60
	s_delay_alu instid0(VALU_DEP_3) | instskip(NEXT) | instid1(VALU_DEP_4)
	v_dual_min_f32 v119, v120, v119 :: v_dual_max_f32 v120, v14, v14
	v_min_f32_e32 v121, v122, v121
	v_max_f32_e32 v125, v15, v15
	v_add_co_ci_u32_e32 v61, vcc_lo, v127, v61, vcc_lo
	s_delay_alu instid0(VALU_DEP_4) | instskip(NEXT) | instid1(VALU_DEP_4)
	v_add_f32_e32 v63, v63, v119
	v_dual_min_f32 v119, v120, v123 :: v_dual_add_f32 v62, v62, v121
	s_delay_alu instid0(VALU_DEP_4) | instskip(NEXT) | instid1(VALU_DEP_1)
	v_min_f32_e32 v120, v125, v124
	v_dual_add_f32 v62, v62, v119 :: v_dual_add_f32 v63, v63, v120
	s_delay_alu instid0(VALU_DEP_1) | instskip(NEXT) | instid1(VALU_DEP_1)
	v_add_f32_e32 v62, v62, v63
	v_add_f32_e32 v62, v62, v118
	global_store_b32 v[60:61], v62, off
.LBB93_64:
	s_or_b32 exec_lo, exec_lo, s6
	v_add_nc_u32_e32 v60, 48, v48
	s_delay_alu instid0(VALU_DEP_1) | instskip(SKIP_1) | instid1(VALU_DEP_2)
	v_cmp_gt_i32_e64 s6, s16, v60
	v_ashrrev_i32_e32 v61, 31, v60
	s_and_b32 s15, s6, s8
	s_delay_alu instid0(SALU_CYCLE_1)
	s_and_saveexec_b32 s7, s15
	s_cbranch_execz .LBB93_69
; %bb.65:
	v_cmp_ne_u32_e32 vcc_lo, 1, v100
	v_lshlrev_b64 v[62:63], 2, v[60:61]
	s_cbranch_vccnz .LBB93_67
; %bb.66:
	s_delay_alu instid0(VALU_DEP_1) | instskip(NEXT) | instid1(VALU_DEP_2)
	v_add_co_u32 v118, vcc_lo, v128, v62
	v_add_co_ci_u32_e32 v119, vcc_lo, v129, v63, vcc_lo
	flat_load_b32 v118, v[118:119]
	s_waitcnt vmcnt(0) lgkmcnt(0)
	v_mul_f32_e32 v118, s13, v118
	s_branch .LBB93_68
.LBB93_67:
	v_mov_b32_e32 v118, 0
.LBB93_68:
	v_dual_max_f32 v119, v45, v45 :: v_dual_max_f32 v122, v8, v8
	v_dual_max_f32 v120, v9, v9 :: v_dual_max_f32 v121, v44, v44
	;; [unrolled: 1-line block ×3, first 2 shown]
	v_add_co_u32 v62, vcc_lo, v126, v62
	s_delay_alu instid0(VALU_DEP_3) | instskip(NEXT) | instid1(VALU_DEP_4)
	v_dual_min_f32 v119, v120, v119 :: v_dual_max_f32 v120, v10, v10
	v_min_f32_e32 v121, v122, v121
	v_add_co_ci_u32_e32 v63, vcc_lo, v127, v63, vcc_lo
	s_delay_alu instid0(VALU_DEP_3) | instskip(SKIP_3) | instid1(VALU_DEP_3)
	v_add_f32_e32 v64, v64, v119
	v_max_f32_e32 v125, v11, v11
	v_min_f32_e32 v119, v120, v123
	v_add_f32_e32 v65, v65, v121
	v_min_f32_e32 v120, v125, v124
	s_delay_alu instid0(VALU_DEP_1) | instskip(NEXT) | instid1(VALU_DEP_1)
	v_dual_add_f32 v65, v65, v119 :: v_dual_add_f32 v64, v64, v120
	v_add_f32_e32 v64, v65, v64
	s_delay_alu instid0(VALU_DEP_1)
	v_add_f32_e32 v64, v64, v118
	global_store_b32 v[62:63], v64, off
.LBB93_69:
	s_or_b32 exec_lo, exec_lo, s7
	v_add_nc_u32_e32 v62, 56, v48
	s_delay_alu instid0(VALU_DEP_1) | instskip(SKIP_1) | instid1(VALU_DEP_2)
	v_cmp_gt_i32_e64 s7, s16, v62
	v_ashrrev_i32_e32 v63, 31, v62
	s_and_b32 s15, s7, s8
	s_delay_alu instid0(SALU_CYCLE_1)
	s_and_saveexec_b32 s8, s15
	s_cbranch_execz .LBB93_74
; %bb.70:
	v_cmp_ne_u32_e32 vcc_lo, 1, v100
	v_lshlrev_b64 v[64:65], 2, v[62:63]
	s_cbranch_vccnz .LBB93_72
; %bb.71:
	s_delay_alu instid0(VALU_DEP_1) | instskip(NEXT) | instid1(VALU_DEP_2)
	v_add_co_u32 v118, vcc_lo, v128, v64
	v_add_co_ci_u32_e32 v119, vcc_lo, v129, v65, vcc_lo
	flat_load_b32 v118, v[118:119]
	s_waitcnt vmcnt(0) lgkmcnt(0)
	v_mul_f32_e32 v118, s13, v118
	s_branch .LBB93_73
.LBB93_72:
	v_mov_b32_e32 v118, 0
.LBB93_73:
	v_dual_max_f32 v45, v45, v45 :: v_dual_max_f32 v44, v44, v44
	v_dual_max_f32 v119, v1, v1 :: v_dual_max_f32 v120, v0, v0
	s_delay_alu instid0(VALU_DEP_1) | instskip(NEXT) | instid1(VALU_DEP_2)
	v_dual_max_f32 v46, v46, v46 :: v_dual_min_f32 v45, v119, v45
	v_dual_max_f32 v119, v2, v2 :: v_dual_min_f32 v44, v120, v44
	v_max_f32_e32 v47, v47, v47
	s_delay_alu instid0(VALU_DEP_2) | instskip(NEXT) | instid1(VALU_DEP_3)
	v_dual_add_f32 v45, v115, v45 :: v_dual_add_f32 v44, v116, v44
	v_min_f32_e32 v46, v119, v46
	s_delay_alu instid0(VALU_DEP_1) | instskip(NEXT) | instid1(VALU_DEP_1)
	v_dual_max_f32 v121, v3, v3 :: v_dual_add_f32 v44, v44, v46
	v_min_f32_e32 v47, v121, v47
	s_delay_alu instid0(VALU_DEP_1) | instskip(NEXT) | instid1(VALU_DEP_1)
	v_add_f32_e32 v45, v45, v47
	v_add_f32_e32 v44, v44, v45
	s_delay_alu instid0(VALU_DEP_1)
	v_add_f32_e32 v46, v44, v118
	v_add_co_u32 v44, vcc_lo, v126, v64
	v_add_co_ci_u32_e32 v45, vcc_lo, v127, v65, vcc_lo
	global_store_b32 v[44:45], v46, off
.LBB93_74:
	s_or_b32 exec_lo, exec_lo, s8
	v_add_nc_u32_e32 v64, 32, v117
	s_delay_alu instid0(VALU_DEP_1) | instskip(SKIP_2) | instid1(VALU_DEP_3)
	v_mad_i64_i32 v[44:45], null, v64, s18, 0
	v_mad_i64_i32 v[46:47], null, v64, s9, 0
	v_cmp_gt_i32_e64 s8, s17, v64
	v_lshlrev_b64 v[44:45], 2, v[44:45]
	s_delay_alu instid0(VALU_DEP_2) | instskip(NEXT) | instid1(VALU_DEP_3)
	s_and_b32 s16, s0, s8
	v_lshlrev_b64 v[46:47], 2, v[46:47]
	s_delay_alu instid0(VALU_DEP_2) | instskip(NEXT) | instid1(VALU_DEP_3)
	v_add_co_u32 v64, vcc_lo, s10, v44
	v_add_co_ci_u32_e32 v65, vcc_lo, s11, v45, vcc_lo
	s_delay_alu instid0(VALU_DEP_3) | instskip(NEXT) | instid1(VALU_DEP_4)
	v_add_co_u32 v46, vcc_lo, s12, v46
	v_add_co_ci_u32_e32 v47, vcc_lo, s14, v47, vcc_lo
	s_and_saveexec_b32 s15, s16
	s_cbranch_execnz .LBB93_82
; %bb.75:
	s_or_b32 exec_lo, exec_lo, s15
	s_and_b32 s16, s1, s8
	s_delay_alu instid0(SALU_CYCLE_1)
	s_and_saveexec_b32 s15, s16
	s_cbranch_execnz .LBB93_86
.LBB93_76:
	s_or_b32 exec_lo, exec_lo, s15
	s_and_b32 s16, s2, s8
	s_delay_alu instid0(SALU_CYCLE_1)
	s_and_saveexec_b32 s15, s16
	s_cbranch_execnz .LBB93_90
.LBB93_77:
	s_or_b32 exec_lo, exec_lo, s15
	s_and_b32 s16, s3, s8
	s_delay_alu instid0(SALU_CYCLE_1)
	s_and_saveexec_b32 s15, s16
	s_cbranch_execnz .LBB93_94
.LBB93_78:
	s_or_b32 exec_lo, exec_lo, s15
	s_and_b32 s16, s4, s8
	s_delay_alu instid0(SALU_CYCLE_1)
	s_and_saveexec_b32 s15, s16
	s_cbranch_execnz .LBB93_98
.LBB93_79:
	s_or_b32 exec_lo, exec_lo, s15
	s_and_b32 s16, s5, s8
	s_delay_alu instid0(SALU_CYCLE_1)
	s_and_saveexec_b32 s15, s16
	s_cbranch_execnz .LBB93_102
.LBB93_80:
	s_or_b32 exec_lo, exec_lo, s15
	s_and_b32 s16, s6, s8
	s_delay_alu instid0(SALU_CYCLE_1)
	s_and_saveexec_b32 s15, s16
	s_cbranch_execnz .LBB93_106
.LBB93_81:
	s_or_b32 exec_lo, exec_lo, s15
	s_and_b32 s15, s7, s8
	s_delay_alu instid0(SALU_CYCLE_1)
	s_and_saveexec_b32 s8, s15
	s_cbranch_execnz .LBB93_110
	s_branch .LBB93_114
.LBB93_82:
	v_cmp_ne_u32_e32 vcc_lo, 1, v100
	v_lshlrev_b64 v[44:45], 2, v[48:49]
	s_cbranch_vccnz .LBB93_84
; %bb.83:
	s_delay_alu instid0(VALU_DEP_1) | instskip(NEXT) | instid1(VALU_DEP_2)
	v_add_co_u32 v115, vcc_lo, v64, v44
	v_add_co_ci_u32_e32 v116, vcc_lo, v65, v45, vcc_lo
	flat_load_b32 v115, v[115:116]
	s_waitcnt vmcnt(0) lgkmcnt(0)
	v_mul_f32_e32 v115, s13, v115
	s_branch .LBB93_85
.LBB93_84:
	v_mov_b32_e32 v115, 0
.LBB93_85:
	v_dual_max_f32 v116, v41, v41 :: v_dual_max_f32 v119, v40, v40
	v_dual_max_f32 v118, v33, v33 :: v_dual_max_f32 v121, v42, v42
	;; [unrolled: 1-line block ×3, first 2 shown]
	v_add_co_u32 v44, vcc_lo, v46, v44
	s_delay_alu instid0(VALU_DEP_2) | instskip(SKIP_2) | instid1(VALU_DEP_3)
	v_dual_min_f32 v116, v118, v116 :: v_dual_min_f32 v119, v120, v119
	v_max_f32_e32 v118, v34, v34
	v_add_co_ci_u32_e32 v45, vcc_lo, v47, v45, vcc_lo
	v_dual_add_f32 v113, v113, v116 :: v_dual_max_f32 v122, v43, v43
	s_delay_alu instid0(VALU_DEP_3) | instskip(SKIP_1) | instid1(VALU_DEP_1)
	v_min_f32_e32 v116, v118, v121
	v_add_f32_e32 v114, v114, v119
	v_add_f32_e32 v114, v114, v116
	s_delay_alu instid0(VALU_DEP_4) | instskip(NEXT) | instid1(VALU_DEP_1)
	v_min_f32_e32 v118, v123, v122
	v_add_f32_e32 v113, v113, v118
	s_delay_alu instid0(VALU_DEP_1) | instskip(NEXT) | instid1(VALU_DEP_1)
	v_add_f32_e32 v113, v114, v113
	v_add_f32_e32 v113, v113, v115
	global_store_b32 v[44:45], v113, off
	s_or_b32 exec_lo, exec_lo, s15
	s_and_b32 s16, s1, s8
	s_delay_alu instid0(SALU_CYCLE_1)
	s_and_saveexec_b32 s15, s16
	s_cbranch_execz .LBB93_76
.LBB93_86:
	v_cmp_ne_u32_e32 vcc_lo, 1, v100
	v_lshlrev_b64 v[44:45], 2, v[50:51]
	s_cbranch_vccnz .LBB93_88
; %bb.87:
	s_delay_alu instid0(VALU_DEP_1) | instskip(NEXT) | instid1(VALU_DEP_2)
	v_add_co_u32 v113, vcc_lo, v64, v44
	v_add_co_ci_u32_e32 v114, vcc_lo, v65, v45, vcc_lo
	flat_load_b32 v113, v[113:114]
	s_waitcnt vmcnt(0) lgkmcnt(0)
	v_mul_f32_e32 v113, s13, v113
	s_branch .LBB93_89
.LBB93_88:
	v_mov_b32_e32 v113, 0
.LBB93_89:
	v_dual_max_f32 v114, v41, v41 :: v_dual_max_f32 v119, v42, v42
	v_dual_max_f32 v115, v29, v29 :: v_dual_max_f32 v116, v40, v40
	v_max_f32_e32 v118, v28, v28
	v_max_f32_e32 v120, v43, v43
	;; [unrolled: 1-line block ×3, first 2 shown]
	s_delay_alu instid0(VALU_DEP_4) | instskip(SKIP_3) | instid1(VALU_DEP_4)
	v_min_f32_e32 v114, v115, v114
	v_max_f32_e32 v115, v30, v30
	v_min_f32_e32 v116, v118, v116
	v_add_co_u32 v44, vcc_lo, v46, v44
	v_add_f32_e32 v111, v111, v114
	s_delay_alu instid0(VALU_DEP_4) | instskip(NEXT) | instid1(VALU_DEP_4)
	v_min_f32_e32 v114, v115, v119
	v_add_f32_e32 v112, v112, v116
	v_min_f32_e32 v115, v121, v120
	v_add_co_ci_u32_e32 v45, vcc_lo, v47, v45, vcc_lo
	s_delay_alu instid0(VALU_DEP_2) | instskip(NEXT) | instid1(VALU_DEP_1)
	v_dual_add_f32 v112, v112, v114 :: v_dual_add_f32 v111, v111, v115
	v_add_f32_e32 v111, v112, v111
	s_delay_alu instid0(VALU_DEP_1) | instskip(SKIP_3) | instid1(SALU_CYCLE_1)
	v_add_f32_e32 v111, v111, v113
	global_store_b32 v[44:45], v111, off
	s_or_b32 exec_lo, exec_lo, s15
	s_and_b32 s16, s2, s8
	s_and_saveexec_b32 s15, s16
	s_cbranch_execz .LBB93_77
.LBB93_90:
	v_cmp_ne_u32_e32 vcc_lo, 1, v100
	v_lshlrev_b64 v[44:45], 2, v[52:53]
	s_cbranch_vccnz .LBB93_92
; %bb.91:
	s_delay_alu instid0(VALU_DEP_1) | instskip(NEXT) | instid1(VALU_DEP_2)
	v_add_co_u32 v111, vcc_lo, v64, v44
	v_add_co_ci_u32_e32 v112, vcc_lo, v65, v45, vcc_lo
	flat_load_b32 v111, v[111:112]
	s_waitcnt vmcnt(0) lgkmcnt(0)
	v_mul_f32_e32 v111, s13, v111
	s_branch .LBB93_93
.LBB93_92:
	v_mov_b32_e32 v111, 0
.LBB93_93:
	v_dual_max_f32 v112, v41, v41 :: v_dual_max_f32 v115, v24, v24
	v_dual_max_f32 v113, v25, v25 :: v_dual_max_f32 v114, v40, v40
	v_dual_max_f32 v116, v42, v42 :: v_dual_max_f32 v119, v27, v27
	v_add_co_u32 v44, vcc_lo, v46, v44
	s_delay_alu instid0(VALU_DEP_3) | instskip(SKIP_1) | instid1(VALU_DEP_2)
	v_dual_min_f32 v112, v113, v112 :: v_dual_max_f32 v113, v26, v26
	v_add_co_ci_u32_e32 v45, vcc_lo, v47, v45, vcc_lo
	v_add_f32_e32 v110, v110, v112
	s_delay_alu instid0(VALU_DEP_3) | instskip(SKIP_1) | instid1(VALU_DEP_1)
	v_min_f32_e32 v112, v113, v116
	v_min_f32_e32 v114, v115, v114
	v_dual_max_f32 v118, v43, v43 :: v_dual_add_f32 v109, v109, v114
	s_delay_alu instid0(VALU_DEP_1) | instskip(NEXT) | instid1(VALU_DEP_1)
	v_min_f32_e32 v113, v119, v118
	v_dual_add_f32 v109, v109, v112 :: v_dual_add_f32 v110, v110, v113
	s_delay_alu instid0(VALU_DEP_1) | instskip(NEXT) | instid1(VALU_DEP_1)
	v_add_f32_e32 v109, v109, v110
	v_add_f32_e32 v109, v109, v111
	global_store_b32 v[44:45], v109, off
	s_or_b32 exec_lo, exec_lo, s15
	s_and_b32 s16, s3, s8
	s_delay_alu instid0(SALU_CYCLE_1)
	s_and_saveexec_b32 s15, s16
	s_cbranch_execz .LBB93_78
.LBB93_94:
	v_cmp_ne_u32_e32 vcc_lo, 1, v100
	v_lshlrev_b64 v[44:45], 2, v[54:55]
	s_cbranch_vccnz .LBB93_96
; %bb.95:
	s_delay_alu instid0(VALU_DEP_1) | instskip(NEXT) | instid1(VALU_DEP_2)
	v_add_co_u32 v109, vcc_lo, v64, v44
	v_add_co_ci_u32_e32 v110, vcc_lo, v65, v45, vcc_lo
	flat_load_b32 v109, v[109:110]
	s_waitcnt vmcnt(0) lgkmcnt(0)
	v_mul_f32_e32 v109, s13, v109
	s_branch .LBB93_97
.LBB93_96:
	v_mov_b32_e32 v109, 0
.LBB93_97:
	v_dual_max_f32 v110, v41, v41 :: v_dual_max_f32 v113, v20, v20
	v_dual_max_f32 v111, v21, v21 :: v_dual_max_f32 v112, v40, v40
	;; [unrolled: 1-line block ×3, first 2 shown]
	v_max_f32_e32 v116, v23, v23
	s_delay_alu instid0(VALU_DEP_3) | instskip(NEXT) | instid1(VALU_DEP_4)
	v_min_f32_e32 v110, v111, v110
	v_dual_max_f32 v111, v22, v22 :: v_dual_min_f32 v112, v113, v112
	v_add_co_u32 v44, vcc_lo, v46, v44
	s_delay_alu instid0(VALU_DEP_3) | instskip(NEXT) | instid1(VALU_DEP_3)
	v_add_f32_e32 v107, v107, v110
	v_dual_min_f32 v110, v111, v114 :: v_dual_min_f32 v111, v116, v115
	s_delay_alu instid0(VALU_DEP_4) | instskip(SKIP_1) | instid1(VALU_DEP_2)
	v_add_f32_e32 v108, v108, v112
	v_add_co_ci_u32_e32 v45, vcc_lo, v47, v45, vcc_lo
	v_dual_add_f32 v107, v107, v111 :: v_dual_add_f32 v108, v108, v110
	s_delay_alu instid0(VALU_DEP_1) | instskip(NEXT) | instid1(VALU_DEP_1)
	v_add_f32_e32 v107, v108, v107
	v_add_f32_e32 v107, v107, v109
	global_store_b32 v[44:45], v107, off
	s_or_b32 exec_lo, exec_lo, s15
	s_and_b32 s16, s4, s8
	s_delay_alu instid0(SALU_CYCLE_1)
	s_and_saveexec_b32 s15, s16
	s_cbranch_execz .LBB93_79
.LBB93_98:
	v_cmp_ne_u32_e32 vcc_lo, 1, v100
	v_lshlrev_b64 v[44:45], 2, v[56:57]
	s_cbranch_vccnz .LBB93_100
; %bb.99:
	s_delay_alu instid0(VALU_DEP_1) | instskip(NEXT) | instid1(VALU_DEP_2)
	v_add_co_u32 v107, vcc_lo, v64, v44
	v_add_co_ci_u32_e32 v108, vcc_lo, v65, v45, vcc_lo
	flat_load_b32 v107, v[107:108]
	s_waitcnt vmcnt(0) lgkmcnt(0)
	v_mul_f32_e32 v107, s13, v107
	s_branch .LBB93_101
.LBB93_100:
	v_mov_b32_e32 v107, 0
.LBB93_101:
	v_dual_max_f32 v108, v41, v41 :: v_dual_max_f32 v111, v16, v16
	v_dual_max_f32 v109, v17, v17 :: v_dual_max_f32 v110, v40, v40
	;; [unrolled: 1-line block ×3, first 2 shown]
	v_add_co_u32 v44, vcc_lo, v46, v44
	s_delay_alu instid0(VALU_DEP_3) | instskip(SKIP_2) | instid1(VALU_DEP_3)
	v_dual_min_f32 v108, v109, v108 :: v_dual_max_f32 v109, v18, v18
	v_max_f32_e32 v114, v19, v19
	v_add_co_ci_u32_e32 v45, vcc_lo, v47, v45, vcc_lo
	v_dual_add_f32 v105, v105, v108 :: v_dual_min_f32 v110, v111, v110
	s_delay_alu instid0(VALU_DEP_3) | instskip(NEXT) | instid1(VALU_DEP_1)
	v_dual_min_f32 v108, v109, v112 :: v_dual_min_f32 v109, v114, v113
	v_dual_add_f32 v106, v106, v110 :: v_dual_add_f32 v105, v105, v109
	s_delay_alu instid0(VALU_DEP_1) | instskip(NEXT) | instid1(VALU_DEP_1)
	v_add_f32_e32 v106, v106, v108
	v_add_f32_e32 v105, v106, v105
	s_delay_alu instid0(VALU_DEP_1) | instskip(SKIP_3) | instid1(SALU_CYCLE_1)
	v_add_f32_e32 v105, v105, v107
	global_store_b32 v[44:45], v105, off
	s_or_b32 exec_lo, exec_lo, s15
	s_and_b32 s16, s5, s8
	s_and_saveexec_b32 s15, s16
	s_cbranch_execz .LBB93_80
.LBB93_102:
	v_cmp_ne_u32_e32 vcc_lo, 1, v100
	v_lshlrev_b64 v[44:45], 2, v[58:59]
	s_cbranch_vccnz .LBB93_104
; %bb.103:
	s_delay_alu instid0(VALU_DEP_1) | instskip(NEXT) | instid1(VALU_DEP_2)
	v_add_co_u32 v105, vcc_lo, v64, v44
	v_add_co_ci_u32_e32 v106, vcc_lo, v65, v45, vcc_lo
	flat_load_b32 v105, v[105:106]
	s_waitcnt vmcnt(0) lgkmcnt(0)
	v_mul_f32_e32 v105, s13, v105
	s_branch .LBB93_105
.LBB93_104:
	v_mov_b32_e32 v105, 0
.LBB93_105:
	v_dual_max_f32 v106, v41, v41 :: v_dual_max_f32 v109, v12, v12
	v_dual_max_f32 v107, v13, v13 :: v_dual_max_f32 v108, v40, v40
	;; [unrolled: 1-line block ×3, first 2 shown]
	v_max_f32_e32 v112, v15, v15
	s_delay_alu instid0(VALU_DEP_3) | instskip(NEXT) | instid1(VALU_DEP_4)
	v_min_f32_e32 v106, v107, v106
	v_dual_max_f32 v107, v14, v14 :: v_dual_min_f32 v108, v109, v108
	v_add_co_u32 v44, vcc_lo, v46, v44
	s_delay_alu instid0(VALU_DEP_3) | instskip(NEXT) | instid1(VALU_DEP_3)
	v_add_f32_e32 v103, v103, v106
	v_dual_min_f32 v106, v107, v110 :: v_dual_min_f32 v107, v112, v111
	s_delay_alu instid0(VALU_DEP_4) | instskip(SKIP_1) | instid1(VALU_DEP_2)
	v_add_f32_e32 v104, v104, v108
	v_add_co_ci_u32_e32 v45, vcc_lo, v47, v45, vcc_lo
	v_dual_add_f32 v103, v103, v107 :: v_dual_add_f32 v104, v104, v106
	s_delay_alu instid0(VALU_DEP_1) | instskip(NEXT) | instid1(VALU_DEP_1)
	v_add_f32_e32 v103, v104, v103
	v_add_f32_e32 v103, v103, v105
	global_store_b32 v[44:45], v103, off
	s_or_b32 exec_lo, exec_lo, s15
	s_and_b32 s16, s6, s8
	s_delay_alu instid0(SALU_CYCLE_1)
	s_and_saveexec_b32 s15, s16
	s_cbranch_execz .LBB93_81
.LBB93_106:
	v_cmp_ne_u32_e32 vcc_lo, 1, v100
	v_lshlrev_b64 v[44:45], 2, v[60:61]
	s_cbranch_vccnz .LBB93_108
; %bb.107:
	s_delay_alu instid0(VALU_DEP_1) | instskip(NEXT) | instid1(VALU_DEP_2)
	v_add_co_u32 v103, vcc_lo, v64, v44
	v_add_co_ci_u32_e32 v104, vcc_lo, v65, v45, vcc_lo
	flat_load_b32 v103, v[103:104]
	s_waitcnt vmcnt(0) lgkmcnt(0)
	v_mul_f32_e32 v103, s13, v103
	s_branch .LBB93_109
.LBB93_108:
	v_mov_b32_e32 v103, 0
.LBB93_109:
	v_dual_max_f32 v104, v41, v41 :: v_dual_max_f32 v107, v8, v8
	v_dual_max_f32 v105, v9, v9 :: v_dual_max_f32 v106, v40, v40
	;; [unrolled: 1-line block ×3, first 2 shown]
	v_add_co_u32 v44, vcc_lo, v46, v44
	s_delay_alu instid0(VALU_DEP_3) | instskip(SKIP_2) | instid1(VALU_DEP_3)
	v_dual_min_f32 v104, v105, v104 :: v_dual_max_f32 v105, v10, v10
	v_max_f32_e32 v110, v11, v11
	v_add_co_ci_u32_e32 v45, vcc_lo, v47, v45, vcc_lo
	v_dual_add_f32 v101, v101, v104 :: v_dual_min_f32 v106, v107, v106
	s_delay_alu instid0(VALU_DEP_3) | instskip(NEXT) | instid1(VALU_DEP_1)
	v_dual_min_f32 v104, v105, v108 :: v_dual_min_f32 v105, v110, v109
	v_dual_add_f32 v102, v102, v106 :: v_dual_add_f32 v101, v101, v105
	s_delay_alu instid0(VALU_DEP_1) | instskip(NEXT) | instid1(VALU_DEP_1)
	v_add_f32_e32 v102, v102, v104
	v_add_f32_e32 v101, v102, v101
	s_delay_alu instid0(VALU_DEP_1) | instskip(SKIP_3) | instid1(SALU_CYCLE_1)
	v_add_f32_e32 v101, v101, v103
	global_store_b32 v[44:45], v101, off
	s_or_b32 exec_lo, exec_lo, s15
	s_and_b32 s15, s7, s8
	s_and_saveexec_b32 s8, s15
	s_cbranch_execz .LBB93_114
.LBB93_110:
	v_cmp_ne_u32_e32 vcc_lo, 1, v100
	v_lshlrev_b64 v[44:45], 2, v[62:63]
	s_cbranch_vccnz .LBB93_112
; %bb.111:
	s_delay_alu instid0(VALU_DEP_1) | instskip(NEXT) | instid1(VALU_DEP_2)
	v_add_co_u32 v64, vcc_lo, v64, v44
	v_add_co_ci_u32_e32 v65, vcc_lo, v65, v45, vcc_lo
	flat_load_b32 v64, v[64:65]
	s_waitcnt vmcnt(0) lgkmcnt(0)
	v_mul_f32_e32 v64, s13, v64
	s_branch .LBB93_113
.LBB93_112:
	v_mov_b32_e32 v64, 0
.LBB93_113:
	v_dual_max_f32 v41, v41, v41 :: v_dual_max_f32 v40, v40, v40
	v_dual_max_f32 v65, v1, v1 :: v_dual_max_f32 v42, v42, v42
	;; [unrolled: 1-line block ×3, first 2 shown]
	s_delay_alu instid0(VALU_DEP_1) | instskip(NEXT) | instid1(VALU_DEP_1)
	v_dual_max_f32 v43, v43, v43 :: v_dual_min_f32 v40, v101, v40
	v_dual_min_f32 v41, v65, v41 :: v_dual_add_f32 v40, v98, v40
	s_delay_alu instid0(VALU_DEP_1) | instskip(NEXT) | instid1(VALU_DEP_3)
	v_add_f32_e32 v41, v99, v41
	v_min_f32_e32 v43, v102, v43
	s_delay_alu instid0(VALU_DEP_1) | instskip(SKIP_1) | instid1(VALU_DEP_1)
	v_add_f32_e32 v41, v41, v43
	v_max_f32_e32 v65, v2, v2
	v_min_f32_e32 v42, v65, v42
	s_delay_alu instid0(VALU_DEP_1) | instskip(NEXT) | instid1(VALU_DEP_1)
	v_add_f32_e32 v40, v40, v42
	v_add_f32_e32 v40, v40, v41
	s_delay_alu instid0(VALU_DEP_1)
	v_add_f32_e32 v42, v40, v64
	v_add_co_u32 v40, vcc_lo, v46, v44
	v_add_co_ci_u32_e32 v41, vcc_lo, v47, v45, vcc_lo
	global_store_b32 v[40:41], v42, off
.LBB93_114:
	s_or_b32 exec_lo, exec_lo, s8
	v_add_nc_u32_e32 v44, 64, v117
	s_delay_alu instid0(VALU_DEP_1) | instskip(SKIP_2) | instid1(VALU_DEP_3)
	v_mad_i64_i32 v[40:41], null, v44, s18, 0
	v_mad_i64_i32 v[42:43], null, v44, s9, 0
	v_cmp_gt_i32_e64 s8, s17, v44
	v_lshlrev_b64 v[40:41], 2, v[40:41]
	s_delay_alu instid0(VALU_DEP_2) | instskip(NEXT) | instid1(VALU_DEP_3)
	s_and_b32 s16, s0, s8
	v_lshlrev_b64 v[42:43], 2, v[42:43]
	s_delay_alu instid0(VALU_DEP_2) | instskip(NEXT) | instid1(VALU_DEP_3)
	v_add_co_u32 v44, vcc_lo, s10, v40
	v_add_co_ci_u32_e32 v45, vcc_lo, s11, v41, vcc_lo
	s_delay_alu instid0(VALU_DEP_3) | instskip(NEXT) | instid1(VALU_DEP_4)
	v_add_co_u32 v42, vcc_lo, s12, v42
	v_add_co_ci_u32_e32 v43, vcc_lo, s14, v43, vcc_lo
	s_and_saveexec_b32 s15, s16
	s_cbranch_execnz .LBB93_122
; %bb.115:
	s_or_b32 exec_lo, exec_lo, s15
	s_and_b32 s16, s1, s8
	s_delay_alu instid0(SALU_CYCLE_1)
	s_and_saveexec_b32 s15, s16
	s_cbranch_execnz .LBB93_126
.LBB93_116:
	s_or_b32 exec_lo, exec_lo, s15
	s_and_b32 s16, s2, s8
	s_delay_alu instid0(SALU_CYCLE_1)
	s_and_saveexec_b32 s15, s16
	s_cbranch_execnz .LBB93_130
.LBB93_117:
	s_or_b32 exec_lo, exec_lo, s15
	s_and_b32 s16, s3, s8
	s_delay_alu instid0(SALU_CYCLE_1)
	s_and_saveexec_b32 s15, s16
	s_cbranch_execnz .LBB93_134
.LBB93_118:
	s_or_b32 exec_lo, exec_lo, s15
	s_and_b32 s16, s4, s8
	s_delay_alu instid0(SALU_CYCLE_1)
	s_and_saveexec_b32 s15, s16
	s_cbranch_execnz .LBB93_138
.LBB93_119:
	s_or_b32 exec_lo, exec_lo, s15
	s_and_b32 s16, s5, s8
	s_delay_alu instid0(SALU_CYCLE_1)
	s_and_saveexec_b32 s15, s16
	s_cbranch_execnz .LBB93_142
.LBB93_120:
	s_or_b32 exec_lo, exec_lo, s15
	s_and_b32 s16, s6, s8
	s_delay_alu instid0(SALU_CYCLE_1)
	s_and_saveexec_b32 s15, s16
	s_cbranch_execnz .LBB93_146
.LBB93_121:
	s_or_b32 exec_lo, exec_lo, s15
	s_and_b32 s15, s7, s8
	s_delay_alu instid0(SALU_CYCLE_1)
	s_and_saveexec_b32 s8, s15
	s_cbranch_execnz .LBB93_150
	s_branch .LBB93_154
.LBB93_122:
	v_cmp_ne_u32_e32 vcc_lo, 1, v100
	v_lshlrev_b64 v[40:41], 2, v[48:49]
	s_cbranch_vccnz .LBB93_124
; %bb.123:
	s_delay_alu instid0(VALU_DEP_1) | instskip(NEXT) | instid1(VALU_DEP_2)
	v_add_co_u32 v46, vcc_lo, v44, v40
	v_add_co_ci_u32_e32 v47, vcc_lo, v45, v41, vcc_lo
	flat_load_b32 v46, v[46:47]
	s_waitcnt vmcnt(0) lgkmcnt(0)
	v_mul_f32_e32 v46, s13, v46
	s_branch .LBB93_125
.LBB93_124:
	v_mov_b32_e32 v46, 0
.LBB93_125:
	v_dual_max_f32 v47, v37, v37 :: v_dual_max_f32 v98, v32, v32
	v_dual_max_f32 v64, v33, v33 :: v_dual_max_f32 v65, v36, v36
	v_dual_max_f32 v99, v38, v38 :: v_dual_max_f32 v102, v35, v35
	v_add_co_u32 v40, vcc_lo, v42, v40
	s_delay_alu instid0(VALU_DEP_3) | instskip(NEXT) | instid1(VALU_DEP_4)
	v_dual_min_f32 v47, v64, v47 :: v_dual_max_f32 v64, v34, v34
	v_min_f32_e32 v65, v98, v65
	v_add_co_ci_u32_e32 v41, vcc_lo, v43, v41, vcc_lo
	s_delay_alu instid0(VALU_DEP_3) | instskip(NEXT) | instid1(VALU_DEP_4)
	v_add_f32_e32 v47, v97, v47
	v_min_f32_e32 v64, v64, v99
	s_delay_alu instid0(VALU_DEP_4) | instskip(NEXT) | instid1(VALU_DEP_1)
	v_add_f32_e32 v65, v96, v65
	v_dual_max_f32 v101, v39, v39 :: v_dual_add_f32 v64, v65, v64
	s_delay_alu instid0(VALU_DEP_1) | instskip(NEXT) | instid1(VALU_DEP_1)
	v_min_f32_e32 v97, v102, v101
	v_add_f32_e32 v47, v47, v97
	s_delay_alu instid0(VALU_DEP_1) | instskip(NEXT) | instid1(VALU_DEP_1)
	v_add_f32_e32 v47, v64, v47
	v_add_f32_e32 v46, v47, v46
	global_store_b32 v[40:41], v46, off
	s_or_b32 exec_lo, exec_lo, s15
	s_and_b32 s16, s1, s8
	s_delay_alu instid0(SALU_CYCLE_1)
	s_and_saveexec_b32 s15, s16
	s_cbranch_execz .LBB93_116
.LBB93_126:
	v_cmp_ne_u32_e32 vcc_lo, 1, v100
	v_lshlrev_b64 v[40:41], 2, v[50:51]
	s_cbranch_vccnz .LBB93_128
; %bb.127:
	s_delay_alu instid0(VALU_DEP_1) | instskip(NEXT) | instid1(VALU_DEP_2)
	v_add_co_u32 v46, vcc_lo, v44, v40
	v_add_co_ci_u32_e32 v47, vcc_lo, v45, v41, vcc_lo
	flat_load_b32 v46, v[46:47]
	s_waitcnt vmcnt(0) lgkmcnt(0)
	v_mul_f32_e32 v46, s13, v46
	s_branch .LBB93_129
.LBB93_128:
	v_mov_b32_e32 v46, 0
.LBB93_129:
	v_dual_max_f32 v47, v37, v37 :: v_dual_max_f32 v96, v28, v28
	v_dual_max_f32 v64, v29, v29 :: v_dual_max_f32 v65, v36, v36
	;; [unrolled: 1-line block ×3, first 2 shown]
	v_add_co_u32 v40, vcc_lo, v42, v40
	s_delay_alu instid0(VALU_DEP_3) | instskip(SKIP_2) | instid1(VALU_DEP_3)
	v_dual_min_f32 v47, v64, v47 :: v_dual_max_f32 v64, v30, v30
	v_max_f32_e32 v99, v31, v31
	v_add_co_ci_u32_e32 v41, vcc_lo, v43, v41, vcc_lo
	v_min_f32_e32 v64, v64, v97
	v_min_f32_e32 v65, v96, v65
	s_delay_alu instid0(VALU_DEP_4) | instskip(NEXT) | instid1(VALU_DEP_2)
	v_dual_add_f32 v47, v94, v47 :: v_dual_min_f32 v94, v99, v98
	v_add_f32_e32 v65, v95, v65
	s_delay_alu instid0(VALU_DEP_1) | instskip(NEXT) | instid1(VALU_DEP_1)
	v_dual_add_f32 v64, v65, v64 :: v_dual_add_f32 v47, v47, v94
	v_add_f32_e32 v47, v64, v47
	s_delay_alu instid0(VALU_DEP_1) | instskip(SKIP_3) | instid1(SALU_CYCLE_1)
	v_add_f32_e32 v46, v47, v46
	global_store_b32 v[40:41], v46, off
	s_or_b32 exec_lo, exec_lo, s15
	s_and_b32 s16, s2, s8
	s_and_saveexec_b32 s15, s16
	s_cbranch_execz .LBB93_117
.LBB93_130:
	v_cmp_ne_u32_e32 vcc_lo, 1, v100
	v_lshlrev_b64 v[40:41], 2, v[52:53]
	s_cbranch_vccnz .LBB93_132
; %bb.131:
	s_delay_alu instid0(VALU_DEP_1) | instskip(NEXT) | instid1(VALU_DEP_2)
	v_add_co_u32 v46, vcc_lo, v44, v40
	v_add_co_ci_u32_e32 v47, vcc_lo, v45, v41, vcc_lo
	flat_load_b32 v46, v[46:47]
	s_waitcnt vmcnt(0) lgkmcnt(0)
	v_mul_f32_e32 v46, s13, v46
	s_branch .LBB93_133
.LBB93_132:
	v_mov_b32_e32 v46, 0
.LBB93_133:
	v_dual_max_f32 v47, v37, v37 :: v_dual_max_f32 v94, v24, v24
	v_dual_max_f32 v64, v25, v25 :: v_dual_max_f32 v65, v36, v36
	;; [unrolled: 1-line block ×3, first 2 shown]
	v_add_co_u32 v40, vcc_lo, v42, v40
	s_delay_alu instid0(VALU_DEP_3) | instskip(NEXT) | instid1(VALU_DEP_4)
	v_dual_min_f32 v47, v64, v47 :: v_dual_max_f32 v64, v26, v26
	v_min_f32_e32 v65, v94, v65
	v_add_co_ci_u32_e32 v41, vcc_lo, v43, v41, vcc_lo
	s_delay_alu instid0(VALU_DEP_2) | instskip(NEXT) | instid1(VALU_DEP_1)
	v_dual_min_f32 v64, v64, v95 :: v_dual_add_f32 v65, v93, v65
	v_dual_max_f32 v97, v27, v27 :: v_dual_add_f32 v64, v65, v64
	s_delay_alu instid0(VALU_DEP_1) | instskip(NEXT) | instid1(VALU_DEP_1)
	v_dual_add_f32 v47, v92, v47 :: v_dual_min_f32 v92, v97, v96
	v_add_f32_e32 v47, v47, v92
	s_delay_alu instid0(VALU_DEP_1) | instskip(NEXT) | instid1(VALU_DEP_1)
	v_add_f32_e32 v47, v64, v47
	v_add_f32_e32 v46, v47, v46
	global_store_b32 v[40:41], v46, off
	s_or_b32 exec_lo, exec_lo, s15
	s_and_b32 s16, s3, s8
	s_delay_alu instid0(SALU_CYCLE_1)
	s_and_saveexec_b32 s15, s16
	s_cbranch_execz .LBB93_118
.LBB93_134:
	v_cmp_ne_u32_e32 vcc_lo, 1, v100
	v_lshlrev_b64 v[40:41], 2, v[54:55]
	s_cbranch_vccnz .LBB93_136
; %bb.135:
	s_delay_alu instid0(VALU_DEP_1) | instskip(NEXT) | instid1(VALU_DEP_2)
	v_add_co_u32 v46, vcc_lo, v44, v40
	v_add_co_ci_u32_e32 v47, vcc_lo, v45, v41, vcc_lo
	flat_load_b32 v46, v[46:47]
	s_waitcnt vmcnt(0) lgkmcnt(0)
	v_mul_f32_e32 v46, s13, v46
	s_branch .LBB93_137
.LBB93_136:
	v_mov_b32_e32 v46, 0
.LBB93_137:
	v_dual_max_f32 v47, v37, v37 :: v_dual_max_f32 v92, v20, v20
	v_dual_max_f32 v64, v21, v21 :: v_dual_max_f32 v65, v36, v36
	;; [unrolled: 1-line block ×3, first 2 shown]
	v_add_co_u32 v40, vcc_lo, v42, v40
	s_delay_alu instid0(VALU_DEP_3) | instskip(SKIP_2) | instid1(VALU_DEP_3)
	v_dual_min_f32 v47, v64, v47 :: v_dual_max_f32 v64, v22, v22
	v_max_f32_e32 v95, v23, v23
	v_add_co_ci_u32_e32 v41, vcc_lo, v43, v41, vcc_lo
	v_min_f32_e32 v64, v64, v93
	v_min_f32_e32 v65, v92, v65
	s_delay_alu instid0(VALU_DEP_4) | instskip(NEXT) | instid1(VALU_DEP_2)
	v_dual_add_f32 v47, v90, v47 :: v_dual_min_f32 v90, v95, v94
	v_add_f32_e32 v65, v91, v65
	s_delay_alu instid0(VALU_DEP_1) | instskip(NEXT) | instid1(VALU_DEP_1)
	v_dual_add_f32 v64, v65, v64 :: v_dual_add_f32 v47, v47, v90
	v_add_f32_e32 v47, v64, v47
	s_delay_alu instid0(VALU_DEP_1) | instskip(SKIP_3) | instid1(SALU_CYCLE_1)
	v_add_f32_e32 v46, v47, v46
	global_store_b32 v[40:41], v46, off
	s_or_b32 exec_lo, exec_lo, s15
	s_and_b32 s16, s4, s8
	s_and_saveexec_b32 s15, s16
	s_cbranch_execz .LBB93_119
.LBB93_138:
	v_cmp_ne_u32_e32 vcc_lo, 1, v100
	v_lshlrev_b64 v[40:41], 2, v[56:57]
	s_cbranch_vccnz .LBB93_140
; %bb.139:
	s_delay_alu instid0(VALU_DEP_1) | instskip(NEXT) | instid1(VALU_DEP_2)
	v_add_co_u32 v46, vcc_lo, v44, v40
	v_add_co_ci_u32_e32 v47, vcc_lo, v45, v41, vcc_lo
	flat_load_b32 v46, v[46:47]
	s_waitcnt vmcnt(0) lgkmcnt(0)
	v_mul_f32_e32 v46, s13, v46
	s_branch .LBB93_141
.LBB93_140:
	v_mov_b32_e32 v46, 0
.LBB93_141:
	v_dual_max_f32 v47, v37, v37 :: v_dual_max_f32 v90, v16, v16
	v_dual_max_f32 v64, v17, v17 :: v_dual_max_f32 v65, v36, v36
	;; [unrolled: 1-line block ×3, first 2 shown]
	v_add_co_u32 v40, vcc_lo, v42, v40
	s_delay_alu instid0(VALU_DEP_3) | instskip(NEXT) | instid1(VALU_DEP_4)
	v_dual_min_f32 v47, v64, v47 :: v_dual_max_f32 v64, v18, v18
	v_min_f32_e32 v65, v90, v65
	v_add_co_ci_u32_e32 v41, vcc_lo, v43, v41, vcc_lo
	s_delay_alu instid0(VALU_DEP_3) | instskip(NEXT) | instid1(VALU_DEP_4)
	v_add_f32_e32 v47, v89, v47
	v_min_f32_e32 v64, v64, v91
	s_delay_alu instid0(VALU_DEP_4) | instskip(NEXT) | instid1(VALU_DEP_1)
	v_add_f32_e32 v65, v88, v65
	v_dual_max_f32 v93, v19, v19 :: v_dual_add_f32 v64, v65, v64
	s_delay_alu instid0(VALU_DEP_1) | instskip(NEXT) | instid1(VALU_DEP_1)
	v_min_f32_e32 v89, v93, v92
	v_add_f32_e32 v47, v47, v89
	s_delay_alu instid0(VALU_DEP_1) | instskip(NEXT) | instid1(VALU_DEP_1)
	v_add_f32_e32 v47, v64, v47
	v_add_f32_e32 v46, v47, v46
	global_store_b32 v[40:41], v46, off
	s_or_b32 exec_lo, exec_lo, s15
	s_and_b32 s16, s5, s8
	s_delay_alu instid0(SALU_CYCLE_1)
	s_and_saveexec_b32 s15, s16
	s_cbranch_execz .LBB93_120
.LBB93_142:
	v_cmp_ne_u32_e32 vcc_lo, 1, v100
	v_lshlrev_b64 v[40:41], 2, v[58:59]
	s_cbranch_vccnz .LBB93_144
; %bb.143:
	s_delay_alu instid0(VALU_DEP_1) | instskip(NEXT) | instid1(VALU_DEP_2)
	v_add_co_u32 v46, vcc_lo, v44, v40
	v_add_co_ci_u32_e32 v47, vcc_lo, v45, v41, vcc_lo
	flat_load_b32 v46, v[46:47]
	s_waitcnt vmcnt(0) lgkmcnt(0)
	v_mul_f32_e32 v46, s13, v46
	s_branch .LBB93_145
.LBB93_144:
	v_mov_b32_e32 v46, 0
.LBB93_145:
	v_dual_max_f32 v47, v37, v37 :: v_dual_max_f32 v88, v12, v12
	v_dual_max_f32 v64, v13, v13 :: v_dual_max_f32 v65, v36, v36
	;; [unrolled: 1-line block ×3, first 2 shown]
	v_add_co_u32 v40, vcc_lo, v42, v40
	s_delay_alu instid0(VALU_DEP_3) | instskip(SKIP_3) | instid1(VALU_DEP_4)
	v_dual_min_f32 v47, v64, v47 :: v_dual_max_f32 v64, v14, v14
	v_max_f32_e32 v91, v15, v15
	v_min_f32_e32 v65, v88, v65
	v_add_co_ci_u32_e32 v41, vcc_lo, v43, v41, vcc_lo
	v_min_f32_e32 v64, v64, v89
	s_delay_alu instid0(VALU_DEP_3) | instskip(SKIP_1) | instid1(VALU_DEP_2)
	v_add_f32_e32 v65, v86, v65
	v_add_f32_e32 v47, v87, v47
	v_dual_min_f32 v87, v91, v90 :: v_dual_add_f32 v64, v65, v64
	s_delay_alu instid0(VALU_DEP_1) | instskip(NEXT) | instid1(VALU_DEP_1)
	v_add_f32_e32 v47, v47, v87
	v_add_f32_e32 v47, v64, v47
	s_delay_alu instid0(VALU_DEP_1) | instskip(SKIP_3) | instid1(SALU_CYCLE_1)
	v_add_f32_e32 v46, v47, v46
	global_store_b32 v[40:41], v46, off
	s_or_b32 exec_lo, exec_lo, s15
	s_and_b32 s16, s6, s8
	s_and_saveexec_b32 s15, s16
	s_cbranch_execz .LBB93_121
.LBB93_146:
	v_cmp_ne_u32_e32 vcc_lo, 1, v100
	v_lshlrev_b64 v[40:41], 2, v[60:61]
	s_cbranch_vccnz .LBB93_148
; %bb.147:
	s_delay_alu instid0(VALU_DEP_1) | instskip(NEXT) | instid1(VALU_DEP_2)
	v_add_co_u32 v46, vcc_lo, v44, v40
	v_add_co_ci_u32_e32 v47, vcc_lo, v45, v41, vcc_lo
	flat_load_b32 v46, v[46:47]
	s_waitcnt vmcnt(0) lgkmcnt(0)
	v_mul_f32_e32 v46, s13, v46
	s_branch .LBB93_149
.LBB93_148:
	v_mov_b32_e32 v46, 0
.LBB93_149:
	v_dual_max_f32 v47, v37, v37 :: v_dual_max_f32 v86, v8, v8
	v_dual_max_f32 v64, v9, v9 :: v_dual_max_f32 v65, v36, v36
	;; [unrolled: 1-line block ×3, first 2 shown]
	v_add_co_u32 v40, vcc_lo, v42, v40
	s_delay_alu instid0(VALU_DEP_3) | instskip(NEXT) | instid1(VALU_DEP_4)
	v_dual_min_f32 v47, v64, v47 :: v_dual_max_f32 v64, v10, v10
	v_min_f32_e32 v65, v86, v65
	v_add_co_ci_u32_e32 v41, vcc_lo, v43, v41, vcc_lo
	s_delay_alu instid0(VALU_DEP_2) | instskip(NEXT) | instid1(VALU_DEP_1)
	v_dual_min_f32 v64, v64, v87 :: v_dual_add_f32 v65, v85, v65
	v_dual_max_f32 v89, v11, v11 :: v_dual_add_f32 v64, v65, v64
	s_delay_alu instid0(VALU_DEP_1) | instskip(NEXT) | instid1(VALU_DEP_1)
	v_dual_add_f32 v47, v84, v47 :: v_dual_min_f32 v84, v89, v88
	v_add_f32_e32 v47, v47, v84
	s_delay_alu instid0(VALU_DEP_1) | instskip(NEXT) | instid1(VALU_DEP_1)
	v_add_f32_e32 v47, v64, v47
	v_add_f32_e32 v46, v47, v46
	global_store_b32 v[40:41], v46, off
	s_or_b32 exec_lo, exec_lo, s15
	s_and_b32 s15, s7, s8
	s_delay_alu instid0(SALU_CYCLE_1)
	s_and_saveexec_b32 s8, s15
	s_cbranch_execz .LBB93_154
.LBB93_150:
	v_cmp_ne_u32_e32 vcc_lo, 1, v100
	v_lshlrev_b64 v[40:41], 2, v[62:63]
	s_cbranch_vccnz .LBB93_152
; %bb.151:
	s_delay_alu instid0(VALU_DEP_1) | instskip(NEXT) | instid1(VALU_DEP_2)
	v_add_co_u32 v44, vcc_lo, v44, v40
	v_add_co_ci_u32_e32 v45, vcc_lo, v45, v41, vcc_lo
	flat_load_b32 v44, v[44:45]
	s_waitcnt vmcnt(0) lgkmcnt(0)
	v_mul_f32_e32 v44, s13, v44
	s_branch .LBB93_153
.LBB93_152:
	v_mov_b32_e32 v44, 0
.LBB93_153:
	v_dual_max_f32 v37, v37, v37 :: v_dual_max_f32 v36, v36, v36
	v_dual_max_f32 v45, v1, v1 :: v_dual_max_f32 v46, v0, v0
	;; [unrolled: 1-line block ×3, first 2 shown]
	s_delay_alu instid0(VALU_DEP_2) | instskip(NEXT) | instid1(VALU_DEP_1)
	v_dual_min_f32 v37, v45, v37 :: v_dual_min_f32 v36, v46, v36
	v_dual_max_f32 v45, v2, v2 :: v_dual_add_f32 v36, v83, v36
	s_delay_alu instid0(VALU_DEP_1) | instskip(NEXT) | instid1(VALU_DEP_1)
	v_dual_max_f32 v47, v3, v3 :: v_dual_min_f32 v38, v45, v38
	v_dual_add_f32 v37, v82, v37 :: v_dual_add_f32 v36, v36, v38
	s_delay_alu instid0(VALU_DEP_2) | instskip(NEXT) | instid1(VALU_DEP_1)
	v_min_f32_e32 v39, v47, v39
	v_add_f32_e32 v37, v37, v39
	s_delay_alu instid0(VALU_DEP_1) | instskip(NEXT) | instid1(VALU_DEP_1)
	v_add_f32_e32 v36, v36, v37
	v_add_f32_e32 v38, v36, v44
	v_add_co_u32 v36, vcc_lo, v42, v40
	v_add_co_ci_u32_e32 v37, vcc_lo, v43, v41, vcc_lo
	global_store_b32 v[36:37], v38, off
.LBB93_154:
	s_or_b32 exec_lo, exec_lo, s8
	v_add_nc_u32_e32 v40, 0x60, v117
	s_delay_alu instid0(VALU_DEP_1) | instskip(SKIP_2) | instid1(VALU_DEP_3)
	v_mad_i64_i32 v[36:37], null, v40, s18, 0
	v_mad_i64_i32 v[38:39], null, v40, s9, 0
	v_cmp_gt_i32_e64 s8, s17, v40
	v_lshlrev_b64 v[36:37], 2, v[36:37]
	s_delay_alu instid0(VALU_DEP_2) | instskip(NEXT) | instid1(VALU_DEP_3)
	s_and_b32 s9, s0, s8
	v_lshlrev_b64 v[38:39], 2, v[38:39]
	s_delay_alu instid0(VALU_DEP_2) | instskip(NEXT) | instid1(VALU_DEP_3)
	v_add_co_u32 v40, vcc_lo, s10, v36
	v_add_co_ci_u32_e32 v41, vcc_lo, s11, v37, vcc_lo
	s_delay_alu instid0(VALU_DEP_3) | instskip(NEXT) | instid1(VALU_DEP_4)
	v_add_co_u32 v38, vcc_lo, s12, v38
	v_add_co_ci_u32_e32 v39, vcc_lo, s14, v39, vcc_lo
	s_and_saveexec_b32 s0, s9
	s_cbranch_execnz .LBB93_163
; %bb.155:
	s_or_b32 exec_lo, exec_lo, s0
	s_and_b32 s1, s1, s8
	s_delay_alu instid0(SALU_CYCLE_1)
	s_and_saveexec_b32 s0, s1
	s_cbranch_execnz .LBB93_167
.LBB93_156:
	s_or_b32 exec_lo, exec_lo, s0
	s_and_b32 s1, s2, s8
	s_delay_alu instid0(SALU_CYCLE_1)
	s_and_saveexec_b32 s0, s1
	s_cbranch_execnz .LBB93_171
.LBB93_157:
	s_or_b32 exec_lo, exec_lo, s0
	s_and_b32 s1, s3, s8
	s_delay_alu instid0(SALU_CYCLE_1)
	s_and_saveexec_b32 s0, s1
	s_cbranch_execnz .LBB93_175
.LBB93_158:
	s_or_b32 exec_lo, exec_lo, s0
	s_and_b32 s1, s4, s8
	s_delay_alu instid0(SALU_CYCLE_1)
	s_and_saveexec_b32 s0, s1
	s_cbranch_execnz .LBB93_179
.LBB93_159:
	s_or_b32 exec_lo, exec_lo, s0
	s_and_b32 s1, s5, s8
	s_delay_alu instid0(SALU_CYCLE_1)
	s_and_saveexec_b32 s0, s1
	s_cbranch_execnz .LBB93_183
.LBB93_160:
	s_or_b32 exec_lo, exec_lo, s0
	s_and_b32 s1, s6, s8
	s_delay_alu instid0(SALU_CYCLE_1)
	s_and_saveexec_b32 s0, s1
	s_cbranch_execnz .LBB93_187
.LBB93_161:
	s_or_b32 exec_lo, exec_lo, s0
	s_and_b32 s0, s7, s8
	s_delay_alu instid0(SALU_CYCLE_1)
	s_and_saveexec_b32 s1, s0
	s_cbranch_execnz .LBB93_191
.LBB93_162:
	s_nop 0
	s_sendmsg sendmsg(MSG_DEALLOC_VGPRS)
	s_endpgm
.LBB93_163:
	v_cmp_ne_u32_e32 vcc_lo, 1, v100
	v_lshlrev_b64 v[36:37], 2, v[48:49]
	s_cbranch_vccnz .LBB93_165
; %bb.164:
	s_delay_alu instid0(VALU_DEP_1) | instskip(NEXT) | instid1(VALU_DEP_2)
	v_add_co_u32 v42, vcc_lo, v40, v36
	v_add_co_ci_u32_e32 v43, vcc_lo, v41, v37, vcc_lo
	flat_load_b32 v42, v[42:43]
	s_waitcnt vmcnt(0) lgkmcnt(0)
	v_mul_f32_e32 v42, s13, v42
	s_branch .LBB93_166
.LBB93_165:
	v_mov_b32_e32 v42, 0
.LBB93_166:
	v_dual_max_f32 v43, v5, v5 :: v_dual_max_f32 v44, v4, v4
	v_dual_max_f32 v33, v33, v33 :: v_dual_max_f32 v32, v32, v32
	v_max_f32_e32 v45, v6, v6
	s_delay_alu instid0(VALU_DEP_2) | instskip(NEXT) | instid1(VALU_DEP_3)
	v_dual_max_f32 v34, v34, v34 :: v_dual_min_f32 v33, v33, v43
	v_dual_min_f32 v32, v32, v44 :: v_dual_max_f32 v43, v7, v7
	s_delay_alu instid0(VALU_DEP_2) | instskip(NEXT) | instid1(VALU_DEP_2)
	v_dual_min_f32 v34, v34, v45 :: v_dual_max_f32 v35, v35, v35
	v_dual_add_f32 v33, v80, v33 :: v_dual_add_f32 v32, v81, v32
	s_delay_alu instid0(VALU_DEP_1) | instskip(NEXT) | instid1(VALU_DEP_1)
	v_dual_min_f32 v35, v35, v43 :: v_dual_add_f32 v32, v32, v34
	v_add_f32_e32 v33, v33, v35
	s_delay_alu instid0(VALU_DEP_1) | instskip(NEXT) | instid1(VALU_DEP_1)
	v_add_f32_e32 v32, v32, v33
	v_add_f32_e32 v34, v32, v42
	v_add_co_u32 v32, vcc_lo, v38, v36
	v_add_co_ci_u32_e32 v33, vcc_lo, v39, v37, vcc_lo
	global_store_b32 v[32:33], v34, off
	s_or_b32 exec_lo, exec_lo, s0
	s_and_b32 s1, s1, s8
	s_delay_alu instid0(SALU_CYCLE_1)
	s_and_saveexec_b32 s0, s1
	s_cbranch_execz .LBB93_156
.LBB93_167:
	v_cmp_ne_u32_e32 vcc_lo, 1, v100
	v_lshlrev_b64 v[32:33], 2, v[50:51]
	s_cbranch_vccnz .LBB93_169
; %bb.168:
	s_delay_alu instid0(VALU_DEP_1) | instskip(NEXT) | instid1(VALU_DEP_2)
	v_add_co_u32 v34, vcc_lo, v40, v32
	v_add_co_ci_u32_e32 v35, vcc_lo, v41, v33, vcc_lo
	flat_load_b32 v34, v[34:35]
	s_waitcnt vmcnt(0) lgkmcnt(0)
	v_mul_f32_e32 v34, s13, v34
	s_branch .LBB93_170
.LBB93_169:
	v_mov_b32_e32 v34, 0
.LBB93_170:
	v_dual_max_f32 v35, v5, v5 :: v_dual_max_f32 v36, v4, v4
	v_dual_max_f32 v29, v29, v29 :: v_dual_max_f32 v28, v28, v28
	v_max_f32_e32 v37, v6, v6
	s_delay_alu instid0(VALU_DEP_2) | instskip(NEXT) | instid1(VALU_DEP_3)
	v_dual_max_f32 v30, v30, v30 :: v_dual_min_f32 v29, v29, v35
	v_dual_min_f32 v28, v28, v36 :: v_dual_max_f32 v35, v7, v7
	s_delay_alu instid0(VALU_DEP_2) | instskip(NEXT) | instid1(VALU_DEP_2)
	v_dual_min_f32 v30, v30, v37 :: v_dual_max_f32 v31, v31, v31
	v_dual_add_f32 v28, v78, v28 :: v_dual_add_f32 v29, v79, v29
	s_delay_alu instid0(VALU_DEP_1) | instskip(NEXT) | instid1(VALU_DEP_1)
	v_dual_add_f32 v28, v28, v30 :: v_dual_min_f32 v31, v31, v35
	v_add_f32_e32 v29, v29, v31
	s_delay_alu instid0(VALU_DEP_1) | instskip(NEXT) | instid1(VALU_DEP_1)
	v_add_f32_e32 v28, v28, v29
	v_add_f32_e32 v30, v28, v34
	v_add_co_u32 v28, vcc_lo, v38, v32
	v_add_co_ci_u32_e32 v29, vcc_lo, v39, v33, vcc_lo
	global_store_b32 v[28:29], v30, off
	s_or_b32 exec_lo, exec_lo, s0
	s_and_b32 s1, s2, s8
	s_delay_alu instid0(SALU_CYCLE_1)
	s_and_saveexec_b32 s0, s1
	s_cbranch_execz .LBB93_157
.LBB93_171:
	v_cmp_ne_u32_e32 vcc_lo, 1, v100
	v_lshlrev_b64 v[28:29], 2, v[52:53]
	s_cbranch_vccnz .LBB93_173
; %bb.172:
	s_delay_alu instid0(VALU_DEP_1) | instskip(NEXT) | instid1(VALU_DEP_2)
	v_add_co_u32 v30, vcc_lo, v40, v28
	v_add_co_ci_u32_e32 v31, vcc_lo, v41, v29, vcc_lo
	flat_load_b32 v30, v[30:31]
	s_waitcnt vmcnt(0) lgkmcnt(0)
	v_mul_f32_e32 v30, s13, v30
	s_branch .LBB93_174
.LBB93_173:
	v_mov_b32_e32 v30, 0
.LBB93_174:
	v_dual_max_f32 v31, v5, v5 :: v_dual_max_f32 v32, v4, v4
	v_dual_max_f32 v25, v25, v25 :: v_dual_max_f32 v24, v24, v24
	v_max_f32_e32 v33, v6, v6
	s_delay_alu instid0(VALU_DEP_2) | instskip(NEXT) | instid1(VALU_DEP_3)
	v_dual_max_f32 v26, v26, v26 :: v_dual_min_f32 v25, v25, v31
	v_dual_min_f32 v24, v24, v32 :: v_dual_max_f32 v31, v7, v7
	s_delay_alu instid0(VALU_DEP_2) | instskip(NEXT) | instid1(VALU_DEP_2)
	v_dual_min_f32 v26, v26, v33 :: v_dual_max_f32 v27, v27, v27
	v_dual_add_f32 v25, v76, v25 :: v_dual_add_f32 v24, v77, v24
	s_delay_alu instid0(VALU_DEP_1) | instskip(NEXT) | instid1(VALU_DEP_1)
	v_dual_min_f32 v27, v27, v31 :: v_dual_add_f32 v24, v24, v26
	v_add_f32_e32 v25, v25, v27
	s_delay_alu instid0(VALU_DEP_1) | instskip(NEXT) | instid1(VALU_DEP_1)
	v_add_f32_e32 v24, v24, v25
	v_add_f32_e32 v26, v24, v30
	v_add_co_u32 v24, vcc_lo, v38, v28
	v_add_co_ci_u32_e32 v25, vcc_lo, v39, v29, vcc_lo
	global_store_b32 v[24:25], v26, off
	s_or_b32 exec_lo, exec_lo, s0
	s_and_b32 s1, s3, s8
	s_delay_alu instid0(SALU_CYCLE_1)
	s_and_saveexec_b32 s0, s1
	s_cbranch_execz .LBB93_158
.LBB93_175:
	v_cmp_ne_u32_e32 vcc_lo, 1, v100
	v_lshlrev_b64 v[24:25], 2, v[54:55]
	s_cbranch_vccnz .LBB93_177
; %bb.176:
	s_delay_alu instid0(VALU_DEP_1) | instskip(NEXT) | instid1(VALU_DEP_2)
	v_add_co_u32 v26, vcc_lo, v40, v24
	v_add_co_ci_u32_e32 v27, vcc_lo, v41, v25, vcc_lo
	flat_load_b32 v26, v[26:27]
	s_waitcnt vmcnt(0) lgkmcnt(0)
	v_mul_f32_e32 v26, s13, v26
	s_branch .LBB93_178
.LBB93_177:
	v_mov_b32_e32 v26, 0
.LBB93_178:
	v_dual_max_f32 v27, v5, v5 :: v_dual_max_f32 v28, v4, v4
	v_dual_max_f32 v21, v21, v21 :: v_dual_max_f32 v20, v20, v20
	v_max_f32_e32 v29, v6, v6
	s_delay_alu instid0(VALU_DEP_2) | instskip(NEXT) | instid1(VALU_DEP_3)
	v_dual_max_f32 v22, v22, v22 :: v_dual_min_f32 v21, v21, v27
	v_dual_min_f32 v20, v20, v28 :: v_dual_max_f32 v27, v7, v7
	s_delay_alu instid0(VALU_DEP_2) | instskip(NEXT) | instid1(VALU_DEP_2)
	v_min_f32_e32 v22, v22, v29
	v_dual_add_f32 v21, v74, v21 :: v_dual_add_f32 v20, v75, v20
	s_delay_alu instid0(VALU_DEP_1) | instskip(NEXT) | instid1(VALU_DEP_1)
	v_dual_max_f32 v23, v23, v23 :: v_dual_add_f32 v20, v20, v22
	v_min_f32_e32 v23, v23, v27
	s_delay_alu instid0(VALU_DEP_1) | instskip(NEXT) | instid1(VALU_DEP_1)
	v_add_f32_e32 v21, v21, v23
	v_add_f32_e32 v20, v20, v21
	s_delay_alu instid0(VALU_DEP_1)
	v_add_f32_e32 v22, v20, v26
	v_add_co_u32 v20, vcc_lo, v38, v24
	v_add_co_ci_u32_e32 v21, vcc_lo, v39, v25, vcc_lo
	global_store_b32 v[20:21], v22, off
	s_or_b32 exec_lo, exec_lo, s0
	s_and_b32 s1, s4, s8
	s_delay_alu instid0(SALU_CYCLE_1)
	s_and_saveexec_b32 s0, s1
	s_cbranch_execz .LBB93_159
.LBB93_179:
	v_cmp_ne_u32_e32 vcc_lo, 1, v100
	v_lshlrev_b64 v[20:21], 2, v[56:57]
	s_cbranch_vccnz .LBB93_181
; %bb.180:
	s_delay_alu instid0(VALU_DEP_1) | instskip(NEXT) | instid1(VALU_DEP_2)
	v_add_co_u32 v22, vcc_lo, v40, v20
	v_add_co_ci_u32_e32 v23, vcc_lo, v41, v21, vcc_lo
	flat_load_b32 v22, v[22:23]
	s_waitcnt vmcnt(0) lgkmcnt(0)
	v_mul_f32_e32 v22, s13, v22
	s_branch .LBB93_182
.LBB93_181:
	v_mov_b32_e32 v22, 0
.LBB93_182:
	v_dual_max_f32 v23, v5, v5 :: v_dual_max_f32 v24, v4, v4
	v_dual_max_f32 v17, v17, v17 :: v_dual_max_f32 v16, v16, v16
	v_max_f32_e32 v25, v6, v6
	s_delay_alu instid0(VALU_DEP_2) | instskip(NEXT) | instid1(VALU_DEP_3)
	v_dual_max_f32 v18, v18, v18 :: v_dual_min_f32 v17, v17, v23
	v_dual_min_f32 v16, v16, v24 :: v_dual_max_f32 v23, v7, v7
	s_delay_alu instid0(VALU_DEP_2) | instskip(NEXT) | instid1(VALU_DEP_2)
	v_dual_min_f32 v18, v18, v25 :: v_dual_max_f32 v19, v19, v19
	v_dual_add_f32 v16, v72, v16 :: v_dual_add_f32 v17, v73, v17
	s_delay_alu instid0(VALU_DEP_1) | instskip(NEXT) | instid1(VALU_DEP_1)
	v_dual_add_f32 v16, v16, v18 :: v_dual_min_f32 v19, v19, v23
	v_add_f32_e32 v17, v17, v19
	s_delay_alu instid0(VALU_DEP_1) | instskip(NEXT) | instid1(VALU_DEP_1)
	v_add_f32_e32 v16, v16, v17
	v_add_f32_e32 v18, v16, v22
	v_add_co_u32 v16, vcc_lo, v38, v20
	v_add_co_ci_u32_e32 v17, vcc_lo, v39, v21, vcc_lo
	global_store_b32 v[16:17], v18, off
	s_or_b32 exec_lo, exec_lo, s0
	s_and_b32 s1, s5, s8
	s_delay_alu instid0(SALU_CYCLE_1)
	s_and_saveexec_b32 s0, s1
	s_cbranch_execz .LBB93_160
.LBB93_183:
	v_cmp_ne_u32_e32 vcc_lo, 1, v100
	v_lshlrev_b64 v[16:17], 2, v[58:59]
	s_cbranch_vccnz .LBB93_185
; %bb.184:
	s_delay_alu instid0(VALU_DEP_1) | instskip(NEXT) | instid1(VALU_DEP_2)
	v_add_co_u32 v18, vcc_lo, v40, v16
	v_add_co_ci_u32_e32 v19, vcc_lo, v41, v17, vcc_lo
	flat_load_b32 v18, v[18:19]
	s_waitcnt vmcnt(0) lgkmcnt(0)
	v_mul_f32_e32 v18, s13, v18
	s_branch .LBB93_186
.LBB93_185:
	v_mov_b32_e32 v18, 0
.LBB93_186:
	v_dual_max_f32 v19, v5, v5 :: v_dual_max_f32 v20, v4, v4
	v_dual_max_f32 v13, v13, v13 :: v_dual_max_f32 v12, v12, v12
	v_max_f32_e32 v21, v6, v6
	s_delay_alu instid0(VALU_DEP_2) | instskip(NEXT) | instid1(VALU_DEP_3)
	v_dual_max_f32 v14, v14, v14 :: v_dual_min_f32 v13, v13, v19
	v_dual_min_f32 v12, v12, v20 :: v_dual_max_f32 v19, v7, v7
	s_delay_alu instid0(VALU_DEP_2) | instskip(NEXT) | instid1(VALU_DEP_2)
	v_min_f32_e32 v14, v14, v21
	v_dual_add_f32 v13, v70, v13 :: v_dual_add_f32 v12, v71, v12
	s_delay_alu instid0(VALU_DEP_1) | instskip(NEXT) | instid1(VALU_DEP_1)
	v_dual_max_f32 v15, v15, v15 :: v_dual_add_f32 v12, v12, v14
	v_min_f32_e32 v15, v15, v19
	s_delay_alu instid0(VALU_DEP_1) | instskip(NEXT) | instid1(VALU_DEP_1)
	v_add_f32_e32 v13, v13, v15
	v_add_f32_e32 v12, v12, v13
	s_delay_alu instid0(VALU_DEP_1)
	v_add_f32_e32 v14, v12, v18
	v_add_co_u32 v12, vcc_lo, v38, v16
	v_add_co_ci_u32_e32 v13, vcc_lo, v39, v17, vcc_lo
	global_store_b32 v[12:13], v14, off
	s_or_b32 exec_lo, exec_lo, s0
	s_and_b32 s1, s6, s8
	s_delay_alu instid0(SALU_CYCLE_1)
	s_and_saveexec_b32 s0, s1
	s_cbranch_execz .LBB93_161
.LBB93_187:
	v_cmp_ne_u32_e32 vcc_lo, 1, v100
	v_lshlrev_b64 v[12:13], 2, v[60:61]
	s_cbranch_vccnz .LBB93_189
; %bb.188:
	s_delay_alu instid0(VALU_DEP_1) | instskip(NEXT) | instid1(VALU_DEP_2)
	v_add_co_u32 v14, vcc_lo, v40, v12
	v_add_co_ci_u32_e32 v15, vcc_lo, v41, v13, vcc_lo
	flat_load_b32 v14, v[14:15]
	s_waitcnt vmcnt(0) lgkmcnt(0)
	v_mul_f32_e32 v14, s13, v14
	s_branch .LBB93_190
.LBB93_189:
	v_mov_b32_e32 v14, 0
.LBB93_190:
	v_dual_max_f32 v15, v5, v5 :: v_dual_max_f32 v16, v4, v4
	v_dual_max_f32 v9, v9, v9 :: v_dual_max_f32 v8, v8, v8
	v_max_f32_e32 v17, v6, v6
	s_delay_alu instid0(VALU_DEP_2) | instskip(NEXT) | instid1(VALU_DEP_3)
	v_dual_max_f32 v10, v10, v10 :: v_dual_min_f32 v9, v9, v15
	v_dual_min_f32 v8, v8, v16 :: v_dual_max_f32 v15, v7, v7
	s_delay_alu instid0(VALU_DEP_2) | instskip(NEXT) | instid1(VALU_DEP_2)
	v_dual_min_f32 v10, v10, v17 :: v_dual_max_f32 v11, v11, v11
	v_dual_add_f32 v8, v68, v8 :: v_dual_add_f32 v9, v69, v9
	s_delay_alu instid0(VALU_DEP_1) | instskip(NEXT) | instid1(VALU_DEP_1)
	v_dual_add_f32 v8, v8, v10 :: v_dual_min_f32 v11, v11, v15
	v_add_f32_e32 v9, v9, v11
	s_delay_alu instid0(VALU_DEP_1) | instskip(NEXT) | instid1(VALU_DEP_1)
	v_add_f32_e32 v8, v8, v9
	v_add_f32_e32 v10, v8, v14
	v_add_co_u32 v8, vcc_lo, v38, v12
	v_add_co_ci_u32_e32 v9, vcc_lo, v39, v13, vcc_lo
	global_store_b32 v[8:9], v10, off
	s_or_b32 exec_lo, exec_lo, s0
	s_and_b32 s0, s7, s8
	s_delay_alu instid0(SALU_CYCLE_1)
	s_and_saveexec_b32 s1, s0
	s_cbranch_execz .LBB93_162
.LBB93_191:
	v_cmp_ne_u32_e32 vcc_lo, 1, v100
	v_lshlrev_b64 v[8:9], 2, v[62:63]
	s_cbranch_vccnz .LBB93_193
; %bb.192:
	s_delay_alu instid0(VALU_DEP_1) | instskip(NEXT) | instid1(VALU_DEP_2)
	v_add_co_u32 v10, vcc_lo, v40, v8
	v_add_co_ci_u32_e32 v11, vcc_lo, v41, v9, vcc_lo
	flat_load_b32 v10, v[10:11]
	s_waitcnt vmcnt(0) lgkmcnt(0)
	v_mul_f32_e32 v10, s13, v10
	s_branch .LBB93_194
.LBB93_193:
	v_mov_b32_e32 v10, 0
.LBB93_194:
	v_dual_max_f32 v5, v5, v5 :: v_dual_max_f32 v4, v4, v4
	v_dual_max_f32 v1, v1, v1 :: v_dual_max_f32 v0, v0, v0
	v_max_f32_e32 v6, v6, v6
	v_dual_max_f32 v2, v2, v2 :: v_dual_max_f32 v3, v3, v3
	s_delay_alu instid0(VALU_DEP_3) | instskip(NEXT) | instid1(VALU_DEP_2)
	v_dual_min_f32 v1, v1, v5 :: v_dual_min_f32 v0, v0, v4
	v_dual_max_f32 v5, v7, v7 :: v_dual_min_f32 v2, v2, v6
	s_delay_alu instid0(VALU_DEP_2) | instskip(NEXT) | instid1(VALU_DEP_1)
	v_dual_add_f32 v1, v67, v1 :: v_dual_add_f32 v0, v66, v0
	v_dual_min_f32 v3, v3, v5 :: v_dual_add_f32 v0, v0, v2
	s_delay_alu instid0(VALU_DEP_1) | instskip(NEXT) | instid1(VALU_DEP_1)
	v_add_f32_e32 v1, v1, v3
	v_add_f32_e32 v0, v0, v1
	s_delay_alu instid0(VALU_DEP_1)
	v_add_f32_e32 v2, v0, v10
	v_add_co_u32 v0, vcc_lo, v38, v8
	v_add_co_ci_u32_e32 v1, vcc_lo, v39, v9, vcc_lo
	global_store_b32 v[0:1], v2, off
	s_nop 0
	s_sendmsg sendmsg(MSG_DEALLOC_VGPRS)
	s_endpgm
	.section	.rodata,"a",@progbits
	.p2align	6, 0x0
	.amdhsa_kernel _ZN12_GLOBAL__N_120geam_min_plus_kernelIf15HIP_vector_typeIfLj2EES2_Li8ELi32ELi64ELi128ELi4ELi64ELi4ELi64ELi4ELc78ELc84ELb0ELb1ELb0EPKfS3_fEEviiiT16_PT17_ilS7_ilS5_S7_ilPT18_ili26rocblas_geam_ex_operation_
		.amdhsa_group_segment_fixed_size 6144
		.amdhsa_private_segment_fixed_size 0
		.amdhsa_kernarg_size 136
		.amdhsa_user_sgpr_count 14
		.amdhsa_user_sgpr_dispatch_ptr 0
		.amdhsa_user_sgpr_queue_ptr 0
		.amdhsa_user_sgpr_kernarg_segment_ptr 1
		.amdhsa_user_sgpr_dispatch_id 0
		.amdhsa_user_sgpr_private_segment_size 0
		.amdhsa_wavefront_size32 1
		.amdhsa_uses_dynamic_stack 0
		.amdhsa_enable_private_segment 0
		.amdhsa_system_sgpr_workgroup_id_x 1
		.amdhsa_system_sgpr_workgroup_id_y 0
		.amdhsa_system_sgpr_workgroup_id_z 1
		.amdhsa_system_sgpr_workgroup_info 0
		.amdhsa_system_vgpr_workitem_id 1
		.amdhsa_next_free_vgpr 230
		.amdhsa_next_free_sgpr 30
		.amdhsa_reserve_vcc 1
		.amdhsa_float_round_mode_32 0
		.amdhsa_float_round_mode_16_64 0
		.amdhsa_float_denorm_mode_32 3
		.amdhsa_float_denorm_mode_16_64 3
		.amdhsa_dx10_clamp 1
		.amdhsa_ieee_mode 1
		.amdhsa_fp16_overflow 0
		.amdhsa_workgroup_processor_mode 1
		.amdhsa_memory_ordered 1
		.amdhsa_forward_progress 0
		.amdhsa_shared_vgpr_count 0
		.amdhsa_exception_fp_ieee_invalid_op 0
		.amdhsa_exception_fp_denorm_src 0
		.amdhsa_exception_fp_ieee_div_zero 0
		.amdhsa_exception_fp_ieee_overflow 0
		.amdhsa_exception_fp_ieee_underflow 0
		.amdhsa_exception_fp_ieee_inexact 0
		.amdhsa_exception_int_div_zero 0
	.end_amdhsa_kernel
	.section	.text._ZN12_GLOBAL__N_120geam_min_plus_kernelIf15HIP_vector_typeIfLj2EES2_Li8ELi32ELi64ELi128ELi4ELi64ELi4ELi64ELi4ELc78ELc84ELb0ELb1ELb0EPKfS3_fEEviiiT16_PT17_ilS7_ilS5_S7_ilPT18_ili26rocblas_geam_ex_operation_,"axG",@progbits,_ZN12_GLOBAL__N_120geam_min_plus_kernelIf15HIP_vector_typeIfLj2EES2_Li8ELi32ELi64ELi128ELi4ELi64ELi4ELi64ELi4ELc78ELc84ELb0ELb1ELb0EPKfS3_fEEviiiT16_PT17_ilS7_ilS5_S7_ilPT18_ili26rocblas_geam_ex_operation_,comdat
.Lfunc_end93:
	.size	_ZN12_GLOBAL__N_120geam_min_plus_kernelIf15HIP_vector_typeIfLj2EES2_Li8ELi32ELi64ELi128ELi4ELi64ELi4ELi64ELi4ELc78ELc84ELb0ELb1ELb0EPKfS3_fEEviiiT16_PT17_ilS7_ilS5_S7_ilPT18_ili26rocblas_geam_ex_operation_, .Lfunc_end93-_ZN12_GLOBAL__N_120geam_min_plus_kernelIf15HIP_vector_typeIfLj2EES2_Li8ELi32ELi64ELi128ELi4ELi64ELi4ELi64ELi4ELc78ELc84ELb0ELb1ELb0EPKfS3_fEEviiiT16_PT17_ilS7_ilS5_S7_ilPT18_ili26rocblas_geam_ex_operation_
                                        ; -- End function
	.section	.AMDGPU.csdata,"",@progbits
; Kernel info:
; codeLenInByte = 13344
; NumSgprs: 32
; NumVgprs: 230
; ScratchSize: 0
; MemoryBound: 0
; FloatMode: 240
; IeeeMode: 1
; LDSByteSize: 6144 bytes/workgroup (compile time only)
; SGPRBlocks: 3
; VGPRBlocks: 28
; NumSGPRsForWavesPerEU: 32
; NumVGPRsForWavesPerEU: 230
; Occupancy: 6
; WaveLimiterHint : 0
; COMPUTE_PGM_RSRC2:SCRATCH_EN: 0
; COMPUTE_PGM_RSRC2:USER_SGPR: 14
; COMPUTE_PGM_RSRC2:TRAP_HANDLER: 0
; COMPUTE_PGM_RSRC2:TGID_X_EN: 1
; COMPUTE_PGM_RSRC2:TGID_Y_EN: 0
; COMPUTE_PGM_RSRC2:TGID_Z_EN: 1
; COMPUTE_PGM_RSRC2:TIDIG_COMP_CNT: 1
	.section	.text._ZN12_GLOBAL__N_120geam_min_plus_kernelIf15HIP_vector_typeIfLj2EES2_Li8ELi32ELi64ELi128ELi4ELi64ELi4ELi64ELi4ELc78ELc84ELb1ELb1ELb0EfKffEEviiiT16_PT17_ilS6_ilS4_S6_ilPT18_ili26rocblas_geam_ex_operation_,"axG",@progbits,_ZN12_GLOBAL__N_120geam_min_plus_kernelIf15HIP_vector_typeIfLj2EES2_Li8ELi32ELi64ELi128ELi4ELi64ELi4ELi64ELi4ELc78ELc84ELb1ELb1ELb0EfKffEEviiiT16_PT17_ilS6_ilS4_S6_ilPT18_ili26rocblas_geam_ex_operation_,comdat
	.globl	_ZN12_GLOBAL__N_120geam_min_plus_kernelIf15HIP_vector_typeIfLj2EES2_Li8ELi32ELi64ELi128ELi4ELi64ELi4ELi64ELi4ELc78ELc84ELb1ELb1ELb0EfKffEEviiiT16_PT17_ilS6_ilS4_S6_ilPT18_ili26rocblas_geam_ex_operation_ ; -- Begin function _ZN12_GLOBAL__N_120geam_min_plus_kernelIf15HIP_vector_typeIfLj2EES2_Li8ELi32ELi64ELi128ELi4ELi64ELi4ELi64ELi4ELc78ELc84ELb1ELb1ELb0EfKffEEviiiT16_PT17_ilS6_ilS4_S6_ilPT18_ili26rocblas_geam_ex_operation_
	.p2align	8
	.type	_ZN12_GLOBAL__N_120geam_min_plus_kernelIf15HIP_vector_typeIfLj2EES2_Li8ELi32ELi64ELi128ELi4ELi64ELi4ELi64ELi4ELc78ELc84ELb1ELb1ELb0EfKffEEviiiT16_PT17_ilS6_ilS4_S6_ilPT18_ili26rocblas_geam_ex_operation_,@function
_ZN12_GLOBAL__N_120geam_min_plus_kernelIf15HIP_vector_typeIfLj2EES2_Li8ELi32ELi64ELi128ELi4ELi64ELi4ELi64ELi4ELc78ELc84ELb1ELb1ELb0EfKffEEviiiT16_PT17_ilS6_ilS4_S6_ilPT18_ili26rocblas_geam_ex_operation_: ; @_ZN12_GLOBAL__N_120geam_min_plus_kernelIf15HIP_vector_typeIfLj2EES2_Li8ELi32ELi64ELi128ELi4ELi64ELi4ELi64ELi4ELc78ELc84ELb1ELb1ELb0EfKffEEviiiT16_PT17_ilS6_ilS4_S6_ilPT18_ili26rocblas_geam_ex_operation_
; %bb.0:
	s_clause 0x1
	s_load_b128 s[16:19], s[0:1], 0x0
	s_load_b128 s[4:7], s[0:1], 0x20
	s_waitcnt lgkmcnt(0)
	v_cmp_eq_f32_e64 s2, s19, 0
	s_delay_alu instid0(VALU_DEP_1)
	s_and_b32 vcc_lo, exec_lo, s2
	s_cbranch_vccnz .LBB94_3
; %bb.1:
	s_load_b64 s[8:9], s[0:1], 0x10
	s_mul_i32 s3, s15, s5
	s_mul_hi_u32 s5, s15, s4
	s_mul_i32 s4, s15, s4
	s_add_i32 s5, s5, s3
	s_delay_alu instid0(SALU_CYCLE_1)
	s_lshl_b64 s[4:5], s[4:5], 2
	s_waitcnt lgkmcnt(0)
	s_add_u32 s8, s8, s4
	s_addc_u32 s9, s9, s5
	s_and_not1_b32 vcc_lo, exec_lo, s2
	s_cbranch_vccnz .LBB94_4
.LBB94_2:
	s_mov_b32 s25, 0
	s_mov_b64 s[12:13], 0
	s_cbranch_execz .LBB94_5
	s_branch .LBB94_6
.LBB94_3:
	s_mov_b64 s[8:9], 0
	s_and_not1_b32 vcc_lo, exec_lo, s2
	s_cbranch_vccz .LBB94_2
.LBB94_4:
	s_mov_b32 s25, -1
                                        ; implicit-def: $sgpr12_sgpr13
.LBB94_5:
	s_load_b64 s[2:3], s[0:1], 0x38
	s_mov_b32 s25, 0
	s_waitcnt lgkmcnt(0)
	s_mul_i32 s3, s15, s3
	s_mul_hi_u32 s4, s15, s2
	s_mul_i32 s2, s15, s2
	s_add_i32 s3, s4, s3
	s_delay_alu instid0(SALU_CYCLE_1) | instskip(NEXT) | instid1(SALU_CYCLE_1)
	s_lshl_b64 s[2:3], s[2:3], 2
	s_add_u32 s12, s6, s2
	s_addc_u32 s13, s7, s3
.LBB94_6:
	s_clause 0x1
	s_load_b32 s19, s[0:1], 0x40
	s_load_b128 s[4:7], s[0:1], 0x58
	s_waitcnt lgkmcnt(0)
	v_cmp_eq_f32_e64 s2, s19, 0
	v_cmp_neq_f32_e64 s24, s19, 0
	s_delay_alu instid0(VALU_DEP_2)
	s_and_b32 vcc_lo, exec_lo, s2
	s_cbranch_vccnz .LBB94_8
; %bb.7:
	s_load_b64 s[2:3], s[0:1], 0x48
	s_mul_i32 s5, s15, s5
	s_mul_hi_u32 s10, s15, s4
	s_delay_alu instid0(SALU_CYCLE_1) | instskip(SKIP_3) | instid1(SALU_CYCLE_1)
	s_add_i32 s5, s10, s5
	s_mul_i32 s10, s25, s4
	s_mul_i32 s4, s15, s4
	s_add_i32 s5, s5, s10
	s_lshl_b64 s[4:5], s[4:5], 2
	s_waitcnt lgkmcnt(0)
	s_add_u32 s10, s2, s4
	s_addc_u32 s11, s3, s5
	s_branch .LBB94_9
.LBB94_8:
	s_mov_b64 s[10:11], 0
.LBB94_9:
	s_add_i32 s2, s16, -1
	s_load_b32 s20, s[0:1], 0x18
	s_ashr_i32 s3, s2, 31
	v_dual_mov_b32 v9, 0 :: v_dual_and_b32 v56, 0x3ff, v0
	s_lshr_b32 s3, s3, 26
	v_bfe_u32 v57, v0, 10, 10
	s_add_i32 s2, s2, s3
	v_mov_b32_e32 v8, 0
	s_ashr_i32 s2, s2, 6
	s_delay_alu instid0(SALU_CYCLE_1) | instskip(SKIP_2) | instid1(VALU_DEP_1)
	s_add_i32 s4, s2, 1
	s_not_b32 s2, s2
	v_cvt_f32_u32_e32 v1, s4
	v_rcp_iflag_f32_e32 v1, v1
	s_waitcnt lgkmcnt(0)
	s_ashr_i32 s21, s20, 31
	s_waitcnt_depctr 0xfff
	v_mul_f32_e32 v1, 0x4f7ffffe, v1
	s_delay_alu instid0(VALU_DEP_1) | instskip(NEXT) | instid1(VALU_DEP_1)
	v_cvt_u32_f32_e32 v1, v1
	v_readfirstlane_b32 s3, v1
	v_lshl_add_u32 v1, v57, 3, v56
	s_delay_alu instid0(VALU_DEP_2) | instskip(NEXT) | instid1(VALU_DEP_1)
	s_mul_i32 s2, s2, s3
	v_and_b32_e32 v7, 63, v1
	s_mul_hi_u32 s2, s3, s2
	v_lshrrev_b32_e32 v58, 6, v1
	s_add_i32 s3, s3, s2
	s_delay_alu instid0(SALU_CYCLE_1) | instskip(NEXT) | instid1(SALU_CYCLE_1)
	s_mul_hi_u32 s2, s14, s3
	s_mul_i32 s3, s2, s4
	s_add_i32 s5, s2, 1
	s_sub_i32 s3, s14, s3
	s_delay_alu instid0(SALU_CYCLE_1)
	s_sub_i32 s22, s3, s4
	s_cmp_ge_u32 s3, s4
	s_cselect_b32 s2, s5, s2
	s_cselect_b32 s3, s22, s3
	s_add_i32 s5, s2, 1
	s_cmp_ge_u32 s3, s4
	s_cselect_b32 s3, s5, s2
	s_delay_alu instid0(SALU_CYCLE_1) | instskip(SKIP_2) | instid1(SALU_CYCLE_1)
	s_mul_i32 s2, s3, s4
	v_cmp_le_i32_e64 s4, s18, v58
	s_sub_i32 s2, s14, s2
	s_lshl_b32 s14, s2, 6
	s_delay_alu instid0(SALU_CYCLE_1) | instskip(NEXT) | instid1(VALU_DEP_1)
	v_or_b32_e32 v0, s14, v7
	v_cmp_le_i32_e32 vcc_lo, s16, v0
	v_ashrrev_i32_e32 v1, 31, v0
	s_or_b32 s2, s4, vcc_lo
	s_delay_alu instid0(SALU_CYCLE_1) | instskip(NEXT) | instid1(SALU_CYCLE_1)
	s_xor_b32 s2, s2, -1
	s_and_saveexec_b32 s5, s2
	s_cbranch_execz .LBB94_11
; %bb.10:
	v_mad_i64_i32 v[2:3], null, s20, v58, 0
	v_lshlrev_b64 v[4:5], 2, v[0:1]
	s_delay_alu instid0(VALU_DEP_2) | instskip(NEXT) | instid1(VALU_DEP_1)
	v_lshlrev_b64 v[2:3], 2, v[2:3]
	v_add_co_u32 v2, s2, s8, v2
	s_delay_alu instid0(VALU_DEP_1) | instskip(NEXT) | instid1(VALU_DEP_2)
	v_add_co_ci_u32_e64 v3, s2, s9, v3, s2
	v_add_co_u32 v2, s2, v2, v4
	s_delay_alu instid0(VALU_DEP_1)
	v_add_co_ci_u32_e64 v3, s2, v3, v5, s2
	flat_load_b32 v9, v[2:3]
.LBB94_11:
	s_or_b32 exec_lo, exec_lo, s5
	s_load_b32 s22, s[0:1], 0x30
	s_lshl_b32 s26, s3, 7
	s_delay_alu instid0(SALU_CYCLE_1) | instskip(NEXT) | instid1(VALU_DEP_1)
	v_or_b32_e32 v2, s26, v7
	v_cmp_le_i32_e64 s2, s17, v2
	s_waitcnt lgkmcnt(0)
	v_mad_i64_i32 v[3:4], null, v58, s22, 0
	s_ashr_i32 s23, s22, 31
	s_delay_alu instid0(VALU_DEP_1) | instskip(NEXT) | instid1(VALU_DEP_1)
	v_lshlrev_b64 v[3:4], 2, v[3:4]
	v_add_co_u32 v5, s3, s12, v3
	s_delay_alu instid0(VALU_DEP_1) | instskip(SKIP_2) | instid1(SALU_CYCLE_1)
	v_add_co_ci_u32_e64 v6, s3, s13, v4, s3
	v_ashrrev_i32_e32 v3, 31, v2
	s_or_b32 s3, s4, s2
	s_xor_b32 s3, s3, -1
	s_delay_alu instid0(SALU_CYCLE_1)
	s_and_saveexec_b32 s5, s3
	s_cbranch_execz .LBB94_13
; %bb.12:
	v_lshlrev_b64 v[10:11], 2, v[2:3]
	s_delay_alu instid0(VALU_DEP_1) | instskip(NEXT) | instid1(VALU_DEP_1)
	v_add_co_u32 v10, s3, v5, v10
	v_add_co_ci_u32_e64 v11, s3, v6, v11, s3
	flat_load_b32 v8, v[10:11]
.LBB94_13:
	s_or_b32 exec_lo, exec_lo, s5
	v_or_b32_e32 v4, 64, v2
	v_mov_b32_e32 v10, 0
	s_delay_alu instid0(VALU_DEP_2) | instskip(SKIP_1) | instid1(VALU_DEP_2)
	v_cmp_le_i32_e64 s3, s17, v4
	v_mov_b32_e32 v4, 0
	s_or_b32 s4, s4, s3
	s_delay_alu instid0(SALU_CYCLE_1) | instskip(NEXT) | instid1(SALU_CYCLE_1)
	s_xor_b32 s4, s4, -1
	s_and_saveexec_b32 s5, s4
	s_cbranch_execz .LBB94_15
; %bb.14:
	v_lshlrev_b64 v[10:11], 2, v[2:3]
	s_delay_alu instid0(VALU_DEP_1) | instskip(NEXT) | instid1(VALU_DEP_1)
	v_add_co_u32 v5, s4, v5, v10
	v_add_co_ci_u32_e64 v6, s4, v6, v11, s4
	flat_load_b32 v10, v[5:6] offset:256
.LBB94_15:
	s_or_b32 exec_lo, exec_lo, s5
	v_add_nc_u32_e32 v5, 4, v58
	s_delay_alu instid0(VALU_DEP_1) | instskip(NEXT) | instid1(VALU_DEP_1)
	v_cmp_le_i32_e64 s4, s18, v5
	s_or_b32 s5, vcc_lo, s4
	s_delay_alu instid0(SALU_CYCLE_1) | instskip(NEXT) | instid1(SALU_CYCLE_1)
	s_xor_b32 s5, s5, -1
	s_and_saveexec_b32 s27, s5
	s_cbranch_execz .LBB94_17
; %bb.16:
	v_mad_i64_i32 v[11:12], null, s20, v5, 0
	v_lshlrev_b64 v[13:14], 2, v[0:1]
	s_delay_alu instid0(VALU_DEP_2) | instskip(NEXT) | instid1(VALU_DEP_1)
	v_lshlrev_b64 v[11:12], 2, v[11:12]
	v_add_co_u32 v4, s5, s8, v11
	s_delay_alu instid0(VALU_DEP_1) | instskip(NEXT) | instid1(VALU_DEP_2)
	v_add_co_ci_u32_e64 v6, s5, s9, v12, s5
	v_add_co_u32 v11, s5, v4, v13
	s_delay_alu instid0(VALU_DEP_1)
	v_add_co_ci_u32_e64 v12, s5, v6, v14, s5
	flat_load_b32 v4, v[11:12]
.LBB94_17:
	s_or_b32 exec_lo, exec_lo, s27
	v_mad_i64_i32 v[11:12], null, v5, s22, 0
	v_dual_mov_b32 v5, 0 :: v_dual_mov_b32 v6, 0
	s_delay_alu instid0(VALU_DEP_2) | instskip(NEXT) | instid1(VALU_DEP_1)
	v_lshlrev_b64 v[11:12], 2, v[11:12]
	v_add_co_u32 v11, s5, s12, v11
	s_delay_alu instid0(VALU_DEP_1) | instskip(SKIP_1) | instid1(SALU_CYCLE_1)
	v_add_co_ci_u32_e64 v12, s5, s13, v12, s5
	s_or_b32 s5, s2, s4
	s_xor_b32 s5, s5, -1
	s_delay_alu instid0(SALU_CYCLE_1)
	s_and_saveexec_b32 s27, s5
	s_cbranch_execz .LBB94_19
; %bb.18:
	v_lshlrev_b64 v[13:14], 2, v[2:3]
	s_delay_alu instid0(VALU_DEP_1) | instskip(NEXT) | instid1(VALU_DEP_1)
	v_add_co_u32 v13, s5, v11, v13
	v_add_co_ci_u32_e64 v14, s5, v12, v14, s5
	flat_load_b32 v6, v[13:14]
.LBB94_19:
	s_or_b32 exec_lo, exec_lo, s27
	s_or_b32 s4, s3, s4
	s_delay_alu instid0(SALU_CYCLE_1) | instskip(NEXT) | instid1(SALU_CYCLE_1)
	s_xor_b32 s4, s4, -1
	s_and_saveexec_b32 s5, s4
	s_cbranch_execz .LBB94_21
; %bb.20:
	v_lshlrev_b64 v[13:14], 2, v[2:3]
	s_delay_alu instid0(VALU_DEP_1) | instskip(NEXT) | instid1(VALU_DEP_1)
	v_add_co_u32 v11, s4, v11, v13
	v_add_co_ci_u32_e64 v12, s4, v12, v14, s4
	flat_load_b32 v5, v[11:12] offset:256
.LBB94_21:
	s_or_b32 exec_lo, exec_lo, s5
	v_lshlrev_b32_e32 v11, 2, v58
	v_lshlrev_b32_e32 v60, 4, v57
	;; [unrolled: 1-line block ×3, first 2 shown]
	s_mov_b32 s27, 0
	s_cmp_lt_i32 s18, 9
	v_lshl_add_u32 v61, v7, 4, v11
	s_waitcnt vmcnt(0)
	ds_store_b32 v61, v9 offset:4096
	s_waitcnt lgkmcnt(1)
	ds_store_2addr_stride64_b32 v61, v8, v10 offset1:4
	s_waitcnt lgkmcnt(0)
	s_barrier
	buffer_gl0_inv
	ds_load_b128 v[7:10], v60
	ds_load_b128 v[11:14], v59 offset:4096
	ds_load_b128 v[15:18], v59 offset:4224
	;; [unrolled: 1-line block ×11, first 2 shown]
	ds_store_b32 v61, v4 offset:5120
	ds_store_2addr_stride64_b32 v61, v6, v5 offset0:8 offset1:12
	s_waitcnt lgkmcnt(0)
	s_barrier
	buffer_gl0_inv
	v_dual_max_f32 v10, v10, v10 :: v_dual_max_f32 v7, v7, v7
	v_dual_max_f32 v11, v11, v11 :: v_dual_max_f32 v12, v12, v12
	;; [unrolled: 1-line block ×7, first 2 shown]
	s_delay_alu instid0(VALU_DEP_4)
	v_dual_min_f32 v70, v28, v8 :: v_dual_min_f32 v69, v27, v7
	v_dual_max_f32 v32, v32, v32 :: v_dual_max_f32 v35, v35, v35
	v_dual_max_f32 v36, v36, v36 :: v_dual_max_f32 v39, v39, v39
	;; [unrolled: 1-line block ×3, first 2 shown]
	v_dual_min_f32 v55, v11, v7 :: v_dual_min_f32 v62, v12, v8
	v_dual_min_f32 v63, v15, v7 :: v_dual_min_f32 v64, v16, v8
	;; [unrolled: 1-line block ×6, first 2 shown]
	v_dual_min_f32 v7, v39, v7 :: v_dual_max_f32 v44, v44, v44
	v_dual_min_f32 v8, v40, v8 :: v_dual_max_f32 v9, v9, v9
	v_dual_min_f32 v75, v11, v43 :: v_dual_max_f32 v14, v14, v14
	s_delay_alu instid0(VALU_DEP_3)
	v_dual_max_f32 v13, v13, v13 :: v_dual_min_f32 v78, v16, v44
	v_dual_min_f32 v77, v15, v43 :: v_dual_max_f32 v18, v18, v18
	v_dual_min_f32 v79, v19, v43 :: v_dual_max_f32 v22, v22, v22
	v_dual_min_f32 v81, v23, v43 :: v_dual_max_f32 v26, v26, v26
	v_dual_min_f32 v83, v27, v43 :: v_dual_max_f32 v30, v30, v30
	v_dual_min_f32 v85, v31, v43 :: v_dual_max_f32 v34, v34, v34
	v_dual_min_f32 v87, v35, v43 :: v_dual_min_f32 v88, v36, v44
	v_max_f32_e32 v47, v47, v47
	v_dual_min_f32 v43, v39, v43 :: v_dual_max_f32 v48, v48, v48
	v_dual_max_f32 v51, v51, v51 :: v_dual_min_f32 v76, v12, v44
	v_dual_max_f32 v17, v17, v17 :: v_dual_min_f32 v80, v20, v44
	;; [unrolled: 1-line block ×5, first 2 shown]
	v_dual_min_f32 v44, v40, v44 :: v_dual_min_f32 v89, v11, v47
	v_dual_max_f32 v46, v46, v46 :: v_dual_max_f32 v41, v41, v41
	v_min_f32_e32 v90, v15, v47
	v_dual_min_f32 v91, v19, v47 :: v_dual_max_f32 v52, v52, v52
	v_dual_min_f32 v93, v23, v47 :: v_dual_max_f32 v54, v54, v54
	v_dual_max_f32 v49, v49, v49 :: v_dual_min_f32 v100, v27, v47
	v_dual_max_f32 v53, v53, v53 :: v_dual_min_f32 v128, v35, v47
	v_dual_min_f32 v117, v31, v47 :: v_dual_min_f32 v94, v20, v48
	v_dual_min_f32 v47, v39, v47 :: v_dual_min_f32 v130, v28, v48
	;; [unrolled: 1-line block ×4, first 2 shown]
	v_min_f32_e32 v19, v19, v51
	v_dual_min_f32 v23, v23, v51 :: v_dual_min_f32 v16, v16, v52
	v_dual_min_f32 v27, v27, v51 :: v_dual_min_f32 v20, v20, v52
	v_min_f32_e32 v31, v31, v51
	v_dual_min_f32 v35, v35, v51 :: v_dual_min_f32 v28, v28, v52
	v_dual_min_f32 v39, v39, v51 :: v_dual_add_f32 v62, 0, v62
	v_dual_min_f32 v51, v12, v48 :: v_dual_min_f32 v96, v13, v9
	v_min_f32_e32 v95, v14, v10
	v_dual_add_f32 v55, 0, v55 :: v_dual_min_f32 v36, v36, v52
	v_dual_max_f32 v33, v33, v33 :: v_dual_max_f32 v38, v38, v38
	v_min_f32_e32 v129, v24, v48
	v_min_f32_e32 v131, v32, v48
	v_min_f32_e32 v48, v40, v48
	v_min_f32_e32 v12, v12, v52
	v_min_f32_e32 v24, v24, v52
	v_min_f32_e32 v32, v32, v52
	v_dual_min_f32 v40, v40, v52 :: v_dual_add_f32 v127, v62, v95
	v_dual_add_f32 v126, v55, v96 :: v_dual_min_f32 v55, v18, v10
	v_add_f32_e32 v52, 0, v64
	v_dual_add_f32 v62, 0, v63 :: v_dual_min_f32 v63, v17, v9
	v_add_f32_e32 v64, 0, v66
	v_dual_min_f32 v66, v22, v10 :: v_dual_add_f32 v65, 0, v65
	v_dual_min_f32 v95, v21, v9 :: v_dual_add_f32 v68, 0, v68
	v_dual_min_f32 v96, v26, v10 :: v_dual_max_f32 v37, v37, v37
	v_max_f32_e32 v42, v42, v42
	v_dual_add_f32 v124, v52, v55 :: v_dual_min_f32 v55, v25, v9
	v_dual_add_f32 v125, v62, v63 :: v_dual_add_f32 v122, v64, v66
	s_delay_alu instid0(VALU_DEP_4) | instskip(SKIP_3) | instid1(VALU_DEP_3)
	v_dual_add_f32 v123, v65, v95 :: v_dual_add_f32 v120, v68, v96
	v_dual_min_f32 v63, v30, v10 :: v_dual_add_f32 v52, 0, v67
	v_dual_min_f32 v65, v29, v9 :: v_dual_add_f32 v62, 0, v70
	v_dual_add_f32 v64, 0, v69 :: v_dual_min_f32 v67, v34, v10
	v_dual_add_f32 v66, 0, v72 :: v_dual_add_f32 v121, v52, v55
	s_delay_alu instid0(VALU_DEP_2) | instskip(SKIP_3) | instid1(VALU_DEP_3)
	v_dual_add_f32 v68, 0, v71 :: v_dual_add_f32 v119, v64, v65
	v_min_f32_e32 v69, v33, v9
	v_dual_max_f32 v45, v45, v45 :: v_dual_max_f32 v50, v50, v50
	v_dual_add_f32 v118, v62, v63 :: v_dual_add_f32 v65, 0, v73
	v_dual_add_f32 v63, v66, v67 :: v_dual_add_f32 v62, v68, v69
	;; [unrolled: 1-line block ×3, first 2 shown]
	v_dual_min_f32 v55, v38, v10 :: v_dual_min_f32 v66, v37, v9
	v_dual_add_f32 v8, 0, v8 :: v_dual_min_f32 v9, v41, v9
	v_dual_min_f32 v10, v42, v10 :: v_dual_add_f32 v67, 0, v76
	v_min_f32_e32 v68, v14, v46
	s_delay_alu instid0(VALU_DEP_4) | instskip(NEXT) | instid1(VALU_DEP_3)
	v_dual_add_f32 v64, v52, v55 :: v_dual_add_f32 v65, v65, v66
	v_dual_add_f32 v115, v8, v10 :: v_dual_add_f32 v116, v7, v9
	v_add_f32_e32 v7, 0, v75
	s_delay_alu instid0(VALU_DEP_4) | instskip(SKIP_4) | instid1(VALU_DEP_3)
	v_dual_add_f32 v113, v67, v68 :: v_dual_min_f32 v8, v13, v45
	v_dual_add_f32 v9, 0, v78 :: v_dual_add_f32 v52, 0, v77
	v_dual_min_f32 v10, v18, v46 :: v_dual_min_f32 v55, v17, v45
	v_dual_add_f32 v66, 0, v80 :: v_dual_min_f32 v67, v22, v46
	v_dual_add_f32 v68, 0, v79 :: v_dual_min_f32 v69, v21, v45
	v_dual_add_f32 v114, v7, v8 :: v_dual_add_f32 v111, v9, v10
	s_delay_alu instid0(VALU_DEP_4)
	v_dual_add_f32 v112, v52, v55 :: v_dual_add_f32 v7, 0, v82
	v_dual_min_f32 v8, v26, v46 :: v_dual_add_f32 v9, 0, v81
	v_dual_min_f32 v10, v25, v45 :: v_dual_min_f32 v55, v30, v46
	v_add_f32_e32 v52, 0, v84
	v_dual_add_f32 v110, v66, v67 :: v_dual_add_f32 v109, v68, v69
	v_dual_add_f32 v66, 0, v83 :: v_dual_min_f32 v69, v34, v46
	v_dual_min_f32 v67, v29, v45 :: v_dual_add_f32 v68, 0, v86
	v_dual_add_f32 v107, v7, v8 :: v_dual_add_f32 v108, v9, v10
	v_add_f32_e32 v105, v52, v55
	v_dual_add_f32 v7, 0, v85 :: v_dual_min_f32 v10, v38, v46
	v_dual_min_f32 v8, v33, v45 :: v_dual_add_f32 v9, 0, v88
	v_dual_add_f32 v52, 0, v87 :: v_dual_min_f32 v55, v37, v45
	v_dual_add_f32 v44, 0, v44 :: v_dual_add_f32 v43, 0, v43
	v_dual_min_f32 v46, v42, v46 :: v_dual_min_f32 v45, v41, v45
	s_delay_alu instid0(VALU_DEP_4) | instskip(NEXT) | instid1(VALU_DEP_4)
	v_dual_add_f32 v104, v7, v8 :: v_dual_add_f32 v101, v9, v10
	v_dual_add_f32 v102, v52, v55 :: v_dual_add_f32 v9, 0, v89
	s_delay_alu instid0(VALU_DEP_3) | instskip(SKIP_4) | instid1(VALU_DEP_4)
	v_dual_add_f32 v99, v44, v46 :: v_dual_add_f32 v98, v43, v45
	v_dual_add_f32 v7, 0, v51 :: v_dual_min_f32 v8, v14, v50
	v_dual_min_f32 v10, v13, v49 :: v_dual_add_f32 v43, 0, v92
	v_min_f32_e32 v44, v18, v50
	v_dual_add_f32 v45, 0, v90 :: v_dual_min_f32 v46, v17, v49
	v_dual_min_f32 v52, v22, v50 :: v_dual_add_f32 v97, v7, v8
	v_add_f32_e32 v7, 0, v91
	s_delay_alu instid0(VALU_DEP_4)
	v_dual_add_f32 v51, 0, v94 :: v_dual_add_f32 v94, v43, v44
	v_dual_add_f32 v96, v9, v10 :: v_dual_add_f32 v9, 0, v129
	v_min_f32_e32 v8, v21, v49
	v_dual_min_f32 v10, v26, v50 :: v_dual_add_f32 v43, 0, v93
	v_min_f32_e32 v44, v25, v49
	v_dual_add_f32 v95, v45, v46 :: v_dual_add_f32 v92, v51, v52
	v_add_f32_e32 v45, 0, v130
	v_dual_min_f32 v46, v30, v50 :: v_dual_add_f32 v93, v7, v8
	v_dual_add_f32 v51, 0, v100 :: v_dual_min_f32 v52, v29, v49
	v_dual_add_f32 v91, v43, v44 :: v_dual_add_f32 v90, v9, v10
	v_dual_add_f32 v7, 0, v131 :: v_dual_min_f32 v8, v34, v50
	v_add_f32_e32 v9, 0, v117
	v_dual_min_f32 v10, v33, v49 :: v_dual_add_f32 v43, 0, v132
	v_min_f32_e32 v44, v38, v50
	v_dual_add_f32 v89, v45, v46 :: v_dual_add_f32 v88, v51, v52
	v_dual_add_f32 v45, 0, v128 :: v_dual_min_f32 v46, v37, v49
	v_dual_add_f32 v87, v7, v8 :: v_dual_min_f32 v50, v42, v50
	v_dual_add_f32 v7, 0, v47 :: v_dual_add_f32 v86, v9, v10
	v_add_f32_e32 v9, 0, v12
	v_add_f32_e32 v84, v43, v44
	;; [unrolled: 1-line block ×3, first 2 shown]
	v_dual_add_f32 v12, 0, v19 :: v_dual_add_f32 v19, 0, v24
	v_dual_add_f32 v24, 0, v31 :: v_dual_min_f32 v31, v41, v49
	v_dual_add_f32 v48, 0, v48 :: v_dual_add_f32 v85, v45, v46
	v_dual_add_f32 v8, 0, v11 :: v_dual_add_f32 v15, 0, v20
	v_add_f32_e32 v20, 0, v27
	s_delay_alu instid0(VALU_DEP_4) | instskip(NEXT) | instid1(VALU_DEP_4)
	v_dual_min_f32 v14, v14, v54 :: v_dual_add_f32 v83, v7, v31
	v_dual_min_f32 v7, v13, v53 :: v_dual_add_f32 v82, v48, v50
	v_dual_add_f32 v11, 0, v16 :: v_dual_add_f32 v16, 0, v23
	v_add_f32_e32 v27, 0, v32
	v_dual_add_f32 v23, 0, v28 :: v_dual_add_f32 v28, 0, v35
	v_dual_min_f32 v13, v17, v53 :: v_dual_add_f32 v32, 0, v36
	v_dual_add_f32 v35, 0, v39 :: v_dual_add_f32 v36, 0, v40
	v_dual_add_f32 v81, v8, v7 :: v_dual_add_f32 v80, v9, v14
	v_dual_min_f32 v14, v22, v54 :: v_dual_min_f32 v7, v21, v53
	v_min_f32_e32 v9, v18, v54
	v_add_f32_e32 v78, v10, v13
	v_min_f32_e32 v10, v29, v53
	s_delay_alu instid0(VALU_DEP_4) | instskip(SKIP_4) | instid1(VALU_DEP_4)
	v_dual_add_f32 v76, v15, v14 :: v_dual_add_f32 v77, v12, v7
	v_dual_min_f32 v7, v25, v53 :: v_dual_min_f32 v8, v26, v54
	v_add_f32_e32 v79, v11, v9
	v_min_f32_e32 v9, v30, v54
	v_add_f32_e32 v72, v20, v10
	v_dual_add_f32 v75, v16, v7 :: v_dual_add_f32 v74, v19, v8
	v_dual_min_f32 v7, v33, v53 :: v_dual_min_f32 v8, v34, v54
	s_delay_alu instid0(VALU_DEP_4) | instskip(SKIP_2) | instid1(VALU_DEP_4)
	v_add_f32_e32 v73, v23, v9
	v_min_f32_e32 v9, v37, v53
	v_min_f32_e32 v11, v41, v53
	v_dual_add_f32 v71, v24, v7 :: v_dual_add_f32 v70, v27, v8
	v_min_f32_e32 v8, v38, v54
	v_min_f32_e32 v10, v42, v54
	v_dual_add_f32 v106, v66, v67 :: v_dual_add_f32 v103, v68, v69
	v_add_f32_e32 v68, v28, v9
	s_delay_alu instid0(VALU_DEP_4) | instskip(NEXT) | instid1(VALU_DEP_4)
	v_add_f32_e32 v69, v32, v8
	v_dual_add_f32 v67, v36, v10 :: v_dual_add_f32 v66, v35, v11
	s_cbranch_scc1 .LBB94_36
; %bb.22:
	v_lshlrev_b64 v[0:1], 2, v[0:1]
	v_add_nc_u32_e32 v8, 12, v58
	v_add_nc_u32_e32 v12, 8, v58
	v_or_b32_e32 v100, 0x1000, v61
	v_add_nc_u32_e32 v117, 0x1000, v59
	v_add_nc_u32_e32 v128, 0x1400, v61
	v_add_co_u32 v130, s4, s8, v0
	v_mad_i64_i32 v[4:5], null, v8, s22, 0
	v_mad_i64_i32 v[6:7], null, v8, s20, 0
	;; [unrolled: 1-line block ×4, first 2 shown]
	v_add_co_ci_u32_e64 v131, s4, s9, v1, s4
	v_lshlrev_b64 v[0:1], 2, v[2:3]
	v_lshlrev_b64 v[48:49], 2, v[4:5]
	;; [unrolled: 1-line block ×5, first 2 shown]
	v_or_b32_e32 v129, 0x800, v61
	v_add_co_u32 v134, s4, s12, v0
	v_lshl_add_u32 v132, v56, 4, 0x1400
	v_lshl_add_u32 v133, v57, 4, 0x800
	v_add_co_ci_u32_e64 v135, s4, s13, v1, s4
	s_add_i32 s28, s18, -8
	s_lshl_b64 s[8:9], s[22:23], 5
	s_lshl_b64 s[12:13], s[20:21], 5
	s_branch .LBB94_24
.LBB94_23:                              ;   in Loop: Header=BB94_24 Depth=1
	s_or_b32 exec_lo, exec_lo, s5
	v_dual_add_f32 v36, v126, v36 :: v_dual_add_f32 v41, v125, v41
	v_dual_add_f32 v40, v127, v40 :: v_dual_add_f32 v33, v121, v33
	;; [unrolled: 1-line block ×21, first 2 shown]
	v_add_f32_e32 v112, v21, v22
	ds_load_b128 v[20:23], v60
	ds_load_b128 v[28:31], v117
	v_dual_add_f32 v12, v115, v12 :: v_dual_add_f32 v17, v113, v17
	v_add_f32_e32 v113, v8, v188
	v_dual_add_f32 v80, v80, v217 :: v_dual_add_f32 v77, v77, v10
	v_dual_add_f32 v78, v78, v214 :: v_dual_add_f32 v75, v75, v11
	ds_load_b128 v[8:11], v117 offset:128
	v_dual_add_f32 v32, v122, v32 :: v_dual_add_f32 v37, v120, v37
	v_dual_add_f32 v102, v102, v147 :: v_dual_add_f32 v97, v97, v150
	v_dual_add_f32 v86, v86, v159 :: v_dual_add_f32 v85, v85, v161
	v_dual_add_f32 v74, v74, v170 :: v_dual_add_f32 v71, v71, v173
	v_dual_add_f32 v72, v72, v171 :: v_dual_add_f32 v69, v69, v176
	v_add_f32_e32 v70, v70, v174
	v_dual_add_f32 v98, v99, v148 :: v_dual_add_f32 v93, v93, v153
	v_dual_add_f32 v88, v88, v157 :: v_dual_add_f32 v81, v81, v163
	;; [unrolled: 1-line block ×4, first 2 shown]
	v_add_f32_e32 v99, v32, v35
	v_dual_add_f32 v107, v37, v39 :: v_dual_add_f32 v110, v16, v18
	v_dual_add_f32 v115, v12, v189 :: v_dual_add_f32 v118, v17, v190
	;; [unrolled: 1-line block ×7, first 2 shown]
	s_waitcnt lgkmcnt(2)
	v_dual_add_f32 v74, v74, v27 :: v_dual_max_f32 v21, v21, v21
	v_dual_add_f32 v72, v72, v2 :: v_dual_add_f32 v71, v71, v3
	v_dual_add_f32 v70, v70, v14 :: v_dual_add_f32 v69, v69, v15
	;; [unrolled: 1-line block ×3, first 2 shown]
	s_waitcnt lgkmcnt(1)
	v_dual_add_f32 v126, v46, v19 :: v_dual_max_f32 v29, v29, v29
	ds_load_b128 v[0:3], v117 offset:256
	ds_load_b128 v[4:7], v117 offset:384
	;; [unrolled: 1-line block ×5, first 2 shown]
	s_waitcnt lgkmcnt(5)
	v_dual_max_f32 v20, v20, v20 :: v_dual_max_f32 v9, v9, v9
	v_max_f32_e32 v28, v28, v28
	ds_load_b128 v[32:35], v117 offset:768
	ds_load_b128 v[36:39], v117 offset:896
	v_max_f32_e32 v8, v8, v8
	v_min_f32_e32 v140, v29, v21
	v_dual_add_f32 v120, v45, v191 :: v_dual_add_f32 v121, v44, v182
	v_min_f32_e32 v139, v28, v20
	ds_load_b128 v[40:43], v60 offset:1024
	ds_load_b128 v[44:47], v60 offset:1536
	v_add_f32_e32 v66, v66, v140
	v_dual_add_f32 v63, v63, v192 :: v_dual_add_f32 v62, v62, v183
	v_add_f32_e32 v67, v67, v139
	s_waitcnt lgkmcnt(8)
	v_dual_min_f32 v139, v9, v21 :: v_dual_max_f32 v0, v0, v0
	s_waitcnt lgkmcnt(7)
	v_dual_max_f32 v1, v1, v1 :: v_dual_max_f32 v4, v4, v4
	v_max_f32_e32 v5, v5, v5
	s_delay_alu instid0(VALU_DEP_3) | instskip(NEXT) | instid1(VALU_DEP_3)
	v_dual_add_f32 v83, v83, v139 :: v_dual_min_f32 v140, v0, v20
	v_min_f32_e32 v139, v1, v21
	v_min_f32_e32 v141, v8, v20
	s_waitcnt lgkmcnt(6)
	v_dual_max_f32 v12, v12, v12 :: v_dual_max_f32 v13, v13, v13
	v_add_f32_e32 v101, v101, v140
	v_min_f32_e32 v140, v5, v21
	v_dual_add_f32 v84, v84, v141 :: v_dual_add_f32 v99, v99, v139
	v_min_f32_e32 v141, v4, v20
	s_waitcnt lgkmcnt(5)
	v_dual_max_f32 v16, v16, v16 :: v_dual_max_f32 v17, v17, v17
	s_waitcnt lgkmcnt(3)
	v_dual_max_f32 v32, v32, v32 :: v_dual_max_f32 v25, v25, v25
	v_min_f32_e32 v139, v12, v20
	v_dual_add_f32 v107, v107, v140 :: v_dual_min_f32 v140, v13, v21
	v_add_f32_e32 v108, v108, v141
	v_min_f32_e32 v141, v17, v21
	s_waitcnt lgkmcnt(2)
	v_dual_max_f32 v33, v33, v33 :: v_dual_max_f32 v36, v36, v36
	v_add_f32_e32 v109, v109, v140
	s_delay_alu instid0(VALU_DEP_3) | instskip(SKIP_2) | instid1(VALU_DEP_3)
	v_dual_min_f32 v140, v32, v20 :: v_dual_add_f32 v111, v111, v141
	v_dual_max_f32 v37, v37, v37 :: v_dual_max_f32 v24, v24, v24
	v_dual_add_f32 v106, v106, v143 :: v_dual_add_f32 v105, v105, v144
	v_add_f32_e32 v114, v114, v140
	v_min_f32_e32 v140, v29, v25
	v_dual_add_f32 v110, v110, v139 :: v_dual_min_f32 v139, v16, v20
	v_min_f32_e32 v20, v36, v20
	v_dual_add_f32 v104, v104, v145 :: v_dual_add_f32 v103, v103, v146
	s_delay_alu instid0(VALU_DEP_4)
	v_add_f32_e32 v140, v118, v140
	v_min_f32_e32 v118, v1, v25
	v_dual_add_f32 v112, v112, v139 :: v_dual_min_f32 v139, v33, v21
	v_dual_min_f32 v21, v37, v21 :: v_dual_add_f32 v20, v116, v20
	v_min_f32_e32 v116, v8, v24
	v_dual_add_f32 v96, v96, v149 :: v_dual_add_f32 v95, v95, v151
	s_delay_alu instid0(VALU_DEP_4) | instskip(SKIP_4) | instid1(VALU_DEP_4)
	v_add_f32_e32 v113, v113, v139
	v_dual_min_f32 v139, v28, v24 :: v_dual_add_f32 v144, v63, v118
	v_add_f32_e32 v21, v115, v21
	v_min_f32_e32 v115, v9, v25
	v_dual_add_f32 v65, v65, v193 :: v_dual_add_f32 v64, v64, v184
	v_add_f32_e32 v139, v119, v139
	s_delay_alu instid0(VALU_DEP_3)
	v_dual_add_f32 v141, v121, v116 :: v_dual_add_f32 v142, v120, v115
	v_dual_min_f32 v116, v0, v24 :: v_dual_min_f32 v115, v5, v25
	v_min_f32_e32 v119, v4, v24
	v_dual_add_f32 v105, v105, v194 :: v_dual_add_f32 v106, v106, v185
	v_dual_add_f32 v103, v103, v195 :: v_dual_add_f32 v104, v104, v186
	;; [unrolled: 1-line block ×3, first 2 shown]
	v_add_f32_e32 v143, v62, v116
	v_min_f32_e32 v62, v12, v24
	v_add_f32_e32 v146, v65, v115
	v_add_f32_e32 v145, v64, v119
	v_dual_min_f32 v64, v16, v24 :: v_dual_min_f32 v65, v17, v25
	s_delay_alu instid0(VALU_DEP_4) | instskip(SKIP_1) | instid1(VALU_DEP_3)
	v_dual_min_f32 v63, v13, v25 :: v_dual_add_f32 v106, v106, v62
	v_min_f32_e32 v62, v32, v24
	v_dual_add_f32 v104, v104, v64 :: v_dual_add_f32 v103, v103, v65
	s_waitcnt lgkmcnt(1)
	v_max_f32_e32 v40, v40, v40
	v_dual_add_f32 v94, v94, v152 :: v_dual_add_f32 v91, v91, v155
	v_dual_add_f32 v98, v98, v205 :: v_dual_add_f32 v95, v95, v198
	;; [unrolled: 1-line block ×3, first 2 shown]
	v_dual_min_f32 v63, v33, v25 :: v_dual_min_f32 v24, v36, v24
	v_dual_max_f32 v41, v41, v41 :: v_dual_min_f32 v62, v28, v40
	v_dual_min_f32 v25, v37, v25 :: v_dual_min_f32 v64, v8, v40
	v_dual_add_f32 v92, v92, v154 :: v_dual_add_f32 v87, v87, v160
	v_dual_add_f32 v90, v90, v156 :: v_dual_add_f32 v89, v89, v158
	;; [unrolled: 1-line block ×4, first 2 shown]
	v_add_f32_e32 v96, v96, v62
	v_dual_min_f32 v62, v9, v41 :: v_dual_add_f32 v95, v95, v64
	v_dual_min_f32 v63, v29, v41 :: v_dual_add_f32 v92, v92, v208
	v_dual_add_f32 v89, v89, v210 :: v_dual_add_f32 v90, v90, v209
	v_dual_add_f32 v87, v87, v211 :: v_dual_min_f32 v64, v1, v41
	s_delay_alu instid0(VALU_DEP_4)
	v_dual_min_f32 v65, v4, v40 :: v_dual_add_f32 v94, v94, v62
	v_min_f32_e32 v62, v5, v41
	v_add_f32_e32 v97, v97, v63
	v_min_f32_e32 v63, v0, v40
	v_dual_add_f32 v88, v88, v201 :: v_dual_add_f32 v85, v85, v203
	v_dual_add_f32 v25, v98, v25 :: v_dual_add_f32 v92, v92, v64
	s_delay_alu instid0(VALU_DEP_3) | instskip(SKIP_3) | instid1(VALU_DEP_4)
	v_dual_add_f32 v93, v93, v63 :: v_dual_min_f32 v64, v16, v40
	v_dual_min_f32 v63, v12, v40 :: v_dual_add_f32 v90, v90, v62
	v_min_f32_e32 v62, v13, v41
	v_add_f32_e32 v91, v91, v65
	v_dual_min_f32 v65, v17, v41 :: v_dual_add_f32 v86, v86, v64
	s_waitcnt lgkmcnt(0)
	v_dual_max_f32 v44, v44, v44 :: v_dual_max_f32 v45, v45, v45
	v_dual_add_f32 v82, v82, v216 :: v_dual_add_f32 v79, v79, v218
	s_delay_alu instid0(VALU_DEP_3)
	v_dual_add_f32 v87, v87, v65 :: v_dual_add_f32 v88, v88, v63
	v_min_f32_e32 v63, v32, v40
	v_dual_add_f32 v89, v89, v62 :: v_dual_min_f32 v40, v36, v40
	v_min_f32_e32 v62, v33, v41
	v_dual_min_f32 v28, v28, v44 :: v_dual_min_f32 v9, v9, v45
	v_dual_min_f32 v0, v0, v44 :: v_dual_min_f32 v13, v13, v45
	;; [unrolled: 1-line block ×4, first 2 shown]
	v_dual_max_f32 v23, v23, v23 :: v_dual_max_f32 v30, v30, v30
	v_dual_max_f32 v31, v31, v31 :: v_dual_max_f32 v10, v10, v10
	v_dual_min_f32 v41, v37, v41 :: v_dual_min_f32 v8, v8, v44
	v_dual_add_f32 v9, v79, v9 :: v_dual_min_f32 v4, v4, v44
	v_dual_min_f32 v1, v1, v45 :: v_dual_min_f32 v12, v12, v44
	v_dual_add_f32 v16, v71, v16 :: v_dual_add_f32 v17, v70, v17
	v_dual_min_f32 v36, v36, v44 :: v_dual_add_f32 v33, v69, v33
	v_dual_max_f32 v22, v22, v22 :: v_dual_min_f32 v37, v37, v45
	v_max_f32_e32 v11, v11, v11
	v_min_f32_e32 v44, v31, v23
	v_dual_add_f32 v85, v85, v63 :: v_dual_add_f32 v148, v124, v62
	v_dual_min_f32 v29, v29, v45 :: v_dual_add_f32 v8, v78, v8
	v_dual_min_f32 v5, v5, v45 :: v_dual_add_f32 v4, v75, v4
	v_dual_add_f32 v36, v127, v36 :: v_dual_min_f32 v45, v30, v22
	v_add_f32_e32 v127, v66, v44
	v_dual_max_f32 v3, v3, v3 :: v_dual_max_f32 v2, v2, v2
	v_min_f32_e32 v44, v10, v22
	v_dual_add_f32 v37, v126, v37 :: v_dual_min_f32 v62, v11, v23
	v_dual_add_f32 v40, v125, v40 :: v_dual_add_f32 v41, v82, v41
	v_add_f32_e32 v126, v67, v45
	v_dual_max_f32 v7, v7, v7 :: v_dual_max_f32 v6, v6, v6
	s_delay_alu instid0(VALU_DEP_4) | instskip(SKIP_2) | instid1(VALU_DEP_4)
	v_dual_add_f32 v124, v83, v62 :: v_dual_add_f32 v125, v84, v44
	v_dual_min_f32 v45, v3, v23 :: v_dual_min_f32 v44, v2, v22
	v_dual_max_f32 v15, v15, v15 :: v_dual_max_f32 v14, v14, v14
	v_min_f32_e32 v62, v7, v23
	s_delay_alu instid0(VALU_DEP_3) | instskip(NEXT) | instid1(VALU_DEP_3)
	v_dual_add_f32 v122, v99, v45 :: v_dual_add_f32 v123, v101, v44
	v_dual_min_f32 v45, v6, v22 :: v_dual_min_f32 v44, v15, v23
	v_dual_max_f32 v19, v19, v19 :: v_dual_max_f32 v18, v18, v18
	s_delay_alu instid0(VALU_DEP_2) | instskip(NEXT) | instid1(VALU_DEP_3)
	v_dual_add_f32 v120, v107, v62 :: v_dual_add_f32 v121, v108, v45
	v_dual_min_f32 v45, v14, v22 :: v_dual_add_f32 v118, v109, v44
	s_delay_alu instid0(VALU_DEP_3) | instskip(NEXT) | instid1(VALU_DEP_2)
	v_dual_max_f32 v35, v35, v35 :: v_dual_min_f32 v62, v18, v22
	v_dual_min_f32 v44, v19, v23 :: v_dual_add_f32 v119, v110, v45
	s_delay_alu instid0(VALU_DEP_2) | instskip(NEXT) | instid1(VALU_DEP_3)
	v_dual_max_f32 v34, v34, v34 :: v_dual_min_f32 v45, v35, v23
	v_dual_add_f32 v62, v112, v62 :: v_dual_max_f32 v39, v39, v39
	s_delay_alu instid0(VALU_DEP_2) | instskip(NEXT) | instid1(VALU_DEP_3)
	v_dual_add_f32 v63, v111, v44 :: v_dual_min_f32 v44, v34, v22
	v_dual_max_f32 v27, v27, v27 :: v_dual_add_f32 v64, v113, v45
	s_delay_alu instid0(VALU_DEP_3) | instskip(SKIP_1) | instid1(VALU_DEP_3)
	v_dual_min_f32 v23, v39, v23 :: v_dual_max_f32 v38, v38, v38
	v_max_f32_e32 v26, v26, v26
	v_dual_add_f32 v65, v114, v44 :: v_dual_min_f32 v44, v31, v27
	s_delay_alu instid0(VALU_DEP_3) | instskip(SKIP_2) | instid1(VALU_DEP_4)
	v_dual_add_f32 v115, v21, v23 :: v_dual_min_f32 v22, v38, v22
	v_min_f32_e32 v21, v11, v27
	v_min_f32_e32 v23, v7, v27
	v_add_f32_e32 v113, v140, v44
	v_dual_add_f32 v0, v77, v0 :: v_dual_add_f32 v1, v76, v1
	s_delay_alu instid0(VALU_DEP_4) | instskip(SKIP_3) | instid1(VALU_DEP_3)
	v_dual_add_f32 v116, v20, v22 :: v_dual_add_f32 v111, v142, v21
	v_dual_min_f32 v20, v10, v26 :: v_dual_min_f32 v21, v3, v27
	v_min_f32_e32 v45, v30, v26
	v_min_f32_e32 v22, v2, v26
	v_dual_add_f32 v107, v146, v23 :: v_dual_add_f32 v112, v141, v20
	v_min_f32_e32 v20, v6, v26
	s_delay_alu instid0(VALU_DEP_3) | instskip(SKIP_2) | instid1(VALU_DEP_4)
	v_dual_add_f32 v110, v144, v21 :: v_dual_add_f32 v109, v143, v22
	v_min_f32_e32 v21, v15, v27
	v_add_f32_e32 v114, v139, v45
	v_dual_add_f32 v108, v145, v20 :: v_dual_min_f32 v23, v18, v26
	s_delay_alu instid0(VALU_DEP_3) | instskip(SKIP_2) | instid1(VALU_DEP_3)
	v_dual_min_f32 v20, v14, v26 :: v_dual_add_f32 v105, v105, v21
	v_min_f32_e32 v21, v35, v27
	v_dual_add_f32 v5, v74, v5 :: v_dual_add_f32 v12, v72, v12
	v_add_f32_e32 v106, v106, v20
	s_delay_alu instid0(VALU_DEP_3) | instskip(SKIP_3) | instid1(VALU_DEP_4)
	v_dual_min_f32 v20, v34, v26 :: v_dual_add_f32 v101, v147, v21
	v_max_f32_e32 v21, v43, v43
	v_add_f32_e32 v104, v104, v23
	v_dual_min_f32 v23, v39, v27 :: v_dual_min_f32 v26, v38, v26
	v_add_f32_e32 v102, v102, v20
	s_delay_alu instid0(VALU_DEP_4) | instskip(SKIP_1) | instid1(VALU_DEP_4)
	v_min_f32_e32 v20, v31, v21
	v_min_f32_e32 v22, v19, v27
	v_add_f32_e32 v99, v25, v23
	v_dual_add_f32 v13, v73, v13 :: v_dual_add_f32 v32, v68, v32
	s_delay_alu instid0(VALU_DEP_4) | instskip(NEXT) | instid1(VALU_DEP_4)
	v_add_f32_e32 v97, v97, v20
	v_add_f32_e32 v103, v103, v22
	v_max_f32_e32 v22, v42, v42
	v_dual_add_f32 v98, v24, v26 :: v_dual_min_f32 v23, v11, v21
	v_dual_min_f32 v25, v7, v21 :: v_dual_add_f32 v28, v81, v28
	v_add_f32_e32 v29, v80, v29
	s_delay_alu instid0(VALU_DEP_4) | instskip(SKIP_3) | instid1(VALU_DEP_3)
	v_min_f32_e32 v27, v30, v22
	v_min_f32_e32 v20, v10, v22
	v_add_f32_e32 v94, v94, v23
	v_dual_min_f32 v23, v2, v22 :: v_dual_min_f32 v24, v3, v21
	v_dual_add_f32 v96, v96, v27 :: v_dual_add_f32 v95, v95, v20
	v_add_co_u32 v134, s4, v134, s8
	s_delay_alu instid0(VALU_DEP_3) | instskip(SKIP_3) | instid1(VALU_DEP_3)
	v_dual_add_f32 v93, v93, v23 :: v_dual_add_f32 v92, v92, v24
	v_dual_min_f32 v23, v15, v21 :: v_dual_min_f32 v20, v6, v22
	v_min_f32_e32 v24, v14, v22
	v_add_co_ci_u32_e64 v135, s4, s9, v135, s4
	v_add_f32_e32 v89, v89, v23
	v_min_f32_e32 v23, v35, v21
	v_dual_add_f32 v90, v90, v25 :: v_dual_add_f32 v91, v91, v20
	v_dual_min_f32 v20, v19, v21 :: v_dual_min_f32 v25, v18, v22
	v_dual_add_f32 v88, v88, v24 :: v_dual_min_f32 v21, v39, v21
	v_max_f32_e32 v24, v47, v47
	s_delay_alu instid0(VALU_DEP_3) | instskip(SKIP_1) | instid1(VALU_DEP_3)
	v_dual_add_f32 v87, v87, v20 :: v_dual_add_f32 v86, v86, v25
	v_dual_add_f32 v84, v148, v23 :: v_dual_max_f32 v23, v46, v46
	v_dual_min_f32 v20, v34, v22 :: v_dual_min_f32 v25, v31, v24
	v_dual_min_f32 v3, v3, v24 :: v_dual_min_f32 v22, v38, v22
	v_min_f32_e32 v11, v11, v24
	s_delay_alu instid0(VALU_DEP_3)
	v_dual_add_f32 v85, v85, v20 :: v_dual_min_f32 v20, v30, v23
	v_min_f32_e32 v10, v10, v23
	v_min_f32_e32 v2, v2, v23
	v_dual_add_f32 v76, v1, v3 :: v_dual_min_f32 v1, v7, v24
	v_min_f32_e32 v3, v14, v23
	v_add_co_u32 v130, s4, v130, s12
	v_dual_add_f32 v82, v41, v21 :: v_dual_add_f32 v83, v40, v22
	s_delay_alu instid0(VALU_DEP_4) | instskip(SKIP_4) | instid1(VALU_DEP_4)
	v_dual_add_f32 v74, v5, v1 :: v_dual_min_f32 v1, v19, v24
	v_dual_add_f32 v77, v0, v2 :: v_dual_min_f32 v2, v15, v24
	v_min_f32_e32 v0, v6, v23
	v_dual_add_f32 v72, v12, v3 :: v_dual_min_f32 v3, v39, v24
	v_dual_add_f32 v80, v29, v25 :: v_dual_add_f32 v81, v28, v20
	v_add_f32_e32 v73, v13, v2
	s_delay_alu instid0(VALU_DEP_4)
	v_dual_add_f32 v75, v4, v0 :: v_dual_min_f32 v0, v18, v23
	v_dual_add_f32 v70, v17, v1 :: v_dual_min_f32 v1, v35, v24
	v_min_f32_e32 v2, v34, v23
	v_min_f32_e32 v4, v38, v23
	v_dual_add_f32 v79, v9, v11 :: v_dual_add_f32 v78, v8, v10
	v_add_f32_e32 v71, v16, v0
	s_delay_alu instid0(VALU_DEP_4) | instskip(NEXT) | instid1(VALU_DEP_4)
	v_dual_add_f32 v69, v33, v1 :: v_dual_add_f32 v68, v32, v2
	v_dual_add_f32 v67, v37, v3 :: v_dual_add_f32 v66, v36, v4
	v_add_co_ci_u32_e64 v131, s4, s13, v131, s4
	s_add_i32 s27, s27, 8
	s_waitcnt vmcnt(0)
	ds_store_b32 v128, v136
	ds_store_2addr_stride64_b32 v129, v138, v137 offset1:4
	s_cmp_ge_i32 s27, s28
	s_waitcnt lgkmcnt(0)
	s_barrier
	buffer_gl0_inv
	s_cbranch_scc1 .LBB94_36
.LBB94_24:                              ; =>This Inner Loop Header: Depth=1
	v_dual_mov_b32 v138, 0 :: v_dual_add_nc_u32 v137, s27, v58
	s_delay_alu instid0(VALU_DEP_1) | instskip(NEXT) | instid1(VALU_DEP_1)
	v_dual_mov_b32 v139, 0 :: v_dual_add_nc_u32 v0, 8, v137
	v_cmp_le_i32_e64 s4, s18, v0
	s_delay_alu instid0(VALU_DEP_1) | instskip(NEXT) | instid1(SALU_CYCLE_1)
	s_or_b32 s5, vcc_lo, s4
	s_xor_b32 s5, s5, -1
	s_delay_alu instid0(SALU_CYCLE_1)
	s_and_saveexec_b32 s20, s5
	s_cbranch_execz .LBB94_26
; %bb.25:                               ;   in Loop: Header=BB94_24 Depth=1
	v_add_co_u32 v0, s5, v130, v52
	s_delay_alu instid0(VALU_DEP_1)
	v_add_co_ci_u32_e64 v1, s5, v131, v53, s5
	flat_load_b32 v139, v[0:1]
.LBB94_26:                              ;   in Loop: Header=BB94_24 Depth=1
	s_or_b32 exec_lo, exec_lo, s20
	s_or_b32 s5, s2, s4
	s_delay_alu instid0(SALU_CYCLE_1) | instskip(NEXT) | instid1(SALU_CYCLE_1)
	s_xor_b32 s5, s5, -1
	s_and_saveexec_b32 s20, s5
	s_cbranch_execz .LBB94_28
; %bb.27:                               ;   in Loop: Header=BB94_24 Depth=1
	v_add_co_u32 v0, s5, v134, v54
	s_delay_alu instid0(VALU_DEP_1)
	v_add_co_ci_u32_e64 v1, s5, v135, v55, s5
	flat_load_b32 v138, v[0:1]
.LBB94_28:                              ;   in Loop: Header=BB94_24 Depth=1
	s_or_b32 exec_lo, exec_lo, s20
	v_mov_b32_e32 v136, 0
	v_mov_b32_e32 v140, 0
	s_or_b32 s4, s3, s4
	s_delay_alu instid0(SALU_CYCLE_1) | instskip(NEXT) | instid1(SALU_CYCLE_1)
	s_xor_b32 s4, s4, -1
	s_and_saveexec_b32 s5, s4
	s_cbranch_execz .LBB94_30
; %bb.29:                               ;   in Loop: Header=BB94_24 Depth=1
	v_add_co_u32 v0, s4, v134, v54
	s_delay_alu instid0(VALU_DEP_1)
	v_add_co_ci_u32_e64 v1, s4, v135, v55, s4
	flat_load_b32 v140, v[0:1] offset:256
.LBB94_30:                              ;   in Loop: Header=BB94_24 Depth=1
	s_or_b32 exec_lo, exec_lo, s5
	ds_load_b128 v[40:43], v132
	ds_load_b128 v[36:39], v132 offset:128
	ds_load_b128 v[32:35], v132 offset:256
	;; [unrolled: 1-line block ×7, first 2 shown]
	ds_load_b128 v[44:47], v133
	ds_load_b128 v[8:11], v133 offset:512
	ds_load_b128 v[4:7], v133 offset:1024
	ds_load_b128 v[0:3], v133 offset:1536
	v_add_nc_u32_e32 v137, 12, v137
	s_waitcnt vmcnt(0) lgkmcnt(12)
	ds_store_b32 v100, v139
	ds_store_2addr_stride64_b32 v61, v138, v140 offset1:4
	s_waitcnt lgkmcnt(0)
	s_barrier
	buffer_gl0_inv
	v_cmp_le_i32_e64 s4, s18, v137
	s_delay_alu instid0(VALU_DEP_1) | instskip(NEXT) | instid1(SALU_CYCLE_1)
	s_or_b32 s5, vcc_lo, s4
	s_xor_b32 s5, s5, -1
	s_delay_alu instid0(SALU_CYCLE_1)
	s_and_saveexec_b32 s20, s5
	s_cbranch_execz .LBB94_32
; %bb.31:                               ;   in Loop: Header=BB94_24 Depth=1
	v_add_co_u32 v136, s5, v130, v50
	s_delay_alu instid0(VALU_DEP_1)
	v_add_co_ci_u32_e64 v137, s5, v131, v51, s5
	flat_load_b32 v136, v[136:137]
.LBB94_32:                              ;   in Loop: Header=BB94_24 Depth=1
	s_or_b32 exec_lo, exec_lo, s20
	v_dual_mov_b32 v137, 0 :: v_dual_mov_b32 v138, 0
	s_or_b32 s5, s2, s4
	s_delay_alu instid0(SALU_CYCLE_1) | instskip(NEXT) | instid1(SALU_CYCLE_1)
	s_xor_b32 s5, s5, -1
	s_and_saveexec_b32 s20, s5
	s_cbranch_execz .LBB94_34
; %bb.33:                               ;   in Loop: Header=BB94_24 Depth=1
	v_add_co_u32 v138, s5, v134, v48
	s_delay_alu instid0(VALU_DEP_1)
	v_add_co_ci_u32_e64 v139, s5, v135, v49, s5
	flat_load_b32 v138, v[138:139]
.LBB94_34:                              ;   in Loop: Header=BB94_24 Depth=1
	s_or_b32 exec_lo, exec_lo, s20
	v_dual_max_f32 v44, v44, v44 :: v_dual_max_f32 v45, v45, v45
	v_dual_max_f32 v171, v24, v24 :: v_dual_max_f32 v172, v25, v25
	;; [unrolled: 1-line block ×3, first 2 shown]
	v_max_f32_e32 v175, v16, v16
	v_dual_max_f32 v162, v4, v4 :: v_dual_max_f32 v179, v5, v5
	v_dual_max_f32 v163, v40, v40 :: v_dual_max_f32 v164, v41, v41
	;; [unrolled: 1-line block ×5, first 2 shown]
	v_dual_min_f32 v16, v171, v44 :: v_dual_max_f32 v149, v9, v9
	v_dual_min_f32 v24, v174, v45 :: v_dual_min_f32 v25, v175, v44
	v_dual_max_f32 v176, v17, v17 :: v_dual_max_f32 v177, v12, v12
	v_max_f32_e32 v178, v13, v13
	v_dual_max_f32 v148, v8, v8 :: v_dual_min_f32 v161, v175, v162
	v_dual_max_f32 v180, v0, v0 :: v_dual_max_f32 v181, v1, v1
	s_delay_alu instid0(VALU_DEP_4)
	v_min_f32_e32 v0, v176, v179
	v_dual_min_f32 v36, v163, v44 :: v_dual_min_f32 v37, v170, v45
	v_dual_min_f32 v40, v164, v45 :: v_dual_min_f32 v41, v165, v44
	;; [unrolled: 1-line block ×6, first 2 shown]
	v_min_f32_e32 v12, v178, v45
	v_min_f32_e32 v45, v166, v149
	;; [unrolled: 1-line block ×5, first 2 shown]
	v_dual_max_f32 v182, v46, v46 :: v_dual_max_f32 v183, v47, v47
	v_dual_max_f32 v213, v42, v42 :: v_dual_max_f32 v214, v43, v43
	v_dual_max_f32 v218, v38, v38 :: v_dual_min_f32 v43, v177, v180
	v_dual_min_f32 v46, v178, v181 :: v_dual_max_f32 v177, v39, v39
	v_dual_max_f32 v221, v30, v30 :: v_dual_max_f32 v222, v31, v31
	v_dual_max_f32 v225, v22, v22 :: v_dual_max_f32 v226, v23, v23
	;; [unrolled: 1-line block ×3, first 2 shown]
	s_delay_alu instid0(VALU_DEP_4) | instskip(NEXT) | instid1(VALU_DEP_4)
	v_dual_min_f32 v34, v177, v183 :: v_dual_max_f32 v223, v26, v26
	v_dual_min_f32 v31, v221, v182 :: v_dual_max_f32 v224, v27, v27
	v_max_f32_e32 v227, v18, v18
	v_dual_min_f32 v22, v225, v182 :: v_dual_max_f32 v19, v19, v19
	v_dual_max_f32 v228, v14, v14 :: v_dual_max_f32 v229, v15, v15
	v_dual_max_f32 v10, v10, v10 :: v_dual_max_f32 v11, v11, v11
	;; [unrolled: 1-line block ×4, first 2 shown]
	v_dual_min_f32 v17, v164, v149 :: v_dual_min_f32 v44, v165, v148
	v_dual_min_f32 v139, v167, v148 :: v_dual_min_f32 v140, v168, v149
	;; [unrolled: 1-line block ×12, first 2 shown]
	v_min_f32_e32 v160, v174, v179
	v_dual_min_f32 v162, v178, v179 :: v_dual_min_f32 v163, v163, v180
	v_dual_min_f32 v164, v164, v181 :: v_dual_min_f32 v165, v165, v180
	;; [unrolled: 1-line block ×7, first 2 shown]
	v_min_f32_e32 v176, v176, v181
	v_dual_min_f32 v38, v213, v182 :: v_dual_min_f32 v47, v214, v183
	v_dual_min_f32 v42, v218, v182 :: v_dual_min_f32 v35, v220, v183
	;; [unrolled: 1-line block ×5, first 2 shown]
	v_min_f32_e32 v190, v214, v11
	v_dual_min_f32 v188, v19, v183 :: v_dual_min_f32 v181, v213, v10
	v_dual_min_f32 v180, v228, v182 :: v_dual_min_f32 v189, v229, v183
	v_dual_min_f32 v182, v218, v10 :: v_dual_min_f32 v191, v177, v11
	v_dual_min_f32 v183, v219, v10 :: v_dual_min_f32 v192, v220, v11
	v_dual_min_f32 v184, v221, v10 :: v_dual_min_f32 v193, v222, v11
	v_dual_min_f32 v185, v223, v10 :: v_dual_min_f32 v194, v224, v11
	v_dual_min_f32 v186, v225, v10 :: v_dual_min_f32 v195, v226, v11
	v_dual_min_f32 v187, v227, v10 :: v_dual_min_f32 v206, v214, v7
	v_dual_min_f32 v204, v19, v11 :: v_dual_min_f32 v197, v213, v6
	v_dual_min_f32 v196, v228, v10 :: v_dual_min_f32 v205, v229, v11
	v_dual_min_f32 v198, v218, v6 :: v_dual_min_f32 v207, v177, v7
	v_dual_min_f32 v199, v219, v6 :: v_dual_min_f32 v208, v220, v7
	v_dual_min_f32 v200, v221, v6 :: v_dual_min_f32 v209, v222, v7
	v_dual_min_f32 v201, v223, v6 :: v_dual_min_f32 v210, v224, v7
	v_dual_min_f32 v202, v225, v6 :: v_dual_min_f32 v211, v226, v7
	v_dual_min_f32 v203, v227, v6 :: v_dual_min_f32 v216, v229, v7
	v_dual_min_f32 v215, v19, v7 :: v_dual_min_f32 v212, v228, v6
	v_dual_min_f32 v213, v213, v230 :: v_dual_min_f32 v26, v220, v231
	v_dual_min_f32 v217, v214, v231 :: v_dual_min_f32 v10, v219, v230
	v_min_f32_e32 v214, v218, v230
	v_dual_min_f32 v218, v177, v231 :: v_dual_min_f32 v7, v228, v230
	v_dual_min_f32 v11, v221, v230 :: v_dual_min_f32 v14, v226, v231
	;; [unrolled: 1-line block ×3, first 2 shown]
	v_min_f32_e32 v177, v224, v231
	v_min_f32_e32 v3, v225, v230
	;; [unrolled: 1-line block ×5, first 2 shown]
	s_or_b32 s4, s3, s4
	s_delay_alu instid0(SALU_CYCLE_1) | instskip(NEXT) | instid1(SALU_CYCLE_1)
	s_xor_b32 s4, s4, -1
	s_and_saveexec_b32 s5, s4
	s_cbranch_execz .LBB94_23
; %bb.35:                               ;   in Loop: Header=BB94_24 Depth=1
	v_add_co_u32 v219, s4, v134, v48
	s_delay_alu instid0(VALU_DEP_1)
	v_add_co_ci_u32_e64 v220, s4, v135, v49, s4
	flat_load_b32 v137, v[219:220] offset:256
	s_branch .LBB94_23
.LBB94_36:
	s_clause 0x2
	s_load_b64 s[2:3], s[0:1], 0x70
	s_load_b32 s12, s[0:1], 0x50
	s_load_b32 s9, s[0:1], 0x68
	ds_load_b128 v[32:35], v59 offset:5120
	ds_load_b128 v[28:31], v59 offset:5248
	ds_load_b128 v[24:27], v59 offset:5376
	ds_load_b128 v[20:23], v59 offset:5504
	ds_load_b128 v[16:19], v59 offset:5632
	ds_load_b128 v[12:15], v59 offset:5760
	ds_load_b128 v[8:11], v59 offset:5888
	ds_load_b128 v[0:3], v59 offset:6016
	ds_load_b128 v[44:47], v60 offset:2048
	ds_load_b128 v[40:43], v60 offset:2560
	ds_load_b128 v[36:39], v60 offset:3072
	ds_load_b128 v[4:7], v60 offset:3584
	v_add_nc_u32_e32 v117, s26, v57
	v_add_nc_u32_e32 v48, s14, v56
	v_cndmask_b32_e64 v100, 0, 1, s24
	s_delay_alu instid0(VALU_DEP_3)
	v_cmp_gt_i32_e64 s8, s17, v117
	s_waitcnt lgkmcnt(0)
	s_mul_i32 s0, s15, s3
	v_mad_i64_i32 v[49:50], null, v117, s12, 0
	v_mad_i64_i32 v[51:52], null, v117, s9, 0
	s_mul_hi_u32 s1, s15, s2
	s_mul_i32 s3, s25, s2
	s_add_i32 s1, s1, s0
	s_mul_i32 s0, s15, s2
	s_delay_alu instid0(VALU_DEP_2) | instskip(SKIP_1) | instid1(VALU_DEP_2)
	v_lshlrev_b64 v[49:50], 2, v[49:50]
	s_add_i32 s1, s1, s3
	v_lshlrev_b64 v[51:52], 2, v[51:52]
	s_lshl_b64 s[0:1], s[0:1], 2
	s_delay_alu instid0(SALU_CYCLE_1) | instskip(NEXT) | instid1(VALU_DEP_2)
	s_add_u32 s13, s6, s0
	v_add_co_u32 v130, vcc_lo, s10, v49
	v_add_co_ci_u32_e32 v131, vcc_lo, s11, v50, vcc_lo
	s_addc_u32 s14, s7, s1
	v_add_co_u32 v128, vcc_lo, s13, v51
	v_cmp_gt_i32_e64 s0, s16, v48
	v_add_co_ci_u32_e32 v129, vcc_lo, s14, v52, vcc_lo
	v_ashrrev_i32_e32 v49, 31, v48
	s_delay_alu instid0(VALU_DEP_3) | instskip(NEXT) | instid1(SALU_CYCLE_1)
	s_and_b32 s2, s0, s8
	s_and_saveexec_b32 s1, s2
	s_cbranch_execz .LBB94_41
; %bb.37:
	s_delay_alu instid0(VALU_DEP_1)
	v_lshlrev_b64 v[50:51], 2, v[48:49]
	s_and_not1_b32 vcc_lo, exec_lo, s24
	s_cbranch_vccnz .LBB94_39
; %bb.38:
	s_delay_alu instid0(VALU_DEP_1) | instskip(NEXT) | instid1(VALU_DEP_2)
	v_add_co_u32 v52, vcc_lo, v130, v50
	v_add_co_ci_u32_e32 v53, vcc_lo, v131, v51, vcc_lo
	flat_load_b32 v52, v[52:53]
	s_waitcnt vmcnt(0) lgkmcnt(0)
	v_mul_f32_e32 v52, s19, v52
	s_branch .LBB94_40
.LBB94_39:
	v_mov_b32_e32 v52, 0
.LBB94_40:
	v_dual_max_f32 v53, v45, v45 :: v_dual_max_f32 v56, v32, v32
	v_dual_max_f32 v54, v33, v33 :: v_dual_max_f32 v55, v44, v44
	;; [unrolled: 1-line block ×3, first 2 shown]
	v_max_f32_e32 v59, v35, v35
	s_delay_alu instid0(VALU_DEP_3) | instskip(NEXT) | instid1(VALU_DEP_4)
	v_min_f32_e32 v53, v54, v53
	v_dual_max_f32 v54, v34, v34 :: v_dual_min_f32 v55, v56, v55
	v_add_co_u32 v50, vcc_lo, v128, v50
	v_add_co_ci_u32_e32 v51, vcc_lo, v129, v51, vcc_lo
	s_delay_alu instid0(VALU_DEP_3) | instskip(SKIP_3) | instid1(VALU_DEP_1)
	v_min_f32_e32 v54, v54, v57
	v_min_f32_e32 v56, v59, v58
	v_add_f32_e32 v53, v127, v53
	v_add_f32_e32 v55, v126, v55
	v_dual_add_f32 v53, v53, v56 :: v_dual_add_f32 v54, v55, v54
	s_delay_alu instid0(VALU_DEP_1) | instskip(NEXT) | instid1(VALU_DEP_1)
	v_add_f32_e32 v53, v54, v53
	v_add_f32_e32 v52, v53, v52
	global_store_b32 v[50:51], v52, off
.LBB94_41:
	s_or_b32 exec_lo, exec_lo, s1
	v_add_nc_u32_e32 v50, 8, v48
	s_delay_alu instid0(VALU_DEP_1) | instskip(SKIP_1) | instid1(VALU_DEP_2)
	v_cmp_gt_i32_e64 s1, s16, v50
	v_ashrrev_i32_e32 v51, 31, v50
	s_and_b32 s3, s1, s8
	s_delay_alu instid0(SALU_CYCLE_1)
	s_and_saveexec_b32 s2, s3
	s_cbranch_execz .LBB94_46
; %bb.42:
	v_cmp_ne_u32_e32 vcc_lo, 1, v100
	v_lshlrev_b64 v[52:53], 2, v[50:51]
	s_cbranch_vccnz .LBB94_44
; %bb.43:
	s_delay_alu instid0(VALU_DEP_1) | instskip(NEXT) | instid1(VALU_DEP_2)
	v_add_co_u32 v54, vcc_lo, v130, v52
	v_add_co_ci_u32_e32 v55, vcc_lo, v131, v53, vcc_lo
	flat_load_b32 v54, v[54:55]
	s_waitcnt vmcnt(0) lgkmcnt(0)
	v_mul_f32_e32 v54, s19, v54
	s_branch .LBB94_45
.LBB94_44:
	v_mov_b32_e32 v54, 0
.LBB94_45:
	v_dual_max_f32 v55, v45, v45 :: v_dual_max_f32 v58, v28, v28
	v_dual_max_f32 v56, v29, v29 :: v_dual_max_f32 v57, v44, v44
	;; [unrolled: 1-line block ×3, first 2 shown]
	v_add_co_u32 v52, vcc_lo, v128, v52
	s_delay_alu instid0(VALU_DEP_3) | instskip(NEXT) | instid1(VALU_DEP_4)
	v_dual_min_f32 v55, v56, v55 :: v_dual_max_f32 v56, v30, v30
	v_min_f32_e32 v57, v58, v57
	v_add_co_ci_u32_e32 v53, vcc_lo, v129, v53, vcc_lo
	s_delay_alu instid0(VALU_DEP_2) | instskip(NEXT) | instid1(VALU_DEP_1)
	v_dual_min_f32 v56, v56, v59 :: v_dual_add_f32 v57, v125, v57
	v_dual_max_f32 v61, v31, v31 :: v_dual_add_f32 v56, v57, v56
	s_delay_alu instid0(VALU_DEP_1) | instskip(NEXT) | instid1(VALU_DEP_1)
	v_dual_add_f32 v55, v124, v55 :: v_dual_min_f32 v58, v61, v60
	v_add_f32_e32 v55, v55, v58
	s_delay_alu instid0(VALU_DEP_1) | instskip(NEXT) | instid1(VALU_DEP_1)
	v_add_f32_e32 v55, v56, v55
	v_add_f32_e32 v54, v55, v54
	global_store_b32 v[52:53], v54, off
.LBB94_46:
	s_or_b32 exec_lo, exec_lo, s2
	v_add_nc_u32_e32 v52, 16, v48
	s_delay_alu instid0(VALU_DEP_1) | instskip(SKIP_1) | instid1(VALU_DEP_2)
	v_cmp_gt_i32_e64 s2, s16, v52
	v_ashrrev_i32_e32 v53, 31, v52
	s_and_b32 s4, s2, s8
	s_delay_alu instid0(SALU_CYCLE_1)
	s_and_saveexec_b32 s3, s4
	s_cbranch_execz .LBB94_51
; %bb.47:
	v_cmp_ne_u32_e32 vcc_lo, 1, v100
	v_lshlrev_b64 v[54:55], 2, v[52:53]
	s_cbranch_vccnz .LBB94_49
; %bb.48:
	s_delay_alu instid0(VALU_DEP_1) | instskip(NEXT) | instid1(VALU_DEP_2)
	v_add_co_u32 v56, vcc_lo, v130, v54
	v_add_co_ci_u32_e32 v57, vcc_lo, v131, v55, vcc_lo
	flat_load_b32 v56, v[56:57]
	s_waitcnt vmcnt(0) lgkmcnt(0)
	v_mul_f32_e32 v56, s19, v56
	s_branch .LBB94_50
.LBB94_49:
	v_mov_b32_e32 v56, 0
.LBB94_50:
	v_dual_max_f32 v57, v45, v45 :: v_dual_max_f32 v60, v24, v24
	v_dual_max_f32 v58, v25, v25 :: v_dual_max_f32 v59, v44, v44
	;; [unrolled: 1-line block ×3, first 2 shown]
	v_max_f32_e32 v125, v27, v27
	s_delay_alu instid0(VALU_DEP_3) | instskip(NEXT) | instid1(VALU_DEP_4)
	v_min_f32_e32 v57, v58, v57
	v_dual_max_f32 v58, v26, v26 :: v_dual_min_f32 v59, v60, v59
	v_add_co_u32 v54, vcc_lo, v128, v54
	v_add_co_ci_u32_e32 v55, vcc_lo, v129, v55, vcc_lo
	s_delay_alu instid0(VALU_DEP_3) | instskip(NEXT) | instid1(VALU_DEP_4)
	v_min_f32_e32 v58, v58, v61
	v_dual_min_f32 v60, v125, v124 :: v_dual_add_f32 v59, v123, v59
	s_delay_alu instid0(VALU_DEP_1) | instskip(NEXT) | instid1(VALU_DEP_1)
	v_dual_add_f32 v57, v122, v57 :: v_dual_add_f32 v58, v59, v58
	v_add_f32_e32 v57, v57, v60
	s_delay_alu instid0(VALU_DEP_1) | instskip(NEXT) | instid1(VALU_DEP_1)
	v_add_f32_e32 v57, v58, v57
	v_add_f32_e32 v56, v57, v56
	global_store_b32 v[54:55], v56, off
.LBB94_51:
	s_or_b32 exec_lo, exec_lo, s3
	v_add_nc_u32_e32 v54, 24, v48
	s_delay_alu instid0(VALU_DEP_1) | instskip(SKIP_1) | instid1(VALU_DEP_2)
	v_cmp_gt_i32_e64 s3, s16, v54
	v_ashrrev_i32_e32 v55, 31, v54
	s_and_b32 s5, s3, s8
	s_delay_alu instid0(SALU_CYCLE_1)
	s_and_saveexec_b32 s4, s5
	s_cbranch_execz .LBB94_56
; %bb.52:
	v_cmp_ne_u32_e32 vcc_lo, 1, v100
	v_lshlrev_b64 v[56:57], 2, v[54:55]
	s_cbranch_vccnz .LBB94_54
; %bb.53:
	s_delay_alu instid0(VALU_DEP_1) | instskip(NEXT) | instid1(VALU_DEP_2)
	v_add_co_u32 v58, vcc_lo, v130, v56
	v_add_co_ci_u32_e32 v59, vcc_lo, v131, v57, vcc_lo
	flat_load_b32 v58, v[58:59]
	s_waitcnt vmcnt(0) lgkmcnt(0)
	v_mul_f32_e32 v58, s19, v58
	s_branch .LBB94_55
.LBB94_54:
	v_mov_b32_e32 v58, 0
.LBB94_55:
	v_dual_max_f32 v59, v45, v45 :: v_dual_max_f32 v122, v20, v20
	v_dual_max_f32 v60, v21, v21 :: v_dual_max_f32 v61, v44, v44
	;; [unrolled: 1-line block ×3, first 2 shown]
	v_add_co_u32 v56, vcc_lo, v128, v56
	s_delay_alu instid0(VALU_DEP_3) | instskip(NEXT) | instid1(VALU_DEP_4)
	v_dual_min_f32 v59, v60, v59 :: v_dual_max_f32 v60, v22, v22
	v_min_f32_e32 v61, v122, v61
	v_add_co_ci_u32_e32 v57, vcc_lo, v129, v57, vcc_lo
	s_delay_alu instid0(VALU_DEP_2) | instskip(NEXT) | instid1(VALU_DEP_1)
	v_dual_min_f32 v60, v60, v123 :: v_dual_add_f32 v61, v121, v61
	v_dual_max_f32 v125, v23, v23 :: v_dual_add_f32 v60, v61, v60
	s_delay_alu instid0(VALU_DEP_1) | instskip(NEXT) | instid1(VALU_DEP_1)
	v_dual_add_f32 v59, v120, v59 :: v_dual_min_f32 v120, v125, v124
	v_add_f32_e32 v59, v59, v120
	s_delay_alu instid0(VALU_DEP_1) | instskip(NEXT) | instid1(VALU_DEP_1)
	v_add_f32_e32 v59, v60, v59
	v_add_f32_e32 v58, v59, v58
	global_store_b32 v[56:57], v58, off
.LBB94_56:
	s_or_b32 exec_lo, exec_lo, s4
	v_add_nc_u32_e32 v56, 32, v48
	s_delay_alu instid0(VALU_DEP_1) | instskip(SKIP_1) | instid1(VALU_DEP_2)
	v_cmp_gt_i32_e64 s4, s16, v56
	v_ashrrev_i32_e32 v57, 31, v56
	s_and_b32 s6, s4, s8
	s_delay_alu instid0(SALU_CYCLE_1)
	s_and_saveexec_b32 s5, s6
	s_cbranch_execz .LBB94_61
; %bb.57:
	v_cmp_ne_u32_e32 vcc_lo, 1, v100
	v_lshlrev_b64 v[58:59], 2, v[56:57]
	s_cbranch_vccnz .LBB94_59
; %bb.58:
	s_delay_alu instid0(VALU_DEP_1) | instskip(NEXT) | instid1(VALU_DEP_2)
	v_add_co_u32 v60, vcc_lo, v130, v58
	v_add_co_ci_u32_e32 v61, vcc_lo, v131, v59, vcc_lo
	flat_load_b32 v60, v[60:61]
	s_waitcnt vmcnt(0) lgkmcnt(0)
	v_mul_f32_e32 v60, s19, v60
	s_branch .LBB94_60
.LBB94_59:
	v_mov_b32_e32 v60, 0
.LBB94_60:
	v_dual_max_f32 v61, v45, v45 :: v_dual_max_f32 v122, v16, v16
	v_dual_max_f32 v120, v17, v17 :: v_dual_max_f32 v121, v44, v44
	;; [unrolled: 1-line block ×3, first 2 shown]
	v_max_f32_e32 v125, v19, v19
	s_delay_alu instid0(VALU_DEP_3) | instskip(NEXT) | instid1(VALU_DEP_4)
	v_dual_min_f32 v61, v120, v61 :: v_dual_max_f32 v120, v18, v18
	v_min_f32_e32 v121, v122, v121
	v_add_co_u32 v58, vcc_lo, v128, v58
	s_delay_alu instid0(VALU_DEP_3) | instskip(NEXT) | instid1(VALU_DEP_3)
	v_dual_add_f32 v61, v118, v61 :: v_dual_min_f32 v118, v120, v123
	v_dual_min_f32 v120, v125, v124 :: v_dual_add_f32 v119, v119, v121
	v_add_co_ci_u32_e32 v59, vcc_lo, v129, v59, vcc_lo
	s_delay_alu instid0(VALU_DEP_2) | instskip(NEXT) | instid1(VALU_DEP_1)
	v_dual_add_f32 v61, v61, v120 :: v_dual_add_f32 v118, v119, v118
	v_add_f32_e32 v61, v118, v61
	s_delay_alu instid0(VALU_DEP_1)
	v_add_f32_e32 v60, v61, v60
	global_store_b32 v[58:59], v60, off
.LBB94_61:
	s_or_b32 exec_lo, exec_lo, s5
	v_add_nc_u32_e32 v58, 40, v48
	s_delay_alu instid0(VALU_DEP_1) | instskip(SKIP_1) | instid1(VALU_DEP_2)
	v_cmp_gt_i32_e64 s5, s16, v58
	v_ashrrev_i32_e32 v59, 31, v58
	s_and_b32 s7, s5, s8
	s_delay_alu instid0(SALU_CYCLE_1)
	s_and_saveexec_b32 s6, s7
	s_cbranch_execz .LBB94_66
; %bb.62:
	v_cmp_ne_u32_e32 vcc_lo, 1, v100
	v_lshlrev_b64 v[60:61], 2, v[58:59]
	s_cbranch_vccnz .LBB94_64
; %bb.63:
	s_delay_alu instid0(VALU_DEP_1) | instskip(NEXT) | instid1(VALU_DEP_2)
	v_add_co_u32 v118, vcc_lo, v130, v60
	v_add_co_ci_u32_e32 v119, vcc_lo, v131, v61, vcc_lo
	flat_load_b32 v118, v[118:119]
	s_waitcnt vmcnt(0) lgkmcnt(0)
	v_mul_f32_e32 v118, s19, v118
	s_branch .LBB94_65
.LBB94_64:
	v_mov_b32_e32 v118, 0
.LBB94_65:
	v_dual_max_f32 v119, v45, v45 :: v_dual_max_f32 v122, v12, v12
	v_dual_max_f32 v120, v13, v13 :: v_dual_max_f32 v121, v44, v44
	;; [unrolled: 1-line block ×3, first 2 shown]
	v_add_co_u32 v60, vcc_lo, v128, v60
	s_delay_alu instid0(VALU_DEP_3) | instskip(NEXT) | instid1(VALU_DEP_4)
	v_dual_min_f32 v119, v120, v119 :: v_dual_max_f32 v120, v14, v14
	v_min_f32_e32 v121, v122, v121
	v_max_f32_e32 v125, v15, v15
	v_add_co_ci_u32_e32 v61, vcc_lo, v129, v61, vcc_lo
	s_delay_alu instid0(VALU_DEP_4) | instskip(NEXT) | instid1(VALU_DEP_4)
	v_add_f32_e32 v63, v63, v119
	v_dual_min_f32 v119, v120, v123 :: v_dual_add_f32 v62, v62, v121
	s_delay_alu instid0(VALU_DEP_4) | instskip(NEXT) | instid1(VALU_DEP_1)
	v_min_f32_e32 v120, v125, v124
	v_dual_add_f32 v62, v62, v119 :: v_dual_add_f32 v63, v63, v120
	s_delay_alu instid0(VALU_DEP_1) | instskip(NEXT) | instid1(VALU_DEP_1)
	v_add_f32_e32 v62, v62, v63
	v_add_f32_e32 v62, v62, v118
	global_store_b32 v[60:61], v62, off
.LBB94_66:
	s_or_b32 exec_lo, exec_lo, s6
	v_add_nc_u32_e32 v60, 48, v48
	s_delay_alu instid0(VALU_DEP_1) | instskip(SKIP_1) | instid1(VALU_DEP_2)
	v_cmp_gt_i32_e64 s6, s16, v60
	v_ashrrev_i32_e32 v61, 31, v60
	s_and_b32 s15, s6, s8
	s_delay_alu instid0(SALU_CYCLE_1)
	s_and_saveexec_b32 s7, s15
	s_cbranch_execz .LBB94_71
; %bb.67:
	v_cmp_ne_u32_e32 vcc_lo, 1, v100
	v_lshlrev_b64 v[62:63], 2, v[60:61]
	s_cbranch_vccnz .LBB94_69
; %bb.68:
	s_delay_alu instid0(VALU_DEP_1) | instskip(NEXT) | instid1(VALU_DEP_2)
	v_add_co_u32 v118, vcc_lo, v130, v62
	v_add_co_ci_u32_e32 v119, vcc_lo, v131, v63, vcc_lo
	flat_load_b32 v118, v[118:119]
	s_waitcnt vmcnt(0) lgkmcnt(0)
	v_mul_f32_e32 v118, s19, v118
	s_branch .LBB94_70
.LBB94_69:
	v_mov_b32_e32 v118, 0
.LBB94_70:
	v_dual_max_f32 v119, v45, v45 :: v_dual_max_f32 v122, v8, v8
	v_dual_max_f32 v120, v9, v9 :: v_dual_max_f32 v121, v44, v44
	;; [unrolled: 1-line block ×3, first 2 shown]
	v_add_co_u32 v62, vcc_lo, v128, v62
	s_delay_alu instid0(VALU_DEP_3) | instskip(NEXT) | instid1(VALU_DEP_4)
	v_dual_min_f32 v119, v120, v119 :: v_dual_max_f32 v120, v10, v10
	v_min_f32_e32 v121, v122, v121
	v_add_co_ci_u32_e32 v63, vcc_lo, v129, v63, vcc_lo
	s_delay_alu instid0(VALU_DEP_3) | instskip(SKIP_3) | instid1(VALU_DEP_3)
	v_add_f32_e32 v64, v64, v119
	v_max_f32_e32 v125, v11, v11
	v_min_f32_e32 v119, v120, v123
	v_add_f32_e32 v65, v65, v121
	v_min_f32_e32 v120, v125, v124
	s_delay_alu instid0(VALU_DEP_1) | instskip(NEXT) | instid1(VALU_DEP_1)
	v_dual_add_f32 v65, v65, v119 :: v_dual_add_f32 v64, v64, v120
	v_add_f32_e32 v64, v65, v64
	s_delay_alu instid0(VALU_DEP_1)
	v_add_f32_e32 v64, v64, v118
	global_store_b32 v[62:63], v64, off
.LBB94_71:
	s_or_b32 exec_lo, exec_lo, s7
	v_add_nc_u32_e32 v62, 56, v48
	s_delay_alu instid0(VALU_DEP_1) | instskip(SKIP_1) | instid1(VALU_DEP_2)
	v_cmp_gt_i32_e64 s7, s16, v62
	v_ashrrev_i32_e32 v63, 31, v62
	s_and_b32 s15, s7, s8
	s_delay_alu instid0(SALU_CYCLE_1)
	s_and_saveexec_b32 s8, s15
	s_cbranch_execz .LBB94_76
; %bb.72:
	v_cmp_ne_u32_e32 vcc_lo, 1, v100
	v_lshlrev_b64 v[64:65], 2, v[62:63]
	s_cbranch_vccnz .LBB94_74
; %bb.73:
	s_delay_alu instid0(VALU_DEP_1) | instskip(NEXT) | instid1(VALU_DEP_2)
	v_add_co_u32 v118, vcc_lo, v130, v64
	v_add_co_ci_u32_e32 v119, vcc_lo, v131, v65, vcc_lo
	flat_load_b32 v118, v[118:119]
	s_waitcnt vmcnt(0) lgkmcnt(0)
	v_mul_f32_e32 v118, s19, v118
	s_branch .LBB94_75
.LBB94_74:
	v_mov_b32_e32 v118, 0
.LBB94_75:
	v_dual_max_f32 v45, v45, v45 :: v_dual_max_f32 v44, v44, v44
	v_dual_max_f32 v119, v1, v1 :: v_dual_max_f32 v120, v0, v0
	s_delay_alu instid0(VALU_DEP_1) | instskip(NEXT) | instid1(VALU_DEP_2)
	v_dual_max_f32 v46, v46, v46 :: v_dual_min_f32 v45, v119, v45
	v_dual_max_f32 v119, v2, v2 :: v_dual_min_f32 v44, v120, v44
	v_max_f32_e32 v47, v47, v47
	s_delay_alu instid0(VALU_DEP_2) | instskip(NEXT) | instid1(VALU_DEP_3)
	v_dual_add_f32 v45, v115, v45 :: v_dual_add_f32 v44, v116, v44
	v_min_f32_e32 v46, v119, v46
	s_delay_alu instid0(VALU_DEP_1) | instskip(NEXT) | instid1(VALU_DEP_1)
	v_dual_max_f32 v121, v3, v3 :: v_dual_add_f32 v44, v44, v46
	v_min_f32_e32 v47, v121, v47
	s_delay_alu instid0(VALU_DEP_1) | instskip(NEXT) | instid1(VALU_DEP_1)
	v_add_f32_e32 v45, v45, v47
	v_add_f32_e32 v44, v44, v45
	s_delay_alu instid0(VALU_DEP_1)
	v_add_f32_e32 v46, v44, v118
	v_add_co_u32 v44, vcc_lo, v128, v64
	v_add_co_ci_u32_e32 v45, vcc_lo, v129, v65, vcc_lo
	global_store_b32 v[44:45], v46, off
.LBB94_76:
	s_or_b32 exec_lo, exec_lo, s8
	v_add_nc_u32_e32 v64, 32, v117
	s_delay_alu instid0(VALU_DEP_1) | instskip(SKIP_2) | instid1(VALU_DEP_3)
	v_mad_i64_i32 v[44:45], null, v64, s12, 0
	v_mad_i64_i32 v[46:47], null, v64, s9, 0
	v_cmp_gt_i32_e64 s8, s17, v64
	v_lshlrev_b64 v[44:45], 2, v[44:45]
	s_delay_alu instid0(VALU_DEP_2) | instskip(NEXT) | instid1(VALU_DEP_3)
	s_and_b32 s16, s0, s8
	v_lshlrev_b64 v[46:47], 2, v[46:47]
	s_delay_alu instid0(VALU_DEP_2) | instskip(NEXT) | instid1(VALU_DEP_3)
	v_add_co_u32 v64, vcc_lo, s10, v44
	v_add_co_ci_u32_e32 v65, vcc_lo, s11, v45, vcc_lo
	s_delay_alu instid0(VALU_DEP_3) | instskip(NEXT) | instid1(VALU_DEP_4)
	v_add_co_u32 v46, vcc_lo, s13, v46
	v_add_co_ci_u32_e32 v47, vcc_lo, s14, v47, vcc_lo
	s_and_saveexec_b32 s15, s16
	s_cbranch_execnz .LBB94_84
; %bb.77:
	s_or_b32 exec_lo, exec_lo, s15
	s_and_b32 s16, s1, s8
	s_delay_alu instid0(SALU_CYCLE_1)
	s_and_saveexec_b32 s15, s16
	s_cbranch_execnz .LBB94_88
.LBB94_78:
	s_or_b32 exec_lo, exec_lo, s15
	s_and_b32 s16, s2, s8
	s_delay_alu instid0(SALU_CYCLE_1)
	s_and_saveexec_b32 s15, s16
	s_cbranch_execnz .LBB94_92
.LBB94_79:
	s_or_b32 exec_lo, exec_lo, s15
	s_and_b32 s16, s3, s8
	s_delay_alu instid0(SALU_CYCLE_1)
	s_and_saveexec_b32 s15, s16
	s_cbranch_execnz .LBB94_96
.LBB94_80:
	s_or_b32 exec_lo, exec_lo, s15
	s_and_b32 s16, s4, s8
	s_delay_alu instid0(SALU_CYCLE_1)
	s_and_saveexec_b32 s15, s16
	s_cbranch_execnz .LBB94_100
.LBB94_81:
	s_or_b32 exec_lo, exec_lo, s15
	s_and_b32 s16, s5, s8
	s_delay_alu instid0(SALU_CYCLE_1)
	s_and_saveexec_b32 s15, s16
	s_cbranch_execnz .LBB94_104
.LBB94_82:
	s_or_b32 exec_lo, exec_lo, s15
	s_and_b32 s16, s6, s8
	s_delay_alu instid0(SALU_CYCLE_1)
	s_and_saveexec_b32 s15, s16
	s_cbranch_execnz .LBB94_108
.LBB94_83:
	s_or_b32 exec_lo, exec_lo, s15
	s_and_b32 s15, s7, s8
	s_delay_alu instid0(SALU_CYCLE_1)
	s_and_saveexec_b32 s8, s15
	s_cbranch_execnz .LBB94_112
	s_branch .LBB94_116
.LBB94_84:
	v_cmp_ne_u32_e32 vcc_lo, 1, v100
	v_lshlrev_b64 v[44:45], 2, v[48:49]
	s_cbranch_vccnz .LBB94_86
; %bb.85:
	s_delay_alu instid0(VALU_DEP_1) | instskip(NEXT) | instid1(VALU_DEP_2)
	v_add_co_u32 v115, vcc_lo, v64, v44
	v_add_co_ci_u32_e32 v116, vcc_lo, v65, v45, vcc_lo
	flat_load_b32 v115, v[115:116]
	s_waitcnt vmcnt(0) lgkmcnt(0)
	v_mul_f32_e32 v115, s19, v115
	s_branch .LBB94_87
.LBB94_86:
	v_mov_b32_e32 v115, 0
.LBB94_87:
	v_dual_max_f32 v116, v41, v41 :: v_dual_max_f32 v119, v40, v40
	v_dual_max_f32 v118, v33, v33 :: v_dual_max_f32 v121, v42, v42
	;; [unrolled: 1-line block ×3, first 2 shown]
	v_add_co_u32 v44, vcc_lo, v46, v44
	s_delay_alu instid0(VALU_DEP_2) | instskip(SKIP_2) | instid1(VALU_DEP_3)
	v_dual_min_f32 v116, v118, v116 :: v_dual_min_f32 v119, v120, v119
	v_max_f32_e32 v118, v34, v34
	v_add_co_ci_u32_e32 v45, vcc_lo, v47, v45, vcc_lo
	v_dual_add_f32 v113, v113, v116 :: v_dual_max_f32 v122, v43, v43
	s_delay_alu instid0(VALU_DEP_3) | instskip(SKIP_1) | instid1(VALU_DEP_1)
	v_min_f32_e32 v116, v118, v121
	v_add_f32_e32 v114, v114, v119
	v_add_f32_e32 v114, v114, v116
	s_delay_alu instid0(VALU_DEP_4) | instskip(NEXT) | instid1(VALU_DEP_1)
	v_min_f32_e32 v118, v123, v122
	v_add_f32_e32 v113, v113, v118
	s_delay_alu instid0(VALU_DEP_1) | instskip(NEXT) | instid1(VALU_DEP_1)
	v_add_f32_e32 v113, v114, v113
	v_add_f32_e32 v113, v113, v115
	global_store_b32 v[44:45], v113, off
	s_or_b32 exec_lo, exec_lo, s15
	s_and_b32 s16, s1, s8
	s_delay_alu instid0(SALU_CYCLE_1)
	s_and_saveexec_b32 s15, s16
	s_cbranch_execz .LBB94_78
.LBB94_88:
	v_cmp_ne_u32_e32 vcc_lo, 1, v100
	v_lshlrev_b64 v[44:45], 2, v[50:51]
	s_cbranch_vccnz .LBB94_90
; %bb.89:
	s_delay_alu instid0(VALU_DEP_1) | instskip(NEXT) | instid1(VALU_DEP_2)
	v_add_co_u32 v113, vcc_lo, v64, v44
	v_add_co_ci_u32_e32 v114, vcc_lo, v65, v45, vcc_lo
	flat_load_b32 v113, v[113:114]
	s_waitcnt vmcnt(0) lgkmcnt(0)
	v_mul_f32_e32 v113, s19, v113
	s_branch .LBB94_91
.LBB94_90:
	v_mov_b32_e32 v113, 0
.LBB94_91:
	v_dual_max_f32 v114, v41, v41 :: v_dual_max_f32 v119, v42, v42
	v_dual_max_f32 v115, v29, v29 :: v_dual_max_f32 v116, v40, v40
	v_max_f32_e32 v118, v28, v28
	v_max_f32_e32 v120, v43, v43
	;; [unrolled: 1-line block ×3, first 2 shown]
	s_delay_alu instid0(VALU_DEP_4) | instskip(SKIP_3) | instid1(VALU_DEP_4)
	v_min_f32_e32 v114, v115, v114
	v_max_f32_e32 v115, v30, v30
	v_min_f32_e32 v116, v118, v116
	v_add_co_u32 v44, vcc_lo, v46, v44
	v_add_f32_e32 v111, v111, v114
	s_delay_alu instid0(VALU_DEP_4) | instskip(NEXT) | instid1(VALU_DEP_4)
	v_min_f32_e32 v114, v115, v119
	v_add_f32_e32 v112, v112, v116
	v_min_f32_e32 v115, v121, v120
	v_add_co_ci_u32_e32 v45, vcc_lo, v47, v45, vcc_lo
	s_delay_alu instid0(VALU_DEP_2) | instskip(NEXT) | instid1(VALU_DEP_1)
	v_dual_add_f32 v112, v112, v114 :: v_dual_add_f32 v111, v111, v115
	v_add_f32_e32 v111, v112, v111
	s_delay_alu instid0(VALU_DEP_1) | instskip(SKIP_3) | instid1(SALU_CYCLE_1)
	v_add_f32_e32 v111, v111, v113
	global_store_b32 v[44:45], v111, off
	s_or_b32 exec_lo, exec_lo, s15
	s_and_b32 s16, s2, s8
	s_and_saveexec_b32 s15, s16
	s_cbranch_execz .LBB94_79
.LBB94_92:
	v_cmp_ne_u32_e32 vcc_lo, 1, v100
	v_lshlrev_b64 v[44:45], 2, v[52:53]
	s_cbranch_vccnz .LBB94_94
; %bb.93:
	s_delay_alu instid0(VALU_DEP_1) | instskip(NEXT) | instid1(VALU_DEP_2)
	v_add_co_u32 v111, vcc_lo, v64, v44
	v_add_co_ci_u32_e32 v112, vcc_lo, v65, v45, vcc_lo
	flat_load_b32 v111, v[111:112]
	s_waitcnt vmcnt(0) lgkmcnt(0)
	v_mul_f32_e32 v111, s19, v111
	s_branch .LBB94_95
.LBB94_94:
	v_mov_b32_e32 v111, 0
.LBB94_95:
	v_dual_max_f32 v112, v41, v41 :: v_dual_max_f32 v115, v24, v24
	v_dual_max_f32 v113, v25, v25 :: v_dual_max_f32 v114, v40, v40
	;; [unrolled: 1-line block ×3, first 2 shown]
	v_add_co_u32 v44, vcc_lo, v46, v44
	s_delay_alu instid0(VALU_DEP_3) | instskip(SKIP_1) | instid1(VALU_DEP_2)
	v_dual_min_f32 v112, v113, v112 :: v_dual_max_f32 v113, v26, v26
	v_add_co_ci_u32_e32 v45, vcc_lo, v47, v45, vcc_lo
	v_add_f32_e32 v110, v110, v112
	s_delay_alu instid0(VALU_DEP_3) | instskip(SKIP_1) | instid1(VALU_DEP_1)
	v_min_f32_e32 v112, v113, v116
	v_min_f32_e32 v114, v115, v114
	v_dual_max_f32 v118, v43, v43 :: v_dual_add_f32 v109, v109, v114
	s_delay_alu instid0(VALU_DEP_1) | instskip(NEXT) | instid1(VALU_DEP_1)
	v_min_f32_e32 v113, v119, v118
	v_dual_add_f32 v109, v109, v112 :: v_dual_add_f32 v110, v110, v113
	s_delay_alu instid0(VALU_DEP_1) | instskip(NEXT) | instid1(VALU_DEP_1)
	v_add_f32_e32 v109, v109, v110
	v_add_f32_e32 v109, v109, v111
	global_store_b32 v[44:45], v109, off
	s_or_b32 exec_lo, exec_lo, s15
	s_and_b32 s16, s3, s8
	s_delay_alu instid0(SALU_CYCLE_1)
	s_and_saveexec_b32 s15, s16
	s_cbranch_execz .LBB94_80
.LBB94_96:
	v_cmp_ne_u32_e32 vcc_lo, 1, v100
	v_lshlrev_b64 v[44:45], 2, v[54:55]
	s_cbranch_vccnz .LBB94_98
; %bb.97:
	s_delay_alu instid0(VALU_DEP_1) | instskip(NEXT) | instid1(VALU_DEP_2)
	v_add_co_u32 v109, vcc_lo, v64, v44
	v_add_co_ci_u32_e32 v110, vcc_lo, v65, v45, vcc_lo
	flat_load_b32 v109, v[109:110]
	s_waitcnt vmcnt(0) lgkmcnt(0)
	v_mul_f32_e32 v109, s19, v109
	s_branch .LBB94_99
.LBB94_98:
	v_mov_b32_e32 v109, 0
.LBB94_99:
	v_dual_max_f32 v110, v41, v41 :: v_dual_max_f32 v113, v20, v20
	v_dual_max_f32 v111, v21, v21 :: v_dual_max_f32 v112, v40, v40
	;; [unrolled: 1-line block ×3, first 2 shown]
	v_max_f32_e32 v116, v23, v23
	s_delay_alu instid0(VALU_DEP_3) | instskip(NEXT) | instid1(VALU_DEP_4)
	v_min_f32_e32 v110, v111, v110
	v_dual_max_f32 v111, v22, v22 :: v_dual_min_f32 v112, v113, v112
	v_add_co_u32 v44, vcc_lo, v46, v44
	s_delay_alu instid0(VALU_DEP_3) | instskip(NEXT) | instid1(VALU_DEP_3)
	v_add_f32_e32 v107, v107, v110
	v_dual_min_f32 v110, v111, v114 :: v_dual_min_f32 v111, v116, v115
	s_delay_alu instid0(VALU_DEP_4) | instskip(SKIP_1) | instid1(VALU_DEP_2)
	v_add_f32_e32 v108, v108, v112
	v_add_co_ci_u32_e32 v45, vcc_lo, v47, v45, vcc_lo
	v_dual_add_f32 v107, v107, v111 :: v_dual_add_f32 v108, v108, v110
	s_delay_alu instid0(VALU_DEP_1) | instskip(NEXT) | instid1(VALU_DEP_1)
	v_add_f32_e32 v107, v108, v107
	v_add_f32_e32 v107, v107, v109
	global_store_b32 v[44:45], v107, off
	s_or_b32 exec_lo, exec_lo, s15
	s_and_b32 s16, s4, s8
	s_delay_alu instid0(SALU_CYCLE_1)
	s_and_saveexec_b32 s15, s16
	s_cbranch_execz .LBB94_81
.LBB94_100:
	v_cmp_ne_u32_e32 vcc_lo, 1, v100
	v_lshlrev_b64 v[44:45], 2, v[56:57]
	s_cbranch_vccnz .LBB94_102
; %bb.101:
	s_delay_alu instid0(VALU_DEP_1) | instskip(NEXT) | instid1(VALU_DEP_2)
	v_add_co_u32 v107, vcc_lo, v64, v44
	v_add_co_ci_u32_e32 v108, vcc_lo, v65, v45, vcc_lo
	flat_load_b32 v107, v[107:108]
	s_waitcnt vmcnt(0) lgkmcnt(0)
	v_mul_f32_e32 v107, s19, v107
	s_branch .LBB94_103
.LBB94_102:
	v_mov_b32_e32 v107, 0
.LBB94_103:
	v_dual_max_f32 v108, v41, v41 :: v_dual_max_f32 v111, v16, v16
	v_dual_max_f32 v109, v17, v17 :: v_dual_max_f32 v110, v40, v40
	;; [unrolled: 1-line block ×3, first 2 shown]
	v_add_co_u32 v44, vcc_lo, v46, v44
	s_delay_alu instid0(VALU_DEP_3) | instskip(SKIP_2) | instid1(VALU_DEP_3)
	v_dual_min_f32 v108, v109, v108 :: v_dual_max_f32 v109, v18, v18
	v_max_f32_e32 v114, v19, v19
	v_add_co_ci_u32_e32 v45, vcc_lo, v47, v45, vcc_lo
	v_dual_add_f32 v105, v105, v108 :: v_dual_min_f32 v110, v111, v110
	s_delay_alu instid0(VALU_DEP_3) | instskip(NEXT) | instid1(VALU_DEP_1)
	v_dual_min_f32 v108, v109, v112 :: v_dual_min_f32 v109, v114, v113
	v_dual_add_f32 v106, v106, v110 :: v_dual_add_f32 v105, v105, v109
	s_delay_alu instid0(VALU_DEP_1) | instskip(NEXT) | instid1(VALU_DEP_1)
	v_add_f32_e32 v106, v106, v108
	v_add_f32_e32 v105, v106, v105
	s_delay_alu instid0(VALU_DEP_1) | instskip(SKIP_3) | instid1(SALU_CYCLE_1)
	v_add_f32_e32 v105, v105, v107
	global_store_b32 v[44:45], v105, off
	s_or_b32 exec_lo, exec_lo, s15
	s_and_b32 s16, s5, s8
	s_and_saveexec_b32 s15, s16
	s_cbranch_execz .LBB94_82
.LBB94_104:
	v_cmp_ne_u32_e32 vcc_lo, 1, v100
	v_lshlrev_b64 v[44:45], 2, v[58:59]
	s_cbranch_vccnz .LBB94_106
; %bb.105:
	s_delay_alu instid0(VALU_DEP_1) | instskip(NEXT) | instid1(VALU_DEP_2)
	v_add_co_u32 v105, vcc_lo, v64, v44
	v_add_co_ci_u32_e32 v106, vcc_lo, v65, v45, vcc_lo
	flat_load_b32 v105, v[105:106]
	s_waitcnt vmcnt(0) lgkmcnt(0)
	v_mul_f32_e32 v105, s19, v105
	s_branch .LBB94_107
.LBB94_106:
	v_mov_b32_e32 v105, 0
.LBB94_107:
	v_dual_max_f32 v106, v41, v41 :: v_dual_max_f32 v109, v12, v12
	v_dual_max_f32 v107, v13, v13 :: v_dual_max_f32 v108, v40, v40
	;; [unrolled: 1-line block ×3, first 2 shown]
	v_max_f32_e32 v112, v15, v15
	s_delay_alu instid0(VALU_DEP_3) | instskip(NEXT) | instid1(VALU_DEP_4)
	v_min_f32_e32 v106, v107, v106
	v_dual_max_f32 v107, v14, v14 :: v_dual_min_f32 v108, v109, v108
	v_add_co_u32 v44, vcc_lo, v46, v44
	s_delay_alu instid0(VALU_DEP_3) | instskip(NEXT) | instid1(VALU_DEP_3)
	v_add_f32_e32 v103, v103, v106
	v_dual_min_f32 v106, v107, v110 :: v_dual_min_f32 v107, v112, v111
	s_delay_alu instid0(VALU_DEP_4) | instskip(SKIP_1) | instid1(VALU_DEP_2)
	v_add_f32_e32 v104, v104, v108
	v_add_co_ci_u32_e32 v45, vcc_lo, v47, v45, vcc_lo
	v_dual_add_f32 v103, v103, v107 :: v_dual_add_f32 v104, v104, v106
	s_delay_alu instid0(VALU_DEP_1) | instskip(NEXT) | instid1(VALU_DEP_1)
	v_add_f32_e32 v103, v104, v103
	v_add_f32_e32 v103, v103, v105
	global_store_b32 v[44:45], v103, off
	s_or_b32 exec_lo, exec_lo, s15
	s_and_b32 s16, s6, s8
	s_delay_alu instid0(SALU_CYCLE_1)
	s_and_saveexec_b32 s15, s16
	s_cbranch_execz .LBB94_83
.LBB94_108:
	v_cmp_ne_u32_e32 vcc_lo, 1, v100
	v_lshlrev_b64 v[44:45], 2, v[60:61]
	s_cbranch_vccnz .LBB94_110
; %bb.109:
	s_delay_alu instid0(VALU_DEP_1) | instskip(NEXT) | instid1(VALU_DEP_2)
	v_add_co_u32 v103, vcc_lo, v64, v44
	v_add_co_ci_u32_e32 v104, vcc_lo, v65, v45, vcc_lo
	flat_load_b32 v103, v[103:104]
	s_waitcnt vmcnt(0) lgkmcnt(0)
	v_mul_f32_e32 v103, s19, v103
	s_branch .LBB94_111
.LBB94_110:
	v_mov_b32_e32 v103, 0
.LBB94_111:
	v_dual_max_f32 v104, v41, v41 :: v_dual_max_f32 v107, v8, v8
	v_dual_max_f32 v105, v9, v9 :: v_dual_max_f32 v106, v40, v40
	;; [unrolled: 1-line block ×3, first 2 shown]
	v_add_co_u32 v44, vcc_lo, v46, v44
	s_delay_alu instid0(VALU_DEP_3) | instskip(SKIP_2) | instid1(VALU_DEP_3)
	v_dual_min_f32 v104, v105, v104 :: v_dual_max_f32 v105, v10, v10
	v_max_f32_e32 v110, v11, v11
	v_add_co_ci_u32_e32 v45, vcc_lo, v47, v45, vcc_lo
	v_dual_add_f32 v101, v101, v104 :: v_dual_min_f32 v106, v107, v106
	s_delay_alu instid0(VALU_DEP_3) | instskip(NEXT) | instid1(VALU_DEP_1)
	v_dual_min_f32 v104, v105, v108 :: v_dual_min_f32 v105, v110, v109
	v_dual_add_f32 v102, v102, v106 :: v_dual_add_f32 v101, v101, v105
	s_delay_alu instid0(VALU_DEP_1) | instskip(NEXT) | instid1(VALU_DEP_1)
	v_add_f32_e32 v102, v102, v104
	v_add_f32_e32 v101, v102, v101
	s_delay_alu instid0(VALU_DEP_1) | instskip(SKIP_3) | instid1(SALU_CYCLE_1)
	v_add_f32_e32 v101, v101, v103
	global_store_b32 v[44:45], v101, off
	s_or_b32 exec_lo, exec_lo, s15
	s_and_b32 s15, s7, s8
	s_and_saveexec_b32 s8, s15
	s_cbranch_execz .LBB94_116
.LBB94_112:
	v_cmp_ne_u32_e32 vcc_lo, 1, v100
	v_lshlrev_b64 v[44:45], 2, v[62:63]
	s_cbranch_vccnz .LBB94_114
; %bb.113:
	s_delay_alu instid0(VALU_DEP_1) | instskip(NEXT) | instid1(VALU_DEP_2)
	v_add_co_u32 v64, vcc_lo, v64, v44
	v_add_co_ci_u32_e32 v65, vcc_lo, v65, v45, vcc_lo
	flat_load_b32 v64, v[64:65]
	s_waitcnt vmcnt(0) lgkmcnt(0)
	v_mul_f32_e32 v64, s19, v64
	s_branch .LBB94_115
.LBB94_114:
	v_mov_b32_e32 v64, 0
.LBB94_115:
	v_dual_max_f32 v41, v41, v41 :: v_dual_max_f32 v40, v40, v40
	v_dual_max_f32 v65, v1, v1 :: v_dual_max_f32 v42, v42, v42
	;; [unrolled: 1-line block ×3, first 2 shown]
	s_delay_alu instid0(VALU_DEP_1) | instskip(NEXT) | instid1(VALU_DEP_1)
	v_dual_max_f32 v43, v43, v43 :: v_dual_min_f32 v40, v101, v40
	v_dual_min_f32 v41, v65, v41 :: v_dual_add_f32 v40, v98, v40
	s_delay_alu instid0(VALU_DEP_1) | instskip(NEXT) | instid1(VALU_DEP_3)
	v_add_f32_e32 v41, v99, v41
	v_min_f32_e32 v43, v102, v43
	s_delay_alu instid0(VALU_DEP_1) | instskip(SKIP_1) | instid1(VALU_DEP_1)
	v_add_f32_e32 v41, v41, v43
	v_max_f32_e32 v65, v2, v2
	v_min_f32_e32 v42, v65, v42
	s_delay_alu instid0(VALU_DEP_1) | instskip(NEXT) | instid1(VALU_DEP_1)
	v_add_f32_e32 v40, v40, v42
	v_add_f32_e32 v40, v40, v41
	s_delay_alu instid0(VALU_DEP_1)
	v_add_f32_e32 v42, v40, v64
	v_add_co_u32 v40, vcc_lo, v46, v44
	v_add_co_ci_u32_e32 v41, vcc_lo, v47, v45, vcc_lo
	global_store_b32 v[40:41], v42, off
.LBB94_116:
	s_or_b32 exec_lo, exec_lo, s8
	v_add_nc_u32_e32 v44, 64, v117
	s_delay_alu instid0(VALU_DEP_1) | instskip(SKIP_2) | instid1(VALU_DEP_3)
	v_mad_i64_i32 v[40:41], null, v44, s12, 0
	v_mad_i64_i32 v[42:43], null, v44, s9, 0
	v_cmp_gt_i32_e64 s8, s17, v44
	v_lshlrev_b64 v[40:41], 2, v[40:41]
	s_delay_alu instid0(VALU_DEP_2) | instskip(NEXT) | instid1(VALU_DEP_3)
	s_and_b32 s16, s0, s8
	v_lshlrev_b64 v[42:43], 2, v[42:43]
	s_delay_alu instid0(VALU_DEP_2) | instskip(NEXT) | instid1(VALU_DEP_3)
	v_add_co_u32 v44, vcc_lo, s10, v40
	v_add_co_ci_u32_e32 v45, vcc_lo, s11, v41, vcc_lo
	s_delay_alu instid0(VALU_DEP_3) | instskip(NEXT) | instid1(VALU_DEP_4)
	v_add_co_u32 v42, vcc_lo, s13, v42
	v_add_co_ci_u32_e32 v43, vcc_lo, s14, v43, vcc_lo
	s_and_saveexec_b32 s15, s16
	s_cbranch_execnz .LBB94_124
; %bb.117:
	s_or_b32 exec_lo, exec_lo, s15
	s_and_b32 s16, s1, s8
	s_delay_alu instid0(SALU_CYCLE_1)
	s_and_saveexec_b32 s15, s16
	s_cbranch_execnz .LBB94_128
.LBB94_118:
	s_or_b32 exec_lo, exec_lo, s15
	s_and_b32 s16, s2, s8
	s_delay_alu instid0(SALU_CYCLE_1)
	s_and_saveexec_b32 s15, s16
	s_cbranch_execnz .LBB94_132
.LBB94_119:
	s_or_b32 exec_lo, exec_lo, s15
	s_and_b32 s16, s3, s8
	s_delay_alu instid0(SALU_CYCLE_1)
	s_and_saveexec_b32 s15, s16
	s_cbranch_execnz .LBB94_136
.LBB94_120:
	s_or_b32 exec_lo, exec_lo, s15
	s_and_b32 s16, s4, s8
	s_delay_alu instid0(SALU_CYCLE_1)
	s_and_saveexec_b32 s15, s16
	s_cbranch_execnz .LBB94_140
.LBB94_121:
	s_or_b32 exec_lo, exec_lo, s15
	s_and_b32 s16, s5, s8
	s_delay_alu instid0(SALU_CYCLE_1)
	s_and_saveexec_b32 s15, s16
	s_cbranch_execnz .LBB94_144
.LBB94_122:
	s_or_b32 exec_lo, exec_lo, s15
	s_and_b32 s16, s6, s8
	s_delay_alu instid0(SALU_CYCLE_1)
	s_and_saveexec_b32 s15, s16
	s_cbranch_execnz .LBB94_148
.LBB94_123:
	s_or_b32 exec_lo, exec_lo, s15
	s_and_b32 s15, s7, s8
	s_delay_alu instid0(SALU_CYCLE_1)
	s_and_saveexec_b32 s8, s15
	s_cbranch_execnz .LBB94_152
	s_branch .LBB94_156
.LBB94_124:
	v_cmp_ne_u32_e32 vcc_lo, 1, v100
	v_lshlrev_b64 v[40:41], 2, v[48:49]
	s_cbranch_vccnz .LBB94_126
; %bb.125:
	s_delay_alu instid0(VALU_DEP_1) | instskip(NEXT) | instid1(VALU_DEP_2)
	v_add_co_u32 v46, vcc_lo, v44, v40
	v_add_co_ci_u32_e32 v47, vcc_lo, v45, v41, vcc_lo
	flat_load_b32 v46, v[46:47]
	s_waitcnt vmcnt(0) lgkmcnt(0)
	v_mul_f32_e32 v46, s19, v46
	s_branch .LBB94_127
.LBB94_126:
	v_mov_b32_e32 v46, 0
.LBB94_127:
	v_dual_max_f32 v47, v37, v37 :: v_dual_max_f32 v98, v32, v32
	v_dual_max_f32 v64, v33, v33 :: v_dual_max_f32 v65, v36, v36
	;; [unrolled: 1-line block ×3, first 2 shown]
	v_add_co_u32 v40, vcc_lo, v42, v40
	s_delay_alu instid0(VALU_DEP_3) | instskip(NEXT) | instid1(VALU_DEP_4)
	v_dual_min_f32 v47, v64, v47 :: v_dual_max_f32 v64, v34, v34
	v_min_f32_e32 v65, v98, v65
	v_add_co_ci_u32_e32 v41, vcc_lo, v43, v41, vcc_lo
	s_delay_alu instid0(VALU_DEP_3) | instskip(NEXT) | instid1(VALU_DEP_4)
	v_add_f32_e32 v47, v97, v47
	v_min_f32_e32 v64, v64, v99
	s_delay_alu instid0(VALU_DEP_4) | instskip(NEXT) | instid1(VALU_DEP_1)
	v_add_f32_e32 v65, v96, v65
	v_dual_max_f32 v101, v39, v39 :: v_dual_add_f32 v64, v65, v64
	s_delay_alu instid0(VALU_DEP_1) | instskip(NEXT) | instid1(VALU_DEP_1)
	v_min_f32_e32 v97, v102, v101
	v_add_f32_e32 v47, v47, v97
	s_delay_alu instid0(VALU_DEP_1) | instskip(NEXT) | instid1(VALU_DEP_1)
	v_add_f32_e32 v47, v64, v47
	v_add_f32_e32 v46, v47, v46
	global_store_b32 v[40:41], v46, off
	s_or_b32 exec_lo, exec_lo, s15
	s_and_b32 s16, s1, s8
	s_delay_alu instid0(SALU_CYCLE_1)
	s_and_saveexec_b32 s15, s16
	s_cbranch_execz .LBB94_118
.LBB94_128:
	v_cmp_ne_u32_e32 vcc_lo, 1, v100
	v_lshlrev_b64 v[40:41], 2, v[50:51]
	s_cbranch_vccnz .LBB94_130
; %bb.129:
	s_delay_alu instid0(VALU_DEP_1) | instskip(NEXT) | instid1(VALU_DEP_2)
	v_add_co_u32 v46, vcc_lo, v44, v40
	v_add_co_ci_u32_e32 v47, vcc_lo, v45, v41, vcc_lo
	flat_load_b32 v46, v[46:47]
	s_waitcnt vmcnt(0) lgkmcnt(0)
	v_mul_f32_e32 v46, s19, v46
	s_branch .LBB94_131
.LBB94_130:
	v_mov_b32_e32 v46, 0
.LBB94_131:
	v_dual_max_f32 v47, v37, v37 :: v_dual_max_f32 v96, v28, v28
	v_dual_max_f32 v64, v29, v29 :: v_dual_max_f32 v65, v36, v36
	;; [unrolled: 1-line block ×3, first 2 shown]
	v_add_co_u32 v40, vcc_lo, v42, v40
	s_delay_alu instid0(VALU_DEP_3) | instskip(SKIP_2) | instid1(VALU_DEP_3)
	v_dual_min_f32 v47, v64, v47 :: v_dual_max_f32 v64, v30, v30
	v_max_f32_e32 v99, v31, v31
	v_add_co_ci_u32_e32 v41, vcc_lo, v43, v41, vcc_lo
	v_min_f32_e32 v64, v64, v97
	v_min_f32_e32 v65, v96, v65
	s_delay_alu instid0(VALU_DEP_4) | instskip(NEXT) | instid1(VALU_DEP_2)
	v_dual_add_f32 v47, v94, v47 :: v_dual_min_f32 v94, v99, v98
	v_add_f32_e32 v65, v95, v65
	s_delay_alu instid0(VALU_DEP_1) | instskip(NEXT) | instid1(VALU_DEP_1)
	v_dual_add_f32 v64, v65, v64 :: v_dual_add_f32 v47, v47, v94
	v_add_f32_e32 v47, v64, v47
	s_delay_alu instid0(VALU_DEP_1) | instskip(SKIP_3) | instid1(SALU_CYCLE_1)
	v_add_f32_e32 v46, v47, v46
	global_store_b32 v[40:41], v46, off
	s_or_b32 exec_lo, exec_lo, s15
	s_and_b32 s16, s2, s8
	s_and_saveexec_b32 s15, s16
	s_cbranch_execz .LBB94_119
.LBB94_132:
	v_cmp_ne_u32_e32 vcc_lo, 1, v100
	v_lshlrev_b64 v[40:41], 2, v[52:53]
	s_cbranch_vccnz .LBB94_134
; %bb.133:
	s_delay_alu instid0(VALU_DEP_1) | instskip(NEXT) | instid1(VALU_DEP_2)
	v_add_co_u32 v46, vcc_lo, v44, v40
	v_add_co_ci_u32_e32 v47, vcc_lo, v45, v41, vcc_lo
	flat_load_b32 v46, v[46:47]
	s_waitcnt vmcnt(0) lgkmcnt(0)
	v_mul_f32_e32 v46, s19, v46
	s_branch .LBB94_135
.LBB94_134:
	v_mov_b32_e32 v46, 0
.LBB94_135:
	v_dual_max_f32 v47, v37, v37 :: v_dual_max_f32 v94, v24, v24
	v_dual_max_f32 v64, v25, v25 :: v_dual_max_f32 v65, v36, v36
	;; [unrolled: 1-line block ×3, first 2 shown]
	v_add_co_u32 v40, vcc_lo, v42, v40
	s_delay_alu instid0(VALU_DEP_3) | instskip(NEXT) | instid1(VALU_DEP_4)
	v_dual_min_f32 v47, v64, v47 :: v_dual_max_f32 v64, v26, v26
	v_min_f32_e32 v65, v94, v65
	v_add_co_ci_u32_e32 v41, vcc_lo, v43, v41, vcc_lo
	s_delay_alu instid0(VALU_DEP_2) | instskip(NEXT) | instid1(VALU_DEP_1)
	v_dual_min_f32 v64, v64, v95 :: v_dual_add_f32 v65, v93, v65
	v_dual_max_f32 v97, v27, v27 :: v_dual_add_f32 v64, v65, v64
	s_delay_alu instid0(VALU_DEP_1) | instskip(NEXT) | instid1(VALU_DEP_1)
	v_dual_add_f32 v47, v92, v47 :: v_dual_min_f32 v92, v97, v96
	v_add_f32_e32 v47, v47, v92
	s_delay_alu instid0(VALU_DEP_1) | instskip(NEXT) | instid1(VALU_DEP_1)
	v_add_f32_e32 v47, v64, v47
	v_add_f32_e32 v46, v47, v46
	global_store_b32 v[40:41], v46, off
	s_or_b32 exec_lo, exec_lo, s15
	s_and_b32 s16, s3, s8
	s_delay_alu instid0(SALU_CYCLE_1)
	s_and_saveexec_b32 s15, s16
	s_cbranch_execz .LBB94_120
.LBB94_136:
	v_cmp_ne_u32_e32 vcc_lo, 1, v100
	v_lshlrev_b64 v[40:41], 2, v[54:55]
	s_cbranch_vccnz .LBB94_138
; %bb.137:
	s_delay_alu instid0(VALU_DEP_1) | instskip(NEXT) | instid1(VALU_DEP_2)
	v_add_co_u32 v46, vcc_lo, v44, v40
	v_add_co_ci_u32_e32 v47, vcc_lo, v45, v41, vcc_lo
	flat_load_b32 v46, v[46:47]
	s_waitcnt vmcnt(0) lgkmcnt(0)
	v_mul_f32_e32 v46, s19, v46
	s_branch .LBB94_139
.LBB94_138:
	v_mov_b32_e32 v46, 0
.LBB94_139:
	v_dual_max_f32 v47, v37, v37 :: v_dual_max_f32 v92, v20, v20
	v_dual_max_f32 v64, v21, v21 :: v_dual_max_f32 v65, v36, v36
	;; [unrolled: 1-line block ×3, first 2 shown]
	v_add_co_u32 v40, vcc_lo, v42, v40
	s_delay_alu instid0(VALU_DEP_3) | instskip(SKIP_2) | instid1(VALU_DEP_3)
	v_dual_min_f32 v47, v64, v47 :: v_dual_max_f32 v64, v22, v22
	v_max_f32_e32 v95, v23, v23
	v_add_co_ci_u32_e32 v41, vcc_lo, v43, v41, vcc_lo
	v_min_f32_e32 v64, v64, v93
	v_min_f32_e32 v65, v92, v65
	s_delay_alu instid0(VALU_DEP_4) | instskip(NEXT) | instid1(VALU_DEP_2)
	v_dual_add_f32 v47, v90, v47 :: v_dual_min_f32 v90, v95, v94
	v_add_f32_e32 v65, v91, v65
	s_delay_alu instid0(VALU_DEP_1) | instskip(NEXT) | instid1(VALU_DEP_1)
	v_dual_add_f32 v64, v65, v64 :: v_dual_add_f32 v47, v47, v90
	v_add_f32_e32 v47, v64, v47
	s_delay_alu instid0(VALU_DEP_1) | instskip(SKIP_3) | instid1(SALU_CYCLE_1)
	v_add_f32_e32 v46, v47, v46
	global_store_b32 v[40:41], v46, off
	s_or_b32 exec_lo, exec_lo, s15
	s_and_b32 s16, s4, s8
	s_and_saveexec_b32 s15, s16
	s_cbranch_execz .LBB94_121
.LBB94_140:
	v_cmp_ne_u32_e32 vcc_lo, 1, v100
	v_lshlrev_b64 v[40:41], 2, v[56:57]
	s_cbranch_vccnz .LBB94_142
; %bb.141:
	s_delay_alu instid0(VALU_DEP_1) | instskip(NEXT) | instid1(VALU_DEP_2)
	v_add_co_u32 v46, vcc_lo, v44, v40
	v_add_co_ci_u32_e32 v47, vcc_lo, v45, v41, vcc_lo
	flat_load_b32 v46, v[46:47]
	s_waitcnt vmcnt(0) lgkmcnt(0)
	v_mul_f32_e32 v46, s19, v46
	s_branch .LBB94_143
.LBB94_142:
	v_mov_b32_e32 v46, 0
.LBB94_143:
	v_dual_max_f32 v47, v37, v37 :: v_dual_max_f32 v90, v16, v16
	v_dual_max_f32 v64, v17, v17 :: v_dual_max_f32 v65, v36, v36
	;; [unrolled: 1-line block ×3, first 2 shown]
	v_add_co_u32 v40, vcc_lo, v42, v40
	s_delay_alu instid0(VALU_DEP_3) | instskip(NEXT) | instid1(VALU_DEP_4)
	v_dual_min_f32 v47, v64, v47 :: v_dual_max_f32 v64, v18, v18
	v_min_f32_e32 v65, v90, v65
	v_add_co_ci_u32_e32 v41, vcc_lo, v43, v41, vcc_lo
	s_delay_alu instid0(VALU_DEP_3) | instskip(NEXT) | instid1(VALU_DEP_4)
	v_add_f32_e32 v47, v89, v47
	v_min_f32_e32 v64, v64, v91
	s_delay_alu instid0(VALU_DEP_4) | instskip(NEXT) | instid1(VALU_DEP_1)
	v_add_f32_e32 v65, v88, v65
	v_dual_max_f32 v93, v19, v19 :: v_dual_add_f32 v64, v65, v64
	s_delay_alu instid0(VALU_DEP_1) | instskip(NEXT) | instid1(VALU_DEP_1)
	v_min_f32_e32 v89, v93, v92
	v_add_f32_e32 v47, v47, v89
	s_delay_alu instid0(VALU_DEP_1) | instskip(NEXT) | instid1(VALU_DEP_1)
	v_add_f32_e32 v47, v64, v47
	v_add_f32_e32 v46, v47, v46
	global_store_b32 v[40:41], v46, off
	s_or_b32 exec_lo, exec_lo, s15
	s_and_b32 s16, s5, s8
	s_delay_alu instid0(SALU_CYCLE_1)
	s_and_saveexec_b32 s15, s16
	s_cbranch_execz .LBB94_122
.LBB94_144:
	v_cmp_ne_u32_e32 vcc_lo, 1, v100
	v_lshlrev_b64 v[40:41], 2, v[58:59]
	s_cbranch_vccnz .LBB94_146
; %bb.145:
	s_delay_alu instid0(VALU_DEP_1) | instskip(NEXT) | instid1(VALU_DEP_2)
	v_add_co_u32 v46, vcc_lo, v44, v40
	v_add_co_ci_u32_e32 v47, vcc_lo, v45, v41, vcc_lo
	flat_load_b32 v46, v[46:47]
	s_waitcnt vmcnt(0) lgkmcnt(0)
	v_mul_f32_e32 v46, s19, v46
	s_branch .LBB94_147
.LBB94_146:
	v_mov_b32_e32 v46, 0
.LBB94_147:
	v_dual_max_f32 v47, v37, v37 :: v_dual_max_f32 v88, v12, v12
	v_dual_max_f32 v64, v13, v13 :: v_dual_max_f32 v65, v36, v36
	;; [unrolled: 1-line block ×3, first 2 shown]
	v_add_co_u32 v40, vcc_lo, v42, v40
	s_delay_alu instid0(VALU_DEP_3) | instskip(SKIP_3) | instid1(VALU_DEP_4)
	v_dual_min_f32 v47, v64, v47 :: v_dual_max_f32 v64, v14, v14
	v_max_f32_e32 v91, v15, v15
	v_min_f32_e32 v65, v88, v65
	v_add_co_ci_u32_e32 v41, vcc_lo, v43, v41, vcc_lo
	v_min_f32_e32 v64, v64, v89
	s_delay_alu instid0(VALU_DEP_3) | instskip(SKIP_1) | instid1(VALU_DEP_2)
	v_add_f32_e32 v65, v86, v65
	v_add_f32_e32 v47, v87, v47
	v_dual_min_f32 v87, v91, v90 :: v_dual_add_f32 v64, v65, v64
	s_delay_alu instid0(VALU_DEP_1) | instskip(NEXT) | instid1(VALU_DEP_1)
	v_add_f32_e32 v47, v47, v87
	v_add_f32_e32 v47, v64, v47
	s_delay_alu instid0(VALU_DEP_1) | instskip(SKIP_3) | instid1(SALU_CYCLE_1)
	v_add_f32_e32 v46, v47, v46
	global_store_b32 v[40:41], v46, off
	s_or_b32 exec_lo, exec_lo, s15
	s_and_b32 s16, s6, s8
	s_and_saveexec_b32 s15, s16
	s_cbranch_execz .LBB94_123
.LBB94_148:
	v_cmp_ne_u32_e32 vcc_lo, 1, v100
	v_lshlrev_b64 v[40:41], 2, v[60:61]
	s_cbranch_vccnz .LBB94_150
; %bb.149:
	s_delay_alu instid0(VALU_DEP_1) | instskip(NEXT) | instid1(VALU_DEP_2)
	v_add_co_u32 v46, vcc_lo, v44, v40
	v_add_co_ci_u32_e32 v47, vcc_lo, v45, v41, vcc_lo
	flat_load_b32 v46, v[46:47]
	s_waitcnt vmcnt(0) lgkmcnt(0)
	v_mul_f32_e32 v46, s19, v46
	s_branch .LBB94_151
.LBB94_150:
	v_mov_b32_e32 v46, 0
.LBB94_151:
	v_dual_max_f32 v47, v37, v37 :: v_dual_max_f32 v86, v8, v8
	v_dual_max_f32 v64, v9, v9 :: v_dual_max_f32 v65, v36, v36
	;; [unrolled: 1-line block ×3, first 2 shown]
	v_add_co_u32 v40, vcc_lo, v42, v40
	s_delay_alu instid0(VALU_DEP_3) | instskip(NEXT) | instid1(VALU_DEP_4)
	v_dual_min_f32 v47, v64, v47 :: v_dual_max_f32 v64, v10, v10
	v_min_f32_e32 v65, v86, v65
	v_add_co_ci_u32_e32 v41, vcc_lo, v43, v41, vcc_lo
	s_delay_alu instid0(VALU_DEP_2) | instskip(NEXT) | instid1(VALU_DEP_1)
	v_dual_min_f32 v64, v64, v87 :: v_dual_add_f32 v65, v85, v65
	v_dual_max_f32 v89, v11, v11 :: v_dual_add_f32 v64, v65, v64
	s_delay_alu instid0(VALU_DEP_1) | instskip(NEXT) | instid1(VALU_DEP_1)
	v_dual_add_f32 v47, v84, v47 :: v_dual_min_f32 v84, v89, v88
	v_add_f32_e32 v47, v47, v84
	s_delay_alu instid0(VALU_DEP_1) | instskip(NEXT) | instid1(VALU_DEP_1)
	v_add_f32_e32 v47, v64, v47
	v_add_f32_e32 v46, v47, v46
	global_store_b32 v[40:41], v46, off
	s_or_b32 exec_lo, exec_lo, s15
	s_and_b32 s15, s7, s8
	s_delay_alu instid0(SALU_CYCLE_1)
	s_and_saveexec_b32 s8, s15
	s_cbranch_execz .LBB94_156
.LBB94_152:
	v_cmp_ne_u32_e32 vcc_lo, 1, v100
	v_lshlrev_b64 v[40:41], 2, v[62:63]
	s_cbranch_vccnz .LBB94_154
; %bb.153:
	s_delay_alu instid0(VALU_DEP_1) | instskip(NEXT) | instid1(VALU_DEP_2)
	v_add_co_u32 v44, vcc_lo, v44, v40
	v_add_co_ci_u32_e32 v45, vcc_lo, v45, v41, vcc_lo
	flat_load_b32 v44, v[44:45]
	s_waitcnt vmcnt(0) lgkmcnt(0)
	v_mul_f32_e32 v44, s19, v44
	s_branch .LBB94_155
.LBB94_154:
	v_mov_b32_e32 v44, 0
.LBB94_155:
	v_dual_max_f32 v37, v37, v37 :: v_dual_max_f32 v36, v36, v36
	v_dual_max_f32 v45, v1, v1 :: v_dual_max_f32 v46, v0, v0
	v_dual_max_f32 v38, v38, v38 :: v_dual_max_f32 v39, v39, v39
	s_delay_alu instid0(VALU_DEP_2) | instskip(NEXT) | instid1(VALU_DEP_1)
	v_dual_min_f32 v37, v45, v37 :: v_dual_min_f32 v36, v46, v36
	v_dual_max_f32 v45, v2, v2 :: v_dual_add_f32 v36, v83, v36
	s_delay_alu instid0(VALU_DEP_1) | instskip(NEXT) | instid1(VALU_DEP_1)
	v_dual_max_f32 v47, v3, v3 :: v_dual_min_f32 v38, v45, v38
	v_dual_add_f32 v37, v82, v37 :: v_dual_add_f32 v36, v36, v38
	s_delay_alu instid0(VALU_DEP_2) | instskip(NEXT) | instid1(VALU_DEP_1)
	v_min_f32_e32 v39, v47, v39
	v_add_f32_e32 v37, v37, v39
	s_delay_alu instid0(VALU_DEP_1) | instskip(NEXT) | instid1(VALU_DEP_1)
	v_add_f32_e32 v36, v36, v37
	v_add_f32_e32 v38, v36, v44
	v_add_co_u32 v36, vcc_lo, v42, v40
	v_add_co_ci_u32_e32 v37, vcc_lo, v43, v41, vcc_lo
	global_store_b32 v[36:37], v38, off
.LBB94_156:
	s_or_b32 exec_lo, exec_lo, s8
	v_add_nc_u32_e32 v40, 0x60, v117
	s_delay_alu instid0(VALU_DEP_1) | instskip(SKIP_2) | instid1(VALU_DEP_3)
	v_mad_i64_i32 v[36:37], null, v40, s12, 0
	v_mad_i64_i32 v[38:39], null, v40, s9, 0
	v_cmp_gt_i32_e64 s8, s17, v40
	v_lshlrev_b64 v[36:37], 2, v[36:37]
	s_delay_alu instid0(VALU_DEP_2) | instskip(NEXT) | instid1(VALU_DEP_3)
	s_and_b32 s9, s0, s8
	v_lshlrev_b64 v[38:39], 2, v[38:39]
	s_delay_alu instid0(VALU_DEP_2) | instskip(NEXT) | instid1(VALU_DEP_3)
	v_add_co_u32 v40, vcc_lo, s10, v36
	v_add_co_ci_u32_e32 v41, vcc_lo, s11, v37, vcc_lo
	s_delay_alu instid0(VALU_DEP_3) | instskip(NEXT) | instid1(VALU_DEP_4)
	v_add_co_u32 v38, vcc_lo, s13, v38
	v_add_co_ci_u32_e32 v39, vcc_lo, s14, v39, vcc_lo
	s_and_saveexec_b32 s0, s9
	s_cbranch_execnz .LBB94_165
; %bb.157:
	s_or_b32 exec_lo, exec_lo, s0
	s_and_b32 s1, s1, s8
	s_delay_alu instid0(SALU_CYCLE_1)
	s_and_saveexec_b32 s0, s1
	s_cbranch_execnz .LBB94_169
.LBB94_158:
	s_or_b32 exec_lo, exec_lo, s0
	s_and_b32 s1, s2, s8
	s_delay_alu instid0(SALU_CYCLE_1)
	s_and_saveexec_b32 s0, s1
	s_cbranch_execnz .LBB94_173
.LBB94_159:
	s_or_b32 exec_lo, exec_lo, s0
	s_and_b32 s1, s3, s8
	s_delay_alu instid0(SALU_CYCLE_1)
	s_and_saveexec_b32 s0, s1
	s_cbranch_execnz .LBB94_177
.LBB94_160:
	s_or_b32 exec_lo, exec_lo, s0
	s_and_b32 s1, s4, s8
	s_delay_alu instid0(SALU_CYCLE_1)
	s_and_saveexec_b32 s0, s1
	s_cbranch_execnz .LBB94_181
.LBB94_161:
	s_or_b32 exec_lo, exec_lo, s0
	s_and_b32 s1, s5, s8
	s_delay_alu instid0(SALU_CYCLE_1)
	s_and_saveexec_b32 s0, s1
	s_cbranch_execnz .LBB94_185
.LBB94_162:
	s_or_b32 exec_lo, exec_lo, s0
	s_and_b32 s1, s6, s8
	s_delay_alu instid0(SALU_CYCLE_1)
	s_and_saveexec_b32 s0, s1
	s_cbranch_execnz .LBB94_189
.LBB94_163:
	s_or_b32 exec_lo, exec_lo, s0
	s_and_b32 s0, s7, s8
	s_delay_alu instid0(SALU_CYCLE_1)
	s_and_saveexec_b32 s1, s0
	s_cbranch_execnz .LBB94_193
.LBB94_164:
	s_nop 0
	s_sendmsg sendmsg(MSG_DEALLOC_VGPRS)
	s_endpgm
.LBB94_165:
	v_cmp_ne_u32_e32 vcc_lo, 1, v100
	v_lshlrev_b64 v[36:37], 2, v[48:49]
	s_cbranch_vccnz .LBB94_167
; %bb.166:
	s_delay_alu instid0(VALU_DEP_1) | instskip(NEXT) | instid1(VALU_DEP_2)
	v_add_co_u32 v42, vcc_lo, v40, v36
	v_add_co_ci_u32_e32 v43, vcc_lo, v41, v37, vcc_lo
	flat_load_b32 v42, v[42:43]
	s_waitcnt vmcnt(0) lgkmcnt(0)
	v_mul_f32_e32 v42, s19, v42
	s_branch .LBB94_168
.LBB94_167:
	v_mov_b32_e32 v42, 0
.LBB94_168:
	v_dual_max_f32 v43, v5, v5 :: v_dual_max_f32 v44, v4, v4
	v_dual_max_f32 v33, v33, v33 :: v_dual_max_f32 v32, v32, v32
	v_max_f32_e32 v45, v6, v6
	s_delay_alu instid0(VALU_DEP_2) | instskip(NEXT) | instid1(VALU_DEP_3)
	v_dual_max_f32 v34, v34, v34 :: v_dual_min_f32 v33, v33, v43
	v_dual_min_f32 v32, v32, v44 :: v_dual_max_f32 v43, v7, v7
	s_delay_alu instid0(VALU_DEP_2) | instskip(NEXT) | instid1(VALU_DEP_2)
	v_dual_min_f32 v34, v34, v45 :: v_dual_max_f32 v35, v35, v35
	v_dual_add_f32 v33, v80, v33 :: v_dual_add_f32 v32, v81, v32
	s_delay_alu instid0(VALU_DEP_1) | instskip(NEXT) | instid1(VALU_DEP_1)
	v_dual_min_f32 v35, v35, v43 :: v_dual_add_f32 v32, v32, v34
	v_add_f32_e32 v33, v33, v35
	s_delay_alu instid0(VALU_DEP_1) | instskip(NEXT) | instid1(VALU_DEP_1)
	v_add_f32_e32 v32, v32, v33
	v_add_f32_e32 v34, v32, v42
	v_add_co_u32 v32, vcc_lo, v38, v36
	v_add_co_ci_u32_e32 v33, vcc_lo, v39, v37, vcc_lo
	global_store_b32 v[32:33], v34, off
	s_or_b32 exec_lo, exec_lo, s0
	s_and_b32 s1, s1, s8
	s_delay_alu instid0(SALU_CYCLE_1)
	s_and_saveexec_b32 s0, s1
	s_cbranch_execz .LBB94_158
.LBB94_169:
	v_cmp_ne_u32_e32 vcc_lo, 1, v100
	v_lshlrev_b64 v[32:33], 2, v[50:51]
	s_cbranch_vccnz .LBB94_171
; %bb.170:
	s_delay_alu instid0(VALU_DEP_1) | instskip(NEXT) | instid1(VALU_DEP_2)
	v_add_co_u32 v34, vcc_lo, v40, v32
	v_add_co_ci_u32_e32 v35, vcc_lo, v41, v33, vcc_lo
	flat_load_b32 v34, v[34:35]
	s_waitcnt vmcnt(0) lgkmcnt(0)
	v_mul_f32_e32 v34, s19, v34
	s_branch .LBB94_172
.LBB94_171:
	v_mov_b32_e32 v34, 0
.LBB94_172:
	v_dual_max_f32 v35, v5, v5 :: v_dual_max_f32 v36, v4, v4
	v_dual_max_f32 v29, v29, v29 :: v_dual_max_f32 v28, v28, v28
	v_max_f32_e32 v37, v6, v6
	s_delay_alu instid0(VALU_DEP_2) | instskip(NEXT) | instid1(VALU_DEP_3)
	v_dual_max_f32 v30, v30, v30 :: v_dual_min_f32 v29, v29, v35
	v_dual_min_f32 v28, v28, v36 :: v_dual_max_f32 v35, v7, v7
	s_delay_alu instid0(VALU_DEP_2) | instskip(NEXT) | instid1(VALU_DEP_2)
	v_dual_min_f32 v30, v30, v37 :: v_dual_max_f32 v31, v31, v31
	v_dual_add_f32 v28, v78, v28 :: v_dual_add_f32 v29, v79, v29
	s_delay_alu instid0(VALU_DEP_1) | instskip(NEXT) | instid1(VALU_DEP_1)
	v_dual_add_f32 v28, v28, v30 :: v_dual_min_f32 v31, v31, v35
	v_add_f32_e32 v29, v29, v31
	s_delay_alu instid0(VALU_DEP_1) | instskip(NEXT) | instid1(VALU_DEP_1)
	v_add_f32_e32 v28, v28, v29
	v_add_f32_e32 v30, v28, v34
	v_add_co_u32 v28, vcc_lo, v38, v32
	v_add_co_ci_u32_e32 v29, vcc_lo, v39, v33, vcc_lo
	global_store_b32 v[28:29], v30, off
	s_or_b32 exec_lo, exec_lo, s0
	s_and_b32 s1, s2, s8
	s_delay_alu instid0(SALU_CYCLE_1)
	s_and_saveexec_b32 s0, s1
	s_cbranch_execz .LBB94_159
.LBB94_173:
	v_cmp_ne_u32_e32 vcc_lo, 1, v100
	v_lshlrev_b64 v[28:29], 2, v[52:53]
	s_cbranch_vccnz .LBB94_175
; %bb.174:
	s_delay_alu instid0(VALU_DEP_1) | instskip(NEXT) | instid1(VALU_DEP_2)
	v_add_co_u32 v30, vcc_lo, v40, v28
	v_add_co_ci_u32_e32 v31, vcc_lo, v41, v29, vcc_lo
	flat_load_b32 v30, v[30:31]
	s_waitcnt vmcnt(0) lgkmcnt(0)
	v_mul_f32_e32 v30, s19, v30
	s_branch .LBB94_176
.LBB94_175:
	v_mov_b32_e32 v30, 0
.LBB94_176:
	v_dual_max_f32 v31, v5, v5 :: v_dual_max_f32 v32, v4, v4
	v_dual_max_f32 v25, v25, v25 :: v_dual_max_f32 v24, v24, v24
	v_max_f32_e32 v33, v6, v6
	s_delay_alu instid0(VALU_DEP_2) | instskip(NEXT) | instid1(VALU_DEP_3)
	v_dual_max_f32 v26, v26, v26 :: v_dual_min_f32 v25, v25, v31
	v_dual_min_f32 v24, v24, v32 :: v_dual_max_f32 v31, v7, v7
	s_delay_alu instid0(VALU_DEP_2) | instskip(NEXT) | instid1(VALU_DEP_2)
	v_dual_min_f32 v26, v26, v33 :: v_dual_max_f32 v27, v27, v27
	v_dual_add_f32 v25, v76, v25 :: v_dual_add_f32 v24, v77, v24
	s_delay_alu instid0(VALU_DEP_1) | instskip(NEXT) | instid1(VALU_DEP_1)
	v_dual_min_f32 v27, v27, v31 :: v_dual_add_f32 v24, v24, v26
	v_add_f32_e32 v25, v25, v27
	s_delay_alu instid0(VALU_DEP_1) | instskip(NEXT) | instid1(VALU_DEP_1)
	v_add_f32_e32 v24, v24, v25
	v_add_f32_e32 v26, v24, v30
	v_add_co_u32 v24, vcc_lo, v38, v28
	v_add_co_ci_u32_e32 v25, vcc_lo, v39, v29, vcc_lo
	global_store_b32 v[24:25], v26, off
	s_or_b32 exec_lo, exec_lo, s0
	s_and_b32 s1, s3, s8
	s_delay_alu instid0(SALU_CYCLE_1)
	s_and_saveexec_b32 s0, s1
	s_cbranch_execz .LBB94_160
.LBB94_177:
	v_cmp_ne_u32_e32 vcc_lo, 1, v100
	v_lshlrev_b64 v[24:25], 2, v[54:55]
	s_cbranch_vccnz .LBB94_179
; %bb.178:
	s_delay_alu instid0(VALU_DEP_1) | instskip(NEXT) | instid1(VALU_DEP_2)
	v_add_co_u32 v26, vcc_lo, v40, v24
	v_add_co_ci_u32_e32 v27, vcc_lo, v41, v25, vcc_lo
	flat_load_b32 v26, v[26:27]
	s_waitcnt vmcnt(0) lgkmcnt(0)
	v_mul_f32_e32 v26, s19, v26
	s_branch .LBB94_180
.LBB94_179:
	v_mov_b32_e32 v26, 0
.LBB94_180:
	v_dual_max_f32 v27, v5, v5 :: v_dual_max_f32 v28, v4, v4
	v_dual_max_f32 v21, v21, v21 :: v_dual_max_f32 v20, v20, v20
	v_max_f32_e32 v29, v6, v6
	s_delay_alu instid0(VALU_DEP_2) | instskip(NEXT) | instid1(VALU_DEP_3)
	v_dual_max_f32 v22, v22, v22 :: v_dual_min_f32 v21, v21, v27
	v_dual_min_f32 v20, v20, v28 :: v_dual_max_f32 v27, v7, v7
	s_delay_alu instid0(VALU_DEP_2) | instskip(NEXT) | instid1(VALU_DEP_2)
	v_min_f32_e32 v22, v22, v29
	v_dual_add_f32 v21, v74, v21 :: v_dual_add_f32 v20, v75, v20
	s_delay_alu instid0(VALU_DEP_1) | instskip(NEXT) | instid1(VALU_DEP_1)
	v_dual_max_f32 v23, v23, v23 :: v_dual_add_f32 v20, v20, v22
	v_min_f32_e32 v23, v23, v27
	s_delay_alu instid0(VALU_DEP_1) | instskip(NEXT) | instid1(VALU_DEP_1)
	v_add_f32_e32 v21, v21, v23
	v_add_f32_e32 v20, v20, v21
	s_delay_alu instid0(VALU_DEP_1)
	v_add_f32_e32 v22, v20, v26
	v_add_co_u32 v20, vcc_lo, v38, v24
	v_add_co_ci_u32_e32 v21, vcc_lo, v39, v25, vcc_lo
	global_store_b32 v[20:21], v22, off
	s_or_b32 exec_lo, exec_lo, s0
	s_and_b32 s1, s4, s8
	s_delay_alu instid0(SALU_CYCLE_1)
	s_and_saveexec_b32 s0, s1
	s_cbranch_execz .LBB94_161
.LBB94_181:
	v_cmp_ne_u32_e32 vcc_lo, 1, v100
	v_lshlrev_b64 v[20:21], 2, v[56:57]
	s_cbranch_vccnz .LBB94_183
; %bb.182:
	s_delay_alu instid0(VALU_DEP_1) | instskip(NEXT) | instid1(VALU_DEP_2)
	v_add_co_u32 v22, vcc_lo, v40, v20
	v_add_co_ci_u32_e32 v23, vcc_lo, v41, v21, vcc_lo
	flat_load_b32 v22, v[22:23]
	s_waitcnt vmcnt(0) lgkmcnt(0)
	v_mul_f32_e32 v22, s19, v22
	s_branch .LBB94_184
.LBB94_183:
	v_mov_b32_e32 v22, 0
.LBB94_184:
	v_dual_max_f32 v23, v5, v5 :: v_dual_max_f32 v24, v4, v4
	v_dual_max_f32 v17, v17, v17 :: v_dual_max_f32 v16, v16, v16
	v_max_f32_e32 v25, v6, v6
	s_delay_alu instid0(VALU_DEP_2) | instskip(NEXT) | instid1(VALU_DEP_3)
	v_dual_max_f32 v18, v18, v18 :: v_dual_min_f32 v17, v17, v23
	v_dual_min_f32 v16, v16, v24 :: v_dual_max_f32 v23, v7, v7
	s_delay_alu instid0(VALU_DEP_2) | instskip(NEXT) | instid1(VALU_DEP_2)
	v_dual_min_f32 v18, v18, v25 :: v_dual_max_f32 v19, v19, v19
	v_dual_add_f32 v16, v72, v16 :: v_dual_add_f32 v17, v73, v17
	s_delay_alu instid0(VALU_DEP_1) | instskip(NEXT) | instid1(VALU_DEP_1)
	v_dual_add_f32 v16, v16, v18 :: v_dual_min_f32 v19, v19, v23
	v_add_f32_e32 v17, v17, v19
	s_delay_alu instid0(VALU_DEP_1) | instskip(NEXT) | instid1(VALU_DEP_1)
	v_add_f32_e32 v16, v16, v17
	v_add_f32_e32 v18, v16, v22
	v_add_co_u32 v16, vcc_lo, v38, v20
	v_add_co_ci_u32_e32 v17, vcc_lo, v39, v21, vcc_lo
	global_store_b32 v[16:17], v18, off
	s_or_b32 exec_lo, exec_lo, s0
	s_and_b32 s1, s5, s8
	s_delay_alu instid0(SALU_CYCLE_1)
	s_and_saveexec_b32 s0, s1
	s_cbranch_execz .LBB94_162
.LBB94_185:
	v_cmp_ne_u32_e32 vcc_lo, 1, v100
	v_lshlrev_b64 v[16:17], 2, v[58:59]
	s_cbranch_vccnz .LBB94_187
; %bb.186:
	s_delay_alu instid0(VALU_DEP_1) | instskip(NEXT) | instid1(VALU_DEP_2)
	v_add_co_u32 v18, vcc_lo, v40, v16
	v_add_co_ci_u32_e32 v19, vcc_lo, v41, v17, vcc_lo
	flat_load_b32 v18, v[18:19]
	s_waitcnt vmcnt(0) lgkmcnt(0)
	v_mul_f32_e32 v18, s19, v18
	s_branch .LBB94_188
.LBB94_187:
	v_mov_b32_e32 v18, 0
.LBB94_188:
	v_dual_max_f32 v19, v5, v5 :: v_dual_max_f32 v20, v4, v4
	v_dual_max_f32 v13, v13, v13 :: v_dual_max_f32 v12, v12, v12
	v_max_f32_e32 v21, v6, v6
	s_delay_alu instid0(VALU_DEP_2) | instskip(NEXT) | instid1(VALU_DEP_3)
	v_dual_max_f32 v14, v14, v14 :: v_dual_min_f32 v13, v13, v19
	v_dual_min_f32 v12, v12, v20 :: v_dual_max_f32 v19, v7, v7
	s_delay_alu instid0(VALU_DEP_2) | instskip(NEXT) | instid1(VALU_DEP_2)
	v_min_f32_e32 v14, v14, v21
	v_dual_add_f32 v13, v70, v13 :: v_dual_add_f32 v12, v71, v12
	s_delay_alu instid0(VALU_DEP_1) | instskip(NEXT) | instid1(VALU_DEP_1)
	v_dual_max_f32 v15, v15, v15 :: v_dual_add_f32 v12, v12, v14
	v_min_f32_e32 v15, v15, v19
	s_delay_alu instid0(VALU_DEP_1) | instskip(NEXT) | instid1(VALU_DEP_1)
	v_add_f32_e32 v13, v13, v15
	v_add_f32_e32 v12, v12, v13
	s_delay_alu instid0(VALU_DEP_1)
	v_add_f32_e32 v14, v12, v18
	v_add_co_u32 v12, vcc_lo, v38, v16
	v_add_co_ci_u32_e32 v13, vcc_lo, v39, v17, vcc_lo
	global_store_b32 v[12:13], v14, off
	s_or_b32 exec_lo, exec_lo, s0
	s_and_b32 s1, s6, s8
	s_delay_alu instid0(SALU_CYCLE_1)
	s_and_saveexec_b32 s0, s1
	s_cbranch_execz .LBB94_163
.LBB94_189:
	v_cmp_ne_u32_e32 vcc_lo, 1, v100
	v_lshlrev_b64 v[12:13], 2, v[60:61]
	s_cbranch_vccnz .LBB94_191
; %bb.190:
	s_delay_alu instid0(VALU_DEP_1) | instskip(NEXT) | instid1(VALU_DEP_2)
	v_add_co_u32 v14, vcc_lo, v40, v12
	v_add_co_ci_u32_e32 v15, vcc_lo, v41, v13, vcc_lo
	flat_load_b32 v14, v[14:15]
	s_waitcnt vmcnt(0) lgkmcnt(0)
	v_mul_f32_e32 v14, s19, v14
	s_branch .LBB94_192
.LBB94_191:
	v_mov_b32_e32 v14, 0
.LBB94_192:
	v_dual_max_f32 v15, v5, v5 :: v_dual_max_f32 v16, v4, v4
	v_dual_max_f32 v9, v9, v9 :: v_dual_max_f32 v8, v8, v8
	v_max_f32_e32 v17, v6, v6
	s_delay_alu instid0(VALU_DEP_2) | instskip(NEXT) | instid1(VALU_DEP_3)
	v_dual_max_f32 v10, v10, v10 :: v_dual_min_f32 v9, v9, v15
	v_dual_min_f32 v8, v8, v16 :: v_dual_max_f32 v15, v7, v7
	s_delay_alu instid0(VALU_DEP_2) | instskip(NEXT) | instid1(VALU_DEP_2)
	v_dual_min_f32 v10, v10, v17 :: v_dual_max_f32 v11, v11, v11
	v_dual_add_f32 v8, v68, v8 :: v_dual_add_f32 v9, v69, v9
	s_delay_alu instid0(VALU_DEP_1) | instskip(NEXT) | instid1(VALU_DEP_1)
	v_dual_add_f32 v8, v8, v10 :: v_dual_min_f32 v11, v11, v15
	v_add_f32_e32 v9, v9, v11
	s_delay_alu instid0(VALU_DEP_1) | instskip(NEXT) | instid1(VALU_DEP_1)
	v_add_f32_e32 v8, v8, v9
	v_add_f32_e32 v10, v8, v14
	v_add_co_u32 v8, vcc_lo, v38, v12
	v_add_co_ci_u32_e32 v9, vcc_lo, v39, v13, vcc_lo
	global_store_b32 v[8:9], v10, off
	s_or_b32 exec_lo, exec_lo, s0
	s_and_b32 s0, s7, s8
	s_delay_alu instid0(SALU_CYCLE_1)
	s_and_saveexec_b32 s1, s0
	s_cbranch_execz .LBB94_164
.LBB94_193:
	v_cmp_ne_u32_e32 vcc_lo, 1, v100
	v_lshlrev_b64 v[8:9], 2, v[62:63]
	s_cbranch_vccnz .LBB94_195
; %bb.194:
	s_delay_alu instid0(VALU_DEP_1) | instskip(NEXT) | instid1(VALU_DEP_2)
	v_add_co_u32 v10, vcc_lo, v40, v8
	v_add_co_ci_u32_e32 v11, vcc_lo, v41, v9, vcc_lo
	flat_load_b32 v10, v[10:11]
	s_waitcnt vmcnt(0) lgkmcnt(0)
	v_mul_f32_e32 v10, s19, v10
	s_branch .LBB94_196
.LBB94_195:
	v_mov_b32_e32 v10, 0
.LBB94_196:
	v_dual_max_f32 v5, v5, v5 :: v_dual_max_f32 v4, v4, v4
	v_dual_max_f32 v1, v1, v1 :: v_dual_max_f32 v0, v0, v0
	v_max_f32_e32 v6, v6, v6
	v_dual_max_f32 v2, v2, v2 :: v_dual_max_f32 v3, v3, v3
	s_delay_alu instid0(VALU_DEP_3) | instskip(NEXT) | instid1(VALU_DEP_2)
	v_dual_min_f32 v1, v1, v5 :: v_dual_min_f32 v0, v0, v4
	v_dual_max_f32 v5, v7, v7 :: v_dual_min_f32 v2, v2, v6
	s_delay_alu instid0(VALU_DEP_2) | instskip(NEXT) | instid1(VALU_DEP_1)
	v_dual_add_f32 v1, v67, v1 :: v_dual_add_f32 v0, v66, v0
	v_dual_min_f32 v3, v3, v5 :: v_dual_add_f32 v0, v0, v2
	s_delay_alu instid0(VALU_DEP_1) | instskip(NEXT) | instid1(VALU_DEP_1)
	v_add_f32_e32 v1, v1, v3
	v_add_f32_e32 v0, v0, v1
	s_delay_alu instid0(VALU_DEP_1)
	v_add_f32_e32 v2, v0, v10
	v_add_co_u32 v0, vcc_lo, v38, v8
	v_add_co_ci_u32_e32 v1, vcc_lo, v39, v9, vcc_lo
	global_store_b32 v[0:1], v2, off
	s_nop 0
	s_sendmsg sendmsg(MSG_DEALLOC_VGPRS)
	s_endpgm
	.section	.rodata,"a",@progbits
	.p2align	6, 0x0
	.amdhsa_kernel _ZN12_GLOBAL__N_120geam_min_plus_kernelIf15HIP_vector_typeIfLj2EES2_Li8ELi32ELi64ELi128ELi4ELi64ELi4ELi64ELi4ELc78ELc84ELb1ELb1ELb0EfKffEEviiiT16_PT17_ilS6_ilS4_S6_ilPT18_ili26rocblas_geam_ex_operation_
		.amdhsa_group_segment_fixed_size 6144
		.amdhsa_private_segment_fixed_size 0
		.amdhsa_kernarg_size 128
		.amdhsa_user_sgpr_count 14
		.amdhsa_user_sgpr_dispatch_ptr 0
		.amdhsa_user_sgpr_queue_ptr 0
		.amdhsa_user_sgpr_kernarg_segment_ptr 1
		.amdhsa_user_sgpr_dispatch_id 0
		.amdhsa_user_sgpr_private_segment_size 0
		.amdhsa_wavefront_size32 1
		.amdhsa_uses_dynamic_stack 0
		.amdhsa_enable_private_segment 0
		.amdhsa_system_sgpr_workgroup_id_x 1
		.amdhsa_system_sgpr_workgroup_id_y 0
		.amdhsa_system_sgpr_workgroup_id_z 1
		.amdhsa_system_sgpr_workgroup_info 0
		.amdhsa_system_vgpr_workitem_id 1
		.amdhsa_next_free_vgpr 232
		.amdhsa_next_free_sgpr 29
		.amdhsa_reserve_vcc 1
		.amdhsa_float_round_mode_32 0
		.amdhsa_float_round_mode_16_64 0
		.amdhsa_float_denorm_mode_32 3
		.amdhsa_float_denorm_mode_16_64 3
		.amdhsa_dx10_clamp 1
		.amdhsa_ieee_mode 1
		.amdhsa_fp16_overflow 0
		.amdhsa_workgroup_processor_mode 1
		.amdhsa_memory_ordered 1
		.amdhsa_forward_progress 0
		.amdhsa_shared_vgpr_count 0
		.amdhsa_exception_fp_ieee_invalid_op 0
		.amdhsa_exception_fp_denorm_src 0
		.amdhsa_exception_fp_ieee_div_zero 0
		.amdhsa_exception_fp_ieee_overflow 0
		.amdhsa_exception_fp_ieee_underflow 0
		.amdhsa_exception_fp_ieee_inexact 0
		.amdhsa_exception_int_div_zero 0
	.end_amdhsa_kernel
	.section	.text._ZN12_GLOBAL__N_120geam_min_plus_kernelIf15HIP_vector_typeIfLj2EES2_Li8ELi32ELi64ELi128ELi4ELi64ELi4ELi64ELi4ELc78ELc84ELb1ELb1ELb0EfKffEEviiiT16_PT17_ilS6_ilS4_S6_ilPT18_ili26rocblas_geam_ex_operation_,"axG",@progbits,_ZN12_GLOBAL__N_120geam_min_plus_kernelIf15HIP_vector_typeIfLj2EES2_Li8ELi32ELi64ELi128ELi4ELi64ELi4ELi64ELi4ELc78ELc84ELb1ELb1ELb0EfKffEEviiiT16_PT17_ilS6_ilS4_S6_ilPT18_ili26rocblas_geam_ex_operation_,comdat
.Lfunc_end94:
	.size	_ZN12_GLOBAL__N_120geam_min_plus_kernelIf15HIP_vector_typeIfLj2EES2_Li8ELi32ELi64ELi128ELi4ELi64ELi4ELi64ELi4ELc78ELc84ELb1ELb1ELb0EfKffEEviiiT16_PT17_ilS6_ilS4_S6_ilPT18_ili26rocblas_geam_ex_operation_, .Lfunc_end94-_ZN12_GLOBAL__N_120geam_min_plus_kernelIf15HIP_vector_typeIfLj2EES2_Li8ELi32ELi64ELi128ELi4ELi64ELi4ELi64ELi4ELc78ELc84ELb1ELb1ELb0EfKffEEviiiT16_PT17_ilS6_ilS4_S6_ilPT18_ili26rocblas_geam_ex_operation_
                                        ; -- End function
	.section	.AMDGPU.csdata,"",@progbits
; Kernel info:
; codeLenInByte = 13068
; NumSgprs: 31
; NumVgprs: 232
; ScratchSize: 0
; MemoryBound: 0
; FloatMode: 240
; IeeeMode: 1
; LDSByteSize: 6144 bytes/workgroup (compile time only)
; SGPRBlocks: 3
; VGPRBlocks: 28
; NumSGPRsForWavesPerEU: 31
; NumVGPRsForWavesPerEU: 232
; Occupancy: 6
; WaveLimiterHint : 0
; COMPUTE_PGM_RSRC2:SCRATCH_EN: 0
; COMPUTE_PGM_RSRC2:USER_SGPR: 14
; COMPUTE_PGM_RSRC2:TRAP_HANDLER: 0
; COMPUTE_PGM_RSRC2:TGID_X_EN: 1
; COMPUTE_PGM_RSRC2:TGID_Y_EN: 0
; COMPUTE_PGM_RSRC2:TGID_Z_EN: 1
; COMPUTE_PGM_RSRC2:TIDIG_COMP_CNT: 1
	.section	.text._ZN12_GLOBAL__N_120geam_min_plus_kernelIf15HIP_vector_typeIfLj2EES2_Li8ELi32ELi64ELi128ELi4ELi64ELi4ELi64ELi4ELc78ELc84ELb0ELb1ELb0EfKffEEviiiT16_PT17_ilS6_ilS4_S6_ilPT18_ili26rocblas_geam_ex_operation_,"axG",@progbits,_ZN12_GLOBAL__N_120geam_min_plus_kernelIf15HIP_vector_typeIfLj2EES2_Li8ELi32ELi64ELi128ELi4ELi64ELi4ELi64ELi4ELc78ELc84ELb0ELb1ELb0EfKffEEviiiT16_PT17_ilS6_ilS4_S6_ilPT18_ili26rocblas_geam_ex_operation_,comdat
	.globl	_ZN12_GLOBAL__N_120geam_min_plus_kernelIf15HIP_vector_typeIfLj2EES2_Li8ELi32ELi64ELi128ELi4ELi64ELi4ELi64ELi4ELc78ELc84ELb0ELb1ELb0EfKffEEviiiT16_PT17_ilS6_ilS4_S6_ilPT18_ili26rocblas_geam_ex_operation_ ; -- Begin function _ZN12_GLOBAL__N_120geam_min_plus_kernelIf15HIP_vector_typeIfLj2EES2_Li8ELi32ELi64ELi128ELi4ELi64ELi4ELi64ELi4ELc78ELc84ELb0ELb1ELb0EfKffEEviiiT16_PT17_ilS6_ilS4_S6_ilPT18_ili26rocblas_geam_ex_operation_
	.p2align	8
	.type	_ZN12_GLOBAL__N_120geam_min_plus_kernelIf15HIP_vector_typeIfLj2EES2_Li8ELi32ELi64ELi128ELi4ELi64ELi4ELi64ELi4ELc78ELc84ELb0ELb1ELb0EfKffEEviiiT16_PT17_ilS6_ilS4_S6_ilPT18_ili26rocblas_geam_ex_operation_,@function
_ZN12_GLOBAL__N_120geam_min_plus_kernelIf15HIP_vector_typeIfLj2EES2_Li8ELi32ELi64ELi128ELi4ELi64ELi4ELi64ELi4ELc78ELc84ELb0ELb1ELb0EfKffEEviiiT16_PT17_ilS6_ilS4_S6_ilPT18_ili26rocblas_geam_ex_operation_: ; @_ZN12_GLOBAL__N_120geam_min_plus_kernelIf15HIP_vector_typeIfLj2EES2_Li8ELi32ELi64ELi128ELi4ELi64ELi4ELi64ELi4ELc78ELc84ELb0ELb1ELb0EfKffEEviiiT16_PT17_ilS6_ilS4_S6_ilPT18_ili26rocblas_geam_ex_operation_
; %bb.0:
	s_clause 0x1
	s_load_b128 s[16:19], s[0:1], 0x0
	s_load_b128 s[4:7], s[0:1], 0x20
	s_waitcnt lgkmcnt(0)
	v_cmp_eq_f32_e64 s2, s19, 0
	v_cmp_neq_f32_e64 s25, s19, 0
	s_delay_alu instid0(VALU_DEP_2)
	s_and_b32 vcc_lo, exec_lo, s2
	s_cbranch_vccnz .LBB95_3
; %bb.1:
	s_load_b64 s[8:9], s[0:1], 0x10
	s_mul_i32 s3, s15, s5
	s_mul_hi_u32 s5, s15, s4
	s_mul_i32 s4, s15, s4
	s_add_i32 s5, s5, s3
	s_delay_alu instid0(SALU_CYCLE_1)
	s_lshl_b64 s[4:5], s[4:5], 2
	s_waitcnt lgkmcnt(0)
	s_add_u32 s12, s8, s4
	s_addc_u32 s13, s9, s5
	s_and_not1_b32 vcc_lo, exec_lo, s2
	s_cbranch_vccnz .LBB95_4
.LBB95_2:
	s_mov_b32 s24, 0
	s_mov_b64 s[8:9], 0
	s_cbranch_execz .LBB95_5
	s_branch .LBB95_6
.LBB95_3:
	s_mov_b64 s[12:13], 0
	s_and_not1_b32 vcc_lo, exec_lo, s2
	s_cbranch_vccz .LBB95_2
.LBB95_4:
	s_mov_b32 s24, -1
                                        ; implicit-def: $sgpr8_sgpr9
.LBB95_5:
	s_load_b64 s[2:3], s[0:1], 0x38
	s_mov_b32 s24, 0
	s_waitcnt lgkmcnt(0)
	s_mul_i32 s3, s15, s3
	s_mul_hi_u32 s4, s15, s2
	s_mul_i32 s2, s15, s2
	s_add_i32 s3, s4, s3
	s_delay_alu instid0(SALU_CYCLE_1) | instskip(NEXT) | instid1(SALU_CYCLE_1)
	s_lshl_b64 s[2:3], s[2:3], 2
	s_add_u32 s8, s6, s2
	s_addc_u32 s9, s7, s3
.LBB95_6:
	s_clause 0x1
	s_load_b32 s22, s[0:1], 0x40
	s_load_b128 s[4:7], s[0:1], 0x58
	s_waitcnt lgkmcnt(0)
	v_cmp_eq_f32_e64 s2, s22, 0
	v_cmp_neq_f32_e64 s23, s22, 0
	s_delay_alu instid0(VALU_DEP_2)
	s_and_b32 vcc_lo, exec_lo, s2
	s_cbranch_vccnz .LBB95_8
; %bb.7:
	s_load_b64 s[2:3], s[0:1], 0x48
	s_mul_i32 s5, s15, s5
	s_mul_hi_u32 s10, s15, s4
	s_delay_alu instid0(SALU_CYCLE_1) | instskip(SKIP_3) | instid1(SALU_CYCLE_1)
	s_add_i32 s5, s10, s5
	s_mul_i32 s10, s24, s4
	s_mul_i32 s4, s15, s4
	s_add_i32 s5, s5, s10
	s_lshl_b64 s[4:5], s[4:5], 2
	s_waitcnt lgkmcnt(0)
	s_add_u32 s10, s2, s4
	s_addc_u32 s11, s3, s5
	s_branch .LBB95_9
.LBB95_8:
	s_mov_b64 s[10:11], 0
.LBB95_9:
	s_add_i32 s2, s16, -1
	s_load_b32 s20, s[0:1], 0x18
	s_ashr_i32 s3, s2, 31
	v_dual_mov_b32 v9, 0 :: v_dual_and_b32 v54, 0x3ff, v0
	s_lshr_b32 s3, s3, 26
	v_bfe_u32 v55, v0, 10, 10
	s_add_i32 s2, s2, s3
	v_mov_b32_e32 v8, 0
	s_ashr_i32 s2, s2, 6
	s_delay_alu instid0(SALU_CYCLE_1) | instskip(SKIP_2) | instid1(VALU_DEP_1)
	s_add_i32 s4, s2, 1
	s_not_b32 s2, s2
	v_cvt_f32_u32_e32 v1, s4
	v_rcp_iflag_f32_e32 v1, v1
	s_waitcnt lgkmcnt(0)
	s_ashr_i32 s21, s20, 31
	s_waitcnt_depctr 0xfff
	v_mul_f32_e32 v1, 0x4f7ffffe, v1
	s_delay_alu instid0(VALU_DEP_1) | instskip(NEXT) | instid1(VALU_DEP_1)
	v_cvt_u32_f32_e32 v1, v1
	v_readfirstlane_b32 s3, v1
	v_lshl_add_u32 v1, v55, 3, v54
	s_delay_alu instid0(VALU_DEP_2) | instskip(NEXT) | instid1(VALU_DEP_1)
	s_mul_i32 s2, s2, s3
	v_and_b32_e32 v7, 63, v1
	s_mul_hi_u32 s2, s3, s2
	v_lshrrev_b32_e32 v56, 6, v1
	s_add_i32 s3, s3, s2
	s_delay_alu instid0(SALU_CYCLE_1) | instskip(NEXT) | instid1(SALU_CYCLE_1)
	s_mul_hi_u32 s2, s14, s3
	s_mul_i32 s3, s2, s4
	s_add_i32 s5, s2, 1
	s_sub_i32 s3, s14, s3
	s_delay_alu instid0(SALU_CYCLE_1)
	s_sub_i32 s26, s3, s4
	s_cmp_ge_u32 s3, s4
	s_cselect_b32 s2, s5, s2
	s_cselect_b32 s3, s26, s3
	s_add_i32 s5, s2, 1
	s_cmp_ge_u32 s3, s4
	s_cselect_b32 s3, s5, s2
	s_delay_alu instid0(SALU_CYCLE_1) | instskip(NEXT) | instid1(SALU_CYCLE_1)
	s_mul_i32 s2, s3, s4
	s_sub_i32 s2, s14, s2
	s_delay_alu instid0(SALU_CYCLE_1) | instskip(SKIP_2) | instid1(VALU_DEP_1)
	s_lshl_b32 s14, s2, 6
	v_cmp_gt_i32_e64 s2, s18, v56
	v_or_b32_e32 v0, s14, v7
	v_cmp_gt_i32_e32 vcc_lo, s16, v0
	v_ashrrev_i32_e32 v1, 31, v0
	s_delay_alu instid0(VALU_DEP_4) | instskip(NEXT) | instid1(SALU_CYCLE_1)
	s_and_b32 s2, s2, vcc_lo
	s_and_b32 s2, s25, s2
	s_delay_alu instid0(SALU_CYCLE_1)
	s_and_saveexec_b32 s4, s2
	s_cbranch_execz .LBB95_11
; %bb.10:
	v_mad_i64_i32 v[2:3], null, s20, v56, 0
	v_lshlrev_b64 v[4:5], 2, v[0:1]
	s_delay_alu instid0(VALU_DEP_2) | instskip(NEXT) | instid1(VALU_DEP_1)
	v_lshlrev_b64 v[2:3], 2, v[2:3]
	v_add_co_u32 v2, s2, s12, v2
	s_delay_alu instid0(VALU_DEP_1) | instskip(NEXT) | instid1(VALU_DEP_2)
	v_add_co_ci_u32_e64 v3, s2, s13, v3, s2
	v_add_co_u32 v2, s2, v2, v4
	s_delay_alu instid0(VALU_DEP_1)
	v_add_co_ci_u32_e64 v3, s2, v3, v5, s2
	flat_load_b32 v2, v[2:3]
	s_waitcnt vmcnt(0) lgkmcnt(0)
	v_mul_f32_e32 v9, s19, v2
.LBB95_11:
	s_or_b32 exec_lo, exec_lo, s4
	s_load_b32 s27, s[0:1], 0x30
	s_add_i32 s28, s18, -1
	s_lshl_b32 s26, s3, 7
	v_min_i32_e32 v2, s28, v56
	v_cmp_le_i32_e64 s4, s18, v56
	s_xor_b32 s29, s25, -1
	s_waitcnt lgkmcnt(0)
	s_delay_alu instid0(VALU_DEP_2) | instskip(SKIP_1) | instid1(VALU_DEP_1)
	v_mad_i64_i32 v[3:4], null, s27, v2, 0
	v_or_b32_e32 v2, s26, v7
	v_cmp_le_i32_e64 s2, s17, v2
	s_delay_alu instid0(VALU_DEP_3) | instskip(NEXT) | instid1(VALU_DEP_2)
	v_lshlrev_b64 v[3:4], 2, v[3:4]
	s_or_b32 s5, s4, s2
	s_delay_alu instid0(VALU_DEP_1) | instskip(NEXT) | instid1(VALU_DEP_1)
	v_add_co_u32 v5, s3, s8, v3
	v_add_co_ci_u32_e64 v6, s3, s9, v4, s3
	v_ashrrev_i32_e32 v3, 31, v2
	s_or_b32 s3, s5, s29
	s_delay_alu instid0(SALU_CYCLE_1) | instskip(NEXT) | instid1(SALU_CYCLE_1)
	s_xor_b32 s3, s3, -1
	s_and_saveexec_b32 s5, s3
	s_cbranch_execz .LBB95_13
; %bb.12:
	v_lshlrev_b64 v[10:11], 2, v[2:3]
	s_delay_alu instid0(VALU_DEP_1) | instskip(NEXT) | instid1(VALU_DEP_1)
	v_add_co_u32 v10, s3, v5, v10
	v_add_co_ci_u32_e64 v11, s3, v6, v11, s3
	flat_load_b32 v4, v[10:11]
	s_waitcnt vmcnt(0) lgkmcnt(0)
	v_mul_f32_e32 v8, s19, v4
.LBB95_13:
	s_or_b32 exec_lo, exec_lo, s5
	v_or_b32_e32 v4, 64, v2
	v_mov_b32_e32 v10, 0
	s_delay_alu instid0(VALU_DEP_2) | instskip(SKIP_1) | instid1(VALU_DEP_2)
	v_cmp_le_i32_e64 s3, s17, v4
	v_mov_b32_e32 v4, 0
	s_or_b32 s4, s4, s3
	s_delay_alu instid0(SALU_CYCLE_1) | instskip(NEXT) | instid1(SALU_CYCLE_1)
	s_or_b32 s4, s4, s29
	s_xor_b32 s4, s4, -1
	s_delay_alu instid0(SALU_CYCLE_1)
	s_and_saveexec_b32 s5, s4
	s_cbranch_execz .LBB95_15
; %bb.14:
	v_lshlrev_b64 v[10:11], 2, v[2:3]
	s_delay_alu instid0(VALU_DEP_1) | instskip(NEXT) | instid1(VALU_DEP_1)
	v_add_co_u32 v5, s4, v5, v10
	v_add_co_ci_u32_e64 v6, s4, v6, v11, s4
	flat_load_b32 v5, v[5:6] offset:256
	s_waitcnt vmcnt(0) lgkmcnt(0)
	v_mul_f32_e32 v10, s19, v5
.LBB95_15:
	s_or_b32 exec_lo, exec_lo, s5
	v_add_nc_u32_e32 v5, 4, v56
	s_delay_alu instid0(VALU_DEP_1) | instskip(NEXT) | instid1(VALU_DEP_1)
	v_cmp_gt_i32_e64 s4, s18, v5
	s_and_b32 s4, vcc_lo, s4
	s_delay_alu instid0(SALU_CYCLE_1) | instskip(NEXT) | instid1(SALU_CYCLE_1)
	s_and_b32 s4, s25, s4
	s_and_saveexec_b32 s5, s4
	s_cbranch_execz .LBB95_17
; %bb.16:
	v_mad_u64_u32 v[11:12], null, s20, v5, 0
	s_delay_alu instid0(VALU_DEP_1) | instskip(NEXT) | instid1(VALU_DEP_1)
	v_mov_b32_e32 v4, v12
	v_mad_u64_u32 v[12:13], null, s21, v5, v[4:5]
	v_lshlrev_b64 v[13:14], 2, v[0:1]
	s_delay_alu instid0(VALU_DEP_2) | instskip(NEXT) | instid1(VALU_DEP_1)
	v_lshlrev_b64 v[11:12], 2, v[11:12]
	v_add_co_u32 v4, s4, s12, v11
	s_delay_alu instid0(VALU_DEP_1) | instskip(NEXT) | instid1(VALU_DEP_2)
	v_add_co_ci_u32_e64 v6, s4, s13, v12, s4
	v_add_co_u32 v11, s4, v4, v13
	s_delay_alu instid0(VALU_DEP_1)
	v_add_co_ci_u32_e64 v12, s4, v6, v14, s4
	flat_load_b32 v4, v[11:12]
	s_waitcnt vmcnt(0) lgkmcnt(0)
	v_mul_f32_e32 v4, s19, v4
.LBB95_17:
	s_or_b32 exec_lo, exec_lo, s5
	v_min_i32_e32 v6, s28, v5
	v_cmp_le_i32_e64 s4, s18, v5
	v_mov_b32_e32 v5, 0
	s_delay_alu instid0(VALU_DEP_3) | instskip(SKIP_1) | instid1(VALU_DEP_4)
	v_mad_i64_i32 v[11:12], null, s27, v6, 0
	v_mov_b32_e32 v6, 0
	s_or_b32 s30, s2, s4
	s_delay_alu instid0(VALU_DEP_2) | instskip(NEXT) | instid1(VALU_DEP_1)
	v_lshlrev_b64 v[11:12], 2, v[11:12]
	v_add_co_u32 v11, s5, s8, v11
	s_delay_alu instid0(VALU_DEP_1) | instskip(SKIP_1) | instid1(SALU_CYCLE_1)
	v_add_co_ci_u32_e64 v12, s5, s9, v12, s5
	s_or_b32 s5, s30, s29
	s_xor_b32 s5, s5, -1
	s_delay_alu instid0(SALU_CYCLE_1)
	s_and_saveexec_b32 s30, s5
	s_cbranch_execz .LBB95_19
; %bb.18:
	v_lshlrev_b64 v[13:14], 2, v[2:3]
	s_delay_alu instid0(VALU_DEP_1) | instskip(NEXT) | instid1(VALU_DEP_1)
	v_add_co_u32 v13, s5, v11, v13
	v_add_co_ci_u32_e64 v14, s5, v12, v14, s5
	flat_load_b32 v6, v[13:14]
	s_waitcnt vmcnt(0) lgkmcnt(0)
	v_mul_f32_e32 v6, s19, v6
.LBB95_19:
	s_or_b32 exec_lo, exec_lo, s30
	s_or_b32 s4, s3, s4
	s_delay_alu instid0(SALU_CYCLE_1) | instskip(NEXT) | instid1(SALU_CYCLE_1)
	s_or_b32 s4, s4, s29
	s_xor_b32 s4, s4, -1
	s_delay_alu instid0(SALU_CYCLE_1)
	s_and_saveexec_b32 s5, s4
	s_cbranch_execz .LBB95_21
; %bb.20:
	v_lshlrev_b64 v[13:14], 2, v[2:3]
	s_delay_alu instid0(VALU_DEP_1) | instskip(NEXT) | instid1(VALU_DEP_1)
	v_add_co_u32 v11, s4, v11, v13
	v_add_co_ci_u32_e64 v12, s4, v12, v14, s4
	flat_load_b32 v5, v[11:12] offset:256
	s_waitcnt vmcnt(0) lgkmcnt(0)
	v_mul_f32_e32 v5, s19, v5
.LBB95_21:
	s_or_b32 exec_lo, exec_lo, s5
	v_lshlrev_b32_e32 v11, 2, v56
	v_lshlrev_b32_e32 v58, 4, v55
	;; [unrolled: 1-line block ×3, first 2 shown]
	s_mov_b32 s30, 0
	s_cmp_lt_i32 s18, 9
	v_lshl_add_u32 v59, v7, 4, v11
	ds_store_b32 v59, v9 offset:4096
	ds_store_2addr_stride64_b32 v59, v8, v10 offset1:4
	s_waitcnt lgkmcnt(0)
	s_barrier
	buffer_gl0_inv
	ds_load_b128 v[7:10], v58
	ds_load_b128 v[11:14], v57 offset:4096
	ds_load_b128 v[15:18], v57 offset:4224
	;; [unrolled: 1-line block ×11, first 2 shown]
	ds_store_b32 v59, v4 offset:5120
	ds_store_2addr_stride64_b32 v59, v6, v5 offset0:8 offset1:12
	s_waitcnt lgkmcnt(0)
	s_barrier
	buffer_gl0_inv
	v_dual_max_f32 v8, v8, v8 :: v_dual_max_f32 v7, v7, v7
	v_dual_max_f32 v12, v12, v12 :: v_dual_max_f32 v19, v19, v19
	;; [unrolled: 1-line block ×4, first 2 shown]
	v_max_f32_e32 v35, v35, v35
	v_dual_max_f32 v11, v11, v11 :: v_dual_max_f32 v16, v16, v16
	v_dual_max_f32 v15, v15, v15 :: v_dual_max_f32 v20, v20, v20
	v_dual_max_f32 v23, v23, v23 :: v_dual_min_f32 v52, v12, v8
	v_dual_min_f32 v65, v19, v7 :: v_dual_max_f32 v28, v28, v28
	v_dual_min_f32 v68, v24, v8 :: v_dual_min_f32 v69, v27, v7
	v_dual_max_f32 v36, v36, v36 :: v_dual_min_f32 v71, v31, v7
	v_dual_max_f32 v40, v40, v40 :: v_dual_max_f32 v39, v39, v39
	v_min_f32_e32 v72, v32, v8
	s_delay_alu instid0(VALU_DEP_3) | instskip(SKIP_4) | instid1(VALU_DEP_4)
	v_dual_min_f32 v74, v36, v8 :: v_dual_min_f32 v73, v35, v7
	v_dual_max_f32 v44, v44, v44 :: v_dual_max_f32 v43, v43, v43
	v_max_f32_e32 v47, v47, v47
	v_dual_min_f32 v51, v11, v7 :: v_dual_min_f32 v64, v16, v8
	v_dual_max_f32 v9, v9, v9 :: v_dual_max_f32 v10, v10, v10
	v_dual_min_f32 v76, v12, v44 :: v_dual_min_f32 v75, v11, v43
	v_dual_max_f32 v14, v14, v14 :: v_dual_max_f32 v13, v13, v13
	;; [unrolled: 2-line block ×6, first 2 shown]
	v_dual_min_f32 v86, v32, v44 :: v_dual_min_f32 v85, v31, v43
	v_dual_max_f32 v34, v34, v34 :: v_dual_min_f32 v87, v35, v43
	v_dual_min_f32 v88, v36, v44 :: v_dual_min_f32 v43, v39, v43
	v_max_f32_e32 v48, v48, v48
	v_dual_min_f32 v44, v40, v44 :: v_dual_min_f32 v91, v19, v47
	v_dual_max_f32 v60, v60, v60 :: v_dual_min_f32 v53, v15, v7
	v_dual_min_f32 v66, v20, v8 :: v_dual_min_f32 v67, v23, v7
	v_dual_min_f32 v70, v28, v8 :: v_dual_min_f32 v7, v39, v7
	v_dual_min_f32 v8, v40, v8 :: v_dual_min_f32 v89, v11, v47
	v_dual_max_f32 v46, v46, v46 :: v_dual_max_f32 v41, v41, v41
	v_min_f32_e32 v90, v15, v47
	v_dual_min_f32 v93, v23, v47 :: v_dual_max_f32 v100, v62, v62
	v_dual_max_f32 v49, v49, v49 :: v_dual_min_f32 v126, v27, v47
	v_dual_max_f32 v61, v61, v61 :: v_dual_min_f32 v128, v35, v47
	v_dual_min_f32 v127, v31, v47 :: v_dual_min_f32 v94, v16, v48
	v_dual_min_f32 v47, v39, v47 :: v_dual_min_f32 v130, v28, v48
	v_min_f32_e32 v11, v11, v60
	s_delay_alu instid0(VALU_DEP_4)
	v_dual_min_f32 v15, v15, v60 :: v_dual_min_f32 v16, v16, v61
	v_min_f32_e32 v19, v19, v60
	v_min_f32_e32 v23, v23, v60
	v_dual_min_f32 v27, v27, v60 :: v_dual_min_f32 v28, v28, v61
	v_min_f32_e32 v31, v31, v60
	v_dual_min_f32 v35, v35, v60 :: v_dual_min_f32 v62, v13, v9
	v_min_f32_e32 v39, v39, v60
	v_dual_min_f32 v132, v36, v48 :: v_dual_add_f32 v51, 0, v51
	v_add_f32_e32 v52, 0, v52
	v_dual_min_f32 v60, v14, v10 :: v_dual_max_f32 v117, v63, v63
	v_min_f32_e32 v92, v12, v48
	s_delay_alu instid0(VALU_DEP_4)
	v_dual_min_f32 v95, v20, v48 :: v_dual_add_f32 v124, v51, v62
	v_min_f32_e32 v129, v24, v48
	v_min_f32_e32 v131, v32, v48
	v_dual_min_f32 v48, v40, v48 :: v_dual_add_f32 v53, 0, v53
	v_min_f32_e32 v12, v12, v61
	v_min_f32_e32 v20, v20, v61
	v_min_f32_e32 v24, v24, v61
	v_min_f32_e32 v32, v32, v61
	v_dual_min_f32 v36, v36, v61 :: v_dual_add_f32 v51, 0, v64
	v_dual_min_f32 v40, v40, v61 :: v_dual_add_f32 v61, 0, v66
	v_dual_add_f32 v125, v52, v60 :: v_dual_min_f32 v62, v22, v10
	v_dual_min_f32 v52, v18, v10 :: v_dual_max_f32 v33, v33, v33
	v_max_f32_e32 v38, v38, v38
	v_min_f32_e32 v60, v17, v9
	v_dual_add_f32 v63, 0, v65 :: v_dual_min_f32 v66, v26, v10
	v_dual_min_f32 v64, v21, v9 :: v_dual_add_f32 v65, 0, v68
	v_dual_add_f32 v122, v51, v52 :: v_dual_add_f32 v51, 0, v67
	v_min_f32_e32 v52, v25, v9
	v_dual_max_f32 v37, v37, v37 :: v_dual_max_f32 v42, v42, v42
	v_dual_add_f32 v123, v53, v60 :: v_dual_min_f32 v60, v30, v10
	v_dual_add_f32 v120, v61, v62 :: v_dual_add_f32 v121, v63, v64
	v_dual_add_f32 v118, v65, v66 :: v_dual_add_f32 v61, 0, v69
	v_dual_add_f32 v53, 0, v70 :: v_dual_min_f32 v62, v29, v9
	v_add_f32_e32 v65, 0, v71
	v_dual_add_f32 v63, 0, v72 :: v_dual_min_f32 v64, v34, v10
	v_dual_add_f32 v119, v51, v52 :: v_dual_min_f32 v66, v33, v9
	v_dual_max_f32 v45, v45, v45 :: v_dual_max_f32 v50, v50, v50
	v_dual_add_f32 v60, v53, v60 :: v_dual_add_f32 v51, 0, v74
	v_dual_add_f32 v61, v61, v62 :: v_dual_add_f32 v8, 0, v8
	s_delay_alu instid0(VALU_DEP_4) | instskip(SKIP_4) | instid1(VALU_DEP_4)
	v_dual_add_f32 v63, v63, v64 :: v_dual_add_f32 v62, v65, v66
	v_dual_add_f32 v53, 0, v73 :: v_dual_min_f32 v52, v38, v10
	v_dual_min_f32 v65, v37, v9 :: v_dual_min_f32 v10, v42, v10
	v_add_f32_e32 v7, 0, v7
	v_dual_min_f32 v9, v41, v9 :: v_dual_add_f32 v66, 0, v76
	v_dual_min_f32 v67, v14, v46 :: v_dual_add_f32 v64, v51, v52
	s_delay_alu instid0(VALU_DEP_4) | instskip(NEXT) | instid1(VALU_DEP_3)
	v_add_f32_e32 v65, v53, v65
	v_dual_add_f32 v115, v8, v10 :: v_dual_add_f32 v116, v7, v9
	s_delay_alu instid0(VALU_DEP_3) | instskip(SKIP_4) | instid1(VALU_DEP_4)
	v_dual_add_f32 v113, v66, v67 :: v_dual_min_f32 v8, v13, v45
	v_dual_add_f32 v7, 0, v75 :: v_dual_min_f32 v52, v17, v45
	;; [unrolled: 1-line block ×3, first 2 shown]
	v_dual_min_f32 v10, v18, v46 :: v_dual_add_f32 v51, 0, v77
	v_dual_min_f32 v66, v22, v46 :: v_dual_add_f32 v53, 0, v80
	v_dual_add_f32 v67, 0, v79 :: v_dual_add_f32 v114, v7, v8
	s_delay_alu instid0(VALU_DEP_3) | instskip(SKIP_1) | instid1(VALU_DEP_3)
	v_dual_add_f32 v111, v9, v10 :: v_dual_add_f32 v112, v51, v52
	v_dual_add_f32 v7, 0, v82 :: v_dual_min_f32 v10, v25, v45
	v_dual_add_f32 v109, v67, v68 :: v_dual_min_f32 v8, v26, v46
	v_dual_add_f32 v110, v53, v66 :: v_dual_add_f32 v9, 0, v81
	v_dual_min_f32 v52, v30, v46 :: v_dual_add_f32 v51, 0, v84
	v_dual_min_f32 v66, v29, v45 :: v_dual_add_f32 v53, 0, v83
	v_min_f32_e32 v68, v34, v46
	v_add_f32_e32 v67, 0, v86
	v_dual_add_f32 v107, v7, v8 :: v_dual_add_f32 v108, v9, v10
	s_delay_alu instid0(VALU_DEP_4) | instskip(SKIP_1) | instid1(VALU_DEP_4)
	v_dual_add_f32 v105, v51, v52 :: v_dual_add_f32 v106, v53, v66
	v_dual_add_f32 v7, 0, v85 :: v_dual_add_f32 v44, 0, v44
	v_dual_min_f32 v8, v33, v45 :: v_dual_add_f32 v103, v67, v68
	v_dual_min_f32 v10, v38, v46 :: v_dual_add_f32 v9, 0, v88
	;; [unrolled: 1-line block ×4, first 2 shown]
	s_delay_alu instid0(VALU_DEP_4) | instskip(NEXT) | instid1(VALU_DEP_3)
	v_dual_add_f32 v104, v7, v8 :: v_dual_min_f32 v45, v41, v45
	v_dual_add_f32 v102, v51, v52 :: v_dual_add_f32 v101, v9, v10
	s_delay_alu instid0(VALU_DEP_3) | instskip(NEXT) | instid1(VALU_DEP_3)
	v_dual_add_f32 v99, v44, v46 :: v_dual_min_f32 v10, v13, v49
	v_dual_add_f32 v98, v43, v45 :: v_dual_add_f32 v7, 0, v92
	v_dual_min_f32 v8, v14, v50 :: v_dual_add_f32 v9, 0, v89
	v_min_f32_e32 v44, v18, v50
	v_dual_add_f32 v43, 0, v94 :: v_dual_min_f32 v46, v17, v49
	v_add_f32_e32 v45, 0, v90
	v_dual_add_f32 v51, 0, v95 :: v_dual_min_f32 v52, v22, v50
	v_dual_add_f32 v97, v7, v8 :: v_dual_add_f32 v96, v9, v10
	s_delay_alu instid0(VALU_DEP_3) | instskip(NEXT) | instid1(VALU_DEP_3)
	v_dual_add_f32 v94, v43, v44 :: v_dual_add_f32 v95, v45, v46
	v_dual_add_f32 v92, v51, v52 :: v_dual_add_f32 v7, 0, v91
	v_min_f32_e32 v8, v21, v49
	v_dual_add_f32 v9, 0, v129 :: v_dual_min_f32 v10, v26, v50
	v_dual_add_f32 v43, 0, v93 :: v_dual_min_f32 v46, v30, v50
	v_dual_min_f32 v44, v25, v49 :: v_dual_add_f32 v45, 0, v130
	v_dual_add_f32 v51, 0, v126 :: v_dual_min_f32 v52, v29, v49
	s_delay_alu instid0(VALU_DEP_4) | instskip(NEXT) | instid1(VALU_DEP_3)
	v_dual_add_f32 v93, v7, v8 :: v_dual_add_f32 v90, v9, v10
	v_dual_add_f32 v91, v43, v44 :: v_dual_min_f32 v8, v34, v50
	s_delay_alu instid0(VALU_DEP_3)
	v_dual_add_f32 v89, v45, v46 :: v_dual_add_f32 v88, v51, v52
	v_dual_add_f32 v7, 0, v131 :: v_dual_min_f32 v10, v33, v49
	v_dual_add_f32 v9, 0, v127 :: v_dual_min_f32 v44, v38, v50
	;; [unrolled: 1-line block ×4, first 2 shown]
	v_add_f32_e32 v48, 0, v48
	s_delay_alu instid0(VALU_DEP_4) | instskip(NEXT) | instid1(VALU_DEP_4)
	v_dual_add_f32 v87, v7, v8 :: v_dual_add_f32 v86, v9, v10
	v_dual_add_f32 v84, v43, v44 :: v_dual_add_f32 v7, 0, v47
	s_delay_alu instid0(VALU_DEP_4) | instskip(NEXT) | instid1(VALU_DEP_4)
	v_add_f32_e32 v85, v45, v46
	v_dual_add_f32 v82, v48, v50 :: v_dual_add_f32 v9, 0, v12
	v_dual_add_f32 v12, 0, v19 :: v_dual_add_f32 v19, 0, v24
	v_dual_add_f32 v24, 0, v31 :: v_dual_min_f32 v31, v41, v49
	v_dual_add_f32 v8, 0, v11 :: v_dual_add_f32 v11, 0, v16
	v_dual_add_f32 v16, 0, v23 :: v_dual_add_f32 v23, 0, v28
	v_add_f32_e32 v28, 0, v35
	s_delay_alu instid0(VALU_DEP_4)
	v_dual_min_f32 v14, v14, v117 :: v_dual_add_f32 v83, v7, v31
	v_dual_min_f32 v7, v13, v100 :: v_dual_add_f32 v10, 0, v15
	v_dual_add_f32 v15, 0, v20 :: v_dual_add_f32 v20, 0, v27
	v_add_f32_e32 v27, 0, v32
	v_dual_add_f32 v32, 0, v36 :: v_dual_add_f32 v35, 0, v39
	v_add_f32_e32 v36, 0, v40
	v_dual_add_f32 v80, v9, v14 :: v_dual_add_f32 v81, v8, v7
	v_min_f32_e32 v9, v18, v117
	v_dual_min_f32 v13, v17, v100 :: v_dual_min_f32 v14, v22, v117
	v_dual_min_f32 v7, v21, v100 :: v_dual_min_f32 v8, v26, v117
	s_delay_alu instid0(VALU_DEP_3) | instskip(NEXT) | instid1(VALU_DEP_3)
	v_add_f32_e32 v79, v11, v9
	v_add_f32_e32 v78, v10, v13
	v_min_f32_e32 v10, v29, v100
	s_delay_alu instid0(VALU_DEP_4) | instskip(SKIP_4) | instid1(VALU_DEP_4)
	v_dual_add_f32 v76, v15, v14 :: v_dual_add_f32 v77, v12, v7
	v_min_f32_e32 v7, v25, v100
	v_dual_min_f32 v9, v30, v117 :: v_dual_add_f32 v74, v19, v8
	v_min_f32_e32 v8, v34, v117
	v_add_f32_e32 v72, v20, v10
	v_add_f32_e32 v75, v16, v7
	s_delay_alu instid0(VALU_DEP_4) | instskip(SKIP_4) | instid1(VALU_DEP_4)
	v_add_f32_e32 v73, v23, v9
	v_min_f32_e32 v7, v33, v100
	v_add_f32_e32 v70, v27, v8
	v_dual_min_f32 v8, v38, v117 :: v_dual_min_f32 v9, v37, v100
	v_dual_min_f32 v10, v42, v117 :: v_dual_min_f32 v11, v41, v100
	v_add_f32_e32 v71, v24, v7
	s_delay_alu instid0(VALU_DEP_3) | instskip(NEXT) | instid1(VALU_DEP_3)
	v_add_f32_e32 v68, v28, v9
	v_dual_add_f32 v69, v32, v8 :: v_dual_add_f32 v66, v35, v11
	s_delay_alu instid0(VALU_DEP_4)
	v_add_f32_e32 v67, v36, v10
	s_cbranch_scc1 .LBB95_36
; %bb.22:
	v_add_nc_u32_e32 v6, 12, v56
	v_add_nc_u32_e32 v8, 8, v56
	v_lshlrev_b64 v[0:1], 2, v[0:1]
	v_lshlrev_b64 v[52:53], 2, v[2:3]
	v_or_b32_e32 v100, 0x1000, v59
	v_mad_i64_i32 v[4:5], null, v6, s20, 0
	v_mad_i64_i32 v[6:7], null, v8, s20, 0
	v_add_co_u32 v128, s4, s12, v0
	v_add_nc_u32_e32 v117, 0x1000, v57
	v_add_nc_u32_e32 v126, 0x1400, v59
	v_lshlrev_b64 v[48:49], 2, v[4:5]
	v_or_b32_e32 v127, 0x800, v59
	v_lshlrev_b64 v[50:51], 2, v[6:7]
	v_add_co_ci_u32_e64 v129, s4, s13, v1, s4
	v_lshl_add_u32 v130, v54, 4, 0x1400
	v_lshl_add_u32 v131, v55, 4, 0x800
	s_add_i32 s31, s18, -8
	s_lshl_b64 s[12:13], s[20:21], 5
	s_branch .LBB95_24
.LBB95_23:                              ;   in Loop: Header=BB95_24 Depth=1
	s_or_b32 exec_lo, exec_lo, s5
	v_dual_add_f32 v36, v124, v36 :: v_dual_add_f32 v41, v123, v41
	v_dual_add_f32 v40, v125, v40 :: v_dual_add_f32 v33, v119, v33
	;; [unrolled: 1-line block ×25, first 2 shown]
	ds_load_b128 v[20:23], v58
	ds_load_b128 v[28:31], v117
	v_dual_add_f32 v113, v12, v187 :: v_dual_add_f32 v114, v9, v178
	v_dual_add_f32 v80, v80, v215 :: v_dual_add_f32 v77, v77, v10
	;; [unrolled: 1-line block ×3, first 2 shown]
	ds_load_b128 v[8:11], v117 offset:128
	v_dual_add_f32 v32, v120, v32 :: v_dual_add_f32 v37, v118, v37
	v_dual_add_f32 v102, v102, v145 :: v_dual_add_f32 v97, v97, v148
	;; [unrolled: 1-line block ×5, first 2 shown]
	v_add_f32_e32 v70, v70, v172
	v_add_f32_e32 v46, v67, v46
	;; [unrolled: 1-line block ×3, first 2 shown]
	v_dual_add_f32 v105, v37, v39 :: v_dual_add_f32 v108, v16, v18
	v_dual_add_f32 v115, v17, v188 :: v_dual_add_f32 v60, v60, v181
	;; [unrolled: 1-line block ×7, first 2 shown]
	s_waitcnt lgkmcnt(2)
	v_dual_add_f32 v76, v76, v19 :: v_dual_max_f32 v21, v21, v21
	v_dual_add_f32 v74, v74, v26 :: v_dual_add_f32 v73, v73, v27
	v_dual_add_f32 v72, v72, v2 :: v_dual_add_f32 v71, v71, v3
	;; [unrolled: 1-line block ×4, first 2 shown]
	ds_load_b128 v[0:3], v117 offset:256
	ds_load_b128 v[4:7], v117 offset:384
	;; [unrolled: 1-line block ×5, first 2 shown]
	s_waitcnt lgkmcnt(6)
	v_dual_max_f32 v20, v20, v20 :: v_dual_max_f32 v29, v29, v29
	s_waitcnt lgkmcnt(5)
	v_dual_max_f32 v28, v28, v28 :: v_dual_max_f32 v9, v9, v9
	v_dual_add_f32 v98, v99, v146 :: v_dual_add_f32 v93, v93, v151
	v_dual_add_f32 v99, v32, v35 :: v_dual_add_f32 v124, v46, v177
	s_delay_alu instid0(VALU_DEP_3)
	v_min_f32_e32 v135, v28, v20
	ds_load_b128 v[32:35], v117 offset:768
	ds_load_b128 v[36:39], v117 offset:896
	v_max_f32_e32 v8, v8, v8
	v_dual_add_f32 v118, v45, v189 :: v_dual_add_f32 v63, v63, v191
	v_dual_add_f32 v67, v67, v135 :: v_dual_min_f32 v136, v29, v21
	s_delay_alu instid0(VALU_DEP_3) | instskip(SKIP_2) | instid1(VALU_DEP_3)
	v_min_f32_e32 v137, v8, v20
	s_waitcnt lgkmcnt(6)
	v_dual_max_f32 v0, v0, v0 :: v_dual_max_f32 v1, v1, v1
	v_dual_min_f32 v135, v9, v21 :: v_dual_add_f32 v66, v66, v136
	s_waitcnt lgkmcnt(5)
	v_dual_max_f32 v4, v4, v4 :: v_dual_max_f32 v5, v5, v5
	s_delay_alu instid0(VALU_DEP_3) | instskip(NEXT) | instid1(VALU_DEP_3)
	v_min_f32_e32 v136, v0, v20
	v_dual_add_f32 v84, v84, v137 :: v_dual_add_f32 v83, v83, v135
	v_min_f32_e32 v135, v1, v21
	s_delay_alu instid0(VALU_DEP_4) | instskip(NEXT) | instid1(VALU_DEP_4)
	v_min_f32_e32 v137, v4, v20
	v_add_f32_e32 v101, v101, v136
	s_waitcnt lgkmcnt(4)
	v_max_f32_e32 v12, v12, v12
	v_dual_min_f32 v136, v5, v21 :: v_dual_add_f32 v99, v99, v135
	s_waitcnt lgkmcnt(3)
	v_dual_max_f32 v13, v13, v13 :: v_dual_max_f32 v16, v16, v16
	s_waitcnt lgkmcnt(1)
	v_dual_max_f32 v17, v17, v17 :: v_dual_max_f32 v32, v32, v32
	v_dual_add_f32 v106, v106, v137 :: v_dual_min_f32 v135, v12, v20
	v_add_f32_e32 v105, v105, v136
	v_min_f32_e32 v136, v13, v21
	s_waitcnt lgkmcnt(0)
	v_dual_min_f32 v137, v17, v21 :: v_dual_max_f32 v36, v36, v36
	v_dual_max_f32 v25, v25, v25 :: v_dual_add_f32 v108, v108, v135
	s_delay_alu instid0(VALU_DEP_3) | instskip(NEXT) | instid1(VALU_DEP_3)
	v_add_f32_e32 v107, v107, v136
	v_dual_min_f32 v136, v32, v20 :: v_dual_add_f32 v109, v109, v137
	v_min_f32_e32 v135, v16, v20
	v_dual_min_f32 v20, v36, v20 :: v_dual_max_f32 v37, v37, v37
	s_delay_alu instid0(VALU_DEP_3) | instskip(SKIP_1) | instid1(VALU_DEP_4)
	v_add_f32_e32 v112, v112, v136
	v_min_f32_e32 v136, v29, v25
	v_dual_max_f32 v33, v33, v33 :: v_dual_add_f32 v110, v110, v135
	v_max_f32_e32 v24, v24, v24
	v_add_f32_e32 v20, v114, v20
	ds_load_b128 v[40:43], v58 offset:1024
	ds_load_b128 v[44:47], v58 offset:1536
	v_min_f32_e32 v135, v33, v21
	v_dual_min_f32 v21, v37, v21 :: v_dual_min_f32 v114, v8, v24
	v_dual_add_f32 v104, v104, v143 :: v_dual_add_f32 v103, v103, v144
	s_delay_alu instid0(VALU_DEP_3) | instskip(SKIP_1) | instid1(VALU_DEP_4)
	v_add_f32_e32 v111, v111, v135
	v_min_f32_e32 v135, v28, v24
	v_add_f32_e32 v21, v113, v21
	v_add_f32_e32 v113, v115, v136
	;; [unrolled: 1-line block ×3, first 2 shown]
	v_dual_min_f32 v114, v0, v24 :: v_dual_add_f32 v61, v61, v190
	v_add_f32_e32 v64, v64, v183
	v_dual_add_f32 v62, v62, v182 :: v_dual_add_f32 v65, v65, v192
	s_delay_alu instid0(VALU_DEP_3) | instskip(SKIP_3) | instid1(VALU_DEP_3)
	v_add_f32_e32 v138, v60, v114
	v_dual_min_f32 v60, v12, v24 :: v_dual_add_f32 v103, v103, v193
	v_add_f32_e32 v104, v104, v184
	v_dual_add_f32 v96, v96, v147 :: v_dual_add_f32 v95, v95, v149
	v_add_f32_e32 v142, v64, v60
	v_min_f32_e32 v60, v32, v24
	v_dual_add_f32 v135, v116, v135 :: v_dual_min_f32 v116, v1, v25
	s_waitcnt lgkmcnt(1)
	v_max_f32_e32 v40, v40, v40
	v_dual_add_f32 v96, v96, v195 :: v_dual_add_f32 v93, v93, v197
	v_add_f32_e32 v102, v102, v60
	v_add_f32_e32 v139, v61, v116
	v_min_f32_e32 v61, v13, v25
	v_dual_max_f32 v41, v41, v41 :: v_dual_min_f32 v60, v28, v40
	v_dual_min_f32 v119, v4, v24 :: v_dual_add_f32 v94, v94, v150
	v_add_f32_e32 v91, v91, v153
	s_delay_alu instid0(VALU_DEP_4) | instskip(NEXT) | instid1(VALU_DEP_4)
	v_add_f32_e32 v143, v65, v61
	v_dual_min_f32 v61, v33, v25 :: v_dual_add_f32 v96, v96, v60
	v_min_f32_e32 v60, v9, v41
	v_dual_min_f32 v115, v9, v25 :: v_dual_add_f32 v140, v62, v119
	v_min_f32_e32 v62, v16, v24
	v_dual_add_f32 v92, v92, v152 :: v_dual_add_f32 v87, v87, v158
	s_delay_alu instid0(VALU_DEP_3)
	v_add_f32_e32 v137, v118, v115
	v_dual_add_f32 v90, v90, v154 :: v_dual_add_f32 v89, v89, v156
	v_dual_add_f32 v98, v98, v203 :: v_dual_add_f32 v95, v95, v196
	v_dual_min_f32 v115, v5, v25 :: v_dual_add_f32 v104, v104, v62
	v_min_f32_e32 v62, v8, v40
	v_dual_add_f32 v94, v94, v205 :: v_dual_add_f32 v91, v91, v198
	v_dual_add_f32 v92, v92, v206 :: v_dual_add_f32 v89, v89, v208
	s_delay_alu instid0(VALU_DEP_4)
	v_add_f32_e32 v141, v63, v115
	v_dual_min_f32 v63, v17, v25 :: v_dual_min_f32 v24, v36, v24
	v_dual_add_f32 v144, v120, v61 :: v_dual_add_f32 v95, v95, v62
	v_min_f32_e32 v62, v1, v41
	v_dual_min_f32 v61, v29, v41 :: v_dual_add_f32 v90, v90, v207
	v_add_f32_e32 v87, v87, v209
	v_add_f32_e32 v103, v103, v63
	v_dual_min_f32 v25, v37, v25 :: v_dual_add_f32 v94, v94, v60
	v_dual_min_f32 v63, v4, v40 :: v_dual_min_f32 v60, v5, v41
	v_dual_add_f32 v92, v92, v62 :: v_dual_add_f32 v97, v97, v61
	v_min_f32_e32 v61, v0, v40
	v_dual_add_f32 v88, v88, v199 :: v_dual_add_f32 v85, v85, v201
	s_delay_alu instid0(VALU_DEP_4) | instskip(SKIP_1) | instid1(VALU_DEP_4)
	v_add_f32_e32 v90, v90, v60
	v_min_f32_e32 v60, v13, v41
	v_add_f32_e32 v93, v93, v61
	v_dual_add_f32 v91, v91, v63 :: v_dual_min_f32 v62, v16, v40
	v_min_f32_e32 v61, v12, v40
	s_waitcnt lgkmcnt(0)
	v_dual_min_f32 v63, v17, v41 :: v_dual_max_f32 v44, v44, v44
	s_delay_alu instid0(VALU_DEP_3) | instskip(NEXT) | instid1(VALU_DEP_3)
	v_dual_max_f32 v45, v45, v45 :: v_dual_add_f32 v86, v86, v62
	v_dual_add_f32 v88, v88, v61 :: v_dual_add_f32 v89, v89, v60
	v_dual_min_f32 v61, v32, v40 :: v_dual_min_f32 v60, v33, v41
	s_delay_alu instid0(VALU_DEP_4)
	v_dual_min_f32 v40, v36, v40 :: v_dual_add_f32 v87, v87, v63
	v_dual_add_f32 v82, v82, v214 :: v_dual_add_f32 v79, v79, v216
	v_dual_min_f32 v28, v28, v44 :: v_dual_min_f32 v9, v9, v45
	v_dual_min_f32 v0, v0, v44 :: v_dual_min_f32 v13, v13, v45
	;; [unrolled: 1-line block ×4, first 2 shown]
	v_dual_max_f32 v23, v23, v23 :: v_dual_max_f32 v30, v30, v30
	v_dual_max_f32 v31, v31, v31 :: v_dual_max_f32 v10, v10, v10
	v_add_f32_e32 v145, v122, v60
	v_dual_min_f32 v41, v37, v41 :: v_dual_min_f32 v8, v8, v44
	v_dual_add_f32 v9, v79, v9 :: v_dual_min_f32 v4, v4, v44
	v_dual_min_f32 v1, v1, v45 :: v_dual_min_f32 v12, v12, v44
	v_dual_add_f32 v13, v73, v13 :: v_dual_min_f32 v36, v36, v44
	v_dual_add_f32 v32, v68, v32 :: v_dual_add_f32 v33, v69, v33
	v_max_f32_e32 v22, v22, v22
	v_dual_min_f32 v44, v31, v23 :: v_dual_add_f32 v17, v70, v17
	s_delay_alu instid0(VALU_DEP_4) | instskip(SKIP_1) | instid1(VALU_DEP_3)
	v_dual_add_f32 v36, v125, v36 :: v_dual_max_f32 v11, v11, v11
	v_dual_min_f32 v29, v29, v45 :: v_dual_add_f32 v8, v78, v8
	v_add_f32_e32 v125, v66, v44
	v_dual_min_f32 v44, v10, v22 :: v_dual_min_f32 v37, v37, v45
	s_delay_alu instid0(VALU_DEP_4) | instskip(SKIP_1) | instid1(VALU_DEP_3)
	v_dual_min_f32 v60, v11, v23 :: v_dual_min_f32 v5, v5, v45
	v_dual_add_f32 v4, v75, v4 :: v_dual_min_f32 v45, v30, v22
	v_dual_add_f32 v37, v124, v37 :: v_dual_max_f32 v2, v2, v2
	v_dual_max_f32 v3, v3, v3 :: v_dual_max_f32 v6, v6, v6
	v_max_f32_e32 v7, v7, v7
	v_dual_add_f32 v85, v85, v61 :: v_dual_add_f32 v40, v123, v40
	v_add_f32_e32 v122, v83, v60
	v_dual_add_f32 v124, v67, v45 :: v_dual_add_f32 v123, v84, v44
	v_min_f32_e32 v44, v2, v22
	v_min_f32_e32 v60, v7, v23
	;; [unrolled: 1-line block ×3, first 2 shown]
	v_dual_max_f32 v15, v15, v15 :: v_dual_max_f32 v14, v14, v14
	v_dual_add_f32 v24, v121, v24 :: v_dual_add_f32 v25, v98, v25
	s_delay_alu instid0(VALU_DEP_4) | instskip(NEXT) | instid1(VALU_DEP_4)
	v_add_f32_e32 v118, v105, v60
	v_dual_add_f32 v120, v99, v45 :: v_dual_min_f32 v45, v6, v22
	s_delay_alu instid0(VALU_DEP_4) | instskip(SKIP_1) | instid1(VALU_DEP_3)
	v_dual_add_f32 v121, v101, v44 :: v_dual_min_f32 v44, v15, v23
	v_dual_max_f32 v19, v19, v19 :: v_dual_max_f32 v18, v18, v18
	v_add_f32_e32 v119, v106, v45
	v_min_f32_e32 v45, v14, v22
	v_max_f32_e32 v35, v35, v35
	v_dual_max_f32 v39, v39, v39 :: v_dual_max_f32 v38, v38, v38
	v_add_f32_e32 v60, v107, v44
	v_min_f32_e32 v44, v19, v23
	v_min_f32_e32 v62, v18, v22
	v_dual_max_f32 v34, v34, v34 :: v_dual_add_f32 v61, v108, v45
	v_min_f32_e32 v45, v35, v23
	v_dual_max_f32 v27, v27, v27 :: v_dual_max_f32 v26, v26, v26
	v_min_f32_e32 v23, v39, v23
	s_delay_alu instid0(VALU_DEP_4) | instskip(SKIP_1) | instid1(VALU_DEP_3)
	v_dual_add_f32 v63, v109, v44 :: v_dual_min_f32 v44, v34, v22
	v_min_f32_e32 v22, v38, v22
	v_dual_add_f32 v62, v110, v62 :: v_dual_add_f32 v115, v21, v23
	v_min_f32_e32 v21, v11, v27
	s_delay_alu instid0(VALU_DEP_4) | instskip(NEXT) | instid1(VALU_DEP_4)
	v_dual_add_f32 v64, v111, v45 :: v_dual_add_f32 v65, v112, v44
	v_add_f32_e32 v116, v20, v22
	s_delay_alu instid0(VALU_DEP_3) | instskip(SKIP_1) | instid1(VALU_DEP_2)
	v_dual_min_f32 v20, v10, v26 :: v_dual_add_f32 v111, v137, v21
	v_dual_min_f32 v22, v2, v26 :: v_dual_min_f32 v21, v3, v27
	v_dual_min_f32 v23, v7, v27 :: v_dual_add_f32 v112, v136, v20
	v_min_f32_e32 v20, v6, v26
	s_delay_alu instid0(VALU_DEP_3) | instskip(SKIP_1) | instid1(VALU_DEP_3)
	v_dual_add_f32 v109, v138, v22 :: v_dual_add_f32 v110, v139, v21
	v_min_f32_e32 v21, v15, v27
	v_dual_add_f32 v107, v141, v23 :: v_dual_add_f32 v108, v140, v20
	v_min_f32_e32 v20, v14, v26
	v_dual_min_f32 v22, v19, v27 :: v_dual_min_f32 v23, v18, v26
	s_delay_alu instid0(VALU_DEP_4) | instskip(NEXT) | instid1(VALU_DEP_3)
	v_add_f32_e32 v105, v143, v21
	v_dual_min_f32 v21, v35, v27 :: v_dual_add_f32 v106, v142, v20
	v_min_f32_e32 v20, v34, v26
	s_delay_alu instid0(VALU_DEP_4) | instskip(NEXT) | instid1(VALU_DEP_3)
	v_dual_add_f32 v103, v103, v22 :: v_dual_add_f32 v104, v104, v23
	v_dual_add_f32 v101, v144, v21 :: v_dual_max_f32 v22, v42, v42
	v_max_f32_e32 v21, v43, v43
	s_delay_alu instid0(VALU_DEP_4) | instskip(SKIP_2) | instid1(VALU_DEP_4)
	v_dual_min_f32 v23, v39, v27 :: v_dual_add_f32 v102, v102, v20
	v_dual_min_f32 v44, v31, v27 :: v_dual_min_f32 v45, v30, v26
	v_min_f32_e32 v26, v38, v26
	v_dual_min_f32 v20, v31, v21 :: v_dual_min_f32 v27, v30, v22
	s_delay_alu instid0(VALU_DEP_4) | instskip(NEXT) | instid1(VALU_DEP_3)
	v_add_f32_e32 v99, v25, v23
	v_dual_min_f32 v23, v11, v21 :: v_dual_add_f32 v98, v24, v26
	s_delay_alu instid0(VALU_DEP_3) | instskip(NEXT) | instid1(VALU_DEP_4)
	v_dual_add_f32 v97, v97, v20 :: v_dual_min_f32 v20, v10, v22
	v_add_f32_e32 v96, v96, v27
	v_min_f32_e32 v24, v3, v21
	s_delay_alu instid0(VALU_DEP_4) | instskip(SKIP_2) | instid1(VALU_DEP_4)
	v_dual_add_f32 v94, v94, v23 :: v_dual_min_f32 v25, v7, v21
	v_min_f32_e32 v23, v2, v22
	v_dual_add_f32 v95, v95, v20 :: v_dual_min_f32 v20, v6, v22
	v_add_f32_e32 v92, v92, v24
	s_delay_alu instid0(VALU_DEP_3) | instskip(SKIP_1) | instid1(VALU_DEP_4)
	v_dual_add_f32 v90, v90, v25 :: v_dual_add_f32 v93, v93, v23
	v_dual_min_f32 v23, v15, v21 :: v_dual_min_f32 v24, v14, v22
	v_add_f32_e32 v91, v91, v20
	v_dual_min_f32 v20, v19, v21 :: v_dual_min_f32 v25, v18, v22
	s_delay_alu instid0(VALU_DEP_3) | instskip(SKIP_1) | instid1(VALU_DEP_3)
	v_dual_add_f32 v89, v89, v23 :: v_dual_add_f32 v88, v88, v24
	v_min_f32_e32 v23, v35, v21
	v_dual_add_f32 v87, v87, v20 :: v_dual_add_f32 v86, v86, v25
	v_min_f32_e32 v20, v34, v22
	v_max_f32_e32 v24, v47, v47
	s_delay_alu instid0(VALU_DEP_4) | instskip(SKIP_3) | instid1(VALU_DEP_3)
	v_dual_add_f32 v84, v145, v23 :: v_dual_min_f32 v21, v39, v21
	v_max_f32_e32 v23, v46, v46
	v_dual_add_f32 v41, v82, v41 :: v_dual_add_f32 v28, v81, v28
	v_dual_add_f32 v1, v76, v1 :: v_dual_add_f32 v16, v71, v16
	v_dual_add_f32 v85, v85, v20 :: v_dual_min_f32 v20, v30, v23
	v_dual_min_f32 v10, v10, v23 :: v_dual_min_f32 v3, v3, v24
	v_dual_add_f32 v29, v80, v29 :: v_dual_add_f32 v0, v77, v0
	v_dual_add_f32 v5, v74, v5 :: v_dual_add_f32 v12, v72, v12
	s_delay_alu instid0(VALU_DEP_4) | instskip(NEXT) | instid1(VALU_DEP_4)
	v_dual_add_f32 v81, v28, v20 :: v_dual_min_f32 v2, v2, v23
	v_dual_add_f32 v76, v1, v3 :: v_dual_min_f32 v1, v7, v24
	v_dual_min_f32 v22, v38, v22 :: v_dual_min_f32 v25, v31, v24
	s_delay_alu instid0(VALU_DEP_3) | instskip(SKIP_1) | instid1(VALU_DEP_4)
	v_dual_add_f32 v77, v0, v2 :: v_dual_min_f32 v0, v6, v23
	v_dual_min_f32 v2, v15, v24 :: v_dual_min_f32 v3, v14, v23
	v_dual_add_f32 v74, v5, v1 :: v_dual_min_f32 v1, v19, v24
	s_delay_alu instid0(VALU_DEP_4) | instskip(NEXT) | instid1(VALU_DEP_4)
	v_dual_add_f32 v80, v29, v25 :: v_dual_min_f32 v11, v11, v24
	v_dual_add_f32 v75, v4, v0 :: v_dual_min_f32 v0, v18, v23
	s_delay_alu instid0(VALU_DEP_4) | instskip(NEXT) | instid1(VALU_DEP_4)
	v_dual_add_f32 v73, v13, v2 :: v_dual_add_f32 v72, v12, v3
	v_dual_add_f32 v70, v17, v1 :: v_dual_min_f32 v1, v35, v24
	v_dual_min_f32 v2, v34, v23 :: v_dual_min_f32 v3, v39, v24
	s_delay_alu instid0(VALU_DEP_4)
	v_dual_min_f32 v4, v38, v23 :: v_dual_add_f32 v71, v16, v0
	v_add_co_u32 v128, s4, v128, s12
	v_dual_add_f32 v113, v113, v44 :: v_dual_add_f32 v114, v135, v45
	v_dual_add_f32 v82, v41, v21 :: v_dual_add_f32 v83, v40, v22
	;; [unrolled: 1-line block ×5, first 2 shown]
	v_add_co_ci_u32_e64 v129, s4, s13, v129, s4
	s_add_i32 s30, s30, 8
	ds_store_b32 v126, v132
	ds_store_2addr_stride64_b32 v127, v134, v133 offset1:4
	s_cmp_ge_i32 s30, s31
	s_waitcnt lgkmcnt(0)
	s_barrier
	buffer_gl0_inv
	s_cbranch_scc1 .LBB95_36
.LBB95_24:                              ; =>This Inner Loop Header: Depth=1
	v_dual_mov_b32 v134, 0 :: v_dual_add_nc_u32 v133, s30, v56
	s_delay_alu instid0(VALU_DEP_1) | instskip(NEXT) | instid1(VALU_DEP_1)
	v_dual_mov_b32 v135, 0 :: v_dual_add_nc_u32 v0, 8, v133
	v_cmp_gt_i32_e64 s4, s18, v0
	s_delay_alu instid0(VALU_DEP_1) | instskip(NEXT) | instid1(SALU_CYCLE_1)
	s_and_b32 s4, vcc_lo, s4
	s_and_b32 s4, s25, s4
	s_delay_alu instid0(SALU_CYCLE_1)
	s_and_saveexec_b32 s5, s4
	s_cbranch_execz .LBB95_26
; %bb.25:                               ;   in Loop: Header=BB95_24 Depth=1
	v_add_co_u32 v1, s4, v128, v50
	s_delay_alu instid0(VALU_DEP_1)
	v_add_co_ci_u32_e64 v2, s4, v129, v51, s4
	flat_load_b32 v1, v[1:2]
	s_waitcnt vmcnt(0) lgkmcnt(0)
	v_mul_f32_e32 v135, s19, v1
.LBB95_26:                              ;   in Loop: Header=BB95_24 Depth=1
	s_or_b32 exec_lo, exec_lo, s5
	v_min_i32_e32 v3, s28, v0
	v_cmp_le_i32_e64 s4, s18, v0
	s_delay_alu instid0(VALU_DEP_2) | instskip(NEXT) | instid1(VALU_DEP_2)
	v_mad_i64_i32 v[1:2], null, v3, s27, 0
	s_or_b32 s20, s2, s4
	s_delay_alu instid0(VALU_DEP_1) | instskip(NEXT) | instid1(VALU_DEP_1)
	v_lshlrev_b64 v[0:1], 2, v[1:2]
	v_add_co_u32 v0, s5, s8, v0
	s_delay_alu instid0(VALU_DEP_1) | instskip(SKIP_1) | instid1(SALU_CYCLE_1)
	v_add_co_ci_u32_e64 v1, s5, s9, v1, s5
	s_or_b32 s5, s20, s29
	s_xor_b32 s5, s5, -1
	s_delay_alu instid0(SALU_CYCLE_1)
	s_and_saveexec_b32 s20, s5
	s_cbranch_execz .LBB95_28
; %bb.27:                               ;   in Loop: Header=BB95_24 Depth=1
	v_add_co_u32 v2, s5, v0, v52
	s_delay_alu instid0(VALU_DEP_1)
	v_add_co_ci_u32_e64 v3, s5, v1, v53, s5
	flat_load_b32 v2, v[2:3]
	s_waitcnt vmcnt(0) lgkmcnt(0)
	v_mul_f32_e32 v134, s19, v2
.LBB95_28:                              ;   in Loop: Header=BB95_24 Depth=1
	s_or_b32 exec_lo, exec_lo, s20
	s_or_b32 s4, s3, s4
	v_mov_b32_e32 v132, 0
	v_mov_b32_e32 v136, 0
	s_or_b32 s4, s4, s29
	s_delay_alu instid0(SALU_CYCLE_1) | instskip(NEXT) | instid1(SALU_CYCLE_1)
	s_xor_b32 s4, s4, -1
	s_and_saveexec_b32 s5, s4
	s_cbranch_execz .LBB95_30
; %bb.29:                               ;   in Loop: Header=BB95_24 Depth=1
	v_add_co_u32 v0, s4, v0, v52
	s_delay_alu instid0(VALU_DEP_1)
	v_add_co_ci_u32_e64 v1, s4, v1, v53, s4
	flat_load_b32 v0, v[0:1] offset:256
	s_waitcnt vmcnt(0) lgkmcnt(0)
	v_mul_f32_e32 v136, s19, v0
.LBB95_30:                              ;   in Loop: Header=BB95_24 Depth=1
	s_or_b32 exec_lo, exec_lo, s5
	ds_load_b128 v[40:43], v130
	ds_load_b128 v[36:39], v130 offset:128
	ds_load_b128 v[32:35], v130 offset:256
	;; [unrolled: 1-line block ×7, first 2 shown]
	ds_load_b128 v[44:47], v131
	ds_load_b128 v[8:11], v131 offset:512
	ds_load_b128 v[4:7], v131 offset:1024
	;; [unrolled: 1-line block ×3, first 2 shown]
	v_add_nc_u32_e32 v133, 12, v133
	ds_store_b32 v100, v135
	ds_store_2addr_stride64_b32 v59, v134, v136 offset1:4
	s_waitcnt lgkmcnt(0)
	s_barrier
	buffer_gl0_inv
	v_cmp_gt_i32_e64 s4, s18, v133
	s_delay_alu instid0(VALU_DEP_1) | instskip(NEXT) | instid1(SALU_CYCLE_1)
	s_and_b32 s4, vcc_lo, s4
	s_and_b32 s4, s25, s4
	s_delay_alu instid0(SALU_CYCLE_1)
	s_and_saveexec_b32 s5, s4
	s_cbranch_execz .LBB95_32
; %bb.31:                               ;   in Loop: Header=BB95_24 Depth=1
	v_add_co_u32 v134, s4, v128, v48
	s_delay_alu instid0(VALU_DEP_1)
	v_add_co_ci_u32_e64 v135, s4, v129, v49, s4
	flat_load_b32 v132, v[134:135]
	s_waitcnt vmcnt(0) lgkmcnt(0)
	v_mul_f32_e32 v132, s19, v132
.LBB95_32:                              ;   in Loop: Header=BB95_24 Depth=1
	s_or_b32 exec_lo, exec_lo, s5
	v_min_i32_e32 v136, s28, v133
	v_cmp_le_i32_e64 s4, s18, v133
	v_mov_b32_e32 v133, 0
	s_delay_alu instid0(VALU_DEP_3) | instskip(NEXT) | instid1(VALU_DEP_3)
	v_mad_i64_i32 v[134:135], null, v136, s27, 0
	s_or_b32 s20, s2, s4
	s_delay_alu instid0(VALU_DEP_1) | instskip(SKIP_1) | instid1(VALU_DEP_2)
	v_lshlrev_b64 v[135:136], 2, v[134:135]
	v_mov_b32_e32 v134, 0
	v_add_co_u32 v135, s5, s8, v135
	s_delay_alu instid0(VALU_DEP_1) | instskip(SKIP_1) | instid1(SALU_CYCLE_1)
	v_add_co_ci_u32_e64 v136, s5, s9, v136, s5
	s_or_b32 s5, s20, s29
	s_xor_b32 s5, s5, -1
	s_delay_alu instid0(SALU_CYCLE_1)
	s_and_saveexec_b32 s20, s5
	s_cbranch_execz .LBB95_34
; %bb.33:                               ;   in Loop: Header=BB95_24 Depth=1
	v_add_co_u32 v137, s5, v135, v52
	s_delay_alu instid0(VALU_DEP_1)
	v_add_co_ci_u32_e64 v138, s5, v136, v53, s5
	flat_load_b32 v134, v[137:138]
	s_waitcnt vmcnt(0) lgkmcnt(0)
	v_mul_f32_e32 v134, s19, v134
.LBB95_34:                              ;   in Loop: Header=BB95_24 Depth=1
	s_or_b32 exec_lo, exec_lo, s20
	v_dual_max_f32 v44, v44, v44 :: v_dual_max_f32 v45, v45, v45
	v_dual_max_f32 v161, v40, v40 :: v_dual_max_f32 v162, v41, v41
	v_max_f32_e32 v163, v36, v36
	v_dual_max_f32 v169, v24, v24 :: v_dual_max_f32 v170, v25, v25
	v_max_f32_e32 v173, v16, v16
	v_dual_max_f32 v146, v8, v8 :: v_dual_max_f32 v147, v9, v9
	s_delay_alu instid0(VALU_DEP_4)
	v_dual_min_f32 v40, v162, v45 :: v_dual_min_f32 v41, v163, v44
	v_dual_max_f32 v164, v37, v37 :: v_dual_max_f32 v165, v32, v32
	v_dual_max_f32 v166, v33, v33 :: v_dual_max_f32 v167, v28, v28
	;; [unrolled: 1-line block ×3, first 2 shown]
	v_max_f32_e32 v172, v21, v21
	v_min_f32_e32 v20, v170, v45
	v_dual_max_f32 v174, v17, v17 :: v_dual_max_f32 v175, v12, v12
	v_max_f32_e32 v176, v13, v13
	v_dual_min_f32 v145, v173, v146 :: v_dual_max_f32 v160, v4, v4
	s_delay_alu instid0(VALU_DEP_3)
	v_dual_max_f32 v177, v5, v5 :: v_dual_min_f32 v4, v174, v147
	v_dual_min_f32 v36, v161, v44 :: v_dual_min_f32 v37, v168, v45
	v_dual_min_f32 v28, v164, v45 :: v_dual_min_f32 v29, v165, v44
	v_dual_min_f32 v32, v166, v45 :: v_dual_min_f32 v33, v167, v44
	v_dual_min_f32 v16, v169, v44 :: v_dual_min_f32 v17, v162, v147
	v_dual_min_f32 v21, v171, v44 :: v_dual_min_f32 v24, v172, v45
	v_dual_min_f32 v25, v173, v44 :: v_dual_min_f32 v8, v174, v45
	v_dual_min_f32 v9, v175, v44 :: v_dual_min_f32 v12, v176, v45
	v_min_f32_e32 v13, v161, v146
	v_dual_min_f32 v44, v163, v146 :: v_dual_min_f32 v45, v164, v147
	v_dual_min_f32 v137, v165, v146 :: v_dual_min_f32 v138, v166, v147
	;; [unrolled: 1-line block ×12, first 2 shown]
	v_min_f32_e32 v159, v173, v160
	v_dual_max_f32 v178, v0, v0 :: v_dual_max_f32 v179, v1, v1
	v_dual_min_f32 v0, v174, v177 :: v_dual_min_f32 v1, v175, v160
	v_dual_min_f32 v160, v176, v177 :: v_dual_max_f32 v177, v46, v46
	v_dual_max_f32 v180, v47, v47 :: v_dual_max_f32 v211, v42, v42
	v_max_f32_e32 v212, v43, v43
	v_dual_max_f32 v216, v38, v38 :: v_dual_max_f32 v217, v39, v39
	v_dual_max_f32 v218, v34, v34 :: v_dual_max_f32 v219, v35, v35
	s_delay_alu instid0(VALU_DEP_3) | instskip(NEXT) | instid1(VALU_DEP_3)
	v_min_f32_e32 v47, v212, v180
	v_min_f32_e32 v42, v216, v177
	v_dual_max_f32 v220, v30, v30 :: v_dual_max_f32 v221, v31, v31
	v_dual_max_f32 v222, v26, v26 :: v_dual_max_f32 v27, v27, v27
	;; [unrolled: 1-line block ×4, first 2 shown]
	v_max_f32_e32 v227, v14, v14
	v_dual_max_f32 v10, v10, v10 :: v_dual_max_f32 v11, v11, v11
	v_dual_max_f32 v6, v6, v6 :: v_dual_max_f32 v7, v7, v7
	v_dual_min_f32 v161, v161, v178 :: v_dual_min_f32 v162, v162, v179
	v_dual_min_f32 v163, v163, v178 :: v_dual_min_f32 v164, v164, v179
	;; [unrolled: 1-line block ×12, first 2 shown]
	v_min_f32_e32 v22, v223, v177
	v_dual_min_f32 v176, v224, v180 :: v_dual_min_f32 v23, v225, v177
	v_dual_max_f32 v228, v15, v15 :: v_dual_min_f32 v181, v218, v10
	v_min_f32_e32 v178, v227, v177
	v_dual_min_f32 v208, v27, v7 :: v_dual_max_f32 v177, v2, v2
	v_max_f32_e32 v229, v3, v3
	s_or_b32 s4, s3, s4
	v_dual_min_f32 v186, v226, v180 :: v_dual_min_f32 v179, v211, v10
	v_min_f32_e32 v187, v228, v180
	v_dual_min_f32 v188, v212, v11 :: v_dual_min_f32 v183, v222, v10
	v_dual_min_f32 v180, v216, v10 :: v_dual_min_f32 v189, v217, v11
	;; [unrolled: 1-line block ×15, first 2 shown]
	v_min_f32_e32 v215, v212, v229
	v_min_f32_e32 v212, v216, v177
	;; [unrolled: 1-line block ×15, first 2 shown]
	s_or_b32 s4, s4, s29
	s_delay_alu instid0(SALU_CYCLE_1) | instskip(NEXT) | instid1(SALU_CYCLE_1)
	s_xor_b32 s4, s4, -1
	s_and_saveexec_b32 s5, s4
	s_cbranch_execz .LBB95_23
; %bb.35:                               ;   in Loop: Header=BB95_24 Depth=1
	v_add_co_u32 v135, s4, v135, v52
	s_delay_alu instid0(VALU_DEP_1)
	v_add_co_ci_u32_e64 v136, s4, v136, v53, s4
	flat_load_b32 v133, v[135:136] offset:256
	s_waitcnt vmcnt(0) lgkmcnt(0)
	v_mul_f32_e32 v133, s19, v133
	s_branch .LBB95_23
.LBB95_36:
	s_clause 0x2
	s_load_b64 s[2:3], s[0:1], 0x70
	s_load_b32 s12, s[0:1], 0x50
	s_load_b32 s9, s[0:1], 0x68
	ds_load_b128 v[32:35], v57 offset:5120
	ds_load_b128 v[28:31], v57 offset:5248
	;; [unrolled: 1-line block ×12, first 2 shown]
	v_add_nc_u32_e32 v117, s26, v55
	v_add_nc_u32_e32 v48, s14, v54
	v_cndmask_b32_e64 v100, 0, 1, s23
	s_delay_alu instid0(VALU_DEP_3)
	v_cmp_gt_i32_e64 s8, s17, v117
	s_waitcnt lgkmcnt(0)
	s_mul_i32 s0, s15, s3
	v_mad_i64_i32 v[49:50], null, v117, s12, 0
	v_mad_i64_i32 v[51:52], null, v117, s9, 0
	s_mul_hi_u32 s1, s15, s2
	s_mul_i32 s3, s24, s2
	s_add_i32 s1, s1, s0
	s_mul_i32 s0, s15, s2
	s_delay_alu instid0(VALU_DEP_2) | instskip(SKIP_1) | instid1(VALU_DEP_2)
	v_lshlrev_b64 v[49:50], 2, v[49:50]
	s_add_i32 s1, s1, s3
	v_lshlrev_b64 v[51:52], 2, v[51:52]
	s_lshl_b64 s[0:1], s[0:1], 2
	s_delay_alu instid0(SALU_CYCLE_1) | instskip(NEXT) | instid1(VALU_DEP_2)
	s_add_u32 s13, s6, s0
	v_add_co_u32 v128, vcc_lo, s10, v49
	v_add_co_ci_u32_e32 v129, vcc_lo, s11, v50, vcc_lo
	s_addc_u32 s14, s7, s1
	v_add_co_u32 v126, vcc_lo, s13, v51
	v_cmp_gt_i32_e64 s0, s16, v48
	v_add_co_ci_u32_e32 v127, vcc_lo, s14, v52, vcc_lo
	v_ashrrev_i32_e32 v49, 31, v48
	s_delay_alu instid0(VALU_DEP_3) | instskip(NEXT) | instid1(SALU_CYCLE_1)
	s_and_b32 s2, s0, s8
	s_and_saveexec_b32 s1, s2
	s_cbranch_execz .LBB95_41
; %bb.37:
	s_delay_alu instid0(VALU_DEP_1)
	v_lshlrev_b64 v[50:51], 2, v[48:49]
	s_and_not1_b32 vcc_lo, exec_lo, s23
	s_cbranch_vccnz .LBB95_39
; %bb.38:
	s_delay_alu instid0(VALU_DEP_1) | instskip(NEXT) | instid1(VALU_DEP_2)
	v_add_co_u32 v52, vcc_lo, v128, v50
	v_add_co_ci_u32_e32 v53, vcc_lo, v129, v51, vcc_lo
	flat_load_b32 v52, v[52:53]
	s_waitcnt vmcnt(0) lgkmcnt(0)
	v_mul_f32_e32 v52, s22, v52
	s_branch .LBB95_40
.LBB95_39:
	v_mov_b32_e32 v52, 0
.LBB95_40:
	v_dual_max_f32 v53, v45, v45 :: v_dual_max_f32 v56, v32, v32
	v_dual_max_f32 v54, v33, v33 :: v_dual_max_f32 v55, v44, v44
	v_dual_max_f32 v57, v46, v46 :: v_dual_max_f32 v58, v47, v47
	v_max_f32_e32 v59, v35, v35
	s_delay_alu instid0(VALU_DEP_3) | instskip(NEXT) | instid1(VALU_DEP_4)
	v_min_f32_e32 v53, v54, v53
	v_dual_max_f32 v54, v34, v34 :: v_dual_min_f32 v55, v56, v55
	v_add_co_u32 v50, vcc_lo, v126, v50
	v_add_co_ci_u32_e32 v51, vcc_lo, v127, v51, vcc_lo
	s_delay_alu instid0(VALU_DEP_3) | instskip(NEXT) | instid1(VALU_DEP_4)
	v_min_f32_e32 v54, v54, v57
	v_dual_min_f32 v56, v59, v58 :: v_dual_add_f32 v55, v124, v55
	s_delay_alu instid0(VALU_DEP_1) | instskip(NEXT) | instid1(VALU_DEP_1)
	v_dual_add_f32 v53, v125, v53 :: v_dual_add_f32 v54, v55, v54
	v_add_f32_e32 v53, v53, v56
	s_delay_alu instid0(VALU_DEP_1) | instskip(NEXT) | instid1(VALU_DEP_1)
	v_add_f32_e32 v53, v54, v53
	v_add_f32_e32 v52, v53, v52
	global_store_b32 v[50:51], v52, off
.LBB95_41:
	s_or_b32 exec_lo, exec_lo, s1
	v_add_nc_u32_e32 v50, 8, v48
	s_delay_alu instid0(VALU_DEP_1) | instskip(SKIP_1) | instid1(VALU_DEP_2)
	v_cmp_gt_i32_e64 s1, s16, v50
	v_ashrrev_i32_e32 v51, 31, v50
	s_and_b32 s3, s1, s8
	s_delay_alu instid0(SALU_CYCLE_1)
	s_and_saveexec_b32 s2, s3
	s_cbranch_execz .LBB95_46
; %bb.42:
	v_cmp_ne_u32_e32 vcc_lo, 1, v100
	v_lshlrev_b64 v[52:53], 2, v[50:51]
	s_cbranch_vccnz .LBB95_44
; %bb.43:
	s_delay_alu instid0(VALU_DEP_1) | instskip(NEXT) | instid1(VALU_DEP_2)
	v_add_co_u32 v54, vcc_lo, v128, v52
	v_add_co_ci_u32_e32 v55, vcc_lo, v129, v53, vcc_lo
	flat_load_b32 v54, v[54:55]
	s_waitcnt vmcnt(0) lgkmcnt(0)
	v_mul_f32_e32 v54, s22, v54
	s_branch .LBB95_45
.LBB95_44:
	v_mov_b32_e32 v54, 0
.LBB95_45:
	v_dual_max_f32 v55, v45, v45 :: v_dual_max_f32 v58, v28, v28
	v_dual_max_f32 v56, v29, v29 :: v_dual_max_f32 v57, v44, v44
	;; [unrolled: 1-line block ×3, first 2 shown]
	v_add_co_u32 v52, vcc_lo, v126, v52
	s_delay_alu instid0(VALU_DEP_3) | instskip(NEXT) | instid1(VALU_DEP_4)
	v_dual_min_f32 v55, v56, v55 :: v_dual_max_f32 v56, v30, v30
	v_min_f32_e32 v57, v58, v57
	v_add_co_ci_u32_e32 v53, vcc_lo, v127, v53, vcc_lo
	s_delay_alu instid0(VALU_DEP_2) | instskip(NEXT) | instid1(VALU_DEP_1)
	v_dual_min_f32 v56, v56, v59 :: v_dual_add_f32 v57, v123, v57
	v_dual_max_f32 v125, v31, v31 :: v_dual_add_f32 v56, v57, v56
	s_delay_alu instid0(VALU_DEP_1) | instskip(NEXT) | instid1(VALU_DEP_1)
	v_dual_add_f32 v55, v122, v55 :: v_dual_min_f32 v58, v125, v124
	v_add_f32_e32 v55, v55, v58
	s_delay_alu instid0(VALU_DEP_1) | instskip(NEXT) | instid1(VALU_DEP_1)
	v_add_f32_e32 v55, v56, v55
	v_add_f32_e32 v54, v55, v54
	global_store_b32 v[52:53], v54, off
.LBB95_46:
	s_or_b32 exec_lo, exec_lo, s2
	v_add_nc_u32_e32 v52, 16, v48
	s_delay_alu instid0(VALU_DEP_1) | instskip(SKIP_1) | instid1(VALU_DEP_2)
	v_cmp_gt_i32_e64 s2, s16, v52
	v_ashrrev_i32_e32 v53, 31, v52
	s_and_b32 s4, s2, s8
	s_delay_alu instid0(SALU_CYCLE_1)
	s_and_saveexec_b32 s3, s4
	s_cbranch_execz .LBB95_51
; %bb.47:
	v_cmp_ne_u32_e32 vcc_lo, 1, v100
	v_lshlrev_b64 v[54:55], 2, v[52:53]
	s_cbranch_vccnz .LBB95_49
; %bb.48:
	s_delay_alu instid0(VALU_DEP_1) | instskip(NEXT) | instid1(VALU_DEP_2)
	v_add_co_u32 v56, vcc_lo, v128, v54
	v_add_co_ci_u32_e32 v57, vcc_lo, v129, v55, vcc_lo
	flat_load_b32 v56, v[56:57]
	s_waitcnt vmcnt(0) lgkmcnt(0)
	v_mul_f32_e32 v56, s22, v56
	s_branch .LBB95_50
.LBB95_49:
	v_mov_b32_e32 v56, 0
.LBB95_50:
	v_dual_max_f32 v57, v45, v45 :: v_dual_max_f32 v122, v24, v24
	v_dual_max_f32 v58, v25, v25 :: v_dual_max_f32 v59, v44, v44
	;; [unrolled: 1-line block ×3, first 2 shown]
	v_max_f32_e32 v125, v27, v27
	s_delay_alu instid0(VALU_DEP_3) | instskip(SKIP_3) | instid1(VALU_DEP_4)
	v_min_f32_e32 v57, v58, v57
	v_max_f32_e32 v58, v26, v26
	v_min_f32_e32 v59, v122, v59
	v_add_co_u32 v54, vcc_lo, v126, v54
	v_dual_add_f32 v57, v120, v57 :: v_dual_min_f32 v120, v125, v124
	s_delay_alu instid0(VALU_DEP_4) | instskip(NEXT) | instid1(VALU_DEP_4)
	v_min_f32_e32 v58, v58, v123
	v_add_f32_e32 v59, v121, v59
	v_add_co_ci_u32_e32 v55, vcc_lo, v127, v55, vcc_lo
	s_delay_alu instid0(VALU_DEP_2) | instskip(NEXT) | instid1(VALU_DEP_1)
	v_dual_add_f32 v57, v57, v120 :: v_dual_add_f32 v58, v59, v58
	v_add_f32_e32 v57, v58, v57
	s_delay_alu instid0(VALU_DEP_1)
	v_add_f32_e32 v56, v57, v56
	global_store_b32 v[54:55], v56, off
.LBB95_51:
	s_or_b32 exec_lo, exec_lo, s3
	v_add_nc_u32_e32 v54, 24, v48
	s_delay_alu instid0(VALU_DEP_1) | instskip(SKIP_1) | instid1(VALU_DEP_2)
	v_cmp_gt_i32_e64 s3, s16, v54
	v_ashrrev_i32_e32 v55, 31, v54
	s_and_b32 s5, s3, s8
	s_delay_alu instid0(SALU_CYCLE_1)
	s_and_saveexec_b32 s4, s5
	s_cbranch_execz .LBB95_56
; %bb.52:
	v_cmp_ne_u32_e32 vcc_lo, 1, v100
	v_lshlrev_b64 v[56:57], 2, v[54:55]
	s_cbranch_vccnz .LBB95_54
; %bb.53:
	s_delay_alu instid0(VALU_DEP_1) | instskip(NEXT) | instid1(VALU_DEP_2)
	v_add_co_u32 v58, vcc_lo, v128, v56
	v_add_co_ci_u32_e32 v59, vcc_lo, v129, v57, vcc_lo
	flat_load_b32 v58, v[58:59]
	s_waitcnt vmcnt(0) lgkmcnt(0)
	v_mul_f32_e32 v58, s22, v58
	s_branch .LBB95_55
.LBB95_54:
	v_mov_b32_e32 v58, 0
.LBB95_55:
	v_dual_max_f32 v59, v45, v45 :: v_dual_max_f32 v122, v20, v20
	v_dual_max_f32 v120, v21, v21 :: v_dual_max_f32 v121, v44, v44
	;; [unrolled: 1-line block ×3, first 2 shown]
	v_max_f32_e32 v125, v23, v23
	s_delay_alu instid0(VALU_DEP_3) | instskip(NEXT) | instid1(VALU_DEP_4)
	v_dual_min_f32 v59, v120, v59 :: v_dual_max_f32 v120, v22, v22
	v_min_f32_e32 v121, v122, v121
	v_add_co_u32 v56, vcc_lo, v126, v56
	s_delay_alu instid0(VALU_DEP_3) | instskip(NEXT) | instid1(VALU_DEP_4)
	v_add_f32_e32 v59, v118, v59
	v_min_f32_e32 v118, v120, v123
	s_delay_alu instid0(VALU_DEP_4) | instskip(SKIP_1) | instid1(VALU_DEP_2)
	v_dual_min_f32 v120, v125, v124 :: v_dual_add_f32 v119, v119, v121
	v_add_co_ci_u32_e32 v57, vcc_lo, v127, v57, vcc_lo
	v_add_f32_e32 v59, v59, v120
	s_delay_alu instid0(VALU_DEP_3) | instskip(NEXT) | instid1(VALU_DEP_1)
	v_add_f32_e32 v118, v119, v118
	v_add_f32_e32 v59, v118, v59
	s_delay_alu instid0(VALU_DEP_1)
	v_add_f32_e32 v58, v59, v58
	global_store_b32 v[56:57], v58, off
.LBB95_56:
	s_or_b32 exec_lo, exec_lo, s4
	v_add_nc_u32_e32 v56, 32, v48
	s_delay_alu instid0(VALU_DEP_1) | instskip(SKIP_1) | instid1(VALU_DEP_2)
	v_cmp_gt_i32_e64 s4, s16, v56
	v_ashrrev_i32_e32 v57, 31, v56
	s_and_b32 s6, s4, s8
	s_delay_alu instid0(SALU_CYCLE_1)
	s_and_saveexec_b32 s5, s6
	s_cbranch_execz .LBB95_61
; %bb.57:
	v_cmp_ne_u32_e32 vcc_lo, 1, v100
	v_lshlrev_b64 v[58:59], 2, v[56:57]
	s_cbranch_vccnz .LBB95_59
; %bb.58:
	s_delay_alu instid0(VALU_DEP_1) | instskip(NEXT) | instid1(VALU_DEP_2)
	v_add_co_u32 v118, vcc_lo, v128, v58
	v_add_co_ci_u32_e32 v119, vcc_lo, v129, v59, vcc_lo
	flat_load_b32 v118, v[118:119]
	s_waitcnt vmcnt(0) lgkmcnt(0)
	v_mul_f32_e32 v118, s22, v118
	s_branch .LBB95_60
.LBB95_59:
	v_mov_b32_e32 v118, 0
.LBB95_60:
	v_dual_max_f32 v119, v45, v45 :: v_dual_max_f32 v122, v16, v16
	v_dual_max_f32 v120, v17, v17 :: v_dual_max_f32 v121, v44, v44
	;; [unrolled: 1-line block ×3, first 2 shown]
	v_add_co_u32 v58, vcc_lo, v126, v58
	s_delay_alu instid0(VALU_DEP_3) | instskip(NEXT) | instid1(VALU_DEP_4)
	v_dual_min_f32 v119, v120, v119 :: v_dual_max_f32 v120, v18, v18
	v_min_f32_e32 v121, v122, v121
	v_add_co_ci_u32_e32 v59, vcc_lo, v127, v59, vcc_lo
	s_delay_alu instid0(VALU_DEP_3) | instskip(SKIP_3) | instid1(VALU_DEP_3)
	v_add_f32_e32 v60, v60, v119
	v_max_f32_e32 v125, v19, v19
	v_min_f32_e32 v119, v120, v123
	v_add_f32_e32 v61, v61, v121
	v_min_f32_e32 v120, v125, v124
	s_delay_alu instid0(VALU_DEP_1) | instskip(NEXT) | instid1(VALU_DEP_1)
	v_dual_add_f32 v61, v61, v119 :: v_dual_add_f32 v60, v60, v120
	v_add_f32_e32 v60, v61, v60
	s_delay_alu instid0(VALU_DEP_1)
	v_add_f32_e32 v60, v60, v118
	global_store_b32 v[58:59], v60, off
.LBB95_61:
	s_or_b32 exec_lo, exec_lo, s5
	v_add_nc_u32_e32 v58, 40, v48
	s_delay_alu instid0(VALU_DEP_1) | instskip(SKIP_1) | instid1(VALU_DEP_2)
	v_cmp_gt_i32_e64 s5, s16, v58
	v_ashrrev_i32_e32 v59, 31, v58
	s_and_b32 s7, s5, s8
	s_delay_alu instid0(SALU_CYCLE_1)
	s_and_saveexec_b32 s6, s7
	s_cbranch_execz .LBB95_66
; %bb.62:
	v_cmp_ne_u32_e32 vcc_lo, 1, v100
	v_lshlrev_b64 v[60:61], 2, v[58:59]
	s_cbranch_vccnz .LBB95_64
; %bb.63:
	s_delay_alu instid0(VALU_DEP_1) | instskip(NEXT) | instid1(VALU_DEP_2)
	v_add_co_u32 v118, vcc_lo, v128, v60
	v_add_co_ci_u32_e32 v119, vcc_lo, v129, v61, vcc_lo
	flat_load_b32 v118, v[118:119]
	s_waitcnt vmcnt(0) lgkmcnt(0)
	v_mul_f32_e32 v118, s22, v118
	s_branch .LBB95_65
.LBB95_64:
	v_mov_b32_e32 v118, 0
.LBB95_65:
	v_dual_max_f32 v119, v45, v45 :: v_dual_max_f32 v122, v12, v12
	v_dual_max_f32 v120, v13, v13 :: v_dual_max_f32 v121, v44, v44
	;; [unrolled: 1-line block ×3, first 2 shown]
	v_add_co_u32 v60, vcc_lo, v126, v60
	s_delay_alu instid0(VALU_DEP_3) | instskip(NEXT) | instid1(VALU_DEP_4)
	v_dual_min_f32 v119, v120, v119 :: v_dual_max_f32 v120, v14, v14
	v_min_f32_e32 v121, v122, v121
	v_max_f32_e32 v125, v15, v15
	v_add_co_ci_u32_e32 v61, vcc_lo, v127, v61, vcc_lo
	s_delay_alu instid0(VALU_DEP_4) | instskip(NEXT) | instid1(VALU_DEP_4)
	v_add_f32_e32 v63, v63, v119
	v_dual_min_f32 v119, v120, v123 :: v_dual_add_f32 v62, v62, v121
	s_delay_alu instid0(VALU_DEP_4) | instskip(NEXT) | instid1(VALU_DEP_1)
	v_min_f32_e32 v120, v125, v124
	v_dual_add_f32 v62, v62, v119 :: v_dual_add_f32 v63, v63, v120
	s_delay_alu instid0(VALU_DEP_1) | instskip(NEXT) | instid1(VALU_DEP_1)
	v_add_f32_e32 v62, v62, v63
	v_add_f32_e32 v62, v62, v118
	global_store_b32 v[60:61], v62, off
.LBB95_66:
	s_or_b32 exec_lo, exec_lo, s6
	v_add_nc_u32_e32 v60, 48, v48
	s_delay_alu instid0(VALU_DEP_1) | instskip(SKIP_1) | instid1(VALU_DEP_2)
	v_cmp_gt_i32_e64 s6, s16, v60
	v_ashrrev_i32_e32 v61, 31, v60
	s_and_b32 s15, s6, s8
	s_delay_alu instid0(SALU_CYCLE_1)
	s_and_saveexec_b32 s7, s15
	s_cbranch_execz .LBB95_71
; %bb.67:
	v_cmp_ne_u32_e32 vcc_lo, 1, v100
	v_lshlrev_b64 v[62:63], 2, v[60:61]
	s_cbranch_vccnz .LBB95_69
; %bb.68:
	s_delay_alu instid0(VALU_DEP_1) | instskip(NEXT) | instid1(VALU_DEP_2)
	v_add_co_u32 v118, vcc_lo, v128, v62
	v_add_co_ci_u32_e32 v119, vcc_lo, v129, v63, vcc_lo
	flat_load_b32 v118, v[118:119]
	s_waitcnt vmcnt(0) lgkmcnt(0)
	v_mul_f32_e32 v118, s22, v118
	s_branch .LBB95_70
.LBB95_69:
	v_mov_b32_e32 v118, 0
.LBB95_70:
	v_dual_max_f32 v119, v45, v45 :: v_dual_max_f32 v122, v8, v8
	v_dual_max_f32 v120, v9, v9 :: v_dual_max_f32 v121, v44, v44
	;; [unrolled: 1-line block ×3, first 2 shown]
	v_add_co_u32 v62, vcc_lo, v126, v62
	s_delay_alu instid0(VALU_DEP_3) | instskip(NEXT) | instid1(VALU_DEP_4)
	v_dual_min_f32 v119, v120, v119 :: v_dual_max_f32 v120, v10, v10
	v_min_f32_e32 v121, v122, v121
	v_add_co_ci_u32_e32 v63, vcc_lo, v127, v63, vcc_lo
	s_delay_alu instid0(VALU_DEP_3) | instskip(SKIP_3) | instid1(VALU_DEP_3)
	v_add_f32_e32 v64, v64, v119
	v_max_f32_e32 v125, v11, v11
	v_min_f32_e32 v119, v120, v123
	v_add_f32_e32 v65, v65, v121
	v_min_f32_e32 v120, v125, v124
	s_delay_alu instid0(VALU_DEP_1) | instskip(NEXT) | instid1(VALU_DEP_1)
	v_dual_add_f32 v65, v65, v119 :: v_dual_add_f32 v64, v64, v120
	v_add_f32_e32 v64, v65, v64
	s_delay_alu instid0(VALU_DEP_1)
	v_add_f32_e32 v64, v64, v118
	global_store_b32 v[62:63], v64, off
.LBB95_71:
	s_or_b32 exec_lo, exec_lo, s7
	v_add_nc_u32_e32 v62, 56, v48
	s_delay_alu instid0(VALU_DEP_1) | instskip(SKIP_1) | instid1(VALU_DEP_2)
	v_cmp_gt_i32_e64 s7, s16, v62
	v_ashrrev_i32_e32 v63, 31, v62
	s_and_b32 s15, s7, s8
	s_delay_alu instid0(SALU_CYCLE_1)
	s_and_saveexec_b32 s8, s15
	s_cbranch_execz .LBB95_76
; %bb.72:
	v_cmp_ne_u32_e32 vcc_lo, 1, v100
	v_lshlrev_b64 v[64:65], 2, v[62:63]
	s_cbranch_vccnz .LBB95_74
; %bb.73:
	s_delay_alu instid0(VALU_DEP_1) | instskip(NEXT) | instid1(VALU_DEP_2)
	v_add_co_u32 v118, vcc_lo, v128, v64
	v_add_co_ci_u32_e32 v119, vcc_lo, v129, v65, vcc_lo
	flat_load_b32 v118, v[118:119]
	s_waitcnt vmcnt(0) lgkmcnt(0)
	v_mul_f32_e32 v118, s22, v118
	s_branch .LBB95_75
.LBB95_74:
	v_mov_b32_e32 v118, 0
.LBB95_75:
	v_dual_max_f32 v45, v45, v45 :: v_dual_max_f32 v44, v44, v44
	v_dual_max_f32 v119, v1, v1 :: v_dual_max_f32 v120, v0, v0
	s_delay_alu instid0(VALU_DEP_1) | instskip(NEXT) | instid1(VALU_DEP_2)
	v_dual_max_f32 v46, v46, v46 :: v_dual_min_f32 v45, v119, v45
	v_dual_max_f32 v119, v2, v2 :: v_dual_min_f32 v44, v120, v44
	v_max_f32_e32 v47, v47, v47
	s_delay_alu instid0(VALU_DEP_2) | instskip(NEXT) | instid1(VALU_DEP_3)
	v_dual_add_f32 v45, v115, v45 :: v_dual_add_f32 v44, v116, v44
	v_min_f32_e32 v46, v119, v46
	s_delay_alu instid0(VALU_DEP_1) | instskip(NEXT) | instid1(VALU_DEP_1)
	v_dual_max_f32 v121, v3, v3 :: v_dual_add_f32 v44, v44, v46
	v_min_f32_e32 v47, v121, v47
	s_delay_alu instid0(VALU_DEP_1) | instskip(NEXT) | instid1(VALU_DEP_1)
	v_add_f32_e32 v45, v45, v47
	v_add_f32_e32 v44, v44, v45
	s_delay_alu instid0(VALU_DEP_1)
	v_add_f32_e32 v46, v44, v118
	v_add_co_u32 v44, vcc_lo, v126, v64
	v_add_co_ci_u32_e32 v45, vcc_lo, v127, v65, vcc_lo
	global_store_b32 v[44:45], v46, off
.LBB95_76:
	s_or_b32 exec_lo, exec_lo, s8
	v_add_nc_u32_e32 v64, 32, v117
	s_delay_alu instid0(VALU_DEP_1) | instskip(SKIP_2) | instid1(VALU_DEP_3)
	v_mad_i64_i32 v[44:45], null, v64, s12, 0
	v_mad_i64_i32 v[46:47], null, v64, s9, 0
	v_cmp_gt_i32_e64 s8, s17, v64
	v_lshlrev_b64 v[44:45], 2, v[44:45]
	s_delay_alu instid0(VALU_DEP_2) | instskip(NEXT) | instid1(VALU_DEP_3)
	s_and_b32 s16, s0, s8
	v_lshlrev_b64 v[46:47], 2, v[46:47]
	s_delay_alu instid0(VALU_DEP_2) | instskip(NEXT) | instid1(VALU_DEP_3)
	v_add_co_u32 v64, vcc_lo, s10, v44
	v_add_co_ci_u32_e32 v65, vcc_lo, s11, v45, vcc_lo
	s_delay_alu instid0(VALU_DEP_3) | instskip(NEXT) | instid1(VALU_DEP_4)
	v_add_co_u32 v46, vcc_lo, s13, v46
	v_add_co_ci_u32_e32 v47, vcc_lo, s14, v47, vcc_lo
	s_and_saveexec_b32 s15, s16
	s_cbranch_execnz .LBB95_84
; %bb.77:
	s_or_b32 exec_lo, exec_lo, s15
	s_and_b32 s16, s1, s8
	s_delay_alu instid0(SALU_CYCLE_1)
	s_and_saveexec_b32 s15, s16
	s_cbranch_execnz .LBB95_88
.LBB95_78:
	s_or_b32 exec_lo, exec_lo, s15
	s_and_b32 s16, s2, s8
	s_delay_alu instid0(SALU_CYCLE_1)
	s_and_saveexec_b32 s15, s16
	s_cbranch_execnz .LBB95_92
.LBB95_79:
	s_or_b32 exec_lo, exec_lo, s15
	s_and_b32 s16, s3, s8
	s_delay_alu instid0(SALU_CYCLE_1)
	s_and_saveexec_b32 s15, s16
	s_cbranch_execnz .LBB95_96
.LBB95_80:
	s_or_b32 exec_lo, exec_lo, s15
	s_and_b32 s16, s4, s8
	s_delay_alu instid0(SALU_CYCLE_1)
	s_and_saveexec_b32 s15, s16
	s_cbranch_execnz .LBB95_100
.LBB95_81:
	s_or_b32 exec_lo, exec_lo, s15
	s_and_b32 s16, s5, s8
	s_delay_alu instid0(SALU_CYCLE_1)
	s_and_saveexec_b32 s15, s16
	s_cbranch_execnz .LBB95_104
.LBB95_82:
	s_or_b32 exec_lo, exec_lo, s15
	s_and_b32 s16, s6, s8
	s_delay_alu instid0(SALU_CYCLE_1)
	s_and_saveexec_b32 s15, s16
	s_cbranch_execnz .LBB95_108
.LBB95_83:
	s_or_b32 exec_lo, exec_lo, s15
	s_and_b32 s15, s7, s8
	s_delay_alu instid0(SALU_CYCLE_1)
	s_and_saveexec_b32 s8, s15
	s_cbranch_execnz .LBB95_112
	s_branch .LBB95_116
.LBB95_84:
	v_cmp_ne_u32_e32 vcc_lo, 1, v100
	v_lshlrev_b64 v[44:45], 2, v[48:49]
	s_cbranch_vccnz .LBB95_86
; %bb.85:
	s_delay_alu instid0(VALU_DEP_1) | instskip(NEXT) | instid1(VALU_DEP_2)
	v_add_co_u32 v115, vcc_lo, v64, v44
	v_add_co_ci_u32_e32 v116, vcc_lo, v65, v45, vcc_lo
	flat_load_b32 v115, v[115:116]
	s_waitcnt vmcnt(0) lgkmcnt(0)
	v_mul_f32_e32 v115, s22, v115
	s_branch .LBB95_87
.LBB95_86:
	v_mov_b32_e32 v115, 0
.LBB95_87:
	v_dual_max_f32 v116, v41, v41 :: v_dual_max_f32 v119, v40, v40
	v_dual_max_f32 v118, v33, v33 :: v_dual_max_f32 v121, v42, v42
	v_dual_max_f32 v120, v32, v32 :: v_dual_max_f32 v123, v35, v35
	v_add_co_u32 v44, vcc_lo, v46, v44
	s_delay_alu instid0(VALU_DEP_2) | instskip(SKIP_2) | instid1(VALU_DEP_3)
	v_dual_min_f32 v116, v118, v116 :: v_dual_min_f32 v119, v120, v119
	v_max_f32_e32 v118, v34, v34
	v_add_co_ci_u32_e32 v45, vcc_lo, v47, v45, vcc_lo
	v_dual_add_f32 v113, v113, v116 :: v_dual_max_f32 v122, v43, v43
	s_delay_alu instid0(VALU_DEP_3) | instskip(SKIP_1) | instid1(VALU_DEP_1)
	v_min_f32_e32 v116, v118, v121
	v_add_f32_e32 v114, v114, v119
	v_add_f32_e32 v114, v114, v116
	s_delay_alu instid0(VALU_DEP_4) | instskip(NEXT) | instid1(VALU_DEP_1)
	v_min_f32_e32 v118, v123, v122
	v_add_f32_e32 v113, v113, v118
	s_delay_alu instid0(VALU_DEP_1) | instskip(NEXT) | instid1(VALU_DEP_1)
	v_add_f32_e32 v113, v114, v113
	v_add_f32_e32 v113, v113, v115
	global_store_b32 v[44:45], v113, off
	s_or_b32 exec_lo, exec_lo, s15
	s_and_b32 s16, s1, s8
	s_delay_alu instid0(SALU_CYCLE_1)
	s_and_saveexec_b32 s15, s16
	s_cbranch_execz .LBB95_78
.LBB95_88:
	v_cmp_ne_u32_e32 vcc_lo, 1, v100
	v_lshlrev_b64 v[44:45], 2, v[50:51]
	s_cbranch_vccnz .LBB95_90
; %bb.89:
	s_delay_alu instid0(VALU_DEP_1) | instskip(NEXT) | instid1(VALU_DEP_2)
	v_add_co_u32 v113, vcc_lo, v64, v44
	v_add_co_ci_u32_e32 v114, vcc_lo, v65, v45, vcc_lo
	flat_load_b32 v113, v[113:114]
	s_waitcnt vmcnt(0) lgkmcnt(0)
	v_mul_f32_e32 v113, s22, v113
	s_branch .LBB95_91
.LBB95_90:
	v_mov_b32_e32 v113, 0
.LBB95_91:
	v_dual_max_f32 v114, v41, v41 :: v_dual_max_f32 v119, v42, v42
	v_dual_max_f32 v115, v29, v29 :: v_dual_max_f32 v116, v40, v40
	v_max_f32_e32 v118, v28, v28
	v_max_f32_e32 v120, v43, v43
	;; [unrolled: 1-line block ×3, first 2 shown]
	s_delay_alu instid0(VALU_DEP_4) | instskip(SKIP_3) | instid1(VALU_DEP_4)
	v_min_f32_e32 v114, v115, v114
	v_max_f32_e32 v115, v30, v30
	v_min_f32_e32 v116, v118, v116
	v_add_co_u32 v44, vcc_lo, v46, v44
	v_add_f32_e32 v111, v111, v114
	s_delay_alu instid0(VALU_DEP_4) | instskip(NEXT) | instid1(VALU_DEP_4)
	v_min_f32_e32 v114, v115, v119
	v_add_f32_e32 v112, v112, v116
	v_min_f32_e32 v115, v121, v120
	v_add_co_ci_u32_e32 v45, vcc_lo, v47, v45, vcc_lo
	s_delay_alu instid0(VALU_DEP_2) | instskip(NEXT) | instid1(VALU_DEP_1)
	v_dual_add_f32 v112, v112, v114 :: v_dual_add_f32 v111, v111, v115
	v_add_f32_e32 v111, v112, v111
	s_delay_alu instid0(VALU_DEP_1) | instskip(SKIP_3) | instid1(SALU_CYCLE_1)
	v_add_f32_e32 v111, v111, v113
	global_store_b32 v[44:45], v111, off
	s_or_b32 exec_lo, exec_lo, s15
	s_and_b32 s16, s2, s8
	s_and_saveexec_b32 s15, s16
	s_cbranch_execz .LBB95_79
.LBB95_92:
	v_cmp_ne_u32_e32 vcc_lo, 1, v100
	v_lshlrev_b64 v[44:45], 2, v[52:53]
	s_cbranch_vccnz .LBB95_94
; %bb.93:
	s_delay_alu instid0(VALU_DEP_1) | instskip(NEXT) | instid1(VALU_DEP_2)
	v_add_co_u32 v111, vcc_lo, v64, v44
	v_add_co_ci_u32_e32 v112, vcc_lo, v65, v45, vcc_lo
	flat_load_b32 v111, v[111:112]
	s_waitcnt vmcnt(0) lgkmcnt(0)
	v_mul_f32_e32 v111, s22, v111
	s_branch .LBB95_95
.LBB95_94:
	v_mov_b32_e32 v111, 0
.LBB95_95:
	v_dual_max_f32 v112, v41, v41 :: v_dual_max_f32 v115, v24, v24
	v_dual_max_f32 v113, v25, v25 :: v_dual_max_f32 v114, v40, v40
	;; [unrolled: 1-line block ×3, first 2 shown]
	v_add_co_u32 v44, vcc_lo, v46, v44
	s_delay_alu instid0(VALU_DEP_3) | instskip(SKIP_1) | instid1(VALU_DEP_2)
	v_dual_min_f32 v112, v113, v112 :: v_dual_max_f32 v113, v26, v26
	v_add_co_ci_u32_e32 v45, vcc_lo, v47, v45, vcc_lo
	v_add_f32_e32 v110, v110, v112
	s_delay_alu instid0(VALU_DEP_3) | instskip(SKIP_1) | instid1(VALU_DEP_1)
	v_min_f32_e32 v112, v113, v116
	v_min_f32_e32 v114, v115, v114
	v_dual_max_f32 v118, v43, v43 :: v_dual_add_f32 v109, v109, v114
	s_delay_alu instid0(VALU_DEP_1) | instskip(NEXT) | instid1(VALU_DEP_1)
	v_min_f32_e32 v113, v119, v118
	v_dual_add_f32 v109, v109, v112 :: v_dual_add_f32 v110, v110, v113
	s_delay_alu instid0(VALU_DEP_1) | instskip(NEXT) | instid1(VALU_DEP_1)
	v_add_f32_e32 v109, v109, v110
	v_add_f32_e32 v109, v109, v111
	global_store_b32 v[44:45], v109, off
	s_or_b32 exec_lo, exec_lo, s15
	s_and_b32 s16, s3, s8
	s_delay_alu instid0(SALU_CYCLE_1)
	s_and_saveexec_b32 s15, s16
	s_cbranch_execz .LBB95_80
.LBB95_96:
	v_cmp_ne_u32_e32 vcc_lo, 1, v100
	v_lshlrev_b64 v[44:45], 2, v[54:55]
	s_cbranch_vccnz .LBB95_98
; %bb.97:
	s_delay_alu instid0(VALU_DEP_1) | instskip(NEXT) | instid1(VALU_DEP_2)
	v_add_co_u32 v109, vcc_lo, v64, v44
	v_add_co_ci_u32_e32 v110, vcc_lo, v65, v45, vcc_lo
	flat_load_b32 v109, v[109:110]
	s_waitcnt vmcnt(0) lgkmcnt(0)
	v_mul_f32_e32 v109, s22, v109
	s_branch .LBB95_99
.LBB95_98:
	v_mov_b32_e32 v109, 0
.LBB95_99:
	v_dual_max_f32 v110, v41, v41 :: v_dual_max_f32 v113, v20, v20
	v_dual_max_f32 v111, v21, v21 :: v_dual_max_f32 v112, v40, v40
	;; [unrolled: 1-line block ×3, first 2 shown]
	v_max_f32_e32 v116, v23, v23
	s_delay_alu instid0(VALU_DEP_3) | instskip(NEXT) | instid1(VALU_DEP_4)
	v_min_f32_e32 v110, v111, v110
	v_dual_max_f32 v111, v22, v22 :: v_dual_min_f32 v112, v113, v112
	v_add_co_u32 v44, vcc_lo, v46, v44
	s_delay_alu instid0(VALU_DEP_3) | instskip(NEXT) | instid1(VALU_DEP_3)
	v_add_f32_e32 v107, v107, v110
	v_dual_min_f32 v110, v111, v114 :: v_dual_min_f32 v111, v116, v115
	s_delay_alu instid0(VALU_DEP_4) | instskip(SKIP_1) | instid1(VALU_DEP_2)
	v_add_f32_e32 v108, v108, v112
	v_add_co_ci_u32_e32 v45, vcc_lo, v47, v45, vcc_lo
	v_dual_add_f32 v107, v107, v111 :: v_dual_add_f32 v108, v108, v110
	s_delay_alu instid0(VALU_DEP_1) | instskip(NEXT) | instid1(VALU_DEP_1)
	v_add_f32_e32 v107, v108, v107
	v_add_f32_e32 v107, v107, v109
	global_store_b32 v[44:45], v107, off
	s_or_b32 exec_lo, exec_lo, s15
	s_and_b32 s16, s4, s8
	s_delay_alu instid0(SALU_CYCLE_1)
	s_and_saveexec_b32 s15, s16
	s_cbranch_execz .LBB95_81
.LBB95_100:
	v_cmp_ne_u32_e32 vcc_lo, 1, v100
	v_lshlrev_b64 v[44:45], 2, v[56:57]
	s_cbranch_vccnz .LBB95_102
; %bb.101:
	s_delay_alu instid0(VALU_DEP_1) | instskip(NEXT) | instid1(VALU_DEP_2)
	v_add_co_u32 v107, vcc_lo, v64, v44
	v_add_co_ci_u32_e32 v108, vcc_lo, v65, v45, vcc_lo
	flat_load_b32 v107, v[107:108]
	s_waitcnt vmcnt(0) lgkmcnt(0)
	v_mul_f32_e32 v107, s22, v107
	s_branch .LBB95_103
.LBB95_102:
	v_mov_b32_e32 v107, 0
.LBB95_103:
	v_dual_max_f32 v108, v41, v41 :: v_dual_max_f32 v111, v16, v16
	v_dual_max_f32 v109, v17, v17 :: v_dual_max_f32 v110, v40, v40
	;; [unrolled: 1-line block ×3, first 2 shown]
	v_add_co_u32 v44, vcc_lo, v46, v44
	s_delay_alu instid0(VALU_DEP_3) | instskip(SKIP_2) | instid1(VALU_DEP_3)
	v_dual_min_f32 v108, v109, v108 :: v_dual_max_f32 v109, v18, v18
	v_max_f32_e32 v114, v19, v19
	v_add_co_ci_u32_e32 v45, vcc_lo, v47, v45, vcc_lo
	v_dual_add_f32 v105, v105, v108 :: v_dual_min_f32 v110, v111, v110
	s_delay_alu instid0(VALU_DEP_3) | instskip(NEXT) | instid1(VALU_DEP_1)
	v_dual_min_f32 v108, v109, v112 :: v_dual_min_f32 v109, v114, v113
	v_dual_add_f32 v106, v106, v110 :: v_dual_add_f32 v105, v105, v109
	s_delay_alu instid0(VALU_DEP_1) | instskip(NEXT) | instid1(VALU_DEP_1)
	v_add_f32_e32 v106, v106, v108
	v_add_f32_e32 v105, v106, v105
	s_delay_alu instid0(VALU_DEP_1) | instskip(SKIP_3) | instid1(SALU_CYCLE_1)
	v_add_f32_e32 v105, v105, v107
	global_store_b32 v[44:45], v105, off
	s_or_b32 exec_lo, exec_lo, s15
	s_and_b32 s16, s5, s8
	s_and_saveexec_b32 s15, s16
	s_cbranch_execz .LBB95_82
.LBB95_104:
	v_cmp_ne_u32_e32 vcc_lo, 1, v100
	v_lshlrev_b64 v[44:45], 2, v[58:59]
	s_cbranch_vccnz .LBB95_106
; %bb.105:
	s_delay_alu instid0(VALU_DEP_1) | instskip(NEXT) | instid1(VALU_DEP_2)
	v_add_co_u32 v105, vcc_lo, v64, v44
	v_add_co_ci_u32_e32 v106, vcc_lo, v65, v45, vcc_lo
	flat_load_b32 v105, v[105:106]
	s_waitcnt vmcnt(0) lgkmcnt(0)
	v_mul_f32_e32 v105, s22, v105
	s_branch .LBB95_107
.LBB95_106:
	v_mov_b32_e32 v105, 0
.LBB95_107:
	v_dual_max_f32 v106, v41, v41 :: v_dual_max_f32 v109, v12, v12
	v_dual_max_f32 v107, v13, v13 :: v_dual_max_f32 v108, v40, v40
	;; [unrolled: 1-line block ×3, first 2 shown]
	v_max_f32_e32 v112, v15, v15
	s_delay_alu instid0(VALU_DEP_3) | instskip(NEXT) | instid1(VALU_DEP_4)
	v_min_f32_e32 v106, v107, v106
	v_dual_max_f32 v107, v14, v14 :: v_dual_min_f32 v108, v109, v108
	v_add_co_u32 v44, vcc_lo, v46, v44
	s_delay_alu instid0(VALU_DEP_3) | instskip(NEXT) | instid1(VALU_DEP_3)
	v_add_f32_e32 v103, v103, v106
	v_dual_min_f32 v106, v107, v110 :: v_dual_min_f32 v107, v112, v111
	s_delay_alu instid0(VALU_DEP_4) | instskip(SKIP_1) | instid1(VALU_DEP_2)
	v_add_f32_e32 v104, v104, v108
	v_add_co_ci_u32_e32 v45, vcc_lo, v47, v45, vcc_lo
	v_dual_add_f32 v103, v103, v107 :: v_dual_add_f32 v104, v104, v106
	s_delay_alu instid0(VALU_DEP_1) | instskip(NEXT) | instid1(VALU_DEP_1)
	v_add_f32_e32 v103, v104, v103
	v_add_f32_e32 v103, v103, v105
	global_store_b32 v[44:45], v103, off
	s_or_b32 exec_lo, exec_lo, s15
	s_and_b32 s16, s6, s8
	s_delay_alu instid0(SALU_CYCLE_1)
	s_and_saveexec_b32 s15, s16
	s_cbranch_execz .LBB95_83
.LBB95_108:
	v_cmp_ne_u32_e32 vcc_lo, 1, v100
	v_lshlrev_b64 v[44:45], 2, v[60:61]
	s_cbranch_vccnz .LBB95_110
; %bb.109:
	s_delay_alu instid0(VALU_DEP_1) | instskip(NEXT) | instid1(VALU_DEP_2)
	v_add_co_u32 v103, vcc_lo, v64, v44
	v_add_co_ci_u32_e32 v104, vcc_lo, v65, v45, vcc_lo
	flat_load_b32 v103, v[103:104]
	s_waitcnt vmcnt(0) lgkmcnt(0)
	v_mul_f32_e32 v103, s22, v103
	s_branch .LBB95_111
.LBB95_110:
	v_mov_b32_e32 v103, 0
.LBB95_111:
	v_dual_max_f32 v104, v41, v41 :: v_dual_max_f32 v107, v8, v8
	v_dual_max_f32 v105, v9, v9 :: v_dual_max_f32 v106, v40, v40
	;; [unrolled: 1-line block ×3, first 2 shown]
	v_add_co_u32 v44, vcc_lo, v46, v44
	s_delay_alu instid0(VALU_DEP_3) | instskip(SKIP_2) | instid1(VALU_DEP_3)
	v_dual_min_f32 v104, v105, v104 :: v_dual_max_f32 v105, v10, v10
	v_max_f32_e32 v110, v11, v11
	v_add_co_ci_u32_e32 v45, vcc_lo, v47, v45, vcc_lo
	v_dual_add_f32 v101, v101, v104 :: v_dual_min_f32 v106, v107, v106
	s_delay_alu instid0(VALU_DEP_3) | instskip(NEXT) | instid1(VALU_DEP_1)
	v_dual_min_f32 v104, v105, v108 :: v_dual_min_f32 v105, v110, v109
	v_dual_add_f32 v102, v102, v106 :: v_dual_add_f32 v101, v101, v105
	s_delay_alu instid0(VALU_DEP_1) | instskip(NEXT) | instid1(VALU_DEP_1)
	v_add_f32_e32 v102, v102, v104
	v_add_f32_e32 v101, v102, v101
	s_delay_alu instid0(VALU_DEP_1) | instskip(SKIP_3) | instid1(SALU_CYCLE_1)
	v_add_f32_e32 v101, v101, v103
	global_store_b32 v[44:45], v101, off
	s_or_b32 exec_lo, exec_lo, s15
	s_and_b32 s15, s7, s8
	s_and_saveexec_b32 s8, s15
	s_cbranch_execz .LBB95_116
.LBB95_112:
	v_cmp_ne_u32_e32 vcc_lo, 1, v100
	v_lshlrev_b64 v[44:45], 2, v[62:63]
	s_cbranch_vccnz .LBB95_114
; %bb.113:
	s_delay_alu instid0(VALU_DEP_1) | instskip(NEXT) | instid1(VALU_DEP_2)
	v_add_co_u32 v64, vcc_lo, v64, v44
	v_add_co_ci_u32_e32 v65, vcc_lo, v65, v45, vcc_lo
	flat_load_b32 v64, v[64:65]
	s_waitcnt vmcnt(0) lgkmcnt(0)
	v_mul_f32_e32 v64, s22, v64
	s_branch .LBB95_115
.LBB95_114:
	v_mov_b32_e32 v64, 0
.LBB95_115:
	v_dual_max_f32 v41, v41, v41 :: v_dual_max_f32 v40, v40, v40
	v_dual_max_f32 v65, v1, v1 :: v_dual_max_f32 v42, v42, v42
	;; [unrolled: 1-line block ×3, first 2 shown]
	s_delay_alu instid0(VALU_DEP_1) | instskip(NEXT) | instid1(VALU_DEP_1)
	v_dual_max_f32 v43, v43, v43 :: v_dual_min_f32 v40, v101, v40
	v_dual_min_f32 v41, v65, v41 :: v_dual_add_f32 v40, v98, v40
	s_delay_alu instid0(VALU_DEP_1) | instskip(NEXT) | instid1(VALU_DEP_3)
	v_add_f32_e32 v41, v99, v41
	v_min_f32_e32 v43, v102, v43
	s_delay_alu instid0(VALU_DEP_1) | instskip(SKIP_1) | instid1(VALU_DEP_1)
	v_add_f32_e32 v41, v41, v43
	v_max_f32_e32 v65, v2, v2
	v_min_f32_e32 v42, v65, v42
	s_delay_alu instid0(VALU_DEP_1) | instskip(NEXT) | instid1(VALU_DEP_1)
	v_add_f32_e32 v40, v40, v42
	v_add_f32_e32 v40, v40, v41
	s_delay_alu instid0(VALU_DEP_1)
	v_add_f32_e32 v42, v40, v64
	v_add_co_u32 v40, vcc_lo, v46, v44
	v_add_co_ci_u32_e32 v41, vcc_lo, v47, v45, vcc_lo
	global_store_b32 v[40:41], v42, off
.LBB95_116:
	s_or_b32 exec_lo, exec_lo, s8
	v_add_nc_u32_e32 v44, 64, v117
	s_delay_alu instid0(VALU_DEP_1) | instskip(SKIP_2) | instid1(VALU_DEP_3)
	v_mad_i64_i32 v[40:41], null, v44, s12, 0
	v_mad_i64_i32 v[42:43], null, v44, s9, 0
	v_cmp_gt_i32_e64 s8, s17, v44
	v_lshlrev_b64 v[40:41], 2, v[40:41]
	s_delay_alu instid0(VALU_DEP_2) | instskip(NEXT) | instid1(VALU_DEP_3)
	s_and_b32 s16, s0, s8
	v_lshlrev_b64 v[42:43], 2, v[42:43]
	s_delay_alu instid0(VALU_DEP_2) | instskip(NEXT) | instid1(VALU_DEP_3)
	v_add_co_u32 v44, vcc_lo, s10, v40
	v_add_co_ci_u32_e32 v45, vcc_lo, s11, v41, vcc_lo
	s_delay_alu instid0(VALU_DEP_3) | instskip(NEXT) | instid1(VALU_DEP_4)
	v_add_co_u32 v42, vcc_lo, s13, v42
	v_add_co_ci_u32_e32 v43, vcc_lo, s14, v43, vcc_lo
	s_and_saveexec_b32 s15, s16
	s_cbranch_execnz .LBB95_124
; %bb.117:
	s_or_b32 exec_lo, exec_lo, s15
	s_and_b32 s16, s1, s8
	s_delay_alu instid0(SALU_CYCLE_1)
	s_and_saveexec_b32 s15, s16
	s_cbranch_execnz .LBB95_128
.LBB95_118:
	s_or_b32 exec_lo, exec_lo, s15
	s_and_b32 s16, s2, s8
	s_delay_alu instid0(SALU_CYCLE_1)
	s_and_saveexec_b32 s15, s16
	s_cbranch_execnz .LBB95_132
.LBB95_119:
	s_or_b32 exec_lo, exec_lo, s15
	s_and_b32 s16, s3, s8
	s_delay_alu instid0(SALU_CYCLE_1)
	s_and_saveexec_b32 s15, s16
	s_cbranch_execnz .LBB95_136
.LBB95_120:
	s_or_b32 exec_lo, exec_lo, s15
	s_and_b32 s16, s4, s8
	s_delay_alu instid0(SALU_CYCLE_1)
	s_and_saveexec_b32 s15, s16
	s_cbranch_execnz .LBB95_140
.LBB95_121:
	s_or_b32 exec_lo, exec_lo, s15
	s_and_b32 s16, s5, s8
	s_delay_alu instid0(SALU_CYCLE_1)
	s_and_saveexec_b32 s15, s16
	s_cbranch_execnz .LBB95_144
.LBB95_122:
	s_or_b32 exec_lo, exec_lo, s15
	s_and_b32 s16, s6, s8
	s_delay_alu instid0(SALU_CYCLE_1)
	s_and_saveexec_b32 s15, s16
	s_cbranch_execnz .LBB95_148
.LBB95_123:
	s_or_b32 exec_lo, exec_lo, s15
	s_and_b32 s15, s7, s8
	s_delay_alu instid0(SALU_CYCLE_1)
	s_and_saveexec_b32 s8, s15
	s_cbranch_execnz .LBB95_152
	s_branch .LBB95_156
.LBB95_124:
	v_cmp_ne_u32_e32 vcc_lo, 1, v100
	v_lshlrev_b64 v[40:41], 2, v[48:49]
	s_cbranch_vccnz .LBB95_126
; %bb.125:
	s_delay_alu instid0(VALU_DEP_1) | instskip(NEXT) | instid1(VALU_DEP_2)
	v_add_co_u32 v46, vcc_lo, v44, v40
	v_add_co_ci_u32_e32 v47, vcc_lo, v45, v41, vcc_lo
	flat_load_b32 v46, v[46:47]
	s_waitcnt vmcnt(0) lgkmcnt(0)
	v_mul_f32_e32 v46, s22, v46
	s_branch .LBB95_127
.LBB95_126:
	v_mov_b32_e32 v46, 0
.LBB95_127:
	v_dual_max_f32 v47, v37, v37 :: v_dual_max_f32 v98, v32, v32
	v_dual_max_f32 v64, v33, v33 :: v_dual_max_f32 v65, v36, v36
	;; [unrolled: 1-line block ×3, first 2 shown]
	v_add_co_u32 v40, vcc_lo, v42, v40
	s_delay_alu instid0(VALU_DEP_3) | instskip(NEXT) | instid1(VALU_DEP_4)
	v_dual_min_f32 v47, v64, v47 :: v_dual_max_f32 v64, v34, v34
	v_min_f32_e32 v65, v98, v65
	v_add_co_ci_u32_e32 v41, vcc_lo, v43, v41, vcc_lo
	s_delay_alu instid0(VALU_DEP_3) | instskip(NEXT) | instid1(VALU_DEP_4)
	v_add_f32_e32 v47, v97, v47
	v_min_f32_e32 v64, v64, v99
	s_delay_alu instid0(VALU_DEP_4) | instskip(NEXT) | instid1(VALU_DEP_1)
	v_add_f32_e32 v65, v96, v65
	v_dual_max_f32 v101, v39, v39 :: v_dual_add_f32 v64, v65, v64
	s_delay_alu instid0(VALU_DEP_1) | instskip(NEXT) | instid1(VALU_DEP_1)
	v_min_f32_e32 v97, v102, v101
	v_add_f32_e32 v47, v47, v97
	s_delay_alu instid0(VALU_DEP_1) | instskip(NEXT) | instid1(VALU_DEP_1)
	v_add_f32_e32 v47, v64, v47
	v_add_f32_e32 v46, v47, v46
	global_store_b32 v[40:41], v46, off
	s_or_b32 exec_lo, exec_lo, s15
	s_and_b32 s16, s1, s8
	s_delay_alu instid0(SALU_CYCLE_1)
	s_and_saveexec_b32 s15, s16
	s_cbranch_execz .LBB95_118
.LBB95_128:
	v_cmp_ne_u32_e32 vcc_lo, 1, v100
	v_lshlrev_b64 v[40:41], 2, v[50:51]
	s_cbranch_vccnz .LBB95_130
; %bb.129:
	s_delay_alu instid0(VALU_DEP_1) | instskip(NEXT) | instid1(VALU_DEP_2)
	v_add_co_u32 v46, vcc_lo, v44, v40
	v_add_co_ci_u32_e32 v47, vcc_lo, v45, v41, vcc_lo
	flat_load_b32 v46, v[46:47]
	s_waitcnt vmcnt(0) lgkmcnt(0)
	v_mul_f32_e32 v46, s22, v46
	s_branch .LBB95_131
.LBB95_130:
	v_mov_b32_e32 v46, 0
.LBB95_131:
	v_dual_max_f32 v47, v37, v37 :: v_dual_max_f32 v96, v28, v28
	v_dual_max_f32 v64, v29, v29 :: v_dual_max_f32 v65, v36, v36
	;; [unrolled: 1-line block ×3, first 2 shown]
	v_add_co_u32 v40, vcc_lo, v42, v40
	s_delay_alu instid0(VALU_DEP_3) | instskip(SKIP_2) | instid1(VALU_DEP_3)
	v_dual_min_f32 v47, v64, v47 :: v_dual_max_f32 v64, v30, v30
	v_max_f32_e32 v99, v31, v31
	v_add_co_ci_u32_e32 v41, vcc_lo, v43, v41, vcc_lo
	v_min_f32_e32 v64, v64, v97
	v_min_f32_e32 v65, v96, v65
	s_delay_alu instid0(VALU_DEP_4) | instskip(NEXT) | instid1(VALU_DEP_2)
	v_dual_add_f32 v47, v94, v47 :: v_dual_min_f32 v94, v99, v98
	v_add_f32_e32 v65, v95, v65
	s_delay_alu instid0(VALU_DEP_1) | instskip(NEXT) | instid1(VALU_DEP_1)
	v_dual_add_f32 v64, v65, v64 :: v_dual_add_f32 v47, v47, v94
	v_add_f32_e32 v47, v64, v47
	s_delay_alu instid0(VALU_DEP_1) | instskip(SKIP_3) | instid1(SALU_CYCLE_1)
	v_add_f32_e32 v46, v47, v46
	global_store_b32 v[40:41], v46, off
	s_or_b32 exec_lo, exec_lo, s15
	s_and_b32 s16, s2, s8
	s_and_saveexec_b32 s15, s16
	s_cbranch_execz .LBB95_119
.LBB95_132:
	v_cmp_ne_u32_e32 vcc_lo, 1, v100
	v_lshlrev_b64 v[40:41], 2, v[52:53]
	s_cbranch_vccnz .LBB95_134
; %bb.133:
	s_delay_alu instid0(VALU_DEP_1) | instskip(NEXT) | instid1(VALU_DEP_2)
	v_add_co_u32 v46, vcc_lo, v44, v40
	v_add_co_ci_u32_e32 v47, vcc_lo, v45, v41, vcc_lo
	flat_load_b32 v46, v[46:47]
	s_waitcnt vmcnt(0) lgkmcnt(0)
	v_mul_f32_e32 v46, s22, v46
	s_branch .LBB95_135
.LBB95_134:
	v_mov_b32_e32 v46, 0
.LBB95_135:
	v_dual_max_f32 v47, v37, v37 :: v_dual_max_f32 v94, v24, v24
	v_dual_max_f32 v64, v25, v25 :: v_dual_max_f32 v65, v36, v36
	;; [unrolled: 1-line block ×3, first 2 shown]
	v_add_co_u32 v40, vcc_lo, v42, v40
	s_delay_alu instid0(VALU_DEP_3) | instskip(NEXT) | instid1(VALU_DEP_4)
	v_dual_min_f32 v47, v64, v47 :: v_dual_max_f32 v64, v26, v26
	v_min_f32_e32 v65, v94, v65
	v_add_co_ci_u32_e32 v41, vcc_lo, v43, v41, vcc_lo
	s_delay_alu instid0(VALU_DEP_2) | instskip(NEXT) | instid1(VALU_DEP_1)
	v_dual_min_f32 v64, v64, v95 :: v_dual_add_f32 v65, v93, v65
	v_dual_max_f32 v97, v27, v27 :: v_dual_add_f32 v64, v65, v64
	s_delay_alu instid0(VALU_DEP_1) | instskip(NEXT) | instid1(VALU_DEP_1)
	v_dual_add_f32 v47, v92, v47 :: v_dual_min_f32 v92, v97, v96
	v_add_f32_e32 v47, v47, v92
	s_delay_alu instid0(VALU_DEP_1) | instskip(NEXT) | instid1(VALU_DEP_1)
	v_add_f32_e32 v47, v64, v47
	v_add_f32_e32 v46, v47, v46
	global_store_b32 v[40:41], v46, off
	s_or_b32 exec_lo, exec_lo, s15
	s_and_b32 s16, s3, s8
	s_delay_alu instid0(SALU_CYCLE_1)
	s_and_saveexec_b32 s15, s16
	s_cbranch_execz .LBB95_120
.LBB95_136:
	v_cmp_ne_u32_e32 vcc_lo, 1, v100
	v_lshlrev_b64 v[40:41], 2, v[54:55]
	s_cbranch_vccnz .LBB95_138
; %bb.137:
	s_delay_alu instid0(VALU_DEP_1) | instskip(NEXT) | instid1(VALU_DEP_2)
	v_add_co_u32 v46, vcc_lo, v44, v40
	v_add_co_ci_u32_e32 v47, vcc_lo, v45, v41, vcc_lo
	flat_load_b32 v46, v[46:47]
	s_waitcnt vmcnt(0) lgkmcnt(0)
	v_mul_f32_e32 v46, s22, v46
	s_branch .LBB95_139
.LBB95_138:
	v_mov_b32_e32 v46, 0
.LBB95_139:
	v_dual_max_f32 v47, v37, v37 :: v_dual_max_f32 v92, v20, v20
	v_dual_max_f32 v64, v21, v21 :: v_dual_max_f32 v65, v36, v36
	;; [unrolled: 1-line block ×3, first 2 shown]
	v_add_co_u32 v40, vcc_lo, v42, v40
	s_delay_alu instid0(VALU_DEP_3) | instskip(SKIP_2) | instid1(VALU_DEP_3)
	v_dual_min_f32 v47, v64, v47 :: v_dual_max_f32 v64, v22, v22
	v_max_f32_e32 v95, v23, v23
	v_add_co_ci_u32_e32 v41, vcc_lo, v43, v41, vcc_lo
	v_min_f32_e32 v64, v64, v93
	v_min_f32_e32 v65, v92, v65
	s_delay_alu instid0(VALU_DEP_4) | instskip(NEXT) | instid1(VALU_DEP_2)
	v_dual_add_f32 v47, v90, v47 :: v_dual_min_f32 v90, v95, v94
	v_add_f32_e32 v65, v91, v65
	s_delay_alu instid0(VALU_DEP_1) | instskip(NEXT) | instid1(VALU_DEP_1)
	v_dual_add_f32 v64, v65, v64 :: v_dual_add_f32 v47, v47, v90
	v_add_f32_e32 v47, v64, v47
	s_delay_alu instid0(VALU_DEP_1) | instskip(SKIP_3) | instid1(SALU_CYCLE_1)
	v_add_f32_e32 v46, v47, v46
	global_store_b32 v[40:41], v46, off
	s_or_b32 exec_lo, exec_lo, s15
	s_and_b32 s16, s4, s8
	s_and_saveexec_b32 s15, s16
	s_cbranch_execz .LBB95_121
.LBB95_140:
	v_cmp_ne_u32_e32 vcc_lo, 1, v100
	v_lshlrev_b64 v[40:41], 2, v[56:57]
	s_cbranch_vccnz .LBB95_142
; %bb.141:
	s_delay_alu instid0(VALU_DEP_1) | instskip(NEXT) | instid1(VALU_DEP_2)
	v_add_co_u32 v46, vcc_lo, v44, v40
	v_add_co_ci_u32_e32 v47, vcc_lo, v45, v41, vcc_lo
	flat_load_b32 v46, v[46:47]
	s_waitcnt vmcnt(0) lgkmcnt(0)
	v_mul_f32_e32 v46, s22, v46
	s_branch .LBB95_143
.LBB95_142:
	v_mov_b32_e32 v46, 0
.LBB95_143:
	v_dual_max_f32 v47, v37, v37 :: v_dual_max_f32 v90, v16, v16
	v_dual_max_f32 v64, v17, v17 :: v_dual_max_f32 v65, v36, v36
	;; [unrolled: 1-line block ×3, first 2 shown]
	v_add_co_u32 v40, vcc_lo, v42, v40
	s_delay_alu instid0(VALU_DEP_3) | instskip(NEXT) | instid1(VALU_DEP_4)
	v_dual_min_f32 v47, v64, v47 :: v_dual_max_f32 v64, v18, v18
	v_min_f32_e32 v65, v90, v65
	v_add_co_ci_u32_e32 v41, vcc_lo, v43, v41, vcc_lo
	s_delay_alu instid0(VALU_DEP_3) | instskip(NEXT) | instid1(VALU_DEP_4)
	v_add_f32_e32 v47, v89, v47
	v_min_f32_e32 v64, v64, v91
	s_delay_alu instid0(VALU_DEP_4) | instskip(NEXT) | instid1(VALU_DEP_1)
	v_add_f32_e32 v65, v88, v65
	v_dual_max_f32 v93, v19, v19 :: v_dual_add_f32 v64, v65, v64
	s_delay_alu instid0(VALU_DEP_1) | instskip(NEXT) | instid1(VALU_DEP_1)
	v_min_f32_e32 v89, v93, v92
	v_add_f32_e32 v47, v47, v89
	s_delay_alu instid0(VALU_DEP_1) | instskip(NEXT) | instid1(VALU_DEP_1)
	v_add_f32_e32 v47, v64, v47
	v_add_f32_e32 v46, v47, v46
	global_store_b32 v[40:41], v46, off
	s_or_b32 exec_lo, exec_lo, s15
	s_and_b32 s16, s5, s8
	s_delay_alu instid0(SALU_CYCLE_1)
	s_and_saveexec_b32 s15, s16
	s_cbranch_execz .LBB95_122
.LBB95_144:
	v_cmp_ne_u32_e32 vcc_lo, 1, v100
	v_lshlrev_b64 v[40:41], 2, v[58:59]
	s_cbranch_vccnz .LBB95_146
; %bb.145:
	s_delay_alu instid0(VALU_DEP_1) | instskip(NEXT) | instid1(VALU_DEP_2)
	v_add_co_u32 v46, vcc_lo, v44, v40
	v_add_co_ci_u32_e32 v47, vcc_lo, v45, v41, vcc_lo
	flat_load_b32 v46, v[46:47]
	s_waitcnt vmcnt(0) lgkmcnt(0)
	v_mul_f32_e32 v46, s22, v46
	s_branch .LBB95_147
.LBB95_146:
	v_mov_b32_e32 v46, 0
.LBB95_147:
	v_dual_max_f32 v47, v37, v37 :: v_dual_max_f32 v88, v12, v12
	v_dual_max_f32 v64, v13, v13 :: v_dual_max_f32 v65, v36, v36
	;; [unrolled: 1-line block ×3, first 2 shown]
	v_add_co_u32 v40, vcc_lo, v42, v40
	s_delay_alu instid0(VALU_DEP_3) | instskip(SKIP_3) | instid1(VALU_DEP_4)
	v_dual_min_f32 v47, v64, v47 :: v_dual_max_f32 v64, v14, v14
	v_max_f32_e32 v91, v15, v15
	v_min_f32_e32 v65, v88, v65
	v_add_co_ci_u32_e32 v41, vcc_lo, v43, v41, vcc_lo
	v_min_f32_e32 v64, v64, v89
	s_delay_alu instid0(VALU_DEP_3) | instskip(SKIP_1) | instid1(VALU_DEP_2)
	v_add_f32_e32 v65, v86, v65
	v_add_f32_e32 v47, v87, v47
	v_dual_min_f32 v87, v91, v90 :: v_dual_add_f32 v64, v65, v64
	s_delay_alu instid0(VALU_DEP_1) | instskip(NEXT) | instid1(VALU_DEP_1)
	v_add_f32_e32 v47, v47, v87
	v_add_f32_e32 v47, v64, v47
	s_delay_alu instid0(VALU_DEP_1) | instskip(SKIP_3) | instid1(SALU_CYCLE_1)
	v_add_f32_e32 v46, v47, v46
	global_store_b32 v[40:41], v46, off
	s_or_b32 exec_lo, exec_lo, s15
	s_and_b32 s16, s6, s8
	s_and_saveexec_b32 s15, s16
	s_cbranch_execz .LBB95_123
.LBB95_148:
	v_cmp_ne_u32_e32 vcc_lo, 1, v100
	v_lshlrev_b64 v[40:41], 2, v[60:61]
	s_cbranch_vccnz .LBB95_150
; %bb.149:
	s_delay_alu instid0(VALU_DEP_1) | instskip(NEXT) | instid1(VALU_DEP_2)
	v_add_co_u32 v46, vcc_lo, v44, v40
	v_add_co_ci_u32_e32 v47, vcc_lo, v45, v41, vcc_lo
	flat_load_b32 v46, v[46:47]
	s_waitcnt vmcnt(0) lgkmcnt(0)
	v_mul_f32_e32 v46, s22, v46
	s_branch .LBB95_151
.LBB95_150:
	v_mov_b32_e32 v46, 0
.LBB95_151:
	v_dual_max_f32 v47, v37, v37 :: v_dual_max_f32 v86, v8, v8
	v_dual_max_f32 v64, v9, v9 :: v_dual_max_f32 v65, v36, v36
	;; [unrolled: 1-line block ×3, first 2 shown]
	v_add_co_u32 v40, vcc_lo, v42, v40
	s_delay_alu instid0(VALU_DEP_3) | instskip(NEXT) | instid1(VALU_DEP_4)
	v_dual_min_f32 v47, v64, v47 :: v_dual_max_f32 v64, v10, v10
	v_min_f32_e32 v65, v86, v65
	v_add_co_ci_u32_e32 v41, vcc_lo, v43, v41, vcc_lo
	s_delay_alu instid0(VALU_DEP_2) | instskip(NEXT) | instid1(VALU_DEP_1)
	v_dual_min_f32 v64, v64, v87 :: v_dual_add_f32 v65, v85, v65
	v_dual_max_f32 v89, v11, v11 :: v_dual_add_f32 v64, v65, v64
	s_delay_alu instid0(VALU_DEP_1) | instskip(NEXT) | instid1(VALU_DEP_1)
	v_dual_add_f32 v47, v84, v47 :: v_dual_min_f32 v84, v89, v88
	v_add_f32_e32 v47, v47, v84
	s_delay_alu instid0(VALU_DEP_1) | instskip(NEXT) | instid1(VALU_DEP_1)
	v_add_f32_e32 v47, v64, v47
	v_add_f32_e32 v46, v47, v46
	global_store_b32 v[40:41], v46, off
	s_or_b32 exec_lo, exec_lo, s15
	s_and_b32 s15, s7, s8
	s_delay_alu instid0(SALU_CYCLE_1)
	s_and_saveexec_b32 s8, s15
	s_cbranch_execz .LBB95_156
.LBB95_152:
	v_cmp_ne_u32_e32 vcc_lo, 1, v100
	v_lshlrev_b64 v[40:41], 2, v[62:63]
	s_cbranch_vccnz .LBB95_154
; %bb.153:
	s_delay_alu instid0(VALU_DEP_1) | instskip(NEXT) | instid1(VALU_DEP_2)
	v_add_co_u32 v44, vcc_lo, v44, v40
	v_add_co_ci_u32_e32 v45, vcc_lo, v45, v41, vcc_lo
	flat_load_b32 v44, v[44:45]
	s_waitcnt vmcnt(0) lgkmcnt(0)
	v_mul_f32_e32 v44, s22, v44
	s_branch .LBB95_155
.LBB95_154:
	v_mov_b32_e32 v44, 0
.LBB95_155:
	v_dual_max_f32 v37, v37, v37 :: v_dual_max_f32 v36, v36, v36
	v_dual_max_f32 v45, v1, v1 :: v_dual_max_f32 v46, v0, v0
	v_dual_max_f32 v38, v38, v38 :: v_dual_max_f32 v39, v39, v39
	s_delay_alu instid0(VALU_DEP_2) | instskip(NEXT) | instid1(VALU_DEP_1)
	v_dual_min_f32 v37, v45, v37 :: v_dual_min_f32 v36, v46, v36
	v_dual_max_f32 v45, v2, v2 :: v_dual_add_f32 v36, v83, v36
	s_delay_alu instid0(VALU_DEP_1) | instskip(NEXT) | instid1(VALU_DEP_1)
	v_dual_max_f32 v47, v3, v3 :: v_dual_min_f32 v38, v45, v38
	v_dual_add_f32 v37, v82, v37 :: v_dual_add_f32 v36, v36, v38
	s_delay_alu instid0(VALU_DEP_2) | instskip(NEXT) | instid1(VALU_DEP_1)
	v_min_f32_e32 v39, v47, v39
	v_add_f32_e32 v37, v37, v39
	s_delay_alu instid0(VALU_DEP_1) | instskip(NEXT) | instid1(VALU_DEP_1)
	v_add_f32_e32 v36, v36, v37
	v_add_f32_e32 v38, v36, v44
	v_add_co_u32 v36, vcc_lo, v42, v40
	v_add_co_ci_u32_e32 v37, vcc_lo, v43, v41, vcc_lo
	global_store_b32 v[36:37], v38, off
.LBB95_156:
	s_or_b32 exec_lo, exec_lo, s8
	v_add_nc_u32_e32 v40, 0x60, v117
	s_delay_alu instid0(VALU_DEP_1) | instskip(SKIP_2) | instid1(VALU_DEP_3)
	v_mad_i64_i32 v[36:37], null, v40, s12, 0
	v_mad_i64_i32 v[38:39], null, v40, s9, 0
	v_cmp_gt_i32_e64 s8, s17, v40
	v_lshlrev_b64 v[36:37], 2, v[36:37]
	s_delay_alu instid0(VALU_DEP_2) | instskip(NEXT) | instid1(VALU_DEP_3)
	s_and_b32 s9, s0, s8
	v_lshlrev_b64 v[38:39], 2, v[38:39]
	s_delay_alu instid0(VALU_DEP_2) | instskip(NEXT) | instid1(VALU_DEP_3)
	v_add_co_u32 v40, vcc_lo, s10, v36
	v_add_co_ci_u32_e32 v41, vcc_lo, s11, v37, vcc_lo
	s_delay_alu instid0(VALU_DEP_3) | instskip(NEXT) | instid1(VALU_DEP_4)
	v_add_co_u32 v38, vcc_lo, s13, v38
	v_add_co_ci_u32_e32 v39, vcc_lo, s14, v39, vcc_lo
	s_and_saveexec_b32 s0, s9
	s_cbranch_execnz .LBB95_165
; %bb.157:
	s_or_b32 exec_lo, exec_lo, s0
	s_and_b32 s1, s1, s8
	s_delay_alu instid0(SALU_CYCLE_1)
	s_and_saveexec_b32 s0, s1
	s_cbranch_execnz .LBB95_169
.LBB95_158:
	s_or_b32 exec_lo, exec_lo, s0
	s_and_b32 s1, s2, s8
	s_delay_alu instid0(SALU_CYCLE_1)
	s_and_saveexec_b32 s0, s1
	s_cbranch_execnz .LBB95_173
.LBB95_159:
	s_or_b32 exec_lo, exec_lo, s0
	s_and_b32 s1, s3, s8
	s_delay_alu instid0(SALU_CYCLE_1)
	s_and_saveexec_b32 s0, s1
	s_cbranch_execnz .LBB95_177
.LBB95_160:
	s_or_b32 exec_lo, exec_lo, s0
	s_and_b32 s1, s4, s8
	s_delay_alu instid0(SALU_CYCLE_1)
	s_and_saveexec_b32 s0, s1
	s_cbranch_execnz .LBB95_181
.LBB95_161:
	s_or_b32 exec_lo, exec_lo, s0
	s_and_b32 s1, s5, s8
	s_delay_alu instid0(SALU_CYCLE_1)
	s_and_saveexec_b32 s0, s1
	s_cbranch_execnz .LBB95_185
.LBB95_162:
	s_or_b32 exec_lo, exec_lo, s0
	s_and_b32 s1, s6, s8
	s_delay_alu instid0(SALU_CYCLE_1)
	s_and_saveexec_b32 s0, s1
	s_cbranch_execnz .LBB95_189
.LBB95_163:
	s_or_b32 exec_lo, exec_lo, s0
	s_and_b32 s0, s7, s8
	s_delay_alu instid0(SALU_CYCLE_1)
	s_and_saveexec_b32 s1, s0
	s_cbranch_execnz .LBB95_193
.LBB95_164:
	s_nop 0
	s_sendmsg sendmsg(MSG_DEALLOC_VGPRS)
	s_endpgm
.LBB95_165:
	v_cmp_ne_u32_e32 vcc_lo, 1, v100
	v_lshlrev_b64 v[36:37], 2, v[48:49]
	s_cbranch_vccnz .LBB95_167
; %bb.166:
	s_delay_alu instid0(VALU_DEP_1) | instskip(NEXT) | instid1(VALU_DEP_2)
	v_add_co_u32 v42, vcc_lo, v40, v36
	v_add_co_ci_u32_e32 v43, vcc_lo, v41, v37, vcc_lo
	flat_load_b32 v42, v[42:43]
	s_waitcnt vmcnt(0) lgkmcnt(0)
	v_mul_f32_e32 v42, s22, v42
	s_branch .LBB95_168
.LBB95_167:
	v_mov_b32_e32 v42, 0
.LBB95_168:
	v_dual_max_f32 v43, v5, v5 :: v_dual_max_f32 v44, v4, v4
	v_dual_max_f32 v33, v33, v33 :: v_dual_max_f32 v32, v32, v32
	v_max_f32_e32 v45, v6, v6
	s_delay_alu instid0(VALU_DEP_2) | instskip(NEXT) | instid1(VALU_DEP_3)
	v_dual_max_f32 v34, v34, v34 :: v_dual_min_f32 v33, v33, v43
	v_dual_min_f32 v32, v32, v44 :: v_dual_max_f32 v43, v7, v7
	s_delay_alu instid0(VALU_DEP_2) | instskip(NEXT) | instid1(VALU_DEP_2)
	v_dual_min_f32 v34, v34, v45 :: v_dual_max_f32 v35, v35, v35
	v_dual_add_f32 v33, v80, v33 :: v_dual_add_f32 v32, v81, v32
	s_delay_alu instid0(VALU_DEP_1) | instskip(NEXT) | instid1(VALU_DEP_1)
	v_dual_min_f32 v35, v35, v43 :: v_dual_add_f32 v32, v32, v34
	v_add_f32_e32 v33, v33, v35
	s_delay_alu instid0(VALU_DEP_1) | instskip(NEXT) | instid1(VALU_DEP_1)
	v_add_f32_e32 v32, v32, v33
	v_add_f32_e32 v34, v32, v42
	v_add_co_u32 v32, vcc_lo, v38, v36
	v_add_co_ci_u32_e32 v33, vcc_lo, v39, v37, vcc_lo
	global_store_b32 v[32:33], v34, off
	s_or_b32 exec_lo, exec_lo, s0
	s_and_b32 s1, s1, s8
	s_delay_alu instid0(SALU_CYCLE_1)
	s_and_saveexec_b32 s0, s1
	s_cbranch_execz .LBB95_158
.LBB95_169:
	v_cmp_ne_u32_e32 vcc_lo, 1, v100
	v_lshlrev_b64 v[32:33], 2, v[50:51]
	s_cbranch_vccnz .LBB95_171
; %bb.170:
	s_delay_alu instid0(VALU_DEP_1) | instskip(NEXT) | instid1(VALU_DEP_2)
	v_add_co_u32 v34, vcc_lo, v40, v32
	v_add_co_ci_u32_e32 v35, vcc_lo, v41, v33, vcc_lo
	flat_load_b32 v34, v[34:35]
	s_waitcnt vmcnt(0) lgkmcnt(0)
	v_mul_f32_e32 v34, s22, v34
	s_branch .LBB95_172
.LBB95_171:
	v_mov_b32_e32 v34, 0
.LBB95_172:
	v_dual_max_f32 v35, v5, v5 :: v_dual_max_f32 v36, v4, v4
	v_dual_max_f32 v29, v29, v29 :: v_dual_max_f32 v28, v28, v28
	v_max_f32_e32 v37, v6, v6
	s_delay_alu instid0(VALU_DEP_2) | instskip(NEXT) | instid1(VALU_DEP_3)
	v_dual_max_f32 v30, v30, v30 :: v_dual_min_f32 v29, v29, v35
	v_dual_min_f32 v28, v28, v36 :: v_dual_max_f32 v35, v7, v7
	s_delay_alu instid0(VALU_DEP_2) | instskip(NEXT) | instid1(VALU_DEP_2)
	v_dual_min_f32 v30, v30, v37 :: v_dual_max_f32 v31, v31, v31
	v_dual_add_f32 v28, v78, v28 :: v_dual_add_f32 v29, v79, v29
	s_delay_alu instid0(VALU_DEP_1) | instskip(NEXT) | instid1(VALU_DEP_1)
	v_dual_add_f32 v28, v28, v30 :: v_dual_min_f32 v31, v31, v35
	v_add_f32_e32 v29, v29, v31
	s_delay_alu instid0(VALU_DEP_1) | instskip(NEXT) | instid1(VALU_DEP_1)
	v_add_f32_e32 v28, v28, v29
	v_add_f32_e32 v30, v28, v34
	v_add_co_u32 v28, vcc_lo, v38, v32
	v_add_co_ci_u32_e32 v29, vcc_lo, v39, v33, vcc_lo
	global_store_b32 v[28:29], v30, off
	s_or_b32 exec_lo, exec_lo, s0
	s_and_b32 s1, s2, s8
	s_delay_alu instid0(SALU_CYCLE_1)
	s_and_saveexec_b32 s0, s1
	s_cbranch_execz .LBB95_159
.LBB95_173:
	v_cmp_ne_u32_e32 vcc_lo, 1, v100
	v_lshlrev_b64 v[28:29], 2, v[52:53]
	s_cbranch_vccnz .LBB95_175
; %bb.174:
	s_delay_alu instid0(VALU_DEP_1) | instskip(NEXT) | instid1(VALU_DEP_2)
	v_add_co_u32 v30, vcc_lo, v40, v28
	v_add_co_ci_u32_e32 v31, vcc_lo, v41, v29, vcc_lo
	flat_load_b32 v30, v[30:31]
	s_waitcnt vmcnt(0) lgkmcnt(0)
	v_mul_f32_e32 v30, s22, v30
	s_branch .LBB95_176
.LBB95_175:
	v_mov_b32_e32 v30, 0
.LBB95_176:
	v_dual_max_f32 v31, v5, v5 :: v_dual_max_f32 v32, v4, v4
	v_dual_max_f32 v25, v25, v25 :: v_dual_max_f32 v24, v24, v24
	v_max_f32_e32 v33, v6, v6
	s_delay_alu instid0(VALU_DEP_2) | instskip(NEXT) | instid1(VALU_DEP_3)
	v_dual_max_f32 v26, v26, v26 :: v_dual_min_f32 v25, v25, v31
	v_dual_min_f32 v24, v24, v32 :: v_dual_max_f32 v31, v7, v7
	s_delay_alu instid0(VALU_DEP_2) | instskip(NEXT) | instid1(VALU_DEP_2)
	v_dual_min_f32 v26, v26, v33 :: v_dual_max_f32 v27, v27, v27
	v_dual_add_f32 v25, v76, v25 :: v_dual_add_f32 v24, v77, v24
	s_delay_alu instid0(VALU_DEP_1) | instskip(NEXT) | instid1(VALU_DEP_1)
	v_dual_min_f32 v27, v27, v31 :: v_dual_add_f32 v24, v24, v26
	v_add_f32_e32 v25, v25, v27
	s_delay_alu instid0(VALU_DEP_1) | instskip(NEXT) | instid1(VALU_DEP_1)
	v_add_f32_e32 v24, v24, v25
	v_add_f32_e32 v26, v24, v30
	v_add_co_u32 v24, vcc_lo, v38, v28
	v_add_co_ci_u32_e32 v25, vcc_lo, v39, v29, vcc_lo
	global_store_b32 v[24:25], v26, off
	s_or_b32 exec_lo, exec_lo, s0
	s_and_b32 s1, s3, s8
	s_delay_alu instid0(SALU_CYCLE_1)
	s_and_saveexec_b32 s0, s1
	s_cbranch_execz .LBB95_160
.LBB95_177:
	v_cmp_ne_u32_e32 vcc_lo, 1, v100
	v_lshlrev_b64 v[24:25], 2, v[54:55]
	s_cbranch_vccnz .LBB95_179
; %bb.178:
	s_delay_alu instid0(VALU_DEP_1) | instskip(NEXT) | instid1(VALU_DEP_2)
	v_add_co_u32 v26, vcc_lo, v40, v24
	v_add_co_ci_u32_e32 v27, vcc_lo, v41, v25, vcc_lo
	flat_load_b32 v26, v[26:27]
	s_waitcnt vmcnt(0) lgkmcnt(0)
	v_mul_f32_e32 v26, s22, v26
	s_branch .LBB95_180
.LBB95_179:
	v_mov_b32_e32 v26, 0
.LBB95_180:
	v_dual_max_f32 v27, v5, v5 :: v_dual_max_f32 v28, v4, v4
	v_dual_max_f32 v21, v21, v21 :: v_dual_max_f32 v20, v20, v20
	v_max_f32_e32 v29, v6, v6
	s_delay_alu instid0(VALU_DEP_2) | instskip(NEXT) | instid1(VALU_DEP_3)
	v_dual_max_f32 v22, v22, v22 :: v_dual_min_f32 v21, v21, v27
	v_dual_min_f32 v20, v20, v28 :: v_dual_max_f32 v27, v7, v7
	s_delay_alu instid0(VALU_DEP_2) | instskip(NEXT) | instid1(VALU_DEP_2)
	v_min_f32_e32 v22, v22, v29
	v_dual_add_f32 v21, v74, v21 :: v_dual_add_f32 v20, v75, v20
	s_delay_alu instid0(VALU_DEP_1) | instskip(NEXT) | instid1(VALU_DEP_1)
	v_dual_max_f32 v23, v23, v23 :: v_dual_add_f32 v20, v20, v22
	v_min_f32_e32 v23, v23, v27
	s_delay_alu instid0(VALU_DEP_1) | instskip(NEXT) | instid1(VALU_DEP_1)
	v_add_f32_e32 v21, v21, v23
	v_add_f32_e32 v20, v20, v21
	s_delay_alu instid0(VALU_DEP_1)
	v_add_f32_e32 v22, v20, v26
	v_add_co_u32 v20, vcc_lo, v38, v24
	v_add_co_ci_u32_e32 v21, vcc_lo, v39, v25, vcc_lo
	global_store_b32 v[20:21], v22, off
	s_or_b32 exec_lo, exec_lo, s0
	s_and_b32 s1, s4, s8
	s_delay_alu instid0(SALU_CYCLE_1)
	s_and_saveexec_b32 s0, s1
	s_cbranch_execz .LBB95_161
.LBB95_181:
	v_cmp_ne_u32_e32 vcc_lo, 1, v100
	v_lshlrev_b64 v[20:21], 2, v[56:57]
	s_cbranch_vccnz .LBB95_183
; %bb.182:
	s_delay_alu instid0(VALU_DEP_1) | instskip(NEXT) | instid1(VALU_DEP_2)
	v_add_co_u32 v22, vcc_lo, v40, v20
	v_add_co_ci_u32_e32 v23, vcc_lo, v41, v21, vcc_lo
	flat_load_b32 v22, v[22:23]
	s_waitcnt vmcnt(0) lgkmcnt(0)
	v_mul_f32_e32 v22, s22, v22
	s_branch .LBB95_184
.LBB95_183:
	v_mov_b32_e32 v22, 0
.LBB95_184:
	v_dual_max_f32 v23, v5, v5 :: v_dual_max_f32 v24, v4, v4
	v_dual_max_f32 v17, v17, v17 :: v_dual_max_f32 v16, v16, v16
	v_max_f32_e32 v25, v6, v6
	s_delay_alu instid0(VALU_DEP_2) | instskip(NEXT) | instid1(VALU_DEP_3)
	v_dual_max_f32 v18, v18, v18 :: v_dual_min_f32 v17, v17, v23
	v_dual_min_f32 v16, v16, v24 :: v_dual_max_f32 v23, v7, v7
	s_delay_alu instid0(VALU_DEP_2) | instskip(NEXT) | instid1(VALU_DEP_2)
	v_dual_min_f32 v18, v18, v25 :: v_dual_max_f32 v19, v19, v19
	v_dual_add_f32 v16, v72, v16 :: v_dual_add_f32 v17, v73, v17
	s_delay_alu instid0(VALU_DEP_1) | instskip(NEXT) | instid1(VALU_DEP_1)
	v_dual_add_f32 v16, v16, v18 :: v_dual_min_f32 v19, v19, v23
	v_add_f32_e32 v17, v17, v19
	s_delay_alu instid0(VALU_DEP_1) | instskip(NEXT) | instid1(VALU_DEP_1)
	v_add_f32_e32 v16, v16, v17
	v_add_f32_e32 v18, v16, v22
	v_add_co_u32 v16, vcc_lo, v38, v20
	v_add_co_ci_u32_e32 v17, vcc_lo, v39, v21, vcc_lo
	global_store_b32 v[16:17], v18, off
	s_or_b32 exec_lo, exec_lo, s0
	s_and_b32 s1, s5, s8
	s_delay_alu instid0(SALU_CYCLE_1)
	s_and_saveexec_b32 s0, s1
	s_cbranch_execz .LBB95_162
.LBB95_185:
	v_cmp_ne_u32_e32 vcc_lo, 1, v100
	v_lshlrev_b64 v[16:17], 2, v[58:59]
	s_cbranch_vccnz .LBB95_187
; %bb.186:
	s_delay_alu instid0(VALU_DEP_1) | instskip(NEXT) | instid1(VALU_DEP_2)
	v_add_co_u32 v18, vcc_lo, v40, v16
	v_add_co_ci_u32_e32 v19, vcc_lo, v41, v17, vcc_lo
	flat_load_b32 v18, v[18:19]
	s_waitcnt vmcnt(0) lgkmcnt(0)
	v_mul_f32_e32 v18, s22, v18
	s_branch .LBB95_188
.LBB95_187:
	v_mov_b32_e32 v18, 0
.LBB95_188:
	v_dual_max_f32 v19, v5, v5 :: v_dual_max_f32 v20, v4, v4
	v_dual_max_f32 v13, v13, v13 :: v_dual_max_f32 v12, v12, v12
	v_max_f32_e32 v21, v6, v6
	s_delay_alu instid0(VALU_DEP_2) | instskip(NEXT) | instid1(VALU_DEP_3)
	v_dual_max_f32 v14, v14, v14 :: v_dual_min_f32 v13, v13, v19
	v_dual_min_f32 v12, v12, v20 :: v_dual_max_f32 v19, v7, v7
	s_delay_alu instid0(VALU_DEP_2) | instskip(NEXT) | instid1(VALU_DEP_2)
	v_min_f32_e32 v14, v14, v21
	v_dual_add_f32 v13, v70, v13 :: v_dual_add_f32 v12, v71, v12
	s_delay_alu instid0(VALU_DEP_1) | instskip(NEXT) | instid1(VALU_DEP_1)
	v_dual_max_f32 v15, v15, v15 :: v_dual_add_f32 v12, v12, v14
	v_min_f32_e32 v15, v15, v19
	s_delay_alu instid0(VALU_DEP_1) | instskip(NEXT) | instid1(VALU_DEP_1)
	v_add_f32_e32 v13, v13, v15
	v_add_f32_e32 v12, v12, v13
	s_delay_alu instid0(VALU_DEP_1)
	v_add_f32_e32 v14, v12, v18
	v_add_co_u32 v12, vcc_lo, v38, v16
	v_add_co_ci_u32_e32 v13, vcc_lo, v39, v17, vcc_lo
	global_store_b32 v[12:13], v14, off
	s_or_b32 exec_lo, exec_lo, s0
	s_and_b32 s1, s6, s8
	s_delay_alu instid0(SALU_CYCLE_1)
	s_and_saveexec_b32 s0, s1
	s_cbranch_execz .LBB95_163
.LBB95_189:
	v_cmp_ne_u32_e32 vcc_lo, 1, v100
	v_lshlrev_b64 v[12:13], 2, v[60:61]
	s_cbranch_vccnz .LBB95_191
; %bb.190:
	s_delay_alu instid0(VALU_DEP_1) | instskip(NEXT) | instid1(VALU_DEP_2)
	v_add_co_u32 v14, vcc_lo, v40, v12
	v_add_co_ci_u32_e32 v15, vcc_lo, v41, v13, vcc_lo
	flat_load_b32 v14, v[14:15]
	s_waitcnt vmcnt(0) lgkmcnt(0)
	v_mul_f32_e32 v14, s22, v14
	s_branch .LBB95_192
.LBB95_191:
	v_mov_b32_e32 v14, 0
.LBB95_192:
	v_dual_max_f32 v15, v5, v5 :: v_dual_max_f32 v16, v4, v4
	v_dual_max_f32 v9, v9, v9 :: v_dual_max_f32 v8, v8, v8
	v_max_f32_e32 v17, v6, v6
	s_delay_alu instid0(VALU_DEP_2) | instskip(NEXT) | instid1(VALU_DEP_3)
	v_dual_max_f32 v10, v10, v10 :: v_dual_min_f32 v9, v9, v15
	v_dual_min_f32 v8, v8, v16 :: v_dual_max_f32 v15, v7, v7
	s_delay_alu instid0(VALU_DEP_2) | instskip(NEXT) | instid1(VALU_DEP_2)
	v_dual_min_f32 v10, v10, v17 :: v_dual_max_f32 v11, v11, v11
	v_dual_add_f32 v8, v68, v8 :: v_dual_add_f32 v9, v69, v9
	s_delay_alu instid0(VALU_DEP_1) | instskip(NEXT) | instid1(VALU_DEP_1)
	v_dual_add_f32 v8, v8, v10 :: v_dual_min_f32 v11, v11, v15
	v_add_f32_e32 v9, v9, v11
	s_delay_alu instid0(VALU_DEP_1) | instskip(NEXT) | instid1(VALU_DEP_1)
	v_add_f32_e32 v8, v8, v9
	v_add_f32_e32 v10, v8, v14
	v_add_co_u32 v8, vcc_lo, v38, v12
	v_add_co_ci_u32_e32 v9, vcc_lo, v39, v13, vcc_lo
	global_store_b32 v[8:9], v10, off
	s_or_b32 exec_lo, exec_lo, s0
	s_and_b32 s0, s7, s8
	s_delay_alu instid0(SALU_CYCLE_1)
	s_and_saveexec_b32 s1, s0
	s_cbranch_execz .LBB95_164
.LBB95_193:
	v_cmp_ne_u32_e32 vcc_lo, 1, v100
	v_lshlrev_b64 v[8:9], 2, v[62:63]
	s_cbranch_vccnz .LBB95_195
; %bb.194:
	s_delay_alu instid0(VALU_DEP_1) | instskip(NEXT) | instid1(VALU_DEP_2)
	v_add_co_u32 v10, vcc_lo, v40, v8
	v_add_co_ci_u32_e32 v11, vcc_lo, v41, v9, vcc_lo
	flat_load_b32 v10, v[10:11]
	s_waitcnt vmcnt(0) lgkmcnt(0)
	v_mul_f32_e32 v10, s22, v10
	s_branch .LBB95_196
.LBB95_195:
	v_mov_b32_e32 v10, 0
.LBB95_196:
	v_dual_max_f32 v5, v5, v5 :: v_dual_max_f32 v4, v4, v4
	v_dual_max_f32 v1, v1, v1 :: v_dual_max_f32 v0, v0, v0
	v_max_f32_e32 v6, v6, v6
	v_dual_max_f32 v2, v2, v2 :: v_dual_max_f32 v3, v3, v3
	s_delay_alu instid0(VALU_DEP_3) | instskip(NEXT) | instid1(VALU_DEP_2)
	v_dual_min_f32 v1, v1, v5 :: v_dual_min_f32 v0, v0, v4
	v_dual_max_f32 v5, v7, v7 :: v_dual_min_f32 v2, v2, v6
	s_delay_alu instid0(VALU_DEP_2) | instskip(NEXT) | instid1(VALU_DEP_1)
	v_dual_add_f32 v1, v67, v1 :: v_dual_add_f32 v0, v66, v0
	v_dual_min_f32 v3, v3, v5 :: v_dual_add_f32 v0, v0, v2
	s_delay_alu instid0(VALU_DEP_1) | instskip(NEXT) | instid1(VALU_DEP_1)
	v_add_f32_e32 v1, v1, v3
	v_add_f32_e32 v0, v0, v1
	s_delay_alu instid0(VALU_DEP_1)
	v_add_f32_e32 v2, v0, v10
	v_add_co_u32 v0, vcc_lo, v38, v8
	v_add_co_ci_u32_e32 v1, vcc_lo, v39, v9, vcc_lo
	global_store_b32 v[0:1], v2, off
	s_nop 0
	s_sendmsg sendmsg(MSG_DEALLOC_VGPRS)
	s_endpgm
	.section	.rodata,"a",@progbits
	.p2align	6, 0x0
	.amdhsa_kernel _ZN12_GLOBAL__N_120geam_min_plus_kernelIf15HIP_vector_typeIfLj2EES2_Li8ELi32ELi64ELi128ELi4ELi64ELi4ELi64ELi4ELc78ELc84ELb0ELb1ELb0EfKffEEviiiT16_PT17_ilS6_ilS4_S6_ilPT18_ili26rocblas_geam_ex_operation_
		.amdhsa_group_segment_fixed_size 6144
		.amdhsa_private_segment_fixed_size 0
		.amdhsa_kernarg_size 128
		.amdhsa_user_sgpr_count 14
		.amdhsa_user_sgpr_dispatch_ptr 0
		.amdhsa_user_sgpr_queue_ptr 0
		.amdhsa_user_sgpr_kernarg_segment_ptr 1
		.amdhsa_user_sgpr_dispatch_id 0
		.amdhsa_user_sgpr_private_segment_size 0
		.amdhsa_wavefront_size32 1
		.amdhsa_uses_dynamic_stack 0
		.amdhsa_enable_private_segment 0
		.amdhsa_system_sgpr_workgroup_id_x 1
		.amdhsa_system_sgpr_workgroup_id_y 0
		.amdhsa_system_sgpr_workgroup_id_z 1
		.amdhsa_system_sgpr_workgroup_info 0
		.amdhsa_system_vgpr_workitem_id 1
		.amdhsa_next_free_vgpr 230
		.amdhsa_next_free_sgpr 32
		.amdhsa_reserve_vcc 1
		.amdhsa_float_round_mode_32 0
		.amdhsa_float_round_mode_16_64 0
		.amdhsa_float_denorm_mode_32 3
		.amdhsa_float_denorm_mode_16_64 3
		.amdhsa_dx10_clamp 1
		.amdhsa_ieee_mode 1
		.amdhsa_fp16_overflow 0
		.amdhsa_workgroup_processor_mode 1
		.amdhsa_memory_ordered 1
		.amdhsa_forward_progress 0
		.amdhsa_shared_vgpr_count 0
		.amdhsa_exception_fp_ieee_invalid_op 0
		.amdhsa_exception_fp_denorm_src 0
		.amdhsa_exception_fp_ieee_div_zero 0
		.amdhsa_exception_fp_ieee_overflow 0
		.amdhsa_exception_fp_ieee_underflow 0
		.amdhsa_exception_fp_ieee_inexact 0
		.amdhsa_exception_int_div_zero 0
	.end_amdhsa_kernel
	.section	.text._ZN12_GLOBAL__N_120geam_min_plus_kernelIf15HIP_vector_typeIfLj2EES2_Li8ELi32ELi64ELi128ELi4ELi64ELi4ELi64ELi4ELc78ELc84ELb0ELb1ELb0EfKffEEviiiT16_PT17_ilS6_ilS4_S6_ilPT18_ili26rocblas_geam_ex_operation_,"axG",@progbits,_ZN12_GLOBAL__N_120geam_min_plus_kernelIf15HIP_vector_typeIfLj2EES2_Li8ELi32ELi64ELi128ELi4ELi64ELi4ELi64ELi4ELc78ELc84ELb0ELb1ELb0EfKffEEviiiT16_PT17_ilS6_ilS4_S6_ilPT18_ili26rocblas_geam_ex_operation_,comdat
.Lfunc_end95:
	.size	_ZN12_GLOBAL__N_120geam_min_plus_kernelIf15HIP_vector_typeIfLj2EES2_Li8ELi32ELi64ELi128ELi4ELi64ELi4ELi64ELi4ELc78ELc84ELb0ELb1ELb0EfKffEEviiiT16_PT17_ilS6_ilS4_S6_ilPT18_ili26rocblas_geam_ex_operation_, .Lfunc_end95-_ZN12_GLOBAL__N_120geam_min_plus_kernelIf15HIP_vector_typeIfLj2EES2_Li8ELi32ELi64ELi128ELi4ELi64ELi4ELi64ELi4ELc78ELc84ELb0ELb1ELb0EfKffEEviiiT16_PT17_ilS6_ilS4_S6_ilPT18_ili26rocblas_geam_ex_operation_
                                        ; -- End function
	.section	.AMDGPU.csdata,"",@progbits
; Kernel info:
; codeLenInByte = 13356
; NumSgprs: 34
; NumVgprs: 230
; ScratchSize: 0
; MemoryBound: 0
; FloatMode: 240
; IeeeMode: 1
; LDSByteSize: 6144 bytes/workgroup (compile time only)
; SGPRBlocks: 4
; VGPRBlocks: 28
; NumSGPRsForWavesPerEU: 34
; NumVGPRsForWavesPerEU: 230
; Occupancy: 6
; WaveLimiterHint : 0
; COMPUTE_PGM_RSRC2:SCRATCH_EN: 0
; COMPUTE_PGM_RSRC2:USER_SGPR: 14
; COMPUTE_PGM_RSRC2:TRAP_HANDLER: 0
; COMPUTE_PGM_RSRC2:TGID_X_EN: 1
; COMPUTE_PGM_RSRC2:TGID_Y_EN: 0
; COMPUTE_PGM_RSRC2:TGID_Z_EN: 1
; COMPUTE_PGM_RSRC2:TIDIG_COMP_CNT: 1
	.section	.text._ZN12_GLOBAL__N_120geam_min_plus_kernelIf15HIP_vector_typeIfLj2EES2_Li8ELi32ELi64ELi128ELi4ELi4ELi64ELi64ELi4ELc84ELc84ELb0ELb0ELb0EPKfS3_fEEviiiT16_PT17_ilS7_ilS5_S7_ilPT18_ili26rocblas_geam_ex_operation_,"axG",@progbits,_ZN12_GLOBAL__N_120geam_min_plus_kernelIf15HIP_vector_typeIfLj2EES2_Li8ELi32ELi64ELi128ELi4ELi4ELi64ELi64ELi4ELc84ELc84ELb0ELb0ELb0EPKfS3_fEEviiiT16_PT17_ilS7_ilS5_S7_ilPT18_ili26rocblas_geam_ex_operation_,comdat
	.globl	_ZN12_GLOBAL__N_120geam_min_plus_kernelIf15HIP_vector_typeIfLj2EES2_Li8ELi32ELi64ELi128ELi4ELi4ELi64ELi64ELi4ELc84ELc84ELb0ELb0ELb0EPKfS3_fEEviiiT16_PT17_ilS7_ilS5_S7_ilPT18_ili26rocblas_geam_ex_operation_ ; -- Begin function _ZN12_GLOBAL__N_120geam_min_plus_kernelIf15HIP_vector_typeIfLj2EES2_Li8ELi32ELi64ELi128ELi4ELi4ELi64ELi64ELi4ELc84ELc84ELb0ELb0ELb0EPKfS3_fEEviiiT16_PT17_ilS7_ilS5_S7_ilPT18_ili26rocblas_geam_ex_operation_
	.p2align	8
	.type	_ZN12_GLOBAL__N_120geam_min_plus_kernelIf15HIP_vector_typeIfLj2EES2_Li8ELi32ELi64ELi128ELi4ELi4ELi64ELi64ELi4ELc84ELc84ELb0ELb0ELb0EPKfS3_fEEviiiT16_PT17_ilS7_ilS5_S7_ilPT18_ili26rocblas_geam_ex_operation_,@function
_ZN12_GLOBAL__N_120geam_min_plus_kernelIf15HIP_vector_typeIfLj2EES2_Li8ELi32ELi64ELi128ELi4ELi4ELi64ELi64ELi4ELc84ELc84ELb0ELb0ELb0EPKfS3_fEEviiiT16_PT17_ilS7_ilS5_S7_ilPT18_ili26rocblas_geam_ex_operation_: ; @_ZN12_GLOBAL__N_120geam_min_plus_kernelIf15HIP_vector_typeIfLj2EES2_Li8ELi32ELi64ELi128ELi4ELi4ELi64ELi64ELi4ELc84ELc84ELb0ELb0ELb0EPKfS3_fEEviiiT16_PT17_ilS7_ilS5_S7_ilPT18_ili26rocblas_geam_ex_operation_
; %bb.0:
	s_clause 0x1
	s_load_b128 s[16:19], s[0:1], 0x10
	s_load_b128 s[4:7], s[0:1], 0x28
	s_mov_b32 s12, s15
	s_mov_b32 s13, 0
	s_delay_alu instid0(SALU_CYCLE_1)
	s_lshl_b64 s[2:3], s[12:13], 2
	s_waitcnt lgkmcnt(0)
	s_add_u32 s8, s16, s2
	s_addc_u32 s9, s17, s3
	s_mov_b64 s[16:17], 0
	s_load_b32 s15, s[8:9], 0x0
	s_clause 0x1
	s_load_b128 s[8:11], s[0:1], 0x40
	s_load_b64 s[20:21], s[0:1], 0x50
	s_waitcnt lgkmcnt(0)
	v_cmp_eq_f32_e64 s13, s15, 0
	v_cmp_neq_f32_e64 s22, s15, 0
	s_add_u32 s2, s10, s2
	s_addc_u32 s3, s11, s3
	s_mov_b64 s[10:11], 0
	s_and_b32 vcc_lo, exec_lo, s13
	s_cbranch_vccnz .LBB96_2
; %bb.1:
	s_mul_i32 s5, s12, s5
	s_mul_hi_u32 s13, s12, s4
	s_mul_i32 s4, s12, s4
	s_add_i32 s5, s13, s5
	s_delay_alu instid0(SALU_CYCLE_1) | instskip(NEXT) | instid1(SALU_CYCLE_1)
	s_lshl_b64 s[4:5], s[4:5], 2
	s_add_u32 s16, s18, s4
	s_addc_u32 s17, s19, s5
.LBB96_2:
	s_load_b32 s13, s[2:3], 0x0
	v_cndmask_b32_e64 v1, 0, 1, s22
	s_and_not1_b32 vcc_lo, exec_lo, s22
	s_delay_alu instid0(VALU_DEP_1)
	v_cmp_ne_u32_e64 s3, 1, v1
	s_cbranch_vccnz .LBB96_4
; %bb.3:
	s_mul_i32 s2, s12, s9
	s_mul_hi_u32 s4, s12, s8
	s_delay_alu instid0(SALU_CYCLE_1) | instskip(SKIP_1) | instid1(SALU_CYCLE_1)
	s_add_i32 s5, s4, s2
	s_mul_i32 s4, s12, s8
	s_lshl_b64 s[4:5], s[4:5], 2
	s_delay_alu instid0(SALU_CYCLE_1)
	s_add_u32 s10, s6, s4
	s_addc_u32 s11, s7, s5
.LBB96_4:
	s_load_b128 s[4:7], s[0:1], 0x60
	s_waitcnt lgkmcnt(0)
	v_cmp_eq_f32_e64 s2, s13, 0
	s_delay_alu instid0(VALU_DEP_1) | instskip(NEXT) | instid1(SALU_CYCLE_1)
	s_and_b32 s2, exec_lo, s2
	s_mov_b32 vcc_lo, s2
	s_cbranch_vccnz .LBB96_6
; %bb.5:
	s_mul_i32 s5, s12, s5
	s_mul_hi_u32 s8, s12, s4
	s_mul_i32 s4, s12, s4
	s_add_i32 s5, s8, s5
	s_delay_alu instid0(SALU_CYCLE_1) | instskip(NEXT) | instid1(SALU_CYCLE_1)
	s_lshl_b64 s[4:5], s[4:5], 2
	s_add_u32 s4, s20, s4
	s_addc_u32 s5, s21, s5
	s_branch .LBB96_7
.LBB96_6:
	s_mov_b64 s[4:5], 0
.LBB96_7:
	s_clause 0x1
	s_load_b32 s8, s[0:1], 0x0
	s_load_b32 s19, s[0:1], 0x20
	v_and_b32_e32 v54, 0x3ff, v0
	v_bfe_u32 v55, v0, 10, 10
	s_delay_alu instid0(VALU_DEP_2) | instskip(NEXT) | instid1(VALU_DEP_1)
	v_and_b32_e32 v0, 3, v54
	v_lshlrev_b32_e32 v2, 2, v0
	s_waitcnt lgkmcnt(0)
	s_add_i32 s8, s8, -1
	s_delay_alu instid0(SALU_CYCLE_1) | instskip(NEXT) | instid1(SALU_CYCLE_1)
	s_ashr_i32 s9, s8, 31
	s_lshr_b32 s9, s9, 26
	s_delay_alu instid0(SALU_CYCLE_1) | instskip(NEXT) | instid1(SALU_CYCLE_1)
	s_add_i32 s8, s8, s9
	s_ashr_i32 s8, s8, 6
	s_delay_alu instid0(SALU_CYCLE_1) | instskip(SKIP_2) | instid1(VALU_DEP_1)
	s_add_i32 s18, s8, 1
	s_not_b32 s8, s8
	v_cvt_f32_u32_e32 v1, s18
	v_rcp_iflag_f32_e32 v1, v1
	s_waitcnt_depctr 0xfff
	v_mul_f32_e32 v1, 0x4f7ffffe, v1
	s_delay_alu instid0(VALU_DEP_1) | instskip(NEXT) | instid1(VALU_DEP_1)
	v_cvt_u32_f32_e32 v1, v1
	v_readfirstlane_b32 s9, v1
	v_lshl_add_u32 v1, v55, 3, v54
	s_delay_alu instid0(VALU_DEP_2) | instskip(NEXT) | instid1(VALU_DEP_1)
	s_mul_i32 s8, s8, s9
	v_lshrrev_b32_e32 v8, 2, v1
	s_mul_hi_u32 s8, s9, s8
	s_delay_alu instid0(SALU_CYCLE_1) | instskip(NEXT) | instid1(SALU_CYCLE_1)
	s_add_i32 s9, s9, s8
	s_mul_hi_u32 s8, s14, s9
	s_delay_alu instid0(SALU_CYCLE_1) | instskip(SKIP_2) | instid1(SALU_CYCLE_1)
	s_mul_i32 s9, s8, s18
	s_add_i32 s20, s8, 1
	s_sub_i32 s9, s14, s9
	s_sub_i32 s21, s9, s18
	s_cmp_ge_u32 s9, s18
	s_cselect_b32 s8, s20, s8
	s_cselect_b32 s9, s21, s9
	s_add_i32 s20, s8, 1
	s_cmp_ge_u32 s9, s18
	s_cselect_b32 s9, s20, s8
	s_and_b32 vcc_lo, exec_lo, s3
	s_mul_i32 s8, s9, s18
	s_delay_alu instid0(SALU_CYCLE_1) | instskip(NEXT) | instid1(SALU_CYCLE_1)
	s_sub_i32 s8, s14, s8
	s_lshl_b32 s14, s8, 6
	s_delay_alu instid0(SALU_CYCLE_1)
	v_add_nc_u32_e32 v3, s14, v8
	s_cbranch_vccnz .LBB96_9
; %bb.8:
	s_delay_alu instid0(VALU_DEP_1) | instskip(NEXT) | instid1(VALU_DEP_1)
	v_mad_i64_i32 v[4:5], null, v3, s19, 0
	v_lshlrev_b64 v[4:5], 2, v[4:5]
	s_delay_alu instid0(VALU_DEP_1) | instskip(NEXT) | instid1(VALU_DEP_2)
	v_add_co_u32 v0, vcc_lo, s16, v4
	v_add_co_ci_u32_e32 v5, vcc_lo, s17, v5, vcc_lo
	s_delay_alu instid0(VALU_DEP_2) | instskip(NEXT) | instid1(VALU_DEP_2)
	v_add_co_u32 v4, vcc_lo, v0, v2
	v_add_co_ci_u32_e32 v5, vcc_lo, 0, v5, vcc_lo
	flat_load_b32 v0, v[4:5]
	s_waitcnt vmcnt(0) lgkmcnt(0)
	v_mul_f32_e32 v9, s15, v0
	s_branch .LBB96_10
.LBB96_9:
	v_mov_b32_e32 v9, 0
.LBB96_10:
	s_load_b32 s8, s[0:1], 0x38
	v_and_b32_e32 v5, 63, v1
	s_lshl_b32 s18, s9, 7
	v_lshrrev_b32_e32 v4, 6, v1
	s_and_b32 vcc_lo, exec_lo, s3
	s_delay_alu instid0(VALU_DEP_2) | instskip(NEXT) | instid1(VALU_DEP_1)
	v_or_b32_e32 v0, s18, v5
	v_ashrrev_i32_e32 v1, 31, v0
	s_waitcnt lgkmcnt(0)
	s_ashr_i32 s9, s8, 31
	s_cbranch_vccnz .LBB96_14
; %bb.11:
	v_mad_i64_i32 v[6:7], null, s8, v4, 0
	v_lshlrev_b64 v[10:11], 2, v[0:1]
	s_delay_alu instid0(VALU_DEP_2) | instskip(NEXT) | instid1(VALU_DEP_1)
	v_lshlrev_b64 v[6:7], 2, v[6:7]
	v_add_co_u32 v6, vcc_lo, s10, v6
	s_delay_alu instid0(VALU_DEP_2) | instskip(NEXT) | instid1(VALU_DEP_2)
	v_add_co_ci_u32_e32 v7, vcc_lo, s11, v7, vcc_lo
	v_add_co_u32 v6, vcc_lo, v6, v10
	s_delay_alu instid0(VALU_DEP_2)
	v_add_co_ci_u32_e32 v7, vcc_lo, v7, v11, vcc_lo
	s_clause 0x1
	flat_load_b32 v10, v[6:7]
	flat_load_b32 v6, v[6:7] offset:256
	s_waitcnt vmcnt(1) lgkmcnt(1)
	v_mul_f32_e32 v10, s15, v10
	s_waitcnt vmcnt(0) lgkmcnt(0)
	v_mul_f32_e32 v11, s15, v6
	s_and_b32 vcc_lo, exec_lo, s3
	s_cbranch_vccnz .LBB96_15
.LBB96_12:
	v_mad_i64_i32 v[6:7], null, v3, s19, 0
	s_delay_alu instid0(VALU_DEP_1) | instskip(NEXT) | instid1(VALU_DEP_1)
	v_lshlrev_b64 v[6:7], 2, v[6:7]
	v_add_co_u32 v6, vcc_lo, s16, v6
	s_delay_alu instid0(VALU_DEP_2) | instskip(NEXT) | instid1(VALU_DEP_2)
	v_add_co_ci_u32_e32 v7, vcc_lo, s17, v7, vcc_lo
	v_add_co_u32 v6, vcc_lo, v6, v2
	s_delay_alu instid0(VALU_DEP_2)
	v_add_co_ci_u32_e32 v7, vcc_lo, 0, v7, vcc_lo
	flat_load_b32 v6, v[6:7] offset:16
	s_waitcnt vmcnt(0) lgkmcnt(0)
	v_mul_f32_e32 v6, s15, v6
	s_and_b32 vcc_lo, exec_lo, s3
	s_cbranch_vccnz .LBB96_16
.LBB96_13:
	v_add_nc_u32_e32 v7, 4, v4
	v_lshlrev_b64 v[0:1], 2, v[0:1]
	s_delay_alu instid0(VALU_DEP_2) | instskip(NEXT) | instid1(VALU_DEP_1)
	v_mad_i64_i32 v[12:13], null, s8, v7, 0
	v_lshlrev_b64 v[12:13], 2, v[12:13]
	s_delay_alu instid0(VALU_DEP_1) | instskip(NEXT) | instid1(VALU_DEP_2)
	v_add_co_u32 v7, vcc_lo, s10, v12
	v_add_co_ci_u32_e32 v12, vcc_lo, s11, v13, vcc_lo
	s_delay_alu instid0(VALU_DEP_2) | instskip(NEXT) | instid1(VALU_DEP_2)
	v_add_co_u32 v0, vcc_lo, v7, v0
	v_add_co_ci_u32_e32 v1, vcc_lo, v12, v1, vcc_lo
	s_clause 0x1
	flat_load_b32 v7, v[0:1]
	flat_load_b32 v0, v[0:1] offset:256
	s_waitcnt vmcnt(1) lgkmcnt(1)
	v_mul_f32_e32 v1, s15, v7
	s_waitcnt vmcnt(0) lgkmcnt(0)
	v_mul_f32_e32 v7, s15, v0
	s_branch .LBB96_17
.LBB96_14:
	v_dual_mov_b32 v10, 0 :: v_dual_mov_b32 v11, 0
	s_and_b32 vcc_lo, exec_lo, s3
	s_cbranch_vccz .LBB96_12
.LBB96_15:
	v_mov_b32_e32 v6, 0
	s_and_b32 vcc_lo, exec_lo, s3
	s_cbranch_vccz .LBB96_13
.LBB96_16:
	v_mov_b32_e32 v1, 0
	v_mov_b32_e32 v7, 0
.LBB96_17:
	v_lshlrev_b32_e32 v12, 2, v4
	v_lshl_or_b32 v0, v8, 4, v2
	v_lshlrev_b32_e32 v56, 4, v55
	v_lshlrev_b32_e32 v57, 4, v54
	s_load_b32 s20, s[0:1], 0x8
	v_lshl_add_u32 v72, v5, 4, v12
	ds_store_b32 v0, v9 offset:4096
	ds_store_2addr_stride64_b32 v72, v10, v11 offset1:4
	s_waitcnt lgkmcnt(0)
	s_barrier
	buffer_gl0_inv
	ds_load_b128 v[8:11], v56
	ds_load_b128 v[12:15], v57 offset:4096
	ds_load_b128 v[16:19], v57 offset:4224
	;; [unrolled: 1-line block ×11, first 2 shown]
	ds_store_b32 v0, v6 offset:5120
	ds_store_2addr_stride64_b32 v72, v1, v7 offset0:8 offset1:12
	s_waitcnt lgkmcnt(0)
	s_barrier
	buffer_gl0_inv
	v_max_f32_e32 v8, v8, v8
	v_dual_max_f32 v12, v12, v12 :: v_dual_max_f32 v17, v17, v17
	v_dual_max_f32 v9, v9, v9 :: v_dual_max_f32 v16, v16, v16
	s_delay_alu instid0(VALU_DEP_2)
	v_dual_max_f32 v21, v21, v21 :: v_dual_min_f32 v52, v12, v8
	v_dual_max_f32 v25, v25, v25 :: v_dual_max_f32 v28, v28, v28
	v_dual_max_f32 v32, v32, v32 :: v_dual_max_f32 v37, v37, v37
	;; [unrolled: 1-line block ×3, first 2 shown]
	v_dual_max_f32 v24, v24, v24 :: v_dual_min_f32 v63, v17, v9
	v_dual_min_f32 v62, v16, v8 :: v_dual_max_f32 v29, v29, v29
	v_dual_min_f32 v67, v25, v9 :: v_dual_min_f32 v68, v28, v8
	v_dual_max_f32 v33, v33, v33 :: v_dual_max_f32 v36, v36, v36
	v_dual_max_f32 v40, v40, v40 :: v_dual_max_f32 v11, v11, v11
	v_dual_min_f32 v70, v32, v8 :: v_dual_max_f32 v41, v41, v41
	v_dual_max_f32 v10, v10, v10 :: v_dual_max_f32 v45, v45, v45
	v_dual_max_f32 v44, v44, v44 :: v_dual_min_f32 v53, v13, v9
	v_dual_min_f32 v64, v20, v8 :: v_dual_min_f32 v65, v21, v9
	v_dual_min_f32 v66, v24, v8 :: v_dual_min_f32 v69, v29, v9
	v_min_f32_e32 v71, v33, v9
	v_dual_min_f32 v73, v36, v8 :: v_dual_min_f32 v74, v37, v9
	v_dual_min_f32 v8, v40, v8 :: v_dual_max_f32 v15, v15, v15
	v_dual_min_f32 v9, v41, v9 :: v_dual_max_f32 v14, v14, v14
	;; [unrolled: 1-line block ×3, first 2 shown]
	v_dual_max_f32 v19, v19, v19 :: v_dual_min_f32 v76, v13, v45
	v_dual_min_f32 v77, v16, v44 :: v_dual_max_f32 v22, v22, v22
	v_dual_max_f32 v23, v23, v23 :: v_dual_min_f32 v78, v17, v45
	v_dual_min_f32 v79, v20, v44 :: v_dual_min_f32 v80, v21, v45
	v_dual_min_f32 v81, v24, v44 :: v_dual_min_f32 v82, v25, v45
	v_min_f32_e32 v83, v28, v44
	v_dual_min_f32 v84, v32, v44 :: v_dual_max_f32 v39, v39, v39
	v_dual_max_f32 v48, v48, v48 :: v_dual_max_f32 v43, v43, v43
	v_dual_max_f32 v38, v38, v38 :: v_dual_min_f32 v85, v36, v44
	v_dual_min_f32 v44, v40, v44 :: v_dual_max_f32 v49, v49, v49
	v_dual_max_f32 v46, v46, v46 :: v_dual_max_f32 v59, v59, v59
	s_delay_alu instid0(VALU_DEP_4)
	v_dual_max_f32 v58, v58, v58 :: v_dual_min_f32 v127, v36, v48
	v_dual_max_f32 v26, v26, v26 :: v_dual_max_f32 v27, v27, v27
	v_dual_max_f32 v30, v30, v30 :: v_dual_max_f32 v31, v31, v31
	v_dual_min_f32 v86, v12, v48 :: v_dual_max_f32 v47, v47, v47
	v_dual_max_f32 v42, v42, v42 :: v_dual_min_f32 v123, v20, v48
	v_dual_min_f32 v88, v16, v48 :: v_dual_max_f32 v51, v51, v51
	v_dual_min_f32 v124, v24, v48 :: v_dual_max_f32 v61, v61, v61
	v_dual_max_f32 v50, v50, v50 :: v_dual_max_f32 v125, v60, v60
	v_dual_min_f32 v60, v28, v48 :: v_dual_min_f32 v87, v33, v45
	v_dual_min_f32 v126, v32, v48 :: v_dual_min_f32 v89, v37, v45
	v_min_f32_e32 v48, v40, v48
	v_dual_min_f32 v12, v12, v58 :: v_dual_min_f32 v91, v17, v49
	v_dual_min_f32 v16, v16, v58 :: v_dual_min_f32 v129, v25, v49
	;; [unrolled: 1-line block ×3, first 2 shown]
	v_min_f32_e32 v24, v24, v58
	v_min_f32_e32 v28, v28, v58
	v_dual_min_f32 v32, v32, v58 :: v_dual_min_f32 v17, v17, v59
	v_min_f32_e32 v36, v36, v58
	v_dual_min_f32 v40, v40, v58 :: v_dual_min_f32 v25, v25, v59
	v_min_f32_e32 v58, v29, v45
	v_min_f32_e32 v45, v41, v45
	v_dual_min_f32 v90, v13, v49 :: v_dual_add_f32 v63, 0, v63
	v_dual_min_f32 v128, v21, v49 :: v_dual_min_f32 v93, v19, v11
	v_dual_min_f32 v130, v29, v49 :: v_dual_min_f32 v95, v23, v11
	v_min_f32_e32 v132, v37, v49
	v_min_f32_e32 v49, v41, v49
	;; [unrolled: 1-line block ×4, first 2 shown]
	v_dual_min_f32 v29, v29, v59 :: v_dual_add_f32 v52, 0, v52
	v_dual_min_f32 v33, v33, v59 :: v_dual_min_f32 v92, v14, v10
	v_dual_min_f32 v37, v37, v59 :: v_dual_add_f32 v62, 0, v62
	v_dual_min_f32 v41, v41, v59 :: v_dual_min_f32 v94, v18, v10
	s_delay_alu instid0(VALU_DEP_3) | instskip(SKIP_1) | instid1(VALU_DEP_3)
	v_dual_add_f32 v53, 0, v53 :: v_dual_add_f32 v122, v92, v52
	v_min_f32_e32 v59, v15, v11
	v_dual_add_f32 v65, 0, v65 :: v_dual_add_f32 v120, v94, v62
	v_dual_max_f32 v34, v34, v34 :: v_dual_max_f32 v35, v35, v35
	s_delay_alu instid0(VALU_DEP_3) | instskip(SKIP_1) | instid1(VALU_DEP_4)
	v_dual_add_f32 v121, v59, v53 :: v_dual_add_f32 v52, 0, v64
	v_dual_add_f32 v119, v93, v63 :: v_dual_min_f32 v64, v26, v10
	v_add_f32_e32 v117, v95, v65
	v_min_f32_e32 v53, v22, v10
	v_add_f32_e32 v59, 0, v67
	v_dual_min_f32 v62, v27, v11 :: v_dual_add_f32 v63, 0, v66
	v_dual_add_f32 v65, 0, v69 :: v_dual_min_f32 v66, v31, v11
	v_dual_add_f32 v67, 0, v68 :: v_dual_min_f32 v68, v30, v10
	s_delay_alu instid0(VALU_DEP_3) | instskip(NEXT) | instid1(VALU_DEP_4)
	v_add_f32_e32 v116, v64, v63
	v_dual_add_f32 v118, v53, v52 :: v_dual_add_f32 v115, v62, v59
	s_delay_alu instid0(VALU_DEP_4) | instskip(NEXT) | instid1(VALU_DEP_4)
	v_dual_add_f32 v8, 0, v8 :: v_dual_add_f32 v113, v66, v65
	v_add_f32_e32 v114, v68, v67
	v_dual_add_f32 v52, 0, v71 :: v_dual_add_f32 v59, 0, v70
	v_dual_min_f32 v53, v35, v11 :: v_dual_min_f32 v62, v34, v10
	v_dual_add_f32 v63, 0, v74 :: v_dual_min_f32 v64, v39, v11
	v_dual_add_f32 v65, 0, v73 :: v_dual_min_f32 v66, v38, v10
	s_delay_alu instid0(VALU_DEP_3) | instskip(SKIP_1) | instid1(VALU_DEP_3)
	v_dual_add_f32 v9, 0, v9 :: v_dual_add_f32 v112, v62, v59
	v_min_f32_e32 v11, v43, v11
	v_dual_add_f32 v109, v64, v63 :: v_dual_add_f32 v110, v66, v65
	v_dual_add_f32 v63, 0, v77 :: v_dual_min_f32 v64, v18, v46
	s_delay_alu instid0(VALU_DEP_3) | instskip(SKIP_2) | instid1(VALU_DEP_2)
	v_add_f32_e32 v107, v11, v9
	v_dual_min_f32 v9, v42, v10 :: v_dual_min_f32 v62, v19, v47
	v_dual_add_f32 v111, v53, v52 :: v_dual_add_f32 v52, 0, v75
	v_dual_min_f32 v11, v15, v47 :: v_dual_add_f32 v108, v9, v8
	v_dual_add_f32 v8, 0, v80 :: v_dual_min_f32 v53, v14, v46
	v_dual_add_f32 v104, v64, v63 :: v_dual_add_f32 v59, 0, v78
	v_dual_add_f32 v10, 0, v76 :: v_dual_min_f32 v9, v23, v47
	s_delay_alu instid0(VALU_DEP_3) | instskip(NEXT) | instid1(VALU_DEP_3)
	v_add_f32_e32 v106, v53, v52
	v_dual_add_f32 v52, 0, v82 :: v_dual_add_f32 v103, v62, v59
	v_dual_min_f32 v53, v27, v47 :: v_dual_add_f32 v58, 0, v58
	s_delay_alu instid0(VALU_DEP_4) | instskip(NEXT) | instid1(VALU_DEP_2)
	v_dual_add_f32 v105, v11, v10 :: v_dual_add_f32 v10, 0, v79
	v_dual_min_f32 v11, v22, v46 :: v_dual_add_f32 v98, v53, v52
	v_dual_add_f32 v59, 0, v81 :: v_dual_min_f32 v62, v26, v46
	v_dual_min_f32 v63, v31, v47 :: v_dual_add_f32 v52, 0, v84
	s_delay_alu instid0(VALU_DEP_3) | instskip(NEXT) | instid1(VALU_DEP_2)
	v_dual_add_f32 v102, v11, v10 :: v_dual_add_f32 v101, v9, v8
	v_dual_add_f32 v100, v62, v59 :: v_dual_add_f32 v97, v63, v58
	v_dual_add_f32 v8, 0, v83 :: v_dual_min_f32 v9, v30, v46
	v_add_f32_e32 v10, 0, v87
	v_dual_min_f32 v11, v35, v47 :: v_dual_add_f32 v58, 0, v89
	v_dual_min_f32 v53, v34, v46 :: v_dual_add_f32 v62, 0, v85
	v_min_f32_e32 v59, v39, v47
	v_min_f32_e32 v63, v38, v46
	v_add_f32_e32 v99, v9, v8
	v_dual_add_f32 v95, v11, v10 :: v_dual_add_f32 v10, 0, v44
	s_delay_alu instid0(VALU_DEP_4)
	v_dual_add_f32 v96, v53, v52 :: v_dual_add_f32 v93, v59, v58
	v_add_f32_e32 v52, 0, v91
	v_dual_add_f32 v8, 0, v45 :: v_dual_min_f32 v9, v43, v47
	v_add_f32_e32 v44, 0, v90
	v_min_f32_e32 v11, v42, v46
	v_dual_min_f32 v45, v15, v51 :: v_dual_add_f32 v46, 0, v86
	v_min_f32_e32 v47, v14, v50
	v_min_f32_e32 v53, v19, v51
	v_add_f32_e32 v91, v9, v8
	v_add_f32_e32 v8, 0, v88
	;; [unrolled: 1-line block ×3, first 2 shown]
	v_dual_min_f32 v9, v18, v50 :: v_dual_add_f32 v10, 0, v128
	v_dual_add_f32 v89, v45, v44 :: v_dual_add_f32 v90, v47, v46
	v_dual_add_f32 v46, 0, v129 :: v_dual_add_f32 v87, v53, v52
	v_add_f32_e32 v44, 0, v123
	v_dual_add_f32 v52, 0, v124 :: v_dual_min_f32 v11, v23, v51
	v_dual_add_f32 v88, v9, v8 :: v_dual_min_f32 v53, v26, v50
	v_dual_add_f32 v8, 0, v130 :: v_dual_min_f32 v9, v31, v51
	s_delay_alu instid0(VALU_DEP_3) | instskip(NEXT) | instid1(VALU_DEP_3)
	v_dual_add_f32 v85, v11, v10 :: v_dual_add_f32 v10, 0, v60
	v_dual_min_f32 v45, v22, v50 :: v_dual_add_f32 v84, v53, v52
	v_min_f32_e32 v47, v27, v51
	v_dual_min_f32 v53, v39, v51 :: v_dual_add_f32 v12, 0, v12
	s_delay_alu instid0(VALU_DEP_3) | instskip(SKIP_4) | instid1(VALU_DEP_3)
	v_add_f32_e32 v86, v45, v44
	v_add_f32_e32 v44, 0, v131
	v_min_f32_e32 v45, v35, v51
	v_dual_add_f32 v83, v47, v46 :: v_dual_add_f32 v52, 0, v132
	v_add_f32_e32 v46, 0, v126
	v_dual_min_f32 v11, v30, v50 :: v_dual_add_f32 v78, v45, v44
	v_min_f32_e32 v47, v34, v50
	v_dual_add_f32 v81, v9, v8 :: v_dual_add_f32 v8, 0, v127
	s_delay_alu instid0(VALU_DEP_3) | instskip(SKIP_3) | instid1(VALU_DEP_3)
	v_add_f32_e32 v82, v11, v10
	v_dual_min_f32 v9, v38, v50 :: v_dual_add_f32 v44, 0, v48
	v_dual_add_f32 v10, 0, v49 :: v_dual_min_f32 v11, v43, v51
	v_add_f32_e32 v13, 0, v13
	v_dual_min_f32 v14, v14, v125 :: v_dual_add_f32 v79, v9, v8
	v_min_f32_e32 v15, v15, v61
	s_delay_alu instid0(VALU_DEP_4) | instskip(NEXT) | instid1(VALU_DEP_3)
	v_dual_add_f32 v75, v11, v10 :: v_dual_add_f32 v8, 0, v16
	v_add_f32_e32 v74, v14, v12
	s_delay_alu instid0(VALU_DEP_3)
	v_dual_min_f32 v45, v42, v50 :: v_dual_add_f32 v70, v15, v13
	v_dual_add_f32 v9, 0, v17 :: v_dual_add_f32 v10, 0, v20
	v_dual_add_f32 v13, 0, v25 :: v_dual_add_f32 v14, 0, v28
	v_min_f32_e32 v22, v22, v125
	v_dual_add_f32 v15, 0, v29 :: v_dual_add_f32 v16, 0, v32
	v_dual_add_f32 v11, 0, v21 :: v_dual_add_f32 v12, 0, v24
	s_delay_alu instid0(VALU_DEP_3) | instskip(SKIP_3) | instid1(VALU_DEP_4)
	v_dual_add_f32 v69, v22, v10 :: v_dual_min_f32 v10, v31, v61
	v_min_f32_e32 v19, v19, v61
	v_min_f32_e32 v23, v23, v61
	v_dual_add_f32 v17, 0, v33 :: v_dual_add_f32 v20, 0, v36
	v_add_f32_e32 v64, v10, v15
	s_delay_alu instid0(VALU_DEP_3) | instskip(SKIP_3) | instid1(VALU_DEP_4)
	v_dual_min_f32 v18, v18, v125 :: v_dual_add_f32 v67, v23, v11
	v_add_f32_e32 v71, v19, v9
	v_min_f32_e32 v9, v26, v125
	v_min_f32_e32 v11, v30, v125
	v_dual_add_f32 v73, v18, v8 :: v_dual_min_f32 v8, v27, v61
	v_min_f32_e32 v10, v38, v125
	s_delay_alu instid0(VALU_DEP_4) | instskip(SKIP_1) | instid1(VALU_DEP_4)
	v_dual_add_f32 v68, v9, v12 :: v_dual_min_f32 v9, v34, v125
	v_dual_add_f32 v21, 0, v37 :: v_dual_add_f32 v24, 0, v40
	v_add_f32_e32 v66, v8, v13
	v_min_f32_e32 v8, v35, v61
	v_add_f32_e32 v25, 0, v41
	v_add_f32_e32 v65, v11, v14
	v_min_f32_e32 v11, v43, v61
	v_min_f32_e32 v12, v42, v125
	v_add_f32_e32 v60, v8, v17
	v_min_f32_e32 v8, v39, v61
	v_add_f32_e32 v94, v63, v62
	v_dual_add_f32 v80, v47, v46 :: v_dual_add_f32 v77, v53, v52
	v_add_f32_e32 v76, v45, v44
	v_add_f32_e32 v63, v9, v16
	v_dual_add_f32 v61, v10, v20 :: v_dual_add_f32 v58, v11, v25
	v_add_f32_e32 v59, v12, v24
	v_add_f32_e32 v62, v8, v21
	s_cmp_lt_i32 s20, 9
	s_cbranch_scc1 .LBB96_31
; %bb.18:
	v_mad_i64_i32 v[7:8], null, s19, v3, 0
	v_add_nc_u32_e32 v5, s18, v5
	v_add_nc_u32_e32 v1, 12, v4
	;; [unrolled: 1-line block ×5, first 2 shown]
	v_ashrrev_i32_e32 v6, 31, v5
	v_mad_i64_i32 v[9:10], null, v1, s8, 0
	v_lshlrev_b64 v[0:1], 2, v[7:8]
	v_add_nc_u32_e32 v124, 0x1000, v57
	s_delay_alu instid0(VALU_DEP_4)
	v_lshlrev_b64 v[5:6], 2, v[5:6]
	v_or_b32_e32 v126, 0x800, v72
	v_lshl_add_u32 v127, v54, 4, 0x1400
	v_lshl_add_u32 v128, v55, 4, 0x800
	v_add_co_u32 v2, vcc_lo, v0, v2
	v_add_co_ci_u32_e32 v4, vcc_lo, 0, v1, vcc_lo
	v_add_co_u32 v129, vcc_lo, s10, v5
	v_mad_i64_i32 v[0:1], null, v3, s8, 0
	v_add_co_ci_u32_e32 v130, vcc_lo, s11, v6, vcc_lo
	v_add_co_u32 v2, vcc_lo, v2, s16
	v_add_co_ci_u32_e32 v3, vcc_lo, s17, v4, vcc_lo
	v_lshlrev_b64 v[48:49], 2, v[9:10]
	s_delay_alu instid0(VALU_DEP_3) | instskip(SKIP_1) | instid1(VALU_DEP_4)
	v_add_co_u32 v52, vcc_lo, v2, 32
	v_lshlrev_b64 v[50:51], 2, v[0:1]
	v_add_co_ci_u32_e32 v53, vcc_lo, 0, v3, vcc_lo
	s_add_i32 s10, s20, -8
	s_lshl_b64 s[8:9], s[8:9], 5
	s_mov_b32 s11, 0
	s_branch .LBB96_21
.LBB96_19:                              ;   in Loop: Header=BB96_21 Depth=1
	v_add_co_u32 v0, vcc_lo, v129, v48
	v_add_co_ci_u32_e32 v1, vcc_lo, v130, v49, vcc_lo
	s_clause 0x1
	flat_load_b32 v214, v[0:1]
	flat_load_b32 v1, v[0:1] offset:256
	s_waitcnt vmcnt(0) lgkmcnt(0)
	v_dual_mul_f32 v0, s15, v214 :: v_dual_mul_f32 v1, s15, v1
.LBB96_20:                              ;   in Loop: Header=BB96_21 Depth=1
	v_dual_add_f32 v36, v36, v122 :: v_dual_add_f32 v41, v41, v120
	v_dual_add_f32 v40, v40, v121 :: v_dual_add_f32 v29, v29, v118
	;; [unrolled: 1-line block ×15, first 2 shown]
	ds_load_b128 v[20:23], v56
	ds_load_b128 v[28:31], v124
	v_dual_add_f32 v69, v10, v69 :: v_dual_add_f32 v68, v11, v68
	ds_load_b128 v[8:11], v124 offset:128
	v_dual_add_f32 v32, v32, v117 :: v_dual_add_f32 v37, v37, v115
	v_dual_add_f32 v12, v12, v107 :: v_dual_add_f32 v17, v17, v105
	;; [unrolled: 1-line block ×20, first 2 shown]
	s_waitcnt lgkmcnt(2)
	v_dual_add_f32 v62, v15, v62 :: v_dual_max_f32 v21, v21, v21
	v_dual_add_f32 v6, v6, v61 :: v_dual_add_f32 v133, v19, v46
	ds_load_b128 v[2:5], v124 offset:256
	ds_load_b128 v[12:15], v124 offset:384
	ds_load_b128 v[16:19], v124 offset:512
	ds_load_b128 v[24:27], v124 offset:640
	ds_load_b128 v[32:35], v56 offset:512
	v_dual_add_f32 v7, v7, v43 :: v_dual_max_f32 v20, v20, v20
	s_waitcnt lgkmcnt(6)
	v_dual_max_f32 v28, v28, v28 :: v_dual_max_f32 v29, v29, v29
	s_waitcnt lgkmcnt(5)
	v_dual_max_f32 v8, v8, v8 :: v_dual_max_f32 v9, v9, v9
	ds_load_b128 v[36:39], v124 offset:768
	ds_load_b128 v[40:43], v124 offset:896
	v_dual_add_f32 v100, v134, v100 :: v_dual_add_f32 v99, v136, v99
	v_dual_add_f32 v98, v135, v98 :: v_dual_add_f32 v97, v137, v97
	v_dual_min_f32 v134, v28, v20 :: v_dual_min_f32 v135, v29, v21
	v_dual_min_f32 v136, v8, v20 :: v_dual_add_f32 v119, v186, v45
	v_add_f32_e32 v120, v177, v44
	s_waitcnt lgkmcnt(6)
	v_dual_max_f32 v2, v2, v2 :: v_dual_max_f32 v3, v3, v3
	v_add_f32_e32 v93, v134, v93
	v_min_f32_e32 v134, v9, v21
	v_add_f32_e32 v92, v135, v92
	s_waitcnt lgkmcnt(5)
	v_dual_add_f32 v104, v136, v104 :: v_dual_max_f32 v13, v13, v13
	v_min_f32_e32 v135, v2, v20
	s_waitcnt lgkmcnt(4)
	v_dual_max_f32 v12, v12, v12 :: v_dual_max_f32 v17, v17, v17
	s_waitcnt lgkmcnt(3)
	v_dual_max_f32 v24, v24, v24 :: v_dual_add_f32 v103, v134, v103
	v_dual_add_f32 v106, v135, v106 :: v_dual_min_f32 v135, v13, v21
	v_dual_max_f32 v16, v16, v16 :: v_dual_max_f32 v25, v25, v25
	s_waitcnt lgkmcnt(1)
	v_dual_max_f32 v37, v37, v37 :: v_dual_max_f32 v32, v32, v32
	s_delay_alu instid0(VALU_DEP_3)
	v_add_f32_e32 v107, v135, v107
	v_dual_min_f32 v135, v17, v21 :: v_dual_max_f32 v36, v36, v36
	s_waitcnt lgkmcnt(0)
	v_max_f32_e32 v41, v41, v41
	ds_load_b128 v[44:47], v56 offset:1024
	ds_load_b128 v[58:61], v56 offset:1536
	v_dual_max_f32 v40, v40, v40 :: v_dual_max_f32 v33, v33, v33
	v_add_f32_e32 v109, v135, v109
	v_dual_min_f32 v134, v3, v21 :: v_dual_min_f32 v135, v36, v20
	v_dual_min_f32 v136, v12, v20 :: v_dual_add_f32 v101, v187, v101
	s_delay_alu instid0(VALU_DEP_2) | instskip(SKIP_1) | instid1(VALU_DEP_3)
	v_dual_add_f32 v98, v188, v98 :: v_dual_add_f32 v105, v134, v105
	v_min_f32_e32 v134, v16, v20
	v_add_f32_e32 v108, v136, v108
	v_dual_min_f32 v136, v25, v21 :: v_dual_add_f32 v135, v135, v114
	v_dual_add_f32 v90, v142, v90 :: v_dual_add_f32 v89, v143, v89
	s_delay_alu instid0(VALU_DEP_4) | instskip(SKIP_3) | instid1(VALU_DEP_3)
	v_add_f32_e32 v110, v134, v110
	v_min_f32_e32 v134, v24, v20
	v_dual_add_f32 v100, v179, v100 :: v_dual_add_f32 v97, v189, v97
	v_dual_add_f32 v99, v180, v99 :: v_dual_add_f32 v96, v181, v96
	v_add_f32_e32 v112, v134, v112
	v_min_f32_e32 v134, v37, v21
	v_dual_min_f32 v21, v41, v21 :: v_dual_min_f32 v20, v40, v20
	v_dual_add_f32 v89, v201, v89 :: v_dual_add_f32 v90, v192, v90
	s_waitcnt lgkmcnt(1)
	s_delay_alu instid0(VALU_DEP_2) | instskip(NEXT) | instid1(VALU_DEP_3)
	v_dual_max_f32 v44, v44, v44 :: v_dual_add_f32 v21, v21, v115
	v_dual_min_f32 v115, v3, v33 :: v_dual_add_f32 v20, v20, v116
	v_dual_min_f32 v116, v8, v32 :: v_dual_max_f32 v45, v45, v45
	v_dual_add_f32 v88, v144, v88 :: v_dual_add_f32 v87, v145, v87
	s_delay_alu instid0(VALU_DEP_3) | instskip(SKIP_4) | instid1(VALU_DEP_4)
	v_add_f32_e32 v101, v115, v101
	v_dual_min_f32 v115, v24, v32 :: v_dual_add_f32 v134, v134, v113
	v_min_f32_e32 v113, v28, v32
	v_dual_add_f32 v111, v136, v111 :: v_dual_add_f32 v86, v146, v86
	v_add_f32_e32 v85, v147, v85
	v_add_f32_e32 v96, v115, v96
	s_delay_alu instid0(VALU_DEP_4) | instskip(SKIP_4) | instid1(VALU_DEP_3)
	v_add_f32_e32 v136, v113, v118
	v_dual_min_f32 v113, v9, v33 :: v_dual_add_f32 v138, v116, v120
	v_min_f32_e32 v116, v12, v32
	v_min_f32_e32 v115, v8, v44
	v_dual_add_f32 v84, v148, v84 :: v_dual_add_f32 v83, v149, v83
	v_dual_add_f32 v139, v113, v119 :: v_dual_add_f32 v100, v116, v100
	v_min_f32_e32 v116, v25, v33
	v_min_f32_e32 v114, v29, v33
	;; [unrolled: 1-line block ×3, first 2 shown]
	v_dual_add_f32 v87, v202, v87 :: v_dual_add_f32 v88, v193, v88
	s_delay_alu instid0(VALU_DEP_4) | instskip(NEXT) | instid1(VALU_DEP_4)
	v_add_f32_e32 v95, v116, v95
	v_add_f32_e32 v137, v114, v117
	v_min_f32_e32 v114, v2, v32
	v_add_f32_e32 v98, v113, v98
	v_dual_min_f32 v113, v17, v33 :: v_dual_add_f32 v82, v150, v82
	s_delay_alu instid0(VALU_DEP_3) | instskip(NEXT) | instid1(VALU_DEP_2)
	v_dual_add_f32 v81, v151, v81 :: v_dual_add_f32 v102, v114, v102
	v_dual_min_f32 v114, v16, v32 :: v_dual_add_f32 v97, v113, v97
	v_min_f32_e32 v113, v37, v33
	v_min_f32_e32 v33, v41, v33
	v_dual_add_f32 v78, v153, v78 :: v_dual_add_f32 v77, v155, v77
	s_delay_alu instid0(VALU_DEP_4) | instskip(NEXT) | instid1(VALU_DEP_3)
	v_dual_add_f32 v99, v114, v99 :: v_dual_min_f32 v114, v36, v32
	v_dual_min_f32 v32, v40, v32 :: v_dual_add_f32 v33, v33, v91
	v_min_f32_e32 v91, v9, v45
	v_dual_add_f32 v85, v203, v85 :: v_dual_add_f32 v86, v194, v86
	s_delay_alu instid0(VALU_DEP_4) | instskip(SKIP_3) | instid1(VALU_DEP_3)
	v_add_f32_e32 v94, v114, v94
	v_dual_min_f32 v114, v29, v45 :: v_dual_add_f32 v83, v204, v83
	v_add_f32_e32 v84, v195, v84
	v_dual_add_f32 v32, v32, v122 :: v_dual_add_f32 v87, v91, v87
	v_add_f32_e32 v89, v114, v89
	v_dual_add_f32 v140, v113, v121 :: v_dual_min_f32 v113, v28, v44
	v_dual_add_f32 v88, v115, v88 :: v_dual_min_f32 v91, v13, v45
	v_dual_min_f32 v114, v3, v45 :: v_dual_min_f32 v115, v12, v44
	s_delay_alu instid0(VALU_DEP_3)
	v_dual_add_f32 v90, v113, v90 :: v_dual_min_f32 v113, v2, v44
	v_dual_add_f32 v80, v152, v80 :: v_dual_add_f32 v79, v154, v79
	v_dual_add_f32 v76, v156, v76 :: v_dual_add_f32 v75, v157, v75
	;; [unrolled: 1-line block ×3, first 2 shown]
	v_add_f32_e32 v78, v206, v78
	v_dual_add_f32 v86, v113, v86 :: v_dual_add_f32 v83, v91, v83
	v_dual_add_f32 v84, v115, v84 :: v_dual_min_f32 v91, v17, v45
	v_min_f32_e32 v113, v16, v44
	v_dual_add_f32 v85, v114, v85 :: v_dual_min_f32 v114, v24, v44
	s_waitcnt lgkmcnt(0)
	v_dual_min_f32 v115, v25, v45 :: v_dual_max_f32 v58, v58, v58
	v_dual_max_f32 v59, v59, v59 :: v_dual_add_f32 v74, v158, v74
	v_dual_add_f32 v73, v160, v73 :: v_dual_add_f32 v80, v197, v80
	v_add_f32_e32 v77, v210, v77
	v_dual_add_f32 v75, v211, v75 :: v_dual_add_f32 v82, v113, v82
	v_min_f32_e32 v113, v36, v44
	s_delay_alu instid0(VALU_DEP_4)
	v_dual_add_f32 v81, v91, v81 :: v_dual_add_f32 v80, v114, v80
	v_dual_add_f32 v78, v115, v78 :: v_dual_min_f32 v91, v37, v45
	v_dual_min_f32 v25, v25, v59 :: v_dual_min_f32 v36, v36, v58
	v_dual_min_f32 v37, v37, v59 :: v_dual_add_f32 v70, v159, v70
	v_add_f32_e32 v71, v161, v71
	v_dual_add_f32 v79, v198, v79 :: v_dual_add_f32 v76, v207, v76
	v_dual_add_f32 v74, v208, v74 :: v_dual_add_f32 v73, v209, v73
	v_dual_min_f32 v29, v29, v59 :: v_dual_min_f32 v8, v8, v58
	v_dual_add_f32 v25, v25, v132 :: v_dual_max_f32 v22, v22, v22
	v_add_f32_e32 v6, v36, v6
	v_dual_add_f32 v36, v37, v62 :: v_dual_max_f32 v23, v23, v23
	v_min_f32_e32 v37, v40, v58
	v_dual_max_f32 v31, v31, v31 :: v_dual_max_f32 v30, v30, v30
	v_dual_max_f32 v11, v11, v11 :: v_dual_max_f32 v10, v10, v10
	v_dual_add_f32 v70, v212, v70 :: v_dual_add_f32 v71, v213, v71
	v_dual_add_f32 v79, v113, v79 :: v_dual_min_f32 v44, v40, v44
	v_dual_min_f32 v45, v41, v45 :: v_dual_min_f32 v28, v28, v58
	v_dual_min_f32 v9, v9, v59 :: v_dual_add_f32 v8, v8, v73
	v_dual_min_f32 v2, v2, v58 :: v_dual_min_f32 v3, v3, v59
	v_dual_min_f32 v12, v12, v58 :: v_dual_min_f32 v13, v13, v59
	;; [unrolled: 1-line block ×3, first 2 shown]
	v_min_f32_e32 v24, v24, v58
	v_min_f32_e32 v40, v41, v59
	v_add_f32_e32 v7, v37, v7
	v_dual_min_f32 v41, v30, v22 :: v_dual_min_f32 v58, v11, v23
	v_min_f32_e32 v37, v31, v23
	v_dual_max_f32 v5, v5, v5 :: v_dual_max_f32 v4, v4, v4
	s_delay_alu instid0(VALU_DEP_3) | instskip(NEXT) | instid1(VALU_DEP_3)
	v_dual_add_f32 v122, v41, v93 :: v_dual_max_f32 v15, v15, v15
	v_dual_add_f32 v121, v37, v92 :: v_dual_max_f32 v14, v14, v14
	v_min_f32_e32 v37, v10, v22
	s_delay_alu instid0(VALU_DEP_4) | instskip(SKIP_2) | instid1(VALU_DEP_4)
	v_dual_min_f32 v41, v5, v23 :: v_dual_max_f32 v18, v18, v18
	v_add_f32_e32 v119, v58, v103
	v_min_f32_e32 v58, v15, v23
	v_add_f32_e32 v120, v37, v104
	s_delay_alu instid0(VALU_DEP_4)
	v_dual_add_f32 v117, v41, v105 :: v_dual_max_f32 v26, v26, v26
	v_max_f32_e32 v19, v19, v19
	v_min_f32_e32 v41, v14, v22
	v_min_f32_e32 v37, v4, v22
	v_max_f32_e32 v38, v38, v38
	v_dual_max_f32 v34, v34, v34 :: v_dual_max_f32 v43, v43, v43
	s_delay_alu instid0(VALU_DEP_4) | instskip(NEXT) | instid1(VALU_DEP_4)
	v_add_f32_e32 v116, v41, v108
	v_add_f32_e32 v118, v37, v106
	v_min_f32_e32 v41, v18, v22
	v_add_f32_e32 v115, v58, v107
	v_dual_min_f32 v58, v26, v22 :: v_dual_min_f32 v37, v19, v23
	s_delay_alu instid0(VALU_DEP_3) | instskip(NEXT) | instid1(VALU_DEP_2)
	v_dual_max_f32 v27, v27, v27 :: v_dual_add_f32 v114, v41, v110
	v_dual_max_f32 v35, v35, v35 :: v_dual_add_f32 v112, v58, v112
	s_delay_alu instid0(VALU_DEP_3) | instskip(SKIP_1) | instid1(VALU_DEP_4)
	v_add_f32_e32 v113, v37, v109
	v_max_f32_e32 v37, v39, v39
	v_min_f32_e32 v39, v27, v23
	v_dual_add_f32 v77, v91, v77 :: v_dual_add_f32 v44, v44, v76
	v_dual_add_f32 v45, v45, v75 :: v_dual_add_f32 v28, v28, v74
	s_delay_alu instid0(VALU_DEP_4) | instskip(SKIP_2) | instid1(VALU_DEP_3)
	v_min_f32_e32 v41, v37, v23
	v_dual_add_f32 v3, v3, v67 :: v_dual_add_f32 v12, v12, v68
	v_dual_add_f32 v13, v13, v66 :: v_dual_add_f32 v16, v16, v65
	v_add_f32_e32 v109, v41, v134
	v_max_f32_e32 v41, v42, v42
	v_dual_min_f32 v42, v30, v34 :: v_dual_add_f32 v111, v39, v111
	v_min_f32_e32 v39, v38, v22
	v_add_f32_e32 v9, v9, v71
	s_delay_alu instid0(VALU_DEP_4) | instskip(SKIP_2) | instid1(VALU_DEP_3)
	v_min_f32_e32 v22, v41, v22
	v_dual_add_f32 v29, v29, v70 :: v_dual_add_f32 v2, v2, v69
	v_dual_add_f32 v17, v17, v64 :: v_dual_add_f32 v24, v24, v63
	v_add_f32_e32 v108, v22, v20
	v_dual_min_f32 v20, v10, v34 :: v_dual_min_f32 v23, v43, v23
	v_min_f32_e32 v22, v4, v34
	v_add_f32_e32 v40, v40, v133
	v_add_co_u32 v129, vcc_lo, v129, s8
	s_delay_alu instid0(VALU_DEP_4) | instskip(NEXT) | instid1(VALU_DEP_4)
	v_dual_add_f32 v104, v20, v138 :: v_dual_add_f32 v107, v23, v21
	v_dual_add_f32 v102, v22, v102 :: v_dual_min_f32 v21, v11, v35
	v_min_f32_e32 v20, v14, v34
	v_min_f32_e32 v22, v27, v35
	v_add_f32_e32 v110, v39, v135
	v_min_f32_e32 v39, v31, v35
	s_delay_alu instid0(VALU_DEP_4) | instskip(SKIP_2) | instid1(VALU_DEP_4)
	v_dual_min_f32 v23, v15, v35 :: v_dual_add_f32 v100, v20, v100
	v_dual_min_f32 v20, v18, v34 :: v_dual_add_f32 v103, v21, v139
	v_min_f32_e32 v21, v5, v35
	v_add_f32_e32 v105, v39, v137
	v_add_f32_e32 v95, v22, v95
	s_delay_alu instid0(VALU_DEP_4) | instskip(NEXT) | instid1(VALU_DEP_4)
	v_dual_max_f32 v22, v46, v46 :: v_dual_add_f32 v99, v20, v99
	v_dual_min_f32 v20, v38, v34 :: v_dual_add_f32 v101, v21, v101
	v_min_f32_e32 v21, v19, v35
	v_add_f32_e32 v98, v23, v98
	v_add_co_ci_u32_e32 v130, vcc_lo, s9, v130, vcc_lo
	s_delay_alu instid0(VALU_DEP_3) | instskip(SKIP_4) | instid1(VALU_DEP_4)
	v_dual_add_f32 v94, v20, v94 :: v_dual_add_f32 v97, v21, v97
	v_min_f32_e32 v21, v37, v35
	v_add_co_u32 v52, vcc_lo, v52, 32
	v_add_f32_e32 v106, v42, v136
	v_add_co_ci_u32_e32 v53, vcc_lo, 0, v53, vcc_lo
	v_add_f32_e32 v93, v21, v140
	v_max_f32_e32 v21, v47, v47
	v_min_f32_e32 v23, v26, v34
	s_add_i32 s11, s11, 8
	ds_store_b32 v125, v131
	ds_store_2addr_stride64_b32 v126, v0, v1 offset1:4
	s_cmp_ge_i32 s11, s10
	v_min_f32_e32 v20, v31, v21
	v_min_f32_e32 v34, v41, v34
	s_waitcnt lgkmcnt(0)
	s_barrier
	buffer_gl0_inv
	v_dual_add_f32 v89, v20, v89 :: v_dual_min_f32 v20, v10, v22
	v_add_f32_e32 v92, v34, v32
	v_min_f32_e32 v32, v5, v21
	v_add_f32_e32 v96, v23, v96
	s_delay_alu instid0(VALU_DEP_4) | instskip(SKIP_1) | instid1(VALU_DEP_4)
	v_add_f32_e32 v88, v20, v88
	v_dual_min_f32 v20, v14, v22 :: v_dual_min_f32 v23, v43, v35
	v_dual_add_f32 v85, v32, v85 :: v_dual_min_f32 v32, v18, v22
	s_delay_alu instid0(VALU_DEP_2) | instskip(SKIP_1) | instid1(VALU_DEP_3)
	v_dual_min_f32 v35, v30, v22 :: v_dual_add_f32 v84, v20, v84
	v_min_f32_e32 v20, v27, v21
	v_dual_add_f32 v91, v23, v33 :: v_dual_add_f32 v82, v32, v82
	v_min_f32_e32 v23, v11, v21
	v_max_f32_e32 v32, v61, v61
	s_delay_alu instid0(VALU_DEP_4) | instskip(NEXT) | instid1(VALU_DEP_3)
	v_dual_add_f32 v78, v20, v78 :: v_dual_min_f32 v33, v15, v21
	v_dual_min_f32 v20, v38, v22 :: v_dual_add_f32 v87, v23, v87
	v_min_f32_e32 v23, v4, v22
	s_delay_alu instid0(VALU_DEP_4) | instskip(SKIP_2) | instid1(VALU_DEP_4)
	v_min_f32_e32 v5, v5, v32
	v_min_f32_e32 v31, v31, v32
	v_dual_add_f32 v83, v33, v83 :: v_dual_add_f32 v90, v35, v90
	v_add_f32_e32 v86, v23, v86
	v_min_f32_e32 v23, v19, v21
	v_add_f32_e32 v67, v5, v3
	v_min_f32_e32 v3, v15, v32
	s_delay_alu instid0(VALU_DEP_3) | instskip(SKIP_1) | instid1(VALU_DEP_3)
	v_add_f32_e32 v81, v23, v81
	v_min_f32_e32 v23, v37, v21
	v_add_f32_e32 v66, v3, v13
	v_min_f32_e32 v3, v27, v32
	s_delay_alu instid0(VALU_DEP_3) | instskip(SKIP_4) | instid1(VALU_DEP_4)
	v_add_f32_e32 v77, v23, v77
	v_max_f32_e32 v23, v60, v60
	v_min_f32_e32 v33, v26, v22
	v_min_f32_e32 v21, v43, v21
	v_dual_min_f32 v11, v11, v32 :: v_dual_min_f32 v22, v41, v22
	v_min_f32_e32 v4, v4, v23
	v_min_f32_e32 v5, v18, v23
	v_min_f32_e32 v10, v10, v23
	v_dual_add_f32 v60, v3, v25 :: v_dual_min_f32 v3, v37, v32
	v_add_f32_e32 v80, v33, v80
	s_delay_alu instid0(VALU_DEP_4)
	v_add_f32_e32 v65, v5, v16
	v_min_f32_e32 v5, v43, v32
	v_dual_add_f32 v69, v4, v2 :: v_dual_min_f32 v2, v14, v23
	v_dual_min_f32 v4, v19, v32 :: v_dual_add_f32 v79, v20, v79
	v_dual_add_f32 v75, v21, v45 :: v_dual_min_f32 v20, v30, v23
	v_add_f32_e32 v73, v10, v8
	s_delay_alu instid0(VALU_DEP_4)
	v_add_f32_e32 v68, v2, v12
	v_min_f32_e32 v2, v26, v23
	v_add_f32_e32 v64, v4, v17
	v_dual_min_f32 v4, v38, v23 :: v_dual_add_f32 v71, v11, v9
	v_min_f32_e32 v8, v41, v23
	v_add_f32_e32 v76, v22, v44
	v_add_f32_e32 v70, v31, v29
	;; [unrolled: 1-line block ×4, first 2 shown]
	v_dual_add_f32 v62, v3, v36 :: v_dual_add_f32 v61, v4, v6
	v_dual_add_f32 v58, v5, v40 :: v_dual_add_f32 v59, v8, v7
	s_cbranch_scc1 .LBB96_31
.LBB96_21:                              ; =>This Inner Loop Header: Depth=1
	v_mov_b32_e32 v131, 0
	s_and_b32 vcc_lo, exec_lo, s3
	s_cbranch_vccnz .LBB96_23
; %bb.22:                               ;   in Loop: Header=BB96_21 Depth=1
	flat_load_b32 v0, v[52:53]
	s_waitcnt vmcnt(0) lgkmcnt(0)
	v_mul_f32_e32 v131, s15, v0
.LBB96_23:                              ;   in Loop: Header=BB96_21 Depth=1
	s_and_b32 vcc_lo, exec_lo, s3
	s_cbranch_vccnz .LBB96_25
; %bb.24:                               ;   in Loop: Header=BB96_21 Depth=1
	v_add_co_u32 v0, vcc_lo, v129, v50
	v_add_co_ci_u32_e32 v1, vcc_lo, v130, v51, vcc_lo
	s_clause 0x1
	flat_load_b32 v2, v[0:1]
	flat_load_b32 v0, v[0:1] offset:256
	s_waitcnt vmcnt(0) lgkmcnt(0)
	v_dual_mul_f32 v132, s15, v2 :: v_dual_mul_f32 v133, s15, v0
	s_branch .LBB96_26
.LBB96_25:                              ;   in Loop: Header=BB96_21 Depth=1
	v_dual_mov_b32 v132, 0 :: v_dual_mov_b32 v133, 0
.LBB96_26:                              ;   in Loop: Header=BB96_21 Depth=1
	ds_load_b128 v[40:43], v127
	ds_load_b128 v[36:39], v127 offset:128
	ds_load_b128 v[32:35], v127 offset:256
	;; [unrolled: 1-line block ×7, first 2 shown]
	ds_load_b128 v[44:47], v128
	ds_load_b128 v[8:11], v128 offset:512
	ds_load_b128 v[4:7], v128 offset:1024
	ds_load_b128 v[0:3], v128 offset:1536
	s_and_b32 vcc_lo, exec_lo, s3
	ds_store_b32 v123, v131
	ds_store_2addr_stride64_b32 v72, v132, v133 offset1:4
	s_waitcnt lgkmcnt(0)
	s_barrier
	buffer_gl0_inv
	s_cbranch_vccnz .LBB96_28
; %bb.27:                               ;   in Loop: Header=BB96_21 Depth=1
	flat_load_b32 v131, v[52:53] offset:16
	s_waitcnt vmcnt(0) lgkmcnt(0)
	v_mul_f32_e32 v131, s15, v131
	s_branch .LBB96_29
.LBB96_28:                              ;   in Loop: Header=BB96_21 Depth=1
	v_mov_b32_e32 v131, 0
.LBB96_29:                              ;   in Loop: Header=BB96_21 Depth=1
	v_dual_max_f32 v44, v44, v44 :: v_dual_max_f32 v45, v45, v45
	v_dual_max_f32 v158, v40, v40 :: v_dual_max_f32 v159, v41, v41
	;; [unrolled: 1-line block ×6, first 2 shown]
	v_dual_min_f32 v36, v158, v44 :: v_dual_max_f32 v163, v33, v33
	v_dual_max_f32 v162, v32, v32 :: v_dual_max_f32 v165, v29, v29
	v_max_f32_e32 v164, v28, v28
	v_dual_max_f32 v168, v20, v20 :: v_dual_max_f32 v169, v21, v21
	v_dual_min_f32 v16, v166, v44 :: v_dual_max_f32 v173, v13, v13
	v_dual_max_f32 v141, v8, v8 :: v_dual_max_f32 v142, v9, v9
	v_max_f32_e32 v172, v12, v12
	v_dual_min_f32 v154, v170, v156 :: v_dual_max_f32 v1, v1, v1
	v_dual_max_f32 v0, v0, v0 :: v_dual_min_f32 v155, v171, v157
	v_dual_max_f32 v175, v46, v46 :: v_dual_max_f32 v176, v47, v47
	v_dual_max_f32 v214, v30, v30 :: v_dual_max_f32 v215, v31, v31
	v_dual_min_f32 v40, v159, v45 :: v_dual_min_f32 v41, v160, v44
	v_dual_min_f32 v28, v161, v45 :: v_dual_min_f32 v29, v162, v44
	v_min_f32_e32 v37, v165, v45
	v_dual_min_f32 v32, v163, v45 :: v_dual_min_f32 v33, v164, v44
	v_dual_min_f32 v20, v167, v45 :: v_dual_min_f32 v21, v168, v44
	;; [unrolled: 1-line block ×4, first 2 shown]
	v_min_f32_e32 v13, v158, v141
	v_dual_min_f32 v8, v171, v45 :: v_dual_min_f32 v9, v172, v44
	v_dual_min_f32 v44, v160, v141 :: v_dual_min_f32 v45, v161, v142
	;; [unrolled: 1-line block ×6, first 2 shown]
	v_min_f32_e32 v140, v170, v141
	v_dual_min_f32 v4, v171, v142 :: v_dual_min_f32 v5, v172, v141
	v_dual_min_f32 v141, v173, v142 :: v_dual_min_f32 v142, v158, v156
	;; [unrolled: 1-line block ×14, first 2 shown]
	v_dual_min_f32 v171, v171, v1 :: v_dual_max_f32 v208, v42, v42
	v_max_f32_e32 v209, v43, v43
	v_dual_max_f32 v213, v38, v38 :: v_dual_min_f32 v46, v173, v1
	v_dual_min_f32 v43, v172, v0 :: v_dual_max_f32 v0, v39, v39
	v_max_f32_e32 v1, v34, v34
	v_dual_min_f32 v39, v215, v176 :: v_dual_max_f32 v216, v26, v26
	v_dual_max_f32 v219, v23, v23 :: v_dual_max_f32 v220, v18, v18
	v_dual_max_f32 v19, v19, v19 :: v_dual_max_f32 v10, v10, v10
	;; [unrolled: 1-line block ×3, first 2 shown]
	v_dual_min_f32 v156, v172, v156 :: v_dual_min_f32 v157, v173, v157
	v_dual_max_f32 v217, v27, v27 :: v_dual_max_f32 v218, v22, v22
	v_max_f32_e32 v172, v35, v35
	v_dual_min_f32 v18, v216, v175 :: v_dual_max_f32 v221, v14, v14
	v_dual_max_f32 v222, v15, v15 :: v_dual_min_f32 v177, v213, v10
	v_max_f32_e32 v11, v11, v11
	v_dual_min_f32 v206, v219, v7 :: v_dual_max_f32 v223, v2, v2
	s_delay_alu instid0(VALU_DEP_4)
	v_dual_max_f32 v224, v3, v3 :: v_dual_min_f32 v207, v221, v6
	v_dual_min_f32 v38, v208, v175 :: v_dual_min_f32 v47, v209, v176
	v_min_f32_e32 v42, v213, v175
	v_dual_min_f32 v34, v0, v176 :: v_dual_min_f32 v31, v214, v175
	v_min_f32_e32 v173, v217, v176
	v_dual_min_f32 v30, v1, v175 :: v_dual_min_f32 v35, v172, v176
	v_dual_min_f32 v22, v218, v175 :: v_dual_min_f32 v183, v19, v176
	;; [unrolled: 1-line block ×5, first 2 shown]
	v_min_f32_e32 v180, v216, v10
	v_dual_min_f32 v186, v0, v11 :: v_dual_min_f32 v179, v214, v10
	v_dual_min_f32 v178, v1, v10 :: v_dual_min_f32 v187, v172, v11
	;; [unrolled: 1-line block ×12, first 2 shown]
	v_min_f32_e32 v210, v19, v7
	v_dual_min_f32 v211, v222, v7 :: v_dual_min_f32 v212, v209, v224
	v_dual_min_f32 v208, v208, v223 :: v_dual_min_f32 v27, v215, v224
	;; [unrolled: 1-line block ×4, first 2 shown]
	v_min_f32_e32 v15, v19, v224
	v_dual_min_f32 v11, v214, v223 :: v_dual_min_f32 v172, v217, v224
	v_dual_min_f32 v2, v216, v223 :: v_dual_min_f32 v19, v222, v224
	;; [unrolled: 1-line block ×3, first 2 shown]
	v_min_f32_e32 v6, v220, v223
	v_min_f32_e32 v7, v221, v223
	s_and_b32 vcc_lo, exec_lo, s3
	s_cbranch_vccz .LBB96_19
; %bb.30:                               ;   in Loop: Header=BB96_21 Depth=1
	v_dual_mov_b32 v0, 0 :: v_dual_mov_b32 v1, 0
	s_branch .LBB96_20
.LBB96_31:
	s_load_b32 s8, s[0:1], 0x58
	v_add_nc_u32_e32 v48, s18, v55
	ds_load_b128 v[0:3], v57 offset:5120
	ds_load_b128 v[40:43], v56 offset:2048
	v_add_nc_u32_e32 v46, s14, v54
	v_cmp_neq_f32_e64 s9, s13, 0
	v_mov_b32_e32 v52, 0
	v_mov_b32_e32 v50, 0
	s_delay_alu instid0(VALU_DEP_4) | instskip(NEXT) | instid1(VALU_DEP_4)
	v_ashrrev_i32_e32 v47, 31, v46
	s_and_b32 vcc_lo, exec_lo, s9
	s_delay_alu instid0(VALU_DEP_1) | instskip(SKIP_2) | instid1(VALU_DEP_1)
	v_lshlrev_b64 v[44:45], 2, v[46:47]
	s_waitcnt lgkmcnt(0)
	v_mad_i64_i32 v[4:5], null, v48, s8, 0
	v_lshlrev_b64 v[4:5], 2, v[4:5]
	s_delay_alu instid0(VALU_DEP_1) | instskip(NEXT) | instid1(VALU_DEP_1)
	v_add_co_u32 v123, s3, s4, v4
	v_add_co_ci_u32_e64 v124, s3, s5, v5, s3
	s_cbranch_vccz .LBB96_33
; %bb.32:
	s_delay_alu instid0(VALU_DEP_2) | instskip(NEXT) | instid1(VALU_DEP_2)
	v_add_co_u32 v4, vcc_lo, v123, v44
	v_add_co_ci_u32_e32 v5, vcc_lo, v124, v45, vcc_lo
	flat_load_b32 v4, v[4:5]
	s_waitcnt vmcnt(0) lgkmcnt(0)
	v_mul_f32_e32 v50, s13, v4
.LBB96_33:
	s_clause 0x1
	s_load_b64 s[10:11], s[0:1], 0x78
	s_load_b32 s1, s[0:1], 0x70
	v_dual_max_f32 v125, v40, v40 :: v_dual_max_f32 v126, v41, v41
	v_max_f32_e32 v47, v0, v0
	v_max_f32_e32 v49, v1, v1
	ds_load_b128 v[36:39], v57 offset:5248
	ds_load_b128 v[32:35], v57 offset:5376
	;; [unrolled: 1-line block ×9, first 2 shown]
	v_min_f32_e32 v0, v47, v125
	s_delay_alu instid0(VALU_DEP_1)
	v_add_f32_e32 v51, v0, v122
	v_max_f32_e32 v122, v42, v42
	v_max_f32_e32 v42, v2, v2
	v_min_f32_e32 v1, v49, v126
	s_waitcnt lgkmcnt(0)
	s_mul_i32 s0, s12, s11
	v_mad_i64_i32 v[40:41], null, v48, s1, 0
	s_delay_alu instid0(VALU_DEP_2)
	v_add_f32_e32 v53, v1, v121
	v_max_f32_e32 v127, v43, v43
	v_max_f32_e32 v43, v3, v3
	v_min_f32_e32 v55, v42, v122
	s_mul_hi_u32 s3, s12, s10
	ds_load_b128 v[0:3], v56 offset:3584
	s_mul_i32 s10, s12, s10
	v_min_f32_e32 v54, v43, v127
	s_add_i32 s11, s3, s0
	v_lshlrev_b64 v[40:41], 2, v[40:41]
	v_add_f32_e32 v51, v55, v51
	s_lshl_b64 s[10:11], s[10:11], 2
	v_dual_add_f32 v56, v54, v53 :: v_dual_add_nc_u32 v53, 8, v46
	s_add_u32 s3, s6, s10
	s_addc_u32 s6, s7, s11
	v_add_co_u32 v121, vcc_lo, s3, v40
	s_delay_alu instid0(VALU_DEP_2) | instskip(SKIP_3) | instid1(VALU_DEP_4)
	v_add_f32_e32 v51, v51, v56
	v_ashrrev_i32_e32 v54, 31, v53
	v_cndmask_b32_e64 v55, 0, 1, s9
	v_add_co_ci_u32_e32 v128, vcc_lo, s6, v41, vcc_lo
	v_add_f32_e32 v56, v51, v50
	v_add_co_u32 v50, vcc_lo, v121, v44
	v_lshlrev_b64 v[40:41], 2, v[53:54]
	v_cmp_ne_u32_e64 s0, 1, v55
	v_add_co_ci_u32_e32 v51, vcc_lo, v128, v45, vcc_lo
	s_and_not1_b32 vcc_lo, exec_lo, s9
	global_store_b32 v[50:51], v56, off
	s_cbranch_vccnz .LBB96_35
; %bb.34:
	v_add_co_u32 v50, vcc_lo, v123, v40
	v_add_co_ci_u32_e32 v51, vcc_lo, v124, v41, vcc_lo
	flat_load_b32 v50, v[50:51]
	s_waitcnt vmcnt(0) lgkmcnt(0)
	v_mul_f32_e32 v52, s13, v50
.LBB96_35:
	v_dual_max_f32 v51, v37, v37 :: v_dual_max_f32 v50, v36, v36
	v_dual_max_f32 v38, v38, v38 :: v_dual_max_f32 v39, v39, v39
	v_mov_b32_e32 v56, 0
	s_delay_alu instid0(VALU_DEP_3) | instskip(NEXT) | instid1(VALU_DEP_3)
	v_dual_min_f32 v36, v51, v126 :: v_dual_min_f32 v37, v50, v125
	v_dual_min_f32 v53, v38, v122 :: v_dual_min_f32 v54, v39, v127
	s_delay_alu instid0(VALU_DEP_2) | instskip(NEXT) | instid1(VALU_DEP_3)
	v_dual_add_f32 v55, v36, v119 :: v_dual_add_nc_u32 v36, 16, v46
	v_add_f32_e32 v37, v37, v120
	v_add_co_u32 v119, vcc_lo, v121, v40
	s_delay_alu instid0(VALU_DEP_3) | instskip(SKIP_1) | instid1(VALU_DEP_4)
	v_add_f32_e32 v54, v54, v55
	v_add_co_ci_u32_e32 v120, vcc_lo, v128, v41, vcc_lo
	v_add_f32_e32 v53, v53, v37
	v_ashrrev_i32_e32 v37, 31, v36
	s_and_b32 vcc_lo, exec_lo, s0
	s_delay_alu instid0(VALU_DEP_2) | instskip(NEXT) | instid1(VALU_DEP_2)
	v_dual_add_f32 v53, v53, v54 :: v_dual_mov_b32 v54, 0
	v_lshlrev_b64 v[36:37], 2, v[36:37]
	s_delay_alu instid0(VALU_DEP_2)
	v_add_f32_e32 v52, v53, v52
	global_store_b32 v[119:120], v52, off
	s_cbranch_vccnz .LBB96_37
; %bb.36:
	v_add_co_u32 v52, vcc_lo, v123, v36
	v_add_co_ci_u32_e32 v53, vcc_lo, v124, v37, vcc_lo
	flat_load_b32 v52, v[52:53]
	s_waitcnt vmcnt(0) lgkmcnt(0)
	v_mul_f32_e32 v54, s13, v52
.LBB96_37:
	v_dual_max_f32 v53, v33, v33 :: v_dual_max_f32 v52, v32, v32
	v_dual_max_f32 v34, v34, v34 :: v_dual_max_f32 v35, v35, v35
	s_delay_alu instid0(VALU_DEP_2) | instskip(NEXT) | instid1(VALU_DEP_2)
	v_dual_min_f32 v32, v53, v126 :: v_dual_min_f32 v33, v52, v125
	v_min_f32_e32 v55, v34, v122
	s_delay_alu instid0(VALU_DEP_2) | instskip(SKIP_1) | instid1(VALU_DEP_4)
	v_dual_min_f32 v57, v35, v127 :: v_dual_add_f32 v72, v32, v117
	v_add_nc_u32_e32 v32, 24, v46
	v_add_f32_e32 v33, v33, v118
	v_add_co_u32 v117, vcc_lo, v121, v36
	s_delay_alu instid0(VALU_DEP_4) | instskip(SKIP_1) | instid1(VALU_DEP_4)
	v_add_f32_e32 v57, v57, v72
	v_add_co_ci_u32_e32 v118, vcc_lo, v128, v37, vcc_lo
	v_add_f32_e32 v55, v55, v33
	v_ashrrev_i32_e32 v33, 31, v32
	s_and_b32 vcc_lo, exec_lo, s0
	s_delay_alu instid0(VALU_DEP_2) | instskip(NEXT) | instid1(VALU_DEP_2)
	v_add_f32_e32 v55, v55, v57
	v_lshlrev_b64 v[32:33], 2, v[32:33]
	s_delay_alu instid0(VALU_DEP_2)
	v_add_f32_e32 v54, v55, v54
	global_store_b32 v[117:118], v54, off
	s_cbranch_vccnz .LBB96_39
; %bb.38:
	v_add_co_u32 v54, vcc_lo, v123, v32
	v_add_co_ci_u32_e32 v55, vcc_lo, v124, v33, vcc_lo
	flat_load_b32 v54, v[54:55]
	s_waitcnt vmcnt(0) lgkmcnt(0)
	v_mul_f32_e32 v56, s13, v54
.LBB96_39:
	v_dual_max_f32 v55, v29, v29 :: v_dual_max_f32 v54, v28, v28
	v_dual_max_f32 v30, v30, v30 :: v_dual_max_f32 v31, v31, v31
	s_delay_alu instid0(VALU_DEP_2) | instskip(NEXT) | instid1(VALU_DEP_2)
	v_dual_min_f32 v28, v55, v126 :: v_dual_min_f32 v29, v54, v125
	v_dual_min_f32 v57, v30, v122 :: v_dual_min_f32 v72, v31, v127
	s_delay_alu instid0(VALU_DEP_2) | instskip(NEXT) | instid1(VALU_DEP_3)
	v_dual_add_f32 v115, v28, v115 :: v_dual_add_nc_u32 v28, 32, v46
	v_add_f32_e32 v29, v29, v116
	v_add_co_u32 v116, vcc_lo, v121, v32
	s_delay_alu instid0(VALU_DEP_3) | instskip(SKIP_1) | instid1(VALU_DEP_4)
	v_add_f32_e32 v72, v72, v115
	v_add_co_ci_u32_e32 v117, vcc_lo, v128, v33, vcc_lo
	v_add_f32_e32 v57, v57, v29
	v_ashrrev_i32_e32 v29, 31, v28
	s_and_b32 vcc_lo, exec_lo, s0
	s_delay_alu instid0(VALU_DEP_2) | instskip(NEXT) | instid1(VALU_DEP_2)
	v_dual_add_f32 v57, v57, v72 :: v_dual_mov_b32 v72, 0
	v_lshlrev_b64 v[28:29], 2, v[28:29]
	s_delay_alu instid0(VALU_DEP_2)
	v_dual_mov_b32 v115, 0 :: v_dual_add_f32 v56, v57, v56
	global_store_b32 v[116:117], v56, off
	s_cbranch_vccnz .LBB96_41
; %bb.40:
	v_add_co_u32 v56, vcc_lo, v123, v28
	v_add_co_ci_u32_e32 v57, vcc_lo, v124, v29, vcc_lo
	flat_load_b32 v56, v[56:57]
	s_waitcnt vmcnt(0) lgkmcnt(0)
	v_mul_f32_e32 v72, s13, v56
.LBB96_41:
	v_dual_max_f32 v57, v25, v25 :: v_dual_max_f32 v56, v24, v24
	v_dual_max_f32 v26, v26, v26 :: v_dual_max_f32 v27, v27, v27
	s_delay_alu instid0(VALU_DEP_2) | instskip(NEXT) | instid1(VALU_DEP_2)
	v_dual_min_f32 v24, v57, v126 :: v_dual_min_f32 v25, v56, v125
	v_dual_min_f32 v116, v26, v122 :: v_dual_min_f32 v117, v27, v127
	s_delay_alu instid0(VALU_DEP_2) | instskip(NEXT) | instid1(VALU_DEP_1)
	v_dual_add_f32 v113, v24, v113 :: v_dual_add_nc_u32 v24, 40, v46
	v_add_f32_e32 v113, v117, v113
	s_delay_alu instid0(VALU_DEP_4) | instskip(NEXT) | instid1(VALU_DEP_1)
	v_add_f32_e32 v25, v25, v114
	v_add_f32_e32 v114, v116, v25
	s_delay_alu instid0(VALU_DEP_4) | instskip(NEXT) | instid1(VALU_DEP_2)
	v_ashrrev_i32_e32 v25, 31, v24
	v_add_f32_e32 v116, v114, v113
	v_add_co_u32 v113, vcc_lo, v121, v28
	s_delay_alu instid0(VALU_DEP_3) | instskip(SKIP_1) | instid1(VALU_DEP_4)
	v_lshlrev_b64 v[24:25], 2, v[24:25]
	v_add_co_ci_u32_e32 v114, vcc_lo, v128, v29, vcc_lo
	v_add_f32_e32 v72, v116, v72
	s_and_b32 vcc_lo, exec_lo, s0
	global_store_b32 v[113:114], v72, off
	s_cbranch_vccnz .LBB96_43
; %bb.42:
	v_add_co_u32 v113, vcc_lo, v123, v24
	v_add_co_ci_u32_e32 v114, vcc_lo, v124, v25, vcc_lo
	flat_load_b32 v72, v[113:114]
	s_waitcnt vmcnt(0) lgkmcnt(0)
	v_mul_f32_e32 v115, s13, v72
.LBB96_43:
	v_dual_max_f32 v113, v21, v21 :: v_dual_max_f32 v72, v20, v20
	v_dual_max_f32 v22, v22, v22 :: v_dual_max_f32 v23, v23, v23
	s_delay_alu instid0(VALU_DEP_2) | instskip(NEXT) | instid1(VALU_DEP_2)
	v_dual_min_f32 v20, v113, v126 :: v_dual_min_f32 v21, v72, v125
	v_min_f32_e32 v114, v22, v122
	s_delay_alu instid0(VALU_DEP_3) | instskip(NEXT) | instid1(VALU_DEP_3)
	v_min_f32_e32 v116, v23, v127
	v_add_f32_e32 v111, v20, v111
	s_delay_alu instid0(VALU_DEP_4) | instskip(NEXT) | instid1(VALU_DEP_1)
	v_dual_add_f32 v21, v21, v112 :: v_dual_add_nc_u32 v20, 48, v46
	v_dual_add_f32 v111, v116, v111 :: v_dual_add_f32 v112, v114, v21
	s_delay_alu instid0(VALU_DEP_2) | instskip(SKIP_1) | instid1(VALU_DEP_3)
	v_ashrrev_i32_e32 v21, 31, v20
	v_mov_b32_e32 v114, 0
	v_add_f32_e32 v116, v112, v111
	v_add_co_u32 v111, vcc_lo, v121, v24
	s_delay_alu instid0(VALU_DEP_4) | instskip(SKIP_1) | instid1(VALU_DEP_4)
	v_lshlrev_b64 v[20:21], 2, v[20:21]
	v_add_co_ci_u32_e32 v112, vcc_lo, v128, v25, vcc_lo
	v_dual_add_f32 v116, v116, v115 :: v_dual_mov_b32 v115, 0
	s_and_b32 vcc_lo, exec_lo, s0
	global_store_b32 v[111:112], v116, off
	s_cbranch_vccnz .LBB96_45
; %bb.44:
	v_add_co_u32 v111, vcc_lo, v123, v20
	v_add_co_ci_u32_e32 v112, vcc_lo, v124, v21, vcc_lo
	flat_load_b32 v111, v[111:112]
	s_waitcnt vmcnt(0) lgkmcnt(0)
	v_mul_f32_e32 v115, s13, v111
.LBB96_45:
	v_dual_max_f32 v112, v17, v17 :: v_dual_max_f32 v111, v16, v16
	v_dual_max_f32 v18, v18, v18 :: v_dual_max_f32 v19, v19, v19
	s_delay_alu instid0(VALU_DEP_2) | instskip(NEXT) | instid1(VALU_DEP_2)
	v_dual_min_f32 v16, v112, v126 :: v_dual_min_f32 v17, v111, v125
	v_dual_min_f32 v116, v18, v122 :: v_dual_min_f32 v117, v19, v127
	s_delay_alu instid0(VALU_DEP_2) | instskip(NEXT) | instid1(VALU_DEP_3)
	v_dual_add_f32 v109, v16, v109 :: v_dual_add_nc_u32 v16, 56, v46
	v_add_f32_e32 v17, v17, v110
	s_delay_alu instid0(VALU_DEP_2) | instskip(NEXT) | instid1(VALU_DEP_2)
	v_add_f32_e32 v46, v117, v109
	v_add_f32_e32 v109, v116, v17
	s_delay_alu instid0(VALU_DEP_4) | instskip(NEXT) | instid1(VALU_DEP_2)
	v_ashrrev_i32_e32 v17, 31, v16
	v_add_f32_e32 v46, v109, v46
	v_add_co_u32 v109, vcc_lo, v121, v20
	s_delay_alu instid0(VALU_DEP_3) | instskip(SKIP_1) | instid1(VALU_DEP_4)
	v_lshlrev_b64 v[16:17], 2, v[16:17]
	v_add_co_ci_u32_e32 v110, vcc_lo, v128, v21, vcc_lo
	v_add_f32_e32 v46, v46, v115
	s_and_b32 vcc_lo, exec_lo, s0
	global_store_b32 v[109:110], v46, off
	s_cbranch_vccnz .LBB96_47
; %bb.46:
	v_add_co_u32 v109, vcc_lo, v123, v16
	v_add_co_ci_u32_e32 v110, vcc_lo, v124, v17, vcc_lo
	flat_load_b32 v46, v[109:110]
	s_waitcnt vmcnt(0) lgkmcnt(0)
	v_mul_f32_e32 v114, s13, v46
.LBB96_47:
	v_dual_max_f32 v12, v12, v12 :: v_dual_max_f32 v13, v13, v13
	v_dual_max_f32 v14, v14, v14 :: v_dual_add_nc_u32 v115, 32, v48
	s_delay_alu instid0(VALU_DEP_2) | instskip(NEXT) | instid1(VALU_DEP_3)
	v_dual_max_f32 v15, v15, v15 :: v_dual_min_f32 v46, v12, v125
	v_min_f32_e32 v116, v13, v126
	s_delay_alu instid0(VALU_DEP_3) | instskip(NEXT) | instid1(VALU_DEP_4)
	v_min_f32_e32 v117, v14, v122
	v_mad_i64_i32 v[109:110], null, v115, s8, 0
	s_delay_alu instid0(VALU_DEP_4) | instskip(NEXT) | instid1(VALU_DEP_4)
	v_min_f32_e32 v118, v15, v127
	v_add_f32_e32 v116, v116, v107
	v_add_f32_e32 v46, v46, v108
	s_delay_alu instid0(VALU_DEP_4) | instskip(NEXT) | instid1(VALU_DEP_3)
	v_lshlrev_b64 v[107:108], 2, v[109:110]
	v_add_f32_e32 v116, v118, v116
	s_delay_alu instid0(VALU_DEP_3) | instskip(SKIP_2) | instid1(VALU_DEP_3)
	v_add_f32_e32 v46, v117, v46
	v_add_co_u32 v109, vcc_lo, v121, v16
	v_add_co_ci_u32_e32 v110, vcc_lo, v128, v17, vcc_lo
	v_add_f32_e32 v116, v46, v116
	v_add_co_u32 v46, vcc_lo, s4, v107
	v_add_co_ci_u32_e32 v107, vcc_lo, s5, v108, vcc_lo
	s_delay_alu instid0(VALU_DEP_3)
	v_add_f32_e32 v108, v116, v114
	v_mov_b32_e32 v114, 0
	v_mov_b32_e32 v116, 0
	s_and_b32 vcc_lo, exec_lo, s0
	global_store_b32 v[109:110], v108, off
	s_cbranch_vccnz .LBB96_49
; %bb.48:
	v_add_co_u32 v108, vcc_lo, v46, v44
	v_add_co_ci_u32_e32 v109, vcc_lo, v107, v45, vcc_lo
	flat_load_b32 v108, v[108:109]
	s_waitcnt vmcnt(0) lgkmcnt(0)
	v_mul_f32_e32 v116, s13, v108
.LBB96_49:
	v_dual_max_f32 v108, v8, v8 :: v_dual_max_f32 v109, v9, v9
	v_max_f32_e32 v110, v10, v10
	v_mad_i64_i32 v[9:10], null, v115, s1, 0
	s_delay_alu instid0(VALU_DEP_3) | instskip(NEXT) | instid1(VALU_DEP_4)
	v_dual_max_f32 v8, v11, v11 :: v_dual_min_f32 v117, v49, v109
	v_min_f32_e32 v11, v47, v108
	s_delay_alu instid0(VALU_DEP_2) | instskip(NEXT) | instid1(VALU_DEP_3)
	v_dual_min_f32 v115, v42, v110 :: v_dual_min_f32 v118, v43, v8
	v_add_f32_e32 v105, v117, v105
	s_delay_alu instid0(VALU_DEP_3) | instskip(SKIP_1) | instid1(VALU_DEP_3)
	v_add_f32_e32 v11, v11, v106
	v_lshlrev_b64 v[9:10], 2, v[9:10]
	v_add_f32_e32 v105, v118, v105
	s_delay_alu instid0(VALU_DEP_3) | instskip(NEXT) | instid1(VALU_DEP_3)
	v_add_f32_e32 v11, v115, v11
	v_add_co_u32 v9, vcc_lo, s3, v9
	s_delay_alu instid0(VALU_DEP_4) | instskip(NEXT) | instid1(VALU_DEP_3)
	v_add_co_ci_u32_e32 v10, vcc_lo, s6, v10, vcc_lo
	v_add_f32_e32 v11, v11, v105
	s_delay_alu instid0(VALU_DEP_3) | instskip(NEXT) | instid1(VALU_DEP_3)
	v_add_co_u32 v105, vcc_lo, v9, v44
	v_add_co_ci_u32_e32 v106, vcc_lo, v10, v45, vcc_lo
	s_delay_alu instid0(VALU_DEP_3)
	v_add_f32_e32 v11, v11, v116
	s_and_b32 vcc_lo, exec_lo, s0
	global_store_b32 v[105:106], v11, off
	s_cbranch_vccnz .LBB96_51
; %bb.50:
	v_add_co_u32 v105, vcc_lo, v46, v40
	v_add_co_ci_u32_e32 v106, vcc_lo, v107, v41, vcc_lo
	flat_load_b32 v11, v[105:106]
	s_waitcnt vmcnt(0) lgkmcnt(0)
	v_mul_f32_e32 v114, s13, v11
.LBB96_51:
	v_dual_min_f32 v11, v51, v109 :: v_dual_min_f32 v106, v38, v110
	v_min_f32_e32 v105, v50, v108
	v_min_f32_e32 v115, v39, v8
	s_delay_alu instid0(VALU_DEP_3) | instskip(NEXT) | instid1(VALU_DEP_3)
	v_add_f32_e32 v11, v11, v103
	v_add_f32_e32 v103, v105, v104
	v_add_co_u32 v104, vcc_lo, v9, v40
	s_delay_alu instid0(VALU_DEP_3) | instskip(SKIP_1) | instid1(VALU_DEP_4)
	v_add_f32_e32 v11, v115, v11
	v_add_co_ci_u32_e32 v105, vcc_lo, v10, v41, vcc_lo
	v_add_f32_e32 v103, v106, v103
	s_and_b32 vcc_lo, exec_lo, s0
	s_delay_alu instid0(VALU_DEP_1) | instskip(NEXT) | instid1(VALU_DEP_1)
	v_add_f32_e32 v11, v103, v11
	v_dual_mov_b32 v103, 0 :: v_dual_add_f32 v106, v11, v114
	v_mov_b32_e32 v11, 0
	global_store_b32 v[104:105], v106, off
	s_cbranch_vccnz .LBB96_53
; %bb.52:
	v_add_co_u32 v103, vcc_lo, v46, v36
	v_add_co_ci_u32_e32 v104, vcc_lo, v107, v37, vcc_lo
	flat_load_b32 v103, v[103:104]
	s_waitcnt vmcnt(0) lgkmcnt(0)
	v_mul_f32_e32 v103, s13, v103
.LBB96_53:
	v_dual_min_f32 v104, v53, v109 :: v_dual_min_f32 v105, v52, v108
	s_delay_alu instid0(VALU_DEP_1) | instskip(NEXT) | instid1(VALU_DEP_2)
	v_dual_min_f32 v106, v34, v110 :: v_dual_add_f32 v101, v104, v101
	v_add_f32_e32 v102, v105, v102
	s_delay_alu instid0(VALU_DEP_1) | instskip(SKIP_1) | instid1(VALU_DEP_1)
	v_add_f32_e32 v102, v106, v102
	v_min_f32_e32 v114, v35, v8
	v_add_f32_e32 v101, v114, v101
	s_delay_alu instid0(VALU_DEP_1) | instskip(NEXT) | instid1(VALU_DEP_1)
	v_add_f32_e32 v101, v102, v101
	v_add_f32_e32 v103, v101, v103
	v_add_co_u32 v101, vcc_lo, v9, v36
	v_add_co_ci_u32_e32 v102, vcc_lo, v10, v37, vcc_lo
	s_and_b32 vcc_lo, exec_lo, s0
	global_store_b32 v[101:102], v103, off
	s_cbranch_vccnz .LBB96_55
; %bb.54:
	v_add_co_u32 v101, vcc_lo, v46, v32
	v_add_co_ci_u32_e32 v102, vcc_lo, v107, v33, vcc_lo
	flat_load_b32 v11, v[101:102]
	s_waitcnt vmcnt(0) lgkmcnt(0)
	v_mul_f32_e32 v11, s13, v11
.LBB96_55:
	v_dual_min_f32 v101, v55, v109 :: v_dual_min_f32 v102, v54, v108
	v_dual_min_f32 v103, v30, v110 :: v_dual_min_f32 v104, v31, v8
	s_delay_alu instid0(VALU_DEP_2) | instskip(NEXT) | instid1(VALU_DEP_3)
	v_add_f32_e32 v98, v101, v98
	v_add_f32_e32 v100, v102, v100
	s_delay_alu instid0(VALU_DEP_2) | instskip(NEXT) | instid1(VALU_DEP_2)
	v_add_f32_e32 v98, v104, v98
	v_add_f32_e32 v100, v103, v100
	s_delay_alu instid0(VALU_DEP_1) | instskip(SKIP_2) | instid1(VALU_DEP_3)
	v_add_f32_e32 v98, v100, v98
	v_add_co_u32 v100, vcc_lo, v9, v32
	v_add_co_ci_u32_e32 v101, vcc_lo, v10, v33, vcc_lo
	v_dual_add_f32 v102, v98, v11 :: v_dual_mov_b32 v11, 0
	v_mov_b32_e32 v98, 0
	s_and_b32 vcc_lo, exec_lo, s0
	global_store_b32 v[100:101], v102, off
	s_cbranch_vccnz .LBB96_57
; %bb.56:
	v_add_co_u32 v100, vcc_lo, v46, v28
	v_add_co_ci_u32_e32 v101, vcc_lo, v107, v29, vcc_lo
	flat_load_b32 v98, v[100:101]
	s_waitcnt vmcnt(0) lgkmcnt(0)
	v_mul_f32_e32 v98, s13, v98
.LBB96_57:
	v_dual_min_f32 v100, v57, v109 :: v_dual_min_f32 v101, v56, v108
	v_dual_min_f32 v102, v26, v110 :: v_dual_min_f32 v103, v27, v8
	s_delay_alu instid0(VALU_DEP_2) | instskip(NEXT) | instid1(VALU_DEP_3)
	v_add_f32_e32 v97, v100, v97
	v_add_f32_e32 v99, v101, v99
	s_delay_alu instid0(VALU_DEP_2) | instskip(NEXT) | instid1(VALU_DEP_2)
	v_add_f32_e32 v97, v103, v97
	v_add_f32_e32 v99, v102, v99
	s_delay_alu instid0(VALU_DEP_1) | instskip(NEXT) | instid1(VALU_DEP_1)
	v_add_f32_e32 v97, v99, v97
	v_add_f32_e32 v99, v97, v98
	v_add_co_u32 v97, vcc_lo, v9, v28
	v_add_co_ci_u32_e32 v98, vcc_lo, v10, v29, vcc_lo
	s_and_b32 vcc_lo, exec_lo, s0
	global_store_b32 v[97:98], v99, off
	s_cbranch_vccnz .LBB96_59
; %bb.58:
	v_add_co_u32 v97, vcc_lo, v46, v24
	v_add_co_ci_u32_e32 v98, vcc_lo, v107, v25, vcc_lo
	flat_load_b32 v11, v[97:98]
	s_waitcnt vmcnt(0) lgkmcnt(0)
	v_mul_f32_e32 v11, s13, v11
.LBB96_59:
	v_dual_min_f32 v97, v113, v109 :: v_dual_min_f32 v98, v72, v108
	v_dual_min_f32 v99, v22, v110 :: v_dual_min_f32 v100, v23, v8
	s_delay_alu instid0(VALU_DEP_2) | instskip(NEXT) | instid1(VALU_DEP_1)
	v_dual_add_f32 v95, v97, v95 :: v_dual_add_f32 v96, v98, v96
	v_dual_add_f32 v95, v100, v95 :: v_dual_add_f32 v96, v99, v96
	s_delay_alu instid0(VALU_DEP_1) | instskip(SKIP_2) | instid1(VALU_DEP_3)
	v_add_f32_e32 v95, v96, v95
	v_add_co_u32 v96, vcc_lo, v9, v24
	v_add_co_ci_u32_e32 v97, vcc_lo, v10, v25, vcc_lo
	v_dual_add_f32 v98, v95, v11 :: v_dual_mov_b32 v11, 0
	v_mov_b32_e32 v95, 0
	s_and_b32 vcc_lo, exec_lo, s0
	global_store_b32 v[96:97], v98, off
	s_cbranch_vccnz .LBB96_61
; %bb.60:
	v_add_co_u32 v95, vcc_lo, v46, v20
	v_add_co_ci_u32_e32 v96, vcc_lo, v107, v21, vcc_lo
	flat_load_b32 v95, v[95:96]
	s_waitcnt vmcnt(0) lgkmcnt(0)
	v_mul_f32_e32 v95, s13, v95
.LBB96_61:
	v_dual_min_f32 v96, v112, v109 :: v_dual_min_f32 v97, v111, v108
	v_dual_min_f32 v98, v18, v110 :: v_dual_min_f32 v99, v19, v8
	s_delay_alu instid0(VALU_DEP_2) | instskip(NEXT) | instid1(VALU_DEP_1)
	v_dual_add_f32 v93, v96, v93 :: v_dual_add_f32 v94, v97, v94
	v_dual_add_f32 v93, v99, v93 :: v_dual_add_f32 v94, v98, v94
	s_delay_alu instid0(VALU_DEP_1) | instskip(NEXT) | instid1(VALU_DEP_1)
	v_add_f32_e32 v93, v94, v93
	v_add_f32_e32 v95, v93, v95
	v_add_co_u32 v93, vcc_lo, v9, v20
	v_add_co_ci_u32_e32 v94, vcc_lo, v10, v21, vcc_lo
	s_and_b32 vcc_lo, exec_lo, s0
	global_store_b32 v[93:94], v95, off
	s_cbranch_vccnz .LBB96_63
; %bb.62:
	v_add_co_u32 v93, vcc_lo, v46, v16
	v_add_co_ci_u32_e32 v94, vcc_lo, v107, v17, vcc_lo
	flat_load_b32 v11, v[93:94]
	s_waitcnt vmcnt(0) lgkmcnt(0)
	v_mul_f32_e32 v11, s13, v11
.LBB96_63:
	v_dual_min_f32 v46, v12, v108 :: v_dual_min_f32 v95, v14, v110
	v_dual_min_f32 v94, v13, v109 :: v_dual_add_nc_u32 v93, 64, v48
	v_min_f32_e32 v8, v15, v8
	s_delay_alu instid0(VALU_DEP_3) | instskip(NEXT) | instid1(VALU_DEP_3)
	v_add_f32_e32 v46, v46, v92
	v_add_f32_e32 v94, v94, v91
	s_delay_alu instid0(VALU_DEP_4) | instskip(NEXT) | instid1(VALU_DEP_3)
	v_mad_i64_i32 v[91:92], null, v93, s8, 0
	v_add_f32_e32 v46, v95, v46
	s_delay_alu instid0(VALU_DEP_3) | instskip(SKIP_3) | instid1(VALU_DEP_4)
	v_add_f32_e32 v8, v8, v94
	v_add_co_u32 v94, vcc_lo, v9, v16
	v_add_co_ci_u32_e32 v95, vcc_lo, v10, v17, vcc_lo
	v_lshlrev_b64 v[91:92], 2, v[91:92]
	v_add_f32_e32 v8, v46, v8
	s_delay_alu instid0(VALU_DEP_1) | instskip(NEXT) | instid1(VALU_DEP_3)
	v_add_f32_e32 v10, v8, v11
	v_add_co_u32 v8, vcc_lo, s4, v91
	v_mov_b32_e32 v91, 0
	v_add_co_ci_u32_e32 v9, vcc_lo, s5, v92, vcc_lo
	v_mov_b32_e32 v92, 0
	s_and_b32 vcc_lo, exec_lo, s0
	global_store_b32 v[94:95], v10, off
	s_cbranch_vccnz .LBB96_65
; %bb.64:
	v_add_co_u32 v10, vcc_lo, v8, v44
	v_add_co_ci_u32_e32 v11, vcc_lo, v9, v45, vcc_lo
	flat_load_b32 v10, v[10:11]
	s_waitcnt vmcnt(0) lgkmcnt(0)
	v_mul_f32_e32 v92, s13, v10
.LBB96_65:
	v_dual_max_f32 v10, v4, v4 :: v_dual_max_f32 v11, v5, v5
	v_max_f32_e32 v4, v7, v7
	v_max_f32_e32 v46, v6, v6
	v_mad_i64_i32 v[5:6], null, v93, s1, 0
	s_delay_alu instid0(VALU_DEP_4) | instskip(NEXT) | instid1(VALU_DEP_4)
	v_dual_min_f32 v7, v47, v10 :: v_dual_min_f32 v94, v49, v11
	v_min_f32_e32 v95, v43, v4
	s_delay_alu instid0(VALU_DEP_4) | instskip(NEXT) | instid1(VALU_DEP_3)
	v_min_f32_e32 v93, v42, v46
	v_add_f32_e32 v7, v7, v90
	s_delay_alu instid0(VALU_DEP_4) | instskip(SKIP_1) | instid1(VALU_DEP_3)
	v_add_f32_e32 v89, v94, v89
	v_lshlrev_b64 v[5:6], 2, v[5:6]
	v_add_f32_e32 v7, v93, v7
	s_delay_alu instid0(VALU_DEP_3) | instskip(NEXT) | instid1(VALU_DEP_3)
	v_add_f32_e32 v89, v95, v89
	v_add_co_u32 v5, vcc_lo, s3, v5
	s_delay_alu instid0(VALU_DEP_4) | instskip(NEXT) | instid1(VALU_DEP_3)
	v_add_co_ci_u32_e32 v6, vcc_lo, s6, v6, vcc_lo
	v_add_f32_e32 v7, v7, v89
	s_delay_alu instid0(VALU_DEP_3) | instskip(NEXT) | instid1(VALU_DEP_3)
	v_add_co_u32 v89, vcc_lo, v5, v44
	v_add_co_ci_u32_e32 v90, vcc_lo, v6, v45, vcc_lo
	s_delay_alu instid0(VALU_DEP_3)
	v_add_f32_e32 v7, v7, v92
	s_and_b32 vcc_lo, exec_lo, s0
	global_store_b32 v[89:90], v7, off
	s_cbranch_vccnz .LBB96_67
; %bb.66:
	v_add_co_u32 v89, vcc_lo, v8, v40
	v_add_co_ci_u32_e32 v90, vcc_lo, v9, v41, vcc_lo
	flat_load_b32 v7, v[89:90]
	s_waitcnt vmcnt(0) lgkmcnt(0)
	v_mul_f32_e32 v91, s13, v7
.LBB96_67:
	v_dual_min_f32 v7, v51, v11 :: v_dual_min_f32 v90, v38, v46
	v_dual_min_f32 v89, v50, v10 :: v_dual_min_f32 v92, v39, v4
	s_delay_alu instid0(VALU_DEP_2) | instskip(NEXT) | instid1(VALU_DEP_2)
	v_add_f32_e32 v7, v7, v87
	v_add_f32_e32 v87, v89, v88
	v_add_co_u32 v88, vcc_lo, v5, v40
	s_delay_alu instid0(VALU_DEP_3) | instskip(SKIP_1) | instid1(VALU_DEP_4)
	v_add_f32_e32 v7, v92, v7
	v_add_co_ci_u32_e32 v89, vcc_lo, v6, v41, vcc_lo
	v_add_f32_e32 v87, v90, v87
	s_and_b32 vcc_lo, exec_lo, s0
	s_delay_alu instid0(VALU_DEP_1) | instskip(NEXT) | instid1(VALU_DEP_1)
	v_add_f32_e32 v7, v87, v7
	v_dual_mov_b32 v87, 0 :: v_dual_add_f32 v90, v7, v91
	v_mov_b32_e32 v7, 0
	global_store_b32 v[88:89], v90, off
	s_cbranch_vccnz .LBB96_69
; %bb.68:
	v_add_co_u32 v87, vcc_lo, v8, v36
	v_add_co_ci_u32_e32 v88, vcc_lo, v9, v37, vcc_lo
	flat_load_b32 v87, v[87:88]
	s_waitcnt vmcnt(0) lgkmcnt(0)
	v_mul_f32_e32 v87, s13, v87
.LBB96_69:
	v_dual_min_f32 v88, v53, v11 :: v_dual_min_f32 v89, v52, v10
	v_dual_min_f32 v90, v34, v46 :: v_dual_min_f32 v91, v35, v4
	s_delay_alu instid0(VALU_DEP_2) | instskip(NEXT) | instid1(VALU_DEP_1)
	v_dual_add_f32 v85, v88, v85 :: v_dual_add_f32 v86, v89, v86
	v_dual_add_f32 v85, v91, v85 :: v_dual_add_f32 v86, v90, v86
	s_delay_alu instid0(VALU_DEP_1) | instskip(NEXT) | instid1(VALU_DEP_1)
	v_add_f32_e32 v85, v86, v85
	v_add_f32_e32 v87, v85, v87
	v_add_co_u32 v85, vcc_lo, v5, v36
	v_add_co_ci_u32_e32 v86, vcc_lo, v6, v37, vcc_lo
	s_and_b32 vcc_lo, exec_lo, s0
	global_store_b32 v[85:86], v87, off
	s_cbranch_vccnz .LBB96_71
; %bb.70:
	v_add_co_u32 v85, vcc_lo, v8, v32
	v_add_co_ci_u32_e32 v86, vcc_lo, v9, v33, vcc_lo
	flat_load_b32 v7, v[85:86]
	s_waitcnt vmcnt(0) lgkmcnt(0)
	v_mul_f32_e32 v7, s13, v7
.LBB96_71:
	v_dual_min_f32 v85, v55, v11 :: v_dual_min_f32 v86, v54, v10
	v_dual_min_f32 v87, v30, v46 :: v_dual_min_f32 v88, v31, v4
	s_delay_alu instid0(VALU_DEP_2) | instskip(NEXT) | instid1(VALU_DEP_1)
	v_dual_add_f32 v83, v85, v83 :: v_dual_add_f32 v84, v86, v84
	v_dual_add_f32 v83, v88, v83 :: v_dual_add_f32 v84, v87, v84
	s_delay_alu instid0(VALU_DEP_1) | instskip(SKIP_2) | instid1(VALU_DEP_3)
	v_add_f32_e32 v83, v84, v83
	v_add_co_u32 v84, vcc_lo, v5, v32
	v_add_co_ci_u32_e32 v85, vcc_lo, v6, v33, vcc_lo
	v_dual_add_f32 v86, v83, v7 :: v_dual_mov_b32 v7, 0
	v_mov_b32_e32 v83, 0
	s_and_b32 vcc_lo, exec_lo, s0
	global_store_b32 v[84:85], v86, off
	s_cbranch_vccnz .LBB96_73
; %bb.72:
	v_add_co_u32 v83, vcc_lo, v8, v28
	v_add_co_ci_u32_e32 v84, vcc_lo, v9, v29, vcc_lo
	flat_load_b32 v83, v[83:84]
	s_waitcnt vmcnt(0) lgkmcnt(0)
	v_mul_f32_e32 v83, s13, v83
.LBB96_73:
	v_dual_min_f32 v84, v57, v11 :: v_dual_min_f32 v85, v56, v10
	v_dual_min_f32 v86, v26, v46 :: v_dual_min_f32 v87, v27, v4
	s_delay_alu instid0(VALU_DEP_2) | instskip(NEXT) | instid1(VALU_DEP_1)
	v_dual_add_f32 v81, v84, v81 :: v_dual_add_f32 v82, v85, v82
	v_dual_add_f32 v81, v87, v81 :: v_dual_add_f32 v82, v86, v82
	s_delay_alu instid0(VALU_DEP_1) | instskip(NEXT) | instid1(VALU_DEP_1)
	v_add_f32_e32 v81, v82, v81
	v_add_f32_e32 v83, v81, v83
	v_add_co_u32 v81, vcc_lo, v5, v28
	v_add_co_ci_u32_e32 v82, vcc_lo, v6, v29, vcc_lo
	s_and_b32 vcc_lo, exec_lo, s0
	global_store_b32 v[81:82], v83, off
	s_cbranch_vccnz .LBB96_75
; %bb.74:
	v_add_co_u32 v81, vcc_lo, v8, v24
	v_add_co_ci_u32_e32 v82, vcc_lo, v9, v25, vcc_lo
	flat_load_b32 v7, v[81:82]
	s_waitcnt vmcnt(0) lgkmcnt(0)
	v_mul_f32_e32 v7, s13, v7
.LBB96_75:
	v_dual_min_f32 v81, v113, v11 :: v_dual_min_f32 v82, v72, v10
	v_dual_min_f32 v83, v22, v46 :: v_dual_min_f32 v84, v23, v4
	s_delay_alu instid0(VALU_DEP_2) | instskip(NEXT) | instid1(VALU_DEP_3)
	v_add_f32_e32 v78, v81, v78
	v_add_f32_e32 v80, v82, v80
	s_delay_alu instid0(VALU_DEP_2) | instskip(NEXT) | instid1(VALU_DEP_2)
	v_add_f32_e32 v78, v84, v78
	v_add_f32_e32 v80, v83, v80
	s_delay_alu instid0(VALU_DEP_1) | instskip(SKIP_2) | instid1(VALU_DEP_3)
	v_add_f32_e32 v78, v80, v78
	v_add_co_u32 v80, vcc_lo, v5, v24
	v_add_co_ci_u32_e32 v81, vcc_lo, v6, v25, vcc_lo
	v_dual_add_f32 v82, v78, v7 :: v_dual_mov_b32 v7, 0
	v_mov_b32_e32 v78, 0
	s_and_b32 vcc_lo, exec_lo, s0
	global_store_b32 v[80:81], v82, off
	s_cbranch_vccnz .LBB96_77
; %bb.76:
	v_add_co_u32 v80, vcc_lo, v8, v20
	v_add_co_ci_u32_e32 v81, vcc_lo, v9, v21, vcc_lo
	flat_load_b32 v78, v[80:81]
	s_waitcnt vmcnt(0) lgkmcnt(0)
	v_mul_f32_e32 v78, s13, v78
.LBB96_77:
	v_dual_min_f32 v80, v112, v11 :: v_dual_min_f32 v81, v111, v10
	v_dual_min_f32 v82, v18, v46 :: v_dual_min_f32 v83, v19, v4
	s_delay_alu instid0(VALU_DEP_2) | instskip(NEXT) | instid1(VALU_DEP_3)
	v_add_f32_e32 v77, v80, v77
	v_add_f32_e32 v79, v81, v79
	s_delay_alu instid0(VALU_DEP_2) | instskip(NEXT) | instid1(VALU_DEP_2)
	v_add_f32_e32 v77, v83, v77
	v_add_f32_e32 v79, v82, v79
	s_delay_alu instid0(VALU_DEP_1) | instskip(NEXT) | instid1(VALU_DEP_1)
	v_add_f32_e32 v77, v79, v77
	v_add_f32_e32 v79, v77, v78
	v_add_co_u32 v77, vcc_lo, v5, v20
	v_add_co_ci_u32_e32 v78, vcc_lo, v6, v21, vcc_lo
	s_and_b32 vcc_lo, exec_lo, s0
	global_store_b32 v[77:78], v79, off
	s_cbranch_vccnz .LBB96_79
; %bb.78:
	v_add_co_u32 v7, vcc_lo, v8, v16
	v_add_co_ci_u32_e32 v8, vcc_lo, v9, v17, vcc_lo
	flat_load_b32 v7, v[7:8]
	s_waitcnt vmcnt(0) lgkmcnt(0)
	v_mul_f32_e32 v7, s13, v7
.LBB96_79:
	v_dual_min_f32 v8, v12, v10 :: v_dual_add_nc_u32 v9, 0x60, v48
	v_min_f32_e32 v10, v13, v11
	v_min_f32_e32 v46, v14, v46
	;; [unrolled: 1-line block ×3, first 2 shown]
	s_delay_alu instid0(VALU_DEP_4) | instskip(NEXT) | instid1(VALU_DEP_4)
	v_add_f32_e32 v8, v8, v76
	v_add_f32_e32 v48, v10, v75
	v_mad_i64_i32 v[10:11], null, v9, s8, 0
	s_delay_alu instid0(VALU_DEP_3) | instskip(SKIP_1) | instid1(VALU_DEP_4)
	v_add_f32_e32 v8, v46, v8
	v_add_co_u32 v75, vcc_lo, v5, v16
	v_add_f32_e32 v4, v4, v48
	v_add_co_ci_u32_e32 v76, vcc_lo, v6, v17, vcc_lo
	v_lshlrev_b64 v[10:11], 2, v[10:11]
	s_delay_alu instid0(VALU_DEP_3) | instskip(SKIP_1) | instid1(VALU_DEP_2)
	v_add_f32_e32 v4, v8, v4
	v_mov_b32_e32 v8, 0
	v_add_f32_e32 v6, v4, v7
	s_delay_alu instid0(VALU_DEP_4)
	v_add_co_u32 v4, vcc_lo, s4, v10
	v_add_co_ci_u32_e32 v5, vcc_lo, s5, v11, vcc_lo
	v_mov_b32_e32 v10, 0
	s_and_b32 vcc_lo, exec_lo, s0
	global_store_b32 v[75:76], v6, off
	s_cbranch_vccnz .LBB96_81
; %bb.80:
	v_add_co_u32 v6, vcc_lo, v4, v44
	v_add_co_ci_u32_e32 v7, vcc_lo, v5, v45, vcc_lo
	flat_load_b32 v6, v[6:7]
	s_waitcnt vmcnt(0) lgkmcnt(0)
	v_mul_f32_e32 v10, s13, v6
.LBB96_81:
	s_waitcnt lgkmcnt(0)
	v_dual_max_f32 v0, v0, v0 :: v_dual_max_f32 v1, v1, v1
	v_dual_max_f32 v2, v2, v2 :: v_dual_max_f32 v3, v3, v3
	v_mad_i64_i32 v[6:7], null, v9, s1, 0
	s_delay_alu instid0(VALU_DEP_3) | instskip(NEXT) | instid1(VALU_DEP_3)
	v_dual_min_f32 v11, v47, v0 :: v_dual_min_f32 v46, v49, v1
	v_dual_min_f32 v9, v42, v2 :: v_dual_min_f32 v42, v43, v3
	s_delay_alu instid0(VALU_DEP_2) | instskip(NEXT) | instid1(VALU_DEP_3)
	v_add_f32_e32 v43, v46, v70
	v_add_f32_e32 v11, v11, v74
	v_lshlrev_b64 v[6:7], 2, v[6:7]
	s_delay_alu instid0(VALU_DEP_3) | instskip(NEXT) | instid1(VALU_DEP_3)
	v_add_f32_e32 v42, v42, v43
	v_add_f32_e32 v9, v9, v11
	s_delay_alu instid0(VALU_DEP_3) | instskip(NEXT) | instid1(VALU_DEP_4)
	v_add_co_u32 v6, vcc_lo, s3, v6
	v_add_co_ci_u32_e32 v7, vcc_lo, s6, v7, vcc_lo
	s_delay_alu instid0(VALU_DEP_3) | instskip(NEXT) | instid1(VALU_DEP_1)
	v_add_f32_e32 v9, v9, v42
	v_add_f32_e32 v11, v9, v10
	s_delay_alu instid0(VALU_DEP_4) | instskip(NEXT) | instid1(VALU_DEP_4)
	v_add_co_u32 v9, vcc_lo, v6, v44
	v_add_co_ci_u32_e32 v10, vcc_lo, v7, v45, vcc_lo
	s_and_b32 vcc_lo, exec_lo, s0
	global_store_b32 v[9:10], v11, off
	s_cbranch_vccnz .LBB96_83
; %bb.82:
	v_add_co_u32 v8, vcc_lo, v4, v40
	v_add_co_ci_u32_e32 v9, vcc_lo, v5, v41, vcc_lo
	flat_load_b32 v8, v[8:9]
	s_waitcnt vmcnt(0) lgkmcnt(0)
	v_mul_f32_e32 v8, s13, v8
.LBB96_83:
	v_dual_min_f32 v9, v51, v1 :: v_dual_min_f32 v10, v50, v0
	v_dual_min_f32 v11, v38, v2 :: v_dual_min_f32 v38, v39, v3
	s_delay_alu instid0(VALU_DEP_2) | instskip(NEXT) | instid1(VALU_DEP_1)
	v_dual_add_f32 v9, v9, v71 :: v_dual_add_f32 v10, v10, v73
	v_dual_add_f32 v9, v38, v9 :: v_dual_add_f32 v10, v11, v10
	s_delay_alu instid0(VALU_DEP_1) | instskip(SKIP_2) | instid1(VALU_DEP_3)
	v_add_f32_e32 v9, v10, v9
	v_add_co_u32 v10, vcc_lo, v6, v40
	v_add_co_ci_u32_e32 v11, vcc_lo, v7, v41, vcc_lo
	v_dual_add_f32 v38, v9, v8 :: v_dual_mov_b32 v9, 0
	v_mov_b32_e32 v8, 0
	s_and_b32 vcc_lo, exec_lo, s0
	global_store_b32 v[10:11], v38, off
	s_cbranch_vccnz .LBB96_85
; %bb.84:
	v_add_co_u32 v9, vcc_lo, v4, v36
	v_add_co_ci_u32_e32 v10, vcc_lo, v5, v37, vcc_lo
	flat_load_b32 v9, v[9:10]
	s_waitcnt vmcnt(0) lgkmcnt(0)
	v_mul_f32_e32 v9, s13, v9
.LBB96_85:
	v_dual_min_f32 v10, v53, v1 :: v_dual_min_f32 v11, v52, v0
	v_dual_min_f32 v34, v34, v2 :: v_dual_min_f32 v35, v35, v3
	s_delay_alu instid0(VALU_DEP_2) | instskip(NEXT) | instid1(VALU_DEP_1)
	v_dual_add_f32 v10, v10, v67 :: v_dual_add_f32 v11, v11, v69
	v_dual_add_f32 v10, v35, v10 :: v_dual_add_f32 v11, v34, v11
	s_delay_alu instid0(VALU_DEP_1) | instskip(NEXT) | instid1(VALU_DEP_1)
	v_add_f32_e32 v10, v11, v10
	v_add_f32_e32 v11, v10, v9
	v_add_co_u32 v9, vcc_lo, v6, v36
	v_add_co_ci_u32_e32 v10, vcc_lo, v7, v37, vcc_lo
	s_and_b32 vcc_lo, exec_lo, s0
	global_store_b32 v[9:10], v11, off
	s_cbranch_vccnz .LBB96_87
; %bb.86:
	v_add_co_u32 v8, vcc_lo, v4, v32
	v_add_co_ci_u32_e32 v9, vcc_lo, v5, v33, vcc_lo
	flat_load_b32 v8, v[8:9]
	s_waitcnt vmcnt(0) lgkmcnt(0)
	v_mul_f32_e32 v8, s13, v8
.LBB96_87:
	v_dual_min_f32 v9, v55, v1 :: v_dual_min_f32 v10, v54, v0
	v_dual_min_f32 v11, v30, v2 :: v_dual_min_f32 v30, v31, v3
	s_delay_alu instid0(VALU_DEP_2) | instskip(NEXT) | instid1(VALU_DEP_1)
	v_dual_add_f32 v9, v9, v66 :: v_dual_add_f32 v10, v10, v68
	v_dual_add_f32 v9, v30, v9 :: v_dual_add_f32 v10, v11, v10
	s_delay_alu instid0(VALU_DEP_1) | instskip(SKIP_2) | instid1(VALU_DEP_3)
	v_add_f32_e32 v9, v10, v9
	v_add_co_u32 v10, vcc_lo, v6, v32
	v_add_co_ci_u32_e32 v11, vcc_lo, v7, v33, vcc_lo
	v_dual_add_f32 v30, v9, v8 :: v_dual_mov_b32 v9, 0
	v_mov_b32_e32 v8, 0
	s_and_b32 vcc_lo, exec_lo, s0
	global_store_b32 v[10:11], v30, off
	s_cbranch_vccnz .LBB96_89
; %bb.88:
	v_add_co_u32 v9, vcc_lo, v4, v28
	v_add_co_ci_u32_e32 v10, vcc_lo, v5, v29, vcc_lo
	flat_load_b32 v9, v[9:10]
	s_waitcnt vmcnt(0) lgkmcnt(0)
	v_mul_f32_e32 v9, s13, v9
.LBB96_89:
	v_dual_min_f32 v10, v57, v1 :: v_dual_min_f32 v11, v56, v0
	v_dual_min_f32 v26, v26, v2 :: v_dual_min_f32 v27, v27, v3
	s_delay_alu instid0(VALU_DEP_2) | instskip(NEXT) | instid1(VALU_DEP_1)
	v_dual_add_f32 v10, v10, v64 :: v_dual_add_f32 v11, v11, v65
	v_dual_add_f32 v10, v27, v10 :: v_dual_add_f32 v11, v26, v11
	s_delay_alu instid0(VALU_DEP_1) | instskip(NEXT) | instid1(VALU_DEP_1)
	v_add_f32_e32 v10, v11, v10
	v_add_f32_e32 v11, v10, v9
	v_add_co_u32 v9, vcc_lo, v6, v28
	v_add_co_ci_u32_e32 v10, vcc_lo, v7, v29, vcc_lo
	s_and_b32 vcc_lo, exec_lo, s0
	global_store_b32 v[9:10], v11, off
	s_cbranch_vccnz .LBB96_91
; %bb.90:
	v_add_co_u32 v8, vcc_lo, v4, v24
	v_add_co_ci_u32_e32 v9, vcc_lo, v5, v25, vcc_lo
	flat_load_b32 v8, v[8:9]
	s_waitcnt vmcnt(0) lgkmcnt(0)
	v_mul_f32_e32 v8, s13, v8
.LBB96_91:
	v_dual_min_f32 v9, v113, v1 :: v_dual_min_f32 v10, v72, v0
	v_dual_min_f32 v11, v22, v2 :: v_dual_min_f32 v22, v23, v3
	;; [unrolled: 1-line block ×3, first 2 shown]
	s_delay_alu instid0(VALU_DEP_3) | instskip(NEXT) | instid1(VALU_DEP_1)
	v_dual_add_f32 v10, v10, v63 :: v_dual_add_f32 v9, v9, v60
	v_add_f32_e32 v10, v11, v10
	s_delay_alu instid0(VALU_DEP_2) | instskip(NEXT) | instid1(VALU_DEP_4)
	v_dual_min_f32 v26, v111, v0 :: v_dual_add_f32 v9, v22, v9
	v_add_f32_e32 v23, v23, v62
	v_min_f32_e32 v11, v19, v3
	s_delay_alu instid0(VALU_DEP_3) | instskip(NEXT) | instid1(VALU_DEP_4)
	v_add_f32_e32 v19, v26, v61
	v_add_f32_e32 v22, v10, v9
	v_add_co_u32 v9, vcc_lo, v6, v24
	s_delay_alu instid0(VALU_DEP_4) | instskip(NEXT) | instid1(VALU_DEP_4)
	v_add_f32_e32 v11, v11, v23
	v_add_f32_e32 v18, v18, v19
	v_add_co_ci_u32_e32 v10, vcc_lo, v7, v25, vcc_lo
	v_add_f32_e32 v19, v22, v8
	s_mov_b32 vcc_lo, s2
	s_delay_alu instid0(VALU_DEP_3)
	v_add_f32_e32 v8, v18, v11
	global_store_b32 v[9:10], v19, off
	s_cbranch_vccz .LBB96_94
; %bb.92:
	v_add_co_u32 v9, vcc_lo, v6, v20
	v_add_f32_e32 v11, 0, v8
	v_add_co_ci_u32_e32 v10, vcc_lo, v7, v21, vcc_lo
	s_mov_b32 s0, 0
	global_store_b32 v[9:10], v11, off
	s_cbranch_execz .LBB96_95
; %bb.93:
	v_mov_b32_e32 v4, s0
	s_branch .LBB96_96
.LBB96_94:
	s_mov_b32 s0, -1
.LBB96_95:
	v_add_co_u32 v9, vcc_lo, v4, v20
	v_add_co_ci_u32_e32 v10, vcc_lo, v5, v21, vcc_lo
	flat_load_b32 v11, v[9:10]
	v_add_co_u32 v9, vcc_lo, v6, v20
	v_add_co_ci_u32_e32 v10, vcc_lo, v7, v21, vcc_lo
	v_add_co_u32 v4, vcc_lo, v4, v16
	v_add_co_ci_u32_e32 v5, vcc_lo, v5, v17, vcc_lo
	s_waitcnt vmcnt(0) lgkmcnt(0)
	v_fmac_f32_e32 v8, s13, v11
	global_store_b32 v[9:10], v8, off
	flat_load_b32 v4, v[4:5]
	s_waitcnt vmcnt(0) lgkmcnt(0)
	v_mul_f32_e32 v4, s13, v4
.LBB96_96:
	v_dual_min_f32 v1, v13, v1 :: v_dual_min_f32 v0, v12, v0
	v_dual_min_f32 v2, v14, v2 :: v_dual_min_f32 v3, v15, v3
	s_delay_alu instid0(VALU_DEP_2) | instskip(NEXT) | instid1(VALU_DEP_1)
	v_dual_add_f32 v1, v1, v58 :: v_dual_add_f32 v0, v0, v59
	v_dual_add_f32 v1, v3, v1 :: v_dual_add_f32 v0, v2, v0
	s_delay_alu instid0(VALU_DEP_1) | instskip(NEXT) | instid1(VALU_DEP_1)
	v_add_f32_e32 v0, v0, v1
	v_add_f32_e32 v2, v0, v4
	v_add_co_u32 v0, vcc_lo, v6, v16
	v_add_co_ci_u32_e32 v1, vcc_lo, v7, v17, vcc_lo
	global_store_b32 v[0:1], v2, off
	s_nop 0
	s_sendmsg sendmsg(MSG_DEALLOC_VGPRS)
	s_endpgm
	.section	.rodata,"a",@progbits
	.p2align	6, 0x0
	.amdhsa_kernel _ZN12_GLOBAL__N_120geam_min_plus_kernelIf15HIP_vector_typeIfLj2EES2_Li8ELi32ELi64ELi128ELi4ELi4ELi64ELi64ELi4ELc84ELc84ELb0ELb0ELb0EPKfS3_fEEviiiT16_PT17_ilS7_ilS5_S7_ilPT18_ili26rocblas_geam_ex_operation_
		.amdhsa_group_segment_fixed_size 6144
		.amdhsa_private_segment_fixed_size 0
		.amdhsa_kernarg_size 136
		.amdhsa_user_sgpr_count 14
		.amdhsa_user_sgpr_dispatch_ptr 0
		.amdhsa_user_sgpr_queue_ptr 0
		.amdhsa_user_sgpr_kernarg_segment_ptr 1
		.amdhsa_user_sgpr_dispatch_id 0
		.amdhsa_user_sgpr_private_segment_size 0
		.amdhsa_wavefront_size32 1
		.amdhsa_uses_dynamic_stack 0
		.amdhsa_enable_private_segment 0
		.amdhsa_system_sgpr_workgroup_id_x 1
		.amdhsa_system_sgpr_workgroup_id_y 0
		.amdhsa_system_sgpr_workgroup_id_z 1
		.amdhsa_system_sgpr_workgroup_info 0
		.amdhsa_system_vgpr_workitem_id 1
		.amdhsa_next_free_vgpr 225
		.amdhsa_next_free_sgpr 23
		.amdhsa_reserve_vcc 1
		.amdhsa_float_round_mode_32 0
		.amdhsa_float_round_mode_16_64 0
		.amdhsa_float_denorm_mode_32 3
		.amdhsa_float_denorm_mode_16_64 3
		.amdhsa_dx10_clamp 1
		.amdhsa_ieee_mode 1
		.amdhsa_fp16_overflow 0
		.amdhsa_workgroup_processor_mode 1
		.amdhsa_memory_ordered 1
		.amdhsa_forward_progress 0
		.amdhsa_shared_vgpr_count 0
		.amdhsa_exception_fp_ieee_invalid_op 0
		.amdhsa_exception_fp_denorm_src 0
		.amdhsa_exception_fp_ieee_div_zero 0
		.amdhsa_exception_fp_ieee_overflow 0
		.amdhsa_exception_fp_ieee_underflow 0
		.amdhsa_exception_fp_ieee_inexact 0
		.amdhsa_exception_int_div_zero 0
	.end_amdhsa_kernel
	.section	.text._ZN12_GLOBAL__N_120geam_min_plus_kernelIf15HIP_vector_typeIfLj2EES2_Li8ELi32ELi64ELi128ELi4ELi4ELi64ELi64ELi4ELc84ELc84ELb0ELb0ELb0EPKfS3_fEEviiiT16_PT17_ilS7_ilS5_S7_ilPT18_ili26rocblas_geam_ex_operation_,"axG",@progbits,_ZN12_GLOBAL__N_120geam_min_plus_kernelIf15HIP_vector_typeIfLj2EES2_Li8ELi32ELi64ELi128ELi4ELi4ELi64ELi64ELi4ELc84ELc84ELb0ELb0ELb0EPKfS3_fEEviiiT16_PT17_ilS7_ilS5_S7_ilPT18_ili26rocblas_geam_ex_operation_,comdat
.Lfunc_end96:
	.size	_ZN12_GLOBAL__N_120geam_min_plus_kernelIf15HIP_vector_typeIfLj2EES2_Li8ELi32ELi64ELi128ELi4ELi4ELi64ELi64ELi4ELc84ELc84ELb0ELb0ELb0EPKfS3_fEEviiiT16_PT17_ilS7_ilS5_S7_ilPT18_ili26rocblas_geam_ex_operation_, .Lfunc_end96-_ZN12_GLOBAL__N_120geam_min_plus_kernelIf15HIP_vector_typeIfLj2EES2_Li8ELi32ELi64ELi128ELi4ELi4ELi64ELi64ELi4ELc84ELc84ELb0ELb0ELb0EPKfS3_fEEviiiT16_PT17_ilS7_ilS5_S7_ilPT18_ili26rocblas_geam_ex_operation_
                                        ; -- End function
	.section	.AMDGPU.csdata,"",@progbits
; Kernel info:
; codeLenInByte = 10228
; NumSgprs: 25
; NumVgprs: 225
; ScratchSize: 0
; MemoryBound: 0
; FloatMode: 240
; IeeeMode: 1
; LDSByteSize: 6144 bytes/workgroup (compile time only)
; SGPRBlocks: 3
; VGPRBlocks: 28
; NumSGPRsForWavesPerEU: 25
; NumVGPRsForWavesPerEU: 225
; Occupancy: 6
; WaveLimiterHint : 1
; COMPUTE_PGM_RSRC2:SCRATCH_EN: 0
; COMPUTE_PGM_RSRC2:USER_SGPR: 14
; COMPUTE_PGM_RSRC2:TRAP_HANDLER: 0
; COMPUTE_PGM_RSRC2:TGID_X_EN: 1
; COMPUTE_PGM_RSRC2:TGID_Y_EN: 0
; COMPUTE_PGM_RSRC2:TGID_Z_EN: 1
; COMPUTE_PGM_RSRC2:TIDIG_COMP_CNT: 1
	.section	.text._ZN12_GLOBAL__N_120geam_min_plus_kernelIf15HIP_vector_typeIfLj2EES2_Li8ELi32ELi64ELi128ELi4ELi4ELi64ELi64ELi4ELc84ELc84ELb1ELb0ELb0EfKffEEviiiT16_PT17_ilS6_ilS4_S6_ilPT18_ili26rocblas_geam_ex_operation_,"axG",@progbits,_ZN12_GLOBAL__N_120geam_min_plus_kernelIf15HIP_vector_typeIfLj2EES2_Li8ELi32ELi64ELi128ELi4ELi4ELi64ELi64ELi4ELc84ELc84ELb1ELb0ELb0EfKffEEviiiT16_PT17_ilS6_ilS4_S6_ilPT18_ili26rocblas_geam_ex_operation_,comdat
	.globl	_ZN12_GLOBAL__N_120geam_min_plus_kernelIf15HIP_vector_typeIfLj2EES2_Li8ELi32ELi64ELi128ELi4ELi4ELi64ELi64ELi4ELc84ELc84ELb1ELb0ELb0EfKffEEviiiT16_PT17_ilS6_ilS4_S6_ilPT18_ili26rocblas_geam_ex_operation_ ; -- Begin function _ZN12_GLOBAL__N_120geam_min_plus_kernelIf15HIP_vector_typeIfLj2EES2_Li8ELi32ELi64ELi128ELi4ELi4ELi64ELi64ELi4ELc84ELc84ELb1ELb0ELb0EfKffEEviiiT16_PT17_ilS6_ilS4_S6_ilPT18_ili26rocblas_geam_ex_operation_
	.p2align	8
	.type	_ZN12_GLOBAL__N_120geam_min_plus_kernelIf15HIP_vector_typeIfLj2EES2_Li8ELi32ELi64ELi128ELi4ELi4ELi64ELi64ELi4ELc84ELc84ELb1ELb0ELb0EfKffEEviiiT16_PT17_ilS6_ilS4_S6_ilPT18_ili26rocblas_geam_ex_operation_,@function
_ZN12_GLOBAL__N_120geam_min_plus_kernelIf15HIP_vector_typeIfLj2EES2_Li8ELi32ELi64ELi128ELi4ELi4ELi64ELi64ELi4ELc84ELc84ELb1ELb0ELb0EfKffEEviiiT16_PT17_ilS6_ilS4_S6_ilPT18_ili26rocblas_geam_ex_operation_: ; @_ZN12_GLOBAL__N_120geam_min_plus_kernelIf15HIP_vector_typeIfLj2EES2_Li8ELi32ELi64ELi128ELi4ELi4ELi64ELi64ELi4ELc84ELc84ELb1ELb0ELb0EfKffEEviiiT16_PT17_ilS6_ilS4_S6_ilPT18_ili26rocblas_geam_ex_operation_
; %bb.0:
	s_clause 0x1
	s_load_b64 s[8:9], s[0:1], 0x8
	s_load_b128 s[4:7], s[0:1], 0x20
	s_waitcnt lgkmcnt(0)
	v_cmp_eq_f32_e64 s2, s9, 0
	s_delay_alu instid0(VALU_DEP_1)
	s_and_b32 vcc_lo, exec_lo, s2
	s_cbranch_vccnz .LBB97_3
; %bb.1:
	s_load_b64 s[10:11], s[0:1], 0x10
	s_mul_i32 s3, s15, s5
	s_mul_hi_u32 s5, s15, s4
	s_mul_i32 s4, s15, s4
	s_add_i32 s5, s5, s3
	s_delay_alu instid0(SALU_CYCLE_1)
	s_lshl_b64 s[4:5], s[4:5], 2
	s_waitcnt lgkmcnt(0)
	s_add_u32 s10, s10, s4
	s_addc_u32 s11, s11, s5
	s_and_not1_b32 vcc_lo, exec_lo, s2
	s_cbranch_vccnz .LBB97_4
.LBB97_2:
	s_mov_b32 s19, 0
	s_mov_b64 s[12:13], 0
	s_cbranch_execz .LBB97_5
	s_branch .LBB97_6
.LBB97_3:
	s_mov_b64 s[10:11], 0
	s_and_not1_b32 vcc_lo, exec_lo, s2
	s_cbranch_vccz .LBB97_2
.LBB97_4:
	s_mov_b32 s19, -1
                                        ; implicit-def: $sgpr12_sgpr13
.LBB97_5:
	s_load_b64 s[2:3], s[0:1], 0x38
	s_mov_b32 s19, 0
	s_waitcnt lgkmcnt(0)
	s_mul_i32 s3, s15, s3
	s_mul_hi_u32 s4, s15, s2
	s_mul_i32 s2, s15, s2
	s_add_i32 s3, s4, s3
	s_delay_alu instid0(SALU_CYCLE_1) | instskip(NEXT) | instid1(SALU_CYCLE_1)
	s_lshl_b64 s[2:3], s[2:3], 2
	s_add_u32 s12, s6, s2
	s_addc_u32 s13, s7, s3
.LBB97_6:
	s_clause 0x1
	s_load_b32 s18, s[0:1], 0x40
	s_load_b128 s[4:7], s[0:1], 0x58
	s_waitcnt lgkmcnt(0)
	v_cmp_eq_f32_e64 s2, s18, 0
	s_delay_alu instid0(VALU_DEP_1) | instskip(NEXT) | instid1(SALU_CYCLE_1)
	s_and_b32 s2, exec_lo, s2
	s_mov_b32 vcc_lo, s2
	s_cbranch_vccnz .LBB97_8
; %bb.7:
	s_load_b64 s[16:17], s[0:1], 0x48
	s_mul_i32 s3, s15, s5
	s_mul_hi_u32 s5, s15, s4
	s_delay_alu instid0(SALU_CYCLE_1) | instskip(SKIP_3) | instid1(SALU_CYCLE_1)
	s_add_i32 s3, s5, s3
	s_mul_i32 s5, s19, s4
	s_mul_i32 s4, s15, s4
	s_add_i32 s5, s3, s5
	s_lshl_b64 s[4:5], s[4:5], 2
	s_waitcnt lgkmcnt(0)
	s_add_u32 s4, s16, s4
	s_addc_u32 s5, s17, s5
	s_branch .LBB97_9
.LBB97_8:
	s_mov_b64 s[4:5], 0
.LBB97_9:
	s_clause 0x2
	s_load_b32 s3, s[0:1], 0x0
	s_load_b32 s9, s[0:1], 0x18
	s_load_b32 s16, s[0:1], 0x30
	v_and_b32_e32 v66, 0x3ff, v0
	v_bfe_u32 v68, v0, 10, 10
	s_delay_alu instid0(VALU_DEP_2) | instskip(NEXT) | instid1(VALU_DEP_2)
	v_lshlrev_b32_e32 v71, 4, v66
	v_lshl_add_u32 v2, v68, 3, v66
	v_lshlrev_b32_e32 v67, 4, v68
	s_delay_alu instid0(VALU_DEP_2) | instskip(SKIP_2) | instid1(VALU_DEP_3)
	v_lshrrev_b32_e32 v4, 6, v2
	v_lshrrev_b32_e32 v10, 2, v2
	v_and_b32_e32 v11, 63, v2
	v_lshlrev_b32_e32 v15, 2, v4
	s_waitcnt lgkmcnt(0)
	s_add_i32 s3, s3, -1
	s_delay_alu instid0(SALU_CYCLE_1) | instskip(NEXT) | instid1(VALU_DEP_1)
	s_ashr_i32 s17, s3, 31
	v_lshl_add_u32 v80, v11, 4, v15
	s_lshr_b32 s17, s17, 26
	s_delay_alu instid0(SALU_CYCLE_1) | instskip(NEXT) | instid1(SALU_CYCLE_1)
	s_add_i32 s3, s3, s17
	s_ashr_i32 s3, s3, 6
	s_delay_alu instid0(SALU_CYCLE_1) | instskip(SKIP_2) | instid1(VALU_DEP_1)
	s_add_i32 s17, s3, 1
	s_not_b32 s3, s3
	v_cvt_f32_u32_e32 v1, s17
	v_rcp_iflag_f32_e32 v1, v1
	s_waitcnt_depctr 0xfff
	v_mul_f32_e32 v1, 0x4f7ffffe, v1
	s_delay_alu instid0(VALU_DEP_1) | instskip(NEXT) | instid1(VALU_DEP_1)
	v_cvt_u32_f32_e32 v1, v1
	v_readfirstlane_b32 s20, v1
	v_mad_i64_i32 v[0:1], null, s16, v4, 0
	s_delay_alu instid0(VALU_DEP_2) | instskip(NEXT) | instid1(SALU_CYCLE_1)
	s_mul_i32 s3, s3, s20
	s_mul_hi_u32 s3, s20, s3
	s_delay_alu instid0(SALU_CYCLE_1) | instskip(NEXT) | instid1(VALU_DEP_1)
	s_add_i32 s20, s20, s3
	v_lshlrev_b64 v[8:9], 2, v[0:1]
	s_mul_hi_u32 s3, s14, s20
	s_delay_alu instid0(SALU_CYCLE_1) | instskip(SKIP_2) | instid1(VALU_DEP_1)
	s_mul_i32 s20, s3, s17
	s_add_i32 s21, s3, 1
	s_sub_i32 s20, s14, s20
	v_add_co_u32 v8, vcc_lo, s12, v8
	s_sub_i32 s22, s20, s17
	s_cmp_ge_u32 s20, s17
	v_add_co_ci_u32_e32 v9, vcc_lo, s13, v9, vcc_lo
	s_cselect_b32 s3, s21, s3
	s_cselect_b32 s20, s22, s20
	s_add_i32 s21, s3, 1
	s_cmp_ge_u32 s20, s17
	s_cselect_b32 s20, s21, s3
	s_delay_alu instid0(SALU_CYCLE_1) | instskip(NEXT) | instid1(SALU_CYCLE_1)
	s_mul_i32 s3, s20, s17
	s_sub_i32 s3, s14, s3
	s_lshl_b32 s14, s20, 7
	s_lshl_b32 s3, s3, 6
	v_or_b32_e32 v6, s14, v11
	v_add_nc_u32_e32 v5, s3, v10
	s_cmp_lt_i32 s8, 9
	s_delay_alu instid0(VALU_DEP_2) | instskip(NEXT) | instid1(VALU_DEP_2)
	v_ashrrev_i32_e32 v7, 31, v6
	v_mad_i64_i32 v[2:3], null, v5, s9, 0
	v_and_b32_e32 v5, 3, v66
	s_delay_alu instid0(VALU_DEP_1) | instskip(NEXT) | instid1(VALU_DEP_3)
	v_lshlrev_b32_e32 v5, 2, v5
	v_lshlrev_b64 v[0:1], 2, v[2:3]
	v_lshlrev_b64 v[2:3], 2, v[6:7]
	s_delay_alu instid0(VALU_DEP_2) | instskip(NEXT) | instid1(VALU_DEP_3)
	v_add_co_u32 v12, vcc_lo, s10, v0
	v_add_co_ci_u32_e32 v13, vcc_lo, s11, v1, vcc_lo
	s_delay_alu instid0(VALU_DEP_3) | instskip(NEXT) | instid1(VALU_DEP_4)
	v_add_co_u32 v6, vcc_lo, v8, v2
	v_add_co_ci_u32_e32 v7, vcc_lo, v9, v3, vcc_lo
	s_delay_alu instid0(VALU_DEP_4) | instskip(NEXT) | instid1(VALU_DEP_4)
	v_add_co_u32 v8, vcc_lo, v12, v5
	v_add_co_ci_u32_e32 v9, vcc_lo, 0, v13, vcc_lo
	s_clause 0x1
	flat_load_b32 v12, v[6:7]
	flat_load_b32 v13, v[6:7] offset:256
	s_clause 0x1
	flat_load_b32 v14, v[8:9]
	flat_load_b32 v57, v[8:9] offset:16
	v_add_nc_u32_e32 v8, 4, v4
	s_delay_alu instid0(VALU_DEP_1) | instskip(NEXT) | instid1(VALU_DEP_1)
	v_mad_i64_i32 v[6:7], null, s16, v8, 0
	v_lshlrev_b64 v[6:7], 2, v[6:7]
	s_delay_alu instid0(VALU_DEP_1) | instskip(NEXT) | instid1(VALU_DEP_2)
	v_add_co_u32 v6, vcc_lo, s12, v6
	v_add_co_ci_u32_e32 v7, vcc_lo, s13, v7, vcc_lo
	s_delay_alu instid0(VALU_DEP_2) | instskip(NEXT) | instid1(VALU_DEP_2)
	v_add_co_u32 v8, vcc_lo, v6, v2
	v_add_co_ci_u32_e32 v9, vcc_lo, v7, v3, vcc_lo
	s_clause 0x1
	flat_load_b32 v7, v[8:9]
	flat_load_b32 v8, v[8:9] offset:256
	v_lshl_or_b32 v6, v10, 4, v5
	s_waitcnt vmcnt(4) lgkmcnt(4)
	ds_store_2addr_stride64_b32 v80, v12, v13 offset1:4
	s_waitcnt vmcnt(3) lgkmcnt(4)
	ds_store_b32 v6, v14 offset:4096
	s_waitcnt vmcnt(0) lgkmcnt(0)
	s_barrier
	buffer_gl0_inv
	ds_load_b128 v[9:12], v67
	ds_load_b128 v[13:16], v71 offset:4096
	ds_load_b128 v[17:20], v71 offset:4224
	;; [unrolled: 1-line block ×11, first 2 shown]
	ds_store_b32 v6, v57 offset:5120
	s_waitcnt lgkmcnt(12)
	v_dual_max_f32 v10, v10, v10 :: v_dual_max_f32 v9, v9, v9
	s_waitcnt lgkmcnt(9)
	v_dual_max_f32 v13, v13, v13 :: v_dual_max_f32 v22, v22, v22
	v_dual_max_f32 v14, v14, v14 :: v_dual_max_f32 v17, v17, v17
	s_waitcnt lgkmcnt(8)
	v_max_f32_e32 v26, v26, v26
	v_dual_max_f32 v18, v18, v18 :: v_dual_max_f32 v21, v21, v21
	s_waitcnt lgkmcnt(7)
	v_dual_max_f32 v30, v30, v30 :: v_dual_max_f32 v25, v25, v25
	s_waitcnt lgkmcnt(6)
	;; [unrolled: 2-line block ×7, first 2 shown]
	v_dual_max_f32 v54, v54, v54 :: v_dual_max_f32 v49, v49, v49
	v_dual_max_f32 v28, v28, v28 :: v_dual_max_f32 v53, v53, v53
	;; [unrolled: 1-line block ×4, first 2 shown]
	v_max_f32_e32 v40, v40, v40
	v_max_f32_e32 v12, v12, v12
	v_dual_max_f32 v16, v16, v16 :: v_dual_max_f32 v19, v19, v19
	v_max_f32_e32 v44, v44, v44
	v_dual_max_f32 v20, v20, v20 :: v_dual_max_f32 v23, v23, v23
	v_max_f32_e32 v48, v48, v48
	v_dual_max_f32 v24, v24, v24 :: v_dual_max_f32 v27, v27, v27
	v_dual_max_f32 v52, v52, v52 :: v_dual_max_f32 v31, v31, v31
	v_dual_max_f32 v56, v56, v56 :: v_dual_max_f32 v35, v35, v35
	v_dual_min_f32 v58, v14, v10 :: v_dual_max_f32 v39, v39, v39
	v_dual_min_f32 v60, v18, v10 :: v_dual_max_f32 v43, v43, v43
	;; [unrolled: 1-line block ×5, first 2 shown]
	v_dual_min_f32 v72, v34, v10 :: v_dual_min_f32 v57, v13, v9
	v_dual_min_f32 v74, v38, v10 :: v_dual_min_f32 v59, v17, v9
	;; [unrolled: 1-line block ×12, first 2 shown]
	v_min_f32_e32 v83, v33, v45
	v_min_f32_e32 v84, v37, v45
	v_dual_min_f32 v45, v41, v45 :: v_dual_min_f32 v14, v14, v54
	v_min_f32_e32 v85, v13, v49
	v_dual_min_f32 v86, v17, v49 :: v_dual_min_f32 v93, v30, v46
	;; [unrolled: 2-line block ×4, first 2 shown]
	v_dual_min_f32 v91, v37, v49 :: v_dual_min_f32 v30, v30, v54
	v_min_f32_e32 v49, v41, v49
	v_dual_min_f32 v13, v13, v53 :: v_dual_min_f32 v38, v38, v54
	v_min_f32_e32 v17, v17, v53
	v_min_f32_e32 v21, v21, v53
	v_dual_min_f32 v25, v25, v53 :: v_dual_min_f32 v104, v23, v11
	v_dual_min_f32 v29, v29, v53 :: v_dual_min_f32 v106, v31, v11
	v_dual_min_f32 v33, v33, v53 :: v_dual_min_f32 v108, v39, v11
	v_dual_min_f32 v37, v37, v53 :: v_dual_min_f32 v120, v15, v47
	v_dual_min_f32 v41, v41, v53 :: v_dual_min_f32 v124, v27, v47
	v_min_f32_e32 v53, v22, v46
	v_min_f32_e32 v46, v42, v46
	v_dual_min_f32 v99, v26, v50 :: v_dual_min_f32 v126, v35, v47
	v_dual_min_f32 v101, v34, v50 :: v_dual_min_f32 v128, v15, v51
	v_min_f32_e32 v50, v42, v50
	v_min_f32_e32 v18, v18, v54
	;; [unrolled: 1-line block ×7, first 2 shown]
	v_dual_min_f32 v103, v19, v11 :: v_dual_min_f32 v110, v24, v12
	v_dual_min_f32 v105, v27, v11 :: v_dual_min_f32 v112, v32, v12
	v_min_f32_e32 v107, v35, v11
	v_dual_min_f32 v11, v43, v11 :: v_dual_min_f32 v140, v16, v48
	v_dual_min_f32 v121, v19, v47 :: v_dual_min_f32 v142, v24, v48
	;; [unrolled: 1-line block ×4, first 2 shown]
	v_min_f32_e32 v127, v39, v47
	v_dual_min_f32 v47, v43, v47 :: v_dual_min_f32 v148, v20, v52
	v_dual_min_f32 v133, v19, v51 :: v_dual_min_f32 v150, v28, v52
	v_min_f32_e32 v134, v23, v51
	v_dual_min_f32 v135, v27, v51 :: v_dual_min_f32 v152, v36, v52
	v_dual_min_f32 v136, v31, v51 :: v_dual_min_f32 v109, v20, v12
	v_min_f32_e32 v137, v35, v51
	v_dual_min_f32 v138, v39, v51 :: v_dual_min_f32 v111, v28, v12
	v_min_f32_e32 v51, v43, v51
	v_min_f32_e32 v15, v15, v55
	;; [unrolled: 1-line block ×13, first 2 shown]
	v_dual_min_f32 v141, v20, v48 :: v_dual_add_f32 v70, 0, v70
	v_min_f32_e32 v143, v28, v48
	v_dual_min_f32 v145, v36, v48 :: v_dual_add_f32 v10, 0, v10
	v_min_f32_e32 v48, v44, v48
	v_min_f32_e32 v147, v16, v52
	;; [unrolled: 1-line block ×4, first 2 shown]
	v_dual_min_f32 v153, v40, v52 :: v_dual_add_f32 v82, 0, v82
	v_min_f32_e32 v52, v44, v52
	v_min_f32_e32 v16, v16, v56
	v_min_f32_e32 v20, v20, v56
	v_min_f32_e32 v24, v24, v56
	v_min_f32_e32 v28, v28, v56
	v_min_f32_e32 v32, v32, v56
	v_min_f32_e32 v36, v36, v56
	v_min_f32_e32 v40, v40, v56
	v_min_f32_e32 v44, v44, v56
	v_dual_add_f32 v56, 0, v58 :: v_dual_add_f32 v57, 0, v57
	v_dual_add_f32 v58, 0, v60 :: v_dual_add_f32 v59, 0, v59
	v_add_f32_e32 v60, 0, v62
	v_dual_add_f32 v62, 0, v64 :: v_dual_add_f32 v61, 0, v61
	v_dual_add_f32 v63, 0, v63 :: v_dual_add_f32 v84, 0, v84
	v_add_f32_e32 v64, 0, v69
	v_add_f32_e32 v65, 0, v65
	v_dual_add_f32 v69, 0, v72 :: v_dual_add_f32 v46, 0, v46
	v_dual_add_f32 v72, 0, v74 :: v_dual_add_f32 v73, 0, v73
	;; [unrolled: 1-line block ×3, first 2 shown]
	v_add_f32_e32 v86, 0, v86
	v_dual_add_f32 v74, 0, v76 :: v_dual_add_f32 v75, 0, v75
	v_add_f32_e32 v156, 0, v98
	v_dual_add_f32 v76, 0, v78 :: v_dual_add_f32 v77, 0, v77
	v_dual_add_f32 v158, 0, v99 :: v_dual_add_f32 v53, 0, v53
	v_add_f32_e32 v160, 0, v100
	v_dual_add_f32 v78, 0, v79 :: v_dual_add_f32 v79, 0, v92
	v_add_f32_e32 v162, 0, v101
	v_dual_add_f32 v81, 0, v81 :: v_dual_add_f32 v164, 0, v102
	v_dual_add_f32 v92, 0, v93 :: v_dual_add_f32 v93, 0, v94
	;; [unrolled: 1-line block ×3, first 2 shown]
	v_add_f32_e32 v50, 0, v50
	v_dual_add_f32 v94, 0, v95 :: v_dual_add_f32 v45, 0, v45
	v_dual_add_f32 v14, 0, v14 :: v_dual_add_f32 v85, 0, v85
	;; [unrolled: 1-line block ×6, first 2 shown]
	v_add_f32_e32 v34, 0, v34
	v_dual_add_f32 v163, 0, v90 :: v_dual_add_f32 v130, v103, v59
	v_dual_add_f32 v165, 0, v91 :: v_dual_add_f32 v38, 0, v38
	;; [unrolled: 1-line block ×5, first 2 shown]
	v_add_f32_e32 v21, 0, v21
	v_add_f32_e32 v25, 0, v25
	v_dual_add_f32 v29, 0, v29 :: v_dual_add_f32 v100, v125, v82
	v_dual_add_f32 v33, 0, v33 :: v_dual_add_f32 v98, v126, v83
	;; [unrolled: 1-line block ×6, first 2 shown]
	v_add_f32_e32 v119, v110, v60
	v_dual_add_f32 v117, v111, v62 :: v_dual_add_f32 v106, v121, v77
	v_dual_add_f32 v115, v112, v64 :: v_dual_add_f32 v110, v11, v9
	;; [unrolled: 1-line block ×4, first 2 shown]
	v_add_f32_e32 v112, v108, v73
	v_add_f32_e32 v109, v12, v10
	v_dual_add_f32 v107, v140, v74 :: v_dual_add_f32 v88, v134, v157
	v_dual_add_f32 v108, v120, v75 :: v_dual_add_f32 v105, v141, v76
	;; [unrolled: 1-line block ×3, first 2 shown]
	v_add_f32_e32 v104, v123, v78
	v_dual_add_f32 v101, v143, v79 :: v_dual_add_f32 v84, v136, v161
	v_dual_add_f32 v99, v144, v92 :: v_dual_add_f32 v70, v23, v21
	;; [unrolled: 1-line block ×5, first 2 shown]
	v_add_f32_e32 v94, v47, v45
	v_dual_add_f32 v91, v147, v154 :: v_dual_add_f32 v92, v128, v85
	v_add_f32_e32 v89, v148, v155
	v_dual_add_f32 v87, v149, v156 :: v_dual_add_f32 v74, v16, v14
	;; [unrolled: 2-line block ×4, first 2 shown]
	v_dual_add_f32 v77, v51, v49 :: v_dual_add_f32 v62, v32, v30
	v_dual_add_f32 v75, v15, v13 :: v_dual_add_f32 v60, v36, v34
	v_dual_add_f32 v73, v19, v17 :: v_dual_add_f32 v56, v44, v42
	v_add_f32_e32 v69, v24, v22
	v_add_f32_e32 v65, v27, v25
	;; [unrolled: 1-line block ×6, first 2 shown]
	ds_store_2addr_stride64_b32 v80, v7, v8 offset0:8 offset1:12
	s_waitcnt lgkmcnt(0)
	s_barrier
	buffer_gl0_inv
	s_cbranch_scc1 .LBB97_12
; %bb.10:
	v_add_co_u32 v127, vcc_lo, s12, v2
	v_add_nc_u32_e32 v8, 12, v4
	v_add_nc_u32_e32 v4, 8, v4
	v_add_co_ci_u32_e32 v128, vcc_lo, s13, v3, vcc_lo
	v_add_co_u32 v0, vcc_lo, v0, v5
	v_add_co_ci_u32_e32 v1, vcc_lo, 0, v1, vcc_lo
	v_add_nc_u32_e32 v120, 0x1000, v6
	v_add_nc_u32_e32 v123, 0x1400, v6
	v_mad_i64_i32 v[6:7], null, v8, s16, 0
	v_mad_i64_i32 v[2:3], null, v4, s16, 0
	v_add_co_u32 v0, vcc_lo, v0, s10
	v_add_co_ci_u32_e32 v1, vcc_lo, s11, v1, vcc_lo
	s_delay_alu instid0(VALU_DEP_4) | instskip(NEXT) | instid1(VALU_DEP_3)
	v_lshlrev_b64 v[48:49], 2, v[6:7]
	v_add_co_u32 v52, vcc_lo, v0, 32
	v_lshlrev_b64 v[50:51], 2, v[2:3]
	v_add_nc_u32_e32 v121, 0x1000, v71
	v_or_b32_e32 v124, 0x800, v80
	v_lshl_add_u32 v125, v66, 4, 0x1400
	v_lshl_add_u32 v126, v68, 4, 0x800
	v_add_co_ci_u32_e32 v53, vcc_lo, 0, v1, vcc_lo
	s_ashr_i32 s17, s16, 31
	s_add_i32 s10, s8, -8
	s_lshl_b64 s[8:9], s[16:17], 5
	s_mov_b32 s11, 0
.LBB97_11:                              ; =>This Inner Loop Header: Depth=1
	v_add_co_u32 v54, vcc_lo, v127, v50
	v_add_co_ci_u32_e32 v55, vcc_lo, v128, v51, vcc_lo
	ds_load_b128 v[44:47], v126
	ds_load_b128 v[40:43], v125
	ds_load_b128 v[36:39], v125 offset:128
	ds_load_b128 v[32:35], v125 offset:256
	;; [unrolled: 1-line block ×10, first 2 shown]
	flat_load_b32 v133, v[52:53]
	s_clause 0x1
	flat_load_b32 v134, v[54:55]
	flat_load_b32 v54, v[54:55] offset:256
	s_add_i32 s11, s11, 8
	s_waitcnt vmcnt(2) lgkmcnt(2)
	ds_store_b32 v120, v133
	s_waitcnt vmcnt(0) lgkmcnt(1)
	ds_store_2addr_stride64_b32 v80, v134, v54 offset1:4
	v_dual_max_f32 v44, v44, v44 :: v_dual_max_f32 v55, v45, v45
	v_dual_max_f32 v32, v32, v32 :: v_dual_max_f32 v161, v39, v39
	;; [unrolled: 1-line block ×12, first 2 shown]
	v_max_f32_e32 v42, v25, v25
	v_dual_max_f32 v38, v21, v21 :: v_dual_max_f32 v169, v22, v22
	v_dual_max_f32 v4, v4, v4 :: v_dual_max_f32 v171, v6, v6
	;; [unrolled: 1-line block ×6, first 2 shown]
	v_dual_min_f32 v149, v36, v44 :: v_dual_max_f32 v6, v9, v9
	v_min_f32_e32 v147, v32, v44
	v_max_f32_e32 v12, v12, v12
	v_dual_max_f32 v18, v18, v18 :: v_dual_min_f32 v141, v20, v44
	v_max_f32_e32 v8, v8, v8
	v_dual_max_f32 v216, v31, v31 :: v_dual_max_f32 v175, v10, v10
	v_dual_max_f32 v218, v23, v23 :: v_dual_min_f32 v223, v40, v44
	v_dual_max_f32 v2, v2, v2 :: v_dual_min_f32 v145, v28, v44
	;; [unrolled: 1-line block ×5, first 2 shown]
	v_dual_min_f32 v135, v40, v5 :: v_dual_min_f32 v210, v138, v55
	v_dual_min_f32 v47, v36, v5 :: v_dual_min_f32 v206, v142, v55
	;; [unrolled: 1-line block ×12, first 2 shown]
	v_min_f32_e32 v168, v34, v22
	v_dual_min_f32 v164, v136, v6 :: v_dual_min_f32 v191, v217, v173
	v_min_f32_e32 v162, v138, v6
	v_min_f32_e32 v158, v142, v6
	;; [unrolled: 1-line block ×5, first 2 shown]
	v_dual_min_f32 v33, v40, v12 :: v_dual_min_f32 v178, v138, v22
	v_min_f32_e32 v25, v24, v12
	v_min_f32_e32 v21, v4, v12
	;; [unrolled: 1-line block ×6, first 2 shown]
	v_dual_min_f32 v13, v32, v8 :: v_dual_min_f32 v152, v34, v6
	v_dual_min_f32 v11, v28, v8 :: v_dual_min_f32 v150, v155, v46
	;; [unrolled: 1-line block ×5, first 2 shown]
	v_min_f32_e32 v3, v0, v8
	v_add_co_u32 v0, vcc_lo, v127, v48
	v_dual_min_f32 v31, v36, v12 :: v_dual_min_f32 v174, v142, v22
	v_dual_min_f32 v29, v32, v12 :: v_dual_min_f32 v172, v42, v22
	;; [unrolled: 1-line block ×11, first 2 shown]
	v_min_f32_e32 v142, v167, v46
	v_dual_min_f32 v140, v169, v46 :: v_dual_min_f32 v193, v216, v173
	v_dual_min_f32 v138, v171, v46 :: v_dual_min_f32 v185, v220, v173
	v_dual_min_f32 v136, v2, v46 :: v_dual_min_f32 v187, v219, v173
	v_dual_min_f32 v46, v159, v18 :: v_dual_min_f32 v183, v157, v221
	v_dual_min_f32 v44, v163, v18 :: v_dual_min_f32 v181, v161, v221
	v_dual_min_f32 v42, v165, v18 :: v_dual_min_f32 v179, v215, v221
	v_dual_min_f32 v40, v167, v18 :: v_dual_min_f32 v177, v216, v221
	v_dual_min_f32 v38, v169, v18 :: v_dual_min_f32 v173, v218, v221
	v_min_f32_e32 v36, v171, v18
	v_min_f32_e32 v34, v2, v18
	;; [unrolled: 1-line block ×3, first 2 shown]
	v_dual_min_f32 v30, v159, v14 :: v_dual_add_f32 v131, v212, v131
	v_dual_min_f32 v28, v163, v14 :: v_dual_add_f32 v129, v210, v129
	;; [unrolled: 1-line block ×7, first 2 shown]
	v_min_f32_e32 v16, v155, v175
	v_min_f32_e32 v14, v159, v175
	;; [unrolled: 1-line block ×3, first 2 shown]
	v_dual_min_f32 v10, v165, v175 :: v_dual_min_f32 v163, v215, v222
	v_dual_min_f32 v8, v167, v175 :: v_dual_min_f32 v159, v217, v222
	v_min_f32_e32 v6, v169, v175
	v_min_f32_e32 v4, v171, v175
	v_dual_min_f32 v2, v2, v175 :: v_dual_min_f32 v155, v219, v222
	v_dual_min_f32 v214, v157, v153 :: v_dual_add_f32 v107, v196, v107
	v_min_f32_e32 v175, v217, v221
	v_min_f32_e32 v169, v220, v221
	;; [unrolled: 1-line block ×5, first 2 shown]
	v_dual_min_f32 v157, v218, v222 :: v_dual_add_f32 v132, v223, v132
	v_dual_add_f32 v109, v198, v109 :: v_dual_add_f32 v130, v149, v130
	v_dual_add_f32 v105, v194, v105 :: v_dual_add_f32 v122, v147, v122
	v_add_f32_e32 v45, v45, v104
	v_dual_add_f32 v118, v145, v118 :: v_dual_add_f32 v103, v192, v103
	v_dual_add_f32 v114, v141, v114 :: v_dual_add_f32 v99, v188, v99
	;; [unrolled: 1-line block ×15, first 2 shown]
	v_add_f32_e32 v5, v5, v58
	v_dual_add_f32 v3, v3, v57 :: v_dual_add_f32 v60, v157, v60
	v_add_co_ci_u32_e32 v1, vcc_lo, v128, v49, vcc_lo
	v_min_f32_e32 v153, v220, v222
	v_dual_add_f32 v31, v31, v90 :: v_dual_add_f32 v58, v152, v59
	v_dual_add_f32 v89, v178, v89 :: v_dual_add_f32 v70, v211, v119
	v_add_f32_e32 v29, v29, v88
	v_add_f32_e32 v27, v27, v86
	v_dual_add_f32 v25, v25, v84 :: v_dual_add_f32 v94, v136, v110
	v_dual_add_f32 v21, v21, v79 :: v_dual_add_f32 v98, v55, v108
	;; [unrolled: 1-line block ×7, first 2 shown]
	v_add_f32_e32 v65, v148, v130
	v_add_f32_e32 v73, v146, v122
	;; [unrolled: 1-line block ×3, first 2 shown]
	v_dual_add_f32 v86, v140, v114 :: v_dual_add_f32 v61, v150, v132
	v_dual_add_f32 v110, v28, v29 :: v_dual_add_f32 v47, v195, v103
	;; [unrolled: 1-line block ×6, first 2 shown]
	v_add_f32_e32 v129, v6, v7
	v_add_f32_e32 v132, v2, v3
	s_waitcnt lgkmcnt(0)
	s_barrier
	buffer_gl0_inv
	ds_load_b128 v[2:5], v67
	ds_load_b128 v[6:9], v121
	ds_load_b128 v[10:13], v121 offset:128
	flat_load_b32 v133, v[52:53] offset:16
	s_clause 0x1
	flat_load_b32 v134, v[0:1]
	flat_load_b32 v0, v[0:1] offset:256
	v_dual_add_f32 v116, v143, v116 :: v_dual_add_f32 v101, v190, v101
	v_dual_add_f32 v112, v139, v112 :: v_dual_add_f32 v97, v186, v97
	v_dual_add_f32 v91, v180, v91 :: v_dual_add_f32 v56, v151, v56
	v_dual_add_f32 v23, v23, v82 :: v_dual_add_f32 v92, v201, v109
	v_min_f32_e32 v171, v219, v221
	v_dual_add_f32 v87, v176, v87 :: v_dual_add_f32 v82, v142, v116
	v_dual_add_f32 v85, v174, v85 :: v_dual_add_f32 v88, v203, v111
	;; [unrolled: 1-line block ×7, first 2 shown]
	s_waitcnt lgkmcnt(4)
	v_dual_max_f32 v8, v8, v8 :: v_dual_add_f32 v109, v30, v31
	v_dual_add_f32 v111, v26, v27 :: v_dual_add_f32 v112, v24, v25
	v_add_f32_e32 v113, v22, v23
	v_dual_add_f32 v115, v18, v19 :: v_dual_add_f32 v116, v16, v17
	v_add_f32_e32 v117, v14, v15
	v_add_f32_e32 v131, v153, v56
	ds_load_b128 v[14:17], v121 offset:256
	ds_load_b128 v[18:21], v121 offset:384
	;; [unrolled: 1-line block ×9, first 2 shown]
	v_dual_add_f32 v69, v160, v69 :: v_dual_add_f32 v78, v171, v78
	v_add_f32_e32 v97, v189, v97
	v_dual_add_f32 v95, v187, v95 :: v_dual_max_f32 v4, v4, v4
	v_add_f32_e32 v93, v185, v93
	v_add_f32_e32 v89, v181, v89
	;; [unrolled: 1-line block ×4, first 2 shown]
	v_max_f32_e32 v1, v2, v2
	v_max_f32_e32 v2, v6, v6
	s_waitcnt lgkmcnt(12)
	v_dual_max_f32 v6, v7, v7 :: v_dual_max_f32 v7, v10, v10
	s_waitcnt lgkmcnt(8)
	v_dual_max_f32 v10, v11, v11 :: v_dual_max_f32 v11, v14, v14
	;; [unrolled: 2-line block ×3, first 2 shown]
	v_dual_max_f32 v5, v5, v5 :: v_dual_max_f32 v18, v19, v19
	s_waitcnt lgkmcnt(6)
	v_dual_max_f32 v19, v22, v22 :: v_dual_max_f32 v22, v23, v23
	s_waitcnt lgkmcnt(5)
	;; [unrolled: 2-line block ×5, first 2 shown]
	v_dual_max_f32 v34, v35, v35 :: v_dual_max_f32 v35, v38, v38
	v_max_f32_e32 v38, v39, v39
	v_max_f32_e32 v3, v3, v3
	s_waitcnt lgkmcnt(1)
	v_dual_max_f32 v39, v42, v42 :: v_dual_max_f32 v42, v43, v43
	s_waitcnt lgkmcnt(0)
	v_dual_max_f32 v43, v54, v54 :: v_dual_min_f32 v176, v16, v4
	v_dual_max_f32 v54, v55, v55 :: v_dual_add_f32 v101, v193, v101
	v_add_f32_e32 v58, v155, v58
	v_dual_add_f32 v91, v183, v91 :: v_dual_max_f32 v12, v12, v12
	v_dual_add_f32 v87, v179, v87 :: v_dual_max_f32 v20, v20, v20
	;; [unrolled: 1-line block ×4, first 2 shown]
	v_dual_max_f32 v17, v17, v17 :: v_dual_min_f32 v148, v2, v39
	v_dual_max_f32 v24, v24, v24 :: v_dual_max_f32 v25, v25, v25
	v_max_f32_e32 v32, v32, v32
	v_max_f32_e32 v36, v36, v36
	v_dual_max_f32 v40, v40, v40 :: v_dual_max_f32 v41, v41, v41
	v_dual_min_f32 v164, v18, v38 :: v_dual_max_f32 v45, v45, v45
	v_dual_min_f32 v166, v26, v38 :: v_dual_max_f32 v55, v56, v56
	v_max_f32_e32 v56, v57, v57
	v_dual_min_f32 v57, v2, v1 :: v_dual_min_f32 v178, v24, v4
	v_dual_min_f32 v135, v7, v1 :: v_dual_min_f32 v168, v6, v42
	v_min_f32_e32 v136, v11, v1
	v_dual_min_f32 v137, v15, v1 :: v_dual_min_f32 v170, v14, v42
	v_min_f32_e32 v140, v27, v1
	v_dual_max_f32 v21, v21, v21 :: v_dual_min_f32 v152, v19, v39
	v_min_f32_e32 v138, v19, v1
	v_dual_min_f32 v139, v23, v1 :: v_dual_min_f32 v172, v22, v42
	v_min_f32_e32 v146, v23, v35
	v_min_f32_e32 v149, v7, v39
	;; [unrolled: 1-line block ×3, first 2 shown]
	v_dual_min_f32 v1, v31, v1 :: v_dual_min_f32 v174, v30, v42
	v_min_f32_e32 v151, v15, v39
	v_min_f32_e32 v153, v23, v39
	v_dual_min_f32 v154, v27, v39 :: v_dual_max_f32 v9, v9, v9
	v_dual_min_f32 v142, v7, v35 :: v_dual_max_f32 v13, v13, v13
	v_min_f32_e32 v144, v15, v35
	v_dual_min_f32 v141, v2, v35 :: v_dual_min_f32 v180, v32, v4
	v_min_f32_e32 v143, v11, v35
	v_min_f32_e32 v145, v19, v35
	;; [unrolled: 1-line block ×8, first 2 shown]
	v_dual_min_f32 v15, v15, v43 :: v_dual_min_f32 v182, v12, v40
	v_dual_min_f32 v19, v19, v43 :: v_dual_min_f32 v184, v20, v40
	v_dual_min_f32 v23, v23, v43 :: v_dual_min_f32 v186, v28, v40
	v_min_f32_e32 v27, v27, v43
	v_dual_min_f32 v31, v31, v43 :: v_dual_min_f32 v188, v8, v44
	v_min_f32_e32 v161, v6, v38
	v_dual_min_f32 v162, v10, v38 :: v_dual_max_f32 v29, v29, v29
	v_dual_min_f32 v156, v14, v3 :: v_dual_max_f32 v33, v33, v33
	;; [unrolled: 1-line block ×3, first 2 shown]
	v_min_f32_e32 v160, v30, v3
	v_dual_min_f32 v43, v6, v3 :: v_dual_min_f32 v190, v16, v44
	v_dual_min_f32 v155, v10, v3 :: v_dual_min_f32 v192, v24, v44
	;; [unrolled: 1-line block ×3, first 2 shown]
	v_min_f32_e32 v159, v26, v3
	v_min_f32_e32 v163, v14, v38
	;; [unrolled: 1-line block ×7, first 2 shown]
	v_dual_min_f32 v3, v34, v3 :: v_dual_min_f32 v196, v17, v5
	v_min_f32_e32 v169, v10, v42
	v_min_f32_e32 v173, v26, v42
	;; [unrolled: 1-line block ×11, first 2 shown]
	v_dual_min_f32 v175, v12, v4 :: v_dual_min_f32 v198, v25, v5
	v_dual_min_f32 v177, v20, v4 :: v_dual_min_f32 v200, v33, v5
	;; [unrolled: 1-line block ×3, first 2 shown]
	v_min_f32_e32 v4, v36, v4
	v_dual_min_f32 v181, v8, v40 :: v_dual_min_f32 v204, v21, v41
	v_dual_min_f32 v183, v16, v40 :: v_dual_min_f32 v206, v29, v41
	;; [unrolled: 1-line block ×4, first 2 shown]
	v_min_f32_e32 v40, v36, v40
	v_dual_min_f32 v189, v12, v44 :: v_dual_min_f32 v212, v25, v45
	v_dual_min_f32 v191, v20, v44 :: v_dual_min_f32 v214, v33, v45
	v_min_f32_e32 v193, v28, v44
	v_min_f32_e32 v44, v36, v44
	;; [unrolled: 1-line block ×9, first 2 shown]
	v_dual_min_f32 v36, v36, v55 :: v_dual_min_f32 v55, v9, v5
	v_min_f32_e32 v195, v13, v5
	v_min_f32_e32 v197, v21, v5
	v_dual_min_f32 v199, v29, v5 :: v_dual_add_f32 v46, v142, v46
	v_min_f32_e32 v5, v37, v5
	v_min_f32_e32 v201, v9, v41
	;; [unrolled: 1-line block ×5, first 2 shown]
	v_dual_min_f32 v41, v37, v41 :: v_dual_add_f32 v78, v174, v78
	v_dual_min_f32 v209, v13, v45 :: v_dual_add_f32 v42, v42, v76
	;; [unrolled: 1-line block ×5, first 2 shown]
	v_min_f32_e32 v9, v9, v56
	v_dual_min_f32 v13, v13, v56 :: v_dual_add_f32 v38, v38, v93
	v_dual_min_f32 v17, v17, v56 :: v_dual_add_f32 v14, v14, v69
	;; [unrolled: 1-line block ×5, first 2 shown]
	v_min_f32_e32 v33, v33, v56
	v_min_f32_e32 v37, v37, v56
	v_dual_add_f32 v56, v57, v61 :: v_dual_add_f32 v43, v43, v59
	v_add_f32_e32 v57, v135, v65
	v_add_f32_e32 v59, v155, v63
	;; [unrolled: 1-line block ×4, first 2 shown]
	v_dual_add_f32 v65, v137, v77 :: v_dual_add_f32 v18, v18, v64
	v_dual_add_f32 v70, v157, v75 :: v_dual_add_f32 v73, v138, v82
	;; [unrolled: 1-line block ×4, first 2 shown]
	s_delay_alu instid0(VALU_DEP_3)
	v_dual_add_f32 v79, v159, v84 :: v_dual_add_f32 v116, v178, v73
	v_dual_add_f32 v84, v160, v88 :: v_dual_add_f32 v1, v1, v94
	v_add_f32_e32 v86, v141, v98
	v_add_f32_e32 v88, v161, v96
	;; [unrolled: 1-line block ×3, first 2 shown]
	v_dual_add_f32 v98, v145, v104 :: v_dual_add_f32 v35, v35, v107
	v_add_f32_e32 v139, v150, v110
	v_add_f32_e32 v27, v27, v130
	v_add_co_u32 v127, vcc_lo, v127, s8
	v_dual_add_f32 v82, v140, v90 :: v_dual_add_f32 v3, v3, v92
	v_add_f32_e32 v90, v162, v100
	v_add_f32_e32 v92, v143, v102
	v_dual_add_f32 v96, v164, v101 :: v_dual_add_f32 v99, v165, v99
	v_add_f32_e32 v135, v146, v105
	s_delay_alu instid0(VALU_DEP_3) | instskip(SKIP_4) | instid1(VALU_DEP_2)
	v_dual_add_f32 v97, v166, v97 :: v_dual_add_f32 v104, v183, v92
	v_add_f32_e32 v136, v147, v106
	v_dual_add_f32 v95, v167, v95 :: v_dual_add_f32 v106, v182, v46
	v_dual_add_f32 v137, v148, v108 :: v_dual_add_f32 v100, v185, v98
	;; [unrolled: 1-line block ×4, first 2 shown]
	v_add_f32_e32 v140, v151, v111
	v_add_f32_e32 v85, v171, v85
	;; [unrolled: 1-line block ×3, first 2 shown]
	v_dual_add_f32 v81, v173, v81 :: v_dual_add_f32 v78, v214, v78
	v_add_f32_e32 v39, v39, v115
	v_dual_add_f32 v7, v7, v117 :: v_dual_add_f32 v76, v45, v42
	v_dual_add_f32 v11, v11, v118 :: v_dual_add_f32 v58, v32, v27
	;; [unrolled: 1-line block ×3, first 2 shown]
	v_add_f32_e32 v19, v19, v122
	v_dual_add_f32 v23, v23, v129 :: v_dual_add_f32 v72, v13, v10
	v_dual_add_f32 v31, v31, v132 :: v_dual_add_f32 v64, v21, v18
	;; [unrolled: 1-line block ×4, first 2 shown]
	v_add_f32_e32 v108, v181, v86
	v_dual_add_f32 v89, v169, v89 :: v_dual_add_f32 v98, v186, v135
	v_add_f32_e32 v102, v184, v94
	v_add_f32_e32 v94, v40, v35
	v_dual_add_f32 v141, v152, v112 :: v_dual_add_f32 v88, v190, v139
	v_add_f32_e32 v143, v154, v114
	v_add_co_ci_u32_e32 v128, vcc_lo, s9, v128, vcc_lo
	v_add_co_u32 v52, vcc_lo, v52, 32
	v_add_co_ci_u32_e32 v53, vcc_lo, 0, v53, vcc_lo
	v_dual_add_f32 v131, v55, v43 :: v_dual_add_f32 v62, v25, v22
	v_dual_add_f32 v129, v195, v59 :: v_dual_add_f32 v60, v29, v26
	v_add_f32_e32 v130, v175, v57
	v_add_f32_e32 v122, v176, v61
	v_dual_add_f32 v119, v196, v63 :: v_dual_add_f32 v56, v37, v34
	v_add_f32_e32 v117, v197, v70
	v_dual_add_f32 v118, v177, v65 :: v_dual_add_f32 v115, v198, v75
	;; [unrolled: 2-line block ×3, first 2 shown]
	v_dual_add_f32 v112, v180, v82 :: v_dual_add_f32 v109, v5, v3
	v_add_f32_e32 v105, v202, v90
	v_add_f32_e32 v103, v203, v47
	;; [unrolled: 1-line block ×6, first 2 shown]
	v_dual_add_f32 v96, v187, v136 :: v_dual_add_f32 v93, v41, v38
	v_add_f32_e32 v91, v208, v91
	v_add_f32_e32 v89, v209, v89
	v_dual_add_f32 v90, v189, v138 :: v_dual_add_f32 v87, v210, v87
	v_add_f32_e32 v85, v211, v85
	v_dual_add_f32 v86, v191, v140 :: v_dual_add_f32 v83, v212, v83
	v_add_f32_e32 v84, v192, v141
	v_add_f32_e32 v81, v213, v81
	v_dual_add_f32 v82, v193, v142 :: v_dual_add_f32 v79, v194, v143
	v_add_f32_e32 v77, v44, v39
	v_add_f32_e32 v75, v8, v2
	;; [unrolled: 1-line block ×3, first 2 shown]
	v_dual_add_f32 v69, v17, v14 :: v_dual_add_f32 v70, v16, v11
	v_add_f32_e32 v65, v20, v15
	v_add_f32_e32 v63, v24, v19
	;; [unrolled: 1-line block ×5, first 2 shown]
	s_cmp_ge_i32 s11, s10
	s_waitcnt vmcnt(2)
	ds_store_b32 v123, v133
	s_waitcnt vmcnt(0)
	ds_store_2addr_stride64_b32 v124, v134, v0 offset1:4
	s_waitcnt lgkmcnt(0)
	s_barrier
	buffer_gl0_inv
	s_cbranch_scc0 .LBB97_11
.LBB97_12:
	s_load_b32 s8, s[0:1], 0x50
	v_add_nc_u32_e32 v48, s14, v68
	ds_load_b128 v[0:3], v71 offset:5120
	ds_load_b128 v[40:43], v67 offset:2048
	v_add_nc_u32_e32 v46, s3, v66
	v_cmp_neq_f32_e64 s9, s18, 0
	v_mov_b32_e32 v52, 0
	v_mov_b32_e32 v50, 0
	s_delay_alu instid0(VALU_DEP_4) | instskip(NEXT) | instid1(VALU_DEP_4)
	v_ashrrev_i32_e32 v47, 31, v46
	s_and_b32 vcc_lo, exec_lo, s9
	s_delay_alu instid0(VALU_DEP_1) | instskip(SKIP_2) | instid1(VALU_DEP_1)
	v_lshlrev_b64 v[44:45], 2, v[46:47]
	s_waitcnt lgkmcnt(0)
	v_mad_i64_i32 v[4:5], null, v48, s8, 0
	v_lshlrev_b64 v[4:5], 2, v[4:5]
	s_delay_alu instid0(VALU_DEP_1) | instskip(NEXT) | instid1(VALU_DEP_1)
	v_add_co_u32 v120, s3, s4, v4
	v_add_co_ci_u32_e64 v121, s3, s5, v5, s3
	s_cbranch_vccz .LBB97_14
; %bb.13:
	s_delay_alu instid0(VALU_DEP_2) | instskip(NEXT) | instid1(VALU_DEP_2)
	v_add_co_u32 v4, vcc_lo, v120, v44
	v_add_co_ci_u32_e32 v5, vcc_lo, v121, v45, vcc_lo
	flat_load_b32 v4, v[4:5]
	s_waitcnt vmcnt(0) lgkmcnt(0)
	v_mul_f32_e32 v50, s18, v4
.LBB97_14:
	s_clause 0x1
	s_load_b64 s[10:11], s[0:1], 0x70
	s_load_b32 s1, s[0:1], 0x68
	v_dual_max_f32 v123, v40, v40 :: v_dual_max_f32 v124, v41, v41
	v_dual_max_f32 v47, v0, v0 :: v_dual_max_f32 v126, v42, v42
	v_max_f32_e32 v49, v1, v1
	v_dual_max_f32 v125, v43, v43 :: v_dual_max_f32 v42, v2, v2
	s_delay_alu instid0(VALU_DEP_3)
	v_min_f32_e32 v0, v47, v123
	ds_load_b128 v[36:39], v71 offset:5248
	ds_load_b128 v[32:35], v71 offset:5376
	;; [unrolled: 1-line block ×7, first 2 shown]
	v_min_f32_e32 v1, v49, v124
	ds_load_b128 v[8:11], v67 offset:2560
	ds_load_b128 v[4:7], v67 offset:3072
	v_min_f32_e32 v55, v42, v126
	v_add_f32_e32 v51, v0, v132
	v_add_f32_e32 v53, v1, v131
	v_max_f32_e32 v43, v3, v3
	ds_load_b128 v[0:3], v67 offset:3584
	v_add_f32_e32 v51, v55, v51
	s_waitcnt lgkmcnt(0)
	s_mul_i32 s0, s15, s11
	v_mad_i64_i32 v[40:41], null, v48, s1, 0
	s_mul_hi_u32 s3, s15, s10
	v_min_f32_e32 v54, v43, v125
	s_mul_i32 s11, s19, s10
	s_add_i32 s0, s3, s0
	s_mul_i32 s10, s15, s10
	s_add_i32 s11, s0, s11
	v_add_f32_e32 v66, v54, v53
	v_lshlrev_b64 v[40:41], 2, v[40:41]
	s_lshl_b64 s[10:11], s[10:11], 2
	v_add_nc_u32_e32 v53, 8, v46
	s_add_u32 s3, s6, s10
	s_addc_u32 s6, s7, s11
	v_add_f32_e32 v51, v51, v66
	v_add_co_u32 v127, vcc_lo, s3, v40
	v_ashrrev_i32_e32 v54, 31, v53
	v_cndmask_b32_e64 v55, 0, 1, s9
	v_add_co_ci_u32_e32 v128, vcc_lo, s6, v41, vcc_lo
	v_add_f32_e32 v66, v51, v50
	v_add_co_u32 v50, vcc_lo, v127, v44
	v_lshlrev_b64 v[40:41], 2, v[53:54]
	v_cmp_ne_u32_e64 s0, 1, v55
	v_add_co_ci_u32_e32 v51, vcc_lo, v128, v45, vcc_lo
	s_and_not1_b32 vcc_lo, exec_lo, s9
	global_store_b32 v[50:51], v66, off
	s_cbranch_vccnz .LBB97_16
; %bb.15:
	v_add_co_u32 v50, vcc_lo, v120, v40
	v_add_co_ci_u32_e32 v51, vcc_lo, v121, v41, vcc_lo
	flat_load_b32 v50, v[50:51]
	s_waitcnt vmcnt(0) lgkmcnt(0)
	v_mul_f32_e32 v52, s18, v50
.LBB97_16:
	v_dual_max_f32 v51, v37, v37 :: v_dual_max_f32 v50, v36, v36
	v_dual_max_f32 v38, v38, v38 :: v_dual_max_f32 v39, v39, v39
	v_add_co_u32 v67, vcc_lo, v127, v40
	s_delay_alu instid0(VALU_DEP_3) | instskip(NEXT) | instid1(VALU_DEP_3)
	v_dual_min_f32 v36, v51, v124 :: v_dual_min_f32 v37, v50, v123
	v_dual_min_f32 v53, v38, v126 :: v_dual_min_f32 v54, v39, v125
	v_add_co_ci_u32_e32 v68, vcc_lo, v128, v41, vcc_lo
	s_delay_alu instid0(VALU_DEP_3) | instskip(NEXT) | instid1(VALU_DEP_4)
	v_dual_add_f32 v55, v36, v129 :: v_dual_add_nc_u32 v36, 16, v46
	v_dual_add_f32 v37, v37, v130 :: v_dual_mov_b32 v66, 0
	s_and_b32 vcc_lo, exec_lo, s0
	s_delay_alu instid0(VALU_DEP_1) | instskip(NEXT) | instid1(VALU_DEP_3)
	v_dual_add_f32 v54, v54, v55 :: v_dual_add_f32 v53, v53, v37
	v_ashrrev_i32_e32 v37, 31, v36
	s_delay_alu instid0(VALU_DEP_2) | instskip(NEXT) | instid1(VALU_DEP_2)
	v_dual_add_f32 v53, v53, v54 :: v_dual_mov_b32 v54, 0
	v_lshlrev_b64 v[36:37], 2, v[36:37]
	s_delay_alu instid0(VALU_DEP_2)
	v_add_f32_e32 v52, v53, v52
	global_store_b32 v[67:68], v52, off
	s_cbranch_vccnz .LBB97_18
; %bb.17:
	v_add_co_u32 v52, vcc_lo, v120, v36
	v_add_co_ci_u32_e32 v53, vcc_lo, v121, v37, vcc_lo
	flat_load_b32 v52, v[52:53]
	s_waitcnt vmcnt(0) lgkmcnt(0)
	v_mul_f32_e32 v54, s18, v52
.LBB97_18:
	v_dual_max_f32 v53, v33, v33 :: v_dual_max_f32 v52, v32, v32
	v_dual_max_f32 v34, v34, v34 :: v_dual_max_f32 v35, v35, v35
	s_delay_alu instid0(VALU_DEP_2) | instskip(NEXT) | instid1(VALU_DEP_2)
	v_dual_min_f32 v32, v53, v124 :: v_dual_min_f32 v33, v52, v123
	v_min_f32_e32 v55, v34, v126
	s_delay_alu instid0(VALU_DEP_2) | instskip(SKIP_1) | instid1(VALU_DEP_4)
	v_dual_min_f32 v67, v35, v125 :: v_dual_add_f32 v68, v32, v119
	v_add_nc_u32_e32 v32, 24, v46
	v_add_f32_e32 v33, v33, v122
	s_delay_alu instid0(VALU_DEP_3) | instskip(NEXT) | instid1(VALU_DEP_2)
	v_add_f32_e32 v67, v67, v68
	v_add_f32_e32 v55, v55, v33
	s_delay_alu instid0(VALU_DEP_4) | instskip(NEXT) | instid1(VALU_DEP_2)
	v_ashrrev_i32_e32 v33, 31, v32
	v_add_f32_e32 v55, v55, v67
	v_add_co_u32 v67, vcc_lo, v127, v36
	s_delay_alu instid0(VALU_DEP_3) | instskip(SKIP_1) | instid1(VALU_DEP_4)
	v_lshlrev_b64 v[32:33], 2, v[32:33]
	v_add_co_ci_u32_e32 v68, vcc_lo, v128, v37, vcc_lo
	v_add_f32_e32 v54, v55, v54
	s_and_b32 vcc_lo, exec_lo, s0
	global_store_b32 v[67:68], v54, off
	s_cbranch_vccnz .LBB97_20
; %bb.19:
	v_add_co_u32 v54, vcc_lo, v120, v32
	v_add_co_ci_u32_e32 v55, vcc_lo, v121, v33, vcc_lo
	flat_load_b32 v54, v[54:55]
	s_waitcnt vmcnt(0) lgkmcnt(0)
	v_mul_f32_e32 v66, s18, v54
.LBB97_20:
	v_dual_max_f32 v55, v29, v29 :: v_dual_max_f32 v54, v28, v28
	v_dual_max_f32 v30, v30, v30 :: v_dual_max_f32 v31, v31, v31
	v_mov_b32_e32 v80, 0
	s_delay_alu instid0(VALU_DEP_3) | instskip(NEXT) | instid1(VALU_DEP_3)
	v_dual_min_f32 v28, v55, v124 :: v_dual_min_f32 v29, v54, v123
	v_dual_min_f32 v67, v30, v126 :: v_dual_min_f32 v68, v31, v125
	s_delay_alu instid0(VALU_DEP_2) | instskip(NEXT) | instid1(VALU_DEP_3)
	v_dual_add_f32 v71, v28, v117 :: v_dual_add_nc_u32 v28, 32, v46
	v_add_f32_e32 v29, v29, v118
	v_add_co_u32 v117, vcc_lo, v127, v32
	s_delay_alu instid0(VALU_DEP_3) | instskip(SKIP_1) | instid1(VALU_DEP_4)
	v_add_f32_e32 v68, v68, v71
	v_add_co_ci_u32_e32 v118, vcc_lo, v128, v33, vcc_lo
	v_add_f32_e32 v67, v67, v29
	v_ashrrev_i32_e32 v29, 31, v28
	s_and_b32 vcc_lo, exec_lo, s0
	s_delay_alu instid0(VALU_DEP_2) | instskip(NEXT) | instid1(VALU_DEP_2)
	v_dual_add_f32 v67, v67, v68 :: v_dual_mov_b32 v68, 0
	v_lshlrev_b64 v[28:29], 2, v[28:29]
	s_delay_alu instid0(VALU_DEP_2)
	v_add_f32_e32 v66, v67, v66
	global_store_b32 v[117:118], v66, off
	s_cbranch_vccnz .LBB97_22
; %bb.21:
	v_add_co_u32 v66, vcc_lo, v120, v28
	v_add_co_ci_u32_e32 v67, vcc_lo, v121, v29, vcc_lo
	flat_load_b32 v66, v[66:67]
	s_waitcnt vmcnt(0) lgkmcnt(0)
	v_mul_f32_e32 v68, s18, v66
.LBB97_22:
	v_dual_max_f32 v67, v25, v25 :: v_dual_max_f32 v66, v24, v24
	v_dual_max_f32 v26, v26, v26 :: v_dual_max_f32 v27, v27, v27
	s_delay_alu instid0(VALU_DEP_2) | instskip(NEXT) | instid1(VALU_DEP_2)
	v_dual_min_f32 v24, v67, v124 :: v_dual_min_f32 v25, v66, v123
	v_min_f32_e32 v71, v26, v126
	s_delay_alu instid0(VALU_DEP_3) | instskip(NEXT) | instid1(VALU_DEP_3)
	v_min_f32_e32 v117, v27, v125
	v_add_f32_e32 v115, v24, v115
	s_delay_alu instid0(VALU_DEP_4) | instskip(NEXT) | instid1(VALU_DEP_2)
	v_dual_add_f32 v25, v25, v116 :: v_dual_add_nc_u32 v24, 40, v46
	v_add_f32_e32 v115, v117, v115
	s_delay_alu instid0(VALU_DEP_2) | instskip(NEXT) | instid1(VALU_DEP_3)
	v_add_f32_e32 v71, v71, v25
	v_ashrrev_i32_e32 v25, 31, v24
	s_delay_alu instid0(VALU_DEP_2) | instskip(SKIP_1) | instid1(VALU_DEP_3)
	v_add_f32_e32 v71, v71, v115
	v_add_co_u32 v115, vcc_lo, v127, v28
	v_lshlrev_b64 v[24:25], 2, v[24:25]
	v_add_co_ci_u32_e32 v116, vcc_lo, v128, v29, vcc_lo
	s_delay_alu instid0(VALU_DEP_4)
	v_add_f32_e32 v68, v71, v68
	s_and_b32 vcc_lo, exec_lo, s0
	global_store_b32 v[115:116], v68, off
	s_cbranch_vccnz .LBB97_24
; %bb.23:
	v_add_co_u32 v115, vcc_lo, v120, v24
	v_add_co_ci_u32_e32 v116, vcc_lo, v121, v25, vcc_lo
	flat_load_b32 v68, v[115:116]
	s_waitcnt vmcnt(0) lgkmcnt(0)
	v_mul_f32_e32 v80, s18, v68
.LBB97_24:
	v_dual_max_f32 v71, v21, v21 :: v_dual_max_f32 v68, v20, v20
	v_dual_max_f32 v22, v22, v22 :: v_dual_max_f32 v23, v23, v23
	s_delay_alu instid0(VALU_DEP_2) | instskip(NEXT) | instid1(VALU_DEP_2)
	v_dual_min_f32 v20, v71, v124 :: v_dual_min_f32 v21, v68, v123
	v_dual_min_f32 v115, v22, v126 :: v_dual_min_f32 v116, v23, v125
	s_delay_alu instid0(VALU_DEP_2) | instskip(NEXT) | instid1(VALU_DEP_3)
	v_dual_add_f32 v113, v20, v113 :: v_dual_add_nc_u32 v20, 48, v46
	v_add_f32_e32 v21, v21, v114
	s_delay_alu instid0(VALU_DEP_2) | instskip(SKIP_1) | instid1(VALU_DEP_3)
	v_add_f32_e32 v113, v116, v113
	v_add_co_u32 v116, vcc_lo, v127, v24
	v_dual_add_f32 v114, v115, v21 :: v_dual_mov_b32 v115, 0
	v_ashrrev_i32_e32 v21, 31, v20
	v_add_co_ci_u32_e32 v117, vcc_lo, v128, v25, vcc_lo
	s_delay_alu instid0(VALU_DEP_3) | instskip(NEXT) | instid1(VALU_DEP_3)
	v_dual_add_f32 v113, v114, v113 :: v_dual_mov_b32 v114, 0
	v_lshlrev_b64 v[20:21], 2, v[20:21]
	s_and_b32 vcc_lo, exec_lo, s0
	s_delay_alu instid0(VALU_DEP_2)
	v_add_f32_e32 v80, v113, v80
	global_store_b32 v[116:117], v80, off
	s_cbranch_vccnz .LBB97_26
; %bb.25:
	v_add_co_u32 v115, vcc_lo, v120, v20
	v_add_co_ci_u32_e32 v116, vcc_lo, v121, v21, vcc_lo
	flat_load_b32 v80, v[115:116]
	s_waitcnt vmcnt(0) lgkmcnt(0)
	v_mul_f32_e32 v115, s18, v80
.LBB97_26:
	v_dual_max_f32 v113, v17, v17 :: v_dual_max_f32 v80, v16, v16
	v_dual_max_f32 v18, v18, v18 :: v_dual_max_f32 v19, v19, v19
	s_delay_alu instid0(VALU_DEP_2) | instskip(NEXT) | instid1(VALU_DEP_2)
	v_dual_min_f32 v16, v113, v124 :: v_dual_min_f32 v17, v80, v123
	v_dual_min_f32 v116, v18, v126 :: v_dual_min_f32 v117, v19, v125
	s_delay_alu instid0(VALU_DEP_2) | instskip(NEXT) | instid1(VALU_DEP_1)
	v_dual_add_f32 v111, v16, v111 :: v_dual_add_nc_u32 v16, 56, v46
	v_add_f32_e32 v46, v117, v111
	s_delay_alu instid0(VALU_DEP_4) | instskip(NEXT) | instid1(VALU_DEP_1)
	v_add_f32_e32 v17, v17, v112
	v_add_f32_e32 v111, v116, v17
	s_delay_alu instid0(VALU_DEP_4) | instskip(NEXT) | instid1(VALU_DEP_2)
	v_ashrrev_i32_e32 v17, 31, v16
	v_add_f32_e32 v46, v111, v46
	v_add_co_u32 v111, vcc_lo, v127, v20
	s_delay_alu instid0(VALU_DEP_3) | instskip(SKIP_1) | instid1(VALU_DEP_4)
	v_lshlrev_b64 v[16:17], 2, v[16:17]
	v_add_co_ci_u32_e32 v112, vcc_lo, v128, v21, vcc_lo
	v_add_f32_e32 v46, v46, v115
	s_and_b32 vcc_lo, exec_lo, s0
	global_store_b32 v[111:112], v46, off
	s_cbranch_vccnz .LBB97_28
; %bb.27:
	v_add_co_u32 v111, vcc_lo, v120, v16
	v_add_co_ci_u32_e32 v112, vcc_lo, v121, v17, vcc_lo
	flat_load_b32 v46, v[111:112]
	s_waitcnt vmcnt(0) lgkmcnt(0)
	v_mul_f32_e32 v114, s18, v46
.LBB97_28:
	v_dual_max_f32 v12, v12, v12 :: v_dual_max_f32 v13, v13, v13
	v_dual_max_f32 v14, v14, v14 :: v_dual_add_nc_u32 v115, 32, v48
	v_max_f32_e32 v15, v15, v15
	s_delay_alu instid0(VALU_DEP_3) | instskip(NEXT) | instid1(VALU_DEP_3)
	v_min_f32_e32 v46, v12, v123
	v_dual_min_f32 v116, v13, v124 :: v_dual_min_f32 v117, v14, v126
	s_delay_alu instid0(VALU_DEP_4) | instskip(NEXT) | instid1(VALU_DEP_4)
	v_mad_i64_i32 v[111:112], null, v115, s8, 0
	v_min_f32_e32 v118, v15, v125
	s_delay_alu instid0(VALU_DEP_3) | instskip(SKIP_1) | instid1(VALU_DEP_4)
	v_add_f32_e32 v116, v116, v109
	v_add_f32_e32 v46, v46, v110
	v_lshlrev_b64 v[109:110], 2, v[111:112]
	s_delay_alu instid0(VALU_DEP_3) | instskip(NEXT) | instid1(VALU_DEP_3)
	v_add_f32_e32 v116, v118, v116
	v_add_f32_e32 v46, v117, v46
	v_add_co_u32 v111, vcc_lo, v127, v16
	v_add_co_ci_u32_e32 v112, vcc_lo, v128, v17, vcc_lo
	s_delay_alu instid0(VALU_DEP_3) | instskip(SKIP_2) | instid1(VALU_DEP_3)
	v_add_f32_e32 v116, v46, v116
	v_add_co_u32 v46, vcc_lo, s4, v109
	v_add_co_ci_u32_e32 v109, vcc_lo, s5, v110, vcc_lo
	v_add_f32_e32 v110, v116, v114
	v_mov_b32_e32 v114, 0
	v_mov_b32_e32 v116, 0
	s_and_b32 vcc_lo, exec_lo, s0
	global_store_b32 v[111:112], v110, off
	s_cbranch_vccnz .LBB97_30
; %bb.29:
	v_add_co_u32 v110, vcc_lo, v46, v44
	v_add_co_ci_u32_e32 v111, vcc_lo, v109, v45, vcc_lo
	flat_load_b32 v110, v[110:111]
	s_waitcnt vmcnt(0) lgkmcnt(0)
	v_mul_f32_e32 v116, s18, v110
.LBB97_30:
	v_dual_max_f32 v110, v8, v8 :: v_dual_max_f32 v111, v9, v9
	v_max_f32_e32 v112, v10, v10
	v_mad_i64_i32 v[9:10], null, v115, s1, 0
	s_delay_alu instid0(VALU_DEP_3) | instskip(NEXT) | instid1(VALU_DEP_3)
	v_min_f32_e32 v117, v49, v111
	v_dual_max_f32 v8, v11, v11 :: v_dual_min_f32 v115, v42, v112
	v_min_f32_e32 v11, v47, v110
	s_delay_alu instid0(VALU_DEP_2) | instskip(SKIP_1) | instid1(VALU_DEP_3)
	v_dual_add_f32 v107, v117, v107 :: v_dual_min_f32 v118, v43, v8
	v_lshlrev_b64 v[9:10], 2, v[9:10]
	v_add_f32_e32 v11, v11, v108
	s_delay_alu instid0(VALU_DEP_3) | instskip(NEXT) | instid1(VALU_DEP_2)
	v_add_f32_e32 v107, v118, v107
	v_add_f32_e32 v11, v115, v11
	s_delay_alu instid0(VALU_DEP_4) | instskip(SKIP_1) | instid1(VALU_DEP_3)
	v_add_co_u32 v9, vcc_lo, s3, v9
	v_add_co_ci_u32_e32 v10, vcc_lo, s6, v10, vcc_lo
	v_add_f32_e32 v11, v11, v107
	s_delay_alu instid0(VALU_DEP_3) | instskip(NEXT) | instid1(VALU_DEP_3)
	v_add_co_u32 v107, vcc_lo, v9, v44
	v_add_co_ci_u32_e32 v108, vcc_lo, v10, v45, vcc_lo
	s_delay_alu instid0(VALU_DEP_3)
	v_add_f32_e32 v11, v11, v116
	s_and_b32 vcc_lo, exec_lo, s0
	global_store_b32 v[107:108], v11, off
	s_cbranch_vccnz .LBB97_32
; %bb.31:
	v_add_co_u32 v107, vcc_lo, v46, v40
	v_add_co_ci_u32_e32 v108, vcc_lo, v109, v41, vcc_lo
	flat_load_b32 v11, v[107:108]
	s_waitcnt vmcnt(0) lgkmcnt(0)
	v_mul_f32_e32 v114, s18, v11
.LBB97_32:
	v_dual_min_f32 v11, v51, v111 :: v_dual_min_f32 v108, v38, v112
	v_min_f32_e32 v107, v50, v110
	v_min_f32_e32 v115, v39, v8
	s_delay_alu instid0(VALU_DEP_3) | instskip(NEXT) | instid1(VALU_DEP_3)
	v_add_f32_e32 v11, v11, v105
	v_add_f32_e32 v105, v107, v106
	v_add_co_u32 v106, vcc_lo, v9, v40
	s_delay_alu instid0(VALU_DEP_3) | instskip(SKIP_1) | instid1(VALU_DEP_4)
	v_add_f32_e32 v11, v115, v11
	v_add_co_ci_u32_e32 v107, vcc_lo, v10, v41, vcc_lo
	v_add_f32_e32 v105, v108, v105
	s_and_b32 vcc_lo, exec_lo, s0
	s_delay_alu instid0(VALU_DEP_1) | instskip(NEXT) | instid1(VALU_DEP_1)
	v_add_f32_e32 v11, v105, v11
	v_dual_mov_b32 v105, 0 :: v_dual_add_f32 v108, v11, v114
	v_mov_b32_e32 v11, 0
	global_store_b32 v[106:107], v108, off
	s_cbranch_vccnz .LBB97_34
; %bb.33:
	v_add_co_u32 v105, vcc_lo, v46, v36
	v_add_co_ci_u32_e32 v106, vcc_lo, v109, v37, vcc_lo
	flat_load_b32 v105, v[105:106]
	s_waitcnt vmcnt(0) lgkmcnt(0)
	v_mul_f32_e32 v105, s18, v105
.LBB97_34:
	v_dual_min_f32 v106, v53, v111 :: v_dual_min_f32 v107, v52, v110
	s_delay_alu instid0(VALU_DEP_1) | instskip(NEXT) | instid1(VALU_DEP_1)
	v_dual_min_f32 v114, v35, v8 :: v_dual_add_f32 v103, v106, v103
	v_dual_add_f32 v104, v107, v104 :: v_dual_add_f32 v103, v114, v103
	v_min_f32_e32 v108, v34, v112
	s_delay_alu instid0(VALU_DEP_1) | instskip(NEXT) | instid1(VALU_DEP_1)
	v_add_f32_e32 v104, v108, v104
	v_add_f32_e32 v103, v104, v103
	s_delay_alu instid0(VALU_DEP_1)
	v_add_f32_e32 v105, v103, v105
	v_add_co_u32 v103, vcc_lo, v9, v36
	v_add_co_ci_u32_e32 v104, vcc_lo, v10, v37, vcc_lo
	s_and_b32 vcc_lo, exec_lo, s0
	global_store_b32 v[103:104], v105, off
	s_cbranch_vccnz .LBB97_36
; %bb.35:
	v_add_co_u32 v103, vcc_lo, v46, v32
	v_add_co_ci_u32_e32 v104, vcc_lo, v109, v33, vcc_lo
	flat_load_b32 v11, v[103:104]
	s_waitcnt vmcnt(0) lgkmcnt(0)
	v_mul_f32_e32 v11, s18, v11
.LBB97_36:
	v_dual_min_f32 v103, v55, v111 :: v_dual_min_f32 v104, v54, v110
	s_delay_alu instid0(VALU_DEP_1) | instskip(NEXT) | instid1(VALU_DEP_1)
	v_dual_min_f32 v105, v30, v112 :: v_dual_add_f32 v102, v104, v102
	v_dual_add_f32 v101, v103, v101 :: v_dual_add_f32 v102, v105, v102
	v_min_f32_e32 v106, v31, v8
	s_delay_alu instid0(VALU_DEP_1) | instskip(NEXT) | instid1(VALU_DEP_1)
	v_add_f32_e32 v101, v106, v101
	v_add_f32_e32 v101, v102, v101
	v_add_co_u32 v102, vcc_lo, v9, v32
	v_add_co_ci_u32_e32 v103, vcc_lo, v10, v33, vcc_lo
	s_delay_alu instid0(VALU_DEP_3)
	v_dual_add_f32 v104, v101, v11 :: v_dual_mov_b32 v11, 0
	v_mov_b32_e32 v101, 0
	s_and_b32 vcc_lo, exec_lo, s0
	global_store_b32 v[102:103], v104, off
	s_cbranch_vccnz .LBB97_38
; %bb.37:
	v_add_co_u32 v101, vcc_lo, v46, v28
	v_add_co_ci_u32_e32 v102, vcc_lo, v109, v29, vcc_lo
	flat_load_b32 v101, v[101:102]
	s_waitcnt vmcnt(0) lgkmcnt(0)
	v_mul_f32_e32 v101, s18, v101
.LBB97_38:
	v_dual_min_f32 v102, v67, v111 :: v_dual_min_f32 v103, v66, v110
	v_min_f32_e32 v105, v27, v8
	s_delay_alu instid0(VALU_DEP_2) | instskip(NEXT) | instid1(VALU_DEP_1)
	v_dual_add_f32 v99, v102, v99 :: v_dual_add_f32 v100, v103, v100
	v_dual_min_f32 v104, v26, v112 :: v_dual_add_f32 v99, v105, v99
	s_delay_alu instid0(VALU_DEP_1) | instskip(NEXT) | instid1(VALU_DEP_1)
	v_add_f32_e32 v100, v104, v100
	v_add_f32_e32 v99, v100, v99
	s_delay_alu instid0(VALU_DEP_1)
	v_add_f32_e32 v101, v99, v101
	v_add_co_u32 v99, vcc_lo, v9, v28
	v_add_co_ci_u32_e32 v100, vcc_lo, v10, v29, vcc_lo
	s_and_b32 vcc_lo, exec_lo, s0
	global_store_b32 v[99:100], v101, off
	s_cbranch_vccnz .LBB97_40
; %bb.39:
	v_add_co_u32 v99, vcc_lo, v46, v24
	v_add_co_ci_u32_e32 v100, vcc_lo, v109, v25, vcc_lo
	flat_load_b32 v11, v[99:100]
	s_waitcnt vmcnt(0) lgkmcnt(0)
	v_mul_f32_e32 v11, s18, v11
.LBB97_40:
	v_dual_min_f32 v99, v71, v111 :: v_dual_min_f32 v100, v68, v110
	s_delay_alu instid0(VALU_DEP_1) | instskip(NEXT) | instid1(VALU_DEP_1)
	v_dual_min_f32 v101, v22, v112 :: v_dual_add_f32 v98, v100, v98
	v_dual_add_f32 v97, v99, v97 :: v_dual_add_f32 v98, v101, v98
	v_min_f32_e32 v102, v23, v8
	s_delay_alu instid0(VALU_DEP_1) | instskip(NEXT) | instid1(VALU_DEP_1)
	v_add_f32_e32 v97, v102, v97
	v_add_f32_e32 v97, v98, v97
	v_add_co_u32 v98, vcc_lo, v9, v24
	v_add_co_ci_u32_e32 v99, vcc_lo, v10, v25, vcc_lo
	s_delay_alu instid0(VALU_DEP_3)
	v_dual_add_f32 v100, v97, v11 :: v_dual_mov_b32 v11, 0
	v_mov_b32_e32 v97, 0
	s_and_b32 vcc_lo, exec_lo, s0
	global_store_b32 v[98:99], v100, off
	s_cbranch_vccnz .LBB97_42
; %bb.41:
	v_add_co_u32 v97, vcc_lo, v46, v20
	v_add_co_ci_u32_e32 v98, vcc_lo, v109, v21, vcc_lo
	flat_load_b32 v97, v[97:98]
	s_waitcnt vmcnt(0) lgkmcnt(0)
	v_mul_f32_e32 v97, s18, v97
.LBB97_42:
	v_dual_min_f32 v98, v113, v111 :: v_dual_min_f32 v99, v80, v110
	v_min_f32_e32 v101, v19, v8
	s_delay_alu instid0(VALU_DEP_2) | instskip(NEXT) | instid1(VALU_DEP_1)
	v_dual_add_f32 v95, v98, v95 :: v_dual_add_f32 v96, v99, v96
	v_dual_min_f32 v100, v18, v112 :: v_dual_add_f32 v95, v101, v95
	s_delay_alu instid0(VALU_DEP_1) | instskip(NEXT) | instid1(VALU_DEP_1)
	v_add_f32_e32 v96, v100, v96
	v_add_f32_e32 v95, v96, v95
	s_delay_alu instid0(VALU_DEP_1)
	v_add_f32_e32 v97, v95, v97
	v_add_co_u32 v95, vcc_lo, v9, v20
	v_add_co_ci_u32_e32 v96, vcc_lo, v10, v21, vcc_lo
	s_and_b32 vcc_lo, exec_lo, s0
	global_store_b32 v[95:96], v97, off
	s_cbranch_vccnz .LBB97_44
; %bb.43:
	v_add_co_u32 v95, vcc_lo, v46, v16
	v_add_co_ci_u32_e32 v96, vcc_lo, v109, v17, vcc_lo
	flat_load_b32 v11, v[95:96]
	s_waitcnt vmcnt(0) lgkmcnt(0)
	v_mul_f32_e32 v11, s18, v11
.LBB97_44:
	v_dual_min_f32 v46, v12, v110 :: v_dual_min_f32 v97, v14, v112
	v_dual_min_f32 v96, v13, v111 :: v_dual_add_nc_u32 v95, 64, v48
	v_min_f32_e32 v8, v15, v8
	s_delay_alu instid0(VALU_DEP_3) | instskip(NEXT) | instid1(VALU_DEP_3)
	v_add_f32_e32 v46, v46, v94
	v_add_f32_e32 v96, v96, v93
	s_delay_alu instid0(VALU_DEP_4) | instskip(NEXT) | instid1(VALU_DEP_3)
	v_mad_i64_i32 v[93:94], null, v95, s8, 0
	v_add_f32_e32 v46, v97, v46
	s_delay_alu instid0(VALU_DEP_3) | instskip(SKIP_3) | instid1(VALU_DEP_4)
	v_add_f32_e32 v8, v8, v96
	v_add_co_u32 v96, vcc_lo, v9, v16
	v_add_co_ci_u32_e32 v97, vcc_lo, v10, v17, vcc_lo
	v_lshlrev_b64 v[93:94], 2, v[93:94]
	v_add_f32_e32 v8, v46, v8
	s_delay_alu instid0(VALU_DEP_1) | instskip(NEXT) | instid1(VALU_DEP_3)
	v_add_f32_e32 v10, v8, v11
	v_add_co_u32 v8, vcc_lo, s4, v93
	v_mov_b32_e32 v93, 0
	v_add_co_ci_u32_e32 v9, vcc_lo, s5, v94, vcc_lo
	v_mov_b32_e32 v94, 0
	s_and_b32 vcc_lo, exec_lo, s0
	global_store_b32 v[96:97], v10, off
	s_cbranch_vccnz .LBB97_46
; %bb.45:
	v_add_co_u32 v10, vcc_lo, v8, v44
	v_add_co_ci_u32_e32 v11, vcc_lo, v9, v45, vcc_lo
	flat_load_b32 v10, v[10:11]
	s_waitcnt vmcnt(0) lgkmcnt(0)
	v_mul_f32_e32 v94, s18, v10
.LBB97_46:
	v_dual_max_f32 v10, v4, v4 :: v_dual_max_f32 v11, v5, v5
	v_max_f32_e32 v4, v7, v7
	v_max_f32_e32 v46, v6, v6
	v_mad_i64_i32 v[5:6], null, v95, s1, 0
	s_delay_alu instid0(VALU_DEP_4) | instskip(NEXT) | instid1(VALU_DEP_4)
	v_dual_min_f32 v7, v47, v10 :: v_dual_min_f32 v96, v49, v11
	v_min_f32_e32 v97, v43, v4
	s_delay_alu instid0(VALU_DEP_4) | instskip(NEXT) | instid1(VALU_DEP_3)
	v_min_f32_e32 v95, v42, v46
	v_add_f32_e32 v7, v7, v92
	s_delay_alu instid0(VALU_DEP_4) | instskip(SKIP_1) | instid1(VALU_DEP_3)
	v_add_f32_e32 v91, v96, v91
	v_lshlrev_b64 v[5:6], 2, v[5:6]
	v_add_f32_e32 v7, v95, v7
	s_delay_alu instid0(VALU_DEP_3) | instskip(NEXT) | instid1(VALU_DEP_3)
	v_add_f32_e32 v91, v97, v91
	v_add_co_u32 v5, vcc_lo, s3, v5
	s_delay_alu instid0(VALU_DEP_4) | instskip(NEXT) | instid1(VALU_DEP_3)
	v_add_co_ci_u32_e32 v6, vcc_lo, s6, v6, vcc_lo
	v_add_f32_e32 v7, v7, v91
	s_delay_alu instid0(VALU_DEP_3) | instskip(NEXT) | instid1(VALU_DEP_3)
	v_add_co_u32 v91, vcc_lo, v5, v44
	v_add_co_ci_u32_e32 v92, vcc_lo, v6, v45, vcc_lo
	s_delay_alu instid0(VALU_DEP_3)
	v_add_f32_e32 v7, v7, v94
	s_and_b32 vcc_lo, exec_lo, s0
	global_store_b32 v[91:92], v7, off
	s_cbranch_vccnz .LBB97_48
; %bb.47:
	v_add_co_u32 v91, vcc_lo, v8, v40
	v_add_co_ci_u32_e32 v92, vcc_lo, v9, v41, vcc_lo
	flat_load_b32 v7, v[91:92]
	s_waitcnt vmcnt(0) lgkmcnt(0)
	v_mul_f32_e32 v93, s18, v7
.LBB97_48:
	v_dual_min_f32 v7, v51, v11 :: v_dual_min_f32 v92, v38, v46
	v_dual_min_f32 v91, v50, v10 :: v_dual_min_f32 v94, v39, v4
	s_delay_alu instid0(VALU_DEP_2) | instskip(NEXT) | instid1(VALU_DEP_2)
	v_add_f32_e32 v7, v7, v89
	v_add_f32_e32 v89, v91, v90
	v_add_co_u32 v90, vcc_lo, v5, v40
	s_delay_alu instid0(VALU_DEP_3) | instskip(SKIP_1) | instid1(VALU_DEP_4)
	v_add_f32_e32 v7, v94, v7
	v_add_co_ci_u32_e32 v91, vcc_lo, v6, v41, vcc_lo
	v_add_f32_e32 v89, v92, v89
	s_and_b32 vcc_lo, exec_lo, s0
	s_delay_alu instid0(VALU_DEP_1) | instskip(NEXT) | instid1(VALU_DEP_1)
	v_add_f32_e32 v7, v89, v7
	v_dual_mov_b32 v89, 0 :: v_dual_add_f32 v92, v7, v93
	v_mov_b32_e32 v7, 0
	global_store_b32 v[90:91], v92, off
	s_cbranch_vccnz .LBB97_50
; %bb.49:
	v_add_co_u32 v89, vcc_lo, v8, v36
	v_add_co_ci_u32_e32 v90, vcc_lo, v9, v37, vcc_lo
	flat_load_b32 v89, v[89:90]
	s_waitcnt vmcnt(0) lgkmcnt(0)
	v_mul_f32_e32 v89, s18, v89
.LBB97_50:
	v_dual_min_f32 v90, v53, v11 :: v_dual_min_f32 v91, v52, v10
	v_dual_min_f32 v92, v34, v46 :: v_dual_min_f32 v93, v35, v4
	s_delay_alu instid0(VALU_DEP_2) | instskip(NEXT) | instid1(VALU_DEP_1)
	v_dual_add_f32 v87, v90, v87 :: v_dual_add_f32 v88, v91, v88
	v_dual_add_f32 v87, v93, v87 :: v_dual_add_f32 v88, v92, v88
	s_delay_alu instid0(VALU_DEP_1) | instskip(NEXT) | instid1(VALU_DEP_1)
	v_add_f32_e32 v87, v88, v87
	v_add_f32_e32 v89, v87, v89
	v_add_co_u32 v87, vcc_lo, v5, v36
	v_add_co_ci_u32_e32 v88, vcc_lo, v6, v37, vcc_lo
	s_and_b32 vcc_lo, exec_lo, s0
	global_store_b32 v[87:88], v89, off
	s_cbranch_vccnz .LBB97_52
; %bb.51:
	v_add_co_u32 v87, vcc_lo, v8, v32
	v_add_co_ci_u32_e32 v88, vcc_lo, v9, v33, vcc_lo
	flat_load_b32 v7, v[87:88]
	s_waitcnt vmcnt(0) lgkmcnt(0)
	v_mul_f32_e32 v7, s18, v7
.LBB97_52:
	v_dual_min_f32 v87, v55, v11 :: v_dual_min_f32 v88, v54, v10
	v_dual_min_f32 v89, v30, v46 :: v_dual_min_f32 v90, v31, v4
	s_delay_alu instid0(VALU_DEP_2) | instskip(NEXT) | instid1(VALU_DEP_1)
	v_dual_add_f32 v85, v87, v85 :: v_dual_add_f32 v86, v88, v86
	v_dual_add_f32 v85, v90, v85 :: v_dual_add_f32 v86, v89, v86
	s_delay_alu instid0(VALU_DEP_1) | instskip(SKIP_2) | instid1(VALU_DEP_3)
	v_add_f32_e32 v85, v86, v85
	v_add_co_u32 v86, vcc_lo, v5, v32
	v_add_co_ci_u32_e32 v87, vcc_lo, v6, v33, vcc_lo
	v_dual_add_f32 v88, v85, v7 :: v_dual_mov_b32 v7, 0
	v_mov_b32_e32 v85, 0
	s_and_b32 vcc_lo, exec_lo, s0
	global_store_b32 v[86:87], v88, off
	s_cbranch_vccnz .LBB97_54
; %bb.53:
	v_add_co_u32 v85, vcc_lo, v8, v28
	v_add_co_ci_u32_e32 v86, vcc_lo, v9, v29, vcc_lo
	flat_load_b32 v85, v[85:86]
	s_waitcnt vmcnt(0) lgkmcnt(0)
	v_mul_f32_e32 v85, s18, v85
.LBB97_54:
	v_dual_min_f32 v86, v67, v11 :: v_dual_min_f32 v87, v66, v10
	v_dual_min_f32 v88, v26, v46 :: v_dual_min_f32 v89, v27, v4
	s_delay_alu instid0(VALU_DEP_2) | instskip(NEXT) | instid1(VALU_DEP_1)
	v_dual_add_f32 v83, v86, v83 :: v_dual_add_f32 v84, v87, v84
	v_dual_add_f32 v83, v89, v83 :: v_dual_add_f32 v84, v88, v84
	s_delay_alu instid0(VALU_DEP_1) | instskip(NEXT) | instid1(VALU_DEP_1)
	v_add_f32_e32 v83, v84, v83
	v_add_f32_e32 v85, v83, v85
	v_add_co_u32 v83, vcc_lo, v5, v28
	v_add_co_ci_u32_e32 v84, vcc_lo, v6, v29, vcc_lo
	s_and_b32 vcc_lo, exec_lo, s0
	global_store_b32 v[83:84], v85, off
	s_cbranch_vccnz .LBB97_56
; %bb.55:
	v_add_co_u32 v83, vcc_lo, v8, v24
	v_add_co_ci_u32_e32 v84, vcc_lo, v9, v25, vcc_lo
	flat_load_b32 v7, v[83:84]
	s_waitcnt vmcnt(0) lgkmcnt(0)
	v_mul_f32_e32 v7, s18, v7
.LBB97_56:
	v_dual_min_f32 v83, v71, v11 :: v_dual_min_f32 v84, v68, v10
	v_dual_min_f32 v85, v22, v46 :: v_dual_min_f32 v86, v23, v4
	s_delay_alu instid0(VALU_DEP_2) | instskip(NEXT) | instid1(VALU_DEP_1)
	v_dual_add_f32 v81, v83, v81 :: v_dual_add_f32 v82, v84, v82
	v_dual_add_f32 v81, v86, v81 :: v_dual_add_f32 v82, v85, v82
	s_delay_alu instid0(VALU_DEP_1) | instskip(SKIP_2) | instid1(VALU_DEP_3)
	v_add_f32_e32 v81, v82, v81
	v_add_co_u32 v82, vcc_lo, v5, v24
	v_add_co_ci_u32_e32 v83, vcc_lo, v6, v25, vcc_lo
	v_dual_add_f32 v84, v81, v7 :: v_dual_mov_b32 v7, 0
	v_mov_b32_e32 v81, 0
	s_and_b32 vcc_lo, exec_lo, s0
	global_store_b32 v[82:83], v84, off
	s_cbranch_vccnz .LBB97_58
; %bb.57:
	v_add_co_u32 v81, vcc_lo, v8, v20
	v_add_co_ci_u32_e32 v82, vcc_lo, v9, v21, vcc_lo
	flat_load_b32 v81, v[81:82]
	s_waitcnt vmcnt(0) lgkmcnt(0)
	v_mul_f32_e32 v81, s18, v81
.LBB97_58:
	v_dual_min_f32 v82, v113, v11 :: v_dual_min_f32 v83, v80, v10
	v_dual_min_f32 v84, v18, v46 :: v_dual_min_f32 v85, v19, v4
	s_delay_alu instid0(VALU_DEP_2) | instskip(NEXT) | instid1(VALU_DEP_1)
	v_dual_add_f32 v78, v82, v78 :: v_dual_add_f32 v79, v83, v79
	v_dual_add_f32 v78, v85, v78 :: v_dual_add_f32 v79, v84, v79
	s_delay_alu instid0(VALU_DEP_1) | instskip(NEXT) | instid1(VALU_DEP_1)
	v_add_f32_e32 v78, v79, v78
	v_add_f32_e32 v81, v78, v81
	v_add_co_u32 v78, vcc_lo, v5, v20
	v_add_co_ci_u32_e32 v79, vcc_lo, v6, v21, vcc_lo
	s_and_b32 vcc_lo, exec_lo, s0
	global_store_b32 v[78:79], v81, off
	s_cbranch_vccnz .LBB97_60
; %bb.59:
	v_add_co_u32 v7, vcc_lo, v8, v16
	v_add_co_ci_u32_e32 v8, vcc_lo, v9, v17, vcc_lo
	flat_load_b32 v7, v[7:8]
	s_waitcnt vmcnt(0) lgkmcnt(0)
	v_mul_f32_e32 v7, s18, v7
.LBB97_60:
	v_dual_min_f32 v8, v12, v10 :: v_dual_add_nc_u32 v9, 0x60, v48
	v_min_f32_e32 v10, v13, v11
	v_min_f32_e32 v46, v14, v46
	;; [unrolled: 1-line block ×3, first 2 shown]
	s_delay_alu instid0(VALU_DEP_4) | instskip(NEXT) | instid1(VALU_DEP_4)
	v_add_f32_e32 v8, v8, v77
	v_add_f32_e32 v48, v10, v76
	v_mad_i64_i32 v[10:11], null, v9, s8, 0
	s_delay_alu instid0(VALU_DEP_3) | instskip(SKIP_1) | instid1(VALU_DEP_4)
	v_add_f32_e32 v8, v46, v8
	v_add_co_u32 v76, vcc_lo, v5, v16
	v_add_f32_e32 v4, v4, v48
	v_add_co_ci_u32_e32 v77, vcc_lo, v6, v17, vcc_lo
	v_lshlrev_b64 v[10:11], 2, v[10:11]
	s_delay_alu instid0(VALU_DEP_3) | instskip(SKIP_1) | instid1(VALU_DEP_2)
	v_add_f32_e32 v4, v8, v4
	v_mov_b32_e32 v8, 0
	v_add_f32_e32 v6, v4, v7
	s_delay_alu instid0(VALU_DEP_4)
	v_add_co_u32 v4, vcc_lo, s4, v10
	v_add_co_ci_u32_e32 v5, vcc_lo, s5, v11, vcc_lo
	v_mov_b32_e32 v10, 0
	s_and_b32 vcc_lo, exec_lo, s0
	global_store_b32 v[76:77], v6, off
	s_cbranch_vccnz .LBB97_62
; %bb.61:
	v_add_co_u32 v6, vcc_lo, v4, v44
	v_add_co_ci_u32_e32 v7, vcc_lo, v5, v45, vcc_lo
	flat_load_b32 v6, v[6:7]
	s_waitcnt vmcnt(0) lgkmcnt(0)
	v_mul_f32_e32 v10, s18, v6
.LBB97_62:
	v_dual_max_f32 v0, v0, v0 :: v_dual_max_f32 v1, v1, v1
	v_dual_max_f32 v2, v2, v2 :: v_dual_max_f32 v3, v3, v3
	v_mad_i64_i32 v[6:7], null, v9, s1, 0
	s_delay_alu instid0(VALU_DEP_3) | instskip(NEXT) | instid1(VALU_DEP_3)
	v_dual_min_f32 v11, v47, v0 :: v_dual_min_f32 v46, v49, v1
	v_dual_min_f32 v9, v42, v2 :: v_dual_min_f32 v42, v43, v3
	s_delay_alu instid0(VALU_DEP_2) | instskip(NEXT) | instid1(VALU_DEP_3)
	v_add_f32_e32 v11, v11, v75
	v_add_f32_e32 v43, v46, v74
	v_lshlrev_b64 v[6:7], 2, v[6:7]
	s_delay_alu instid0(VALU_DEP_3) | instskip(NEXT) | instid1(VALU_DEP_3)
	v_add_f32_e32 v9, v9, v11
	v_add_f32_e32 v42, v42, v43
	s_delay_alu instid0(VALU_DEP_3) | instskip(NEXT) | instid1(VALU_DEP_4)
	v_add_co_u32 v6, vcc_lo, s3, v6
	v_add_co_ci_u32_e32 v7, vcc_lo, s6, v7, vcc_lo
	s_delay_alu instid0(VALU_DEP_3) | instskip(NEXT) | instid1(VALU_DEP_1)
	v_add_f32_e32 v9, v9, v42
	v_add_f32_e32 v11, v9, v10
	s_delay_alu instid0(VALU_DEP_4) | instskip(NEXT) | instid1(VALU_DEP_4)
	v_add_co_u32 v9, vcc_lo, v6, v44
	v_add_co_ci_u32_e32 v10, vcc_lo, v7, v45, vcc_lo
	s_and_b32 vcc_lo, exec_lo, s0
	global_store_b32 v[9:10], v11, off
	s_cbranch_vccnz .LBB97_64
; %bb.63:
	v_add_co_u32 v8, vcc_lo, v4, v40
	v_add_co_ci_u32_e32 v9, vcc_lo, v5, v41, vcc_lo
	flat_load_b32 v8, v[8:9]
	s_waitcnt vmcnt(0) lgkmcnt(0)
	v_mul_f32_e32 v8, s18, v8
.LBB97_64:
	v_dual_min_f32 v9, v51, v1 :: v_dual_min_f32 v10, v50, v0
	v_dual_min_f32 v11, v38, v2 :: v_dual_min_f32 v38, v39, v3
	s_delay_alu instid0(VALU_DEP_2) | instskip(NEXT) | instid1(VALU_DEP_1)
	v_dual_add_f32 v9, v9, v72 :: v_dual_add_f32 v10, v10, v73
	v_dual_add_f32 v9, v38, v9 :: v_dual_add_f32 v10, v11, v10
	s_delay_alu instid0(VALU_DEP_1) | instskip(SKIP_2) | instid1(VALU_DEP_3)
	v_add_f32_e32 v9, v10, v9
	v_add_co_u32 v10, vcc_lo, v6, v40
	v_add_co_ci_u32_e32 v11, vcc_lo, v7, v41, vcc_lo
	v_dual_add_f32 v38, v9, v8 :: v_dual_mov_b32 v9, 0
	v_mov_b32_e32 v8, 0
	s_and_b32 vcc_lo, exec_lo, s0
	global_store_b32 v[10:11], v38, off
	s_cbranch_vccnz .LBB97_66
; %bb.65:
	v_add_co_u32 v9, vcc_lo, v4, v36
	v_add_co_ci_u32_e32 v10, vcc_lo, v5, v37, vcc_lo
	flat_load_b32 v9, v[9:10]
	s_waitcnt vmcnt(0) lgkmcnt(0)
	v_mul_f32_e32 v9, s18, v9
.LBB97_66:
	v_dual_min_f32 v10, v53, v1 :: v_dual_min_f32 v11, v52, v0
	v_dual_min_f32 v34, v34, v2 :: v_dual_min_f32 v35, v35, v3
	s_delay_alu instid0(VALU_DEP_2) | instskip(NEXT) | instid1(VALU_DEP_1)
	v_dual_add_f32 v10, v10, v69 :: v_dual_add_f32 v11, v11, v70
	v_dual_add_f32 v10, v35, v10 :: v_dual_add_f32 v11, v34, v11
	s_delay_alu instid0(VALU_DEP_1) | instskip(NEXT) | instid1(VALU_DEP_1)
	v_add_f32_e32 v10, v11, v10
	v_add_f32_e32 v11, v10, v9
	v_add_co_u32 v9, vcc_lo, v6, v36
	v_add_co_ci_u32_e32 v10, vcc_lo, v7, v37, vcc_lo
	s_and_b32 vcc_lo, exec_lo, s0
	global_store_b32 v[9:10], v11, off
	s_cbranch_vccnz .LBB97_68
; %bb.67:
	v_add_co_u32 v8, vcc_lo, v4, v32
	v_add_co_ci_u32_e32 v9, vcc_lo, v5, v33, vcc_lo
	flat_load_b32 v8, v[8:9]
	s_waitcnt vmcnt(0) lgkmcnt(0)
	v_mul_f32_e32 v8, s18, v8
.LBB97_68:
	v_dual_min_f32 v9, v55, v1 :: v_dual_min_f32 v10, v54, v0
	v_dual_min_f32 v11, v30, v2 :: v_dual_min_f32 v30, v31, v3
	s_delay_alu instid0(VALU_DEP_2) | instskip(NEXT) | instid1(VALU_DEP_1)
	v_dual_add_f32 v9, v9, v64 :: v_dual_add_f32 v10, v10, v65
	v_dual_add_f32 v9, v30, v9 :: v_dual_add_f32 v10, v11, v10
	s_delay_alu instid0(VALU_DEP_1) | instskip(SKIP_2) | instid1(VALU_DEP_3)
	v_add_f32_e32 v9, v10, v9
	v_add_co_u32 v10, vcc_lo, v6, v32
	v_add_co_ci_u32_e32 v11, vcc_lo, v7, v33, vcc_lo
	v_dual_add_f32 v30, v9, v8 :: v_dual_mov_b32 v9, 0
	v_mov_b32_e32 v8, 0
	s_and_b32 vcc_lo, exec_lo, s0
	global_store_b32 v[10:11], v30, off
	s_cbranch_vccnz .LBB97_70
; %bb.69:
	v_add_co_u32 v9, vcc_lo, v4, v28
	v_add_co_ci_u32_e32 v10, vcc_lo, v5, v29, vcc_lo
	flat_load_b32 v9, v[9:10]
	s_waitcnt vmcnt(0) lgkmcnt(0)
	v_mul_f32_e32 v9, s18, v9
.LBB97_70:
	v_dual_min_f32 v10, v67, v1 :: v_dual_min_f32 v11, v66, v0
	v_dual_min_f32 v26, v26, v2 :: v_dual_min_f32 v27, v27, v3
	s_delay_alu instid0(VALU_DEP_2) | instskip(NEXT) | instid1(VALU_DEP_1)
	v_dual_add_f32 v10, v10, v62 :: v_dual_add_f32 v11, v11, v63
	v_dual_add_f32 v10, v27, v10 :: v_dual_add_f32 v11, v26, v11
	s_delay_alu instid0(VALU_DEP_1) | instskip(NEXT) | instid1(VALU_DEP_1)
	v_add_f32_e32 v10, v11, v10
	v_add_f32_e32 v11, v10, v9
	v_add_co_u32 v9, vcc_lo, v6, v28
	v_add_co_ci_u32_e32 v10, vcc_lo, v7, v29, vcc_lo
	s_and_b32 vcc_lo, exec_lo, s0
	global_store_b32 v[9:10], v11, off
	s_cbranch_vccnz .LBB97_72
; %bb.71:
	v_add_co_u32 v8, vcc_lo, v4, v24
	v_add_co_ci_u32_e32 v9, vcc_lo, v5, v25, vcc_lo
	flat_load_b32 v8, v[8:9]
	s_waitcnt vmcnt(0) lgkmcnt(0)
	v_mul_f32_e32 v8, s18, v8
.LBB97_72:
	v_dual_min_f32 v9, v71, v1 :: v_dual_min_f32 v10, v68, v0
	v_dual_min_f32 v11, v22, v2 :: v_dual_min_f32 v22, v23, v3
	v_dual_min_f32 v23, v113, v1 :: v_dual_min_f32 v26, v80, v0
	s_delay_alu instid0(VALU_DEP_3) | instskip(NEXT) | instid1(VALU_DEP_2)
	v_dual_add_f32 v9, v9, v60 :: v_dual_add_f32 v10, v10, v61
	v_dual_min_f32 v18, v18, v2 :: v_dual_add_f32 v23, v23, v59
	s_delay_alu instid0(VALU_DEP_2) | instskip(SKIP_2) | instid1(VALU_DEP_2)
	v_dual_add_f32 v9, v22, v9 :: v_dual_add_f32 v10, v11, v10
	v_min_f32_e32 v11, v19, v3
	v_add_f32_e32 v19, v26, v58
	v_dual_add_f32 v22, v10, v9 :: v_dual_add_f32 v11, v11, v23
	s_delay_alu instid0(VALU_DEP_2) | instskip(SKIP_2) | instid1(VALU_DEP_4)
	v_add_f32_e32 v18, v18, v19
	v_add_co_u32 v9, vcc_lo, v6, v24
	v_add_co_ci_u32_e32 v10, vcc_lo, v7, v25, vcc_lo
	v_add_f32_e32 v19, v22, v8
	s_delay_alu instid0(VALU_DEP_4)
	v_add_f32_e32 v8, v18, v11
	s_mov_b32 vcc_lo, s2
	global_store_b32 v[9:10], v19, off
	s_cbranch_vccz .LBB97_75
; %bb.73:
	v_add_co_u32 v9, vcc_lo, v6, v20
	v_add_f32_e32 v11, 0, v8
	v_add_co_ci_u32_e32 v10, vcc_lo, v7, v21, vcc_lo
	s_mov_b32 s0, 0
	global_store_b32 v[9:10], v11, off
	s_cbranch_execz .LBB97_76
; %bb.74:
	v_mov_b32_e32 v4, s0
	s_branch .LBB97_77
.LBB97_75:
	s_mov_b32 s0, -1
.LBB97_76:
	v_add_co_u32 v9, vcc_lo, v4, v20
	v_add_co_ci_u32_e32 v10, vcc_lo, v5, v21, vcc_lo
	flat_load_b32 v11, v[9:10]
	v_add_co_u32 v9, vcc_lo, v6, v20
	v_add_co_ci_u32_e32 v10, vcc_lo, v7, v21, vcc_lo
	v_add_co_u32 v4, vcc_lo, v4, v16
	v_add_co_ci_u32_e32 v5, vcc_lo, v5, v17, vcc_lo
	s_waitcnt vmcnt(0) lgkmcnt(0)
	v_fmac_f32_e32 v8, s18, v11
	global_store_b32 v[9:10], v8, off
	flat_load_b32 v4, v[4:5]
	s_waitcnt vmcnt(0) lgkmcnt(0)
	v_mul_f32_e32 v4, s18, v4
.LBB97_77:
	v_dual_min_f32 v1, v13, v1 :: v_dual_min_f32 v0, v12, v0
	v_dual_min_f32 v2, v14, v2 :: v_dual_min_f32 v3, v15, v3
	s_delay_alu instid0(VALU_DEP_2) | instskip(NEXT) | instid1(VALU_DEP_1)
	v_dual_add_f32 v1, v1, v56 :: v_dual_add_f32 v0, v0, v57
	v_dual_add_f32 v1, v3, v1 :: v_dual_add_f32 v0, v2, v0
	s_delay_alu instid0(VALU_DEP_1) | instskip(NEXT) | instid1(VALU_DEP_1)
	v_add_f32_e32 v0, v0, v1
	v_add_f32_e32 v2, v0, v4
	v_add_co_u32 v0, vcc_lo, v6, v16
	v_add_co_ci_u32_e32 v1, vcc_lo, v7, v17, vcc_lo
	global_store_b32 v[0:1], v2, off
	s_nop 0
	s_sendmsg sendmsg(MSG_DEALLOC_VGPRS)
	s_endpgm
	.section	.rodata,"a",@progbits
	.p2align	6, 0x0
	.amdhsa_kernel _ZN12_GLOBAL__N_120geam_min_plus_kernelIf15HIP_vector_typeIfLj2EES2_Li8ELi32ELi64ELi128ELi4ELi4ELi64ELi64ELi4ELc84ELc84ELb1ELb0ELb0EfKffEEviiiT16_PT17_ilS6_ilS4_S6_ilPT18_ili26rocblas_geam_ex_operation_
		.amdhsa_group_segment_fixed_size 6144
		.amdhsa_private_segment_fixed_size 0
		.amdhsa_kernarg_size 128
		.amdhsa_user_sgpr_count 14
		.amdhsa_user_sgpr_dispatch_ptr 0
		.amdhsa_user_sgpr_queue_ptr 0
		.amdhsa_user_sgpr_kernarg_segment_ptr 1
		.amdhsa_user_sgpr_dispatch_id 0
		.amdhsa_user_sgpr_private_segment_size 0
		.amdhsa_wavefront_size32 1
		.amdhsa_uses_dynamic_stack 0
		.amdhsa_enable_private_segment 0
		.amdhsa_system_sgpr_workgroup_id_x 1
		.amdhsa_system_sgpr_workgroup_id_y 0
		.amdhsa_system_sgpr_workgroup_id_z 1
		.amdhsa_system_sgpr_workgroup_info 0
		.amdhsa_system_vgpr_workitem_id 1
		.amdhsa_next_free_vgpr 224
		.amdhsa_next_free_sgpr 23
		.amdhsa_reserve_vcc 1
		.amdhsa_float_round_mode_32 0
		.amdhsa_float_round_mode_16_64 0
		.amdhsa_float_denorm_mode_32 3
		.amdhsa_float_denorm_mode_16_64 3
		.amdhsa_dx10_clamp 1
		.amdhsa_ieee_mode 1
		.amdhsa_fp16_overflow 0
		.amdhsa_workgroup_processor_mode 1
		.amdhsa_memory_ordered 1
		.amdhsa_forward_progress 0
		.amdhsa_shared_vgpr_count 0
		.amdhsa_exception_fp_ieee_invalid_op 0
		.amdhsa_exception_fp_denorm_src 0
		.amdhsa_exception_fp_ieee_div_zero 0
		.amdhsa_exception_fp_ieee_overflow 0
		.amdhsa_exception_fp_ieee_underflow 0
		.amdhsa_exception_fp_ieee_inexact 0
		.amdhsa_exception_int_div_zero 0
	.end_amdhsa_kernel
	.section	.text._ZN12_GLOBAL__N_120geam_min_plus_kernelIf15HIP_vector_typeIfLj2EES2_Li8ELi32ELi64ELi128ELi4ELi4ELi64ELi64ELi4ELc84ELc84ELb1ELb0ELb0EfKffEEviiiT16_PT17_ilS6_ilS4_S6_ilPT18_ili26rocblas_geam_ex_operation_,"axG",@progbits,_ZN12_GLOBAL__N_120geam_min_plus_kernelIf15HIP_vector_typeIfLj2EES2_Li8ELi32ELi64ELi128ELi4ELi4ELi64ELi64ELi4ELc84ELc84ELb1ELb0ELb0EfKffEEviiiT16_PT17_ilS6_ilS4_S6_ilPT18_ili26rocblas_geam_ex_operation_,comdat
.Lfunc_end97:
	.size	_ZN12_GLOBAL__N_120geam_min_plus_kernelIf15HIP_vector_typeIfLj2EES2_Li8ELi32ELi64ELi128ELi4ELi4ELi64ELi64ELi4ELc84ELc84ELb1ELb0ELb0EfKffEEviiiT16_PT17_ilS6_ilS4_S6_ilPT18_ili26rocblas_geam_ex_operation_, .Lfunc_end97-_ZN12_GLOBAL__N_120geam_min_plus_kernelIf15HIP_vector_typeIfLj2EES2_Li8ELi32ELi64ELi128ELi4ELi4ELi64ELi64ELi4ELc84ELc84ELb1ELb0ELb0EfKffEEviiiT16_PT17_ilS6_ilS4_S6_ilPT18_ili26rocblas_geam_ex_operation_
                                        ; -- End function
	.section	.AMDGPU.csdata,"",@progbits
; Kernel info:
; codeLenInByte = 9708
; NumSgprs: 25
; NumVgprs: 224
; ScratchSize: 0
; MemoryBound: 0
; FloatMode: 240
; IeeeMode: 1
; LDSByteSize: 6144 bytes/workgroup (compile time only)
; SGPRBlocks: 3
; VGPRBlocks: 27
; NumSGPRsForWavesPerEU: 25
; NumVGPRsForWavesPerEU: 224
; Occupancy: 6
; WaveLimiterHint : 1
; COMPUTE_PGM_RSRC2:SCRATCH_EN: 0
; COMPUTE_PGM_RSRC2:USER_SGPR: 14
; COMPUTE_PGM_RSRC2:TRAP_HANDLER: 0
; COMPUTE_PGM_RSRC2:TGID_X_EN: 1
; COMPUTE_PGM_RSRC2:TGID_Y_EN: 0
; COMPUTE_PGM_RSRC2:TGID_Z_EN: 1
; COMPUTE_PGM_RSRC2:TIDIG_COMP_CNT: 1
	.section	.text._ZN12_GLOBAL__N_120geam_min_plus_kernelIf15HIP_vector_typeIfLj2EES2_Li8ELi32ELi64ELi128ELi4ELi4ELi64ELi64ELi4ELc84ELc84ELb0ELb0ELb0EfKffEEviiiT16_PT17_ilS6_ilS4_S6_ilPT18_ili26rocblas_geam_ex_operation_,"axG",@progbits,_ZN12_GLOBAL__N_120geam_min_plus_kernelIf15HIP_vector_typeIfLj2EES2_Li8ELi32ELi64ELi128ELi4ELi4ELi64ELi64ELi4ELc84ELc84ELb0ELb0ELb0EfKffEEviiiT16_PT17_ilS6_ilS4_S6_ilPT18_ili26rocblas_geam_ex_operation_,comdat
	.globl	_ZN12_GLOBAL__N_120geam_min_plus_kernelIf15HIP_vector_typeIfLj2EES2_Li8ELi32ELi64ELi128ELi4ELi4ELi64ELi64ELi4ELc84ELc84ELb0ELb0ELb0EfKffEEviiiT16_PT17_ilS6_ilS4_S6_ilPT18_ili26rocblas_geam_ex_operation_ ; -- Begin function _ZN12_GLOBAL__N_120geam_min_plus_kernelIf15HIP_vector_typeIfLj2EES2_Li8ELi32ELi64ELi128ELi4ELi4ELi64ELi64ELi4ELc84ELc84ELb0ELb0ELb0EfKffEEviiiT16_PT17_ilS6_ilS4_S6_ilPT18_ili26rocblas_geam_ex_operation_
	.p2align	8
	.type	_ZN12_GLOBAL__N_120geam_min_plus_kernelIf15HIP_vector_typeIfLj2EES2_Li8ELi32ELi64ELi128ELi4ELi4ELi64ELi64ELi4ELc84ELc84ELb0ELb0ELb0EfKffEEviiiT16_PT17_ilS6_ilS4_S6_ilPT18_ili26rocblas_geam_ex_operation_,@function
_ZN12_GLOBAL__N_120geam_min_plus_kernelIf15HIP_vector_typeIfLj2EES2_Li8ELi32ELi64ELi128ELi4ELi4ELi64ELi64ELi4ELc84ELc84ELb0ELb0ELb0EfKffEEviiiT16_PT17_ilS6_ilS4_S6_ilPT18_ili26rocblas_geam_ex_operation_: ; @_ZN12_GLOBAL__N_120geam_min_plus_kernelIf15HIP_vector_typeIfLj2EES2_Li8ELi32ELi64ELi128ELi4ELi4ELi64ELi64ELi4ELc84ELc84ELb0ELb0ELb0EfKffEEviiiT16_PT17_ilS6_ilS4_S6_ilPT18_ili26rocblas_geam_ex_operation_
; %bb.0:
	s_clause 0x1
	s_load_b64 s[8:9], s[0:1], 0x8
	s_load_b128 s[4:7], s[0:1], 0x20
	s_waitcnt lgkmcnt(0)
	v_cmp_eq_f32_e64 s2, s9, 0
	s_delay_alu instid0(VALU_DEP_1)
	s_and_b32 vcc_lo, exec_lo, s2
	s_cbranch_vccnz .LBB98_3
; %bb.1:
	s_load_b64 s[10:11], s[0:1], 0x10
	s_mul_i32 s3, s15, s5
	s_mul_hi_u32 s5, s15, s4
	s_mul_i32 s4, s15, s4
	s_add_i32 s5, s5, s3
	s_delay_alu instid0(SALU_CYCLE_1)
	s_lshl_b64 s[4:5], s[4:5], 2
	s_waitcnt lgkmcnt(0)
	s_add_u32 s10, s10, s4
	s_addc_u32 s11, s11, s5
	s_and_not1_b32 vcc_lo, exec_lo, s2
	s_cbranch_vccnz .LBB98_4
.LBB98_2:
	s_mov_b32 s19, 0
	s_mov_b64 s[12:13], 0
	s_cbranch_execz .LBB98_5
	s_branch .LBB98_6
.LBB98_3:
	s_mov_b64 s[10:11], 0
	s_and_not1_b32 vcc_lo, exec_lo, s2
	s_cbranch_vccz .LBB98_2
.LBB98_4:
	s_mov_b32 s19, -1
                                        ; implicit-def: $sgpr12_sgpr13
.LBB98_5:
	s_load_b64 s[2:3], s[0:1], 0x38
	s_mov_b32 s19, 0
	s_waitcnt lgkmcnt(0)
	s_mul_i32 s3, s15, s3
	s_mul_hi_u32 s4, s15, s2
	s_mul_i32 s2, s15, s2
	s_add_i32 s3, s4, s3
	s_delay_alu instid0(SALU_CYCLE_1) | instskip(NEXT) | instid1(SALU_CYCLE_1)
	s_lshl_b64 s[2:3], s[2:3], 2
	s_add_u32 s12, s6, s2
	s_addc_u32 s13, s7, s3
.LBB98_6:
	s_clause 0x1
	s_load_b32 s18, s[0:1], 0x40
	s_load_b128 s[4:7], s[0:1], 0x58
	v_cmp_neq_f32_e64 s16, s9, 0
	s_waitcnt lgkmcnt(0)
	v_cmp_eq_f32_e64 s2, s18, 0
	s_delay_alu instid0(VALU_DEP_1) | instskip(NEXT) | instid1(SALU_CYCLE_1)
	s_and_b32 s2, exec_lo, s2
	s_mov_b32 vcc_lo, s2
	s_cbranch_vccnz .LBB98_8
; %bb.7:
	s_load_b64 s[20:21], s[0:1], 0x48
	s_mul_i32 s3, s15, s5
	s_mul_hi_u32 s5, s15, s4
	s_delay_alu instid0(SALU_CYCLE_1) | instskip(SKIP_3) | instid1(SALU_CYCLE_1)
	s_add_i32 s3, s5, s3
	s_mul_i32 s5, s19, s4
	s_mul_i32 s4, s15, s4
	s_add_i32 s5, s3, s5
	s_lshl_b64 s[4:5], s[4:5], 2
	s_waitcnt lgkmcnt(0)
	s_add_u32 s4, s20, s4
	s_addc_u32 s5, s21, s5
	s_branch .LBB98_9
.LBB98_8:
	s_mov_b64 s[4:5], 0
.LBB98_9:
	s_clause 0x1
	s_load_b32 s3, s[0:1], 0x0
	s_load_b32 s21, s[0:1], 0x18
	v_and_b32_e32 v54, 0x3ff, v0
	v_bfe_u32 v55, v0, 10, 10
	v_cndmask_b32_e64 v0, 0, 1, s16
	s_delay_alu instid0(VALU_DEP_3) | instskip(NEXT) | instid1(VALU_DEP_1)
	v_and_b32_e32 v2, 3, v54
	v_lshlrev_b32_e32 v2, 2, v2
	s_waitcnt lgkmcnt(0)
	s_add_i32 s3, s3, -1
	s_delay_alu instid0(SALU_CYCLE_1) | instskip(NEXT) | instid1(SALU_CYCLE_1)
	s_ashr_i32 s17, s3, 31
	s_lshr_b32 s17, s17, 26
	s_delay_alu instid0(SALU_CYCLE_1) | instskip(NEXT) | instid1(SALU_CYCLE_1)
	s_add_i32 s3, s3, s17
	s_ashr_i32 s3, s3, 6
	s_delay_alu instid0(SALU_CYCLE_1) | instskip(SKIP_2) | instid1(VALU_DEP_1)
	s_add_i32 s20, s3, 1
	s_not_b32 s3, s3
	v_cvt_f32_u32_e32 v1, s20
	v_rcp_iflag_f32_e32 v1, v1
	s_waitcnt_depctr 0xfff
	v_mul_f32_e32 v1, 0x4f7ffffe, v1
	s_delay_alu instid0(VALU_DEP_1) | instskip(NEXT) | instid1(VALU_DEP_1)
	v_cvt_u32_f32_e32 v1, v1
	v_readfirstlane_b32 s17, v1
	v_lshl_add_u32 v1, v55, 3, v54
	s_delay_alu instid0(VALU_DEP_2) | instskip(NEXT) | instid1(VALU_DEP_1)
	s_mul_i32 s3, s3, s17
	v_lshrrev_b32_e32 v8, 2, v1
	s_mul_hi_u32 s3, s17, s3
	s_delay_alu instid0(SALU_CYCLE_1) | instskip(NEXT) | instid1(SALU_CYCLE_1)
	s_add_i32 s17, s17, s3
	s_mul_hi_u32 s3, s14, s17
	s_delay_alu instid0(SALU_CYCLE_1) | instskip(SKIP_2) | instid1(SALU_CYCLE_1)
	s_mul_i32 s17, s3, s20
	s_add_i32 s22, s3, 1
	s_sub_i32 s17, s14, s17
	s_sub_i32 s23, s17, s20
	s_cmp_ge_u32 s17, s20
	s_cselect_b32 s3, s22, s3
	s_cselect_b32 s17, s23, s17
	s_add_i32 s22, s3, 1
	s_cmp_ge_u32 s17, s20
	s_cselect_b32 s17, s22, s3
	s_and_not1_b32 vcc_lo, exec_lo, s16
	s_mul_i32 s3, s17, s20
	s_delay_alu instid0(SALU_CYCLE_1) | instskip(SKIP_2) | instid1(SALU_CYCLE_1)
	s_sub_i32 s14, s14, s3
	v_cmp_ne_u32_e64 s3, 1, v0
	s_lshl_b32 s14, s14, 6
	v_add_nc_u32_e32 v3, s14, v8
	s_cbranch_vccnz .LBB98_11
; %bb.10:
	s_delay_alu instid0(VALU_DEP_1) | instskip(NEXT) | instid1(VALU_DEP_1)
	v_mad_i64_i32 v[4:5], null, v3, s21, 0
	v_lshlrev_b64 v[4:5], 2, v[4:5]
	s_delay_alu instid0(VALU_DEP_1) | instskip(NEXT) | instid1(VALU_DEP_2)
	v_add_co_u32 v0, vcc_lo, s10, v4
	v_add_co_ci_u32_e32 v5, vcc_lo, s11, v5, vcc_lo
	s_delay_alu instid0(VALU_DEP_2) | instskip(NEXT) | instid1(VALU_DEP_2)
	v_add_co_u32 v4, vcc_lo, v0, v2
	v_add_co_ci_u32_e32 v5, vcc_lo, 0, v5, vcc_lo
	flat_load_b32 v0, v[4:5]
	s_waitcnt vmcnt(0) lgkmcnt(0)
	v_mul_f32_e32 v9, s9, v0
	s_branch .LBB98_12
.LBB98_11:
	v_mov_b32_e32 v9, 0
.LBB98_12:
	s_load_b32 s16, s[0:1], 0x30
	v_and_b32_e32 v5, 63, v1
	s_lshl_b32 s20, s17, 7
	v_lshrrev_b32_e32 v4, 6, v1
	s_and_b32 vcc_lo, exec_lo, s3
	s_delay_alu instid0(VALU_DEP_2) | instskip(NEXT) | instid1(VALU_DEP_1)
	v_or_b32_e32 v0, s20, v5
	v_ashrrev_i32_e32 v1, 31, v0
	s_waitcnt lgkmcnt(0)
	s_ashr_i32 s17, s16, 31
	s_cbranch_vccnz .LBB98_16
; %bb.13:
	v_mad_i64_i32 v[6:7], null, s16, v4, 0
	v_lshlrev_b64 v[10:11], 2, v[0:1]
	s_delay_alu instid0(VALU_DEP_2) | instskip(NEXT) | instid1(VALU_DEP_1)
	v_lshlrev_b64 v[6:7], 2, v[6:7]
	v_add_co_u32 v6, vcc_lo, s12, v6
	s_delay_alu instid0(VALU_DEP_2) | instskip(NEXT) | instid1(VALU_DEP_2)
	v_add_co_ci_u32_e32 v7, vcc_lo, s13, v7, vcc_lo
	v_add_co_u32 v6, vcc_lo, v6, v10
	s_delay_alu instid0(VALU_DEP_2)
	v_add_co_ci_u32_e32 v7, vcc_lo, v7, v11, vcc_lo
	s_clause 0x1
	flat_load_b32 v10, v[6:7]
	flat_load_b32 v6, v[6:7] offset:256
	s_waitcnt vmcnt(1) lgkmcnt(1)
	v_mul_f32_e32 v10, s9, v10
	s_waitcnt vmcnt(0) lgkmcnt(0)
	v_mul_f32_e32 v11, s9, v6
	s_and_b32 vcc_lo, exec_lo, s3
	s_cbranch_vccnz .LBB98_17
.LBB98_14:
	v_mad_i64_i32 v[6:7], null, v3, s21, 0
	s_delay_alu instid0(VALU_DEP_1) | instskip(NEXT) | instid1(VALU_DEP_1)
	v_lshlrev_b64 v[6:7], 2, v[6:7]
	v_add_co_u32 v6, vcc_lo, s10, v6
	s_delay_alu instid0(VALU_DEP_2) | instskip(NEXT) | instid1(VALU_DEP_2)
	v_add_co_ci_u32_e32 v7, vcc_lo, s11, v7, vcc_lo
	v_add_co_u32 v6, vcc_lo, v6, v2
	s_delay_alu instid0(VALU_DEP_2)
	v_add_co_ci_u32_e32 v7, vcc_lo, 0, v7, vcc_lo
	flat_load_b32 v6, v[6:7] offset:16
	s_waitcnt vmcnt(0) lgkmcnt(0)
	v_mul_f32_e32 v6, s9, v6
	s_and_b32 vcc_lo, exec_lo, s3
	s_cbranch_vccnz .LBB98_18
.LBB98_15:
	v_add_nc_u32_e32 v7, 4, v4
	v_lshlrev_b64 v[0:1], 2, v[0:1]
	s_delay_alu instid0(VALU_DEP_2) | instskip(NEXT) | instid1(VALU_DEP_1)
	v_mad_i64_i32 v[12:13], null, s16, v7, 0
	v_lshlrev_b64 v[12:13], 2, v[12:13]
	s_delay_alu instid0(VALU_DEP_1) | instskip(NEXT) | instid1(VALU_DEP_2)
	v_add_co_u32 v7, vcc_lo, s12, v12
	v_add_co_ci_u32_e32 v12, vcc_lo, s13, v13, vcc_lo
	s_delay_alu instid0(VALU_DEP_2) | instskip(NEXT) | instid1(VALU_DEP_2)
	v_add_co_u32 v0, vcc_lo, v7, v0
	v_add_co_ci_u32_e32 v1, vcc_lo, v12, v1, vcc_lo
	s_clause 0x1
	flat_load_b32 v7, v[0:1]
	flat_load_b32 v0, v[0:1] offset:256
	s_waitcnt vmcnt(1) lgkmcnt(1)
	v_mul_f32_e32 v1, s9, v7
	s_waitcnt vmcnt(0) lgkmcnt(0)
	v_mul_f32_e32 v7, s9, v0
	s_branch .LBB98_19
.LBB98_16:
	v_dual_mov_b32 v10, 0 :: v_dual_mov_b32 v11, 0
	s_and_b32 vcc_lo, exec_lo, s3
	s_cbranch_vccz .LBB98_14
.LBB98_17:
	v_mov_b32_e32 v6, 0
	s_and_b32 vcc_lo, exec_lo, s3
	s_cbranch_vccz .LBB98_15
.LBB98_18:
	v_mov_b32_e32 v1, 0
	v_mov_b32_e32 v7, 0
.LBB98_19:
	v_lshlrev_b32_e32 v12, 2, v4
	v_lshl_or_b32 v0, v8, 4, v2
	v_lshlrev_b32_e32 v56, 4, v55
	v_lshlrev_b32_e32 v57, 4, v54
	s_cmp_lt_i32 s8, 9
	v_lshl_add_u32 v73, v5, 4, v12
	ds_store_b32 v0, v9 offset:4096
	ds_store_2addr_stride64_b32 v73, v10, v11 offset1:4
	s_waitcnt lgkmcnt(0)
	s_barrier
	buffer_gl0_inv
	ds_load_b128 v[8:11], v56
	ds_load_b128 v[12:15], v57 offset:4096
	ds_load_b128 v[16:19], v57 offset:4224
	;; [unrolled: 1-line block ×11, first 2 shown]
	ds_store_b32 v0, v6 offset:5120
	ds_store_2addr_stride64_b32 v73, v1, v7 offset0:8 offset1:12
	s_waitcnt lgkmcnt(0)
	s_barrier
	buffer_gl0_inv
	v_max_f32_e32 v8, v8, v8
	v_dual_max_f32 v12, v12, v12 :: v_dual_max_f32 v17, v17, v17
	v_max_f32_e32 v9, v9, v9
	v_dual_max_f32 v25, v25, v25 :: v_dual_max_f32 v28, v28, v28
	s_delay_alu instid0(VALU_DEP_3)
	v_dual_min_f32 v52, v12, v8 :: v_dual_max_f32 v13, v13, v13
	v_dual_max_f32 v16, v16, v16 :: v_dual_max_f32 v21, v21, v21
	v_max_f32_e32 v20, v20, v20
	v_dual_max_f32 v24, v24, v24 :: v_dual_min_f32 v63, v17, v9
	v_dual_min_f32 v67, v25, v9 :: v_dual_min_f32 v68, v28, v8
	v_dual_max_f32 v33, v33, v33 :: v_dual_max_f32 v32, v32, v32
	v_dual_max_f32 v37, v37, v37 :: v_dual_max_f32 v36, v36, v36
	;; [unrolled: 1-line block ×4, first 2 shown]
	v_dual_min_f32 v53, v13, v9 :: v_dual_min_f32 v62, v16, v8
	v_dual_max_f32 v29, v29, v29 :: v_dual_min_f32 v64, v20, v8
	v_dual_min_f32 v65, v21, v9 :: v_dual_min_f32 v66, v24, v8
	v_dual_min_f32 v70, v32, v8 :: v_dual_max_f32 v41, v41, v41
	v_dual_min_f32 v71, v33, v9 :: v_dual_min_f32 v72, v36, v8
	v_dual_max_f32 v15, v15, v15 :: v_dual_min_f32 v8, v40, v8
	v_dual_max_f32 v45, v45, v45 :: v_dual_max_f32 v10, v10, v10
	v_dual_max_f32 v44, v44, v44 :: v_dual_max_f32 v19, v19, v19
	v_max_f32_e32 v14, v14, v14
	v_dual_max_f32 v18, v18, v18 :: v_dual_max_f32 v23, v23, v23
	v_dual_min_f32 v86, v12, v48 :: v_dual_max_f32 v59, v59, v59
	v_dual_max_f32 v58, v58, v58 :: v_dual_min_f32 v89, v37, v45
	v_min_f32_e32 v69, v29, v9
	v_dual_min_f32 v74, v37, v9 :: v_dual_min_f32 v75, v12, v44
	v_min_f32_e32 v9, v41, v9
	v_dual_min_f32 v76, v13, v45 :: v_dual_min_f32 v79, v20, v44
	v_dual_min_f32 v77, v16, v44 :: v_dual_max_f32 v22, v22, v22
	v_dual_max_f32 v27, v27, v27 :: v_dual_min_f32 v78, v17, v45
	v_dual_min_f32 v81, v24, v44 :: v_dual_max_f32 v26, v26, v26
	v_dual_max_f32 v31, v31, v31 :: v_dual_min_f32 v80, v21, v45
	;; [unrolled: 2-line block ×3, first 2 shown]
	v_dual_max_f32 v39, v39, v39 :: v_dual_max_f32 v34, v34, v34
	v_min_f32_e32 v85, v36, v44
	v_dual_min_f32 v84, v32, v44 :: v_dual_max_f32 v43, v43, v43
	v_dual_min_f32 v44, v40, v44 :: v_dual_max_f32 v51, v51, v51
	v_dual_max_f32 v42, v42, v42 :: v_dual_min_f32 v123, v20, v48
	v_dual_min_f32 v88, v16, v48 :: v_dual_max_f32 v61, v61, v61
	v_dual_max_f32 v46, v46, v46 :: v_dual_max_f32 v125, v60, v60
	v_dual_min_f32 v124, v24, v48 :: v_dual_min_f32 v87, v33, v45
	v_dual_max_f32 v50, v50, v50 :: v_dual_min_f32 v127, v36, v48
	v_min_f32_e32 v60, v28, v48
	v_dual_min_f32 v126, v32, v48 :: v_dual_min_f32 v91, v17, v49
	v_dual_min_f32 v48, v40, v48 :: v_dual_min_f32 v129, v25, v49
	;; [unrolled: 1-line block ×3, first 2 shown]
	v_min_f32_e32 v16, v16, v58
	v_min_f32_e32 v20, v20, v58
	v_dual_min_f32 v24, v24, v58 :: v_dual_min_f32 v17, v17, v59
	v_min_f32_e32 v28, v28, v58
	v_dual_min_f32 v32, v32, v58 :: v_dual_min_f32 v25, v25, v59
	;; [unrolled: 2-line block ×3, first 2 shown]
	v_min_f32_e32 v58, v29, v45
	v_min_f32_e32 v45, v41, v45
	v_dual_min_f32 v90, v13, v49 :: v_dual_add_f32 v63, 0, v63
	v_dual_min_f32 v128, v21, v49 :: v_dual_min_f32 v93, v19, v11
	v_dual_min_f32 v130, v29, v49 :: v_dual_min_f32 v95, v23, v11
	v_min_f32_e32 v132, v37, v49
	v_min_f32_e32 v49, v41, v49
	;; [unrolled: 1-line block ×5, first 2 shown]
	v_dual_min_f32 v37, v37, v59 :: v_dual_add_f32 v52, 0, v52
	v_dual_min_f32 v41, v41, v59 :: v_dual_min_f32 v92, v14, v10
	v_dual_add_f32 v53, 0, v53 :: v_dual_add_f32 v62, 0, v62
	v_dual_min_f32 v59, v15, v11 :: v_dual_min_f32 v94, v18, v10
	v_dual_add_f32 v65, 0, v65 :: v_dual_max_f32 v38, v38, v38
	v_max_f32_e32 v47, v47, v47
	s_delay_alu instid0(VALU_DEP_3) | instskip(NEXT) | instid1(VALU_DEP_4)
	v_dual_add_f32 v121, v59, v53 :: v_dual_add_f32 v122, v92, v52
	v_dual_add_f32 v119, v93, v63 :: v_dual_add_f32 v120, v94, v62
	s_delay_alu instid0(VALU_DEP_4)
	v_dual_add_f32 v117, v95, v65 :: v_dual_add_f32 v52, 0, v64
	v_min_f32_e32 v53, v22, v10
	v_dual_add_f32 v59, 0, v67 :: v_dual_min_f32 v64, v26, v10
	v_dual_min_f32 v62, v27, v11 :: v_dual_add_f32 v63, 0, v66
	v_dual_add_f32 v65, 0, v69 :: v_dual_min_f32 v66, v31, v11
	v_dual_add_f32 v67, 0, v68 :: v_dual_min_f32 v68, v30, v10
	s_delay_alu instid0(VALU_DEP_3) | instskip(NEXT) | instid1(VALU_DEP_3)
	v_dual_add_f32 v118, v53, v52 :: v_dual_add_f32 v115, v62, v59
	v_dual_add_f32 v116, v64, v63 :: v_dual_add_f32 v113, v66, v65
	s_delay_alu instid0(VALU_DEP_3)
	v_dual_add_f32 v114, v68, v67 :: v_dual_add_f32 v59, 0, v70
	v_dual_add_f32 v52, 0, v71 :: v_dual_add_f32 v63, 0, v74
	v_dual_min_f32 v53, v35, v11 :: v_dual_min_f32 v62, v34, v10
	v_dual_min_f32 v64, v39, v11 :: v_dual_add_f32 v65, 0, v72
	v_dual_min_f32 v66, v38, v10 :: v_dual_add_f32 v9, 0, v9
	v_min_f32_e32 v11, v43, v11
	s_delay_alu instid0(VALU_DEP_4) | instskip(NEXT) | instid1(VALU_DEP_4)
	v_dual_add_f32 v111, v53, v52 :: v_dual_add_f32 v112, v62, v59
	v_dual_add_f32 v109, v64, v63 :: v_dual_add_f32 v8, 0, v8
	s_delay_alu instid0(VALU_DEP_4) | instskip(NEXT) | instid1(VALU_DEP_4)
	v_add_f32_e32 v110, v66, v65
	v_add_f32_e32 v107, v11, v9
	v_dual_min_f32 v9, v42, v10 :: v_dual_add_f32 v52, 0, v75
	v_dual_add_f32 v10, 0, v76 :: v_dual_min_f32 v11, v15, v47
	v_min_f32_e32 v64, v18, v46
	v_dual_min_f32 v53, v14, v46 :: v_dual_min_f32 v62, v19, v47
	s_delay_alu instid0(VALU_DEP_4) | instskip(NEXT) | instid1(VALU_DEP_2)
	v_dual_add_f32 v59, 0, v78 :: v_dual_add_f32 v108, v9, v8
	v_dual_add_f32 v63, 0, v77 :: v_dual_add_f32 v106, v53, v52
	v_add_f32_e32 v105, v11, v10
	s_delay_alu instid0(VALU_DEP_3) | instskip(NEXT) | instid1(VALU_DEP_3)
	v_dual_add_f32 v103, v62, v59 :: v_dual_add_f32 v8, 0, v80
	v_add_f32_e32 v104, v64, v63
	v_dual_min_f32 v9, v23, v47 :: v_dual_add_f32 v52, 0, v82
	v_dual_add_f32 v10, 0, v79 :: v_dual_min_f32 v11, v22, v46
	v_dual_min_f32 v53, v27, v47 :: v_dual_min_f32 v62, v26, v46
	v_dual_add_f32 v59, 0, v81 :: v_dual_add_f32 v58, 0, v58
	s_delay_alu instid0(VALU_DEP_2) | instskip(NEXT) | instid1(VALU_DEP_4)
	v_dual_min_f32 v63, v31, v47 :: v_dual_add_f32 v98, v53, v52
	v_dual_add_f32 v101, v9, v8 :: v_dual_add_f32 v102, v11, v10
	s_delay_alu instid0(VALU_DEP_2)
	v_dual_add_f32 v100, v62, v59 :: v_dual_add_f32 v97, v63, v58
	v_dual_add_f32 v8, 0, v83 :: v_dual_min_f32 v9, v30, v46
	v_dual_add_f32 v10, 0, v87 :: v_dual_min_f32 v53, v34, v46
	v_dual_min_f32 v11, v35, v47 :: v_dual_add_f32 v52, 0, v84
	v_dual_add_f32 v58, 0, v89 :: v_dual_min_f32 v59, v39, v47
	v_dual_add_f32 v62, 0, v85 :: v_dual_min_f32 v63, v38, v46
	v_add_f32_e32 v99, v9, v8
	s_delay_alu instid0(VALU_DEP_4) | instskip(NEXT) | instid1(VALU_DEP_4)
	v_dual_add_f32 v95, v11, v10 :: v_dual_add_f32 v96, v53, v52
	v_dual_add_f32 v93, v59, v58 :: v_dual_add_f32 v8, 0, v45
	v_dual_min_f32 v9, v43, v47 :: v_dual_add_f32 v10, 0, v44
	v_dual_min_f32 v11, v42, v46 :: v_dual_add_f32 v52, 0, v91
	v_dual_add_f32 v44, 0, v90 :: v_dual_min_f32 v45, v15, v51
	v_dual_add_f32 v46, 0, v86 :: v_dual_min_f32 v53, v19, v51
	v_min_f32_e32 v47, v14, v50
	s_delay_alu instid0(VALU_DEP_4) | instskip(SKIP_1) | instid1(VALU_DEP_3)
	v_dual_add_f32 v91, v9, v8 :: v_dual_add_f32 v92, v11, v10
	v_add_f32_e32 v8, 0, v88
	v_dual_add_f32 v89, v45, v44 :: v_dual_add_f32 v90, v47, v46
	v_dual_add_f32 v87, v53, v52 :: v_dual_add_f32 v44, 0, v123
	v_dual_min_f32 v9, v18, v50 :: v_dual_add_f32 v10, 0, v128
	v_dual_min_f32 v11, v23, v51 :: v_dual_add_f32 v46, 0, v129
	;; [unrolled: 1-line block ×3, first 2 shown]
	s_delay_alu instid0(VALU_DEP_3) | instskip(NEXT) | instid1(VALU_DEP_2)
	v_dual_min_f32 v47, v27, v51 :: v_dual_add_f32 v88, v9, v8
	v_dual_min_f32 v53, v26, v50 :: v_dual_add_f32 v86, v45, v44
	s_delay_alu instid0(VALU_DEP_4) | instskip(NEXT) | instid1(VALU_DEP_3)
	v_add_f32_e32 v85, v11, v10
	v_dual_add_f32 v83, v47, v46 :: v_dual_add_f32 v10, 0, v60
	v_dual_add_f32 v8, 0, v130 :: v_dual_min_f32 v9, v31, v51
	v_dual_min_f32 v11, v30, v50 :: v_dual_add_f32 v44, 0, v131
	v_dual_min_f32 v45, v35, v51 :: v_dual_add_f32 v46, 0, v126
	s_delay_alu instid0(VALU_DEP_2) | instskip(SKIP_3) | instid1(VALU_DEP_3)
	v_dual_add_f32 v81, v9, v8 :: v_dual_add_f32 v82, v11, v10
	v_dual_add_f32 v8, 0, v127 :: v_dual_min_f32 v9, v38, v50
	v_dual_add_f32 v10, 0, v49 :: v_dual_min_f32 v11, v43, v51
	v_dual_add_f32 v13, 0, v13 :: v_dual_add_f32 v12, 0, v12
	v_dual_min_f32 v14, v14, v125 :: v_dual_add_f32 v79, v9, v8
	s_delay_alu instid0(VALU_DEP_3)
	v_dual_add_f32 v75, v11, v10 :: v_dual_add_f32 v8, 0, v16
	v_dual_add_f32 v9, 0, v17 :: v_dual_add_f32 v10, 0, v20
	v_add_f32_e32 v11, 0, v21
	v_dual_min_f32 v23, v23, v61 :: v_dual_add_f32 v84, v53, v52
	v_dual_min_f32 v53, v39, v51 :: v_dual_add_f32 v78, v45, v44
	v_dual_add_f32 v44, 0, v48 :: v_dual_min_f32 v45, v42, v50
	v_dual_min_f32 v15, v15, v61 :: v_dual_add_f32 v74, v14, v12
	v_add_f32_e32 v12, 0, v24
	v_add_f32_e32 v14, 0, v28
	v_dual_add_f32 v24, 0, v40 :: v_dual_min_f32 v19, v19, v61
	v_dual_min_f32 v18, v18, v125 :: v_dual_add_f32 v67, v23, v11
	v_min_f32_e32 v11, v30, v125
	v_min_f32_e32 v22, v22, v125
	v_add_f32_e32 v76, v45, v44
	v_add_f32_e32 v70, v15, v13
	;; [unrolled: 1-line block ×4, first 2 shown]
	v_dual_add_f32 v69, v22, v10 :: v_dual_min_f32 v10, v31, v61
	v_add_f32_e32 v71, v19, v9
	v_min_f32_e32 v9, v26, v125
	v_dual_add_f32 v13, 0, v25 :: v_dual_add_f32 v16, 0, v32
	v_add_f32_e32 v17, 0, v33
	s_delay_alu instid0(VALU_DEP_3)
	v_dual_add_f32 v25, 0, v41 :: v_dual_add_f32 v68, v9, v12
	v_add_f32_e32 v72, v18, v8
	v_min_f32_e32 v9, v34, v125
	v_min_f32_e32 v8, v27, v61
	;; [unrolled: 1-line block ×3, first 2 shown]
	v_add_f32_e32 v94, v63, v62
	v_dual_add_f32 v20, 0, v36 :: v_dual_add_f32 v21, 0, v37
	v_add_f32_e32 v63, v9, v16
	s_delay_alu instid0(VALU_DEP_4) | instskip(SKIP_4) | instid1(VALU_DEP_2)
	v_dual_add_f32 v59, v12, v24 :: v_dual_add_f32 v64, v10, v15
	v_min_f32_e32 v10, v38, v125
	v_add_f32_e32 v66, v8, v13
	v_dual_min_f32 v8, v35, v61 :: v_dual_min_f32 v47, v34, v50
	v_dual_add_f32 v52, 0, v132 :: v_dual_min_f32 v11, v43, v61
	v_add_f32_e32 v60, v8, v17
	v_min_f32_e32 v8, v39, v61
	s_delay_alu instid0(VALU_DEP_3) | instskip(NEXT) | instid1(VALU_DEP_4)
	v_dual_add_f32 v80, v47, v46 :: v_dual_add_f32 v77, v53, v52
	v_dual_add_f32 v61, v10, v20 :: v_dual_add_f32 v58, v11, v25
	s_delay_alu instid0(VALU_DEP_3)
	v_add_f32_e32 v62, v8, v21
	s_cbranch_scc1 .LBB98_33
; %bb.20:
	v_mad_i64_i32 v[7:8], null, s21, v3, 0
	v_add_nc_u32_e32 v5, s20, v5
	v_add_nc_u32_e32 v1, 12, v4
	v_add_nc_u32_e32 v123, 0x1000, v0
	v_add_nc_u32_e32 v125, 0x1400, v0
	v_add_nc_u32_e32 v3, 8, v4
	v_ashrrev_i32_e32 v6, 31, v5
	v_mad_i64_i32 v[9:10], null, v1, s16, 0
	v_lshlrev_b64 v[0:1], 2, v[7:8]
	v_add_nc_u32_e32 v124, 0x1000, v57
	s_delay_alu instid0(VALU_DEP_4)
	v_lshlrev_b64 v[5:6], 2, v[5:6]
	v_or_b32_e32 v126, 0x800, v73
	v_lshl_add_u32 v127, v54, 4, 0x1400
	v_lshl_add_u32 v128, v55, 4, 0x800
	v_add_co_u32 v2, vcc_lo, v0, v2
	v_add_co_ci_u32_e32 v4, vcc_lo, 0, v1, vcc_lo
	v_add_co_u32 v129, vcc_lo, s12, v5
	v_mad_i64_i32 v[0:1], null, v3, s16, 0
	v_add_co_ci_u32_e32 v130, vcc_lo, s13, v6, vcc_lo
	v_add_co_u32 v2, vcc_lo, v2, s10
	v_add_co_ci_u32_e32 v3, vcc_lo, s11, v4, vcc_lo
	v_lshlrev_b64 v[48:49], 2, v[9:10]
	s_delay_alu instid0(VALU_DEP_3) | instskip(SKIP_1) | instid1(VALU_DEP_4)
	v_add_co_u32 v52, vcc_lo, v2, 32
	v_lshlrev_b64 v[50:51], 2, v[0:1]
	v_add_co_ci_u32_e32 v53, vcc_lo, 0, v3, vcc_lo
	s_add_i32 s8, s8, -8
	s_lshl_b64 s[10:11], s[16:17], 5
	s_mov_b32 s12, 0
	s_branch .LBB98_23
.LBB98_21:                              ;   in Loop: Header=BB98_23 Depth=1
	v_add_co_u32 v0, vcc_lo, v129, v48
	v_add_co_ci_u32_e32 v1, vcc_lo, v130, v49, vcc_lo
	s_clause 0x1
	flat_load_b32 v214, v[0:1]
	flat_load_b32 v1, v[0:1] offset:256
	s_waitcnt vmcnt(0) lgkmcnt(0)
	v_dual_mul_f32 v0, s9, v214 :: v_dual_mul_f32 v1, s9, v1
.LBB98_22:                              ;   in Loop: Header=BB98_23 Depth=1
	v_dual_add_f32 v36, v36, v122 :: v_dual_add_f32 v41, v41, v120
	v_dual_add_f32 v40, v40, v121 :: v_dual_add_f32 v29, v29, v118
	;; [unrolled: 1-line block ×13, first 2 shown]
	v_add_f32_e32 v112, v22, v21
	ds_load_b128 v[20:23], v56
	ds_load_b128 v[28:31], v124
	v_dual_add_f32 v70, v159, v70 :: v_dual_add_f32 v69, v162, v69
	v_dual_add_f32 v68, v164, v68 :: v_dual_add_f32 v65, v166, v65
	;; [unrolled: 1-line block ×3, first 2 shown]
	v_add_f32_e32 v116, v175, v9
	s_delay_alu instid0(VALU_DEP_4) | instskip(NEXT) | instid1(VALU_DEP_4)
	v_dual_add_f32 v70, v212, v70 :: v_dual_add_f32 v69, v10, v69
	v_add_f32_e32 v68, v11, v68
	ds_load_b128 v[8:11], v124 offset:128
	v_dual_add_f32 v32, v32, v117 :: v_dual_add_f32 v37, v37, v115
	v_dual_add_f32 v94, v140, v94 :: v_dual_add_f32 v5, v5, v92
	;; [unrolled: 1-line block ×16, first 2 shown]
	v_add_f32_e32 v115, v184, v12
	v_dual_add_f32 v118, v176, v13 :: v_dual_add_f32 v95, v190, v95
	v_dual_add_f32 v121, v199, v4 :: v_dual_add_f32 v94, v182, v94
	;; [unrolled: 1-line block ×6, first 2 shown]
	s_waitcnt lgkmcnt(2)
	v_dual_add_f32 v66, v27, v66 :: v_dual_max_f32 v21, v21, v21
	v_dual_add_f32 v64, v172, v64 :: v_dual_add_f32 v133, v19, v46
	v_dual_add_f32 v132, v14, v60 :: v_dual_add_f32 v7, v7, v43
	s_waitcnt lgkmcnt(1)
	v_dual_max_f32 v29, v29, v29 :: v_dual_add_f32 v62, v15, v62
	ds_load_b128 v[2:5], v124 offset:256
	ds_load_b128 v[12:15], v124 offset:384
	;; [unrolled: 1-line block ×7, first 2 shown]
	s_waitcnt lgkmcnt(7)
	v_dual_max_f32 v20, v20, v20 :: v_dual_max_f32 v9, v9, v9
	v_max_f32_e32 v28, v28, v28
	v_dual_add_f32 v98, v135, v98 :: v_dual_add_f32 v97, v137, v97
	v_add_f32_e32 v6, v6, v61
	s_delay_alu instid0(VALU_DEP_3)
	v_dual_min_f32 v135, v29, v21 :: v_dual_min_f32 v134, v28, v20
	v_dual_add_f32 v119, v186, v45 :: v_dual_add_f32 v120, v177, v44
	ds_load_b128 v[44:47], v56 offset:1024
	ds_load_b128 v[58:61], v56 offset:1536
	v_dual_add_f32 v88, v144, v88 :: v_dual_add_f32 v87, v145, v87
	v_dual_add_f32 v101, v187, v101 :: v_dual_add_f32 v102, v178, v102
	s_waitcnt lgkmcnt(6)
	v_dual_max_f32 v2, v2, v2 :: v_dual_max_f32 v17, v17, v17
	v_max_f32_e32 v3, v3, v3
	v_max_f32_e32 v13, v13, v13
	v_add_f32_e32 v93, v134, v93
	v_min_f32_e32 v134, v9, v21
	v_max_f32_e32 v8, v8, v8
	s_waitcnt lgkmcnt(3)
	v_max_f32_e32 v36, v36, v36
	v_dual_max_f32 v12, v12, v12 :: v_dual_max_f32 v25, v25, v25
	v_dual_add_f32 v103, v134, v103 :: v_dual_min_f32 v134, v3, v21
	v_add_f32_e32 v92, v135, v92
	v_min_f32_e32 v135, v2, v20
	v_min_f32_e32 v136, v8, v20
	v_dual_max_f32 v24, v24, v24 :: v_dual_max_f32 v33, v33, v33
	s_delay_alu instid0(VALU_DEP_3) | instskip(NEXT) | instid1(VALU_DEP_3)
	v_dual_max_f32 v37, v37, v37 :: v_dual_add_f32 v106, v135, v106
	v_dual_min_f32 v135, v13, v21 :: v_dual_add_f32 v104, v136, v104
	s_waitcnt lgkmcnt(2)
	v_dual_min_f32 v136, v12, v20 :: v_dual_max_f32 v41, v41, v41
	s_delay_alu instid0(VALU_DEP_2) | instskip(SKIP_3) | instid1(VALU_DEP_2)
	v_dual_max_f32 v32, v32, v32 :: v_dual_add_f32 v107, v135, v107
	v_dual_min_f32 v135, v17, v21 :: v_dual_max_f32 v16, v16, v16
	v_dual_add_f32 v96, v181, v96 :: v_dual_add_f32 v87, v202, v87
	s_waitcnt lgkmcnt(1)
	v_dual_max_f32 v44, v44, v44 :: v_dual_add_f32 v109, v135, v109
	v_min_f32_e32 v135, v36, v20
	v_dual_add_f32 v105, v134, v105 :: v_dual_min_f32 v134, v16, v20
	v_add_f32_e32 v108, v136, v108
	s_delay_alu instid0(VALU_DEP_3) | instskip(SKIP_1) | instid1(VALU_DEP_4)
	v_dual_min_f32 v136, v25, v21 :: v_dual_add_f32 v135, v135, v114
	v_min_f32_e32 v114, v29, v33
	v_add_f32_e32 v110, v134, v110
	v_min_f32_e32 v134, v24, v20
	v_max_f32_e32 v40, v40, v40
	v_dual_add_f32 v100, v179, v100 :: v_dual_add_f32 v91, v200, v91
	v_add_f32_e32 v137, v114, v117
	s_delay_alu instid0(VALU_DEP_4)
	v_add_f32_e32 v112, v134, v112
	v_min_f32_e32 v134, v37, v21
	v_min_f32_e32 v21, v41, v21
	v_add_f32_e32 v99, v180, v99
	v_dual_add_f32 v98, v188, v98 :: v_dual_add_f32 v97, v189, v97
	v_max_f32_e32 v45, v45, v45
	s_delay_alu instid0(VALU_DEP_4) | instskip(SKIP_3) | instid1(VALU_DEP_3)
	v_add_f32_e32 v21, v21, v115
	v_dual_min_f32 v115, v3, v33 :: v_dual_min_f32 v114, v2, v32
	v_dual_add_f32 v90, v142, v90 :: v_dual_add_f32 v89, v143, v89
	v_dual_add_f32 v86, v146, v86 :: v_dual_add_f32 v85, v147, v85
	v_add_f32_e32 v101, v115, v101
	v_dual_min_f32 v115, v24, v32 :: v_dual_add_f32 v134, v134, v113
	v_min_f32_e32 v113, v28, v32
	v_dual_add_f32 v111, v136, v111 :: v_dual_add_f32 v102, v114, v102
	v_dual_min_f32 v114, v16, v32 :: v_dual_add_f32 v89, v201, v89
	v_add_f32_e32 v90, v192, v90
	s_delay_alu instid0(VALU_DEP_4) | instskip(SKIP_3) | instid1(VALU_DEP_3)
	v_add_f32_e32 v136, v113, v118
	v_dual_min_f32 v113, v9, v33 :: v_dual_min_f32 v20, v40, v20
	v_dual_add_f32 v82, v150, v82 :: v_dual_add_f32 v81, v151, v81
	v_dual_add_f32 v88, v193, v88 :: v_dual_add_f32 v85, v203, v85
	;; [unrolled: 1-line block ×3, first 2 shown]
	v_dual_min_f32 v113, v13, v33 :: v_dual_min_f32 v116, v8, v32
	s_delay_alu instid0(VALU_DEP_4) | instskip(SKIP_1) | instid1(VALU_DEP_3)
	v_dual_add_f32 v86, v194, v86 :: v_dual_add_f32 v81, v205, v81
	v_dual_add_f32 v78, v153, v78 :: v_dual_add_f32 v77, v155, v77
	v_add_f32_e32 v98, v113, v98
	s_delay_alu instid0(VALU_DEP_4) | instskip(SKIP_1) | instid1(VALU_DEP_4)
	v_dual_min_f32 v113, v17, v33 :: v_dual_add_f32 v138, v116, v120
	v_min_f32_e32 v116, v12, v32
	v_dual_add_f32 v84, v195, v84 :: v_dual_add_f32 v77, v210, v77
	s_delay_alu instid0(VALU_DEP_3) | instskip(NEXT) | instid1(VALU_DEP_3)
	v_add_f32_e32 v97, v113, v97
	v_dual_min_f32 v113, v37, v33 :: v_dual_add_f32 v100, v116, v100
	v_min_f32_e32 v116, v25, v33
	v_dual_min_f32 v33, v41, v33 :: v_dual_add_f32 v82, v196, v82
	v_dual_add_f32 v79, v198, v79 :: v_dual_add_f32 v76, v156, v76
	v_add_f32_e32 v75, v157, v75
	s_delay_alu instid0(VALU_DEP_3) | instskip(SKIP_2) | instid1(VALU_DEP_4)
	v_add_f32_e32 v33, v33, v91
	v_dual_add_f32 v99, v114, v99 :: v_dual_min_f32 v114, v36, v32
	v_dual_min_f32 v91, v9, v45 :: v_dual_min_f32 v32, v40, v32
	v_dual_add_f32 v78, v206, v78 :: v_dual_add_f32 v75, v211, v75
	s_waitcnt lgkmcnt(0)
	v_max_f32_e32 v59, v59, v59
	s_delay_alu instid0(VALU_DEP_3) | instskip(SKIP_3) | instid1(VALU_DEP_3)
	v_dual_add_f32 v87, v91, v87 :: v_dual_add_f32 v140, v113, v121
	v_min_f32_e32 v113, v28, v44
	v_dual_min_f32 v91, v13, v45 :: v_dual_add_f32 v94, v114, v94
	v_dual_min_f32 v114, v29, v45 :: v_dual_max_f32 v23, v23, v23
	v_dual_add_f32 v90, v113, v90 :: v_dual_min_f32 v113, v2, v44
	s_delay_alu instid0(VALU_DEP_3) | instskip(NEXT) | instid1(VALU_DEP_3)
	v_add_f32_e32 v83, v91, v83
	v_dual_add_f32 v96, v115, v96 :: v_dual_add_f32 v89, v114, v89
	v_min_f32_e32 v115, v8, v44
	v_min_f32_e32 v91, v17, v45
	v_dual_add_f32 v86, v113, v86 :: v_dual_min_f32 v113, v16, v44
	s_delay_alu instid0(VALU_DEP_3) | instskip(SKIP_1) | instid1(VALU_DEP_3)
	v_dual_min_f32 v17, v17, v59 :: v_dual_add_f32 v88, v115, v88
	v_min_f32_e32 v115, v12, v44
	v_dual_add_f32 v81, v91, v81 :: v_dual_add_f32 v82, v113, v82
	v_dual_min_f32 v113, v36, v44 :: v_dual_min_f32 v114, v3, v45
	s_delay_alu instid0(VALU_DEP_3) | instskip(SKIP_1) | instid1(VALU_DEP_3)
	v_dual_add_f32 v84, v115, v84 :: v_dual_min_f32 v115, v25, v45
	v_min_f32_e32 v91, v37, v45
	v_dual_add_f32 v79, v113, v79 :: v_dual_add_f32 v32, v32, v122
	s_delay_alu instid0(VALU_DEP_4) | instskip(NEXT) | instid1(VALU_DEP_4)
	v_dual_add_f32 v85, v114, v85 :: v_dual_min_f32 v114, v24, v44
	v_dual_add_f32 v78, v115, v78 :: v_dual_min_f32 v45, v41, v45
	v_dual_max_f32 v58, v58, v58 :: v_dual_min_f32 v37, v37, v59
	v_max_f32_e32 v31, v31, v31
	v_dual_add_f32 v76, v207, v76 :: v_dual_add_f32 v71, v213, v71
	s_delay_alu instid0(VALU_DEP_3) | instskip(SKIP_3) | instid1(VALU_DEP_4)
	v_dual_add_f32 v45, v45, v75 :: v_dual_min_f32 v12, v12, v58
	v_min_f32_e32 v36, v36, v58
	v_dual_min_f32 v44, v40, v44 :: v_dual_min_f32 v29, v29, v59
	v_max_f32_e32 v30, v30, v30
	v_add_f32_e32 v12, v12, v68
	s_delay_alu instid0(VALU_DEP_4) | instskip(SKIP_4) | instid1(VALU_DEP_3)
	v_add_f32_e32 v6, v36, v6
	v_dual_add_f32 v36, v37, v62 :: v_dual_max_f32 v11, v11, v11
	v_dual_min_f32 v37, v40, v58 :: v_dual_min_f32 v40, v41, v59
	v_max_f32_e32 v22, v22, v22
	v_dual_max_f32 v10, v10, v10 :: v_dual_max_f32 v5, v5, v5
	v_add_f32_e32 v7, v37, v7
	v_dual_min_f32 v37, v31, v23 :: v_dual_add_f32 v44, v44, v76
	v_dual_min_f32 v9, v9, v59 :: v_dual_min_f32 v28, v28, v58
	v_dual_min_f32 v8, v8, v58 :: v_dual_min_f32 v3, v3, v59
	v_min_f32_e32 v2, v2, v58
	v_dual_min_f32 v16, v16, v58 :: v_dual_min_f32 v25, v25, v59
	v_min_f32_e32 v24, v24, v58
	v_dual_add_f32 v40, v40, v133 :: v_dual_add_f32 v121, v37, v92
	v_dual_min_f32 v58, v11, v23 :: v_dual_min_f32 v37, v10, v22
	v_dual_max_f32 v4, v4, v4 :: v_dual_max_f32 v15, v15, v15
	s_delay_alu instid0(VALU_DEP_4) | instskip(NEXT) | instid1(VALU_DEP_3)
	v_dual_add_f32 v25, v25, v132 :: v_dual_add_f32 v24, v24, v63
	v_dual_min_f32 v41, v30, v22 :: v_dual_add_f32 v120, v37, v104
	s_delay_alu instid0(VALU_DEP_3) | instskip(SKIP_2) | instid1(VALU_DEP_2)
	v_min_f32_e32 v37, v4, v22
	v_dual_max_f32 v19, v19, v19 :: v_dual_max_f32 v18, v18, v18
	v_dual_max_f32 v27, v27, v27 :: v_dual_max_f32 v26, v26, v26
	v_dual_add_f32 v118, v37, v106 :: v_dual_min_f32 v37, v19, v23
	v_dual_add_f32 v122, v41, v93 :: v_dual_add_f32 v119, v58, v103
	v_dual_min_f32 v41, v5, v23 :: v_dual_max_f32 v14, v14, v14
	s_delay_alu instid0(VALU_DEP_3) | instskip(SKIP_2) | instid1(VALU_DEP_4)
	v_add_f32_e32 v113, v37, v109
	v_dual_max_f32 v37, v39, v39 :: v_dual_max_f32 v38, v38, v38
	v_min_f32_e32 v39, v27, v23
	v_dual_min_f32 v58, v15, v23 :: v_dual_add_f32 v117, v41, v105
	v_dual_max_f32 v34, v34, v34 :: v_dual_max_f32 v35, v35, v35
	s_delay_alu instid0(VALU_DEP_3)
	v_add_f32_e32 v111, v39, v111
	v_min_f32_e32 v39, v38, v22
	v_min_f32_e32 v41, v14, v22
	v_add_f32_e32 v95, v116, v95
	v_add_f32_e32 v115, v58, v107
	v_dual_add_f32 v80, v114, v80 :: v_dual_add_f32 v77, v91, v77
	s_delay_alu instid0(VALU_DEP_4) | instskip(SKIP_2) | instid1(VALU_DEP_3)
	v_dual_add_f32 v116, v41, v108 :: v_dual_min_f32 v41, v18, v22
	v_dual_min_f32 v58, v26, v22 :: v_dual_add_f32 v9, v9, v71
	v_dual_add_f32 v28, v28, v74 :: v_dual_min_f32 v13, v13, v59
	v_add_f32_e32 v114, v41, v110
	s_delay_alu instid0(VALU_DEP_3) | instskip(SKIP_2) | instid1(VALU_DEP_3)
	v_dual_min_f32 v41, v37, v23 :: v_dual_add_f32 v112, v58, v112
	v_dual_add_f32 v29, v29, v70 :: v_dual_add_f32 v8, v8, v72
	v_add_f32_e32 v3, v3, v67
	v_add_f32_e32 v109, v41, v134
	v_max_f32_e32 v41, v42, v42
	v_dual_max_f32 v43, v43, v43 :: v_dual_min_f32 v42, v30, v34
	v_dual_add_f32 v2, v2, v69 :: v_dual_add_f32 v13, v13, v66
	s_delay_alu instid0(VALU_DEP_2) | instskip(NEXT) | instid1(VALU_DEP_3)
	v_dual_min_f32 v22, v41, v22 :: v_dual_min_f32 v23, v43, v23
	v_add_f32_e32 v106, v42, v136
	v_dual_add_f32 v16, v16, v65 :: v_dual_add_f32 v17, v17, v64
	s_delay_alu instid0(VALU_DEP_3) | instskip(SKIP_4) | instid1(VALU_DEP_4)
	v_dual_add_f32 v108, v22, v20 :: v_dual_add_f32 v107, v23, v21
	v_min_f32_e32 v22, v4, v34
	v_dual_min_f32 v20, v10, v34 :: v_dual_min_f32 v21, v11, v35
	v_min_f32_e32 v23, v15, v35
	v_add_co_u32 v129, vcc_lo, v129, s10
	v_add_f32_e32 v102, v22, v102
	v_min_f32_e32 v22, v27, v35
	v_add_f32_e32 v110, v39, v135
	v_dual_min_f32 v39, v31, v35 :: v_dual_add_f32 v104, v20, v138
	v_dual_add_f32 v103, v21, v139 :: v_dual_add_f32 v98, v23, v98
	v_min_f32_e32 v21, v5, v35
	s_delay_alu instid0(VALU_DEP_3) | instskip(SKIP_3) | instid1(VALU_DEP_4)
	v_dual_add_f32 v105, v39, v137 :: v_dual_min_f32 v20, v14, v34
	v_add_f32_e32 v95, v22, v95
	v_max_f32_e32 v22, v46, v46
	v_add_co_ci_u32_e32 v130, vcc_lo, s11, v130, vcc_lo
	v_add_f32_e32 v100, v20, v100
	v_dual_min_f32 v20, v18, v34 :: v_dual_add_f32 v101, v21, v101
	v_min_f32_e32 v21, v19, v35
	v_add_co_u32 v52, vcc_lo, v52, 32
	s_delay_alu instid0(VALU_DEP_3) | instskip(NEXT) | instid1(VALU_DEP_3)
	v_dual_add_f32 v99, v20, v99 :: v_dual_min_f32 v20, v38, v34
	v_add_f32_e32 v97, v21, v97
	v_min_f32_e32 v21, v37, v35
	v_add_co_ci_u32_e32 v53, vcc_lo, 0, v53, vcc_lo
	s_delay_alu instid0(VALU_DEP_4) | instskip(SKIP_1) | instid1(VALU_DEP_3)
	v_add_f32_e32 v94, v20, v94
	s_add_i32 s12, s12, 8
	v_add_f32_e32 v93, v21, v140
	v_max_f32_e32 v21, v47, v47
	v_min_f32_e32 v23, v26, v34
	s_cmp_ge_i32 s12, s8
	ds_store_b32 v125, v131
	ds_store_2addr_stride64_b32 v126, v0, v1 offset1:4
	s_waitcnt lgkmcnt(0)
	v_min_f32_e32 v20, v31, v21
	v_add_f32_e32 v96, v23, v96
	v_min_f32_e32 v34, v41, v34
	s_barrier
	buffer_gl0_inv
	v_dual_add_f32 v89, v20, v89 :: v_dual_min_f32 v20, v10, v22
	v_add_f32_e32 v92, v34, v32
	s_delay_alu instid0(VALU_DEP_2) | instskip(SKIP_3) | instid1(VALU_DEP_4)
	v_dual_add_f32 v88, v20, v88 :: v_dual_min_f32 v23, v43, v35
	v_min_f32_e32 v32, v5, v21
	v_min_f32_e32 v20, v14, v22
	;; [unrolled: 1-line block ×3, first 2 shown]
	v_add_f32_e32 v91, v23, v33
	v_min_f32_e32 v23, v11, v21
	v_dual_add_f32 v85, v32, v85 :: v_dual_min_f32 v32, v18, v22
	v_add_f32_e32 v84, v20, v84
	v_min_f32_e32 v20, v27, v21
	s_delay_alu instid0(VALU_DEP_4) | instskip(SKIP_2) | instid1(VALU_DEP_4)
	v_add_f32_e32 v87, v23, v87
	v_min_f32_e32 v23, v4, v22
	v_dual_min_f32 v33, v15, v21 :: v_dual_add_f32 v82, v32, v82
	v_add_f32_e32 v78, v20, v78
	v_min_f32_e32 v20, v38, v22
	s_delay_alu instid0(VALU_DEP_4) | instskip(SKIP_3) | instid1(VALU_DEP_3)
	v_add_f32_e32 v86, v23, v86
	v_min_f32_e32 v23, v19, v21
	v_add_f32_e32 v83, v33, v83
	v_dual_min_f32 v33, v26, v22 :: v_dual_max_f32 v32, v61, v61
	v_dual_min_f32 v22, v41, v22 :: v_dual_add_f32 v81, v23, v81
	v_dual_min_f32 v23, v37, v21 :: v_dual_add_f32 v90, v35, v90
	s_delay_alu instid0(VALU_DEP_3) | instskip(SKIP_1) | instid1(VALU_DEP_3)
	v_min_f32_e32 v31, v31, v32
	v_min_f32_e32 v5, v5, v32
	v_dual_add_f32 v80, v33, v80 :: v_dual_add_f32 v77, v23, v77
	s_delay_alu instid0(VALU_DEP_3) | instskip(SKIP_1) | instid1(VALU_DEP_4)
	v_dual_max_f32 v23, v60, v60 :: v_dual_add_f32 v70, v31, v29
	v_min_f32_e32 v21, v43, v21
	v_add_f32_e32 v67, v5, v3
	s_delay_alu instid0(VALU_DEP_3) | instskip(NEXT) | instid1(VALU_DEP_3)
	v_dual_min_f32 v3, v15, v32 :: v_dual_min_f32 v4, v4, v23
	v_dual_min_f32 v10, v10, v23 :: v_dual_add_f32 v75, v21, v45
	v_add_f32_e32 v79, v20, v79
	s_delay_alu instid0(VALU_DEP_3)
	v_dual_min_f32 v20, v30, v23 :: v_dual_add_f32 v69, v4, v2
	v_min_f32_e32 v2, v14, v23
	v_min_f32_e32 v4, v19, v32
	;; [unrolled: 1-line block ×3, first 2 shown]
	v_add_f32_e32 v72, v10, v8
	v_min_f32_e32 v8, v41, v23
	v_add_f32_e32 v68, v2, v12
	v_add_f32_e32 v64, v4, v17
	v_dual_add_f32 v71, v11, v9 :: v_dual_min_f32 v2, v26, v23
	v_add_f32_e32 v66, v3, v13
	v_dual_min_f32 v3, v27, v32 :: v_dual_min_f32 v4, v38, v23
	v_add_f32_e32 v76, v22, v44
	v_add_f32_e32 v74, v20, v28
	s_delay_alu instid0(VALU_DEP_3) | instskip(SKIP_2) | instid1(VALU_DEP_2)
	v_dual_add_f32 v63, v2, v24 :: v_dual_add_f32 v60, v3, v25
	v_min_f32_e32 v3, v37, v32
	v_min_f32_e32 v5, v18, v23
	v_dual_add_f32 v59, v8, v7 :: v_dual_add_f32 v62, v3, v36
	s_delay_alu instid0(VALU_DEP_2) | instskip(SKIP_1) | instid1(VALU_DEP_1)
	v_add_f32_e32 v65, v5, v16
	v_min_f32_e32 v5, v43, v32
	v_dual_add_f32 v61, v4, v6 :: v_dual_add_f32 v58, v5, v40
	s_cbranch_scc1 .LBB98_33
.LBB98_23:                              ; =>This Inner Loop Header: Depth=1
	v_mov_b32_e32 v131, 0
	s_and_b32 vcc_lo, exec_lo, s3
	s_cbranch_vccnz .LBB98_25
; %bb.24:                               ;   in Loop: Header=BB98_23 Depth=1
	flat_load_b32 v0, v[52:53]
	s_waitcnt vmcnt(0) lgkmcnt(0)
	v_mul_f32_e32 v131, s9, v0
.LBB98_25:                              ;   in Loop: Header=BB98_23 Depth=1
	s_and_b32 vcc_lo, exec_lo, s3
	s_cbranch_vccnz .LBB98_27
; %bb.26:                               ;   in Loop: Header=BB98_23 Depth=1
	v_add_co_u32 v0, vcc_lo, v129, v50
	v_add_co_ci_u32_e32 v1, vcc_lo, v130, v51, vcc_lo
	s_clause 0x1
	flat_load_b32 v2, v[0:1]
	flat_load_b32 v0, v[0:1] offset:256
	s_waitcnt vmcnt(0) lgkmcnt(0)
	v_dual_mul_f32 v132, s9, v2 :: v_dual_mul_f32 v133, s9, v0
	s_branch .LBB98_28
.LBB98_27:                              ;   in Loop: Header=BB98_23 Depth=1
	v_dual_mov_b32 v132, 0 :: v_dual_mov_b32 v133, 0
.LBB98_28:                              ;   in Loop: Header=BB98_23 Depth=1
	ds_load_b128 v[40:43], v127
	ds_load_b128 v[36:39], v127 offset:128
	ds_load_b128 v[32:35], v127 offset:256
	;; [unrolled: 1-line block ×7, first 2 shown]
	ds_load_b128 v[44:47], v128
	ds_load_b128 v[8:11], v128 offset:512
	ds_load_b128 v[4:7], v128 offset:1024
	;; [unrolled: 1-line block ×3, first 2 shown]
	s_and_b32 vcc_lo, exec_lo, s3
	ds_store_b32 v123, v131
	ds_store_2addr_stride64_b32 v73, v132, v133 offset1:4
	s_waitcnt lgkmcnt(0)
	s_barrier
	buffer_gl0_inv
	s_cbranch_vccnz .LBB98_30
; %bb.29:                               ;   in Loop: Header=BB98_23 Depth=1
	flat_load_b32 v131, v[52:53] offset:16
	s_waitcnt vmcnt(0) lgkmcnt(0)
	v_mul_f32_e32 v131, s9, v131
	s_branch .LBB98_31
.LBB98_30:                              ;   in Loop: Header=BB98_23 Depth=1
	v_mov_b32_e32 v131, 0
.LBB98_31:                              ;   in Loop: Header=BB98_23 Depth=1
	v_dual_max_f32 v44, v44, v44 :: v_dual_max_f32 v45, v45, v45
	v_dual_max_f32 v158, v40, v40 :: v_dual_max_f32 v159, v41, v41
	v_dual_max_f32 v166, v24, v24 :: v_dual_max_f32 v167, v25, v25
	v_dual_max_f32 v170, v16, v16 :: v_dual_max_f32 v171, v17, v17
	v_dual_max_f32 v156, v4, v4 :: v_dual_max_f32 v157, v5, v5
	v_dual_max_f32 v160, v36, v36 :: v_dual_max_f32 v161, v37, v37
	v_dual_min_f32 v36, v158, v44 :: v_dual_max_f32 v163, v33, v33
	v_dual_max_f32 v162, v32, v32 :: v_dual_max_f32 v165, v29, v29
	v_max_f32_e32 v164, v28, v28
	v_dual_max_f32 v168, v20, v20 :: v_dual_max_f32 v169, v21, v21
	v_dual_min_f32 v16, v166, v44 :: v_dual_max_f32 v173, v13, v13
	v_dual_max_f32 v141, v8, v8 :: v_dual_max_f32 v142, v9, v9
	v_max_f32_e32 v172, v12, v12
	v_dual_min_f32 v154, v170, v156 :: v_dual_max_f32 v1, v1, v1
	v_dual_max_f32 v0, v0, v0 :: v_dual_min_f32 v155, v171, v157
	v_dual_max_f32 v175, v46, v46 :: v_dual_max_f32 v176, v47, v47
	v_dual_max_f32 v214, v30, v30 :: v_dual_max_f32 v215, v31, v31
	v_dual_min_f32 v40, v159, v45 :: v_dual_min_f32 v41, v160, v44
	v_dual_min_f32 v28, v161, v45 :: v_dual_min_f32 v29, v162, v44
	v_min_f32_e32 v37, v165, v45
	v_dual_min_f32 v32, v163, v45 :: v_dual_min_f32 v33, v164, v44
	v_dual_min_f32 v20, v167, v45 :: v_dual_min_f32 v21, v168, v44
	;; [unrolled: 1-line block ×4, first 2 shown]
	v_min_f32_e32 v13, v158, v141
	v_dual_min_f32 v8, v171, v45 :: v_dual_min_f32 v9, v172, v44
	v_dual_min_f32 v44, v160, v141 :: v_dual_min_f32 v45, v161, v142
	;; [unrolled: 1-line block ×6, first 2 shown]
	v_min_f32_e32 v140, v170, v141
	v_dual_min_f32 v4, v171, v142 :: v_dual_min_f32 v5, v172, v141
	v_dual_min_f32 v141, v173, v142 :: v_dual_min_f32 v142, v158, v156
	;; [unrolled: 1-line block ×14, first 2 shown]
	v_dual_min_f32 v171, v171, v1 :: v_dual_max_f32 v208, v42, v42
	v_max_f32_e32 v209, v43, v43
	v_dual_max_f32 v213, v38, v38 :: v_dual_min_f32 v46, v173, v1
	v_dual_min_f32 v43, v172, v0 :: v_dual_max_f32 v0, v39, v39
	v_max_f32_e32 v1, v34, v34
	v_dual_min_f32 v39, v215, v176 :: v_dual_max_f32 v216, v26, v26
	v_dual_max_f32 v219, v23, v23 :: v_dual_max_f32 v220, v18, v18
	v_dual_max_f32 v19, v19, v19 :: v_dual_max_f32 v10, v10, v10
	;; [unrolled: 1-line block ×3, first 2 shown]
	v_dual_min_f32 v156, v172, v156 :: v_dual_min_f32 v157, v173, v157
	v_dual_max_f32 v217, v27, v27 :: v_dual_max_f32 v218, v22, v22
	v_max_f32_e32 v172, v35, v35
	v_dual_min_f32 v18, v216, v175 :: v_dual_max_f32 v221, v14, v14
	v_dual_max_f32 v222, v15, v15 :: v_dual_min_f32 v177, v213, v10
	v_max_f32_e32 v11, v11, v11
	v_dual_min_f32 v206, v219, v7 :: v_dual_max_f32 v223, v2, v2
	s_delay_alu instid0(VALU_DEP_4)
	v_dual_max_f32 v224, v3, v3 :: v_dual_min_f32 v207, v221, v6
	v_dual_min_f32 v38, v208, v175 :: v_dual_min_f32 v47, v209, v176
	v_min_f32_e32 v42, v213, v175
	v_dual_min_f32 v34, v0, v176 :: v_dual_min_f32 v31, v214, v175
	v_min_f32_e32 v173, v217, v176
	v_dual_min_f32 v30, v1, v175 :: v_dual_min_f32 v35, v172, v176
	v_dual_min_f32 v22, v218, v175 :: v_dual_min_f32 v183, v19, v176
	;; [unrolled: 1-line block ×5, first 2 shown]
	v_min_f32_e32 v180, v216, v10
	v_dual_min_f32 v186, v0, v11 :: v_dual_min_f32 v179, v214, v10
	v_dual_min_f32 v178, v1, v10 :: v_dual_min_f32 v187, v172, v11
	v_dual_min_f32 v188, v215, v11 :: v_dual_min_f32 v181, v218, v10
	v_dual_min_f32 v189, v217, v11 :: v_dual_min_f32 v182, v220, v10
	v_dual_min_f32 v190, v219, v11 :: v_dual_min_f32 v191, v221, v10
	v_dual_min_f32 v199, v19, v11 :: v_dual_min_f32 v192, v208, v6
	v_dual_min_f32 v200, v222, v11 :: v_dual_min_f32 v193, v213, v6
	v_dual_min_f32 v201, v209, v7 :: v_dual_min_f32 v196, v216, v6
	v_dual_min_f32 v202, v0, v7 :: v_dual_min_f32 v195, v214, v6
	v_dual_min_f32 v194, v1, v6 :: v_dual_min_f32 v203, v172, v7
	v_dual_min_f32 v204, v215, v7 :: v_dual_min_f32 v197, v218, v6
	v_dual_min_f32 v205, v217, v7 :: v_dual_min_f32 v198, v220, v6
	v_min_f32_e32 v210, v19, v7
	v_dual_min_f32 v211, v222, v7 :: v_dual_min_f32 v212, v209, v224
	v_dual_min_f32 v208, v208, v223 :: v_dual_min_f32 v27, v215, v224
	;; [unrolled: 1-line block ×4, first 2 shown]
	v_min_f32_e32 v15, v19, v224
	v_dual_min_f32 v11, v214, v223 :: v_dual_min_f32 v172, v217, v224
	v_dual_min_f32 v2, v216, v223 :: v_dual_min_f32 v19, v222, v224
	;; [unrolled: 1-line block ×3, first 2 shown]
	v_min_f32_e32 v6, v220, v223
	v_min_f32_e32 v7, v221, v223
	s_and_b32 vcc_lo, exec_lo, s3
	s_cbranch_vccz .LBB98_21
; %bb.32:                               ;   in Loop: Header=BB98_23 Depth=1
	v_dual_mov_b32 v0, 0 :: v_dual_mov_b32 v1, 0
	s_branch .LBB98_22
.LBB98_33:
	s_load_b32 s8, s[0:1], 0x50
	v_add_nc_u32_e32 v48, s20, v55
	ds_load_b128 v[0:3], v57 offset:5120
	ds_load_b128 v[40:43], v56 offset:2048
	v_add_nc_u32_e32 v46, s14, v54
	v_cmp_neq_f32_e64 s9, s18, 0
	v_mov_b32_e32 v52, 0
	v_mov_b32_e32 v50, 0
	s_delay_alu instid0(VALU_DEP_4) | instskip(NEXT) | instid1(VALU_DEP_4)
	v_ashrrev_i32_e32 v47, 31, v46
	s_and_b32 vcc_lo, exec_lo, s9
	s_delay_alu instid0(VALU_DEP_1) | instskip(SKIP_2) | instid1(VALU_DEP_1)
	v_lshlrev_b64 v[44:45], 2, v[46:47]
	s_waitcnt lgkmcnt(0)
	v_mad_i64_i32 v[4:5], null, v48, s8, 0
	v_lshlrev_b64 v[4:5], 2, v[4:5]
	s_delay_alu instid0(VALU_DEP_1) | instskip(NEXT) | instid1(VALU_DEP_1)
	v_add_co_u32 v123, s3, s4, v4
	v_add_co_ci_u32_e64 v124, s3, s5, v5, s3
	s_cbranch_vccz .LBB98_35
; %bb.34:
	s_delay_alu instid0(VALU_DEP_2) | instskip(NEXT) | instid1(VALU_DEP_2)
	v_add_co_u32 v4, vcc_lo, v123, v44
	v_add_co_ci_u32_e32 v5, vcc_lo, v124, v45, vcc_lo
	flat_load_b32 v4, v[4:5]
	s_waitcnt vmcnt(0) lgkmcnt(0)
	v_mul_f32_e32 v50, s18, v4
.LBB98_35:
	s_clause 0x1
	s_load_b64 s[10:11], s[0:1], 0x70
	s_load_b32 s1, s[0:1], 0x68
	v_dual_max_f32 v125, v40, v40 :: v_dual_max_f32 v126, v41, v41
	v_max_f32_e32 v47, v0, v0
	v_max_f32_e32 v49, v1, v1
	ds_load_b128 v[36:39], v57 offset:5248
	ds_load_b128 v[32:35], v57 offset:5376
	;; [unrolled: 1-line block ×9, first 2 shown]
	v_min_f32_e32 v0, v47, v125
	s_delay_alu instid0(VALU_DEP_1)
	v_add_f32_e32 v51, v0, v122
	v_max_f32_e32 v122, v42, v42
	v_max_f32_e32 v42, v2, v2
	v_min_f32_e32 v1, v49, v126
	s_waitcnt lgkmcnt(0)
	s_mul_i32 s0, s15, s11
	v_mad_i64_i32 v[40:41], null, v48, s1, 0
	s_delay_alu instid0(VALU_DEP_2)
	v_add_f32_e32 v53, v1, v121
	v_max_f32_e32 v127, v43, v43
	v_max_f32_e32 v43, v3, v3
	s_mul_hi_u32 s3, s15, s10
	v_min_f32_e32 v55, v42, v122
	s_mul_i32 s11, s19, s10
	s_add_i32 s0, s3, s0
	v_min_f32_e32 v54, v43, v127
	ds_load_b128 v[0:3], v56 offset:3584
	s_mul_i32 s10, s15, s10
	s_add_i32 s11, s0, s11
	v_lshlrev_b64 v[40:41], 2, v[40:41]
	v_dual_add_f32 v56, v54, v53 :: v_dual_add_f32 v51, v55, v51
	s_lshl_b64 s[10:11], s[10:11], 2
	v_add_nc_u32_e32 v53, 8, v46
	s_add_u32 s3, s6, s10
	s_addc_u32 s6, s7, s11
	v_add_f32_e32 v51, v51, v56
	v_add_co_u32 v121, vcc_lo, s3, v40
	v_ashrrev_i32_e32 v54, 31, v53
	v_cndmask_b32_e64 v55, 0, 1, s9
	v_add_co_ci_u32_e32 v128, vcc_lo, s6, v41, vcc_lo
	v_add_f32_e32 v56, v51, v50
	v_add_co_u32 v50, vcc_lo, v121, v44
	v_lshlrev_b64 v[40:41], 2, v[53:54]
	v_cmp_ne_u32_e64 s0, 1, v55
	v_add_co_ci_u32_e32 v51, vcc_lo, v128, v45, vcc_lo
	s_and_not1_b32 vcc_lo, exec_lo, s9
	global_store_b32 v[50:51], v56, off
	s_cbranch_vccnz .LBB98_37
; %bb.36:
	v_add_co_u32 v50, vcc_lo, v123, v40
	v_add_co_ci_u32_e32 v51, vcc_lo, v124, v41, vcc_lo
	flat_load_b32 v50, v[50:51]
	s_waitcnt vmcnt(0) lgkmcnt(0)
	v_mul_f32_e32 v52, s18, v50
.LBB98_37:
	v_dual_max_f32 v51, v37, v37 :: v_dual_max_f32 v50, v36, v36
	v_dual_max_f32 v38, v38, v38 :: v_dual_max_f32 v39, v39, v39
	v_mov_b32_e32 v56, 0
	s_delay_alu instid0(VALU_DEP_3) | instskip(NEXT) | instid1(VALU_DEP_3)
	v_dual_min_f32 v36, v51, v126 :: v_dual_min_f32 v37, v50, v125
	v_dual_min_f32 v53, v38, v122 :: v_dual_min_f32 v54, v39, v127
	s_delay_alu instid0(VALU_DEP_2) | instskip(NEXT) | instid1(VALU_DEP_3)
	v_dual_add_f32 v55, v36, v119 :: v_dual_add_nc_u32 v36, 16, v46
	v_add_f32_e32 v37, v37, v120
	v_add_co_u32 v119, vcc_lo, v121, v40
	s_delay_alu instid0(VALU_DEP_3) | instskip(SKIP_1) | instid1(VALU_DEP_4)
	v_add_f32_e32 v54, v54, v55
	v_add_co_ci_u32_e32 v120, vcc_lo, v128, v41, vcc_lo
	v_add_f32_e32 v53, v53, v37
	v_ashrrev_i32_e32 v37, 31, v36
	s_and_b32 vcc_lo, exec_lo, s0
	s_delay_alu instid0(VALU_DEP_2) | instskip(NEXT) | instid1(VALU_DEP_2)
	v_dual_add_f32 v53, v53, v54 :: v_dual_mov_b32 v54, 0
	v_lshlrev_b64 v[36:37], 2, v[36:37]
	s_delay_alu instid0(VALU_DEP_2)
	v_add_f32_e32 v52, v53, v52
	global_store_b32 v[119:120], v52, off
	s_cbranch_vccnz .LBB98_39
; %bb.38:
	v_add_co_u32 v52, vcc_lo, v123, v36
	v_add_co_ci_u32_e32 v53, vcc_lo, v124, v37, vcc_lo
	flat_load_b32 v52, v[52:53]
	s_waitcnt vmcnt(0) lgkmcnt(0)
	v_mul_f32_e32 v54, s18, v52
.LBB98_39:
	v_dual_max_f32 v53, v33, v33 :: v_dual_max_f32 v52, v32, v32
	v_dual_max_f32 v34, v34, v34 :: v_dual_max_f32 v35, v35, v35
	s_delay_alu instid0(VALU_DEP_2) | instskip(NEXT) | instid1(VALU_DEP_2)
	v_dual_min_f32 v32, v53, v126 :: v_dual_min_f32 v33, v52, v125
	v_min_f32_e32 v55, v34, v122
	s_delay_alu instid0(VALU_DEP_3) | instskip(NEXT) | instid1(VALU_DEP_3)
	v_min_f32_e32 v57, v35, v127
	v_add_f32_e32 v73, v32, v117
	s_delay_alu instid0(VALU_DEP_4) | instskip(SKIP_2) | instid1(VALU_DEP_4)
	v_add_f32_e32 v33, v33, v118
	v_add_nc_u32_e32 v32, 24, v46
	v_add_co_u32 v117, vcc_lo, v121, v36
	v_add_f32_e32 v57, v57, v73
	s_delay_alu instid0(VALU_DEP_4) | instskip(NEXT) | instid1(VALU_DEP_4)
	v_add_f32_e32 v55, v55, v33
	v_ashrrev_i32_e32 v33, 31, v32
	v_add_co_ci_u32_e32 v118, vcc_lo, v128, v37, vcc_lo
	s_and_b32 vcc_lo, exec_lo, s0
	s_delay_alu instid0(VALU_DEP_3) | instskip(NEXT) | instid1(VALU_DEP_3)
	v_add_f32_e32 v55, v55, v57
	v_lshlrev_b64 v[32:33], 2, v[32:33]
	s_delay_alu instid0(VALU_DEP_2)
	v_add_f32_e32 v54, v55, v54
	global_store_b32 v[117:118], v54, off
	s_cbranch_vccnz .LBB98_41
; %bb.40:
	v_add_co_u32 v54, vcc_lo, v123, v32
	v_add_co_ci_u32_e32 v55, vcc_lo, v124, v33, vcc_lo
	flat_load_b32 v54, v[54:55]
	s_waitcnt vmcnt(0) lgkmcnt(0)
	v_mul_f32_e32 v56, s18, v54
.LBB98_41:
	v_dual_max_f32 v55, v29, v29 :: v_dual_max_f32 v54, v28, v28
	v_dual_max_f32 v30, v30, v30 :: v_dual_max_f32 v31, v31, v31
	s_delay_alu instid0(VALU_DEP_2) | instskip(NEXT) | instid1(VALU_DEP_2)
	v_dual_min_f32 v28, v55, v126 :: v_dual_min_f32 v29, v54, v125
	v_min_f32_e32 v57, v30, v122
	s_delay_alu instid0(VALU_DEP_3) | instskip(NEXT) | instid1(VALU_DEP_3)
	v_min_f32_e32 v73, v31, v127
	v_add_f32_e32 v115, v28, v115
	s_delay_alu instid0(VALU_DEP_4) | instskip(SKIP_1) | instid1(VALU_DEP_3)
	v_dual_add_f32 v29, v29, v116 :: v_dual_add_nc_u32 v28, 32, v46
	v_add_co_u32 v116, vcc_lo, v121, v32
	v_add_f32_e32 v73, v73, v115
	s_delay_alu instid0(VALU_DEP_3) | instskip(NEXT) | instid1(VALU_DEP_4)
	v_add_f32_e32 v57, v57, v29
	v_ashrrev_i32_e32 v29, 31, v28
	v_add_co_ci_u32_e32 v117, vcc_lo, v128, v33, vcc_lo
	v_mov_b32_e32 v115, 0
	s_delay_alu instid0(VALU_DEP_4) | instskip(NEXT) | instid1(VALU_DEP_4)
	v_add_f32_e32 v57, v57, v73
	v_lshlrev_b64 v[28:29], 2, v[28:29]
	v_mov_b32_e32 v73, 0
	s_and_b32 vcc_lo, exec_lo, s0
	s_delay_alu instid0(VALU_DEP_3)
	v_add_f32_e32 v56, v57, v56
	global_store_b32 v[116:117], v56, off
	s_cbranch_vccnz .LBB98_43
; %bb.42:
	v_add_co_u32 v56, vcc_lo, v123, v28
	v_add_co_ci_u32_e32 v57, vcc_lo, v124, v29, vcc_lo
	flat_load_b32 v56, v[56:57]
	s_waitcnt vmcnt(0) lgkmcnt(0)
	v_mul_f32_e32 v73, s18, v56
.LBB98_43:
	v_dual_max_f32 v57, v25, v25 :: v_dual_max_f32 v56, v24, v24
	v_dual_max_f32 v26, v26, v26 :: v_dual_max_f32 v27, v27, v27
	s_delay_alu instid0(VALU_DEP_2) | instskip(NEXT) | instid1(VALU_DEP_2)
	v_dual_min_f32 v24, v57, v126 :: v_dual_min_f32 v25, v56, v125
	v_dual_min_f32 v116, v26, v122 :: v_dual_min_f32 v117, v27, v127
	s_delay_alu instid0(VALU_DEP_2) | instskip(NEXT) | instid1(VALU_DEP_1)
	v_dual_add_f32 v113, v24, v113 :: v_dual_add_nc_u32 v24, 40, v46
	v_add_f32_e32 v113, v117, v113
	s_delay_alu instid0(VALU_DEP_4) | instskip(NEXT) | instid1(VALU_DEP_1)
	v_add_f32_e32 v25, v25, v114
	v_add_f32_e32 v114, v116, v25
	s_delay_alu instid0(VALU_DEP_4) | instskip(NEXT) | instid1(VALU_DEP_2)
	v_ashrrev_i32_e32 v25, 31, v24
	v_add_f32_e32 v116, v114, v113
	v_add_co_u32 v113, vcc_lo, v121, v28
	s_delay_alu instid0(VALU_DEP_3) | instskip(SKIP_1) | instid1(VALU_DEP_4)
	v_lshlrev_b64 v[24:25], 2, v[24:25]
	v_add_co_ci_u32_e32 v114, vcc_lo, v128, v29, vcc_lo
	v_add_f32_e32 v73, v116, v73
	s_and_b32 vcc_lo, exec_lo, s0
	global_store_b32 v[113:114], v73, off
	s_cbranch_vccnz .LBB98_45
; %bb.44:
	v_add_co_u32 v113, vcc_lo, v123, v24
	v_add_co_ci_u32_e32 v114, vcc_lo, v124, v25, vcc_lo
	flat_load_b32 v73, v[113:114]
	s_waitcnt vmcnt(0) lgkmcnt(0)
	v_mul_f32_e32 v115, s18, v73
.LBB98_45:
	v_dual_max_f32 v113, v21, v21 :: v_dual_max_f32 v22, v22, v22
	v_max_f32_e32 v73, v20, v20
	s_delay_alu instid0(VALU_DEP_2) | instskip(NEXT) | instid1(VALU_DEP_2)
	v_dual_max_f32 v23, v23, v23 :: v_dual_min_f32 v20, v113, v126
	v_dual_min_f32 v114, v22, v122 :: v_dual_min_f32 v21, v73, v125
	s_delay_alu instid0(VALU_DEP_2) | instskip(NEXT) | instid1(VALU_DEP_3)
	v_min_f32_e32 v116, v23, v127
	v_dual_add_f32 v111, v20, v111 :: v_dual_add_nc_u32 v20, 48, v46
	s_delay_alu instid0(VALU_DEP_1) | instskip(NEXT) | instid1(VALU_DEP_4)
	v_add_f32_e32 v111, v116, v111
	v_add_f32_e32 v21, v21, v112
	s_delay_alu instid0(VALU_DEP_1) | instskip(NEXT) | instid1(VALU_DEP_4)
	v_add_f32_e32 v112, v114, v21
	v_ashrrev_i32_e32 v21, 31, v20
	v_mov_b32_e32 v114, 0
	s_delay_alu instid0(VALU_DEP_3) | instskip(SKIP_1) | instid1(VALU_DEP_4)
	v_add_f32_e32 v116, v112, v111
	v_add_co_u32 v111, vcc_lo, v121, v24
	v_lshlrev_b64 v[20:21], 2, v[20:21]
	v_add_co_ci_u32_e32 v112, vcc_lo, v128, v25, vcc_lo
	s_delay_alu instid0(VALU_DEP_4)
	v_dual_add_f32 v116, v116, v115 :: v_dual_mov_b32 v115, 0
	s_and_b32 vcc_lo, exec_lo, s0
	global_store_b32 v[111:112], v116, off
	s_cbranch_vccnz .LBB98_47
; %bb.46:
	v_add_co_u32 v111, vcc_lo, v123, v20
	v_add_co_ci_u32_e32 v112, vcc_lo, v124, v21, vcc_lo
	flat_load_b32 v111, v[111:112]
	s_waitcnt vmcnt(0) lgkmcnt(0)
	v_mul_f32_e32 v115, s18, v111
.LBB98_47:
	v_dual_max_f32 v112, v17, v17 :: v_dual_max_f32 v111, v16, v16
	v_dual_max_f32 v18, v18, v18 :: v_dual_max_f32 v19, v19, v19
	s_delay_alu instid0(VALU_DEP_2) | instskip(NEXT) | instid1(VALU_DEP_2)
	v_dual_min_f32 v16, v112, v126 :: v_dual_min_f32 v17, v111, v125
	v_dual_min_f32 v116, v18, v122 :: v_dual_min_f32 v117, v19, v127
	s_delay_alu instid0(VALU_DEP_2) | instskip(NEXT) | instid1(VALU_DEP_3)
	v_dual_add_f32 v109, v16, v109 :: v_dual_add_nc_u32 v16, 56, v46
	v_add_f32_e32 v17, v17, v110
	s_delay_alu instid0(VALU_DEP_2) | instskip(NEXT) | instid1(VALU_DEP_2)
	v_add_f32_e32 v46, v117, v109
	v_add_f32_e32 v109, v116, v17
	s_delay_alu instid0(VALU_DEP_4) | instskip(NEXT) | instid1(VALU_DEP_2)
	v_ashrrev_i32_e32 v17, 31, v16
	v_add_f32_e32 v46, v109, v46
	v_add_co_u32 v109, vcc_lo, v121, v20
	s_delay_alu instid0(VALU_DEP_3) | instskip(SKIP_1) | instid1(VALU_DEP_4)
	v_lshlrev_b64 v[16:17], 2, v[16:17]
	v_add_co_ci_u32_e32 v110, vcc_lo, v128, v21, vcc_lo
	v_add_f32_e32 v46, v46, v115
	s_and_b32 vcc_lo, exec_lo, s0
	global_store_b32 v[109:110], v46, off
	s_cbranch_vccnz .LBB98_49
; %bb.48:
	v_add_co_u32 v109, vcc_lo, v123, v16
	v_add_co_ci_u32_e32 v110, vcc_lo, v124, v17, vcc_lo
	flat_load_b32 v46, v[109:110]
	s_waitcnt vmcnt(0) lgkmcnt(0)
	v_mul_f32_e32 v114, s18, v46
.LBB98_49:
	v_dual_max_f32 v12, v12, v12 :: v_dual_max_f32 v13, v13, v13
	v_dual_max_f32 v14, v14, v14 :: v_dual_add_nc_u32 v115, 32, v48
	s_delay_alu instid0(VALU_DEP_2) | instskip(NEXT) | instid1(VALU_DEP_3)
	v_dual_max_f32 v15, v15, v15 :: v_dual_min_f32 v46, v12, v125
	v_min_f32_e32 v116, v13, v126
	s_delay_alu instid0(VALU_DEP_3) | instskip(NEXT) | instid1(VALU_DEP_4)
	v_min_f32_e32 v117, v14, v122
	v_mad_i64_i32 v[109:110], null, v115, s8, 0
	s_delay_alu instid0(VALU_DEP_4) | instskip(NEXT) | instid1(VALU_DEP_4)
	v_min_f32_e32 v118, v15, v127
	v_add_f32_e32 v116, v116, v107
	v_add_f32_e32 v46, v46, v108
	s_delay_alu instid0(VALU_DEP_4) | instskip(NEXT) | instid1(VALU_DEP_3)
	v_lshlrev_b64 v[107:108], 2, v[109:110]
	v_add_f32_e32 v116, v118, v116
	s_delay_alu instid0(VALU_DEP_3) | instskip(SKIP_2) | instid1(VALU_DEP_3)
	v_add_f32_e32 v46, v117, v46
	v_add_co_u32 v109, vcc_lo, v121, v16
	v_add_co_ci_u32_e32 v110, vcc_lo, v128, v17, vcc_lo
	v_add_f32_e32 v116, v46, v116
	v_add_co_u32 v46, vcc_lo, s4, v107
	v_add_co_ci_u32_e32 v107, vcc_lo, s5, v108, vcc_lo
	s_delay_alu instid0(VALU_DEP_3)
	v_add_f32_e32 v108, v116, v114
	v_mov_b32_e32 v114, 0
	v_mov_b32_e32 v116, 0
	s_and_b32 vcc_lo, exec_lo, s0
	global_store_b32 v[109:110], v108, off
	s_cbranch_vccnz .LBB98_51
; %bb.50:
	v_add_co_u32 v108, vcc_lo, v46, v44
	v_add_co_ci_u32_e32 v109, vcc_lo, v107, v45, vcc_lo
	flat_load_b32 v108, v[108:109]
	s_waitcnt vmcnt(0) lgkmcnt(0)
	v_mul_f32_e32 v116, s18, v108
.LBB98_51:
	v_dual_max_f32 v108, v8, v8 :: v_dual_max_f32 v109, v9, v9
	v_max_f32_e32 v110, v10, v10
	v_mad_i64_i32 v[9:10], null, v115, s1, 0
	s_delay_alu instid0(VALU_DEP_3) | instskip(NEXT) | instid1(VALU_DEP_4)
	v_dual_max_f32 v8, v11, v11 :: v_dual_min_f32 v117, v49, v109
	v_min_f32_e32 v11, v47, v108
	s_delay_alu instid0(VALU_DEP_2) | instskip(NEXT) | instid1(VALU_DEP_3)
	v_dual_min_f32 v115, v42, v110 :: v_dual_min_f32 v118, v43, v8
	v_add_f32_e32 v105, v117, v105
	s_delay_alu instid0(VALU_DEP_3) | instskip(SKIP_1) | instid1(VALU_DEP_3)
	v_add_f32_e32 v11, v11, v106
	v_lshlrev_b64 v[9:10], 2, v[9:10]
	v_add_f32_e32 v105, v118, v105
	s_delay_alu instid0(VALU_DEP_3) | instskip(NEXT) | instid1(VALU_DEP_3)
	v_add_f32_e32 v11, v115, v11
	v_add_co_u32 v9, vcc_lo, s3, v9
	s_delay_alu instid0(VALU_DEP_4) | instskip(NEXT) | instid1(VALU_DEP_3)
	v_add_co_ci_u32_e32 v10, vcc_lo, s6, v10, vcc_lo
	v_add_f32_e32 v11, v11, v105
	s_delay_alu instid0(VALU_DEP_3) | instskip(NEXT) | instid1(VALU_DEP_3)
	v_add_co_u32 v105, vcc_lo, v9, v44
	v_add_co_ci_u32_e32 v106, vcc_lo, v10, v45, vcc_lo
	s_delay_alu instid0(VALU_DEP_3)
	v_add_f32_e32 v11, v11, v116
	s_and_b32 vcc_lo, exec_lo, s0
	global_store_b32 v[105:106], v11, off
	s_cbranch_vccnz .LBB98_53
; %bb.52:
	v_add_co_u32 v105, vcc_lo, v46, v40
	v_add_co_ci_u32_e32 v106, vcc_lo, v107, v41, vcc_lo
	flat_load_b32 v11, v[105:106]
	s_waitcnt vmcnt(0) lgkmcnt(0)
	v_mul_f32_e32 v114, s18, v11
.LBB98_53:
	v_dual_min_f32 v11, v51, v109 :: v_dual_min_f32 v106, v38, v110
	v_min_f32_e32 v105, v50, v108
	v_min_f32_e32 v115, v39, v8
	s_delay_alu instid0(VALU_DEP_3) | instskip(NEXT) | instid1(VALU_DEP_3)
	v_add_f32_e32 v11, v11, v103
	v_add_f32_e32 v103, v105, v104
	v_add_co_u32 v104, vcc_lo, v9, v40
	s_delay_alu instid0(VALU_DEP_3) | instskip(SKIP_1) | instid1(VALU_DEP_4)
	v_add_f32_e32 v11, v115, v11
	v_add_co_ci_u32_e32 v105, vcc_lo, v10, v41, vcc_lo
	v_add_f32_e32 v103, v106, v103
	s_and_b32 vcc_lo, exec_lo, s0
	s_delay_alu instid0(VALU_DEP_1) | instskip(NEXT) | instid1(VALU_DEP_1)
	v_add_f32_e32 v11, v103, v11
	v_dual_mov_b32 v103, 0 :: v_dual_add_f32 v106, v11, v114
	v_mov_b32_e32 v11, 0
	global_store_b32 v[104:105], v106, off
	s_cbranch_vccnz .LBB98_55
; %bb.54:
	v_add_co_u32 v103, vcc_lo, v46, v36
	v_add_co_ci_u32_e32 v104, vcc_lo, v107, v37, vcc_lo
	flat_load_b32 v103, v[103:104]
	s_waitcnt vmcnt(0) lgkmcnt(0)
	v_mul_f32_e32 v103, s18, v103
.LBB98_55:
	v_dual_min_f32 v104, v53, v109 :: v_dual_min_f32 v105, v52, v108
	s_delay_alu instid0(VALU_DEP_1) | instskip(NEXT) | instid1(VALU_DEP_2)
	v_dual_min_f32 v106, v34, v110 :: v_dual_add_f32 v101, v104, v101
	v_add_f32_e32 v102, v105, v102
	s_delay_alu instid0(VALU_DEP_1) | instskip(SKIP_1) | instid1(VALU_DEP_1)
	v_add_f32_e32 v102, v106, v102
	v_min_f32_e32 v114, v35, v8
	v_add_f32_e32 v101, v114, v101
	s_delay_alu instid0(VALU_DEP_1) | instskip(NEXT) | instid1(VALU_DEP_1)
	v_add_f32_e32 v101, v102, v101
	v_add_f32_e32 v103, v101, v103
	v_add_co_u32 v101, vcc_lo, v9, v36
	v_add_co_ci_u32_e32 v102, vcc_lo, v10, v37, vcc_lo
	s_and_b32 vcc_lo, exec_lo, s0
	global_store_b32 v[101:102], v103, off
	s_cbranch_vccnz .LBB98_57
; %bb.56:
	v_add_co_u32 v101, vcc_lo, v46, v32
	v_add_co_ci_u32_e32 v102, vcc_lo, v107, v33, vcc_lo
	flat_load_b32 v11, v[101:102]
	s_waitcnt vmcnt(0) lgkmcnt(0)
	v_mul_f32_e32 v11, s18, v11
.LBB98_57:
	v_dual_min_f32 v101, v55, v109 :: v_dual_min_f32 v102, v54, v108
	v_dual_min_f32 v103, v30, v110 :: v_dual_min_f32 v104, v31, v8
	s_delay_alu instid0(VALU_DEP_2) | instskip(NEXT) | instid1(VALU_DEP_3)
	v_add_f32_e32 v98, v101, v98
	v_add_f32_e32 v100, v102, v100
	s_delay_alu instid0(VALU_DEP_2) | instskip(NEXT) | instid1(VALU_DEP_2)
	v_add_f32_e32 v98, v104, v98
	v_add_f32_e32 v100, v103, v100
	s_delay_alu instid0(VALU_DEP_1) | instskip(SKIP_2) | instid1(VALU_DEP_3)
	v_add_f32_e32 v98, v100, v98
	v_add_co_u32 v100, vcc_lo, v9, v32
	v_add_co_ci_u32_e32 v101, vcc_lo, v10, v33, vcc_lo
	v_dual_add_f32 v102, v98, v11 :: v_dual_mov_b32 v11, 0
	v_mov_b32_e32 v98, 0
	s_and_b32 vcc_lo, exec_lo, s0
	global_store_b32 v[100:101], v102, off
	s_cbranch_vccnz .LBB98_59
; %bb.58:
	v_add_co_u32 v100, vcc_lo, v46, v28
	v_add_co_ci_u32_e32 v101, vcc_lo, v107, v29, vcc_lo
	flat_load_b32 v98, v[100:101]
	s_waitcnt vmcnt(0) lgkmcnt(0)
	v_mul_f32_e32 v98, s18, v98
.LBB98_59:
	v_dual_min_f32 v100, v57, v109 :: v_dual_min_f32 v101, v56, v108
	v_dual_min_f32 v102, v26, v110 :: v_dual_min_f32 v103, v27, v8
	s_delay_alu instid0(VALU_DEP_2) | instskip(NEXT) | instid1(VALU_DEP_3)
	v_add_f32_e32 v97, v100, v97
	v_add_f32_e32 v99, v101, v99
	s_delay_alu instid0(VALU_DEP_2) | instskip(NEXT) | instid1(VALU_DEP_2)
	v_add_f32_e32 v97, v103, v97
	v_add_f32_e32 v99, v102, v99
	s_delay_alu instid0(VALU_DEP_1) | instskip(NEXT) | instid1(VALU_DEP_1)
	v_add_f32_e32 v97, v99, v97
	v_add_f32_e32 v99, v97, v98
	v_add_co_u32 v97, vcc_lo, v9, v28
	v_add_co_ci_u32_e32 v98, vcc_lo, v10, v29, vcc_lo
	s_and_b32 vcc_lo, exec_lo, s0
	global_store_b32 v[97:98], v99, off
	s_cbranch_vccnz .LBB98_61
; %bb.60:
	v_add_co_u32 v97, vcc_lo, v46, v24
	v_add_co_ci_u32_e32 v98, vcc_lo, v107, v25, vcc_lo
	flat_load_b32 v11, v[97:98]
	s_waitcnt vmcnt(0) lgkmcnt(0)
	v_mul_f32_e32 v11, s18, v11
.LBB98_61:
	v_dual_min_f32 v97, v113, v109 :: v_dual_min_f32 v100, v23, v8
	v_dual_min_f32 v98, v73, v108 :: v_dual_min_f32 v99, v22, v110
	s_delay_alu instid0(VALU_DEP_1) | instskip(NEXT) | instid1(VALU_DEP_1)
	v_dual_add_f32 v95, v97, v95 :: v_dual_add_f32 v96, v98, v96
	v_dual_add_f32 v95, v100, v95 :: v_dual_add_f32 v96, v99, v96
	s_delay_alu instid0(VALU_DEP_1) | instskip(SKIP_2) | instid1(VALU_DEP_3)
	v_add_f32_e32 v95, v96, v95
	v_add_co_u32 v96, vcc_lo, v9, v24
	v_add_co_ci_u32_e32 v97, vcc_lo, v10, v25, vcc_lo
	v_dual_add_f32 v98, v95, v11 :: v_dual_mov_b32 v11, 0
	v_mov_b32_e32 v95, 0
	s_and_b32 vcc_lo, exec_lo, s0
	global_store_b32 v[96:97], v98, off
	s_cbranch_vccnz .LBB98_63
; %bb.62:
	v_add_co_u32 v95, vcc_lo, v46, v20
	v_add_co_ci_u32_e32 v96, vcc_lo, v107, v21, vcc_lo
	flat_load_b32 v95, v[95:96]
	s_waitcnt vmcnt(0) lgkmcnt(0)
	v_mul_f32_e32 v95, s18, v95
.LBB98_63:
	v_dual_min_f32 v96, v112, v109 :: v_dual_min_f32 v97, v111, v108
	v_dual_min_f32 v98, v18, v110 :: v_dual_min_f32 v99, v19, v8
	s_delay_alu instid0(VALU_DEP_2) | instskip(NEXT) | instid1(VALU_DEP_1)
	v_dual_add_f32 v93, v96, v93 :: v_dual_add_f32 v94, v97, v94
	v_dual_add_f32 v93, v99, v93 :: v_dual_add_f32 v94, v98, v94
	s_delay_alu instid0(VALU_DEP_1) | instskip(NEXT) | instid1(VALU_DEP_1)
	v_add_f32_e32 v93, v94, v93
	v_add_f32_e32 v95, v93, v95
	v_add_co_u32 v93, vcc_lo, v9, v20
	v_add_co_ci_u32_e32 v94, vcc_lo, v10, v21, vcc_lo
	s_and_b32 vcc_lo, exec_lo, s0
	global_store_b32 v[93:94], v95, off
	s_cbranch_vccnz .LBB98_65
; %bb.64:
	v_add_co_u32 v93, vcc_lo, v46, v16
	v_add_co_ci_u32_e32 v94, vcc_lo, v107, v17, vcc_lo
	flat_load_b32 v11, v[93:94]
	s_waitcnt vmcnt(0) lgkmcnt(0)
	v_mul_f32_e32 v11, s18, v11
.LBB98_65:
	v_dual_min_f32 v46, v12, v108 :: v_dual_min_f32 v95, v14, v110
	v_dual_min_f32 v94, v13, v109 :: v_dual_add_nc_u32 v93, 64, v48
	v_min_f32_e32 v8, v15, v8
	s_delay_alu instid0(VALU_DEP_3) | instskip(NEXT) | instid1(VALU_DEP_3)
	v_add_f32_e32 v46, v46, v92
	v_add_f32_e32 v94, v94, v91
	s_delay_alu instid0(VALU_DEP_4) | instskip(NEXT) | instid1(VALU_DEP_3)
	v_mad_i64_i32 v[91:92], null, v93, s8, 0
	v_add_f32_e32 v46, v95, v46
	s_delay_alu instid0(VALU_DEP_3) | instskip(SKIP_3) | instid1(VALU_DEP_4)
	v_add_f32_e32 v8, v8, v94
	v_add_co_u32 v94, vcc_lo, v9, v16
	v_add_co_ci_u32_e32 v95, vcc_lo, v10, v17, vcc_lo
	v_lshlrev_b64 v[91:92], 2, v[91:92]
	v_add_f32_e32 v8, v46, v8
	s_delay_alu instid0(VALU_DEP_1) | instskip(NEXT) | instid1(VALU_DEP_3)
	v_add_f32_e32 v10, v8, v11
	v_add_co_u32 v8, vcc_lo, s4, v91
	v_mov_b32_e32 v91, 0
	v_add_co_ci_u32_e32 v9, vcc_lo, s5, v92, vcc_lo
	v_mov_b32_e32 v92, 0
	s_and_b32 vcc_lo, exec_lo, s0
	global_store_b32 v[94:95], v10, off
	s_cbranch_vccnz .LBB98_67
; %bb.66:
	v_add_co_u32 v10, vcc_lo, v8, v44
	v_add_co_ci_u32_e32 v11, vcc_lo, v9, v45, vcc_lo
	flat_load_b32 v10, v[10:11]
	s_waitcnt vmcnt(0) lgkmcnt(0)
	v_mul_f32_e32 v92, s18, v10
.LBB98_67:
	v_dual_max_f32 v10, v4, v4 :: v_dual_max_f32 v11, v5, v5
	v_max_f32_e32 v4, v7, v7
	v_max_f32_e32 v46, v6, v6
	v_mad_i64_i32 v[5:6], null, v93, s1, 0
	s_delay_alu instid0(VALU_DEP_4) | instskip(NEXT) | instid1(VALU_DEP_4)
	v_dual_min_f32 v7, v47, v10 :: v_dual_min_f32 v94, v49, v11
	v_min_f32_e32 v95, v43, v4
	s_delay_alu instid0(VALU_DEP_4) | instskip(NEXT) | instid1(VALU_DEP_3)
	v_min_f32_e32 v93, v42, v46
	v_add_f32_e32 v7, v7, v90
	s_delay_alu instid0(VALU_DEP_4) | instskip(SKIP_1) | instid1(VALU_DEP_3)
	v_add_f32_e32 v89, v94, v89
	v_lshlrev_b64 v[5:6], 2, v[5:6]
	v_add_f32_e32 v7, v93, v7
	s_delay_alu instid0(VALU_DEP_3) | instskip(NEXT) | instid1(VALU_DEP_3)
	v_add_f32_e32 v89, v95, v89
	v_add_co_u32 v5, vcc_lo, s3, v5
	s_delay_alu instid0(VALU_DEP_4) | instskip(NEXT) | instid1(VALU_DEP_3)
	v_add_co_ci_u32_e32 v6, vcc_lo, s6, v6, vcc_lo
	v_add_f32_e32 v7, v7, v89
	s_delay_alu instid0(VALU_DEP_3) | instskip(NEXT) | instid1(VALU_DEP_3)
	v_add_co_u32 v89, vcc_lo, v5, v44
	v_add_co_ci_u32_e32 v90, vcc_lo, v6, v45, vcc_lo
	s_delay_alu instid0(VALU_DEP_3)
	v_add_f32_e32 v7, v7, v92
	s_and_b32 vcc_lo, exec_lo, s0
	global_store_b32 v[89:90], v7, off
	s_cbranch_vccnz .LBB98_69
; %bb.68:
	v_add_co_u32 v89, vcc_lo, v8, v40
	v_add_co_ci_u32_e32 v90, vcc_lo, v9, v41, vcc_lo
	flat_load_b32 v7, v[89:90]
	s_waitcnt vmcnt(0) lgkmcnt(0)
	v_mul_f32_e32 v91, s18, v7
.LBB98_69:
	v_dual_min_f32 v7, v51, v11 :: v_dual_min_f32 v90, v38, v46
	v_dual_min_f32 v89, v50, v10 :: v_dual_min_f32 v92, v39, v4
	s_delay_alu instid0(VALU_DEP_2) | instskip(NEXT) | instid1(VALU_DEP_2)
	v_add_f32_e32 v7, v7, v87
	v_add_f32_e32 v87, v89, v88
	v_add_co_u32 v88, vcc_lo, v5, v40
	s_delay_alu instid0(VALU_DEP_3) | instskip(SKIP_1) | instid1(VALU_DEP_4)
	v_add_f32_e32 v7, v92, v7
	v_add_co_ci_u32_e32 v89, vcc_lo, v6, v41, vcc_lo
	v_add_f32_e32 v87, v90, v87
	s_and_b32 vcc_lo, exec_lo, s0
	s_delay_alu instid0(VALU_DEP_1) | instskip(NEXT) | instid1(VALU_DEP_1)
	v_add_f32_e32 v7, v87, v7
	v_dual_mov_b32 v87, 0 :: v_dual_add_f32 v90, v7, v91
	v_mov_b32_e32 v7, 0
	global_store_b32 v[88:89], v90, off
	s_cbranch_vccnz .LBB98_71
; %bb.70:
	v_add_co_u32 v87, vcc_lo, v8, v36
	v_add_co_ci_u32_e32 v88, vcc_lo, v9, v37, vcc_lo
	flat_load_b32 v87, v[87:88]
	s_waitcnt vmcnt(0) lgkmcnt(0)
	v_mul_f32_e32 v87, s18, v87
.LBB98_71:
	v_dual_min_f32 v88, v53, v11 :: v_dual_min_f32 v89, v52, v10
	v_dual_min_f32 v90, v34, v46 :: v_dual_min_f32 v91, v35, v4
	s_delay_alu instid0(VALU_DEP_2) | instskip(NEXT) | instid1(VALU_DEP_1)
	v_dual_add_f32 v85, v88, v85 :: v_dual_add_f32 v86, v89, v86
	v_dual_add_f32 v85, v91, v85 :: v_dual_add_f32 v86, v90, v86
	s_delay_alu instid0(VALU_DEP_1) | instskip(NEXT) | instid1(VALU_DEP_1)
	v_add_f32_e32 v85, v86, v85
	v_add_f32_e32 v87, v85, v87
	v_add_co_u32 v85, vcc_lo, v5, v36
	v_add_co_ci_u32_e32 v86, vcc_lo, v6, v37, vcc_lo
	s_and_b32 vcc_lo, exec_lo, s0
	global_store_b32 v[85:86], v87, off
	s_cbranch_vccnz .LBB98_73
; %bb.72:
	v_add_co_u32 v85, vcc_lo, v8, v32
	v_add_co_ci_u32_e32 v86, vcc_lo, v9, v33, vcc_lo
	flat_load_b32 v7, v[85:86]
	s_waitcnt vmcnt(0) lgkmcnt(0)
	v_mul_f32_e32 v7, s18, v7
.LBB98_73:
	v_dual_min_f32 v85, v55, v11 :: v_dual_min_f32 v86, v54, v10
	v_dual_min_f32 v87, v30, v46 :: v_dual_min_f32 v88, v31, v4
	s_delay_alu instid0(VALU_DEP_2) | instskip(NEXT) | instid1(VALU_DEP_1)
	v_dual_add_f32 v83, v85, v83 :: v_dual_add_f32 v84, v86, v84
	v_dual_add_f32 v83, v88, v83 :: v_dual_add_f32 v84, v87, v84
	s_delay_alu instid0(VALU_DEP_1) | instskip(SKIP_2) | instid1(VALU_DEP_3)
	v_add_f32_e32 v83, v84, v83
	v_add_co_u32 v84, vcc_lo, v5, v32
	v_add_co_ci_u32_e32 v85, vcc_lo, v6, v33, vcc_lo
	v_dual_add_f32 v86, v83, v7 :: v_dual_mov_b32 v7, 0
	v_mov_b32_e32 v83, 0
	s_and_b32 vcc_lo, exec_lo, s0
	global_store_b32 v[84:85], v86, off
	s_cbranch_vccnz .LBB98_75
; %bb.74:
	v_add_co_u32 v83, vcc_lo, v8, v28
	v_add_co_ci_u32_e32 v84, vcc_lo, v9, v29, vcc_lo
	flat_load_b32 v83, v[83:84]
	s_waitcnt vmcnt(0) lgkmcnt(0)
	v_mul_f32_e32 v83, s18, v83
.LBB98_75:
	v_dual_min_f32 v84, v57, v11 :: v_dual_min_f32 v85, v56, v10
	v_dual_min_f32 v86, v26, v46 :: v_dual_min_f32 v87, v27, v4
	s_delay_alu instid0(VALU_DEP_2) | instskip(NEXT) | instid1(VALU_DEP_1)
	v_dual_add_f32 v81, v84, v81 :: v_dual_add_f32 v82, v85, v82
	v_dual_add_f32 v81, v87, v81 :: v_dual_add_f32 v82, v86, v82
	s_delay_alu instid0(VALU_DEP_1) | instskip(NEXT) | instid1(VALU_DEP_1)
	v_add_f32_e32 v81, v82, v81
	v_add_f32_e32 v83, v81, v83
	v_add_co_u32 v81, vcc_lo, v5, v28
	v_add_co_ci_u32_e32 v82, vcc_lo, v6, v29, vcc_lo
	s_and_b32 vcc_lo, exec_lo, s0
	global_store_b32 v[81:82], v83, off
	s_cbranch_vccnz .LBB98_77
; %bb.76:
	v_add_co_u32 v81, vcc_lo, v8, v24
	v_add_co_ci_u32_e32 v82, vcc_lo, v9, v25, vcc_lo
	flat_load_b32 v7, v[81:82]
	s_waitcnt vmcnt(0) lgkmcnt(0)
	v_mul_f32_e32 v7, s18, v7
.LBB98_77:
	v_dual_min_f32 v81, v113, v11 :: v_dual_min_f32 v84, v23, v4
	v_min_f32_e32 v82, v73, v10
	v_min_f32_e32 v83, v22, v46
	s_delay_alu instid0(VALU_DEP_3) | instskip(NEXT) | instid1(VALU_DEP_3)
	v_add_f32_e32 v78, v81, v78
	v_add_f32_e32 v80, v82, v80
	s_delay_alu instid0(VALU_DEP_2) | instskip(NEXT) | instid1(VALU_DEP_2)
	v_add_f32_e32 v78, v84, v78
	v_add_f32_e32 v80, v83, v80
	s_delay_alu instid0(VALU_DEP_1) | instskip(SKIP_2) | instid1(VALU_DEP_3)
	v_add_f32_e32 v78, v80, v78
	v_add_co_u32 v80, vcc_lo, v5, v24
	v_add_co_ci_u32_e32 v81, vcc_lo, v6, v25, vcc_lo
	v_add_f32_e32 v82, v78, v7
	v_dual_mov_b32 v78, 0 :: v_dual_mov_b32 v7, 0
	s_and_b32 vcc_lo, exec_lo, s0
	global_store_b32 v[80:81], v82, off
	s_cbranch_vccnz .LBB98_79
; %bb.78:
	v_add_co_u32 v80, vcc_lo, v8, v20
	v_add_co_ci_u32_e32 v81, vcc_lo, v9, v21, vcc_lo
	flat_load_b32 v78, v[80:81]
	s_waitcnt vmcnt(0) lgkmcnt(0)
	v_mul_f32_e32 v78, s18, v78
.LBB98_79:
	v_dual_min_f32 v80, v112, v11 :: v_dual_min_f32 v81, v111, v10
	v_dual_min_f32 v82, v18, v46 :: v_dual_min_f32 v83, v19, v4
	s_delay_alu instid0(VALU_DEP_2) | instskip(NEXT) | instid1(VALU_DEP_3)
	v_add_f32_e32 v77, v80, v77
	v_add_f32_e32 v79, v81, v79
	s_delay_alu instid0(VALU_DEP_2) | instskip(NEXT) | instid1(VALU_DEP_2)
	v_add_f32_e32 v77, v83, v77
	v_add_f32_e32 v79, v82, v79
	s_delay_alu instid0(VALU_DEP_1) | instskip(NEXT) | instid1(VALU_DEP_1)
	v_add_f32_e32 v77, v79, v77
	v_add_f32_e32 v79, v77, v78
	v_add_co_u32 v77, vcc_lo, v5, v20
	v_add_co_ci_u32_e32 v78, vcc_lo, v6, v21, vcc_lo
	s_and_b32 vcc_lo, exec_lo, s0
	global_store_b32 v[77:78], v79, off
	s_cbranch_vccnz .LBB98_81
; %bb.80:
	v_add_co_u32 v7, vcc_lo, v8, v16
	v_add_co_ci_u32_e32 v8, vcc_lo, v9, v17, vcc_lo
	flat_load_b32 v7, v[7:8]
	s_waitcnt vmcnt(0) lgkmcnt(0)
	v_mul_f32_e32 v7, s18, v7
.LBB98_81:
	v_dual_min_f32 v8, v12, v10 :: v_dual_add_nc_u32 v9, 0x60, v48
	v_min_f32_e32 v10, v13, v11
	v_min_f32_e32 v46, v14, v46
	;; [unrolled: 1-line block ×3, first 2 shown]
	s_delay_alu instid0(VALU_DEP_4) | instskip(NEXT) | instid1(VALU_DEP_4)
	v_add_f32_e32 v8, v8, v76
	v_add_f32_e32 v48, v10, v75
	v_mad_i64_i32 v[10:11], null, v9, s8, 0
	s_delay_alu instid0(VALU_DEP_3) | instskip(SKIP_1) | instid1(VALU_DEP_4)
	v_add_f32_e32 v8, v46, v8
	v_add_co_u32 v75, vcc_lo, v5, v16
	v_add_f32_e32 v4, v4, v48
	v_add_co_ci_u32_e32 v76, vcc_lo, v6, v17, vcc_lo
	v_lshlrev_b64 v[10:11], 2, v[10:11]
	s_delay_alu instid0(VALU_DEP_3) | instskip(SKIP_1) | instid1(VALU_DEP_2)
	v_add_f32_e32 v4, v8, v4
	v_mov_b32_e32 v8, 0
	v_add_f32_e32 v6, v4, v7
	s_delay_alu instid0(VALU_DEP_4)
	v_add_co_u32 v4, vcc_lo, s4, v10
	v_add_co_ci_u32_e32 v5, vcc_lo, s5, v11, vcc_lo
	v_mov_b32_e32 v10, 0
	s_and_b32 vcc_lo, exec_lo, s0
	global_store_b32 v[75:76], v6, off
	s_cbranch_vccnz .LBB98_83
; %bb.82:
	v_add_co_u32 v6, vcc_lo, v4, v44
	v_add_co_ci_u32_e32 v7, vcc_lo, v5, v45, vcc_lo
	flat_load_b32 v6, v[6:7]
	s_waitcnt vmcnt(0) lgkmcnt(0)
	v_mul_f32_e32 v10, s18, v6
.LBB98_83:
	s_waitcnt lgkmcnt(0)
	v_dual_max_f32 v0, v0, v0 :: v_dual_max_f32 v1, v1, v1
	v_dual_max_f32 v2, v2, v2 :: v_dual_max_f32 v3, v3, v3
	v_mad_i64_i32 v[6:7], null, v9, s1, 0
	s_delay_alu instid0(VALU_DEP_3) | instskip(NEXT) | instid1(VALU_DEP_3)
	v_dual_min_f32 v11, v47, v0 :: v_dual_min_f32 v46, v49, v1
	v_dual_min_f32 v9, v42, v2 :: v_dual_min_f32 v42, v43, v3
	s_delay_alu instid0(VALU_DEP_2) | instskip(NEXT) | instid1(VALU_DEP_3)
	v_add_f32_e32 v43, v46, v70
	v_add_f32_e32 v11, v11, v74
	v_lshlrev_b64 v[6:7], 2, v[6:7]
	s_delay_alu instid0(VALU_DEP_3) | instskip(NEXT) | instid1(VALU_DEP_3)
	v_add_f32_e32 v42, v42, v43
	v_add_f32_e32 v9, v9, v11
	s_delay_alu instid0(VALU_DEP_3) | instskip(NEXT) | instid1(VALU_DEP_4)
	v_add_co_u32 v6, vcc_lo, s3, v6
	v_add_co_ci_u32_e32 v7, vcc_lo, s6, v7, vcc_lo
	s_delay_alu instid0(VALU_DEP_3) | instskip(NEXT) | instid1(VALU_DEP_1)
	v_add_f32_e32 v9, v9, v42
	v_add_f32_e32 v11, v9, v10
	s_delay_alu instid0(VALU_DEP_4) | instskip(NEXT) | instid1(VALU_DEP_4)
	v_add_co_u32 v9, vcc_lo, v6, v44
	v_add_co_ci_u32_e32 v10, vcc_lo, v7, v45, vcc_lo
	s_and_b32 vcc_lo, exec_lo, s0
	global_store_b32 v[9:10], v11, off
	s_cbranch_vccnz .LBB98_85
; %bb.84:
	v_add_co_u32 v8, vcc_lo, v4, v40
	v_add_co_ci_u32_e32 v9, vcc_lo, v5, v41, vcc_lo
	flat_load_b32 v8, v[8:9]
	s_waitcnt vmcnt(0) lgkmcnt(0)
	v_mul_f32_e32 v8, s18, v8
.LBB98_85:
	v_dual_min_f32 v9, v51, v1 :: v_dual_min_f32 v10, v50, v0
	v_dual_min_f32 v11, v38, v2 :: v_dual_min_f32 v38, v39, v3
	s_delay_alu instid0(VALU_DEP_2) | instskip(NEXT) | instid1(VALU_DEP_1)
	v_dual_add_f32 v9, v9, v71 :: v_dual_add_f32 v10, v10, v72
	v_dual_add_f32 v9, v38, v9 :: v_dual_add_f32 v10, v11, v10
	s_delay_alu instid0(VALU_DEP_1) | instskip(SKIP_2) | instid1(VALU_DEP_3)
	v_add_f32_e32 v9, v10, v9
	v_add_co_u32 v10, vcc_lo, v6, v40
	v_add_co_ci_u32_e32 v11, vcc_lo, v7, v41, vcc_lo
	v_dual_add_f32 v38, v9, v8 :: v_dual_mov_b32 v9, 0
	v_mov_b32_e32 v8, 0
	s_and_b32 vcc_lo, exec_lo, s0
	global_store_b32 v[10:11], v38, off
	s_cbranch_vccnz .LBB98_87
; %bb.86:
	v_add_co_u32 v9, vcc_lo, v4, v36
	v_add_co_ci_u32_e32 v10, vcc_lo, v5, v37, vcc_lo
	flat_load_b32 v9, v[9:10]
	s_waitcnt vmcnt(0) lgkmcnt(0)
	v_mul_f32_e32 v9, s18, v9
.LBB98_87:
	v_dual_min_f32 v10, v53, v1 :: v_dual_min_f32 v11, v52, v0
	v_dual_min_f32 v34, v34, v2 :: v_dual_min_f32 v35, v35, v3
	s_delay_alu instid0(VALU_DEP_2) | instskip(NEXT) | instid1(VALU_DEP_1)
	v_dual_add_f32 v10, v10, v67 :: v_dual_add_f32 v11, v11, v69
	v_dual_add_f32 v10, v35, v10 :: v_dual_add_f32 v11, v34, v11
	s_delay_alu instid0(VALU_DEP_1) | instskip(NEXT) | instid1(VALU_DEP_1)
	v_add_f32_e32 v10, v11, v10
	v_add_f32_e32 v11, v10, v9
	v_add_co_u32 v9, vcc_lo, v6, v36
	v_add_co_ci_u32_e32 v10, vcc_lo, v7, v37, vcc_lo
	s_and_b32 vcc_lo, exec_lo, s0
	global_store_b32 v[9:10], v11, off
	s_cbranch_vccnz .LBB98_89
; %bb.88:
	v_add_co_u32 v8, vcc_lo, v4, v32
	v_add_co_ci_u32_e32 v9, vcc_lo, v5, v33, vcc_lo
	flat_load_b32 v8, v[8:9]
	s_waitcnt vmcnt(0) lgkmcnt(0)
	v_mul_f32_e32 v8, s18, v8
.LBB98_89:
	v_dual_min_f32 v9, v55, v1 :: v_dual_min_f32 v10, v54, v0
	v_dual_min_f32 v11, v30, v2 :: v_dual_min_f32 v30, v31, v3
	s_delay_alu instid0(VALU_DEP_2) | instskip(NEXT) | instid1(VALU_DEP_1)
	v_dual_add_f32 v9, v9, v66 :: v_dual_add_f32 v10, v10, v68
	v_dual_add_f32 v9, v30, v9 :: v_dual_add_f32 v10, v11, v10
	s_delay_alu instid0(VALU_DEP_1) | instskip(SKIP_2) | instid1(VALU_DEP_3)
	v_add_f32_e32 v9, v10, v9
	v_add_co_u32 v10, vcc_lo, v6, v32
	v_add_co_ci_u32_e32 v11, vcc_lo, v7, v33, vcc_lo
	v_dual_add_f32 v30, v9, v8 :: v_dual_mov_b32 v9, 0
	v_mov_b32_e32 v8, 0
	s_and_b32 vcc_lo, exec_lo, s0
	global_store_b32 v[10:11], v30, off
	s_cbranch_vccnz .LBB98_91
; %bb.90:
	v_add_co_u32 v9, vcc_lo, v4, v28
	v_add_co_ci_u32_e32 v10, vcc_lo, v5, v29, vcc_lo
	flat_load_b32 v9, v[9:10]
	s_waitcnt vmcnt(0) lgkmcnt(0)
	v_mul_f32_e32 v9, s18, v9
.LBB98_91:
	v_dual_min_f32 v10, v57, v1 :: v_dual_min_f32 v11, v56, v0
	v_dual_min_f32 v26, v26, v2 :: v_dual_min_f32 v27, v27, v3
	s_delay_alu instid0(VALU_DEP_2) | instskip(NEXT) | instid1(VALU_DEP_1)
	v_dual_add_f32 v10, v10, v64 :: v_dual_add_f32 v11, v11, v65
	v_dual_add_f32 v10, v27, v10 :: v_dual_add_f32 v11, v26, v11
	s_delay_alu instid0(VALU_DEP_1) | instskip(NEXT) | instid1(VALU_DEP_1)
	v_add_f32_e32 v10, v11, v10
	v_add_f32_e32 v11, v10, v9
	v_add_co_u32 v9, vcc_lo, v6, v28
	v_add_co_ci_u32_e32 v10, vcc_lo, v7, v29, vcc_lo
	s_and_b32 vcc_lo, exec_lo, s0
	global_store_b32 v[9:10], v11, off
	s_cbranch_vccnz .LBB98_93
; %bb.92:
	v_add_co_u32 v8, vcc_lo, v4, v24
	v_add_co_ci_u32_e32 v9, vcc_lo, v5, v25, vcc_lo
	flat_load_b32 v8, v[8:9]
	s_waitcnt vmcnt(0) lgkmcnt(0)
	v_mul_f32_e32 v8, s18, v8
.LBB98_93:
	v_dual_min_f32 v10, v73, v0 :: v_dual_min_f32 v11, v22, v2
	v_dual_min_f32 v9, v113, v1 :: v_dual_min_f32 v22, v23, v3
	s_delay_alu instid0(VALU_DEP_2) | instskip(NEXT) | instid1(VALU_DEP_2)
	v_dual_min_f32 v23, v112, v1 :: v_dual_add_f32 v10, v10, v63
	v_dual_min_f32 v18, v18, v2 :: v_dual_add_f32 v9, v9, v60
	s_delay_alu instid0(VALU_DEP_2) | instskip(NEXT) | instid1(VALU_DEP_2)
	v_add_f32_e32 v10, v11, v10
	v_dual_min_f32 v26, v111, v0 :: v_dual_add_f32 v9, v22, v9
	s_delay_alu instid0(VALU_DEP_4) | instskip(SKIP_1) | instid1(VALU_DEP_3)
	v_add_f32_e32 v23, v23, v62
	v_min_f32_e32 v11, v19, v3
	v_add_f32_e32 v19, v26, v61
	s_delay_alu instid0(VALU_DEP_4) | instskip(SKIP_1) | instid1(VALU_DEP_4)
	v_add_f32_e32 v22, v10, v9
	v_add_co_u32 v9, vcc_lo, v6, v24
	v_add_f32_e32 v11, v11, v23
	s_delay_alu instid0(VALU_DEP_4) | instskip(SKIP_3) | instid1(VALU_DEP_3)
	v_add_f32_e32 v18, v18, v19
	v_add_co_ci_u32_e32 v10, vcc_lo, v7, v25, vcc_lo
	v_add_f32_e32 v19, v22, v8
	s_mov_b32 vcc_lo, s2
	v_add_f32_e32 v8, v18, v11
	global_store_b32 v[9:10], v19, off
	s_cbranch_vccz .LBB98_96
; %bb.94:
	v_add_co_u32 v9, vcc_lo, v6, v20
	v_add_f32_e32 v11, 0, v8
	v_add_co_ci_u32_e32 v10, vcc_lo, v7, v21, vcc_lo
	s_mov_b32 s0, 0
	global_store_b32 v[9:10], v11, off
	s_cbranch_execz .LBB98_97
; %bb.95:
	v_mov_b32_e32 v4, s0
	s_branch .LBB98_98
.LBB98_96:
	s_mov_b32 s0, -1
.LBB98_97:
	v_add_co_u32 v9, vcc_lo, v4, v20
	v_add_co_ci_u32_e32 v10, vcc_lo, v5, v21, vcc_lo
	flat_load_b32 v11, v[9:10]
	v_add_co_u32 v9, vcc_lo, v6, v20
	v_add_co_ci_u32_e32 v10, vcc_lo, v7, v21, vcc_lo
	v_add_co_u32 v4, vcc_lo, v4, v16
	v_add_co_ci_u32_e32 v5, vcc_lo, v5, v17, vcc_lo
	s_waitcnt vmcnt(0) lgkmcnt(0)
	v_fmac_f32_e32 v8, s18, v11
	global_store_b32 v[9:10], v8, off
	flat_load_b32 v4, v[4:5]
	s_waitcnt vmcnt(0) lgkmcnt(0)
	v_mul_f32_e32 v4, s18, v4
.LBB98_98:
	v_dual_min_f32 v1, v13, v1 :: v_dual_min_f32 v0, v12, v0
	v_dual_min_f32 v2, v14, v2 :: v_dual_min_f32 v3, v15, v3
	s_delay_alu instid0(VALU_DEP_2) | instskip(NEXT) | instid1(VALU_DEP_1)
	v_dual_add_f32 v1, v1, v58 :: v_dual_add_f32 v0, v0, v59
	v_dual_add_f32 v1, v3, v1 :: v_dual_add_f32 v0, v2, v0
	s_delay_alu instid0(VALU_DEP_1) | instskip(NEXT) | instid1(VALU_DEP_1)
	v_add_f32_e32 v0, v0, v1
	v_add_f32_e32 v2, v0, v4
	v_add_co_u32 v0, vcc_lo, v6, v16
	v_add_co_ci_u32_e32 v1, vcc_lo, v7, v17, vcc_lo
	global_store_b32 v[0:1], v2, off
	s_nop 0
	s_sendmsg sendmsg(MSG_DEALLOC_VGPRS)
	s_endpgm
	.section	.rodata,"a",@progbits
	.p2align	6, 0x0
	.amdhsa_kernel _ZN12_GLOBAL__N_120geam_min_plus_kernelIf15HIP_vector_typeIfLj2EES2_Li8ELi32ELi64ELi128ELi4ELi4ELi64ELi64ELi4ELc84ELc84ELb0ELb0ELb0EfKffEEviiiT16_PT17_ilS6_ilS4_S6_ilPT18_ili26rocblas_geam_ex_operation_
		.amdhsa_group_segment_fixed_size 6144
		.amdhsa_private_segment_fixed_size 0
		.amdhsa_kernarg_size 128
		.amdhsa_user_sgpr_count 14
		.amdhsa_user_sgpr_dispatch_ptr 0
		.amdhsa_user_sgpr_queue_ptr 0
		.amdhsa_user_sgpr_kernarg_segment_ptr 1
		.amdhsa_user_sgpr_dispatch_id 0
		.amdhsa_user_sgpr_private_segment_size 0
		.amdhsa_wavefront_size32 1
		.amdhsa_uses_dynamic_stack 0
		.amdhsa_enable_private_segment 0
		.amdhsa_system_sgpr_workgroup_id_x 1
		.amdhsa_system_sgpr_workgroup_id_y 0
		.amdhsa_system_sgpr_workgroup_id_z 1
		.amdhsa_system_sgpr_workgroup_info 0
		.amdhsa_system_vgpr_workitem_id 1
		.amdhsa_next_free_vgpr 225
		.amdhsa_next_free_sgpr 24
		.amdhsa_reserve_vcc 1
		.amdhsa_float_round_mode_32 0
		.amdhsa_float_round_mode_16_64 0
		.amdhsa_float_denorm_mode_32 3
		.amdhsa_float_denorm_mode_16_64 3
		.amdhsa_dx10_clamp 1
		.amdhsa_ieee_mode 1
		.amdhsa_fp16_overflow 0
		.amdhsa_workgroup_processor_mode 1
		.amdhsa_memory_ordered 1
		.amdhsa_forward_progress 0
		.amdhsa_shared_vgpr_count 0
		.amdhsa_exception_fp_ieee_invalid_op 0
		.amdhsa_exception_fp_denorm_src 0
		.amdhsa_exception_fp_ieee_div_zero 0
		.amdhsa_exception_fp_ieee_overflow 0
		.amdhsa_exception_fp_ieee_underflow 0
		.amdhsa_exception_fp_ieee_inexact 0
		.amdhsa_exception_int_div_zero 0
	.end_amdhsa_kernel
	.section	.text._ZN12_GLOBAL__N_120geam_min_plus_kernelIf15HIP_vector_typeIfLj2EES2_Li8ELi32ELi64ELi128ELi4ELi4ELi64ELi64ELi4ELc84ELc84ELb0ELb0ELb0EfKffEEviiiT16_PT17_ilS6_ilS4_S6_ilPT18_ili26rocblas_geam_ex_operation_,"axG",@progbits,_ZN12_GLOBAL__N_120geam_min_plus_kernelIf15HIP_vector_typeIfLj2EES2_Li8ELi32ELi64ELi128ELi4ELi4ELi64ELi64ELi4ELc84ELc84ELb0ELb0ELb0EfKffEEviiiT16_PT17_ilS6_ilS4_S6_ilPT18_ili26rocblas_geam_ex_operation_,comdat
.Lfunc_end98:
	.size	_ZN12_GLOBAL__N_120geam_min_plus_kernelIf15HIP_vector_typeIfLj2EES2_Li8ELi32ELi64ELi128ELi4ELi4ELi64ELi64ELi4ELc84ELc84ELb0ELb0ELb0EfKffEEviiiT16_PT17_ilS6_ilS4_S6_ilPT18_ili26rocblas_geam_ex_operation_, .Lfunc_end98-_ZN12_GLOBAL__N_120geam_min_plus_kernelIf15HIP_vector_typeIfLj2EES2_Li8ELi32ELi64ELi128ELi4ELi4ELi64ELi64ELi4ELc84ELc84ELb0ELb0ELb0EfKffEEviiiT16_PT17_ilS6_ilS4_S6_ilPT18_ili26rocblas_geam_ex_operation_
                                        ; -- End function
	.section	.AMDGPU.csdata,"",@progbits
; Kernel info:
; codeLenInByte = 10260
; NumSgprs: 26
; NumVgprs: 225
; ScratchSize: 0
; MemoryBound: 0
; FloatMode: 240
; IeeeMode: 1
; LDSByteSize: 6144 bytes/workgroup (compile time only)
; SGPRBlocks: 3
; VGPRBlocks: 28
; NumSGPRsForWavesPerEU: 26
; NumVGPRsForWavesPerEU: 225
; Occupancy: 6
; WaveLimiterHint : 1
; COMPUTE_PGM_RSRC2:SCRATCH_EN: 0
; COMPUTE_PGM_RSRC2:USER_SGPR: 14
; COMPUTE_PGM_RSRC2:TRAP_HANDLER: 0
; COMPUTE_PGM_RSRC2:TGID_X_EN: 1
; COMPUTE_PGM_RSRC2:TGID_Y_EN: 0
; COMPUTE_PGM_RSRC2:TGID_Z_EN: 1
; COMPUTE_PGM_RSRC2:TIDIG_COMP_CNT: 1
	.section	.text._ZN12_GLOBAL__N_120geam_min_plus_kernelIf15HIP_vector_typeIfLj2EES2_Li8ELi32ELi64ELi128ELi4ELi4ELi64ELi64ELi4ELc84ELc84ELb0ELb1ELb0EPKfS3_fEEviiiT16_PT17_ilS7_ilS5_S7_ilPT18_ili26rocblas_geam_ex_operation_,"axG",@progbits,_ZN12_GLOBAL__N_120geam_min_plus_kernelIf15HIP_vector_typeIfLj2EES2_Li8ELi32ELi64ELi128ELi4ELi4ELi64ELi64ELi4ELc84ELc84ELb0ELb1ELb0EPKfS3_fEEviiiT16_PT17_ilS7_ilS5_S7_ilPT18_ili26rocblas_geam_ex_operation_,comdat
	.globl	_ZN12_GLOBAL__N_120geam_min_plus_kernelIf15HIP_vector_typeIfLj2EES2_Li8ELi32ELi64ELi128ELi4ELi4ELi64ELi64ELi4ELc84ELc84ELb0ELb1ELb0EPKfS3_fEEviiiT16_PT17_ilS7_ilS5_S7_ilPT18_ili26rocblas_geam_ex_operation_ ; -- Begin function _ZN12_GLOBAL__N_120geam_min_plus_kernelIf15HIP_vector_typeIfLj2EES2_Li8ELi32ELi64ELi128ELi4ELi4ELi64ELi64ELi4ELc84ELc84ELb0ELb1ELb0EPKfS3_fEEviiiT16_PT17_ilS7_ilS5_S7_ilPT18_ili26rocblas_geam_ex_operation_
	.p2align	8
	.type	_ZN12_GLOBAL__N_120geam_min_plus_kernelIf15HIP_vector_typeIfLj2EES2_Li8ELi32ELi64ELi128ELi4ELi4ELi64ELi64ELi4ELc84ELc84ELb0ELb1ELb0EPKfS3_fEEviiiT16_PT17_ilS7_ilS5_S7_ilPT18_ili26rocblas_geam_ex_operation_,@function
_ZN12_GLOBAL__N_120geam_min_plus_kernelIf15HIP_vector_typeIfLj2EES2_Li8ELi32ELi64ELi128ELi4ELi4ELi64ELi64ELi4ELc84ELc84ELb0ELb1ELb0EPKfS3_fEEviiiT16_PT17_ilS7_ilS5_S7_ilPT18_ili26rocblas_geam_ex_operation_: ; @_ZN12_GLOBAL__N_120geam_min_plus_kernelIf15HIP_vector_typeIfLj2EES2_Li8ELi32ELi64ELi128ELi4ELi4ELi64ELi64ELi4ELc84ELc84ELb0ELb1ELb0EPKfS3_fEEviiiT16_PT17_ilS7_ilS5_S7_ilPT18_ili26rocblas_geam_ex_operation_
; %bb.0:
	s_clause 0x1
	s_load_b128 s[16:19], s[0:1], 0x10
	s_load_b128 s[4:7], s[0:1], 0x28
	s_mov_b32 s12, s15
	s_mov_b32 s13, 0
	s_mov_b64 s[22:23], 0
	s_lshl_b64 s[20:21], s[12:13], 2
	s_waitcnt lgkmcnt(0)
	s_add_u32 s2, s16, s20
	s_addc_u32 s3, s17, s21
	s_load_b32 s15, s[2:3], 0x0
	s_clause 0x1
	s_load_b128 s[8:11], s[0:1], 0x40
	s_load_b64 s[2:3], s[0:1], 0x50
	s_waitcnt lgkmcnt(0)
	v_cmp_eq_f32_e64 s13, s15, 0
	v_cmp_neq_f32_e64 s24, s15, 0
	s_add_u32 s10, s10, s20
	s_addc_u32 s11, s11, s21
	s_mov_b64 s[20:21], 0
	s_and_b32 vcc_lo, exec_lo, s13
	s_cbranch_vccnz .LBB99_2
; %bb.1:
	s_mul_i32 s5, s12, s5
	s_mul_hi_u32 s13, s12, s4
	s_mul_i32 s4, s12, s4
	s_add_i32 s5, s13, s5
	s_delay_alu instid0(SALU_CYCLE_1) | instskip(NEXT) | instid1(SALU_CYCLE_1)
	s_lshl_b64 s[4:5], s[4:5], 2
	s_add_u32 s22, s18, s4
	s_addc_u32 s23, s19, s5
.LBB99_2:
	s_load_b32 s13, s[10:11], 0x0
	s_and_not1_b32 vcc_lo, exec_lo, s24
	s_cbranch_vccnz .LBB99_4
; %bb.3:
	s_mul_i32 s4, s12, s9
	s_mul_hi_u32 s5, s12, s8
	s_delay_alu instid0(SALU_CYCLE_1) | instskip(SKIP_1) | instid1(SALU_CYCLE_1)
	s_add_i32 s5, s5, s4
	s_mul_i32 s4, s12, s8
	s_lshl_b64 s[4:5], s[4:5], 2
	s_delay_alu instid0(SALU_CYCLE_1)
	s_add_u32 s20, s6, s4
	s_addc_u32 s21, s7, s5
.LBB99_4:
	s_load_b128 s[4:7], s[0:1], 0x60
	s_waitcnt lgkmcnt(0)
	v_cmp_eq_f32_e64 s8, s13, 0
	v_cmp_neq_f32_e64 s9, s13, 0
	s_delay_alu instid0(VALU_DEP_2)
	s_and_b32 vcc_lo, exec_lo, s8
	s_cbranch_vccnz .LBB99_6
; %bb.5:
	s_mul_i32 s5, s12, s5
	s_mul_hi_u32 s8, s12, s4
	s_mul_i32 s4, s12, s4
	s_add_i32 s5, s8, s5
	s_delay_alu instid0(SALU_CYCLE_1) | instskip(NEXT) | instid1(SALU_CYCLE_1)
	s_lshl_b64 s[4:5], s[4:5], 2
	s_add_u32 s10, s2, s4
	s_addc_u32 s11, s3, s5
	s_branch .LBB99_7
.LBB99_6:
	s_mov_b64 s[10:11], 0
.LBB99_7:
	s_clause 0x1
	s_load_b128 s[16:19], s[0:1], 0x0
	s_load_b32 s28, s[0:1], 0x20
	v_dual_mov_b32 v9, 0 :: v_dual_and_b32 v52, 0x3ff, v0
	v_bfe_u32 v53, v0, 10, 10
	v_mov_b32_e32 v8, 0
	s_delay_alu instid0(VALU_DEP_3) | instskip(NEXT) | instid1(VALU_DEP_3)
	v_and_b32_e32 v54, 3, v52
	v_lshl_add_u32 v0, v53, 3, v52
	s_delay_alu instid0(VALU_DEP_2) | instskip(NEXT) | instid1(VALU_DEP_2)
	v_lshlrev_b32_e32 v2, 2, v54
	v_lshrrev_b32_e32 v7, 2, v0
	s_waitcnt lgkmcnt(0)
	s_add_i32 s2, s16, -1
	s_delay_alu instid0(SALU_CYCLE_1) | instskip(NEXT) | instid1(SALU_CYCLE_1)
	s_ashr_i32 s3, s2, 31
	s_lshr_b32 s3, s3, 26
	s_delay_alu instid0(SALU_CYCLE_1) | instskip(NEXT) | instid1(SALU_CYCLE_1)
	s_add_i32 s2, s2, s3
	s_ashr_i32 s2, s2, 6
	s_delay_alu instid0(SALU_CYCLE_1) | instskip(SKIP_2) | instid1(VALU_DEP_1)
	s_add_i32 s4, s2, 1
	s_not_b32 s2, s2
	v_cvt_f32_u32_e32 v1, s4
	v_rcp_iflag_f32_e32 v1, v1
	s_waitcnt_depctr 0xfff
	v_mul_f32_e32 v1, 0x4f7ffffe, v1
	s_delay_alu instid0(VALU_DEP_1) | instskip(NEXT) | instid1(VALU_DEP_1)
	v_cvt_u32_f32_e32 v1, v1
	v_readfirstlane_b32 s3, v1
	s_delay_alu instid0(VALU_DEP_1) | instskip(NEXT) | instid1(SALU_CYCLE_1)
	s_mul_i32 s2, s2, s3
	s_mul_hi_u32 s2, s3, s2
	s_delay_alu instid0(SALU_CYCLE_1) | instskip(NEXT) | instid1(SALU_CYCLE_1)
	s_add_i32 s3, s3, s2
	s_mul_hi_u32 s2, s14, s3
	s_delay_alu instid0(SALU_CYCLE_1) | instskip(SKIP_2) | instid1(SALU_CYCLE_1)
	s_mul_i32 s3, s2, s4
	s_add_i32 s5, s2, 1
	s_sub_i32 s3, s14, s3
	s_sub_i32 s8, s3, s4
	s_cmp_ge_u32 s3, s4
	s_cselect_b32 s2, s5, s2
	s_cselect_b32 s3, s8, s3
	s_add_i32 s5, s2, 1
	s_cmp_ge_u32 s3, s4
	s_cselect_b32 s3, s5, s2
	s_delay_alu instid0(SALU_CYCLE_1) | instskip(NEXT) | instid1(SALU_CYCLE_1)
	s_mul_i32 s2, s3, s4
	s_sub_i32 s2, s14, s2
	s_delay_alu instid0(SALU_CYCLE_1) | instskip(SKIP_2) | instid1(VALU_DEP_1)
	s_lshl_b32 s8, s2, 6
	v_cmp_gt_i32_e64 s2, s18, v54
	v_add_nc_u32_e32 v3, s8, v7
	v_cmp_gt_i32_e32 vcc_lo, s16, v3
	s_delay_alu instid0(VALU_DEP_3) | instskip(NEXT) | instid1(SALU_CYCLE_1)
	s_and_b32 s2, s2, vcc_lo
	s_and_b32 s2, s24, s2
	s_delay_alu instid0(SALU_CYCLE_1)
	s_and_saveexec_b32 s4, s2
	s_cbranch_execz .LBB99_9
; %bb.8:
	v_mad_i64_i32 v[4:5], null, v3, s28, 0
	s_delay_alu instid0(VALU_DEP_1) | instskip(NEXT) | instid1(VALU_DEP_1)
	v_lshlrev_b64 v[4:5], 2, v[4:5]
	v_add_co_u32 v1, s2, s22, v4
	s_delay_alu instid0(VALU_DEP_1) | instskip(NEXT) | instid1(VALU_DEP_2)
	v_add_co_ci_u32_e64 v5, s2, s23, v5, s2
	v_add_co_u32 v4, s2, v1, v2
	s_delay_alu instid0(VALU_DEP_1)
	v_add_co_ci_u32_e64 v5, s2, 0, v5, s2
	flat_load_b32 v1, v[4:5]
	s_waitcnt vmcnt(0) lgkmcnt(0)
	v_mul_f32_e32 v9, s15, v1
.LBB99_9:
	s_or_b32 exec_lo, exec_lo, s4
	s_load_b32 s19, s[0:1], 0x38
	v_lshrrev_b32_e32 v55, 6, v0
	s_add_i32 s25, s18, -1
	v_and_b32_e32 v10, 63, v0
	s_lshl_b32 s14, s3, 7
	s_xor_b32 s26, s24, -1
	v_min_i32_e32 v1, s25, v55
	v_cmp_le_i32_e64 s4, s18, v55
	v_or_b32_e32 v0, s14, v10
	s_delay_alu instid0(VALU_DEP_1) | instskip(NEXT) | instid1(VALU_DEP_1)
	v_cmp_le_i32_e64 s2, s17, v0
	s_or_b32 s5, s2, s4
	s_waitcnt lgkmcnt(0)
	v_mad_i64_i32 v[4:5], null, s19, v1, 0
	v_ashrrev_i32_e32 v1, 31, v0
	s_delay_alu instid0(VALU_DEP_2) | instskip(NEXT) | instid1(VALU_DEP_1)
	v_lshlrev_b64 v[5:6], 2, v[4:5]
	v_add_co_u32 v5, s3, s20, v5
	s_delay_alu instid0(VALU_DEP_1) | instskip(SKIP_1) | instid1(SALU_CYCLE_1)
	v_add_co_ci_u32_e64 v6, s3, s21, v6, s3
	s_or_b32 s3, s5, s26
	s_xor_b32 s3, s3, -1
	s_delay_alu instid0(SALU_CYCLE_1)
	s_and_saveexec_b32 s5, s3
	s_cbranch_execz .LBB99_11
; %bb.10:
	v_lshlrev_b64 v[11:12], 2, v[0:1]
	s_delay_alu instid0(VALU_DEP_1) | instskip(NEXT) | instid1(VALU_DEP_1)
	v_add_co_u32 v11, s3, v5, v11
	v_add_co_ci_u32_e64 v12, s3, v6, v12, s3
	flat_load_b32 v4, v[11:12]
	s_waitcnt vmcnt(0) lgkmcnt(0)
	v_mul_f32_e32 v8, s15, v4
.LBB99_11:
	s_or_b32 exec_lo, exec_lo, s5
	v_or_b32_e32 v4, 64, v0
	v_mov_b32_e32 v11, 0
	s_delay_alu instid0(VALU_DEP_2) | instskip(SKIP_1) | instid1(VALU_DEP_2)
	v_cmp_le_i32_e64 s3, s17, v4
	v_mov_b32_e32 v4, 0
	s_or_b32 s4, s3, s4
	s_delay_alu instid0(SALU_CYCLE_1) | instskip(NEXT) | instid1(SALU_CYCLE_1)
	s_or_b32 s4, s4, s26
	s_xor_b32 s4, s4, -1
	s_delay_alu instid0(SALU_CYCLE_1)
	s_and_saveexec_b32 s5, s4
	s_cbranch_execz .LBB99_13
; %bb.12:
	v_lshlrev_b64 v[11:12], 2, v[0:1]
	s_delay_alu instid0(VALU_DEP_1) | instskip(NEXT) | instid1(VALU_DEP_1)
	v_add_co_u32 v5, s4, v5, v11
	v_add_co_ci_u32_e64 v6, s4, v6, v12, s4
	flat_load_b32 v5, v[5:6] offset:256
	s_waitcnt vmcnt(0) lgkmcnt(0)
	v_mul_f32_e32 v11, s15, v5
.LBB99_13:
	s_or_b32 exec_lo, exec_lo, s5
	v_or_b32_e32 v5, 4, v54
	s_delay_alu instid0(VALU_DEP_1) | instskip(NEXT) | instid1(VALU_DEP_1)
	v_cmp_gt_i32_e64 s4, s18, v5
	s_and_b32 s4, s4, vcc_lo
	s_delay_alu instid0(SALU_CYCLE_1) | instskip(NEXT) | instid1(SALU_CYCLE_1)
	s_and_b32 s4, s24, s4
	s_and_saveexec_b32 s5, s4
	s_cbranch_execz .LBB99_15
; %bb.14:
	v_mad_i64_i32 v[4:5], null, v3, s28, 0
	s_delay_alu instid0(VALU_DEP_1) | instskip(NEXT) | instid1(VALU_DEP_1)
	v_lshlrev_b64 v[4:5], 2, v[4:5]
	v_add_co_u32 v4, s4, s22, v4
	s_delay_alu instid0(VALU_DEP_1) | instskip(NEXT) | instid1(VALU_DEP_2)
	v_add_co_ci_u32_e64 v5, s4, s23, v5, s4
	v_add_co_u32 v4, s4, v4, v2
	s_delay_alu instid0(VALU_DEP_1)
	v_add_co_ci_u32_e64 v5, s4, 0, v5, s4
	flat_load_b32 v4, v[4:5] offset:16
	s_waitcnt vmcnt(0) lgkmcnt(0)
	v_mul_f32_e32 v4, s15, v4
.LBB99_15:
	s_or_b32 exec_lo, exec_lo, s5
	v_add_nc_u32_e32 v12, 4, v55
	s_delay_alu instid0(VALU_DEP_1) | instskip(SKIP_1) | instid1(VALU_DEP_2)
	v_min_i32_e32 v13, s25, v12
	v_cmp_le_i32_e64 s4, s18, v12
	v_mad_i64_i32 v[5:6], null, s19, v13, 0
	s_delay_alu instid0(VALU_DEP_2) | instskip(NEXT) | instid1(VALU_DEP_1)
	s_or_b32 s27, s2, s4
	v_lshlrev_b64 v[12:13], 2, v[5:6]
	v_dual_mov_b32 v5, 0 :: v_dual_mov_b32 v6, 0
	s_delay_alu instid0(VALU_DEP_2) | instskip(NEXT) | instid1(VALU_DEP_1)
	v_add_co_u32 v12, s5, s20, v12
	v_add_co_ci_u32_e64 v13, s5, s21, v13, s5
	s_or_b32 s5, s27, s26
	s_delay_alu instid0(SALU_CYCLE_1) | instskip(NEXT) | instid1(SALU_CYCLE_1)
	s_xor_b32 s5, s5, -1
	s_and_saveexec_b32 s27, s5
	s_cbranch_execz .LBB99_17
; %bb.16:
	v_lshlrev_b64 v[14:15], 2, v[0:1]
	s_delay_alu instid0(VALU_DEP_1) | instskip(NEXT) | instid1(VALU_DEP_1)
	v_add_co_u32 v14, s5, v12, v14
	v_add_co_ci_u32_e64 v15, s5, v13, v15, s5
	flat_load_b32 v6, v[14:15]
	s_waitcnt vmcnt(0) lgkmcnt(0)
	v_mul_f32_e32 v6, s15, v6
.LBB99_17:
	s_or_b32 exec_lo, exec_lo, s27
	s_or_b32 s4, s3, s4
	s_delay_alu instid0(SALU_CYCLE_1) | instskip(NEXT) | instid1(SALU_CYCLE_1)
	s_or_b32 s4, s4, s26
	s_xor_b32 s4, s4, -1
	s_delay_alu instid0(SALU_CYCLE_1)
	s_and_saveexec_b32 s5, s4
	s_cbranch_execz .LBB99_19
; %bb.18:
	v_lshlrev_b64 v[14:15], 2, v[0:1]
	s_delay_alu instid0(VALU_DEP_1) | instskip(NEXT) | instid1(VALU_DEP_1)
	v_add_co_u32 v12, s4, v12, v14
	v_add_co_ci_u32_e64 v13, s4, v13, v15, s4
	flat_load_b32 v5, v[12:13] offset:256
	s_waitcnt vmcnt(0) lgkmcnt(0)
	v_mul_f32_e32 v5, s15, v5
.LBB99_19:
	s_or_b32 exec_lo, exec_lo, s5
	v_lshlrev_b32_e32 v12, 2, v55
	v_lshl_or_b32 v7, v7, 4, v2
	v_lshlrev_b32_e32 v57, 4, v53
	v_lshlrev_b32_e32 v56, 4, v52
	s_mov_b32 s27, 0
	v_lshl_add_u32 v58, v10, 4, v12
	s_cmp_lt_i32 s18, 9
	ds_store_b32 v7, v9 offset:4096
	ds_store_2addr_stride64_b32 v58, v8, v11 offset1:4
	s_waitcnt lgkmcnt(0)
	s_barrier
	buffer_gl0_inv
	ds_load_b128 v[8:11], v57
	ds_load_b128 v[12:15], v56 offset:4096
	ds_load_b128 v[16:19], v56 offset:4224
	;; [unrolled: 1-line block ×11, first 2 shown]
	ds_store_b32 v7, v4 offset:5120
	ds_store_2addr_stride64_b32 v58, v6, v5 offset0:8 offset1:12
	s_waitcnt lgkmcnt(0)
	s_barrier
	buffer_gl0_inv
	v_dual_max_f32 v8, v8, v8 :: v_dual_max_f32 v13, v13, v13
	v_dual_max_f32 v12, v12, v12 :: v_dual_max_f32 v17, v17, v17
	;; [unrolled: 1-line block ×9, first 2 shown]
	v_max_f32_e32 v9, v9, v9
	v_min_f32_e32 v63, v12, v8
	v_min_f32_e32 v65, v16, v8
	;; [unrolled: 1-line block ×3, first 2 shown]
	s_delay_alu instid0(VALU_DEP_4)
	v_dual_min_f32 v69, v24, v8 :: v_dual_min_f32 v70, v25, v9
	v_dual_min_f32 v71, v28, v8 :: v_dual_min_f32 v72, v29, v9
	;; [unrolled: 1-line block ×4, first 2 shown]
	v_dual_min_f32 v8, v40, v8 :: v_dual_max_f32 v45, v45, v45
	v_dual_max_f32 v44, v44, v44 :: v_dual_max_f32 v15, v15, v15
	v_min_f32_e32 v64, v13, v9
	v_min_f32_e32 v66, v17, v9
	v_max_f32_e32 v10, v10, v10
	s_delay_alu instid0(VALU_DEP_4)
	v_dual_max_f32 v14, v14, v14 :: v_dual_min_f32 v77, v12, v44
	v_dual_min_f32 v78, v13, v45 :: v_dual_max_f32 v19, v19, v19
	v_dual_max_f32 v18, v18, v18 :: v_dual_min_f32 v79, v16, v44
	v_dual_max_f32 v22, v22, v22 :: v_dual_min_f32 v81, v20, v44
	;; [unrolled: 1-line block ×5, first 2 shown]
	v_dual_max_f32 v48, v48, v48 :: v_dual_max_f32 v39, v39, v39
	v_dual_min_f32 v88, v36, v44 :: v_dual_max_f32 v43, v43, v43
	v_dual_min_f32 v44, v40, v44 :: v_dual_max_f32 v49, v49, v49
	v_dual_max_f32 v59, v59, v59 :: v_dual_max_f32 v60, v60, v60
	v_min_f32_e32 v68, v21, v9
	v_min_f32_e32 v9, v41, v9
	v_dual_min_f32 v80, v17, v45 :: v_dual_max_f32 v23, v23, v23
	v_dual_min_f32 v82, v21, v45 :: v_dual_max_f32 v27, v27, v27
	;; [unrolled: 1-line block ×4, first 2 shown]
	v_dual_max_f32 v38, v38, v38 :: v_dual_min_f32 v89, v12, v48
	v_dual_min_f32 v90, v16, v48 :: v_dual_max_f32 v51, v51, v51
	v_dual_max_f32 v46, v46, v46 :: v_dual_min_f32 v91, v20, v48
	v_dual_min_f32 v101, v24, v48 :: v_dual_max_f32 v50, v50, v50
	v_dual_max_f32 v117, v61, v61 :: v_dual_min_f32 v126, v28, v48
	v_dual_max_f32 v125, v62, v62 :: v_dual_min_f32 v128, v36, v48
	v_dual_min_f32 v127, v32, v48 :: v_dual_min_f32 v92, v33, v45
	v_dual_min_f32 v48, v40, v48 :: v_dual_min_f32 v93, v37, v45
	;; [unrolled: 1-line block ×7, first 2 shown]
	v_min_f32_e32 v32, v32, v59
	v_min_f32_e32 v36, v36, v59
	v_dual_min_f32 v40, v40, v59 :: v_dual_min_f32 v17, v17, v60
	v_dual_min_f32 v94, v13, v49 :: v_dual_add_f32 v59, 0, v64
	v_dual_min_f32 v130, v25, v49 :: v_dual_min_f32 v61, v15, v11
	v_min_f32_e32 v132, v33, v49
	v_dual_min_f32 v21, v21, v60 :: v_dual_add_f32 v62, 0, v63
	v_dual_min_f32 v25, v25, v60 :: v_dual_add_f32 v64, 0, v66
	v_dual_min_f32 v29, v29, v60 :: v_dual_min_f32 v66, v19, v11
	v_dual_min_f32 v33, v33, v60 :: v_dual_min_f32 v96, v18, v10
	v_min_f32_e32 v63, v14, v10
	v_add_f32_e32 v65, 0, v65
	v_min_f32_e32 v49, v41, v49
	v_min_f32_e32 v13, v13, v60
	v_dual_min_f32 v37, v37, v60 :: v_dual_add_f32 v124, v59, v61
	v_min_f32_e32 v41, v41, v60
	v_dual_add_f32 v121, v64, v66 :: v_dual_min_f32 v64, v27, v11
	v_dual_add_f32 v59, 0, v68 :: v_dual_min_f32 v66, v26, v10
	v_min_f32_e32 v60, v23, v11
	v_dual_add_f32 v123, v62, v63 :: v_dual_add_f32 v122, v65, v96
	v_min_f32_e32 v62, v22, v10
	v_dual_add_f32 v63, 0, v70 :: v_dual_min_f32 v68, v31, v11
	v_add_f32_e32 v65, 0, v69
	v_add_f32_e32 v61, 0, v67
	;; [unrolled: 1-line block ×3, first 2 shown]
	v_dual_add_f32 v119, v59, v60 :: v_dual_max_f32 v42, v42, v42
	s_delay_alu instid0(VALU_DEP_4) | instskip(NEXT) | instid1(VALU_DEP_4)
	v_dual_max_f32 v47, v47, v47 :: v_dual_add_f32 v118, v65, v66
	v_dual_add_f32 v120, v61, v62 :: v_dual_add_f32 v61, 0, v71
	v_min_f32_e32 v62, v30, v10
	v_dual_add_f32 v60, v67, v68 :: v_dual_add_f32 v65, 0, v73
	v_min_f32_e32 v68, v39, v11
	v_dual_min_f32 v66, v34, v10 :: v_dual_add_f32 v59, v63, v64
	v_min_f32_e32 v70, v38, v10
	v_dual_add_f32 v63, 0, v74 :: v_dual_min_f32 v64, v35, v11
	v_add_f32_e32 v67, 0, v76
	v_dual_add_f32 v61, v61, v62 :: v_dual_add_f32 v8, 0, v8
	v_dual_add_f32 v62, v65, v66 :: v_dual_add_f32 v69, 0, v75
	s_delay_alu instid0(VALU_DEP_4) | instskip(NEXT) | instid1(VALU_DEP_4)
	v_dual_add_f32 v63, v63, v64 :: v_dual_min_f32 v10, v42, v10
	v_dual_add_f32 v64, v67, v68 :: v_dual_add_f32 v9, 0, v9
	v_add_f32_e32 v66, 0, v78
	s_delay_alu instid0(VALU_DEP_4) | instskip(SKIP_4) | instid1(VALU_DEP_4)
	v_dual_add_f32 v65, v69, v70 :: v_dual_add_f32 v68, 0, v77
	v_dual_min_f32 v11, v43, v11 :: v_dual_add_f32 v70, 0, v80
	v_min_f32_e32 v71, v19, v47
	v_dual_min_f32 v67, v15, v47 :: v_dual_add_f32 v116, v8, v10
	v_dual_min_f32 v69, v14, v46 :: v_dual_add_f32 v8, 0, v79
	v_add_f32_e32 v115, v9, v11
	v_min_f32_e32 v9, v18, v46
	v_dual_add_f32 v10, 0, v82 :: v_dual_add_f32 v111, v70, v71
	v_add_f32_e32 v70, 0, v83
	s_delay_alu instid0(VALU_DEP_3)
	v_dual_min_f32 v11, v23, v47 :: v_dual_add_f32 v112, v8, v9
	v_dual_add_f32 v114, v66, v67 :: v_dual_add_f32 v113, v68, v69
	v_dual_add_f32 v66, 0, v81 :: v_dual_min_f32 v67, v22, v46
	v_dual_add_f32 v68, 0, v84 :: v_dual_min_f32 v69, v27, v47
	v_add_f32_e32 v8, 0, v86
	v_min_f32_e32 v71, v26, v46
	v_add_f32_e32 v110, v10, v11
	v_dual_min_f32 v9, v31, v47 :: v_dual_add_f32 v10, 0, v85
	v_min_f32_e32 v11, v30, v46
	v_add_f32_e32 v109, v66, v67
	v_dual_add_f32 v107, v68, v69 :: v_dual_add_f32 v66, 0, v92
	s_delay_alu instid0(VALU_DEP_4)
	v_dual_add_f32 v108, v70, v71 :: v_dual_add_f32 v105, v8, v9
	v_min_f32_e32 v67, v35, v47
	v_dual_add_f32 v68, 0, v87 :: v_dual_min_f32 v69, v34, v46
	v_add_f32_e32 v44, 0, v44
	v_add_f32_e32 v106, v10, v11
	v_dual_add_f32 v8, 0, v88 :: v_dual_min_f32 v9, v38, v46
	v_dual_add_f32 v10, 0, v45 :: v_dual_min_f32 v11, v43, v47
	v_min_f32_e32 v45, v42, v46
	v_dual_min_f32 v71, v39, v47 :: v_dual_add_f32 v46, 0, v94
	s_delay_alu instid0(VALU_DEP_3)
	v_dual_add_f32 v102, v8, v9 :: v_dual_add_f32 v99, v10, v11
	v_add_f32_e32 v10, 0, v90
	v_add_f32_e32 v8, 0, v95
	v_dual_min_f32 v47, v15, v51 :: v_dual_add_f32 v98, v44, v45
	v_min_f32_e32 v11, v18, v50
	v_min_f32_e32 v45, v23, v51
	v_dual_min_f32 v9, v19, v51 :: v_dual_add_f32 v70, 0, v93
	s_delay_alu instid0(VALU_DEP_4) | instskip(SKIP_1) | instid1(VALU_DEP_3)
	v_dual_add_f32 v97, v46, v47 :: v_dual_add_f32 v44, 0, v129
	v_dual_add_f32 v46, 0, v91 :: v_dual_min_f32 v47, v22, v50
	v_add_f32_e32 v94, v8, v9
	v_dual_add_f32 v8, 0, v101 :: v_dual_add_f32 v95, v10, v11
	v_dual_min_f32 v9, v26, v50 :: v_dual_add_f32 v10, 0, v131
	v_add_f32_e32 v104, v66, v67
	v_dual_add_f32 v66, 0, v89 :: v_dual_min_f32 v67, v14, v50
	v_min_f32_e32 v11, v31, v51
	v_dual_add_f32 v100, v70, v71 :: v_dual_add_f32 v13, 0, v13
	v_add_f32_e32 v92, v44, v45
	s_delay_alu instid0(VALU_DEP_4)
	v_dual_add_f32 v96, v66, v67 :: v_dual_min_f32 v15, v15, v125
	v_dual_add_f32 v66, 0, v130 :: v_dual_min_f32 v67, v27, v51
	v_add_f32_e32 v44, 0, v126
	v_min_f32_e32 v45, v30, v50
	v_dual_add_f32 v93, v46, v47 :: v_dual_add_f32 v46, 0, v132
	v_min_f32_e32 v47, v35, v51
	v_add_f32_e32 v91, v8, v9
	v_dual_add_f32 v8, 0, v133 :: v_dual_add_f32 v89, v10, v11
	v_dual_min_f32 v9, v39, v51 :: v_dual_add_f32 v10, 0, v128
	v_dual_min_f32 v11, v38, v50 :: v_dual_add_f32 v80, v13, v15
	v_dual_add_f32 v88, v44, v45 :: v_dual_add_f32 v87, v46, v47
	s_delay_alu instid0(VALU_DEP_3) | instskip(SKIP_4) | instid1(VALU_DEP_4)
	v_add_f32_e32 v84, v8, v9
	v_dual_add_f32 v44, 0, v49 :: v_dual_min_f32 v45, v43, v51
	v_dual_add_f32 v46, 0, v48 :: v_dual_min_f32 v47, v42, v50
	v_dual_add_f32 v85, v10, v11 :: v_dual_add_f32 v8, 0, v12
	v_add_f32_e32 v10, 0, v17
	v_dual_add_f32 v90, v66, v67 :: v_dual_add_f32 v83, v44, v45
	v_min_f32_e32 v67, v34, v50
	v_dual_add_f32 v13, 0, v24 :: v_dual_min_f32 v14, v14, v117
	v_dual_add_f32 v66, 0, v127 :: v_dual_add_f32 v11, 0, v20
	v_add_f32_e32 v12, 0, v21
	v_dual_add_f32 v82, v46, v47 :: v_dual_add_f32 v17, 0, v29
	v_add_f32_e32 v24, 0, v36
	v_dual_min_f32 v18, v18, v117 :: v_dual_add_f32 v81, v8, v14
	v_min_f32_e32 v8, v22, v117
	v_dual_add_f32 v86, v66, v67 :: v_dual_add_f32 v9, 0, v16
	v_dual_add_f32 v16, 0, v28 :: v_dual_add_f32 v103, v68, v69
	s_delay_alu instid0(VALU_DEP_3) | instskip(SKIP_4) | instid1(VALU_DEP_4)
	v_dual_add_f32 v77, v11, v8 :: v_dual_min_f32 v8, v26, v117
	v_min_f32_e32 v11, v30, v117
	v_min_f32_e32 v19, v19, v125
	v_dual_add_f32 v15, 0, v25 :: v_dual_add_f32 v20, 0, v32
	v_dual_add_f32 v21, 0, v33 :: v_dual_add_f32 v28, 0, v40
	v_add_f32_e32 v72, v16, v11
	s_delay_alu instid0(VALU_DEP_4) | instskip(SKIP_3) | instid1(VALU_DEP_4)
	v_dual_add_f32 v79, v10, v19 :: v_dual_min_f32 v10, v31, v125
	v_dual_add_f32 v25, 0, v37 :: v_dual_add_f32 v78, v9, v18
	v_min_f32_e32 v11, v43, v125
	v_add_f32_e32 v75, v13, v8
	v_dual_add_f32 v73, v17, v10 :: v_dual_min_f32 v10, v38, v117
	s_delay_alu instid0(VALU_DEP_1) | instskip(NEXT) | instid1(VALU_DEP_1)
	v_dual_min_f32 v23, v23, v125 :: v_dual_add_f32 v68, v24, v10
	v_dual_add_f32 v29, 0, v41 :: v_dual_add_f32 v76, v12, v23
	v_min_f32_e32 v12, v42, v117
	v_min_f32_e32 v9, v27, v125
	s_delay_alu instid0(VALU_DEP_3) | instskip(NEXT) | instid1(VALU_DEP_3)
	v_dual_min_f32 v8, v34, v117 :: v_dual_add_f32 v67, v29, v11
	v_add_f32_e32 v66, v28, v12
	s_delay_alu instid0(VALU_DEP_3) | instskip(SKIP_1) | instid1(VALU_DEP_1)
	v_add_f32_e32 v74, v15, v9
	v_min_f32_e32 v9, v35, v125
	v_dual_add_f32 v71, v20, v8 :: v_dual_add_f32 v70, v21, v9
	v_min_f32_e32 v9, v39, v125
	s_delay_alu instid0(VALU_DEP_1)
	v_add_f32_e32 v69, v25, v9
	s_cbranch_scc1 .LBB99_34
; %bb.20:
	v_mad_i64_i32 v[4:5], null, s28, v3, 0
	v_lshlrev_b64 v[48:49], 2, v[0:1]
	v_add_nc_u32_e32 v101, 0x1000, v7
	v_add_nc_u32_e32 v117, 0x1000, v56
	;; [unrolled: 1-line block ×3, first 2 shown]
	v_or_b32_e32 v126, 0x800, v58
	v_lshl_add_u32 v127, v52, 4, 0x1400
	v_lshlrev_b64 v[3:4], 2, v[4:5]
	v_lshl_add_u32 v128, v53, 4, 0x800
	s_delay_alu instid0(VALU_DEP_2) | instskip(NEXT) | instid1(VALU_DEP_1)
	v_add_co_u32 v2, s4, v3, v2
	v_add_co_ci_u32_e64 v3, s4, 0, v4, s4
	s_delay_alu instid0(VALU_DEP_2) | instskip(NEXT) | instid1(VALU_DEP_1)
	v_add_co_u32 v2, s4, v2, s22
	v_add_co_ci_u32_e64 v3, s4, s23, v3, s4
	s_add_i32 s22, s18, -8
	s_delay_alu instid0(VALU_DEP_2) | instskip(NEXT) | instid1(VALU_DEP_1)
	v_add_co_u32 v50, s4, v2, 48
	v_add_co_ci_u32_e64 v51, s4, 0, v3, s4
	s_branch .LBB99_22
.LBB99_21:                              ;   in Loop: Header=BB99_22 Depth=1
	s_or_b32 exec_lo, exec_lo, s5
	v_dual_add_f32 v36, v123, v36 :: v_dual_add_f32 v41, v122, v41
	v_dual_add_f32 v40, v124, v40 :: v_dual_add_f32 v33, v118, v33
	;; [unrolled: 1-line block ×14, first 2 shown]
	v_add_f32_e32 v103, v104, v140
	v_dual_add_f32 v1, v84, v1 :: v_dual_add_f32 v78, v78, v160
	v_dual_add_f32 v81, v81, v158 :: v_dual_add_f32 v76, v76, v163
	;; [unrolled: 1-line block ×10, first 2 shown]
	ds_load_b128 v[20:23], v57
	ds_load_b128 v[28:31], v117
	v_dual_add_f32 v113, v12, v184 :: v_dual_add_f32 v114, v9, v175
	v_dual_add_f32 v76, v76, v26 :: v_dual_add_f32 v75, v75, v11
	;; [unrolled: 1-line block ×3, first 2 shown]
	ds_load_b128 v[8:11], v117 offset:128
	v_dual_add_f32 v4, v100, v4 :: v_dual_add_f32 v5, v98, v5
	v_dual_add_f32 v79, v79, v161 :: v_dual_add_f32 v72, v72, v166
	;; [unrolled: 1-line block ×4, first 2 shown]
	v_add_f32_e32 v98, v99, v142
	v_dual_add_f32 v83, v83, v157 :: v_dual_add_f32 v80, v80, v159
	v_dual_add_f32 v99, v41, v42 :: v_dual_add_f32 v100, v32, v35
	;; [unrolled: 1-line block ×10, first 2 shown]
	s_waitcnt lgkmcnt(2)
	v_dual_add_f32 v123, v46, v19 :: v_dual_max_f32 v20, v20, v20
	ds_load_b128 v[1:4], v117 offset:256
	ds_load_b128 v[12:15], v117 offset:384
	ds_load_b128 v[16:19], v117 offset:512
	ds_load_b128 v[24:27], v117 offset:640
	ds_load_b128 v[32:35], v57 offset:512
	v_dual_add_f32 v124, v43, v7 :: v_dual_max_f32 v21, v21, v21
	s_waitcnt lgkmcnt(6)
	v_dual_max_f32 v28, v28, v28 :: v_dual_max_f32 v29, v29, v29
	ds_load_b128 v[36:39], v117 offset:768
	ds_load_b128 v[40:43], v117 offset:896
	s_waitcnt lgkmcnt(7)
	v_max_f32_e32 v132, v8, v8
	v_dual_add_f32 v118, v45, v186 :: v_dual_add_f32 v63, v63, v180
	v_min_f32_e32 v133, v29, v21
	v_min_f32_e32 v131, v28, v20
	s_delay_alu instid0(VALU_DEP_4) | instskip(SKIP_1) | instid1(VALU_DEP_3)
	v_dual_max_f32 v9, v9, v9 :: v_dual_min_f32 v134, v132, v20
	v_dual_add_f32 v59, v59, v178 :: v_dual_add_f32 v62, v62, v188
	v_dual_add_f32 v66, v66, v133 :: v_dual_add_f32 v67, v67, v131
	s_waitcnt lgkmcnt(6)
	v_dual_max_f32 v2, v2, v2 :: v_dual_max_f32 v1, v1, v1
	s_waitcnt lgkmcnt(5)
	v_dual_max_f32 v12, v12, v12 :: v_dual_min_f32 v131, v9, v21
	v_add_f32_e32 v99, v99, v134
	s_waitcnt lgkmcnt(4)
	v_dual_max_f32 v13, v13, v13 :: v_dual_max_f32 v16, v16, v16
	s_delay_alu instid0(VALU_DEP_3)
	v_min_f32_e32 v134, v12, v20
	v_dual_add_f32 v84, v84, v131 :: v_dual_min_f32 v131, v2, v21
	s_waitcnt lgkmcnt(3)
	v_max_f32_e32 v24, v24, v24
	v_min_f32_e32 v133, v1, v20
	v_dual_max_f32 v25, v25, v25 :: v_dual_add_f32 v106, v106, v134
	v_dual_max_f32 v17, v17, v17 :: v_dual_add_f32 v100, v100, v131
	s_delay_alu instid0(VALU_DEP_2) | instskip(NEXT) | instid1(VALU_DEP_4)
	v_dual_min_f32 v131, v16, v20 :: v_dual_min_f32 v134, v25, v21
	v_add_f32_e32 v104, v104, v133
	s_waitcnt lgkmcnt(1)
	v_dual_min_f32 v133, v13, v21 :: v_dual_max_f32 v36, v36, v36
	s_delay_alu instid0(VALU_DEP_3) | instskip(NEXT) | instid1(VALU_DEP_2)
	v_dual_add_f32 v108, v108, v131 :: v_dual_max_f32 v37, v37, v37
	v_dual_max_f32 v32, v32, v32 :: v_dual_add_f32 v105, v105, v133
	s_waitcnt lgkmcnt(0)
	v_dual_min_f32 v133, v17, v21 :: v_dual_max_f32 v40, v40, v40
	v_max_f32_e32 v33, v33, v33
	v_min_f32_e32 v131, v24, v20
	v_max_f32_e32 v41, v41, v41
	s_delay_alu instid0(VALU_DEP_4) | instskip(SKIP_4) | instid1(VALU_DEP_3)
	v_add_f32_e32 v107, v107, v133
	v_min_f32_e32 v133, v36, v20
	v_min_f32_e32 v20, v40, v20
	v_dual_add_f32 v110, v110, v131 :: v_dual_min_f32 v131, v37, v21
	v_dual_add_f32 v98, v98, v200 :: v_dual_add_f32 v121, v5, v191
	v_add_f32_e32 v20, v114, v20
	s_delay_alu instid0(VALU_DEP_3)
	v_dual_add_f32 v112, v112, v133 :: v_dual_add_f32 v111, v111, v131
	v_min_f32_e32 v131, v28, v32
	v_dual_min_f32 v114, v132, v32 :: v_dual_min_f32 v21, v41, v21
	ds_load_b128 v[5:8], v57 offset:1024
	ds_load_b128 v[44:47], v57 offset:1536
	v_dual_add_f32 v65, v65, v181 :: v_dual_add_f32 v102, v102, v182
	v_dual_add_f32 v61, v61, v179 :: v_dual_add_f32 v64, v64, v189
	v_add_f32_e32 v21, v113, v21
	v_dual_add_f32 v113, v116, v131 :: v_dual_min_f32 v116, v2, v33
	v_dual_add_f32 v93, v93, v147 :: v_dual_add_f32 v92, v92, v148
	v_dual_add_f32 v91, v91, v149 :: v_dual_add_f32 v90, v90, v150
	s_delay_alu instid0(VALU_DEP_3) | instskip(SKIP_1) | instid1(VALU_DEP_4)
	v_add_f32_e32 v136, v60, v116
	v_min_f32_e32 v60, v17, v33
	v_dual_min_f32 v133, v29, v33 :: v_dual_add_f32 v92, v92, v203
	s_delay_alu instid0(VALU_DEP_4) | instskip(NEXT) | instid1(VALU_DEP_3)
	v_dual_add_f32 v93, v93, v194 :: v_dual_add_f32 v90, v90, v204
	v_dual_add_f32 v91, v91, v195 :: v_dual_add_f32 v140, v64, v60
	s_waitcnt lgkmcnt(1)
	s_delay_alu instid0(VALU_DEP_3) | instskip(SKIP_4) | instid1(VALU_DEP_4)
	v_dual_add_f32 v131, v115, v133 :: v_dual_max_f32 v6, v6, v6
	v_dual_add_f32 v133, v119, v114 :: v_dual_min_f32 v114, v1, v32
	v_min_f32_e32 v115, v9, v33
	v_dual_min_f32 v119, v12, v32 :: v_dual_min_f32 v60, v37, v33
	v_add_f32_e32 v109, v109, v134
	v_add_f32_e32 v135, v59, v114
	v_min_f32_e32 v59, v16, v32
	v_max_f32_e32 v5, v5, v5
	v_add_f32_e32 v137, v61, v119
	v_min_f32_e32 v61, v24, v32
	v_dual_add_f32 v95, v95, v145 :: v_dual_add_f32 v94, v94, v146
	v_add_f32_e32 v139, v63, v59
	v_min_f32_e32 v59, v36, v32
	v_min_f32_e32 v32, v40, v32
	v_dual_add_f32 v134, v118, v115 :: v_dual_min_f32 v115, v13, v33
	v_add_f32_e32 v142, v120, v60
	v_dual_add_f32 v96, v96, v143 :: v_dual_add_f32 v97, v97, v144
	v_dual_add_f32 v94, v94, v202 :: v_dual_add_f32 v95, v95, v193
	s_delay_alu instid0(VALU_DEP_4) | instskip(SKIP_1) | instid1(VALU_DEP_4)
	v_add_f32_e32 v138, v62, v115
	v_min_f32_e32 v62, v25, v33
	v_dual_add_f32 v97, v97, v201 :: v_dual_add_f32 v96, v96, v192
	v_min_f32_e32 v60, v29, v6
	s_waitcnt lgkmcnt(0)
	v_max_f32_e32 v45, v45, v45
	v_dual_add_f32 v103, v103, v62 :: v_dual_min_f32 v62, v12, v5
	v_dual_add_f32 v86, v86, v153 :: v_dual_add_f32 v87, v87, v154
	v_add_f32_e32 v97, v97, v60
	s_delay_alu instid0(VALU_DEP_3)
	v_dual_min_f32 v60, v1, v5 :: v_dual_add_f32 v91, v91, v62
	v_min_f32_e32 v62, v25, v6
	v_dual_add_f32 v102, v102, v59 :: v_dual_min_f32 v59, v28, v5
	v_dual_add_f32 v141, v65, v61 :: v_dual_add_f32 v88, v88, v151
	v_add_f32_e32 v89, v89, v152
	v_dual_add_f32 v87, v87, v206 :: v_dual_add_f32 v86, v86, v197
	s_delay_alu instid0(VALU_DEP_4) | instskip(NEXT) | instid1(VALU_DEP_3)
	v_dual_add_f32 v96, v96, v59 :: v_dual_min_f32 v59, v9, v6
	v_dual_add_f32 v89, v89, v205 :: v_dual_add_f32 v88, v88, v196
	v_dual_add_f32 v81, v81, v208 :: v_dual_add_f32 v78, v78, v209
	s_delay_alu instid0(VALU_DEP_3) | instskip(SKIP_3) | instid1(VALU_DEP_4)
	v_dual_add_f32 v94, v94, v59 :: v_dual_min_f32 v59, v13, v6
	v_add_f32_e32 v93, v93, v60
	v_dual_max_f32 v44, v44, v44 :: v_dual_add_f32 v85, v85, v155
	v_add_f32_e32 v82, v82, v156
	v_add_f32_e32 v90, v90, v59
	v_min_f32_e32 v60, v16, v5
	v_min_f32_e32 v33, v41, v33
	;; [unrolled: 1-line block ×3, first 2 shown]
	v_dual_min_f32 v59, v17, v6 :: v_dual_min_f32 v12, v12, v44
	s_delay_alu instid0(VALU_DEP_3) | instskip(NEXT) | instid1(VALU_DEP_3)
	v_dual_add_f32 v88, v88, v60 :: v_dual_add_f32 v33, v98, v33
	v_dual_add_f32 v95, v95, v61 :: v_dual_min_f32 v28, v28, v44
	v_min_f32_e32 v61, v2, v6
	v_dual_add_f32 v85, v85, v198 :: v_dual_add_f32 v82, v82, v207
	v_dual_add_f32 v80, v80, v212 :: v_dual_add_f32 v79, v79, v213
	v_dual_min_f32 v60, v36, v5 :: v_dual_add_f32 v89, v89, v59
	v_dual_min_f32 v16, v16, v44 :: v_dual_min_f32 v59, v37, v6
	v_add_f32_e32 v28, v81, v28
	v_add_f32_e32 v92, v92, v61
	v_dual_min_f32 v61, v24, v5 :: v_dual_add_f32 v12, v75, v12
	v_min_f32_e32 v24, v24, v44
	v_min_f32_e32 v5, v40, v5
	v_dual_min_f32 v36, v36, v44 :: v_dual_min_f32 v29, v29, v45
	v_dual_max_f32 v22, v22, v22 :: v_dual_max_f32 v23, v23, v23
	v_max_f32_e32 v31, v31, v31
	s_delay_alu instid0(VALU_DEP_3)
	v_dual_add_f32 v143, v122, v59 :: v_dual_add_f32 v36, v68, v36
	v_dual_min_f32 v59, v132, v44 :: v_dual_max_f32 v30, v30, v30
	v_add_f32_e32 v29, v80, v29
	v_dual_min_f32 v1, v1, v44 :: v_dual_max_f32 v10, v10, v10
	v_dual_add_f32 v24, v71, v24 :: v_dual_add_f32 v5, v82, v5
	v_dual_min_f32 v40, v40, v44 :: v_dual_min_f32 v9, v9, v45
	v_dual_min_f32 v44, v31, v23 :: v_dual_min_f32 v13, v13, v45
	s_delay_alu instid0(VALU_DEP_4) | instskip(NEXT) | instid1(VALU_DEP_3)
	v_dual_max_f32 v4, v4, v4 :: v_dual_add_f32 v1, v77, v1
	v_dual_add_f32 v40, v124, v40 :: v_dual_add_f32 v9, v79, v9
	s_delay_alu instid0(VALU_DEP_3) | instskip(SKIP_3) | instid1(VALU_DEP_3)
	v_add_f32_e32 v124, v66, v44
	v_dual_min_f32 v44, v10, v22 :: v_dual_max_f32 v3, v3, v3
	v_max_f32_e32 v34, v34, v34
	v_add_f32_e32 v13, v74, v13
	v_dual_min_f32 v25, v25, v45 :: v_dual_add_f32 v122, v99, v44
	s_delay_alu instid0(VALU_DEP_4) | instskip(SKIP_3) | instid1(VALU_DEP_4)
	v_dual_min_f32 v44, v3, v22 :: v_dual_min_f32 v37, v37, v45
	v_min_f32_e32 v6, v41, v6
	v_min_f32_e32 v2, v2, v45
	v_dual_min_f32 v17, v17, v45 :: v_dual_max_f32 v14, v14, v14
	v_dual_min_f32 v41, v41, v45 :: v_dual_add_f32 v120, v104, v44
	v_dual_add_f32 v37, v69, v37 :: v_dual_max_f32 v26, v26, v26
	v_max_f32_e32 v27, v27, v27
	v_min_f32_e32 v45, v30, v22
	v_dual_add_f32 v87, v87, v62 :: v_dual_add_f32 v16, v72, v16
	s_delay_alu instid0(VALU_DEP_4) | instskip(NEXT) | instid1(VALU_DEP_3)
	v_dual_min_f32 v62, v26, v22 :: v_dual_add_f32 v41, v123, v41
	v_dual_add_f32 v123, v67, v45 :: v_dual_max_f32 v42, v42, v42
	v_min_f32_e32 v45, v4, v23
	v_max_f32_e32 v19, v19, v19
	v_dual_max_f32 v35, v35, v35 :: v_dual_max_f32 v8, v8, v8
	v_dual_add_f32 v85, v85, v60 :: v_dual_add_f32 v2, v76, v2
	s_delay_alu instid0(VALU_DEP_4) | instskip(SKIP_3) | instid1(VALU_DEP_3)
	v_add_f32_e32 v119, v100, v45
	v_min_f32_e32 v45, v14, v22
	v_dual_add_f32 v17, v73, v17 :: v_dual_max_f32 v18, v18, v18
	v_dual_max_f32 v11, v11, v11 :: v_dual_max_f32 v38, v38, v38
	v_add_f32_e32 v118, v106, v45
	v_dual_add_f32 v25, v70, v25 :: v_dual_min_f32 v44, v19, v23
	v_add_f32_e32 v78, v78, v59
	s_delay_alu instid0(VALU_DEP_4) | instskip(SKIP_1) | instid1(VALU_DEP_4)
	v_min_f32_e32 v59, v11, v23
	v_max_f32_e32 v15, v15, v15
	v_dual_min_f32 v45, v18, v22 :: v_dual_add_f32 v60, v107, v44
	v_min_f32_e32 v44, v27, v23
	v_dual_max_f32 v39, v39, v39 :: v_dual_add_f32 v32, v121, v32
	v_add_f32_e32 v86, v86, v61
	s_delay_alu instid0(VALU_DEP_4) | instskip(NEXT) | instid1(VALU_DEP_4)
	v_add_f32_e32 v61, v108, v45
	v_dual_add_f32 v63, v109, v44 :: v_dual_min_f32 v44, v38, v22
	s_delay_alu instid0(VALU_DEP_4) | instskip(SKIP_2) | instid1(VALU_DEP_3)
	v_dual_min_f32 v22, v42, v22 :: v_dual_min_f32 v45, v39, v23
	v_add_f32_e32 v121, v84, v59
	v_min_f32_e32 v59, v15, v23
	v_dual_max_f32 v43, v43, v43 :: v_dual_add_f32 v116, v20, v22
	v_dual_min_f32 v20, v10, v34 :: v_dual_add_f32 v65, v112, v44
	s_delay_alu instid0(VALU_DEP_3) | instskip(NEXT) | instid1(VALU_DEP_2)
	v_dual_add_f32 v59, v105, v59 :: v_dual_min_f32 v22, v3, v34
	v_dual_min_f32 v23, v43, v23 :: v_dual_add_f32 v112, v133, v20
	v_dual_min_f32 v20, v14, v34 :: v_dual_max_f32 v7, v7, v7
	s_delay_alu instid0(VALU_DEP_3) | instskip(SKIP_2) | instid1(VALU_DEP_4)
	v_add_f32_e32 v109, v135, v22
	v_min_f32_e32 v22, v27, v35
	v_add_f32_e32 v62, v110, v62
	v_add_f32_e32 v108, v137, v20
	v_min_f32_e32 v20, v18, v34
	v_add_f32_e32 v6, v83, v6
	v_add_f32_e32 v104, v103, v22
	v_dual_min_f32 v22, v42, v34 :: v_dual_add_f32 v115, v21, v23
	s_delay_alu instid0(VALU_DEP_4) | instskip(SKIP_2) | instid1(VALU_DEP_4)
	v_add_f32_e32 v106, v139, v20
	v_dual_min_f32 v23, v15, v35 :: v_dual_min_f32 v20, v38, v34
	v_dual_add_f32 v64, v111, v45 :: v_dual_min_f32 v45, v30, v34
	v_dual_min_f32 v21, v11, v35 :: v_dual_add_f32 v98, v32, v22
	s_delay_alu instid0(VALU_DEP_3) | instskip(NEXT) | instid1(VALU_DEP_3)
	v_add_f32_e32 v102, v102, v20
	v_dual_min_f32 v20, v31, v8 :: v_dual_add_f32 v113, v113, v45
	v_dual_min_f32 v22, v4, v8 :: v_dual_add_f32 v107, v138, v23
	v_min_f32_e32 v23, v26, v34
	s_delay_alu instid0(VALU_DEP_3) | instskip(NEXT) | instid1(VALU_DEP_3)
	v_dual_add_f32 v97, v97, v20 :: v_dual_min_f32 v20, v10, v7
	v_add_f32_e32 v92, v92, v22
	v_min_f32_e32 v22, v18, v7
	s_delay_alu instid0(VALU_DEP_4) | instskip(SKIP_4) | instid1(VALU_DEP_4)
	v_add_f32_e32 v103, v141, v23
	v_min_f32_e32 v23, v30, v7
	v_add_f32_e32 v111, v134, v21
	v_min_f32_e32 v21, v4, v35
	v_dual_add_f32 v95, v95, v20 :: v_dual_min_f32 v20, v14, v7
	v_dual_add_f32 v96, v96, v23 :: v_dual_min_f32 v23, v15, v8
	v_add_f32_e32 v88, v88, v22
	v_max_f32_e32 v22, v47, v47
	s_delay_alu instid0(VALU_DEP_4) | instskip(SKIP_2) | instid1(VALU_DEP_4)
	v_add_f32_e32 v91, v91, v20
	v_min_f32_e32 v20, v27, v8
	v_dual_add_f32 v110, v136, v21 :: v_dual_min_f32 v21, v19, v35
	v_min_f32_e32 v4, v4, v22
	s_delay_alu instid0(VALU_DEP_3) | instskip(NEXT) | instid1(VALU_DEP_3)
	v_dual_add_f32 v90, v90, v23 :: v_dual_add_f32 v87, v87, v20
	v_dual_min_f32 v44, v31, v35 :: v_dual_add_f32 v105, v140, v21
	s_delay_alu instid0(VALU_DEP_3) | instskip(SKIP_2) | instid1(VALU_DEP_3)
	v_dual_min_f32 v21, v39, v35 :: v_dual_add_f32 v76, v2, v4
	v_dual_min_f32 v2, v15, v22 :: v_dual_min_f32 v23, v26, v7
	v_min_f32_e32 v20, v38, v7
	v_dual_add_f32 v100, v142, v21 :: v_dual_min_f32 v21, v43, v35
	s_delay_alu instid0(VALU_DEP_3) | instskip(NEXT) | instid1(VALU_DEP_4)
	v_add_f32_e32 v74, v13, v2
	v_dual_add_f32 v86, v86, v23 :: v_dual_min_f32 v23, v31, v22
	s_delay_alu instid0(VALU_DEP_3) | instskip(SKIP_2) | instid1(VALU_DEP_4)
	v_dual_min_f32 v2, v27, v22 :: v_dual_add_f32 v99, v33, v21
	v_min_f32_e32 v21, v11, v8
	v_add_f32_e32 v85, v85, v20
	v_add_f32_e32 v80, v29, v23
	s_delay_alu instid0(VALU_DEP_4) | instskip(SKIP_4) | instid1(VALU_DEP_3)
	v_add_f32_e32 v70, v25, v2
	v_min_f32_e32 v2, v39, v22
	v_dual_add_f32 v94, v94, v21 :: v_dual_min_f32 v21, v3, v7
	v_min_f32_e32 v7, v42, v7
	v_add_co_u32 v50, s4, v50, 32
	v_dual_add_f32 v114, v131, v44 :: v_dual_add_f32 v93, v93, v21
	s_delay_alu instid0(VALU_DEP_3) | instskip(SKIP_2) | instid1(VALU_DEP_3)
	v_dual_min_f32 v21, v19, v8 :: v_dual_add_f32 v82, v5, v7
	v_add_f32_e32 v69, v37, v2
	v_add_co_ci_u32_e64 v51, s4, 0, v51, s4
	v_add_f32_e32 v89, v89, v21
	v_min_f32_e32 v21, v39, v8
	v_min_f32_e32 v8, v43, v8
	s_add_i32 s27, s27, 8
	ds_store_b32 v125, v129
	ds_store_2addr_stride64_b32 v126, v130, v0 offset1:4
	s_cmp_ge_i32 s27, s22
	v_dual_add_f32 v84, v143, v21 :: v_dual_max_f32 v21, v46, v46
	v_dual_add_f32 v83, v6, v8 :: v_dual_min_f32 v6, v11, v22
	s_waitcnt lgkmcnt(0)
	s_barrier
	s_delay_alu instid0(VALU_DEP_2) | instskip(SKIP_4) | instid1(VALU_DEP_1)
	v_min_f32_e32 v3, v3, v21
	buffer_gl0_inv
	v_add_f32_e32 v79, v9, v6
	v_add_f32_e32 v77, v1, v3
	v_min_f32_e32 v3, v19, v22
	v_add_f32_e32 v73, v17, v3
	v_min_f32_e32 v3, v38, v21
	s_delay_alu instid0(VALU_DEP_1) | instskip(SKIP_3) | instid1(VALU_DEP_4)
	v_dual_add_f32 v68, v36, v3 :: v_dual_min_f32 v5, v30, v21
	v_min_f32_e32 v1, v14, v21
	v_min_f32_e32 v4, v18, v21
	v_min_f32_e32 v7, v10, v21
	v_add_f32_e32 v81, v28, v5
	s_delay_alu instid0(VALU_DEP_4) | instskip(NEXT) | instid1(VALU_DEP_4)
	v_add_f32_e32 v75, v12, v1
	v_dual_add_f32 v72, v16, v4 :: v_dual_min_f32 v1, v26, v21
	v_dual_min_f32 v4, v43, v22 :: v_dual_min_f32 v5, v42, v21
	s_delay_alu instid0(VALU_DEP_2) | instskip(NEXT) | instid1(VALU_DEP_2)
	v_dual_add_f32 v78, v78, v7 :: v_dual_add_f32 v71, v24, v1
	v_dual_add_f32 v67, v41, v4 :: v_dual_add_f32 v66, v40, v5
	s_cbranch_scc1 .LBB99_34
.LBB99_22:                              ; =>This Inner Loop Header: Depth=1
	v_dual_mov_b32 v130, 0 :: v_dual_add_nc_u32 v129, s27, v54
	s_delay_alu instid0(VALU_DEP_1) | instskip(NEXT) | instid1(VALU_DEP_1)
	v_add_nc_u32_e32 v0, 8, v129
	v_cmp_gt_i32_e64 s4, s18, v0
	s_delay_alu instid0(VALU_DEP_1) | instskip(NEXT) | instid1(SALU_CYCLE_1)
	s_and_b32 s4, s4, vcc_lo
	s_and_b32 s4, s24, s4
	s_delay_alu instid0(SALU_CYCLE_1)
	s_and_saveexec_b32 s5, s4
	s_cbranch_execz .LBB99_24
; %bb.23:                               ;   in Loop: Header=BB99_22 Depth=1
	v_add_co_u32 v0, s4, -16, v50
	s_delay_alu instid0(VALU_DEP_1)
	v_add_co_ci_u32_e64 v1, s4, -1, v51, s4
	flat_load_b32 v0, v[0:1]
	s_waitcnt vmcnt(0) lgkmcnt(0)
	v_mul_f32_e32 v130, s15, v0
.LBB99_24:                              ;   in Loop: Header=BB99_22 Depth=1
	s_or_b32 exec_lo, exec_lo, s5
	v_dual_mov_b32 v132, 0 :: v_dual_add_nc_u32 v131, s27, v55
	s_delay_alu instid0(VALU_DEP_1) | instskip(NEXT) | instid1(VALU_DEP_1)
	v_dual_mov_b32 v133, 0 :: v_dual_add_nc_u32 v2, 8, v131
	v_min_i32_e32 v3, s25, v2
	v_cmp_le_i32_e64 s4, s18, v2
	s_delay_alu instid0(VALU_DEP_2) | instskip(NEXT) | instid1(VALU_DEP_2)
	v_mad_i64_i32 v[0:1], null, v3, s19, 0
	s_or_b32 s23, s2, s4
	s_delay_alu instid0(VALU_DEP_1) | instskip(NEXT) | instid1(VALU_DEP_1)
	v_lshlrev_b64 v[0:1], 2, v[0:1]
	v_add_co_u32 v0, s5, s20, v0
	s_delay_alu instid0(VALU_DEP_1) | instskip(SKIP_1) | instid1(SALU_CYCLE_1)
	v_add_co_ci_u32_e64 v1, s5, s21, v1, s5
	s_or_b32 s5, s23, s26
	s_xor_b32 s5, s5, -1
	s_delay_alu instid0(SALU_CYCLE_1)
	s_and_saveexec_b32 s23, s5
	s_cbranch_execz .LBB99_26
; %bb.25:                               ;   in Loop: Header=BB99_22 Depth=1
	v_add_co_u32 v2, s5, v0, v48
	s_delay_alu instid0(VALU_DEP_1)
	v_add_co_ci_u32_e64 v3, s5, v1, v49, s5
	flat_load_b32 v2, v[2:3]
	s_waitcnt vmcnt(0) lgkmcnt(0)
	v_mul_f32_e32 v133, s15, v2
.LBB99_26:                              ;   in Loop: Header=BB99_22 Depth=1
	s_or_b32 exec_lo, exec_lo, s23
	s_or_b32 s4, s3, s4
	s_delay_alu instid0(SALU_CYCLE_1) | instskip(NEXT) | instid1(SALU_CYCLE_1)
	s_or_b32 s4, s4, s26
	s_xor_b32 s4, s4, -1
	s_delay_alu instid0(SALU_CYCLE_1)
	s_and_saveexec_b32 s5, s4
	s_cbranch_execz .LBB99_28
; %bb.27:                               ;   in Loop: Header=BB99_22 Depth=1
	v_add_co_u32 v0, s4, v0, v48
	s_delay_alu instid0(VALU_DEP_1)
	v_add_co_ci_u32_e64 v1, s4, v1, v49, s4
	flat_load_b32 v0, v[0:1] offset:256
	s_waitcnt vmcnt(0) lgkmcnt(0)
	v_mul_f32_e32 v132, s15, v0
.LBB99_28:                              ;   in Loop: Header=BB99_22 Depth=1
	s_or_b32 exec_lo, exec_lo, s5
	ds_load_b128 v[40:43], v127
	ds_load_b128 v[36:39], v127 offset:128
	ds_load_b128 v[32:35], v127 offset:256
	;; [unrolled: 1-line block ×7, first 2 shown]
	ds_load_b128 v[44:47], v128
	ds_load_b128 v[8:11], v128 offset:512
	ds_load_b128 v[4:7], v128 offset:1024
	;; [unrolled: 1-line block ×3, first 2 shown]
	v_add_nc_u32_e32 v129, 12, v129
	ds_store_b32 v101, v130
	v_mov_b32_e32 v130, 0
	ds_store_2addr_stride64_b32 v58, v133, v132 offset1:4
	s_waitcnt lgkmcnt(0)
	v_cmp_gt_i32_e64 s4, s18, v129
	v_mov_b32_e32 v129, 0
	s_barrier
	buffer_gl0_inv
	s_and_b32 s4, s4, vcc_lo
	s_delay_alu instid0(SALU_CYCLE_1) | instskip(NEXT) | instid1(SALU_CYCLE_1)
	s_and_b32 s5, s24, s4
	s_and_saveexec_b32 s4, s5
	s_cbranch_execz .LBB99_30
; %bb.29:                               ;   in Loop: Header=BB99_22 Depth=1
	flat_load_b32 v129, v[50:51]
	s_waitcnt vmcnt(0) lgkmcnt(0)
	v_mul_f32_e32 v129, s15, v129
.LBB99_30:                              ;   in Loop: Header=BB99_22 Depth=1
	s_or_b32 exec_lo, exec_lo, s4
	v_add_nc_u32_e32 v133, 12, v131
	s_delay_alu instid0(VALU_DEP_1) | instskip(SKIP_1) | instid1(VALU_DEP_2)
	v_min_i32_e32 v134, s25, v133
	v_cmp_le_i32_e64 s4, s18, v133
	v_mad_i64_i32 v[131:132], null, v134, s19, 0
	s_delay_alu instid0(VALU_DEP_2) | instskip(NEXT) | instid1(VALU_DEP_1)
	s_or_b32 s23, s2, s4
	v_lshlrev_b64 v[131:132], 2, v[131:132]
	s_delay_alu instid0(VALU_DEP_1) | instskip(NEXT) | instid1(VALU_DEP_1)
	v_add_co_u32 v131, s5, s20, v131
	v_add_co_ci_u32_e64 v132, s5, s21, v132, s5
	s_or_b32 s5, s23, s26
	s_delay_alu instid0(SALU_CYCLE_1) | instskip(NEXT) | instid1(SALU_CYCLE_1)
	s_xor_b32 s5, s5, -1
	s_and_saveexec_b32 s23, s5
	s_cbranch_execz .LBB99_32
; %bb.31:                               ;   in Loop: Header=BB99_22 Depth=1
	v_add_co_u32 v133, s5, v131, v48
	s_delay_alu instid0(VALU_DEP_1)
	v_add_co_ci_u32_e64 v134, s5, v132, v49, s5
	flat_load_b32 v130, v[133:134]
	s_waitcnt vmcnt(0) lgkmcnt(0)
	v_mul_f32_e32 v130, s15, v130
.LBB99_32:                              ;   in Loop: Header=BB99_22 Depth=1
	s_or_b32 exec_lo, exec_lo, s23
	v_dual_max_f32 v44, v44, v44 :: v_dual_max_f32 v45, v45, v45
	v_dual_max_f32 v158, v40, v40 :: v_dual_max_f32 v159, v41, v41
	;; [unrolled: 1-line block ×5, first 2 shown]
	v_max_f32_e32 v142, v8, v8
	v_dual_max_f32 v160, v36, v36 :: v_dual_max_f32 v161, v37, v37
	v_dual_min_f32 v36, v158, v44 :: v_dual_max_f32 v163, v33, v33
	v_dual_max_f32 v162, v32, v32 :: v_dual_max_f32 v165, v29, v29
	v_max_f32_e32 v164, v28, v28
	v_dual_max_f32 v168, v20, v20 :: v_dual_max_f32 v169, v21, v21
	v_dual_min_f32 v16, v166, v44 :: v_dual_max_f32 v173, v13, v13
	v_min_f32_e32 v17, v159, v143
	v_dual_min_f32 v141, v170, v142 :: v_dual_max_f32 v156, v4, v4
	v_dual_max_f32 v157, v5, v5 :: v_dual_min_f32 v4, v171, v143
	v_dual_max_f32 v0, v0, v0 :: v_dual_max_f32 v175, v46, v46
	v_max_f32_e32 v176, v47, v47
	v_dual_max_f32 v208, v42, v42 :: v_dual_max_f32 v209, v43, v43
	v_dual_max_f32 v213, v38, v38 :: v_dual_min_f32 v40, v159, v45
	v_dual_min_f32 v41, v160, v44 :: v_dual_min_f32 v28, v161, v45
	v_min_f32_e32 v29, v162, v44
	v_min_f32_e32 v37, v165, v45
	v_dual_min_f32 v32, v163, v45 :: v_dual_min_f32 v33, v164, v44
	v_dual_min_f32 v20, v167, v45 :: v_dual_min_f32 v21, v168, v44
	;; [unrolled: 1-line block ×17, first 2 shown]
	v_dual_min_f32 v155, v170, v156 :: v_dual_max_f32 v174, v1, v1
	v_dual_min_f32 v1, v171, v157 :: v_dual_min_f32 v156, v172, v156
	v_dual_min_f32 v157, v173, v157 :: v_dual_min_f32 v158, v158, v0
	s_delay_alu instid0(VALU_DEP_3)
	v_dual_min_f32 v159, v159, v174 :: v_dual_min_f32 v160, v160, v0
	v_dual_min_f32 v161, v161, v174 :: v_dual_min_f32 v162, v162, v0
	v_dual_min_f32 v163, v163, v174 :: v_dual_min_f32 v164, v164, v0
	v_dual_min_f32 v165, v165, v174 :: v_dual_min_f32 v166, v166, v0
	v_dual_min_f32 v167, v167, v174 :: v_dual_min_f32 v168, v168, v0
	v_dual_min_f32 v169, v169, v174 :: v_dual_min_f32 v170, v170, v0
	v_min_f32_e32 v171, v171, v174
	v_dual_min_f32 v43, v172, v0 :: v_dual_min_f32 v46, v173, v174
	v_dual_min_f32 v38, v208, v175 :: v_dual_min_f32 v47, v209, v176
	v_max_f32_e32 v0, v39, v39
	v_dual_min_f32 v42, v213, v175 :: v_dual_max_f32 v215, v30, v30
	v_max_f32_e32 v172, v34, v34
	v_max_f32_e32 v216, v31, v31
	;; [unrolled: 1-line block ×3, first 2 shown]
	v_dual_min_f32 v34, v0, v176 :: v_dual_max_f32 v217, v26, v26
	v_min_f32_e32 v31, v215, v175
	v_dual_min_f32 v30, v172, v175 :: v_dual_max_f32 v219, v22, v22
	v_dual_max_f32 v218, v27, v27 :: v_dual_max_f32 v221, v18, v18
	v_max_f32_e32 v220, v23, v23
	v_dual_max_f32 v19, v19, v19 :: v_dual_max_f32 v222, v14, v14
	v_dual_max_f32 v223, v15, v15 :: v_dual_max_f32 v10, v10, v10
	;; [unrolled: 1-line block ×4, first 2 shown]
	v_max_f32_e32 v225, v3, v3
	s_or_b32 s4, s3, s4
	v_min_f32_e32 v39, v216, v176
	v_dual_min_f32 v35, v214, v176 :: v_dual_min_f32 v18, v217, v175
	v_min_f32_e32 v183, v19, v176
	v_dual_min_f32 v173, v218, v176 :: v_dual_min_f32 v22, v219, v175
	v_dual_min_f32 v177, v213, v10 :: v_dual_min_f32 v174, v220, v176
	v_min_f32_e32 v23, v221, v175
	v_dual_min_f32 v175, v222, v175 :: v_dual_min_f32 v184, v223, v176
	;; [unrolled: 3-line block ×3, first 2 shown]
	v_dual_min_f32 v187, v214, v11 :: v_dual_min_f32 v180, v217, v10
	v_dual_min_f32 v188, v216, v11 :: v_dual_min_f32 v181, v219, v10
	;; [unrolled: 1-line block ×12, first 2 shown]
	v_min_f32_e32 v210, v19, v7
	v_dual_min_f32 v211, v223, v7 :: v_dual_min_f32 v208, v208, v224
	v_dual_min_f32 v212, v209, v225 :: v_dual_min_f32 v11, v215, v224
	v_min_f32_e32 v209, v213, v224
	v_dual_min_f32 v213, v0, v225 :: v_dual_min_f32 v2, v217, v224
	v_dual_min_f32 v10, v172, v224 :: v_dual_min_f32 v15, v19, v225
	;; [unrolled: 1-line block ×4, first 2 shown]
	v_min_f32_e32 v172, v218, v225
	v_dual_min_f32 v14, v220, v225 :: v_dual_min_f32 v7, v222, v224
	v_dual_min_f32 v19, v223, v225 :: v_dual_mov_b32 v0, 0
	s_or_b32 s4, s4, s26
	s_delay_alu instid0(SALU_CYCLE_1) | instskip(NEXT) | instid1(SALU_CYCLE_1)
	s_xor_b32 s4, s4, -1
	s_and_saveexec_b32 s5, s4
	s_cbranch_execz .LBB99_21
; %bb.33:                               ;   in Loop: Header=BB99_22 Depth=1
	v_add_co_u32 v131, s4, v131, v48
	s_delay_alu instid0(VALU_DEP_1)
	v_add_co_ci_u32_e64 v132, s4, v132, v49, s4
	flat_load_b32 v0, v[131:132] offset:256
	s_waitcnt vmcnt(0) lgkmcnt(0)
	v_mul_f32_e32 v0, s15, v0
	s_branch .LBB99_21
.LBB99_34:
	s_clause 0x2
	s_load_b64 s[2:3], s[0:1], 0x78
	s_load_b32 s18, s[0:1], 0x58
	s_load_b32 s15, s[0:1], 0x70
	v_add_nc_u32_e32 v117, s14, v53
	ds_load_b128 v[32:35], v56 offset:5120
	ds_load_b128 v[28:31], v56 offset:5248
	;; [unrolled: 1-line block ×12, first 2 shown]
	v_add_nc_u32_e32 v48, s8, v52
	v_cndmask_b32_e64 v101, 0, 1, s9
	v_cmp_gt_i32_e64 s8, s17, v117
	s_waitcnt lgkmcnt(0)
	s_mul_i32 s1, s12, s3
	v_mad_i64_i32 v[49:50], null, v117, s18, 0
	v_mad_i64_i32 v[53:54], null, v117, s15, 0
	s_mul_hi_u32 s3, s12, s2
	s_mul_i32 s0, s12, s2
	s_add_i32 s1, s3, s1
	s_delay_alu instid0(SALU_CYCLE_1) | instskip(NEXT) | instid1(VALU_DEP_2)
	s_lshl_b64 s[0:1], s[0:1], 2
	v_lshlrev_b64 v[49:50], 2, v[49:50]
	s_delay_alu instid0(VALU_DEP_2) | instskip(SKIP_3) | instid1(VALU_DEP_3)
	v_lshlrev_b64 v[51:52], 2, v[53:54]
	s_add_u32 s12, s6, s0
	s_addc_u32 s14, s7, s1
	v_cmp_gt_i32_e64 s0, s16, v48
	v_add_co_u32 v127, vcc_lo, s10, v49
	v_add_co_ci_u32_e32 v128, vcc_lo, s11, v50, vcc_lo
	v_add_co_u32 v125, vcc_lo, s12, v51
	v_add_co_ci_u32_e32 v126, vcc_lo, s14, v52, vcc_lo
	v_ashrrev_i32_e32 v49, 31, v48
	s_and_b32 s2, s0, s8
	s_delay_alu instid0(SALU_CYCLE_1)
	s_and_saveexec_b32 s1, s2
	s_cbranch_execz .LBB99_39
; %bb.35:
	s_delay_alu instid0(VALU_DEP_1)
	v_lshlrev_b64 v[50:51], 2, v[48:49]
	s_and_not1_b32 vcc_lo, exec_lo, s9
	s_cbranch_vccnz .LBB99_37
; %bb.36:
	s_delay_alu instid0(VALU_DEP_1) | instskip(NEXT) | instid1(VALU_DEP_2)
	v_add_co_u32 v52, vcc_lo, v127, v50
	v_add_co_ci_u32_e32 v53, vcc_lo, v128, v51, vcc_lo
	flat_load_b32 v52, v[52:53]
	s_waitcnt vmcnt(0) lgkmcnt(0)
	v_mul_f32_e32 v52, s13, v52
	s_branch .LBB99_38
.LBB99_37:
	v_mov_b32_e32 v52, 0
.LBB99_38:
	v_dual_max_f32 v53, v45, v45 :: v_dual_max_f32 v56, v32, v32
	v_dual_max_f32 v54, v33, v33 :: v_dual_max_f32 v55, v44, v44
	v_dual_max_f32 v57, v46, v46 :: v_dual_max_f32 v58, v47, v47
	v_max_f32_e32 v129, v35, v35
	s_delay_alu instid0(VALU_DEP_3) | instskip(NEXT) | instid1(VALU_DEP_4)
	v_min_f32_e32 v53, v54, v53
	v_dual_max_f32 v54, v34, v34 :: v_dual_min_f32 v55, v56, v55
	v_add_co_u32 v50, vcc_lo, v125, v50
	v_add_co_ci_u32_e32 v51, vcc_lo, v126, v51, vcc_lo
	s_delay_alu instid0(VALU_DEP_3) | instskip(NEXT) | instid1(VALU_DEP_4)
	v_min_f32_e32 v54, v54, v57
	v_dual_min_f32 v56, v129, v58 :: v_dual_add_f32 v55, v123, v55
	s_delay_alu instid0(VALU_DEP_1) | instskip(NEXT) | instid1(VALU_DEP_1)
	v_dual_add_f32 v53, v124, v53 :: v_dual_add_f32 v54, v55, v54
	v_add_f32_e32 v53, v53, v56
	s_delay_alu instid0(VALU_DEP_1) | instskip(NEXT) | instid1(VALU_DEP_1)
	v_add_f32_e32 v53, v54, v53
	v_add_f32_e32 v52, v53, v52
	global_store_b32 v[50:51], v52, off
.LBB99_39:
	s_or_b32 exec_lo, exec_lo, s1
	v_add_nc_u32_e32 v50, 8, v48
	s_delay_alu instid0(VALU_DEP_1) | instskip(SKIP_1) | instid1(VALU_DEP_2)
	v_cmp_gt_i32_e64 s1, s16, v50
	v_ashrrev_i32_e32 v51, 31, v50
	s_and_b32 s3, s1, s8
	s_delay_alu instid0(SALU_CYCLE_1)
	s_and_saveexec_b32 s2, s3
	s_cbranch_execz .LBB99_44
; %bb.40:
	v_cmp_ne_u32_e32 vcc_lo, 1, v101
	v_lshlrev_b64 v[52:53], 2, v[50:51]
	s_cbranch_vccnz .LBB99_42
; %bb.41:
	s_delay_alu instid0(VALU_DEP_1) | instskip(NEXT) | instid1(VALU_DEP_2)
	v_add_co_u32 v54, vcc_lo, v127, v52
	v_add_co_ci_u32_e32 v55, vcc_lo, v128, v53, vcc_lo
	flat_load_b32 v54, v[54:55]
	s_waitcnt vmcnt(0) lgkmcnt(0)
	v_mul_f32_e32 v54, s13, v54
	s_branch .LBB99_43
.LBB99_42:
	v_mov_b32_e32 v54, 0
.LBB99_43:
	v_dual_max_f32 v55, v45, v45 :: v_dual_max_f32 v58, v28, v28
	v_dual_max_f32 v56, v29, v29 :: v_dual_max_f32 v57, v44, v44
	;; [unrolled: 1-line block ×3, first 2 shown]
	v_add_co_u32 v52, vcc_lo, v125, v52
	s_delay_alu instid0(VALU_DEP_3) | instskip(NEXT) | instid1(VALU_DEP_4)
	v_dual_min_f32 v55, v56, v55 :: v_dual_max_f32 v56, v30, v30
	v_min_f32_e32 v57, v58, v57
	v_add_co_ci_u32_e32 v53, vcc_lo, v126, v53, vcc_lo
	s_delay_alu instid0(VALU_DEP_3) | instskip(NEXT) | instid1(VALU_DEP_3)
	v_add_f32_e32 v55, v121, v55
	v_dual_min_f32 v56, v56, v123 :: v_dual_add_f32 v57, v122, v57
	s_delay_alu instid0(VALU_DEP_1) | instskip(NEXT) | instid1(VALU_DEP_1)
	v_dual_max_f32 v129, v31, v31 :: v_dual_add_f32 v56, v57, v56
	v_min_f32_e32 v58, v129, v124
	s_delay_alu instid0(VALU_DEP_1) | instskip(NEXT) | instid1(VALU_DEP_1)
	v_add_f32_e32 v55, v55, v58
	v_add_f32_e32 v55, v56, v55
	s_delay_alu instid0(VALU_DEP_1)
	v_add_f32_e32 v54, v55, v54
	global_store_b32 v[52:53], v54, off
.LBB99_44:
	s_or_b32 exec_lo, exec_lo, s2
	v_add_nc_u32_e32 v52, 16, v48
	s_delay_alu instid0(VALU_DEP_1) | instskip(SKIP_1) | instid1(VALU_DEP_2)
	v_cmp_gt_i32_e64 s2, s16, v52
	v_ashrrev_i32_e32 v53, 31, v52
	s_and_b32 s4, s2, s8
	s_delay_alu instid0(SALU_CYCLE_1)
	s_and_saveexec_b32 s3, s4
	s_cbranch_execz .LBB99_49
; %bb.45:
	v_cmp_ne_u32_e32 vcc_lo, 1, v101
	v_lshlrev_b64 v[54:55], 2, v[52:53]
	s_cbranch_vccnz .LBB99_47
; %bb.46:
	s_delay_alu instid0(VALU_DEP_1) | instskip(NEXT) | instid1(VALU_DEP_2)
	v_add_co_u32 v56, vcc_lo, v127, v54
	v_add_co_ci_u32_e32 v57, vcc_lo, v128, v55, vcc_lo
	flat_load_b32 v56, v[56:57]
	s_waitcnt vmcnt(0) lgkmcnt(0)
	v_mul_f32_e32 v56, s13, v56
	s_branch .LBB99_48
.LBB99_47:
	v_mov_b32_e32 v56, 0
.LBB99_48:
	v_dual_max_f32 v57, v45, v45 :: v_dual_max_f32 v122, v24, v24
	v_dual_max_f32 v58, v25, v25 :: v_dual_max_f32 v121, v44, v44
	;; [unrolled: 1-line block ×3, first 2 shown]
	v_add_co_u32 v54, vcc_lo, v125, v54
	s_delay_alu instid0(VALU_DEP_3) | instskip(SKIP_1) | instid1(VALU_DEP_2)
	v_min_f32_e32 v121, v122, v121
	v_add_co_ci_u32_e32 v55, vcc_lo, v126, v55, vcc_lo
	v_dual_max_f32 v129, v27, v27 :: v_dual_add_f32 v120, v120, v121
	v_min_f32_e32 v57, v58, v57
	v_max_f32_e32 v58, v26, v26
	s_delay_alu instid0(VALU_DEP_1) | instskip(NEXT) | instid1(VALU_DEP_1)
	v_min_f32_e32 v58, v58, v123
	v_dual_add_f32 v58, v120, v58 :: v_dual_add_f32 v57, v119, v57
	v_min_f32_e32 v119, v129, v124
	s_delay_alu instid0(VALU_DEP_1) | instskip(NEXT) | instid1(VALU_DEP_1)
	v_add_f32_e32 v57, v57, v119
	v_add_f32_e32 v57, v58, v57
	s_delay_alu instid0(VALU_DEP_1)
	v_add_f32_e32 v56, v57, v56
	global_store_b32 v[54:55], v56, off
.LBB99_49:
	s_or_b32 exec_lo, exec_lo, s3
	v_add_nc_u32_e32 v54, 24, v48
	s_delay_alu instid0(VALU_DEP_1) | instskip(SKIP_1) | instid1(VALU_DEP_2)
	v_cmp_gt_i32_e64 s3, s16, v54
	v_ashrrev_i32_e32 v55, 31, v54
	s_and_b32 s5, s3, s8
	s_delay_alu instid0(SALU_CYCLE_1)
	s_and_saveexec_b32 s4, s5
	s_cbranch_execz .LBB99_54
; %bb.50:
	v_cmp_ne_u32_e32 vcc_lo, 1, v101
	v_lshlrev_b64 v[56:57], 2, v[54:55]
	s_cbranch_vccnz .LBB99_52
; %bb.51:
	s_delay_alu instid0(VALU_DEP_1) | instskip(NEXT) | instid1(VALU_DEP_2)
	v_add_co_u32 v119, vcc_lo, v127, v56
	v_add_co_ci_u32_e32 v120, vcc_lo, v128, v57, vcc_lo
	flat_load_b32 v58, v[119:120]
	s_waitcnt vmcnt(0) lgkmcnt(0)
	v_mul_f32_e32 v58, s13, v58
	s_branch .LBB99_53
.LBB99_52:
	v_mov_b32_e32 v58, 0
.LBB99_53:
	v_dual_max_f32 v119, v45, v45 :: v_dual_max_f32 v122, v20, v20
	v_dual_max_f32 v120, v21, v21 :: v_dual_max_f32 v121, v44, v44
	;; [unrolled: 1-line block ×3, first 2 shown]
	v_add_co_u32 v56, vcc_lo, v125, v56
	s_delay_alu instid0(VALU_DEP_3) | instskip(NEXT) | instid1(VALU_DEP_4)
	v_dual_min_f32 v119, v120, v119 :: v_dual_max_f32 v120, v22, v22
	v_min_f32_e32 v121, v122, v121
	v_max_f32_e32 v129, v23, v23
	v_add_co_ci_u32_e32 v57, vcc_lo, v126, v57, vcc_lo
	s_delay_alu instid0(VALU_DEP_3) | instskip(NEXT) | instid1(VALU_DEP_3)
	v_dual_add_f32 v59, v59, v119 :: v_dual_add_f32 v118, v118, v121
	v_dual_min_f32 v119, v120, v123 :: v_dual_min_f32 v120, v129, v124
	s_delay_alu instid0(VALU_DEP_1) | instskip(NEXT) | instid1(VALU_DEP_1)
	v_dual_add_f32 v118, v118, v119 :: v_dual_add_f32 v59, v59, v120
	v_add_f32_e32 v59, v118, v59
	s_delay_alu instid0(VALU_DEP_1)
	v_add_f32_e32 v58, v59, v58
	global_store_b32 v[56:57], v58, off
.LBB99_54:
	s_or_b32 exec_lo, exec_lo, s4
	v_add_nc_u32_e32 v56, 32, v48
	s_delay_alu instid0(VALU_DEP_1) | instskip(SKIP_1) | instid1(VALU_DEP_2)
	v_cmp_gt_i32_e64 s4, s16, v56
	v_ashrrev_i32_e32 v57, 31, v56
	s_and_b32 s6, s4, s8
	s_delay_alu instid0(SALU_CYCLE_1)
	s_and_saveexec_b32 s5, s6
	s_cbranch_execz .LBB99_59
; %bb.55:
	v_cmp_ne_u32_e32 vcc_lo, 1, v101
	v_lshlrev_b64 v[58:59], 2, v[56:57]
	s_cbranch_vccnz .LBB99_57
; %bb.56:
	s_delay_alu instid0(VALU_DEP_1) | instskip(NEXT) | instid1(VALU_DEP_2)
	v_add_co_u32 v118, vcc_lo, v127, v58
	v_add_co_ci_u32_e32 v119, vcc_lo, v128, v59, vcc_lo
	flat_load_b32 v118, v[118:119]
	s_waitcnt vmcnt(0) lgkmcnt(0)
	v_mul_f32_e32 v118, s13, v118
	s_branch .LBB99_58
.LBB99_57:
	v_mov_b32_e32 v118, 0
.LBB99_58:
	v_dual_max_f32 v119, v45, v45 :: v_dual_max_f32 v122, v16, v16
	v_dual_max_f32 v120, v17, v17 :: v_dual_max_f32 v121, v44, v44
	;; [unrolled: 1-line block ×3, first 2 shown]
	v_add_co_u32 v58, vcc_lo, v125, v58
	s_delay_alu instid0(VALU_DEP_3) | instskip(NEXT) | instid1(VALU_DEP_4)
	v_dual_min_f32 v119, v120, v119 :: v_dual_max_f32 v120, v18, v18
	v_min_f32_e32 v121, v122, v121
	v_add_co_ci_u32_e32 v59, vcc_lo, v126, v59, vcc_lo
	s_delay_alu instid0(VALU_DEP_3) | instskip(SKIP_3) | instid1(VALU_DEP_3)
	v_add_f32_e32 v60, v60, v119
	v_max_f32_e32 v129, v19, v19
	v_min_f32_e32 v119, v120, v123
	v_add_f32_e32 v61, v61, v121
	v_min_f32_e32 v120, v129, v124
	s_delay_alu instid0(VALU_DEP_1) | instskip(NEXT) | instid1(VALU_DEP_1)
	v_dual_add_f32 v61, v61, v119 :: v_dual_add_f32 v60, v60, v120
	v_add_f32_e32 v60, v61, v60
	s_delay_alu instid0(VALU_DEP_1)
	v_add_f32_e32 v60, v60, v118
	global_store_b32 v[58:59], v60, off
.LBB99_59:
	s_or_b32 exec_lo, exec_lo, s5
	v_add_nc_u32_e32 v58, 40, v48
	s_delay_alu instid0(VALU_DEP_1) | instskip(SKIP_1) | instid1(VALU_DEP_2)
	v_cmp_gt_i32_e64 s5, s16, v58
	v_ashrrev_i32_e32 v59, 31, v58
	s_and_b32 s7, s5, s8
	s_delay_alu instid0(SALU_CYCLE_1)
	s_and_saveexec_b32 s6, s7
	s_cbranch_execz .LBB99_64
; %bb.60:
	v_cmp_ne_u32_e32 vcc_lo, 1, v101
	v_lshlrev_b64 v[60:61], 2, v[58:59]
	s_cbranch_vccnz .LBB99_62
; %bb.61:
	s_delay_alu instid0(VALU_DEP_1) | instskip(NEXT) | instid1(VALU_DEP_2)
	v_add_co_u32 v118, vcc_lo, v127, v60
	v_add_co_ci_u32_e32 v119, vcc_lo, v128, v61, vcc_lo
	flat_load_b32 v118, v[118:119]
	s_waitcnt vmcnt(0) lgkmcnt(0)
	v_mul_f32_e32 v118, s13, v118
	s_branch .LBB99_63
.LBB99_62:
	v_mov_b32_e32 v118, 0
.LBB99_63:
	v_dual_max_f32 v119, v45, v45 :: v_dual_max_f32 v122, v12, v12
	v_dual_max_f32 v120, v13, v13 :: v_dual_max_f32 v121, v44, v44
	v_dual_max_f32 v123, v46, v46 :: v_dual_max_f32 v124, v47, v47
	v_add_co_u32 v60, vcc_lo, v125, v60
	s_delay_alu instid0(VALU_DEP_3) | instskip(NEXT) | instid1(VALU_DEP_4)
	v_dual_min_f32 v119, v120, v119 :: v_dual_max_f32 v120, v14, v14
	v_min_f32_e32 v121, v122, v121
	v_max_f32_e32 v129, v15, v15
	v_add_co_ci_u32_e32 v61, vcc_lo, v126, v61, vcc_lo
	s_delay_alu instid0(VALU_DEP_4) | instskip(NEXT) | instid1(VALU_DEP_4)
	v_add_f32_e32 v63, v63, v119
	v_dual_min_f32 v119, v120, v123 :: v_dual_add_f32 v62, v62, v121
	s_delay_alu instid0(VALU_DEP_4) | instskip(NEXT) | instid1(VALU_DEP_1)
	v_min_f32_e32 v120, v129, v124
	v_dual_add_f32 v62, v62, v119 :: v_dual_add_f32 v63, v63, v120
	s_delay_alu instid0(VALU_DEP_1) | instskip(NEXT) | instid1(VALU_DEP_1)
	v_add_f32_e32 v62, v62, v63
	v_add_f32_e32 v62, v62, v118
	global_store_b32 v[60:61], v62, off
.LBB99_64:
	s_or_b32 exec_lo, exec_lo, s6
	v_add_nc_u32_e32 v60, 48, v48
	s_delay_alu instid0(VALU_DEP_1) | instskip(SKIP_1) | instid1(VALU_DEP_2)
	v_cmp_gt_i32_e64 s6, s16, v60
	v_ashrrev_i32_e32 v61, 31, v60
	s_and_b32 s9, s6, s8
	s_delay_alu instid0(SALU_CYCLE_1)
	s_and_saveexec_b32 s7, s9
	s_cbranch_execz .LBB99_69
; %bb.65:
	v_cmp_ne_u32_e32 vcc_lo, 1, v101
	v_lshlrev_b64 v[62:63], 2, v[60:61]
	s_cbranch_vccnz .LBB99_67
; %bb.66:
	s_delay_alu instid0(VALU_DEP_1) | instskip(NEXT) | instid1(VALU_DEP_2)
	v_add_co_u32 v118, vcc_lo, v127, v62
	v_add_co_ci_u32_e32 v119, vcc_lo, v128, v63, vcc_lo
	flat_load_b32 v118, v[118:119]
	s_waitcnt vmcnt(0) lgkmcnt(0)
	v_mul_f32_e32 v118, s13, v118
	s_branch .LBB99_68
.LBB99_67:
	v_mov_b32_e32 v118, 0
.LBB99_68:
	v_dual_max_f32 v119, v45, v45 :: v_dual_max_f32 v122, v8, v8
	v_dual_max_f32 v120, v9, v9 :: v_dual_max_f32 v121, v44, v44
	;; [unrolled: 1-line block ×3, first 2 shown]
	v_add_co_u32 v62, vcc_lo, v125, v62
	s_delay_alu instid0(VALU_DEP_3) | instskip(NEXT) | instid1(VALU_DEP_4)
	v_dual_min_f32 v119, v120, v119 :: v_dual_max_f32 v120, v10, v10
	v_min_f32_e32 v121, v122, v121
	v_add_co_ci_u32_e32 v63, vcc_lo, v126, v63, vcc_lo
	s_delay_alu instid0(VALU_DEP_3) | instskip(SKIP_3) | instid1(VALU_DEP_3)
	v_add_f32_e32 v64, v64, v119
	v_max_f32_e32 v129, v11, v11
	v_min_f32_e32 v119, v120, v123
	v_add_f32_e32 v65, v65, v121
	v_min_f32_e32 v120, v129, v124
	s_delay_alu instid0(VALU_DEP_1) | instskip(NEXT) | instid1(VALU_DEP_1)
	v_dual_add_f32 v65, v65, v119 :: v_dual_add_f32 v64, v64, v120
	v_add_f32_e32 v64, v65, v64
	s_delay_alu instid0(VALU_DEP_1)
	v_add_f32_e32 v64, v64, v118
	global_store_b32 v[62:63], v64, off
.LBB99_69:
	s_or_b32 exec_lo, exec_lo, s7
	v_add_nc_u32_e32 v62, 56, v48
	s_delay_alu instid0(VALU_DEP_1) | instskip(SKIP_1) | instid1(VALU_DEP_2)
	v_cmp_gt_i32_e64 s7, s16, v62
	v_ashrrev_i32_e32 v63, 31, v62
	s_and_b32 s9, s7, s8
	s_delay_alu instid0(SALU_CYCLE_1)
	s_and_saveexec_b32 s8, s9
	s_cbranch_execz .LBB99_74
; %bb.70:
	v_cmp_ne_u32_e32 vcc_lo, 1, v101
	v_lshlrev_b64 v[64:65], 2, v[62:63]
	s_cbranch_vccnz .LBB99_72
; %bb.71:
	s_delay_alu instid0(VALU_DEP_1) | instskip(NEXT) | instid1(VALU_DEP_2)
	v_add_co_u32 v118, vcc_lo, v127, v64
	v_add_co_ci_u32_e32 v119, vcc_lo, v128, v65, vcc_lo
	flat_load_b32 v118, v[118:119]
	s_waitcnt vmcnt(0) lgkmcnt(0)
	v_mul_f32_e32 v118, s13, v118
	s_branch .LBB99_73
.LBB99_72:
	v_mov_b32_e32 v118, 0
.LBB99_73:
	v_dual_max_f32 v45, v45, v45 :: v_dual_max_f32 v44, v44, v44
	v_dual_max_f32 v119, v1, v1 :: v_dual_max_f32 v120, v0, v0
	s_delay_alu instid0(VALU_DEP_1) | instskip(NEXT) | instid1(VALU_DEP_2)
	v_dual_max_f32 v46, v46, v46 :: v_dual_min_f32 v45, v119, v45
	v_dual_max_f32 v119, v2, v2 :: v_dual_min_f32 v44, v120, v44
	v_max_f32_e32 v47, v47, v47
	s_delay_alu instid0(VALU_DEP_2) | instskip(NEXT) | instid1(VALU_DEP_3)
	v_dual_add_f32 v45, v115, v45 :: v_dual_add_f32 v44, v116, v44
	v_min_f32_e32 v46, v119, v46
	s_delay_alu instid0(VALU_DEP_1) | instskip(NEXT) | instid1(VALU_DEP_1)
	v_dual_max_f32 v121, v3, v3 :: v_dual_add_f32 v44, v44, v46
	v_min_f32_e32 v47, v121, v47
	s_delay_alu instid0(VALU_DEP_1) | instskip(NEXT) | instid1(VALU_DEP_1)
	v_add_f32_e32 v45, v45, v47
	v_add_f32_e32 v44, v44, v45
	s_delay_alu instid0(VALU_DEP_1)
	v_add_f32_e32 v46, v44, v118
	v_add_co_u32 v44, vcc_lo, v125, v64
	v_add_co_ci_u32_e32 v45, vcc_lo, v126, v65, vcc_lo
	global_store_b32 v[44:45], v46, off
.LBB99_74:
	s_or_b32 exec_lo, exec_lo, s8
	v_add_nc_u32_e32 v64, 32, v117
	s_delay_alu instid0(VALU_DEP_1) | instskip(SKIP_2) | instid1(VALU_DEP_3)
	v_mad_i64_i32 v[44:45], null, v64, s18, 0
	v_mad_i64_i32 v[46:47], null, v64, s15, 0
	v_cmp_gt_i32_e64 s8, s17, v64
	v_lshlrev_b64 v[44:45], 2, v[44:45]
	s_delay_alu instid0(VALU_DEP_2) | instskip(NEXT) | instid1(VALU_DEP_3)
	s_and_b32 s16, s0, s8
	v_lshlrev_b64 v[46:47], 2, v[46:47]
	s_delay_alu instid0(VALU_DEP_2) | instskip(NEXT) | instid1(VALU_DEP_3)
	v_add_co_u32 v64, vcc_lo, s10, v44
	v_add_co_ci_u32_e32 v65, vcc_lo, s11, v45, vcc_lo
	s_delay_alu instid0(VALU_DEP_3) | instskip(NEXT) | instid1(VALU_DEP_4)
	v_add_co_u32 v46, vcc_lo, s12, v46
	v_add_co_ci_u32_e32 v47, vcc_lo, s14, v47, vcc_lo
	s_and_saveexec_b32 s9, s16
	s_cbranch_execnz .LBB99_82
; %bb.75:
	s_or_b32 exec_lo, exec_lo, s9
	s_and_b32 s16, s1, s8
	s_delay_alu instid0(SALU_CYCLE_1)
	s_and_saveexec_b32 s9, s16
	s_cbranch_execnz .LBB99_86
.LBB99_76:
	s_or_b32 exec_lo, exec_lo, s9
	s_and_b32 s16, s2, s8
	s_delay_alu instid0(SALU_CYCLE_1)
	s_and_saveexec_b32 s9, s16
	s_cbranch_execnz .LBB99_90
.LBB99_77:
	s_or_b32 exec_lo, exec_lo, s9
	s_and_b32 s16, s3, s8
	s_delay_alu instid0(SALU_CYCLE_1)
	s_and_saveexec_b32 s9, s16
	s_cbranch_execnz .LBB99_94
.LBB99_78:
	s_or_b32 exec_lo, exec_lo, s9
	s_and_b32 s16, s4, s8
	s_delay_alu instid0(SALU_CYCLE_1)
	s_and_saveexec_b32 s9, s16
	s_cbranch_execnz .LBB99_98
.LBB99_79:
	s_or_b32 exec_lo, exec_lo, s9
	s_and_b32 s16, s5, s8
	s_delay_alu instid0(SALU_CYCLE_1)
	s_and_saveexec_b32 s9, s16
	s_cbranch_execnz .LBB99_102
.LBB99_80:
	s_or_b32 exec_lo, exec_lo, s9
	s_and_b32 s16, s6, s8
	s_delay_alu instid0(SALU_CYCLE_1)
	s_and_saveexec_b32 s9, s16
	s_cbranch_execnz .LBB99_106
.LBB99_81:
	s_or_b32 exec_lo, exec_lo, s9
	s_and_b32 s9, s7, s8
	s_delay_alu instid0(SALU_CYCLE_1)
	s_and_saveexec_b32 s8, s9
	s_cbranch_execnz .LBB99_110
	s_branch .LBB99_114
.LBB99_82:
	v_cmp_ne_u32_e32 vcc_lo, 1, v101
	v_lshlrev_b64 v[44:45], 2, v[48:49]
	s_cbranch_vccnz .LBB99_84
; %bb.83:
	s_delay_alu instid0(VALU_DEP_1) | instskip(NEXT) | instid1(VALU_DEP_2)
	v_add_co_u32 v115, vcc_lo, v64, v44
	v_add_co_ci_u32_e32 v116, vcc_lo, v65, v45, vcc_lo
	flat_load_b32 v115, v[115:116]
	s_waitcnt vmcnt(0) lgkmcnt(0)
	v_mul_f32_e32 v115, s13, v115
	s_branch .LBB99_85
.LBB99_84:
	v_mov_b32_e32 v115, 0
.LBB99_85:
	v_dual_max_f32 v116, v41, v41 :: v_dual_max_f32 v119, v40, v40
	v_dual_max_f32 v118, v33, v33 :: v_dual_max_f32 v121, v42, v42
	;; [unrolled: 1-line block ×3, first 2 shown]
	v_add_co_u32 v44, vcc_lo, v46, v44
	s_delay_alu instid0(VALU_DEP_2) | instskip(SKIP_2) | instid1(VALU_DEP_3)
	v_dual_min_f32 v116, v118, v116 :: v_dual_min_f32 v119, v120, v119
	v_max_f32_e32 v118, v34, v34
	v_add_co_ci_u32_e32 v45, vcc_lo, v47, v45, vcc_lo
	v_dual_add_f32 v114, v114, v116 :: v_dual_add_f32 v113, v113, v119
	s_delay_alu instid0(VALU_DEP_3) | instskip(NEXT) | instid1(VALU_DEP_1)
	v_min_f32_e32 v116, v118, v121
	v_dual_max_f32 v122, v43, v43 :: v_dual_add_f32 v113, v113, v116
	s_delay_alu instid0(VALU_DEP_1) | instskip(NEXT) | instid1(VALU_DEP_1)
	v_min_f32_e32 v118, v123, v122
	v_add_f32_e32 v114, v114, v118
	s_delay_alu instid0(VALU_DEP_1) | instskip(NEXT) | instid1(VALU_DEP_1)
	v_add_f32_e32 v113, v113, v114
	v_add_f32_e32 v113, v113, v115
	global_store_b32 v[44:45], v113, off
	s_or_b32 exec_lo, exec_lo, s9
	s_and_b32 s16, s1, s8
	s_delay_alu instid0(SALU_CYCLE_1)
	s_and_saveexec_b32 s9, s16
	s_cbranch_execz .LBB99_76
.LBB99_86:
	v_cmp_ne_u32_e32 vcc_lo, 1, v101
	v_lshlrev_b64 v[44:45], 2, v[50:51]
	s_cbranch_vccnz .LBB99_88
; %bb.87:
	s_delay_alu instid0(VALU_DEP_1) | instskip(NEXT) | instid1(VALU_DEP_2)
	v_add_co_u32 v113, vcc_lo, v64, v44
	v_add_co_ci_u32_e32 v114, vcc_lo, v65, v45, vcc_lo
	flat_load_b32 v113, v[113:114]
	s_waitcnt vmcnt(0) lgkmcnt(0)
	v_mul_f32_e32 v113, s13, v113
	s_branch .LBB99_89
.LBB99_88:
	v_mov_b32_e32 v113, 0
.LBB99_89:
	v_dual_max_f32 v114, v41, v41 :: v_dual_max_f32 v119, v42, v42
	v_dual_max_f32 v115, v29, v29 :: v_dual_max_f32 v116, v40, v40
	v_max_f32_e32 v118, v28, v28
	v_max_f32_e32 v120, v43, v43
	;; [unrolled: 1-line block ×3, first 2 shown]
	s_delay_alu instid0(VALU_DEP_4) | instskip(SKIP_3) | instid1(VALU_DEP_4)
	v_min_f32_e32 v114, v115, v114
	v_max_f32_e32 v115, v30, v30
	v_min_f32_e32 v116, v118, v116
	v_add_co_u32 v44, vcc_lo, v46, v44
	v_add_f32_e32 v111, v111, v114
	s_delay_alu instid0(VALU_DEP_4) | instskip(NEXT) | instid1(VALU_DEP_4)
	v_min_f32_e32 v114, v115, v119
	v_add_f32_e32 v112, v112, v116
	v_min_f32_e32 v115, v121, v120
	v_add_co_ci_u32_e32 v45, vcc_lo, v47, v45, vcc_lo
	s_delay_alu instid0(VALU_DEP_2) | instskip(NEXT) | instid1(VALU_DEP_1)
	v_dual_add_f32 v112, v112, v114 :: v_dual_add_f32 v111, v111, v115
	v_add_f32_e32 v111, v112, v111
	s_delay_alu instid0(VALU_DEP_1) | instskip(SKIP_3) | instid1(SALU_CYCLE_1)
	v_add_f32_e32 v111, v111, v113
	global_store_b32 v[44:45], v111, off
	s_or_b32 exec_lo, exec_lo, s9
	s_and_b32 s16, s2, s8
	s_and_saveexec_b32 s9, s16
	s_cbranch_execz .LBB99_77
.LBB99_90:
	v_cmp_ne_u32_e32 vcc_lo, 1, v101
	v_lshlrev_b64 v[44:45], 2, v[52:53]
	s_cbranch_vccnz .LBB99_92
; %bb.91:
	s_delay_alu instid0(VALU_DEP_1) | instskip(NEXT) | instid1(VALU_DEP_2)
	v_add_co_u32 v111, vcc_lo, v64, v44
	v_add_co_ci_u32_e32 v112, vcc_lo, v65, v45, vcc_lo
	flat_load_b32 v111, v[111:112]
	s_waitcnt vmcnt(0) lgkmcnt(0)
	v_mul_f32_e32 v111, s13, v111
	s_branch .LBB99_93
.LBB99_92:
	v_mov_b32_e32 v111, 0
.LBB99_93:
	v_dual_max_f32 v112, v41, v41 :: v_dual_max_f32 v115, v24, v24
	v_dual_max_f32 v113, v25, v25 :: v_dual_max_f32 v114, v40, v40
	v_dual_max_f32 v116, v42, v42 :: v_dual_max_f32 v119, v27, v27
	v_add_co_u32 v44, vcc_lo, v46, v44
	s_delay_alu instid0(VALU_DEP_3) | instskip(SKIP_1) | instid1(VALU_DEP_2)
	v_dual_min_f32 v112, v113, v112 :: v_dual_max_f32 v113, v26, v26
	v_add_co_ci_u32_e32 v45, vcc_lo, v47, v45, vcc_lo
	v_add_f32_e32 v110, v110, v112
	s_delay_alu instid0(VALU_DEP_3) | instskip(SKIP_1) | instid1(VALU_DEP_1)
	v_min_f32_e32 v112, v113, v116
	v_min_f32_e32 v114, v115, v114
	v_dual_max_f32 v118, v43, v43 :: v_dual_add_f32 v109, v109, v114
	s_delay_alu instid0(VALU_DEP_1) | instskip(NEXT) | instid1(VALU_DEP_1)
	v_min_f32_e32 v113, v119, v118
	v_dual_add_f32 v109, v109, v112 :: v_dual_add_f32 v110, v110, v113
	s_delay_alu instid0(VALU_DEP_1) | instskip(NEXT) | instid1(VALU_DEP_1)
	v_add_f32_e32 v109, v109, v110
	v_add_f32_e32 v109, v109, v111
	global_store_b32 v[44:45], v109, off
	s_or_b32 exec_lo, exec_lo, s9
	s_and_b32 s16, s3, s8
	s_delay_alu instid0(SALU_CYCLE_1)
	s_and_saveexec_b32 s9, s16
	s_cbranch_execz .LBB99_78
.LBB99_94:
	v_cmp_ne_u32_e32 vcc_lo, 1, v101
	v_lshlrev_b64 v[44:45], 2, v[54:55]
	s_cbranch_vccnz .LBB99_96
; %bb.95:
	s_delay_alu instid0(VALU_DEP_1) | instskip(NEXT) | instid1(VALU_DEP_2)
	v_add_co_u32 v109, vcc_lo, v64, v44
	v_add_co_ci_u32_e32 v110, vcc_lo, v65, v45, vcc_lo
	flat_load_b32 v109, v[109:110]
	s_waitcnt vmcnt(0) lgkmcnt(0)
	v_mul_f32_e32 v109, s13, v109
	s_branch .LBB99_97
.LBB99_96:
	v_mov_b32_e32 v109, 0
.LBB99_97:
	v_dual_max_f32 v110, v41, v41 :: v_dual_max_f32 v113, v20, v20
	v_dual_max_f32 v111, v21, v21 :: v_dual_max_f32 v112, v40, v40
	;; [unrolled: 1-line block ×3, first 2 shown]
	v_max_f32_e32 v116, v23, v23
	s_delay_alu instid0(VALU_DEP_3) | instskip(NEXT) | instid1(VALU_DEP_4)
	v_min_f32_e32 v110, v111, v110
	v_dual_max_f32 v111, v22, v22 :: v_dual_min_f32 v112, v113, v112
	v_add_co_u32 v44, vcc_lo, v46, v44
	s_delay_alu instid0(VALU_DEP_3) | instskip(NEXT) | instid1(VALU_DEP_3)
	v_add_f32_e32 v107, v107, v110
	v_dual_min_f32 v110, v111, v114 :: v_dual_min_f32 v111, v116, v115
	s_delay_alu instid0(VALU_DEP_4) | instskip(SKIP_1) | instid1(VALU_DEP_2)
	v_add_f32_e32 v108, v108, v112
	v_add_co_ci_u32_e32 v45, vcc_lo, v47, v45, vcc_lo
	v_dual_add_f32 v107, v107, v111 :: v_dual_add_f32 v108, v108, v110
	s_delay_alu instid0(VALU_DEP_1) | instskip(NEXT) | instid1(VALU_DEP_1)
	v_add_f32_e32 v107, v108, v107
	v_add_f32_e32 v107, v107, v109
	global_store_b32 v[44:45], v107, off
	s_or_b32 exec_lo, exec_lo, s9
	s_and_b32 s16, s4, s8
	s_delay_alu instid0(SALU_CYCLE_1)
	s_and_saveexec_b32 s9, s16
	s_cbranch_execz .LBB99_79
.LBB99_98:
	v_cmp_ne_u32_e32 vcc_lo, 1, v101
	v_lshlrev_b64 v[44:45], 2, v[56:57]
	s_cbranch_vccnz .LBB99_100
; %bb.99:
	s_delay_alu instid0(VALU_DEP_1) | instskip(NEXT) | instid1(VALU_DEP_2)
	v_add_co_u32 v107, vcc_lo, v64, v44
	v_add_co_ci_u32_e32 v108, vcc_lo, v65, v45, vcc_lo
	flat_load_b32 v107, v[107:108]
	s_waitcnt vmcnt(0) lgkmcnt(0)
	v_mul_f32_e32 v107, s13, v107
	s_branch .LBB99_101
.LBB99_100:
	v_mov_b32_e32 v107, 0
.LBB99_101:
	v_dual_max_f32 v108, v41, v41 :: v_dual_max_f32 v111, v16, v16
	v_dual_max_f32 v109, v17, v17 :: v_dual_max_f32 v110, v40, v40
	;; [unrolled: 1-line block ×3, first 2 shown]
	v_add_co_u32 v44, vcc_lo, v46, v44
	s_delay_alu instid0(VALU_DEP_3) | instskip(SKIP_2) | instid1(VALU_DEP_3)
	v_dual_min_f32 v108, v109, v108 :: v_dual_max_f32 v109, v18, v18
	v_max_f32_e32 v114, v19, v19
	v_add_co_ci_u32_e32 v45, vcc_lo, v47, v45, vcc_lo
	v_dual_add_f32 v105, v105, v108 :: v_dual_min_f32 v110, v111, v110
	s_delay_alu instid0(VALU_DEP_3) | instskip(NEXT) | instid1(VALU_DEP_1)
	v_dual_min_f32 v108, v109, v112 :: v_dual_min_f32 v109, v114, v113
	v_dual_add_f32 v106, v106, v110 :: v_dual_add_f32 v105, v105, v109
	s_delay_alu instid0(VALU_DEP_1) | instskip(NEXT) | instid1(VALU_DEP_1)
	v_add_f32_e32 v106, v106, v108
	v_add_f32_e32 v105, v106, v105
	s_delay_alu instid0(VALU_DEP_1) | instskip(SKIP_3) | instid1(SALU_CYCLE_1)
	v_add_f32_e32 v105, v105, v107
	global_store_b32 v[44:45], v105, off
	s_or_b32 exec_lo, exec_lo, s9
	s_and_b32 s16, s5, s8
	s_and_saveexec_b32 s9, s16
	s_cbranch_execz .LBB99_80
.LBB99_102:
	v_cmp_ne_u32_e32 vcc_lo, 1, v101
	v_lshlrev_b64 v[44:45], 2, v[58:59]
	s_cbranch_vccnz .LBB99_104
; %bb.103:
	s_delay_alu instid0(VALU_DEP_1) | instskip(NEXT) | instid1(VALU_DEP_2)
	v_add_co_u32 v105, vcc_lo, v64, v44
	v_add_co_ci_u32_e32 v106, vcc_lo, v65, v45, vcc_lo
	flat_load_b32 v105, v[105:106]
	s_waitcnt vmcnt(0) lgkmcnt(0)
	v_mul_f32_e32 v105, s13, v105
	s_branch .LBB99_105
.LBB99_104:
	v_mov_b32_e32 v105, 0
.LBB99_105:
	v_dual_max_f32 v106, v41, v41 :: v_dual_max_f32 v109, v12, v12
	v_dual_max_f32 v107, v13, v13 :: v_dual_max_f32 v108, v40, v40
	;; [unrolled: 1-line block ×3, first 2 shown]
	v_max_f32_e32 v112, v15, v15
	s_delay_alu instid0(VALU_DEP_3) | instskip(NEXT) | instid1(VALU_DEP_4)
	v_min_f32_e32 v106, v107, v106
	v_dual_max_f32 v107, v14, v14 :: v_dual_min_f32 v108, v109, v108
	v_add_co_u32 v44, vcc_lo, v46, v44
	s_delay_alu instid0(VALU_DEP_3) | instskip(NEXT) | instid1(VALU_DEP_3)
	v_add_f32_e32 v104, v104, v106
	v_min_f32_e32 v106, v107, v110
	s_delay_alu instid0(VALU_DEP_4) | instskip(SKIP_2) | instid1(VALU_DEP_2)
	v_add_f32_e32 v103, v103, v108
	v_min_f32_e32 v107, v112, v111
	v_add_co_ci_u32_e32 v45, vcc_lo, v47, v45, vcc_lo
	v_dual_add_f32 v103, v103, v106 :: v_dual_add_f32 v104, v104, v107
	s_delay_alu instid0(VALU_DEP_1) | instskip(NEXT) | instid1(VALU_DEP_1)
	v_add_f32_e32 v103, v103, v104
	v_add_f32_e32 v103, v103, v105
	global_store_b32 v[44:45], v103, off
	s_or_b32 exec_lo, exec_lo, s9
	s_and_b32 s16, s6, s8
	s_delay_alu instid0(SALU_CYCLE_1)
	s_and_saveexec_b32 s9, s16
	s_cbranch_execz .LBB99_81
.LBB99_106:
	v_cmp_ne_u32_e32 vcc_lo, 1, v101
	v_lshlrev_b64 v[44:45], 2, v[60:61]
	s_cbranch_vccnz .LBB99_108
; %bb.107:
	s_delay_alu instid0(VALU_DEP_1) | instskip(NEXT) | instid1(VALU_DEP_2)
	v_add_co_u32 v103, vcc_lo, v64, v44
	v_add_co_ci_u32_e32 v104, vcc_lo, v65, v45, vcc_lo
	flat_load_b32 v103, v[103:104]
	s_waitcnt vmcnt(0) lgkmcnt(0)
	v_mul_f32_e32 v103, s13, v103
	s_branch .LBB99_109
.LBB99_108:
	v_mov_b32_e32 v103, 0
.LBB99_109:
	v_dual_max_f32 v104, v41, v41 :: v_dual_max_f32 v107, v8, v8
	v_dual_max_f32 v105, v9, v9 :: v_dual_max_f32 v106, v40, v40
	;; [unrolled: 1-line block ×3, first 2 shown]
	v_max_f32_e32 v110, v11, v11
	s_delay_alu instid0(VALU_DEP_3) | instskip(NEXT) | instid1(VALU_DEP_4)
	v_dual_min_f32 v104, v105, v104 :: v_dual_max_f32 v105, v10, v10
	v_min_f32_e32 v106, v107, v106
	v_add_co_u32 v44, vcc_lo, v46, v44
	s_delay_alu instid0(VALU_DEP_3) | instskip(NEXT) | instid1(VALU_DEP_4)
	v_add_f32_e32 v100, v100, v104
	v_dual_min_f32 v104, v105, v108 :: v_dual_min_f32 v105, v110, v109
	s_delay_alu instid0(VALU_DEP_4) | instskip(SKIP_1) | instid1(VALU_DEP_3)
	v_add_f32_e32 v102, v102, v106
	v_add_co_ci_u32_e32 v45, vcc_lo, v47, v45, vcc_lo
	v_add_f32_e32 v100, v100, v105
	s_delay_alu instid0(VALU_DEP_3) | instskip(NEXT) | instid1(VALU_DEP_1)
	v_add_f32_e32 v102, v102, v104
	v_add_f32_e32 v100, v102, v100
	s_delay_alu instid0(VALU_DEP_1) | instskip(SKIP_3) | instid1(SALU_CYCLE_1)
	v_add_f32_e32 v100, v100, v103
	global_store_b32 v[44:45], v100, off
	s_or_b32 exec_lo, exec_lo, s9
	s_and_b32 s9, s7, s8
	s_and_saveexec_b32 s8, s9
	s_cbranch_execz .LBB99_114
.LBB99_110:
	v_cmp_ne_u32_e32 vcc_lo, 1, v101
	v_lshlrev_b64 v[44:45], 2, v[62:63]
	s_cbranch_vccnz .LBB99_112
; %bb.111:
	s_delay_alu instid0(VALU_DEP_1) | instskip(NEXT) | instid1(VALU_DEP_2)
	v_add_co_u32 v64, vcc_lo, v64, v44
	v_add_co_ci_u32_e32 v65, vcc_lo, v65, v45, vcc_lo
	flat_load_b32 v64, v[64:65]
	s_waitcnt vmcnt(0) lgkmcnt(0)
	v_mul_f32_e32 v64, s13, v64
	s_branch .LBB99_113
.LBB99_112:
	v_mov_b32_e32 v64, 0
.LBB99_113:
	v_dual_max_f32 v41, v41, v41 :: v_dual_max_f32 v40, v40, v40
	v_dual_max_f32 v65, v1, v1 :: v_dual_max_f32 v100, v0, v0
	;; [unrolled: 1-line block ×3, first 2 shown]
	s_delay_alu instid0(VALU_DEP_2) | instskip(NEXT) | instid1(VALU_DEP_3)
	v_dual_max_f32 v102, v3, v3 :: v_dual_min_f32 v41, v65, v41
	v_dual_min_f32 v40, v100, v40 :: v_dual_max_f32 v65, v2, v2
	s_delay_alu instid0(VALU_DEP_1) | instskip(NEXT) | instid1(VALU_DEP_2)
	v_dual_add_f32 v41, v99, v41 :: v_dual_min_f32 v42, v65, v42
	v_add_f32_e32 v40, v98, v40
	s_delay_alu instid0(VALU_DEP_1) | instskip(NEXT) | instid1(VALU_DEP_1)
	v_dual_min_f32 v43, v102, v43 :: v_dual_add_f32 v40, v40, v42
	v_add_f32_e32 v41, v41, v43
	s_delay_alu instid0(VALU_DEP_1) | instskip(NEXT) | instid1(VALU_DEP_1)
	v_add_f32_e32 v40, v40, v41
	v_add_f32_e32 v42, v40, v64
	v_add_co_u32 v40, vcc_lo, v46, v44
	v_add_co_ci_u32_e32 v41, vcc_lo, v47, v45, vcc_lo
	global_store_b32 v[40:41], v42, off
.LBB99_114:
	s_or_b32 exec_lo, exec_lo, s8
	v_add_nc_u32_e32 v44, 64, v117
	s_delay_alu instid0(VALU_DEP_1) | instskip(SKIP_2) | instid1(VALU_DEP_3)
	v_mad_i64_i32 v[40:41], null, v44, s18, 0
	v_mad_i64_i32 v[42:43], null, v44, s15, 0
	v_cmp_gt_i32_e64 s8, s17, v44
	v_lshlrev_b64 v[40:41], 2, v[40:41]
	s_delay_alu instid0(VALU_DEP_2) | instskip(NEXT) | instid1(VALU_DEP_3)
	s_and_b32 s16, s0, s8
	v_lshlrev_b64 v[42:43], 2, v[42:43]
	s_delay_alu instid0(VALU_DEP_2) | instskip(NEXT) | instid1(VALU_DEP_3)
	v_add_co_u32 v44, vcc_lo, s10, v40
	v_add_co_ci_u32_e32 v45, vcc_lo, s11, v41, vcc_lo
	s_delay_alu instid0(VALU_DEP_3) | instskip(NEXT) | instid1(VALU_DEP_4)
	v_add_co_u32 v42, vcc_lo, s12, v42
	v_add_co_ci_u32_e32 v43, vcc_lo, s14, v43, vcc_lo
	s_and_saveexec_b32 s9, s16
	s_cbranch_execnz .LBB99_122
; %bb.115:
	s_or_b32 exec_lo, exec_lo, s9
	s_and_b32 s16, s1, s8
	s_delay_alu instid0(SALU_CYCLE_1)
	s_and_saveexec_b32 s9, s16
	s_cbranch_execnz .LBB99_126
.LBB99_116:
	s_or_b32 exec_lo, exec_lo, s9
	s_and_b32 s16, s2, s8
	s_delay_alu instid0(SALU_CYCLE_1)
	s_and_saveexec_b32 s9, s16
	s_cbranch_execnz .LBB99_130
.LBB99_117:
	s_or_b32 exec_lo, exec_lo, s9
	s_and_b32 s16, s3, s8
	s_delay_alu instid0(SALU_CYCLE_1)
	s_and_saveexec_b32 s9, s16
	s_cbranch_execnz .LBB99_134
.LBB99_118:
	s_or_b32 exec_lo, exec_lo, s9
	s_and_b32 s16, s4, s8
	s_delay_alu instid0(SALU_CYCLE_1)
	s_and_saveexec_b32 s9, s16
	s_cbranch_execnz .LBB99_138
.LBB99_119:
	s_or_b32 exec_lo, exec_lo, s9
	s_and_b32 s16, s5, s8
	s_delay_alu instid0(SALU_CYCLE_1)
	s_and_saveexec_b32 s9, s16
	s_cbranch_execnz .LBB99_142
.LBB99_120:
	s_or_b32 exec_lo, exec_lo, s9
	s_and_b32 s16, s6, s8
	s_delay_alu instid0(SALU_CYCLE_1)
	s_and_saveexec_b32 s9, s16
	s_cbranch_execnz .LBB99_146
.LBB99_121:
	s_or_b32 exec_lo, exec_lo, s9
	s_and_b32 s9, s7, s8
	s_delay_alu instid0(SALU_CYCLE_1)
	s_and_saveexec_b32 s8, s9
	s_cbranch_execnz .LBB99_150
	s_branch .LBB99_154
.LBB99_122:
	v_cmp_ne_u32_e32 vcc_lo, 1, v101
	v_lshlrev_b64 v[40:41], 2, v[48:49]
	s_cbranch_vccnz .LBB99_124
; %bb.123:
	s_delay_alu instid0(VALU_DEP_1) | instskip(NEXT) | instid1(VALU_DEP_2)
	v_add_co_u32 v46, vcc_lo, v44, v40
	v_add_co_ci_u32_e32 v47, vcc_lo, v45, v41, vcc_lo
	flat_load_b32 v46, v[46:47]
	s_waitcnt vmcnt(0) lgkmcnt(0)
	v_mul_f32_e32 v46, s13, v46
	s_branch .LBB99_125
.LBB99_124:
	v_mov_b32_e32 v46, 0
.LBB99_125:
	v_dual_max_f32 v47, v37, v37 :: v_dual_max_f32 v98, v32, v32
	v_dual_max_f32 v64, v33, v33 :: v_dual_max_f32 v65, v36, v36
	;; [unrolled: 1-line block ×3, first 2 shown]
	v_max_f32_e32 v102, v35, v35
	s_delay_alu instid0(VALU_DEP_3) | instskip(NEXT) | instid1(VALU_DEP_4)
	v_dual_min_f32 v47, v64, v47 :: v_dual_max_f32 v64, v34, v34
	v_min_f32_e32 v65, v98, v65
	v_add_co_u32 v40, vcc_lo, v42, v40
	s_delay_alu instid0(VALU_DEP_3) | instskip(NEXT) | instid1(VALU_DEP_4)
	v_add_f32_e32 v47, v97, v47
	v_dual_min_f32 v64, v64, v99 :: v_dual_min_f32 v97, v102, v100
	s_delay_alu instid0(VALU_DEP_4) | instskip(SKIP_1) | instid1(VALU_DEP_2)
	v_add_f32_e32 v65, v96, v65
	v_add_co_ci_u32_e32 v41, vcc_lo, v43, v41, vcc_lo
	v_dual_add_f32 v47, v47, v97 :: v_dual_add_f32 v64, v65, v64
	s_delay_alu instid0(VALU_DEP_1) | instskip(NEXT) | instid1(VALU_DEP_1)
	v_add_f32_e32 v47, v64, v47
	v_add_f32_e32 v46, v47, v46
	global_store_b32 v[40:41], v46, off
	s_or_b32 exec_lo, exec_lo, s9
	s_and_b32 s16, s1, s8
	s_delay_alu instid0(SALU_CYCLE_1)
	s_and_saveexec_b32 s9, s16
	s_cbranch_execz .LBB99_116
.LBB99_126:
	v_cmp_ne_u32_e32 vcc_lo, 1, v101
	v_lshlrev_b64 v[40:41], 2, v[50:51]
	s_cbranch_vccnz .LBB99_128
; %bb.127:
	s_delay_alu instid0(VALU_DEP_1) | instskip(NEXT) | instid1(VALU_DEP_2)
	v_add_co_u32 v46, vcc_lo, v44, v40
	v_add_co_ci_u32_e32 v47, vcc_lo, v45, v41, vcc_lo
	flat_load_b32 v46, v[46:47]
	s_waitcnt vmcnt(0) lgkmcnt(0)
	v_mul_f32_e32 v46, s13, v46
	s_branch .LBB99_129
.LBB99_128:
	v_mov_b32_e32 v46, 0
.LBB99_129:
	v_dual_max_f32 v47, v37, v37 :: v_dual_max_f32 v96, v28, v28
	v_dual_max_f32 v64, v29, v29 :: v_dual_max_f32 v65, v36, v36
	;; [unrolled: 1-line block ×3, first 2 shown]
	v_add_co_u32 v40, vcc_lo, v42, v40
	s_delay_alu instid0(VALU_DEP_3) | instskip(SKIP_2) | instid1(VALU_DEP_3)
	v_dual_min_f32 v47, v64, v47 :: v_dual_max_f32 v64, v30, v30
	v_max_f32_e32 v99, v31, v31
	v_add_co_ci_u32_e32 v41, vcc_lo, v43, v41, vcc_lo
	v_min_f32_e32 v64, v64, v97
	v_min_f32_e32 v65, v96, v65
	s_delay_alu instid0(VALU_DEP_4) | instskip(NEXT) | instid1(VALU_DEP_2)
	v_dual_add_f32 v47, v94, v47 :: v_dual_min_f32 v94, v99, v98
	v_add_f32_e32 v65, v95, v65
	s_delay_alu instid0(VALU_DEP_1) | instskip(NEXT) | instid1(VALU_DEP_1)
	v_dual_add_f32 v64, v65, v64 :: v_dual_add_f32 v47, v47, v94
	v_add_f32_e32 v47, v64, v47
	s_delay_alu instid0(VALU_DEP_1) | instskip(SKIP_3) | instid1(SALU_CYCLE_1)
	v_add_f32_e32 v46, v47, v46
	global_store_b32 v[40:41], v46, off
	s_or_b32 exec_lo, exec_lo, s9
	s_and_b32 s16, s2, s8
	s_and_saveexec_b32 s9, s16
	s_cbranch_execz .LBB99_117
.LBB99_130:
	v_cmp_ne_u32_e32 vcc_lo, 1, v101
	v_lshlrev_b64 v[40:41], 2, v[52:53]
	s_cbranch_vccnz .LBB99_132
; %bb.131:
	s_delay_alu instid0(VALU_DEP_1) | instskip(NEXT) | instid1(VALU_DEP_2)
	v_add_co_u32 v46, vcc_lo, v44, v40
	v_add_co_ci_u32_e32 v47, vcc_lo, v45, v41, vcc_lo
	flat_load_b32 v46, v[46:47]
	s_waitcnt vmcnt(0) lgkmcnt(0)
	v_mul_f32_e32 v46, s13, v46
	s_branch .LBB99_133
.LBB99_132:
	v_mov_b32_e32 v46, 0
.LBB99_133:
	v_dual_max_f32 v47, v37, v37 :: v_dual_max_f32 v94, v24, v24
	v_dual_max_f32 v64, v25, v25 :: v_dual_max_f32 v65, v36, v36
	;; [unrolled: 1-line block ×3, first 2 shown]
	v_add_co_u32 v40, vcc_lo, v42, v40
	s_delay_alu instid0(VALU_DEP_3) | instskip(NEXT) | instid1(VALU_DEP_4)
	v_dual_min_f32 v47, v64, v47 :: v_dual_max_f32 v64, v26, v26
	v_min_f32_e32 v65, v94, v65
	v_add_co_ci_u32_e32 v41, vcc_lo, v43, v41, vcc_lo
	s_delay_alu instid0(VALU_DEP_2) | instskip(NEXT) | instid1(VALU_DEP_1)
	v_dual_min_f32 v64, v64, v95 :: v_dual_add_f32 v65, v93, v65
	v_dual_max_f32 v97, v27, v27 :: v_dual_add_f32 v64, v65, v64
	s_delay_alu instid0(VALU_DEP_1) | instskip(NEXT) | instid1(VALU_DEP_1)
	v_dual_add_f32 v47, v92, v47 :: v_dual_min_f32 v92, v97, v96
	v_add_f32_e32 v47, v47, v92
	s_delay_alu instid0(VALU_DEP_1) | instskip(NEXT) | instid1(VALU_DEP_1)
	v_add_f32_e32 v47, v64, v47
	v_add_f32_e32 v46, v47, v46
	global_store_b32 v[40:41], v46, off
	s_or_b32 exec_lo, exec_lo, s9
	s_and_b32 s16, s3, s8
	s_delay_alu instid0(SALU_CYCLE_1)
	s_and_saveexec_b32 s9, s16
	s_cbranch_execz .LBB99_118
.LBB99_134:
	v_cmp_ne_u32_e32 vcc_lo, 1, v101
	v_lshlrev_b64 v[40:41], 2, v[54:55]
	s_cbranch_vccnz .LBB99_136
; %bb.135:
	s_delay_alu instid0(VALU_DEP_1) | instskip(NEXT) | instid1(VALU_DEP_2)
	v_add_co_u32 v46, vcc_lo, v44, v40
	v_add_co_ci_u32_e32 v47, vcc_lo, v45, v41, vcc_lo
	flat_load_b32 v46, v[46:47]
	s_waitcnt vmcnt(0) lgkmcnt(0)
	v_mul_f32_e32 v46, s13, v46
	s_branch .LBB99_137
.LBB99_136:
	v_mov_b32_e32 v46, 0
.LBB99_137:
	v_dual_max_f32 v47, v37, v37 :: v_dual_max_f32 v92, v20, v20
	v_dual_max_f32 v64, v21, v21 :: v_dual_max_f32 v65, v36, v36
	;; [unrolled: 1-line block ×3, first 2 shown]
	v_add_co_u32 v40, vcc_lo, v42, v40
	s_delay_alu instid0(VALU_DEP_3) | instskip(SKIP_2) | instid1(VALU_DEP_3)
	v_dual_min_f32 v47, v64, v47 :: v_dual_max_f32 v64, v22, v22
	v_max_f32_e32 v95, v23, v23
	v_add_co_ci_u32_e32 v41, vcc_lo, v43, v41, vcc_lo
	v_min_f32_e32 v64, v64, v93
	v_min_f32_e32 v65, v92, v65
	s_delay_alu instid0(VALU_DEP_4) | instskip(NEXT) | instid1(VALU_DEP_2)
	v_dual_add_f32 v47, v90, v47 :: v_dual_min_f32 v90, v95, v94
	v_add_f32_e32 v65, v91, v65
	s_delay_alu instid0(VALU_DEP_1) | instskip(NEXT) | instid1(VALU_DEP_1)
	v_dual_add_f32 v64, v65, v64 :: v_dual_add_f32 v47, v47, v90
	v_add_f32_e32 v47, v64, v47
	s_delay_alu instid0(VALU_DEP_1) | instskip(SKIP_3) | instid1(SALU_CYCLE_1)
	v_add_f32_e32 v46, v47, v46
	global_store_b32 v[40:41], v46, off
	s_or_b32 exec_lo, exec_lo, s9
	s_and_b32 s16, s4, s8
	s_and_saveexec_b32 s9, s16
	s_cbranch_execz .LBB99_119
.LBB99_138:
	v_cmp_ne_u32_e32 vcc_lo, 1, v101
	v_lshlrev_b64 v[40:41], 2, v[56:57]
	s_cbranch_vccnz .LBB99_140
; %bb.139:
	s_delay_alu instid0(VALU_DEP_1) | instskip(NEXT) | instid1(VALU_DEP_2)
	v_add_co_u32 v46, vcc_lo, v44, v40
	v_add_co_ci_u32_e32 v47, vcc_lo, v45, v41, vcc_lo
	flat_load_b32 v46, v[46:47]
	s_waitcnt vmcnt(0) lgkmcnt(0)
	v_mul_f32_e32 v46, s13, v46
	s_branch .LBB99_141
.LBB99_140:
	v_mov_b32_e32 v46, 0
.LBB99_141:
	v_dual_max_f32 v47, v37, v37 :: v_dual_max_f32 v90, v16, v16
	v_dual_max_f32 v64, v17, v17 :: v_dual_max_f32 v65, v36, v36
	;; [unrolled: 1-line block ×3, first 2 shown]
	v_add_co_u32 v40, vcc_lo, v42, v40
	s_delay_alu instid0(VALU_DEP_3) | instskip(NEXT) | instid1(VALU_DEP_4)
	v_dual_min_f32 v47, v64, v47 :: v_dual_max_f32 v64, v18, v18
	v_min_f32_e32 v65, v90, v65
	v_add_co_ci_u32_e32 v41, vcc_lo, v43, v41, vcc_lo
	s_delay_alu instid0(VALU_DEP_3) | instskip(NEXT) | instid1(VALU_DEP_4)
	v_add_f32_e32 v47, v89, v47
	v_min_f32_e32 v64, v64, v91
	s_delay_alu instid0(VALU_DEP_4) | instskip(NEXT) | instid1(VALU_DEP_1)
	v_add_f32_e32 v65, v88, v65
	v_dual_max_f32 v93, v19, v19 :: v_dual_add_f32 v64, v65, v64
	s_delay_alu instid0(VALU_DEP_1) | instskip(NEXT) | instid1(VALU_DEP_1)
	v_min_f32_e32 v89, v93, v92
	v_add_f32_e32 v47, v47, v89
	s_delay_alu instid0(VALU_DEP_1) | instskip(NEXT) | instid1(VALU_DEP_1)
	v_add_f32_e32 v47, v64, v47
	v_add_f32_e32 v46, v47, v46
	global_store_b32 v[40:41], v46, off
	s_or_b32 exec_lo, exec_lo, s9
	s_and_b32 s16, s5, s8
	s_delay_alu instid0(SALU_CYCLE_1)
	s_and_saveexec_b32 s9, s16
	s_cbranch_execz .LBB99_120
.LBB99_142:
	v_cmp_ne_u32_e32 vcc_lo, 1, v101
	v_lshlrev_b64 v[40:41], 2, v[58:59]
	s_cbranch_vccnz .LBB99_144
; %bb.143:
	s_delay_alu instid0(VALU_DEP_1) | instskip(NEXT) | instid1(VALU_DEP_2)
	v_add_co_u32 v46, vcc_lo, v44, v40
	v_add_co_ci_u32_e32 v47, vcc_lo, v45, v41, vcc_lo
	flat_load_b32 v46, v[46:47]
	s_waitcnt vmcnt(0) lgkmcnt(0)
	v_mul_f32_e32 v46, s13, v46
	s_branch .LBB99_145
.LBB99_144:
	v_mov_b32_e32 v46, 0
.LBB99_145:
	v_dual_max_f32 v47, v37, v37 :: v_dual_max_f32 v88, v12, v12
	v_dual_max_f32 v64, v13, v13 :: v_dual_max_f32 v65, v36, v36
	;; [unrolled: 1-line block ×3, first 2 shown]
	v_add_co_u32 v40, vcc_lo, v42, v40
	s_delay_alu instid0(VALU_DEP_3) | instskip(SKIP_3) | instid1(VALU_DEP_4)
	v_dual_min_f32 v47, v64, v47 :: v_dual_max_f32 v64, v14, v14
	v_max_f32_e32 v91, v15, v15
	v_min_f32_e32 v65, v88, v65
	v_add_co_ci_u32_e32 v41, vcc_lo, v43, v41, vcc_lo
	v_min_f32_e32 v64, v64, v89
	s_delay_alu instid0(VALU_DEP_3) | instskip(SKIP_1) | instid1(VALU_DEP_2)
	v_add_f32_e32 v65, v86, v65
	v_add_f32_e32 v47, v87, v47
	v_dual_min_f32 v87, v91, v90 :: v_dual_add_f32 v64, v65, v64
	s_delay_alu instid0(VALU_DEP_1) | instskip(NEXT) | instid1(VALU_DEP_1)
	v_add_f32_e32 v47, v47, v87
	v_add_f32_e32 v47, v64, v47
	s_delay_alu instid0(VALU_DEP_1) | instskip(SKIP_3) | instid1(SALU_CYCLE_1)
	v_add_f32_e32 v46, v47, v46
	global_store_b32 v[40:41], v46, off
	s_or_b32 exec_lo, exec_lo, s9
	s_and_b32 s16, s6, s8
	s_and_saveexec_b32 s9, s16
	s_cbranch_execz .LBB99_121
.LBB99_146:
	v_cmp_ne_u32_e32 vcc_lo, 1, v101
	v_lshlrev_b64 v[40:41], 2, v[60:61]
	s_cbranch_vccnz .LBB99_148
; %bb.147:
	s_delay_alu instid0(VALU_DEP_1) | instskip(NEXT) | instid1(VALU_DEP_2)
	v_add_co_u32 v46, vcc_lo, v44, v40
	v_add_co_ci_u32_e32 v47, vcc_lo, v45, v41, vcc_lo
	flat_load_b32 v46, v[46:47]
	s_waitcnt vmcnt(0) lgkmcnt(0)
	v_mul_f32_e32 v46, s13, v46
	s_branch .LBB99_149
.LBB99_148:
	v_mov_b32_e32 v46, 0
.LBB99_149:
	v_dual_max_f32 v47, v37, v37 :: v_dual_max_f32 v86, v8, v8
	v_dual_max_f32 v64, v9, v9 :: v_dual_max_f32 v65, v36, v36
	;; [unrolled: 1-line block ×3, first 2 shown]
	v_add_co_u32 v40, vcc_lo, v42, v40
	s_delay_alu instid0(VALU_DEP_3) | instskip(NEXT) | instid1(VALU_DEP_4)
	v_dual_min_f32 v47, v64, v47 :: v_dual_max_f32 v64, v10, v10
	v_min_f32_e32 v65, v86, v65
	v_add_co_ci_u32_e32 v41, vcc_lo, v43, v41, vcc_lo
	s_delay_alu instid0(VALU_DEP_2) | instskip(NEXT) | instid1(VALU_DEP_1)
	v_dual_min_f32 v64, v64, v87 :: v_dual_add_f32 v65, v85, v65
	v_dual_max_f32 v89, v11, v11 :: v_dual_add_f32 v64, v65, v64
	s_delay_alu instid0(VALU_DEP_1) | instskip(NEXT) | instid1(VALU_DEP_1)
	v_dual_add_f32 v47, v84, v47 :: v_dual_min_f32 v84, v89, v88
	v_add_f32_e32 v47, v47, v84
	s_delay_alu instid0(VALU_DEP_1) | instskip(NEXT) | instid1(VALU_DEP_1)
	v_add_f32_e32 v47, v64, v47
	v_add_f32_e32 v46, v47, v46
	global_store_b32 v[40:41], v46, off
	s_or_b32 exec_lo, exec_lo, s9
	s_and_b32 s9, s7, s8
	s_delay_alu instid0(SALU_CYCLE_1)
	s_and_saveexec_b32 s8, s9
	s_cbranch_execz .LBB99_154
.LBB99_150:
	v_cmp_ne_u32_e32 vcc_lo, 1, v101
	v_lshlrev_b64 v[40:41], 2, v[62:63]
	s_cbranch_vccnz .LBB99_152
; %bb.151:
	s_delay_alu instid0(VALU_DEP_1) | instskip(NEXT) | instid1(VALU_DEP_2)
	v_add_co_u32 v44, vcc_lo, v44, v40
	v_add_co_ci_u32_e32 v45, vcc_lo, v45, v41, vcc_lo
	flat_load_b32 v44, v[44:45]
	s_waitcnt vmcnt(0) lgkmcnt(0)
	v_mul_f32_e32 v44, s13, v44
	s_branch .LBB99_153
.LBB99_152:
	v_mov_b32_e32 v44, 0
.LBB99_153:
	v_dual_max_f32 v37, v37, v37 :: v_dual_max_f32 v36, v36, v36
	v_dual_max_f32 v45, v1, v1 :: v_dual_max_f32 v46, v0, v0
	;; [unrolled: 1-line block ×3, first 2 shown]
	s_delay_alu instid0(VALU_DEP_2) | instskip(SKIP_1) | instid1(VALU_DEP_2)
	v_dual_min_f32 v37, v45, v37 :: v_dual_min_f32 v36, v46, v36
	v_max_f32_e32 v47, v3, v3
	v_dual_add_f32 v37, v83, v37 :: v_dual_add_f32 v36, v82, v36
	s_delay_alu instid0(VALU_DEP_2) | instskip(NEXT) | instid1(VALU_DEP_1)
	v_min_f32_e32 v39, v47, v39
	v_add_f32_e32 v37, v37, v39
	v_max_f32_e32 v45, v2, v2
	s_delay_alu instid0(VALU_DEP_1) | instskip(NEXT) | instid1(VALU_DEP_1)
	v_min_f32_e32 v38, v45, v38
	v_add_f32_e32 v36, v36, v38
	s_delay_alu instid0(VALU_DEP_1) | instskip(NEXT) | instid1(VALU_DEP_1)
	v_add_f32_e32 v36, v36, v37
	v_add_f32_e32 v38, v36, v44
	v_add_co_u32 v36, vcc_lo, v42, v40
	v_add_co_ci_u32_e32 v37, vcc_lo, v43, v41, vcc_lo
	global_store_b32 v[36:37], v38, off
.LBB99_154:
	s_or_b32 exec_lo, exec_lo, s8
	v_add_nc_u32_e32 v40, 0x60, v117
	s_delay_alu instid0(VALU_DEP_1) | instskip(SKIP_2) | instid1(VALU_DEP_3)
	v_mad_i64_i32 v[36:37], null, v40, s18, 0
	v_mad_i64_i32 v[38:39], null, v40, s15, 0
	v_cmp_gt_i32_e64 s8, s17, v40
	v_lshlrev_b64 v[36:37], 2, v[36:37]
	s_delay_alu instid0(VALU_DEP_2) | instskip(NEXT) | instid1(VALU_DEP_3)
	s_and_b32 s9, s0, s8
	v_lshlrev_b64 v[38:39], 2, v[38:39]
	s_delay_alu instid0(VALU_DEP_2) | instskip(NEXT) | instid1(VALU_DEP_3)
	v_add_co_u32 v40, vcc_lo, s10, v36
	v_add_co_ci_u32_e32 v41, vcc_lo, s11, v37, vcc_lo
	s_delay_alu instid0(VALU_DEP_3) | instskip(NEXT) | instid1(VALU_DEP_4)
	v_add_co_u32 v38, vcc_lo, s12, v38
	v_add_co_ci_u32_e32 v39, vcc_lo, s14, v39, vcc_lo
	s_and_saveexec_b32 s0, s9
	s_cbranch_execnz .LBB99_163
; %bb.155:
	s_or_b32 exec_lo, exec_lo, s0
	s_and_b32 s1, s1, s8
	s_delay_alu instid0(SALU_CYCLE_1)
	s_and_saveexec_b32 s0, s1
	s_cbranch_execnz .LBB99_167
.LBB99_156:
	s_or_b32 exec_lo, exec_lo, s0
	s_and_b32 s1, s2, s8
	s_delay_alu instid0(SALU_CYCLE_1)
	s_and_saveexec_b32 s0, s1
	s_cbranch_execnz .LBB99_171
.LBB99_157:
	s_or_b32 exec_lo, exec_lo, s0
	s_and_b32 s1, s3, s8
	s_delay_alu instid0(SALU_CYCLE_1)
	s_and_saveexec_b32 s0, s1
	s_cbranch_execnz .LBB99_175
.LBB99_158:
	s_or_b32 exec_lo, exec_lo, s0
	s_and_b32 s1, s4, s8
	s_delay_alu instid0(SALU_CYCLE_1)
	s_and_saveexec_b32 s0, s1
	s_cbranch_execnz .LBB99_179
.LBB99_159:
	s_or_b32 exec_lo, exec_lo, s0
	s_and_b32 s1, s5, s8
	s_delay_alu instid0(SALU_CYCLE_1)
	s_and_saveexec_b32 s0, s1
	s_cbranch_execnz .LBB99_183
.LBB99_160:
	s_or_b32 exec_lo, exec_lo, s0
	s_and_b32 s1, s6, s8
	s_delay_alu instid0(SALU_CYCLE_1)
	s_and_saveexec_b32 s0, s1
	s_cbranch_execnz .LBB99_187
.LBB99_161:
	s_or_b32 exec_lo, exec_lo, s0
	s_and_b32 s0, s7, s8
	s_delay_alu instid0(SALU_CYCLE_1)
	s_and_saveexec_b32 s1, s0
	s_cbranch_execnz .LBB99_191
.LBB99_162:
	s_nop 0
	s_sendmsg sendmsg(MSG_DEALLOC_VGPRS)
	s_endpgm
.LBB99_163:
	v_cmp_ne_u32_e32 vcc_lo, 1, v101
	v_lshlrev_b64 v[36:37], 2, v[48:49]
	s_cbranch_vccnz .LBB99_165
; %bb.164:
	s_delay_alu instid0(VALU_DEP_1) | instskip(NEXT) | instid1(VALU_DEP_2)
	v_add_co_u32 v42, vcc_lo, v40, v36
	v_add_co_ci_u32_e32 v43, vcc_lo, v41, v37, vcc_lo
	flat_load_b32 v42, v[42:43]
	s_waitcnt vmcnt(0) lgkmcnt(0)
	v_mul_f32_e32 v42, s13, v42
	s_branch .LBB99_166
.LBB99_165:
	v_mov_b32_e32 v42, 0
.LBB99_166:
	v_dual_max_f32 v43, v5, v5 :: v_dual_max_f32 v44, v4, v4
	v_dual_max_f32 v33, v33, v33 :: v_dual_max_f32 v32, v32, v32
	v_max_f32_e32 v45, v6, v6
	s_delay_alu instid0(VALU_DEP_2) | instskip(NEXT) | instid1(VALU_DEP_3)
	v_dual_max_f32 v34, v34, v34 :: v_dual_min_f32 v33, v33, v43
	v_dual_min_f32 v32, v32, v44 :: v_dual_max_f32 v43, v7, v7
	s_delay_alu instid0(VALU_DEP_2) | instskip(NEXT) | instid1(VALU_DEP_2)
	v_dual_min_f32 v34, v34, v45 :: v_dual_max_f32 v35, v35, v35
	v_dual_add_f32 v33, v80, v33 :: v_dual_add_f32 v32, v81, v32
	s_delay_alu instid0(VALU_DEP_1) | instskip(NEXT) | instid1(VALU_DEP_1)
	v_dual_min_f32 v35, v35, v43 :: v_dual_add_f32 v32, v32, v34
	v_add_f32_e32 v33, v33, v35
	s_delay_alu instid0(VALU_DEP_1) | instskip(NEXT) | instid1(VALU_DEP_1)
	v_add_f32_e32 v32, v32, v33
	v_add_f32_e32 v34, v32, v42
	v_add_co_u32 v32, vcc_lo, v38, v36
	v_add_co_ci_u32_e32 v33, vcc_lo, v39, v37, vcc_lo
	global_store_b32 v[32:33], v34, off
	s_or_b32 exec_lo, exec_lo, s0
	s_and_b32 s1, s1, s8
	s_delay_alu instid0(SALU_CYCLE_1)
	s_and_saveexec_b32 s0, s1
	s_cbranch_execz .LBB99_156
.LBB99_167:
	v_cmp_ne_u32_e32 vcc_lo, 1, v101
	v_lshlrev_b64 v[32:33], 2, v[50:51]
	s_cbranch_vccnz .LBB99_169
; %bb.168:
	s_delay_alu instid0(VALU_DEP_1) | instskip(NEXT) | instid1(VALU_DEP_2)
	v_add_co_u32 v34, vcc_lo, v40, v32
	v_add_co_ci_u32_e32 v35, vcc_lo, v41, v33, vcc_lo
	flat_load_b32 v34, v[34:35]
	s_waitcnt vmcnt(0) lgkmcnt(0)
	v_mul_f32_e32 v34, s13, v34
	s_branch .LBB99_170
.LBB99_169:
	v_mov_b32_e32 v34, 0
.LBB99_170:
	v_dual_max_f32 v35, v5, v5 :: v_dual_max_f32 v36, v4, v4
	v_dual_max_f32 v29, v29, v29 :: v_dual_max_f32 v28, v28, v28
	v_max_f32_e32 v37, v6, v6
	s_delay_alu instid0(VALU_DEP_2) | instskip(NEXT) | instid1(VALU_DEP_3)
	v_dual_max_f32 v30, v30, v30 :: v_dual_min_f32 v29, v29, v35
	v_dual_min_f32 v28, v28, v36 :: v_dual_max_f32 v35, v7, v7
	s_delay_alu instid0(VALU_DEP_2) | instskip(NEXT) | instid1(VALU_DEP_2)
	v_dual_min_f32 v30, v30, v37 :: v_dual_max_f32 v31, v31, v31
	v_dual_add_f32 v28, v78, v28 :: v_dual_add_f32 v29, v79, v29
	s_delay_alu instid0(VALU_DEP_1) | instskip(NEXT) | instid1(VALU_DEP_1)
	v_dual_add_f32 v28, v28, v30 :: v_dual_min_f32 v31, v31, v35
	v_add_f32_e32 v29, v29, v31
	s_delay_alu instid0(VALU_DEP_1) | instskip(NEXT) | instid1(VALU_DEP_1)
	v_add_f32_e32 v28, v28, v29
	v_add_f32_e32 v30, v28, v34
	v_add_co_u32 v28, vcc_lo, v38, v32
	v_add_co_ci_u32_e32 v29, vcc_lo, v39, v33, vcc_lo
	global_store_b32 v[28:29], v30, off
	s_or_b32 exec_lo, exec_lo, s0
	s_and_b32 s1, s2, s8
	s_delay_alu instid0(SALU_CYCLE_1)
	s_and_saveexec_b32 s0, s1
	s_cbranch_execz .LBB99_157
.LBB99_171:
	v_cmp_ne_u32_e32 vcc_lo, 1, v101
	v_lshlrev_b64 v[28:29], 2, v[52:53]
	s_cbranch_vccnz .LBB99_173
; %bb.172:
	s_delay_alu instid0(VALU_DEP_1) | instskip(NEXT) | instid1(VALU_DEP_2)
	v_add_co_u32 v30, vcc_lo, v40, v28
	v_add_co_ci_u32_e32 v31, vcc_lo, v41, v29, vcc_lo
	flat_load_b32 v30, v[30:31]
	s_waitcnt vmcnt(0) lgkmcnt(0)
	v_mul_f32_e32 v30, s13, v30
	s_branch .LBB99_174
.LBB99_173:
	v_mov_b32_e32 v30, 0
.LBB99_174:
	v_dual_max_f32 v31, v5, v5 :: v_dual_max_f32 v32, v4, v4
	v_dual_max_f32 v25, v25, v25 :: v_dual_max_f32 v24, v24, v24
	v_max_f32_e32 v33, v6, v6
	s_delay_alu instid0(VALU_DEP_2) | instskip(NEXT) | instid1(VALU_DEP_3)
	v_dual_max_f32 v26, v26, v26 :: v_dual_min_f32 v25, v25, v31
	v_dual_min_f32 v24, v24, v32 :: v_dual_max_f32 v31, v7, v7
	s_delay_alu instid0(VALU_DEP_2) | instskip(NEXT) | instid1(VALU_DEP_2)
	v_dual_min_f32 v26, v26, v33 :: v_dual_max_f32 v27, v27, v27
	v_dual_add_f32 v25, v76, v25 :: v_dual_add_f32 v24, v77, v24
	s_delay_alu instid0(VALU_DEP_1) | instskip(NEXT) | instid1(VALU_DEP_1)
	v_dual_min_f32 v27, v27, v31 :: v_dual_add_f32 v24, v24, v26
	v_add_f32_e32 v25, v25, v27
	s_delay_alu instid0(VALU_DEP_1) | instskip(NEXT) | instid1(VALU_DEP_1)
	v_add_f32_e32 v24, v24, v25
	v_add_f32_e32 v26, v24, v30
	v_add_co_u32 v24, vcc_lo, v38, v28
	v_add_co_ci_u32_e32 v25, vcc_lo, v39, v29, vcc_lo
	global_store_b32 v[24:25], v26, off
	s_or_b32 exec_lo, exec_lo, s0
	s_and_b32 s1, s3, s8
	s_delay_alu instid0(SALU_CYCLE_1)
	s_and_saveexec_b32 s0, s1
	s_cbranch_execz .LBB99_158
.LBB99_175:
	v_cmp_ne_u32_e32 vcc_lo, 1, v101
	v_lshlrev_b64 v[24:25], 2, v[54:55]
	s_cbranch_vccnz .LBB99_177
; %bb.176:
	s_delay_alu instid0(VALU_DEP_1) | instskip(NEXT) | instid1(VALU_DEP_2)
	v_add_co_u32 v26, vcc_lo, v40, v24
	v_add_co_ci_u32_e32 v27, vcc_lo, v41, v25, vcc_lo
	flat_load_b32 v26, v[26:27]
	s_waitcnt vmcnt(0) lgkmcnt(0)
	v_mul_f32_e32 v26, s13, v26
	s_branch .LBB99_178
.LBB99_177:
	v_mov_b32_e32 v26, 0
.LBB99_178:
	v_dual_max_f32 v27, v5, v5 :: v_dual_max_f32 v28, v4, v4
	v_dual_max_f32 v21, v21, v21 :: v_dual_max_f32 v20, v20, v20
	v_max_f32_e32 v29, v6, v6
	s_delay_alu instid0(VALU_DEP_2) | instskip(NEXT) | instid1(VALU_DEP_3)
	v_dual_max_f32 v22, v22, v22 :: v_dual_min_f32 v21, v21, v27
	v_dual_min_f32 v20, v20, v28 :: v_dual_max_f32 v27, v7, v7
	s_delay_alu instid0(VALU_DEP_2) | instskip(NEXT) | instid1(VALU_DEP_2)
	v_min_f32_e32 v22, v22, v29
	v_dual_add_f32 v21, v74, v21 :: v_dual_add_f32 v20, v75, v20
	s_delay_alu instid0(VALU_DEP_1) | instskip(NEXT) | instid1(VALU_DEP_1)
	v_dual_max_f32 v23, v23, v23 :: v_dual_add_f32 v20, v20, v22
	v_min_f32_e32 v23, v23, v27
	s_delay_alu instid0(VALU_DEP_1) | instskip(NEXT) | instid1(VALU_DEP_1)
	v_add_f32_e32 v21, v21, v23
	v_add_f32_e32 v20, v20, v21
	s_delay_alu instid0(VALU_DEP_1)
	v_add_f32_e32 v22, v20, v26
	v_add_co_u32 v20, vcc_lo, v38, v24
	v_add_co_ci_u32_e32 v21, vcc_lo, v39, v25, vcc_lo
	global_store_b32 v[20:21], v22, off
	s_or_b32 exec_lo, exec_lo, s0
	s_and_b32 s1, s4, s8
	s_delay_alu instid0(SALU_CYCLE_1)
	s_and_saveexec_b32 s0, s1
	s_cbranch_execz .LBB99_159
.LBB99_179:
	v_cmp_ne_u32_e32 vcc_lo, 1, v101
	v_lshlrev_b64 v[20:21], 2, v[56:57]
	s_cbranch_vccnz .LBB99_181
; %bb.180:
	s_delay_alu instid0(VALU_DEP_1) | instskip(NEXT) | instid1(VALU_DEP_2)
	v_add_co_u32 v22, vcc_lo, v40, v20
	v_add_co_ci_u32_e32 v23, vcc_lo, v41, v21, vcc_lo
	flat_load_b32 v22, v[22:23]
	s_waitcnt vmcnt(0) lgkmcnt(0)
	v_mul_f32_e32 v22, s13, v22
	s_branch .LBB99_182
.LBB99_181:
	v_mov_b32_e32 v22, 0
.LBB99_182:
	v_dual_max_f32 v23, v5, v5 :: v_dual_max_f32 v24, v4, v4
	v_dual_max_f32 v17, v17, v17 :: v_dual_max_f32 v16, v16, v16
	v_max_f32_e32 v25, v6, v6
	s_delay_alu instid0(VALU_DEP_2) | instskip(NEXT) | instid1(VALU_DEP_3)
	v_dual_max_f32 v18, v18, v18 :: v_dual_min_f32 v17, v17, v23
	v_dual_min_f32 v16, v16, v24 :: v_dual_max_f32 v23, v7, v7
	s_delay_alu instid0(VALU_DEP_2) | instskip(NEXT) | instid1(VALU_DEP_2)
	v_dual_min_f32 v18, v18, v25 :: v_dual_max_f32 v19, v19, v19
	v_dual_add_f32 v16, v72, v16 :: v_dual_add_f32 v17, v73, v17
	s_delay_alu instid0(VALU_DEP_1) | instskip(NEXT) | instid1(VALU_DEP_1)
	v_dual_add_f32 v16, v16, v18 :: v_dual_min_f32 v19, v19, v23
	v_add_f32_e32 v17, v17, v19
	s_delay_alu instid0(VALU_DEP_1) | instskip(NEXT) | instid1(VALU_DEP_1)
	v_add_f32_e32 v16, v16, v17
	v_add_f32_e32 v18, v16, v22
	v_add_co_u32 v16, vcc_lo, v38, v20
	v_add_co_ci_u32_e32 v17, vcc_lo, v39, v21, vcc_lo
	global_store_b32 v[16:17], v18, off
	s_or_b32 exec_lo, exec_lo, s0
	s_and_b32 s1, s5, s8
	s_delay_alu instid0(SALU_CYCLE_1)
	s_and_saveexec_b32 s0, s1
	s_cbranch_execz .LBB99_160
.LBB99_183:
	v_cmp_ne_u32_e32 vcc_lo, 1, v101
	v_lshlrev_b64 v[16:17], 2, v[58:59]
	s_cbranch_vccnz .LBB99_185
; %bb.184:
	s_delay_alu instid0(VALU_DEP_1) | instskip(NEXT) | instid1(VALU_DEP_2)
	v_add_co_u32 v18, vcc_lo, v40, v16
	v_add_co_ci_u32_e32 v19, vcc_lo, v41, v17, vcc_lo
	flat_load_b32 v18, v[18:19]
	s_waitcnt vmcnt(0) lgkmcnt(0)
	v_mul_f32_e32 v18, s13, v18
	s_branch .LBB99_186
.LBB99_185:
	v_mov_b32_e32 v18, 0
.LBB99_186:
	v_dual_max_f32 v19, v5, v5 :: v_dual_max_f32 v20, v4, v4
	v_dual_max_f32 v13, v13, v13 :: v_dual_max_f32 v12, v12, v12
	v_max_f32_e32 v21, v6, v6
	s_delay_alu instid0(VALU_DEP_2) | instskip(NEXT) | instid1(VALU_DEP_3)
	v_dual_max_f32 v14, v14, v14 :: v_dual_min_f32 v13, v13, v19
	v_dual_min_f32 v12, v12, v20 :: v_dual_max_f32 v19, v7, v7
	s_delay_alu instid0(VALU_DEP_2) | instskip(NEXT) | instid1(VALU_DEP_2)
	v_min_f32_e32 v14, v14, v21
	v_dual_add_f32 v13, v70, v13 :: v_dual_add_f32 v12, v71, v12
	s_delay_alu instid0(VALU_DEP_1) | instskip(NEXT) | instid1(VALU_DEP_1)
	v_dual_max_f32 v15, v15, v15 :: v_dual_add_f32 v12, v12, v14
	v_min_f32_e32 v15, v15, v19
	s_delay_alu instid0(VALU_DEP_1) | instskip(NEXT) | instid1(VALU_DEP_1)
	v_add_f32_e32 v13, v13, v15
	v_add_f32_e32 v12, v12, v13
	s_delay_alu instid0(VALU_DEP_1)
	v_add_f32_e32 v14, v12, v18
	v_add_co_u32 v12, vcc_lo, v38, v16
	v_add_co_ci_u32_e32 v13, vcc_lo, v39, v17, vcc_lo
	global_store_b32 v[12:13], v14, off
	s_or_b32 exec_lo, exec_lo, s0
	s_and_b32 s1, s6, s8
	s_delay_alu instid0(SALU_CYCLE_1)
	s_and_saveexec_b32 s0, s1
	s_cbranch_execz .LBB99_161
.LBB99_187:
	v_cmp_ne_u32_e32 vcc_lo, 1, v101
	v_lshlrev_b64 v[12:13], 2, v[60:61]
	s_cbranch_vccnz .LBB99_189
; %bb.188:
	s_delay_alu instid0(VALU_DEP_1) | instskip(NEXT) | instid1(VALU_DEP_2)
	v_add_co_u32 v14, vcc_lo, v40, v12
	v_add_co_ci_u32_e32 v15, vcc_lo, v41, v13, vcc_lo
	flat_load_b32 v14, v[14:15]
	s_waitcnt vmcnt(0) lgkmcnt(0)
	v_mul_f32_e32 v14, s13, v14
	s_branch .LBB99_190
.LBB99_189:
	v_mov_b32_e32 v14, 0
.LBB99_190:
	v_dual_max_f32 v15, v5, v5 :: v_dual_max_f32 v16, v4, v4
	v_dual_max_f32 v9, v9, v9 :: v_dual_max_f32 v8, v8, v8
	v_max_f32_e32 v17, v6, v6
	s_delay_alu instid0(VALU_DEP_2) | instskip(NEXT) | instid1(VALU_DEP_3)
	v_dual_max_f32 v10, v10, v10 :: v_dual_min_f32 v9, v9, v15
	v_dual_min_f32 v8, v8, v16 :: v_dual_max_f32 v15, v7, v7
	s_delay_alu instid0(VALU_DEP_2) | instskip(NEXT) | instid1(VALU_DEP_2)
	v_dual_min_f32 v10, v10, v17 :: v_dual_max_f32 v11, v11, v11
	v_dual_add_f32 v8, v68, v8 :: v_dual_add_f32 v9, v69, v9
	s_delay_alu instid0(VALU_DEP_1) | instskip(NEXT) | instid1(VALU_DEP_1)
	v_dual_add_f32 v8, v8, v10 :: v_dual_min_f32 v11, v11, v15
	v_add_f32_e32 v9, v9, v11
	s_delay_alu instid0(VALU_DEP_1) | instskip(NEXT) | instid1(VALU_DEP_1)
	v_add_f32_e32 v8, v8, v9
	v_add_f32_e32 v10, v8, v14
	v_add_co_u32 v8, vcc_lo, v38, v12
	v_add_co_ci_u32_e32 v9, vcc_lo, v39, v13, vcc_lo
	global_store_b32 v[8:9], v10, off
	s_or_b32 exec_lo, exec_lo, s0
	s_and_b32 s0, s7, s8
	s_delay_alu instid0(SALU_CYCLE_1)
	s_and_saveexec_b32 s1, s0
	s_cbranch_execz .LBB99_162
.LBB99_191:
	v_cmp_ne_u32_e32 vcc_lo, 1, v101
	v_lshlrev_b64 v[8:9], 2, v[62:63]
	s_cbranch_vccnz .LBB99_193
; %bb.192:
	s_delay_alu instid0(VALU_DEP_1) | instskip(NEXT) | instid1(VALU_DEP_2)
	v_add_co_u32 v10, vcc_lo, v40, v8
	v_add_co_ci_u32_e32 v11, vcc_lo, v41, v9, vcc_lo
	flat_load_b32 v10, v[10:11]
	s_waitcnt vmcnt(0) lgkmcnt(0)
	v_mul_f32_e32 v10, s13, v10
	s_branch .LBB99_194
.LBB99_193:
	v_mov_b32_e32 v10, 0
.LBB99_194:
	v_dual_max_f32 v5, v5, v5 :: v_dual_max_f32 v4, v4, v4
	v_dual_max_f32 v1, v1, v1 :: v_dual_max_f32 v0, v0, v0
	v_max_f32_e32 v6, v6, v6
	v_dual_max_f32 v2, v2, v2 :: v_dual_max_f32 v3, v3, v3
	s_delay_alu instid0(VALU_DEP_3) | instskip(NEXT) | instid1(VALU_DEP_2)
	v_dual_min_f32 v1, v1, v5 :: v_dual_min_f32 v0, v0, v4
	v_dual_max_f32 v5, v7, v7 :: v_dual_min_f32 v2, v2, v6
	s_delay_alu instid0(VALU_DEP_2) | instskip(NEXT) | instid1(VALU_DEP_1)
	v_dual_add_f32 v1, v67, v1 :: v_dual_add_f32 v0, v66, v0
	v_dual_min_f32 v3, v3, v5 :: v_dual_add_f32 v0, v0, v2
	s_delay_alu instid0(VALU_DEP_1) | instskip(NEXT) | instid1(VALU_DEP_1)
	v_add_f32_e32 v1, v1, v3
	v_add_f32_e32 v0, v0, v1
	s_delay_alu instid0(VALU_DEP_1)
	v_add_f32_e32 v2, v0, v10
	v_add_co_u32 v0, vcc_lo, v38, v8
	v_add_co_ci_u32_e32 v1, vcc_lo, v39, v9, vcc_lo
	global_store_b32 v[0:1], v2, off
	s_nop 0
	s_sendmsg sendmsg(MSG_DEALLOC_VGPRS)
	s_endpgm
	.section	.rodata,"a",@progbits
	.p2align	6, 0x0
	.amdhsa_kernel _ZN12_GLOBAL__N_120geam_min_plus_kernelIf15HIP_vector_typeIfLj2EES2_Li8ELi32ELi64ELi128ELi4ELi4ELi64ELi64ELi4ELc84ELc84ELb0ELb1ELb0EPKfS3_fEEviiiT16_PT17_ilS7_ilS5_S7_ilPT18_ili26rocblas_geam_ex_operation_
		.amdhsa_group_segment_fixed_size 6144
		.amdhsa_private_segment_fixed_size 0
		.amdhsa_kernarg_size 136
		.amdhsa_user_sgpr_count 14
		.amdhsa_user_sgpr_dispatch_ptr 0
		.amdhsa_user_sgpr_queue_ptr 0
		.amdhsa_user_sgpr_kernarg_segment_ptr 1
		.amdhsa_user_sgpr_dispatch_id 0
		.amdhsa_user_sgpr_private_segment_size 0
		.amdhsa_wavefront_size32 1
		.amdhsa_uses_dynamic_stack 0
		.amdhsa_enable_private_segment 0
		.amdhsa_system_sgpr_workgroup_id_x 1
		.amdhsa_system_sgpr_workgroup_id_y 0
		.amdhsa_system_sgpr_workgroup_id_z 1
		.amdhsa_system_sgpr_workgroup_info 0
		.amdhsa_system_vgpr_workitem_id 1
		.amdhsa_next_free_vgpr 226
		.amdhsa_next_free_sgpr 29
		.amdhsa_reserve_vcc 1
		.amdhsa_float_round_mode_32 0
		.amdhsa_float_round_mode_16_64 0
		.amdhsa_float_denorm_mode_32 3
		.amdhsa_float_denorm_mode_16_64 3
		.amdhsa_dx10_clamp 1
		.amdhsa_ieee_mode 1
		.amdhsa_fp16_overflow 0
		.amdhsa_workgroup_processor_mode 1
		.amdhsa_memory_ordered 1
		.amdhsa_forward_progress 0
		.amdhsa_shared_vgpr_count 0
		.amdhsa_exception_fp_ieee_invalid_op 0
		.amdhsa_exception_fp_denorm_src 0
		.amdhsa_exception_fp_ieee_div_zero 0
		.amdhsa_exception_fp_ieee_overflow 0
		.amdhsa_exception_fp_ieee_underflow 0
		.amdhsa_exception_fp_ieee_inexact 0
		.amdhsa_exception_int_div_zero 0
	.end_amdhsa_kernel
	.section	.text._ZN12_GLOBAL__N_120geam_min_plus_kernelIf15HIP_vector_typeIfLj2EES2_Li8ELi32ELi64ELi128ELi4ELi4ELi64ELi64ELi4ELc84ELc84ELb0ELb1ELb0EPKfS3_fEEviiiT16_PT17_ilS7_ilS5_S7_ilPT18_ili26rocblas_geam_ex_operation_,"axG",@progbits,_ZN12_GLOBAL__N_120geam_min_plus_kernelIf15HIP_vector_typeIfLj2EES2_Li8ELi32ELi64ELi128ELi4ELi4ELi64ELi64ELi4ELc84ELc84ELb0ELb1ELb0EPKfS3_fEEviiiT16_PT17_ilS7_ilS5_S7_ilPT18_ili26rocblas_geam_ex_operation_,comdat
.Lfunc_end99:
	.size	_ZN12_GLOBAL__N_120geam_min_plus_kernelIf15HIP_vector_typeIfLj2EES2_Li8ELi32ELi64ELi128ELi4ELi4ELi64ELi64ELi4ELc84ELc84ELb0ELb1ELb0EPKfS3_fEEviiiT16_PT17_ilS7_ilS5_S7_ilPT18_ili26rocblas_geam_ex_operation_, .Lfunc_end99-_ZN12_GLOBAL__N_120geam_min_plus_kernelIf15HIP_vector_typeIfLj2EES2_Li8ELi32ELi64ELi128ELi4ELi4ELi64ELi64ELi4ELc84ELc84ELb0ELb1ELb0EPKfS3_fEEviiiT16_PT17_ilS7_ilS5_S7_ilPT18_ili26rocblas_geam_ex_operation_
                                        ; -- End function
	.section	.AMDGPU.csdata,"",@progbits
; Kernel info:
; codeLenInByte = 13332
; NumSgprs: 31
; NumVgprs: 226
; ScratchSize: 0
; MemoryBound: 0
; FloatMode: 240
; IeeeMode: 1
; LDSByteSize: 6144 bytes/workgroup (compile time only)
; SGPRBlocks: 3
; VGPRBlocks: 28
; NumSGPRsForWavesPerEU: 31
; NumVGPRsForWavesPerEU: 226
; Occupancy: 6
; WaveLimiterHint : 0
; COMPUTE_PGM_RSRC2:SCRATCH_EN: 0
; COMPUTE_PGM_RSRC2:USER_SGPR: 14
; COMPUTE_PGM_RSRC2:TRAP_HANDLER: 0
; COMPUTE_PGM_RSRC2:TGID_X_EN: 1
; COMPUTE_PGM_RSRC2:TGID_Y_EN: 0
; COMPUTE_PGM_RSRC2:TGID_Z_EN: 1
; COMPUTE_PGM_RSRC2:TIDIG_COMP_CNT: 1
	.section	.text._ZN12_GLOBAL__N_120geam_min_plus_kernelIf15HIP_vector_typeIfLj2EES2_Li8ELi32ELi64ELi128ELi4ELi4ELi64ELi64ELi4ELc84ELc84ELb1ELb1ELb0EfKffEEviiiT16_PT17_ilS6_ilS4_S6_ilPT18_ili26rocblas_geam_ex_operation_,"axG",@progbits,_ZN12_GLOBAL__N_120geam_min_plus_kernelIf15HIP_vector_typeIfLj2EES2_Li8ELi32ELi64ELi128ELi4ELi4ELi64ELi64ELi4ELc84ELc84ELb1ELb1ELb0EfKffEEviiiT16_PT17_ilS6_ilS4_S6_ilPT18_ili26rocblas_geam_ex_operation_,comdat
	.globl	_ZN12_GLOBAL__N_120geam_min_plus_kernelIf15HIP_vector_typeIfLj2EES2_Li8ELi32ELi64ELi128ELi4ELi4ELi64ELi64ELi4ELc84ELc84ELb1ELb1ELb0EfKffEEviiiT16_PT17_ilS6_ilS4_S6_ilPT18_ili26rocblas_geam_ex_operation_ ; -- Begin function _ZN12_GLOBAL__N_120geam_min_plus_kernelIf15HIP_vector_typeIfLj2EES2_Li8ELi32ELi64ELi128ELi4ELi4ELi64ELi64ELi4ELc84ELc84ELb1ELb1ELb0EfKffEEviiiT16_PT17_ilS6_ilS4_S6_ilPT18_ili26rocblas_geam_ex_operation_
	.p2align	8
	.type	_ZN12_GLOBAL__N_120geam_min_plus_kernelIf15HIP_vector_typeIfLj2EES2_Li8ELi32ELi64ELi128ELi4ELi4ELi64ELi64ELi4ELc84ELc84ELb1ELb1ELb0EfKffEEviiiT16_PT17_ilS6_ilS4_S6_ilPT18_ili26rocblas_geam_ex_operation_,@function
_ZN12_GLOBAL__N_120geam_min_plus_kernelIf15HIP_vector_typeIfLj2EES2_Li8ELi32ELi64ELi128ELi4ELi4ELi64ELi64ELi4ELc84ELc84ELb1ELb1ELb0EfKffEEviiiT16_PT17_ilS6_ilS4_S6_ilPT18_ili26rocblas_geam_ex_operation_: ; @_ZN12_GLOBAL__N_120geam_min_plus_kernelIf15HIP_vector_typeIfLj2EES2_Li8ELi32ELi64ELi128ELi4ELi4ELi64ELi64ELi4ELc84ELc84ELb1ELb1ELb0EfKffEEviiiT16_PT17_ilS6_ilS4_S6_ilPT18_ili26rocblas_geam_ex_operation_
; %bb.0:
	s_clause 0x1
	s_load_b128 s[16:19], s[0:1], 0x0
	s_load_b128 s[4:7], s[0:1], 0x20
	s_waitcnt lgkmcnt(0)
	v_cmp_eq_f32_e64 s2, s19, 0
	s_delay_alu instid0(VALU_DEP_1)
	s_and_b32 vcc_lo, exec_lo, s2
	s_cbranch_vccnz .LBB100_3
; %bb.1:
	s_load_b64 s[8:9], s[0:1], 0x10
	s_mul_i32 s3, s15, s5
	s_mul_hi_u32 s5, s15, s4
	s_mul_i32 s4, s15, s4
	s_add_i32 s5, s5, s3
	s_delay_alu instid0(SALU_CYCLE_1)
	s_lshl_b64 s[4:5], s[4:5], 2
	s_waitcnt lgkmcnt(0)
	s_add_u32 s8, s8, s4
	s_addc_u32 s9, s9, s5
	s_and_not1_b32 vcc_lo, exec_lo, s2
	s_cbranch_vccnz .LBB100_4
.LBB100_2:
	s_mov_b32 s23, 0
	s_mov_b64 s[12:13], 0
	s_cbranch_execz .LBB100_5
	s_branch .LBB100_6
.LBB100_3:
	s_mov_b64 s[8:9], 0
	s_and_not1_b32 vcc_lo, exec_lo, s2
	s_cbranch_vccz .LBB100_2
.LBB100_4:
	s_mov_b32 s23, -1
                                        ; implicit-def: $sgpr12_sgpr13
.LBB100_5:
	s_load_b64 s[2:3], s[0:1], 0x38
	s_mov_b32 s23, 0
	s_waitcnt lgkmcnt(0)
	s_mul_i32 s3, s15, s3
	s_mul_hi_u32 s4, s15, s2
	s_mul_i32 s2, s15, s2
	s_add_i32 s3, s4, s3
	s_delay_alu instid0(SALU_CYCLE_1) | instskip(NEXT) | instid1(SALU_CYCLE_1)
	s_lshl_b64 s[2:3], s[2:3], 2
	s_add_u32 s12, s6, s2
	s_addc_u32 s13, s7, s3
.LBB100_6:
	s_clause 0x1
	s_load_b32 s19, s[0:1], 0x40
	s_load_b128 s[4:7], s[0:1], 0x58
	s_waitcnt lgkmcnt(0)
	v_cmp_eq_f32_e64 s2, s19, 0
	v_cmp_neq_f32_e64 s22, s19, 0
	s_delay_alu instid0(VALU_DEP_2)
	s_and_b32 vcc_lo, exec_lo, s2
	s_cbranch_vccnz .LBB100_8
; %bb.7:
	s_load_b64 s[2:3], s[0:1], 0x48
	s_mul_i32 s5, s15, s5
	s_mul_hi_u32 s10, s15, s4
	s_delay_alu instid0(SALU_CYCLE_1) | instskip(SKIP_3) | instid1(SALU_CYCLE_1)
	s_add_i32 s5, s10, s5
	s_mul_i32 s10, s23, s4
	s_mul_i32 s4, s15, s4
	s_add_i32 s5, s5, s10
	s_lshl_b64 s[4:5], s[4:5], 2
	s_waitcnt lgkmcnt(0)
	s_add_u32 s10, s2, s4
	s_addc_u32 s11, s3, s5
	s_branch .LBB100_9
.LBB100_8:
	s_mov_b64 s[10:11], 0
.LBB100_9:
	s_add_i32 s2, s16, -1
	v_dual_mov_b32 v9, 0 :: v_dual_and_b32 v54, 0x3ff, v0
	s_ashr_i32 s3, s2, 31
	v_bfe_u32 v55, v0, 10, 10
	s_lshr_b32 s3, s3, 26
	s_load_b32 s26, s[0:1], 0x18
	s_add_i32 s2, s2, s3
	v_and_b32_e32 v56, 3, v54
	s_ashr_i32 s2, s2, 6
	v_lshl_add_u32 v0, v55, 3, v54
	s_add_i32 s4, s2, 1
	s_not_b32 s2, s2
	v_cvt_f32_u32_e32 v1, s4
	v_lshlrev_b32_e32 v2, 2, v56
	v_lshrrev_b32_e32 v7, 2, v0
	v_mov_b32_e32 v8, 0
	s_delay_alu instid0(VALU_DEP_4) | instskip(SKIP_2) | instid1(VALU_DEP_1)
	v_rcp_iflag_f32_e32 v1, v1
	s_waitcnt_depctr 0xfff
	v_mul_f32_e32 v1, 0x4f7ffffe, v1
	v_cvt_u32_f32_e32 v1, v1
	s_delay_alu instid0(VALU_DEP_1) | instskip(NEXT) | instid1(VALU_DEP_1)
	v_readfirstlane_b32 s3, v1
	s_mul_i32 s2, s2, s3
	s_delay_alu instid0(SALU_CYCLE_1) | instskip(NEXT) | instid1(SALU_CYCLE_1)
	s_mul_hi_u32 s2, s3, s2
	s_add_i32 s3, s3, s2
	s_delay_alu instid0(SALU_CYCLE_1) | instskip(NEXT) | instid1(SALU_CYCLE_1)
	s_mul_hi_u32 s2, s14, s3
	s_mul_i32 s3, s2, s4
	s_add_i32 s5, s2, 1
	s_sub_i32 s3, s14, s3
	s_delay_alu instid0(SALU_CYCLE_1)
	s_sub_i32 s20, s3, s4
	s_cmp_ge_u32 s3, s4
	s_cselect_b32 s2, s5, s2
	s_cselect_b32 s3, s20, s3
	s_add_i32 s5, s2, 1
	s_cmp_ge_u32 s3, s4
	s_cselect_b32 s3, s5, s2
	s_delay_alu instid0(SALU_CYCLE_1) | instskip(NEXT) | instid1(SALU_CYCLE_1)
	s_mul_i32 s2, s3, s4
	s_sub_i32 s2, s14, s2
	s_delay_alu instid0(SALU_CYCLE_1) | instskip(SKIP_2) | instid1(VALU_DEP_1)
	s_lshl_b32 s5, s2, 6
	v_cmp_gt_i32_e64 s2, s18, v56
	v_add_nc_u32_e32 v3, s5, v7
	v_cmp_le_i32_e32 vcc_lo, s16, v3
	s_xor_b32 s24, vcc_lo, -1
	s_delay_alu instid0(VALU_DEP_3) | instid1(SALU_CYCLE_1)
	s_and_b32 s4, s2, s24
	s_delay_alu instid0(SALU_CYCLE_1)
	s_and_saveexec_b32 s2, s4
	s_cbranch_execz .LBB100_11
; %bb.10:
	s_waitcnt lgkmcnt(0)
	v_mad_i64_i32 v[4:5], null, v3, s26, 0
	s_delay_alu instid0(VALU_DEP_1) | instskip(NEXT) | instid1(VALU_DEP_1)
	v_lshlrev_b64 v[4:5], 2, v[4:5]
	v_add_co_u32 v1, vcc_lo, s8, v4
	s_delay_alu instid0(VALU_DEP_2) | instskip(NEXT) | instid1(VALU_DEP_2)
	v_add_co_ci_u32_e32 v5, vcc_lo, s9, v5, vcc_lo
	v_add_co_u32 v4, vcc_lo, v1, v2
	s_delay_alu instid0(VALU_DEP_2)
	v_add_co_ci_u32_e32 v5, vcc_lo, 0, v5, vcc_lo
	flat_load_b32 v9, v[4:5]
.LBB100_11:
	s_or_b32 exec_lo, exec_lo, s2
	s_load_b32 s20, s[0:1], 0x30
	v_lshrrev_b32_e32 v57, 6, v0
	v_and_b32_e32 v10, 63, v0
	s_lshl_b32 s14, s3, 7
	s_delay_alu instid0(VALU_DEP_2) | instskip(NEXT) | instid1(VALU_DEP_2)
	v_cmp_le_i32_e64 s3, s18, v57
	v_or_b32_e32 v0, s14, v10
	s_delay_alu instid0(VALU_DEP_1) | instskip(SKIP_4) | instid1(VALU_DEP_1)
	v_cmp_le_i32_e32 vcc_lo, s17, v0
	v_ashrrev_i32_e32 v1, 31, v0
	s_waitcnt lgkmcnt(0)
	v_mad_i64_i32 v[4:5], null, s20, v57, 0
	s_ashr_i32 s21, s20, 31
	v_lshlrev_b64 v[5:6], 2, v[4:5]
	s_delay_alu instid0(VALU_DEP_1) | instskip(NEXT) | instid1(VALU_DEP_1)
	v_add_co_u32 v5, s2, s12, v5
	v_add_co_ci_u32_e64 v6, s2, s13, v6, s2
	s_or_b32 s2, vcc_lo, s3
	s_delay_alu instid0(SALU_CYCLE_1) | instskip(NEXT) | instid1(SALU_CYCLE_1)
	s_xor_b32 s2, s2, -1
	s_and_saveexec_b32 s4, s2
	s_cbranch_execz .LBB100_13
; %bb.12:
	v_lshlrev_b64 v[11:12], 2, v[0:1]
	s_delay_alu instid0(VALU_DEP_1) | instskip(NEXT) | instid1(VALU_DEP_1)
	v_add_co_u32 v11, s2, v5, v11
	v_add_co_ci_u32_e64 v12, s2, v6, v12, s2
	flat_load_b32 v8, v[11:12]
.LBB100_13:
	s_or_b32 exec_lo, exec_lo, s4
	v_or_b32_e32 v4, 64, v0
	v_mov_b32_e32 v11, 0
	s_delay_alu instid0(VALU_DEP_2) | instskip(SKIP_1) | instid1(VALU_DEP_2)
	v_cmp_le_i32_e64 s2, s17, v4
	v_mov_b32_e32 v4, 0
	s_or_b32 s3, s2, s3
	s_delay_alu instid0(SALU_CYCLE_1) | instskip(NEXT) | instid1(SALU_CYCLE_1)
	s_xor_b32 s3, s3, -1
	s_and_saveexec_b32 s4, s3
	s_cbranch_execz .LBB100_15
; %bb.14:
	v_lshlrev_b64 v[11:12], 2, v[0:1]
	s_delay_alu instid0(VALU_DEP_1) | instskip(NEXT) | instid1(VALU_DEP_1)
	v_add_co_u32 v5, s3, v5, v11
	v_add_co_ci_u32_e64 v6, s3, v6, v12, s3
	flat_load_b32 v11, v[5:6] offset:256
.LBB100_15:
	s_or_b32 exec_lo, exec_lo, s4
	v_or_b32_e32 v5, 4, v56
	s_delay_alu instid0(VALU_DEP_1) | instskip(NEXT) | instid1(VALU_DEP_1)
	v_cmp_gt_i32_e64 s3, s18, v5
	s_and_b32 s3, s3, s24
	s_delay_alu instid0(SALU_CYCLE_1)
	s_and_saveexec_b32 s4, s3
	s_cbranch_execz .LBB100_17
; %bb.16:
	v_mad_i64_i32 v[4:5], null, v3, s26, 0
	s_delay_alu instid0(VALU_DEP_1) | instskip(NEXT) | instid1(VALU_DEP_1)
	v_lshlrev_b64 v[4:5], 2, v[4:5]
	v_add_co_u32 v4, s3, s8, v4
	s_delay_alu instid0(VALU_DEP_1) | instskip(NEXT) | instid1(VALU_DEP_2)
	v_add_co_ci_u32_e64 v5, s3, s9, v5, s3
	v_add_co_u32 v4, s3, v4, v2
	s_delay_alu instid0(VALU_DEP_1)
	v_add_co_ci_u32_e64 v5, s3, 0, v5, s3
	flat_load_b32 v4, v[4:5] offset:16
.LBB100_17:
	s_or_b32 exec_lo, exec_lo, s4
	v_add_nc_u32_e32 v14, 4, v57
	s_delay_alu instid0(VALU_DEP_1) | instskip(NEXT) | instid1(VALU_DEP_1)
	v_mad_i64_i32 v[5:6], null, s20, v14, 0
	v_lshlrev_b64 v[12:13], 2, v[5:6]
	v_mov_b32_e32 v5, 0
	v_cmp_le_i32_e64 s3, s18, v14
	v_mov_b32_e32 v6, 0
	s_delay_alu instid0(VALU_DEP_4) | instskip(NEXT) | instid1(VALU_DEP_1)
	v_add_co_u32 v12, s4, s12, v12
	v_add_co_ci_u32_e64 v13, s4, s13, v13, s4
	s_delay_alu instid0(VALU_DEP_4) | instskip(NEXT) | instid1(SALU_CYCLE_1)
	s_or_b32 s4, vcc_lo, s3
	s_xor_b32 s4, s4, -1
	s_delay_alu instid0(SALU_CYCLE_1)
	s_and_saveexec_b32 s25, s4
	s_cbranch_execz .LBB100_19
; %bb.18:
	v_lshlrev_b64 v[14:15], 2, v[0:1]
	s_delay_alu instid0(VALU_DEP_1) | instskip(NEXT) | instid1(VALU_DEP_1)
	v_add_co_u32 v14, s4, v12, v14
	v_add_co_ci_u32_e64 v15, s4, v13, v15, s4
	flat_load_b32 v6, v[14:15]
.LBB100_19:
	s_or_b32 exec_lo, exec_lo, s25
	s_or_b32 s3, s2, s3
	s_delay_alu instid0(SALU_CYCLE_1) | instskip(NEXT) | instid1(SALU_CYCLE_1)
	s_xor_b32 s3, s3, -1
	s_and_saveexec_b32 s4, s3
	s_cbranch_execz .LBB100_21
; %bb.20:
	v_lshlrev_b64 v[14:15], 2, v[0:1]
	s_delay_alu instid0(VALU_DEP_1) | instskip(NEXT) | instid1(VALU_DEP_1)
	v_add_co_u32 v12, s3, v12, v14
	v_add_co_ci_u32_e64 v13, s3, v13, v15, s3
	flat_load_b32 v5, v[12:13] offset:256
.LBB100_21:
	s_or_b32 exec_lo, exec_lo, s4
	v_lshlrev_b32_e32 v12, 2, v57
	v_lshl_or_b32 v7, v7, 4, v2
	v_lshlrev_b32_e32 v59, 4, v55
	v_lshlrev_b32_e32 v58, 4, v54
	s_mov_b32 s25, 0
	v_lshl_add_u32 v60, v10, 4, v12
	s_cmp_lt_i32 s18, 9
	s_waitcnt vmcnt(0)
	ds_store_b32 v7, v9 offset:4096
	s_waitcnt lgkmcnt(1)
	ds_store_2addr_stride64_b32 v60, v8, v11 offset1:4
	s_waitcnt lgkmcnt(0)
	s_barrier
	buffer_gl0_inv
	ds_load_b128 v[8:11], v59
	ds_load_b128 v[12:15], v58 offset:4096
	ds_load_b128 v[16:19], v58 offset:4224
	ds_load_b128 v[20:23], v58 offset:4352
	ds_load_b128 v[24:27], v58 offset:4480
	ds_load_b128 v[28:31], v58 offset:4608
	ds_load_b128 v[32:35], v58 offset:4736
	ds_load_b128 v[36:39], v58 offset:4864
	ds_load_b128 v[40:43], v58 offset:4992
	ds_load_b128 v[44:47], v59 offset:512
	ds_load_b128 v[48:51], v59 offset:1024
	ds_load_b128 v[61:64], v59 offset:1536
	ds_store_b32 v7, v4 offset:5120
	ds_store_2addr_stride64_b32 v60, v6, v5 offset0:8 offset1:12
	s_waitcnt lgkmcnt(0)
	s_barrier
	buffer_gl0_inv
	v_dual_max_f32 v9, v9, v9 :: v_dual_max_f32 v8, v8, v8
	v_dual_max_f32 v12, v12, v12 :: v_dual_max_f32 v13, v13, v13
	;; [unrolled: 1-line block ×4, first 2 shown]
	s_delay_alu instid0(VALU_DEP_3) | instskip(NEXT) | instid1(VALU_DEP_4)
	v_dual_max_f32 v24, v24, v24 :: v_dual_min_f32 v53, v13, v9
	v_dual_min_f32 v52, v12, v8 :: v_dual_max_f32 v25, v25, v25
	v_dual_max_f32 v28, v28, v28 :: v_dual_max_f32 v29, v29, v29
	v_dual_max_f32 v32, v32, v32 :: v_dual_max_f32 v33, v33, v33
	;; [unrolled: 1-line block ×5, first 2 shown]
	v_dual_min_f32 v65, v16, v8 :: v_dual_min_f32 v66, v17, v9
	v_dual_min_f32 v67, v20, v8 :: v_dual_min_f32 v68, v21, v9
	;; [unrolled: 1-line block ×5, first 2 shown]
	v_min_f32_e32 v75, v36, v8
	v_dual_min_f32 v8, v40, v8 :: v_dual_max_f32 v45, v45, v45
	v_max_f32_e32 v10, v10, v10
	v_dual_max_f32 v14, v14, v14 :: v_dual_min_f32 v77, v12, v44
	v_dual_max_f32 v18, v18, v18 :: v_dual_min_f32 v79, v16, v44
	;; [unrolled: 1-line block ×6, first 2 shown]
	v_dual_max_f32 v48, v48, v48 :: v_dual_max_f32 v39, v39, v39
	v_dual_min_f32 v88, v36, v44 :: v_dual_max_f32 v43, v43, v43
	v_dual_min_f32 v44, v40, v44 :: v_dual_max_f32 v49, v49, v49
	;; [unrolled: 1-line block ×3, first 2 shown]
	v_min_f32_e32 v9, v41, v9
	v_dual_min_f32 v78, v13, v45 :: v_dual_max_f32 v19, v19, v19
	v_dual_min_f32 v100, v24, v48 :: v_dual_max_f32 v61, v61, v61
	v_dual_max_f32 v50, v50, v50 :: v_dual_max_f32 v117, v63, v63
	v_dual_min_f32 v94, v13, v49 :: v_dual_min_f32 v63, v14, v10
	v_dual_min_f32 v131, v21, v49 :: v_dual_add_f32 v52, 0, v52
	v_dual_min_f32 v80, v17, v45 :: v_dual_max_f32 v23, v23, v23
	v_dual_min_f32 v82, v21, v45 :: v_dual_max_f32 v27, v27, v27
	;; [unrolled: 1-line block ×3, first 2 shown]
	v_dual_max_f32 v38, v38, v38 :: v_dual_min_f32 v89, v12, v48
	v_dual_min_f32 v90, v16, v48 :: v_dual_max_f32 v51, v51, v51
	v_dual_max_f32 v46, v46, v46 :: v_dual_min_f32 v91, v20, v48
	v_dual_max_f32 v62, v62, v62 :: v_dual_max_f32 v127, v64, v64
	v_dual_min_f32 v128, v28, v48 :: v_dual_min_f32 v93, v37, v45
	v_dual_min_f32 v129, v32, v48 :: v_dual_min_f32 v92, v33, v45
	v_min_f32_e32 v130, v36, v48
	v_dual_min_f32 v48, v40, v48 :: v_dual_min_f32 v95, v17, v49
	v_dual_min_f32 v12, v12, v61 :: v_dual_min_f32 v13, v13, v62
	;; [unrolled: 1-line block ×4, first 2 shown]
	v_min_f32_e32 v24, v24, v61
	v_min_f32_e32 v28, v28, v61
	;; [unrolled: 1-line block ×4, first 2 shown]
	v_dual_min_f32 v40, v40, v61 :: v_dual_min_f32 v61, v15, v11
	v_dual_min_f32 v132, v25, v49 :: v_dual_add_f32 v125, v52, v63
	v_dual_min_f32 v133, v29, v49 :: v_dual_add_f32 v64, 0, v66
	v_dual_min_f32 v135, v37, v49 :: v_dual_min_f32 v66, v19, v11
	v_min_f32_e32 v134, v33, v49
	v_dual_min_f32 v49, v41, v49 :: v_dual_min_f32 v96, v18, v10
	v_dual_add_f32 v65, 0, v65 :: v_dual_add_f32 v52, 0, v68
	v_add_f32_e32 v53, 0, v53
	v_dual_min_f32 v86, v29, v45 :: v_dual_max_f32 v35, v35, v35
	v_min_f32_e32 v45, v41, v45
	v_min_f32_e32 v25, v25, v62
	v_min_f32_e32 v29, v29, v62
	v_min_f32_e32 v33, v33, v62
	v_min_f32_e32 v37, v37, v62
	v_min_f32_e32 v41, v41, v62
	v_dual_add_f32 v123, v64, v66 :: v_dual_min_f32 v64, v27, v11
	v_add_f32_e32 v124, v65, v96
	v_dual_add_f32 v126, v53, v61 :: v_dual_min_f32 v53, v23, v11
	v_dual_add_f32 v61, 0, v67 :: v_dual_min_f32 v62, v22, v10
	;; [unrolled: 1-line block ×4, first 2 shown]
	s_delay_alu instid0(VALU_DEP_3) | instskip(SKIP_1) | instid1(VALU_DEP_3)
	v_dual_add_f32 v67, 0, v72 :: v_dual_add_f32 v122, v61, v62
	v_dual_max_f32 v42, v42, v42 :: v_dual_max_f32 v47, v47, v47
	v_dual_add_f32 v121, v52, v53 :: v_dual_add_f32 v120, v65, v66
	v_dual_add_f32 v119, v63, v64 :: v_dual_add_f32 v52, 0, v71
	s_delay_alu instid0(VALU_DEP_4) | instskip(SKIP_3) | instid1(VALU_DEP_3)
	v_dual_add_f32 v61, v67, v68 :: v_dual_add_f32 v62, 0, v74
	v_dual_min_f32 v53, v30, v10 :: v_dual_add_f32 v64, 0, v73
	v_dual_min_f32 v63, v35, v11 :: v_dual_add_f32 v66, 0, v76
	;; [unrolled: 1-line block ×4, first 2 shown]
	v_min_f32_e32 v69, v38, v10
	s_delay_alu instid0(VALU_DEP_4) | instskip(NEXT) | instid1(VALU_DEP_4)
	v_dual_add_f32 v63, v62, v63 :: v_dual_add_f32 v8, 0, v8
	v_add_f32_e32 v62, v64, v65
	s_delay_alu instid0(VALU_DEP_3) | instskip(SKIP_4) | instid1(VALU_DEP_4)
	v_dual_add_f32 v64, v66, v67 :: v_dual_add_f32 v65, v68, v69
	v_dual_add_f32 v9, 0, v9 :: v_dual_min_f32 v10, v42, v10
	v_dual_min_f32 v11, v43, v11 :: v_dual_add_f32 v52, 0, v78
	v_dual_min_f32 v53, v15, v47 :: v_dual_add_f32 v66, 0, v77
	;; [unrolled: 1-line block ×4, first 2 shown]
	s_delay_alu instid0(VALU_DEP_3) | instskip(NEXT) | instid1(VALU_DEP_3)
	v_dual_add_f32 v115, v9, v11 :: v_dual_add_f32 v114, v52, v53
	v_dual_add_f32 v113, v66, v67 :: v_dual_add_f32 v10, 0, v82
	s_delay_alu instid0(VALU_DEP_3) | instskip(SKIP_3) | instid1(VALU_DEP_3)
	v_dual_add_f32 v111, v68, v69 :: v_dual_add_f32 v8, 0, v79
	v_dual_min_f32 v9, v18, v46 :: v_dual_add_f32 v52, 0, v81
	v_dual_min_f32 v11, v23, v47 :: v_dual_add_f32 v66, 0, v84
	;; [unrolled: 1-line block ×4, first 2 shown]
	v_min_f32_e32 v69, v26, v46
	s_delay_alu instid0(VALU_DEP_3) | instskip(SKIP_1) | instid1(VALU_DEP_4)
	v_dual_add_f32 v110, v10, v11 :: v_dual_add_f32 v109, v52, v53
	v_dual_add_f32 v8, 0, v86 :: v_dual_min_f32 v9, v31, v47
	v_dual_add_f32 v10, 0, v85 :: v_dual_add_f32 v107, v66, v67
	s_delay_alu instid0(VALU_DEP_4) | instskip(SKIP_3) | instid1(VALU_DEP_3)
	v_dual_add_f32 v108, v68, v69 :: v_dual_min_f32 v11, v30, v46
	v_dual_add_f32 v52, 0, v92 :: v_dual_min_f32 v53, v35, v47
	v_add_f32_e32 v68, 0, v93
	v_dual_add_f32 v66, 0, v87 :: v_dual_min_f32 v67, v34, v46
	v_dual_min_f32 v69, v39, v47 :: v_dual_add_f32 v104, v52, v53
	v_dual_add_f32 v105, v8, v9 :: v_dual_add_f32 v106, v10, v11
	s_delay_alu instid0(VALU_DEP_3) | instskip(NEXT) | instid1(VALU_DEP_3)
	v_dual_add_f32 v103, v66, v67 :: v_dual_add_f32 v8, 0, v88
	v_dual_add_f32 v101, v68, v69 :: v_dual_add_f32 v44, 0, v44
	v_dual_min_f32 v9, v38, v46 :: v_dual_add_f32 v10, 0, v45
	v_min_f32_e32 v11, v43, v47
	v_dual_min_f32 v45, v42, v46 :: v_dual_add_f32 v52, 0, v89
	v_dual_add_f32 v46, 0, v94 :: v_dual_min_f32 v47, v15, v51
	s_delay_alu instid0(VALU_DEP_4) | instskip(NEXT) | instid1(VALU_DEP_3)
	v_dual_add_f32 v102, v8, v9 :: v_dual_min_f32 v53, v14, v50
	v_dual_add_f32 v98, v44, v45 :: v_dual_add_f32 v99, v10, v11
	s_delay_alu instid0(VALU_DEP_3) | instskip(NEXT) | instid1(VALU_DEP_3)
	v_dual_add_f32 v97, v46, v47 :: v_dual_add_f32 v10, 0, v90
	v_add_f32_e32 v96, v52, v53
	v_dual_add_f32 v8, 0, v95 :: v_dual_min_f32 v11, v18, v50
	v_dual_min_f32 v9, v19, v51 :: v_dual_add_f32 v52, 0, v132
	v_dual_add_f32 v44, 0, v131 :: v_dual_min_f32 v47, v22, v50
	s_delay_alu instid0(VALU_DEP_2) | instskip(SKIP_1) | instid1(VALU_DEP_2)
	v_dual_min_f32 v45, v23, v51 :: v_dual_add_f32 v94, v8, v9
	v_dual_add_f32 v46, 0, v91 :: v_dual_min_f32 v9, v26, v50
	v_dual_min_f32 v53, v27, v51 :: v_dual_add_f32 v92, v44, v45
	v_add_f32_e32 v95, v10, v11
	s_delay_alu instid0(VALU_DEP_3) | instskip(SKIP_3) | instid1(VALU_DEP_4)
	v_dual_add_f32 v93, v46, v47 :: v_dual_add_f32 v8, 0, v100
	v_dual_add_f32 v10, 0, v133 :: v_dual_min_f32 v11, v31, v51
	v_dual_add_f32 v44, 0, v128 :: v_dual_min_f32 v45, v30, v50
	;; [unrolled: 1-line block ×3, first 2 shown]
	v_dual_add_f32 v91, v8, v9 :: v_dual_add_f32 v8, 0, v135
	s_delay_alu instid0(VALU_DEP_3)
	v_dual_add_f32 v89, v10, v11 :: v_dual_add_f32 v88, v44, v45
	v_dual_min_f32 v9, v39, v51 :: v_dual_add_f32 v10, 0, v130
	v_dual_min_f32 v11, v38, v50 :: v_dual_add_f32 v44, 0, v49
	v_add_f32_e32 v90, v52, v53
	v_dual_add_f32 v52, 0, v129 :: v_dual_min_f32 v53, v34, v50
	v_add_f32_e32 v87, v46, v47
	v_dual_min_f32 v45, v43, v51 :: v_dual_add_f32 v46, 0, v48
	v_dual_min_f32 v47, v42, v50 :: v_dual_add_f32 v84, v8, v9
	v_add_f32_e32 v13, 0, v13
	v_dual_min_f32 v15, v15, v127 :: v_dual_add_f32 v8, 0, v12
	v_dual_add_f32 v85, v10, v11 :: v_dual_add_f32 v10, 0, v17
	v_dual_add_f32 v11, 0, v20 :: v_dual_min_f32 v14, v14, v117
	v_dual_add_f32 v82, v46, v47 :: v_dual_add_f32 v83, v44, v45
	s_delay_alu instid0(VALU_DEP_4)
	v_dual_add_f32 v80, v13, v15 :: v_dual_add_f32 v9, 0, v16
	v_dual_add_f32 v12, 0, v21 :: v_dual_add_f32 v13, 0, v24
	v_dual_min_f32 v18, v18, v117 :: v_dual_min_f32 v19, v19, v127
	v_dual_add_f32 v81, v8, v14 :: v_dual_min_f32 v8, v22, v117
	v_dual_add_f32 v15, 0, v25 :: v_dual_add_f32 v16, 0, v28
	v_dual_add_f32 v17, 0, v29 :: v_dual_add_f32 v20, 0, v32
	s_delay_alu instid0(VALU_DEP_4) | instskip(SKIP_4) | instid1(VALU_DEP_4)
	v_dual_add_f32 v29, 0, v41 :: v_dual_add_f32 v78, v9, v18
	v_min_f32_e32 v23, v23, v127
	v_min_f32_e32 v9, v27, v127
	v_dual_add_f32 v77, v11, v8 :: v_dual_min_f32 v8, v26, v117
	v_dual_add_f32 v21, 0, v33 :: v_dual_add_f32 v24, 0, v36
	v_dual_add_f32 v76, v12, v23 :: v_dual_min_f32 v11, v30, v117
	s_delay_alu instid0(VALU_DEP_3)
	v_dual_add_f32 v75, v13, v8 :: v_dual_min_f32 v12, v42, v117
	v_min_f32_e32 v8, v34, v117
	v_dual_add_f32 v79, v10, v19 :: v_dual_add_f32 v74, v15, v9
	v_min_f32_e32 v10, v31, v127
	v_min_f32_e32 v9, v35, v127
	v_dual_add_f32 v25, 0, v37 :: v_dual_add_f32 v28, 0, v40
	s_delay_alu instid0(VALU_DEP_3) | instskip(SKIP_1) | instid1(VALU_DEP_4)
	v_dual_add_f32 v72, v16, v11 :: v_dual_add_f32 v73, v17, v10
	v_min_f32_e32 v10, v38, v117
	v_dual_add_f32 v70, v21, v9 :: v_dual_min_f32 v9, v39, v127
	v_dual_min_f32 v11, v43, v127 :: v_dual_add_f32 v86, v52, v53
	s_delay_alu instid0(VALU_DEP_3) | instskip(SKIP_1) | instid1(VALU_DEP_4)
	v_add_f32_e32 v68, v24, v10
	v_add_f32_e32 v71, v20, v8
	;; [unrolled: 1-line block ×3, first 2 shown]
	s_delay_alu instid0(VALU_DEP_4)
	v_dual_add_f32 v67, v29, v11 :: v_dual_add_f32 v66, v28, v12
	s_cbranch_scc1 .LBB100_36
; %bb.22:
	v_mad_i64_i32 v[4:5], null, s26, v3, 0
	v_add_nc_u32_e32 v6, 8, v57
	v_lshlrev_b64 v[0:1], 2, v[0:1]
	v_add_nc_u32_e32 v100, 0x1000, v7
	v_add_nc_u32_e32 v117, 0x1000, v58
	v_add_nc_u32_e32 v127, 0x1400, v7
	v_mad_i64_i32 v[8:9], null, v6, s20, 0
	v_lshlrev_b64 v[3:4], 2, v[4:5]
	v_add_nc_u32_e32 v5, 12, v57
	v_or_b32_e32 v128, 0x800, v60
	v_lshl_add_u32 v129, v54, 4, 0x1400
	v_lshl_add_u32 v130, v55, 4, 0x800
	v_add_co_u32 v6, s3, v3, v2
	s_delay_alu instid0(VALU_DEP_1) | instskip(SKIP_4) | instid1(VALU_DEP_1)
	v_add_co_ci_u32_e64 v4, s3, 0, v4, s3
	v_add_co_u32 v131, s3, s12, v0
	v_mad_i64_i32 v[2:3], null, v5, s20, 0
	v_add_co_ci_u32_e64 v132, s3, s13, v1, s3
	v_add_co_u32 v0, s3, v6, s8
	v_add_co_ci_u32_e64 v1, s3, s9, v4, s3
	v_lshlrev_b64 v[48:49], 2, v[8:9]
	s_delay_alu instid0(VALU_DEP_3) | instskip(SKIP_1) | instid1(VALU_DEP_4)
	v_add_co_u32 v52, s3, v0, 32
	v_lshlrev_b64 v[50:51], 2, v[2:3]
	v_add_co_ci_u32_e64 v53, s3, 0, v1, s3
	s_add_i32 s12, s18, -8
	s_lshl_b64 s[8:9], s[20:21], 5
	s_branch .LBB100_24
.LBB100_23:                             ;   in Loop: Header=BB100_24 Depth=1
	s_or_b32 exec_lo, exec_lo, s4
	v_dual_add_f32 v36, v125, v36 :: v_dual_add_f32 v41, v124, v41
	v_dual_add_f32 v40, v126, v40 :: v_dual_add_f32 v33, v120, v33
	;; [unrolled: 1-line block ×26, first 2 shown]
	ds_load_b128 v[20:23], v59
	ds_load_b128 v[28:31], v117
	v_dual_add_f32 v77, v77, v10 :: v_dual_add_f32 v126, v43, v7
	v_dual_add_f32 v75, v75, v11 :: v_dual_add_f32 v72, v72, v2
	ds_load_b128 v[8:11], v117 offset:128
	v_dual_add_f32 v105, v105, v140 :: v_dual_add_f32 v102, v102, v143
	v_dual_add_f32 v81, v81, v160 :: v_dual_add_f32 v76, v76, v165
	;; [unrolled: 1-line block ×13, first 2 shown]
	s_waitcnt lgkmcnt(1)
	v_dual_add_f32 v125, v46, v19 :: v_dual_max_f32 v28, v28, v28
	ds_load_b128 v[1:4], v117 offset:256
	ds_load_b128 v[12:15], v117 offset:384
	;; [unrolled: 1-line block ×5, first 2 shown]
	v_dual_add_f32 v5, v98, v5 :: v_dual_add_f32 v98, v99, v144
	v_dual_add_f32 v99, v41, v42 :: v_dual_add_f32 v62, v62, v189
	v_dual_add_f32 v73, v73, v174 :: v_dual_max_f32 v20, v20, v20
	s_waitcnt lgkmcnt(5)
	v_dual_max_f32 v21, v21, v21 :: v_dual_max_f32 v136, v8, v8
	v_max_f32_e32 v29, v29, v29
	ds_load_b128 v[36:39], v117 offset:768
	ds_load_b128 v[40:43], v117 offset:896
	v_max_f32_e32 v9, v9, v9
	v_dual_add_f32 v96, v96, v145 :: v_dual_add_f32 v97, v97, v146
	v_dual_min_f32 v138, v136, v20 :: v_dual_min_f32 v137, v29, v21
	s_waitcnt lgkmcnt(6)
	v_dual_max_f32 v2, v2, v2 :: v_dual_min_f32 v135, v28, v20
	s_waitcnt lgkmcnt(5)
	v_max_f32_e32 v12, v12, v12
	s_waitcnt lgkmcnt(4)
	v_max_f32_e32 v16, v16, v16
	v_add_f32_e32 v66, v66, v137
	s_waitcnt lgkmcnt(3)
	v_dual_max_f32 v13, v13, v13 :: v_dual_max_f32 v24, v24, v24
	v_add_f32_e32 v67, v67, v135
	v_min_f32_e32 v135, v9, v21
	v_max_f32_e32 v1, v1, v1
	v_dual_add_f32 v120, v45, v188 :: v_dual_add_f32 v121, v44, v179
	v_dual_add_f32 v123, v5, v193 :: v_dual_add_f32 v96, v96, v194
	s_delay_alu instid0(VALU_DEP_4)
	v_dual_add_f32 v84, v84, v135 :: v_dual_min_f32 v135, v2, v21
	s_waitcnt lgkmcnt(1)
	v_max_f32_e32 v36, v36, v36
	v_min_f32_e32 v137, v1, v20
	v_dual_add_f32 v99, v99, v138 :: v_dual_min_f32 v138, v12, v20
	s_waitcnt lgkmcnt(0)
	v_dual_add_f32 v101, v101, v135 :: v_dual_max_f32 v40, v40, v40
	v_max_f32_e32 v25, v25, v25
	v_min_f32_e32 v135, v16, v20
	ds_load_b128 v[5:8], v59 offset:1024
	ds_load_b128 v[44:47], v59 offset:1536
	v_add_f32_e32 v108, v108, v138
	v_add_f32_e32 v106, v106, v137
	v_min_f32_e32 v138, v25, v21
	v_dual_min_f32 v137, v13, v21 :: v_dual_add_f32 v110, v110, v135
	v_min_f32_e32 v135, v24, v20
	v_max_f32_e32 v17, v17, v17
	v_dual_add_f32 v63, v63, v181 :: v_dual_add_f32 v102, v102, v184
	s_delay_alu instid0(VALU_DEP_4) | instskip(NEXT) | instid1(VALU_DEP_3)
	v_dual_add_f32 v107, v107, v137 :: v_dual_max_f32 v32, v32, v32
	v_dual_add_f32 v112, v112, v135 :: v_dual_min_f32 v137, v17, v21
	v_max_f32_e32 v37, v37, v37
	v_max_f32_e32 v41, v41, v41
	;; [unrolled: 1-line block ×3, first 2 shown]
	v_dual_add_f32 v93, v93, v149 :: v_dual_add_f32 v92, v92, v150
	v_add_f32_e32 v109, v109, v137
	v_min_f32_e32 v137, v36, v20
	v_min_f32_e32 v20, v40, v20
	v_dual_add_f32 v88, v88, v153 :: v_dual_add_f32 v89, v89, v154
	s_waitcnt lgkmcnt(1)
	v_dual_max_f32 v6, v6, v6 :: v_dual_add_f32 v91, v91, v151
	v_add_f32_e32 v90, v90, v152
	v_add_f32_e32 v20, v116, v20
	v_dual_min_f32 v116, v136, v32 :: v_dual_min_f32 v135, v37, v21
	v_dual_min_f32 v21, v41, v21 :: v_dual_add_f32 v86, v86, v155
	v_add_f32_e32 v87, v87, v156
	v_dual_add_f32 v93, v93, v196 :: v_dual_add_f32 v88, v88, v198
	s_delay_alu instid0(VALU_DEP_3)
	v_add_f32_e32 v21, v115, v21
	v_min_f32_e32 v115, v9, v33
	v_dual_add_f32 v95, v95, v147 :: v_dual_add_f32 v94, v94, v148
	v_dual_add_f32 v61, v61, v180 :: v_dual_add_f32 v64, v64, v190
	;; [unrolled: 1-line block ×4, first 2 shown]
	v_dual_min_f32 v116, v1, v32 :: v_dual_add_f32 v139, v120, v115
	v_min_f32_e32 v115, v13, v33
	v_dual_add_f32 v65, v65, v182 :: v_dual_add_f32 v94, v94, v204
	s_delay_alu instid0(VALU_DEP_3) | instskip(SKIP_1) | instid1(VALU_DEP_4)
	v_add_f32_e32 v140, v61, v116
	v_min_f32_e32 v61, v16, v32
	v_dual_add_f32 v143, v64, v115 :: v_dual_min_f32 v64, v25, v33
	s_waitcnt lgkmcnt(0)
	v_dual_max_f32 v5, v5, v5 :: v_dual_max_f32 v44, v44, v44
	s_delay_alu instid0(VALU_DEP_3) | instskip(NEXT) | instid1(VALU_DEP_3)
	v_dual_add_f32 v144, v65, v61 :: v_dual_min_f32 v61, v36, v32
	v_add_f32_e32 v104, v104, v64
	s_delay_alu instid0(VALU_DEP_3) | instskip(SKIP_1) | instid1(VALU_DEP_2)
	v_dual_min_f32 v64, v12, v5 :: v_dual_add_f32 v103, v103, v183
	v_dual_add_f32 v98, v98, v202 :: v_dual_add_f32 v85, v85, v157
	v_dual_add_f32 v82, v82, v158 :: v_dual_add_f32 v91, v91, v64
	v_min_f32_e32 v64, v25, v6
	v_dual_add_f32 v113, v113, v135 :: v_dual_add_f32 v102, v102, v61
	v_min_f32_e32 v135, v28, v32
	v_dual_add_f32 v95, v95, v195 :: v_dual_add_f32 v90, v90, v206
	v_dual_add_f32 v97, v97, v203 :: v_dual_add_f32 v92, v92, v205
	s_delay_alu instid0(VALU_DEP_3) | instskip(SKIP_4) | instid1(VALU_DEP_4)
	v_add_f32_e32 v135, v119, v135
	v_min_f32_e32 v119, v12, v32
	v_dual_add_f32 v85, v85, v200 :: v_dual_add_f32 v78, v78, v211
	v_add_f32_e32 v114, v114, v137
	v_min_f32_e32 v12, v12, v44
	v_dual_add_f32 v142, v63, v119 :: v_dual_min_f32 v63, v24, v32
	v_min_f32_e32 v32, v40, v32
	v_min_f32_e32 v61, v28, v5
	v_max_f32_e32 v45, v45, v45
	v_dual_add_f32 v89, v89, v207 :: v_dual_add_f32 v82, v82, v209
	v_add_f32_e32 v103, v103, v63
	v_min_f32_e32 v63, v136, v5
	v_dual_add_f32 v96, v96, v61 :: v_dual_min_f32 v61, v9, v6
	v_add_f32_e32 v12, v75, v12
	v_dual_add_f32 v87, v87, v208 :: v_dual_add_f32 v80, v80, v214
	s_delay_alu instid0(VALU_DEP_4) | instskip(SKIP_4) | instid1(VALU_DEP_3)
	v_add_f32_e32 v95, v95, v63
	v_min_f32_e32 v63, v2, v6
	v_min_f32_e32 v137, v29, v33
	v_max_f32_e32 v23, v23, v23
	v_dual_max_f32 v31, v31, v31 :: v_dual_max_f32 v38, v38, v38
	v_dual_add_f32 v92, v92, v63 :: v_dual_add_f32 v137, v118, v137
	v_min_f32_e32 v118, v2, v33
	v_min_f32_e32 v2, v2, v45
	v_dual_add_f32 v94, v94, v61 :: v_dual_min_f32 v61, v13, v6
	v_min_f32_e32 v63, v24, v5
	s_delay_alu instid0(VALU_DEP_4) | instskip(SKIP_1) | instid1(VALU_DEP_4)
	v_dual_add_f32 v141, v62, v118 :: v_dual_min_f32 v62, v17, v33
	v_min_f32_e32 v24, v24, v44
	v_dual_add_f32 v90, v90, v61 :: v_dual_min_f32 v61, v17, v6
	v_dual_add_f32 v87, v87, v64 :: v_dual_max_f32 v22, v22, v22
	s_delay_alu instid0(VALU_DEP_4) | instskip(SKIP_1) | instid1(VALU_DEP_4)
	v_add_f32_e32 v105, v105, v62
	v_min_f32_e32 v62, v37, v33
	v_add_f32_e32 v89, v89, v61
	v_min_f32_e32 v61, v37, v6
	v_dual_min_f32 v33, v41, v33 :: v_dual_min_f32 v28, v28, v44
	s_delay_alu instid0(VALU_DEP_4) | instskip(SKIP_1) | instid1(VALU_DEP_4)
	v_add_f32_e32 v145, v122, v62
	v_min_f32_e32 v62, v29, v6
	v_add_f32_e32 v146, v124, v61
	v_dual_min_f32 v61, v136, v44 :: v_dual_max_f32 v30, v30, v30
	v_max_f32_e32 v10, v10, v10
	s_delay_alu instid0(VALU_DEP_4) | instskip(SKIP_3) | instid1(VALU_DEP_3)
	v_add_f32_e32 v97, v97, v62
	v_min_f32_e32 v62, v1, v5
	v_min_f32_e32 v1, v1, v44
	v_dual_max_f32 v3, v3, v3 :: v_dual_min_f32 v6, v41, v6
	v_dual_max_f32 v4, v4, v4 :: v_dual_add_f32 v93, v93, v62
	v_min_f32_e32 v62, v16, v5
	v_dual_min_f32 v16, v16, v44 :: v_dual_max_f32 v19, v19, v19
	v_dual_max_f32 v35, v35, v35 :: v_dual_max_f32 v14, v14, v14
	s_delay_alu instid0(VALU_DEP_3) | instskip(SKIP_4) | instid1(VALU_DEP_4)
	v_add_f32_e32 v88, v88, v62
	v_min_f32_e32 v62, v36, v5
	v_min_f32_e32 v5, v40, v5
	;; [unrolled: 1-line block ×4, first 2 shown]
	v_dual_min_f32 v44, v31, v23 :: v_dual_add_f32 v85, v85, v62
	s_delay_alu instid0(VALU_DEP_3) | instskip(NEXT) | instid1(VALU_DEP_3)
	v_dual_add_f32 v5, v82, v5 :: v_dual_add_f32 v36, v68, v36
	v_dual_min_f32 v29, v29, v45 :: v_dual_add_f32 v40, v126, v40
	s_delay_alu instid0(VALU_DEP_3) | instskip(NEXT) | instid1(VALU_DEP_2)
	v_dual_min_f32 v9, v9, v45 :: v_dual_add_f32 v126, v66, v44
	v_dual_min_f32 v44, v10, v22 :: v_dual_add_f32 v29, v80, v29
	v_min_f32_e32 v13, v13, v45
	s_delay_alu instid0(VALU_DEP_3)
	v_add_f32_e32 v9, v79, v9
	v_dual_min_f32 v25, v25, v45 :: v_dual_max_f32 v18, v18, v18
	v_min_f32_e32 v37, v37, v45
	v_dual_min_f32 v41, v41, v45 :: v_dual_add_f32 v124, v99, v44
	v_dual_add_f32 v13, v74, v13 :: v_dual_min_f32 v44, v3, v22
	v_min_f32_e32 v17, v17, v45
	v_min_f32_e32 v45, v30, v22
	v_add_f32_e32 v1, v77, v1
	v_add_f32_e32 v41, v125, v41
	v_max_f32_e32 v27, v27, v27
	v_max_f32_e32 v39, v39, v39
	v_dual_add_f32 v125, v67, v45 :: v_dual_max_f32 v42, v42, v42
	v_dual_min_f32 v45, v4, v23 :: v_dual_add_f32 v78, v78, v61
	v_max_f32_e32 v15, v15, v15
	v_add_f32_e32 v32, v123, v32
	s_delay_alu instid0(VALU_DEP_3) | instskip(SKIP_4) | instid1(VALU_DEP_4)
	v_dual_add_f32 v122, v106, v44 :: v_dual_add_f32 v121, v101, v45
	v_min_f32_e32 v45, v14, v22
	v_dual_max_f32 v34, v34, v34 :: v_dual_add_f32 v17, v73, v17
	v_max_f32_e32 v26, v26, v26
	v_add_f32_e32 v24, v71, v24
	v_dual_add_f32 v120, v108, v45 :: v_dual_min_f32 v45, v18, v22
	v_max_f32_e32 v11, v11, v11
	v_dual_min_f32 v44, v19, v23 :: v_dual_add_f32 v25, v70, v25
	v_add_f32_e32 v86, v86, v63
	s_delay_alu instid0(VALU_DEP_4) | instskip(NEXT) | instid1(VALU_DEP_4)
	v_dual_add_f32 v118, v110, v45 :: v_dual_min_f32 v45, v39, v23
	v_min_f32_e32 v61, v11, v23
	v_dual_add_f32 v37, v69, v37 :: v_dual_min_f32 v62, v26, v22
	v_dual_max_f32 v43, v43, v43 :: v_dual_max_f32 v8, v8, v8
	s_delay_alu instid0(VALU_DEP_4) | instskip(NEXT) | instid1(VALU_DEP_4)
	v_add_f32_e32 v64, v113, v45
	v_add_f32_e32 v123, v84, v61
	s_delay_alu instid0(VALU_DEP_4) | instskip(SKIP_2) | instid1(VALU_DEP_3)
	v_dual_min_f32 v61, v15, v23 :: v_dual_add_f32 v62, v112, v62
	v_max_f32_e32 v7, v7, v7
	v_dual_add_f32 v33, v98, v33 :: v_dual_add_f32 v28, v81, v28
	v_add_f32_e32 v119, v107, v61
	v_dual_add_f32 v61, v109, v44 :: v_dual_min_f32 v44, v27, v23
	v_min_f32_e32 v45, v30, v34
	v_add_f32_e32 v2, v76, v2
	v_add_f32_e32 v16, v72, v16
	;; [unrolled: 1-line block ×3, first 2 shown]
	v_dual_add_f32 v63, v111, v44 :: v_dual_min_f32 v44, v38, v22
	v_min_f32_e32 v22, v42, v22
	v_add_co_u32 v131, s3, v131, s8
	s_delay_alu instid0(VALU_DEP_1) | instskip(NEXT) | instid1(VALU_DEP_3)
	v_add_co_ci_u32_e64 v132, s3, s9, v132, s3
	v_add_f32_e32 v116, v20, v22
	v_min_f32_e32 v20, v10, v34
	v_min_f32_e32 v22, v3, v34
	v_add_co_u32 v52, s3, v52, 32
	s_delay_alu instid0(VALU_DEP_1) | instskip(NEXT) | instid1(VALU_DEP_4)
	v_add_co_ci_u32_e64 v53, s3, 0, v53, s3
	v_add_f32_e32 v112, v138, v20
	v_min_f32_e32 v20, v14, v34
	v_add_f32_e32 v109, v140, v22
	s_add_i32 s25, s25, 8
	s_waitcnt vmcnt(0)
	ds_store_b32 v127, v133
	ds_store_2addr_stride64_b32 v128, v134, v0 offset1:4
	s_cmp_ge_i32 s25, s12
	v_add_f32_e32 v108, v142, v20
	v_min_f32_e32 v20, v18, v34
	v_min_f32_e32 v22, v27, v35
	s_waitcnt lgkmcnt(0)
	s_barrier
	buffer_gl0_inv
	v_add_f32_e32 v106, v144, v20
	v_add_f32_e32 v104, v104, v22
	v_dual_min_f32 v20, v38, v34 :: v_dual_min_f32 v23, v43, v23
	v_min_f32_e32 v22, v42, v34
	v_dual_add_f32 v65, v114, v44 :: v_dual_min_f32 v44, v31, v35
	s_delay_alu instid0(VALU_DEP_3) | instskip(SKIP_1) | instid1(VALU_DEP_4)
	v_dual_add_f32 v102, v102, v20 :: v_dual_add_f32 v115, v21, v23
	v_min_f32_e32 v20, v31, v8
	v_add_f32_e32 v98, v32, v22
	v_dual_min_f32 v22, v4, v8 :: v_dual_min_f32 v21, v11, v35
	v_add_f32_e32 v114, v137, v44
	s_delay_alu instid0(VALU_DEP_4) | instskip(NEXT) | instid1(VALU_DEP_3)
	v_dual_add_f32 v97, v97, v20 :: v_dual_min_f32 v20, v10, v7
	v_dual_add_f32 v92, v92, v22 :: v_dual_add_f32 v111, v139, v21
	v_min_f32_e32 v21, v4, v35
	s_delay_alu instid0(VALU_DEP_3) | instskip(SKIP_1) | instid1(VALU_DEP_2)
	v_dual_min_f32 v22, v18, v7 :: v_dual_add_f32 v95, v95, v20
	v_min_f32_e32 v20, v14, v7
	v_add_f32_e32 v88, v88, v22
	v_max_f32_e32 v22, v47, v47
	s_delay_alu instid0(VALU_DEP_3) | instskip(SKIP_2) | instid1(VALU_DEP_2)
	v_add_f32_e32 v91, v91, v20
	v_min_f32_e32 v20, v27, v8
	v_dual_add_f32 v110, v141, v21 :: v_dual_min_f32 v21, v19, v35
	v_dual_min_f32 v4, v4, v22 :: v_dual_add_f32 v87, v87, v20
	s_delay_alu instid0(VALU_DEP_2) | instskip(NEXT) | instid1(VALU_DEP_2)
	v_add_f32_e32 v105, v105, v21
	v_dual_min_f32 v21, v39, v35 :: v_dual_add_f32 v76, v2, v4
	s_delay_alu instid0(VALU_DEP_1) | instskip(NEXT) | instid1(VALU_DEP_1)
	v_dual_min_f32 v2, v15, v22 :: v_dual_add_f32 v101, v145, v21
	v_dual_min_f32 v21, v43, v35 :: v_dual_add_f32 v74, v13, v2
	s_delay_alu instid0(VALU_DEP_1) | instskip(SKIP_1) | instid1(VALU_DEP_2)
	v_dual_min_f32 v2, v27, v22 :: v_dual_add_f32 v99, v33, v21
	v_min_f32_e32 v21, v11, v8
	v_dual_min_f32 v23, v15, v35 :: v_dual_add_f32 v70, v25, v2
	v_min_f32_e32 v2, v39, v22
	s_delay_alu instid0(VALU_DEP_2) | instskip(SKIP_2) | instid1(VALU_DEP_4)
	v_dual_add_f32 v94, v94, v21 :: v_dual_add_f32 v107, v143, v23
	v_min_f32_e32 v23, v26, v34
	v_min_f32_e32 v21, v3, v7
	v_add_f32_e32 v69, v37, v2
	s_delay_alu instid0(VALU_DEP_2) | instskip(SKIP_1) | instid1(VALU_DEP_1)
	v_add_f32_e32 v93, v93, v21
	v_min_f32_e32 v21, v19, v8
	v_add_f32_e32 v89, v89, v21
	v_min_f32_e32 v21, v39, v8
	s_delay_alu instid0(VALU_DEP_1) | instskip(SKIP_1) | instid1(VALU_DEP_1)
	v_dual_add_f32 v103, v103, v23 :: v_dual_add_f32 v84, v146, v21
	v_max_f32_e32 v21, v46, v46
	v_min_f32_e32 v4, v18, v21
	v_min_f32_e32 v23, v30, v7
	v_dual_add_f32 v113, v135, v45 :: v_dual_min_f32 v20, v38, v7
	s_delay_alu instid0(VALU_DEP_3) | instskip(NEXT) | instid1(VALU_DEP_3)
	v_dual_min_f32 v3, v3, v21 :: v_dual_add_f32 v72, v16, v4
	v_dual_add_f32 v96, v96, v23 :: v_dual_min_f32 v23, v15, v8
	s_delay_alu instid0(VALU_DEP_2) | instskip(SKIP_1) | instid1(VALU_DEP_3)
	v_dual_min_f32 v8, v43, v8 :: v_dual_add_f32 v77, v1, v3
	v_min_f32_e32 v1, v14, v21
	v_dual_min_f32 v3, v19, v22 :: v_dual_add_f32 v90, v90, v23
	v_min_f32_e32 v23, v26, v7
	v_min_f32_e32 v7, v42, v7
	v_dual_add_f32 v83, v6, v8 :: v_dual_min_f32 v6, v11, v22
	s_delay_alu instid0(VALU_DEP_3) | instskip(NEXT) | instid1(VALU_DEP_3)
	v_dual_add_f32 v75, v12, v1 :: v_dual_add_f32 v86, v86, v23
	v_dual_add_f32 v82, v5, v7 :: v_dual_min_f32 v5, v30, v21
	v_min_f32_e32 v23, v31, v22
	v_min_f32_e32 v7, v10, v21
	v_add_f32_e32 v73, v17, v3
	v_min_f32_e32 v1, v26, v21
	v_add_f32_e32 v81, v28, v5
	v_dual_min_f32 v3, v38, v21 :: v_dual_min_f32 v4, v43, v22
	v_min_f32_e32 v5, v42, v21
	v_add_f32_e32 v85, v85, v20
	v_add_f32_e32 v80, v29, v23
	v_dual_add_f32 v79, v9, v6 :: v_dual_add_f32 v78, v78, v7
	v_add_f32_e32 v71, v24, v1
	v_dual_add_f32 v68, v36, v3 :: v_dual_add_f32 v67, v41, v4
	v_add_f32_e32 v66, v40, v5
	s_cbranch_scc1 .LBB100_36
.LBB100_24:                             ; =>This Inner Loop Header: Depth=1
	v_dual_mov_b32 v134, 0 :: v_dual_add_nc_u32 v133, s25, v56
	s_delay_alu instid0(VALU_DEP_1) | instskip(NEXT) | instid1(VALU_DEP_1)
	v_add_nc_u32_e32 v0, 8, v133
	v_cmp_gt_i32_e64 s3, s18, v0
	s_delay_alu instid0(VALU_DEP_1) | instskip(NEXT) | instid1(SALU_CYCLE_1)
	s_and_b32 s4, s3, s24
	s_and_saveexec_b32 s3, s4
	s_cbranch_execz .LBB100_26
; %bb.25:                               ;   in Loop: Header=BB100_24 Depth=1
	flat_load_b32 v134, v[52:53]
.LBB100_26:                             ;   in Loop: Header=BB100_24 Depth=1
	s_or_b32 exec_lo, exec_lo, s3
	v_dual_mov_b32 v136, 0 :: v_dual_add_nc_u32 v135, s25, v57
	s_delay_alu instid0(VALU_DEP_1) | instskip(NEXT) | instid1(VALU_DEP_1)
	v_dual_mov_b32 v137, 0 :: v_dual_add_nc_u32 v0, 8, v135
	v_cmp_le_i32_e64 s3, s18, v0
	s_delay_alu instid0(VALU_DEP_1) | instskip(NEXT) | instid1(SALU_CYCLE_1)
	s_or_b32 s4, vcc_lo, s3
	s_xor_b32 s4, s4, -1
	s_delay_alu instid0(SALU_CYCLE_1)
	s_and_saveexec_b32 s13, s4
	s_cbranch_execz .LBB100_28
; %bb.27:                               ;   in Loop: Header=BB100_24 Depth=1
	v_add_co_u32 v0, s4, v131, v48
	s_delay_alu instid0(VALU_DEP_1)
	v_add_co_ci_u32_e64 v1, s4, v132, v49, s4
	flat_load_b32 v137, v[0:1]
.LBB100_28:                             ;   in Loop: Header=BB100_24 Depth=1
	s_or_b32 exec_lo, exec_lo, s13
	s_or_b32 s3, s2, s3
	s_delay_alu instid0(SALU_CYCLE_1) | instskip(NEXT) | instid1(SALU_CYCLE_1)
	s_xor_b32 s3, s3, -1
	s_and_saveexec_b32 s4, s3
	s_cbranch_execz .LBB100_30
; %bb.29:                               ;   in Loop: Header=BB100_24 Depth=1
	v_add_co_u32 v0, s3, v131, v48
	s_delay_alu instid0(VALU_DEP_1)
	v_add_co_ci_u32_e64 v1, s3, v132, v49, s3
	flat_load_b32 v136, v[0:1] offset:256
.LBB100_30:                             ;   in Loop: Header=BB100_24 Depth=1
	s_or_b32 exec_lo, exec_lo, s4
	ds_load_b128 v[40:43], v129
	ds_load_b128 v[36:39], v129 offset:128
	ds_load_b128 v[32:35], v129 offset:256
	;; [unrolled: 1-line block ×7, first 2 shown]
	ds_load_b128 v[44:47], v130
	ds_load_b128 v[8:11], v130 offset:512
	ds_load_b128 v[4:7], v130 offset:1024
	;; [unrolled: 1-line block ×3, first 2 shown]
	v_add_nc_u32_e32 v133, 12, v133
	s_waitcnt vmcnt(0) lgkmcnt(12)
	ds_store_b32 v100, v134
	ds_store_2addr_stride64_b32 v60, v137, v136 offset1:4
	v_mov_b32_e32 v134, 0
	s_waitcnt lgkmcnt(0)
	s_barrier
	v_cmp_gt_i32_e64 s3, s18, v133
	v_mov_b32_e32 v133, 0
	buffer_gl0_inv
	s_and_b32 s4, s3, s24
	s_delay_alu instid0(SALU_CYCLE_1)
	s_and_saveexec_b32 s3, s4
	s_cbranch_execz .LBB100_32
; %bb.31:                               ;   in Loop: Header=BB100_24 Depth=1
	flat_load_b32 v133, v[52:53] offset:16
.LBB100_32:                             ;   in Loop: Header=BB100_24 Depth=1
	s_or_b32 exec_lo, exec_lo, s3
	v_add_nc_u32_e32 v135, 12, v135
	s_delay_alu instid0(VALU_DEP_1) | instskip(NEXT) | instid1(VALU_DEP_1)
	v_cmp_le_i32_e64 s3, s18, v135
	s_or_b32 s4, vcc_lo, s3
	s_delay_alu instid0(SALU_CYCLE_1) | instskip(NEXT) | instid1(SALU_CYCLE_1)
	s_xor_b32 s4, s4, -1
	s_and_saveexec_b32 s13, s4
	s_cbranch_execz .LBB100_34
; %bb.33:                               ;   in Loop: Header=BB100_24 Depth=1
	v_add_co_u32 v134, s4, v131, v50
	s_delay_alu instid0(VALU_DEP_1)
	v_add_co_ci_u32_e64 v135, s4, v132, v51, s4
	flat_load_b32 v134, v[134:135]
.LBB100_34:                             ;   in Loop: Header=BB100_24 Depth=1
	s_or_b32 exec_lo, exec_lo, s13
	v_dual_max_f32 v44, v44, v44 :: v_dual_max_f32 v45, v45, v45
	v_dual_max_f32 v160, v40, v40 :: v_dual_max_f32 v161, v41, v41
	;; [unrolled: 1-line block ×4, first 2 shown]
	s_delay_alu instid0(VALU_DEP_3)
	v_dual_min_f32 v36, v160, v44 :: v_dual_max_f32 v165, v33, v33
	v_dual_max_f32 v164, v32, v32 :: v_dual_max_f32 v167, v29, v29
	v_max_f32_e32 v166, v28, v28
	v_dual_max_f32 v170, v20, v20 :: v_dual_max_f32 v171, v21, v21
	v_dual_max_f32 v172, v16, v16 :: v_dual_max_f32 v173, v17, v17
	v_dual_min_f32 v16, v168, v44 :: v_dual_max_f32 v175, v13, v13
	v_dual_max_f32 v174, v12, v12 :: v_dual_max_f32 v145, v9, v9
	v_max_f32_e32 v144, v8, v8
	v_dual_max_f32 v158, v4, v4 :: v_dual_max_f32 v159, v5, v5
	v_max_f32_e32 v0, v0, v0
	v_dual_min_f32 v40, v161, v45 :: v_dual_min_f32 v41, v162, v44
	v_dual_min_f32 v28, v163, v45 :: v_dual_min_f32 v29, v164, v44
	v_min_f32_e32 v37, v167, v45
	v_dual_min_f32 v32, v165, v45 :: v_dual_min_f32 v33, v166, v44
	v_dual_min_f32 v20, v169, v45 :: v_dual_min_f32 v21, v170, v44
	;; [unrolled: 1-line block ×4, first 2 shown]
	v_min_f32_e32 v17, v161, v145
	v_dual_min_f32 v12, v175, v45 :: v_dual_min_f32 v13, v160, v144
	v_dual_min_f32 v44, v162, v144 :: v_dual_min_f32 v45, v163, v145
	;; [unrolled: 1-line block ×9, first 2 shown]
	v_dual_min_f32 v157, v172, v158 :: v_dual_max_f32 v176, v1, v1
	v_dual_min_f32 v1, v173, v159 :: v_dual_min_f32 v160, v160, v0
	v_dual_max_f32 v177, v46, v46 :: v_dual_max_f32 v220, v27, v27
	v_max_f32_e32 v221, v22, v22
	v_dual_min_f32 v147, v162, v158 :: v_dual_min_f32 v148, v163, v159
	v_dual_min_f32 v149, v164, v158 :: v_dual_min_f32 v150, v165, v159
	;; [unrolled: 1-line block ×6, first 2 shown]
	v_dual_min_f32 v161, v161, v176 :: v_dual_max_f32 v210, v42, v42
	v_dual_min_f32 v162, v162, v0 :: v_dual_max_f32 v211, v43, v43
	v_dual_min_f32 v164, v164, v0 :: v_dual_max_f32 v215, v38, v38
	v_dual_min_f32 v165, v165, v176 :: v_dual_max_f32 v178, v47, v47
	v_min_f32_e32 v166, v166, v0
	v_min_f32_e32 v167, v167, v176
	v_dual_min_f32 v168, v168, v0 :: v_dual_max_f32 v217, v30, v30
	v_min_f32_e32 v172, v172, v0
	v_min_f32_e32 v173, v173, v176
	v_dual_min_f32 v43, v174, v0 :: v_dual_max_f32 v216, v35, v35
	v_min_f32_e32 v170, v170, v0
	v_max_f32_e32 v0, v39, v39
	v_max_f32_e32 v174, v34, v34
	v_dual_max_f32 v218, v31, v31 :: v_dual_max_f32 v219, v26, v26
	v_dual_max_f32 v222, v23, v23 :: v_dual_max_f32 v223, v18, v18
	v_dual_min_f32 v22, v221, v177 :: v_dual_max_f32 v19, v19, v19
	v_dual_max_f32 v224, v14, v14 :: v_dual_max_f32 v225, v15, v15
	v_dual_max_f32 v10, v10, v10 :: v_dual_max_f32 v11, v11, v11
	;; [unrolled: 1-line block ×4, first 2 shown]
	v_dual_min_f32 v163, v163, v176 :: v_dual_min_f32 v38, v210, v177
	v_dual_min_f32 v169, v169, v176 :: v_dual_min_f32 v42, v215, v177
	;; [unrolled: 1-line block ×5, first 2 shown]
	v_min_f32_e32 v175, v220, v178
	v_min_f32_e32 v35, v216, v178
	;; [unrolled: 1-line block ×3, first 2 shown]
	v_dual_min_f32 v18, v219, v177 :: v_dual_min_f32 v189, v216, v11
	v_dual_min_f32 v176, v222, v178 :: v_dual_min_f32 v23, v223, v177
	;; [unrolled: 1-line block ×18, first 2 shown]
	v_min_f32_e32 v200, v223, v6
	v_dual_min_f32 v209, v224, v6 :: v_dual_min_f32 v214, v211, v227
	v_dual_min_f32 v210, v210, v226 :: v_dual_min_f32 v15, v19, v227
	;; [unrolled: 1-line block ×4, first 2 shown]
	v_min_f32_e32 v19, v225, v227
	v_dual_min_f32 v11, v217, v226 :: v_dual_min_f32 v174, v220, v227
	v_dual_min_f32 v27, v218, v227 :: v_dual_min_f32 v2, v219, v226
	;; [unrolled: 1-line block ×3, first 2 shown]
	v_min_f32_e32 v6, v223, v226
	v_dual_min_f32 v7, v224, v226 :: v_dual_mov_b32 v0, 0
	s_or_b32 s3, s2, s3
	s_delay_alu instid0(SALU_CYCLE_1) | instskip(NEXT) | instid1(SALU_CYCLE_1)
	s_xor_b32 s3, s3, -1
	s_and_saveexec_b32 s4, s3
	s_cbranch_execz .LBB100_23
; %bb.35:                               ;   in Loop: Header=BB100_24 Depth=1
	v_add_co_u32 v216, s3, v131, v50
	s_delay_alu instid0(VALU_DEP_1)
	v_add_co_ci_u32_e64 v217, s3, v132, v51, s3
	flat_load_b32 v0, v[216:217] offset:256
	s_branch .LBB100_23
.LBB100_36:
	s_clause 0x2
	s_load_b64 s[2:3], s[0:1], 0x70
	s_load_b32 s12, s[0:1], 0x50
	s_load_b32 s9, s[0:1], 0x68
	ds_load_b128 v[32:35], v58 offset:5120
	ds_load_b128 v[28:31], v58 offset:5248
	;; [unrolled: 1-line block ×12, first 2 shown]
	v_add_nc_u32_e32 v117, s14, v55
	v_add_nc_u32_e32 v48, s5, v54
	v_cndmask_b32_e64 v100, 0, 1, s22
	s_delay_alu instid0(VALU_DEP_3)
	v_cmp_gt_i32_e64 s8, s17, v117
	s_waitcnt lgkmcnt(0)
	s_mul_i32 s0, s15, s3
	v_mad_i64_i32 v[49:50], null, v117, s12, 0
	v_mad_i64_i32 v[51:52], null, v117, s9, 0
	s_mul_hi_u32 s1, s15, s2
	s_mul_i32 s3, s23, s2
	s_add_i32 s1, s1, s0
	s_mul_i32 s0, s15, s2
	s_delay_alu instid0(VALU_DEP_2) | instskip(SKIP_1) | instid1(VALU_DEP_2)
	v_lshlrev_b64 v[49:50], 2, v[49:50]
	s_add_i32 s1, s1, s3
	v_lshlrev_b64 v[51:52], 2, v[51:52]
	s_lshl_b64 s[0:1], s[0:1], 2
	s_delay_alu instid0(SALU_CYCLE_1) | instskip(NEXT) | instid1(VALU_DEP_2)
	s_add_u32 s13, s6, s0
	v_add_co_u32 v129, vcc_lo, s10, v49
	v_add_co_ci_u32_e32 v130, vcc_lo, s11, v50, vcc_lo
	s_addc_u32 s14, s7, s1
	v_add_co_u32 v127, vcc_lo, s13, v51
	v_cmp_gt_i32_e64 s0, s16, v48
	v_add_co_ci_u32_e32 v128, vcc_lo, s14, v52, vcc_lo
	v_ashrrev_i32_e32 v49, 31, v48
	s_delay_alu instid0(VALU_DEP_3) | instskip(NEXT) | instid1(SALU_CYCLE_1)
	s_and_b32 s2, s0, s8
	s_and_saveexec_b32 s1, s2
	s_cbranch_execz .LBB100_41
; %bb.37:
	s_delay_alu instid0(VALU_DEP_1)
	v_lshlrev_b64 v[50:51], 2, v[48:49]
	s_and_not1_b32 vcc_lo, exec_lo, s22
	s_cbranch_vccnz .LBB100_39
; %bb.38:
	s_delay_alu instid0(VALU_DEP_1) | instskip(NEXT) | instid1(VALU_DEP_2)
	v_add_co_u32 v52, vcc_lo, v129, v50
	v_add_co_ci_u32_e32 v53, vcc_lo, v130, v51, vcc_lo
	flat_load_b32 v52, v[52:53]
	s_waitcnt vmcnt(0) lgkmcnt(0)
	v_mul_f32_e32 v52, s19, v52
	s_branch .LBB100_40
.LBB100_39:
	v_mov_b32_e32 v52, 0
.LBB100_40:
	v_dual_max_f32 v53, v45, v45 :: v_dual_max_f32 v56, v32, v32
	v_dual_max_f32 v54, v33, v33 :: v_dual_max_f32 v55, v44, v44
	;; [unrolled: 1-line block ×3, first 2 shown]
	v_max_f32_e32 v59, v35, v35
	s_delay_alu instid0(VALU_DEP_3) | instskip(NEXT) | instid1(VALU_DEP_4)
	v_min_f32_e32 v53, v54, v53
	v_dual_max_f32 v54, v34, v34 :: v_dual_min_f32 v55, v56, v55
	v_add_co_u32 v50, vcc_lo, v127, v50
	v_add_co_ci_u32_e32 v51, vcc_lo, v128, v51, vcc_lo
	s_delay_alu instid0(VALU_DEP_3) | instskip(NEXT) | instid1(VALU_DEP_4)
	v_min_f32_e32 v54, v54, v57
	v_dual_min_f32 v56, v59, v58 :: v_dual_add_f32 v55, v125, v55
	s_delay_alu instid0(VALU_DEP_1) | instskip(NEXT) | instid1(VALU_DEP_1)
	v_dual_add_f32 v53, v126, v53 :: v_dual_add_f32 v54, v55, v54
	v_add_f32_e32 v53, v53, v56
	s_delay_alu instid0(VALU_DEP_1) | instskip(NEXT) | instid1(VALU_DEP_1)
	v_add_f32_e32 v53, v54, v53
	v_add_f32_e32 v52, v53, v52
	global_store_b32 v[50:51], v52, off
.LBB100_41:
	s_or_b32 exec_lo, exec_lo, s1
	v_add_nc_u32_e32 v50, 8, v48
	s_delay_alu instid0(VALU_DEP_1) | instskip(SKIP_1) | instid1(VALU_DEP_2)
	v_cmp_gt_i32_e64 s1, s16, v50
	v_ashrrev_i32_e32 v51, 31, v50
	s_and_b32 s3, s1, s8
	s_delay_alu instid0(SALU_CYCLE_1)
	s_and_saveexec_b32 s2, s3
	s_cbranch_execz .LBB100_46
; %bb.42:
	v_cmp_ne_u32_e32 vcc_lo, 1, v100
	v_lshlrev_b64 v[52:53], 2, v[50:51]
	s_cbranch_vccnz .LBB100_44
; %bb.43:
	s_delay_alu instid0(VALU_DEP_1) | instskip(NEXT) | instid1(VALU_DEP_2)
	v_add_co_u32 v54, vcc_lo, v129, v52
	v_add_co_ci_u32_e32 v55, vcc_lo, v130, v53, vcc_lo
	flat_load_b32 v54, v[54:55]
	s_waitcnt vmcnt(0) lgkmcnt(0)
	v_mul_f32_e32 v54, s19, v54
	s_branch .LBB100_45
.LBB100_44:
	v_mov_b32_e32 v54, 0
.LBB100_45:
	v_dual_max_f32 v55, v45, v45 :: v_dual_max_f32 v58, v28, v28
	v_dual_max_f32 v56, v29, v29 :: v_dual_max_f32 v57, v44, v44
	;; [unrolled: 1-line block ×3, first 2 shown]
	v_add_co_u32 v52, vcc_lo, v127, v52
	s_delay_alu instid0(VALU_DEP_3) | instskip(NEXT) | instid1(VALU_DEP_4)
	v_dual_min_f32 v55, v56, v55 :: v_dual_max_f32 v56, v30, v30
	v_min_f32_e32 v57, v58, v57
	v_add_co_ci_u32_e32 v53, vcc_lo, v128, v53, vcc_lo
	s_delay_alu instid0(VALU_DEP_3) | instskip(NEXT) | instid1(VALU_DEP_3)
	v_min_f32_e32 v56, v56, v59
	v_add_f32_e32 v57, v124, v57
	s_delay_alu instid0(VALU_DEP_1) | instskip(NEXT) | instid1(VALU_DEP_1)
	v_dual_max_f32 v125, v31, v31 :: v_dual_add_f32 v56, v57, v56
	v_dual_add_f32 v55, v123, v55 :: v_dual_min_f32 v58, v125, v60
	s_delay_alu instid0(VALU_DEP_1) | instskip(NEXT) | instid1(VALU_DEP_1)
	v_add_f32_e32 v55, v55, v58
	v_add_f32_e32 v55, v56, v55
	s_delay_alu instid0(VALU_DEP_1)
	v_add_f32_e32 v54, v55, v54
	global_store_b32 v[52:53], v54, off
.LBB100_46:
	s_or_b32 exec_lo, exec_lo, s2
	v_add_nc_u32_e32 v52, 16, v48
	s_delay_alu instid0(VALU_DEP_1) | instskip(SKIP_1) | instid1(VALU_DEP_2)
	v_cmp_gt_i32_e64 s2, s16, v52
	v_ashrrev_i32_e32 v53, 31, v52
	s_and_b32 s4, s2, s8
	s_delay_alu instid0(SALU_CYCLE_1)
	s_and_saveexec_b32 s3, s4
	s_cbranch_execz .LBB100_51
; %bb.47:
	v_cmp_ne_u32_e32 vcc_lo, 1, v100
	v_lshlrev_b64 v[54:55], 2, v[52:53]
	s_cbranch_vccnz .LBB100_49
; %bb.48:
	s_delay_alu instid0(VALU_DEP_1) | instskip(NEXT) | instid1(VALU_DEP_2)
	v_add_co_u32 v56, vcc_lo, v129, v54
	v_add_co_ci_u32_e32 v57, vcc_lo, v130, v55, vcc_lo
	flat_load_b32 v56, v[56:57]
	s_waitcnt vmcnt(0) lgkmcnt(0)
	v_mul_f32_e32 v56, s19, v56
	s_branch .LBB100_50
.LBB100_49:
	v_mov_b32_e32 v56, 0
.LBB100_50:
	v_dual_max_f32 v57, v45, v45 :: v_dual_max_f32 v60, v24, v24
	v_dual_max_f32 v58, v25, v25 :: v_dual_max_f32 v59, v44, v44
	;; [unrolled: 1-line block ×3, first 2 shown]
	v_max_f32_e32 v125, v27, v27
	s_delay_alu instid0(VALU_DEP_3) | instskip(NEXT) | instid1(VALU_DEP_4)
	v_min_f32_e32 v57, v58, v57
	v_dual_max_f32 v58, v26, v26 :: v_dual_min_f32 v59, v60, v59
	v_add_co_u32 v54, vcc_lo, v127, v54
	s_delay_alu instid0(VALU_DEP_4) | instskip(NEXT) | instid1(VALU_DEP_3)
	v_min_f32_e32 v60, v125, v124
	v_dual_add_f32 v57, v121, v57 :: v_dual_min_f32 v58, v58, v123
	s_delay_alu instid0(VALU_DEP_4) | instskip(SKIP_1) | instid1(VALU_DEP_2)
	v_add_f32_e32 v59, v122, v59
	v_add_co_ci_u32_e32 v55, vcc_lo, v128, v55, vcc_lo
	v_dual_add_f32 v57, v57, v60 :: v_dual_add_f32 v58, v59, v58
	s_delay_alu instid0(VALU_DEP_1) | instskip(NEXT) | instid1(VALU_DEP_1)
	v_add_f32_e32 v57, v58, v57
	v_add_f32_e32 v56, v57, v56
	global_store_b32 v[54:55], v56, off
.LBB100_51:
	s_or_b32 exec_lo, exec_lo, s3
	v_add_nc_u32_e32 v54, 24, v48
	s_delay_alu instid0(VALU_DEP_1) | instskip(SKIP_1) | instid1(VALU_DEP_2)
	v_cmp_gt_i32_e64 s3, s16, v54
	v_ashrrev_i32_e32 v55, 31, v54
	s_and_b32 s5, s3, s8
	s_delay_alu instid0(SALU_CYCLE_1)
	s_and_saveexec_b32 s4, s5
	s_cbranch_execz .LBB100_56
; %bb.52:
	v_cmp_ne_u32_e32 vcc_lo, 1, v100
	v_lshlrev_b64 v[56:57], 2, v[54:55]
	s_cbranch_vccnz .LBB100_54
; %bb.53:
	s_delay_alu instid0(VALU_DEP_1) | instskip(NEXT) | instid1(VALU_DEP_2)
	v_add_co_u32 v58, vcc_lo, v129, v56
	v_add_co_ci_u32_e32 v59, vcc_lo, v130, v57, vcc_lo
	flat_load_b32 v58, v[58:59]
	s_waitcnt vmcnt(0) lgkmcnt(0)
	v_mul_f32_e32 v58, s19, v58
	s_branch .LBB100_55
.LBB100_54:
	v_mov_b32_e32 v58, 0
.LBB100_55:
	v_dual_max_f32 v59, v45, v45 :: v_dual_max_f32 v122, v20, v20
	v_dual_max_f32 v60, v21, v21 :: v_dual_max_f32 v121, v44, v44
	;; [unrolled: 1-line block ×3, first 2 shown]
	v_add_co_u32 v56, vcc_lo, v127, v56
	s_delay_alu instid0(VALU_DEP_3) | instskip(NEXT) | instid1(VALU_DEP_4)
	v_dual_min_f32 v59, v60, v59 :: v_dual_max_f32 v60, v22, v22
	v_min_f32_e32 v121, v122, v121
	v_add_co_ci_u32_e32 v57, vcc_lo, v128, v57, vcc_lo
	s_delay_alu instid0(VALU_DEP_3) | instskip(NEXT) | instid1(VALU_DEP_3)
	v_min_f32_e32 v60, v60, v123
	v_dual_max_f32 v125, v23, v23 :: v_dual_add_f32 v120, v120, v121
	v_add_f32_e32 v59, v119, v59
	s_delay_alu instid0(VALU_DEP_2) | instskip(NEXT) | instid1(VALU_DEP_1)
	v_min_f32_e32 v119, v125, v124
	v_dual_add_f32 v60, v120, v60 :: v_dual_add_f32 v59, v59, v119
	s_delay_alu instid0(VALU_DEP_1) | instskip(NEXT) | instid1(VALU_DEP_1)
	v_add_f32_e32 v59, v60, v59
	v_add_f32_e32 v58, v59, v58
	global_store_b32 v[56:57], v58, off
.LBB100_56:
	s_or_b32 exec_lo, exec_lo, s4
	v_add_nc_u32_e32 v56, 32, v48
	s_delay_alu instid0(VALU_DEP_1) | instskip(SKIP_1) | instid1(VALU_DEP_2)
	v_cmp_gt_i32_e64 s4, s16, v56
	v_ashrrev_i32_e32 v57, 31, v56
	s_and_b32 s6, s4, s8
	s_delay_alu instid0(SALU_CYCLE_1)
	s_and_saveexec_b32 s5, s6
	s_cbranch_execz .LBB100_61
; %bb.57:
	v_cmp_ne_u32_e32 vcc_lo, 1, v100
	v_lshlrev_b64 v[58:59], 2, v[56:57]
	s_cbranch_vccnz .LBB100_59
; %bb.58:
	s_delay_alu instid0(VALU_DEP_1) | instskip(NEXT) | instid1(VALU_DEP_2)
	v_add_co_u32 v119, vcc_lo, v129, v58
	v_add_co_ci_u32_e32 v120, vcc_lo, v130, v59, vcc_lo
	flat_load_b32 v60, v[119:120]
	s_waitcnt vmcnt(0) lgkmcnt(0)
	v_mul_f32_e32 v60, s19, v60
	s_branch .LBB100_60
.LBB100_59:
	v_mov_b32_e32 v60, 0
.LBB100_60:
	v_dual_max_f32 v119, v45, v45 :: v_dual_max_f32 v122, v16, v16
	v_dual_max_f32 v120, v17, v17 :: v_dual_max_f32 v121, v44, v44
	;; [unrolled: 1-line block ×3, first 2 shown]
	v_add_co_u32 v58, vcc_lo, v127, v58
	s_delay_alu instid0(VALU_DEP_3) | instskip(NEXT) | instid1(VALU_DEP_4)
	v_dual_min_f32 v119, v120, v119 :: v_dual_max_f32 v120, v18, v18
	v_min_f32_e32 v121, v122, v121
	v_max_f32_e32 v125, v19, v19
	v_add_co_ci_u32_e32 v59, vcc_lo, v128, v59, vcc_lo
	s_delay_alu instid0(VALU_DEP_3) | instskip(NEXT) | instid1(VALU_DEP_3)
	v_dual_add_f32 v61, v61, v119 :: v_dual_add_f32 v118, v118, v121
	v_dual_min_f32 v119, v120, v123 :: v_dual_min_f32 v120, v125, v124
	s_delay_alu instid0(VALU_DEP_1) | instskip(NEXT) | instid1(VALU_DEP_1)
	v_dual_add_f32 v118, v118, v119 :: v_dual_add_f32 v61, v61, v120
	v_add_f32_e32 v61, v118, v61
	s_delay_alu instid0(VALU_DEP_1)
	v_add_f32_e32 v60, v61, v60
	global_store_b32 v[58:59], v60, off
.LBB100_61:
	s_or_b32 exec_lo, exec_lo, s5
	v_add_nc_u32_e32 v58, 40, v48
	s_delay_alu instid0(VALU_DEP_1) | instskip(SKIP_1) | instid1(VALU_DEP_2)
	v_cmp_gt_i32_e64 s5, s16, v58
	v_ashrrev_i32_e32 v59, 31, v58
	s_and_b32 s7, s5, s8
	s_delay_alu instid0(SALU_CYCLE_1)
	s_and_saveexec_b32 s6, s7
	s_cbranch_execz .LBB100_66
; %bb.62:
	v_cmp_ne_u32_e32 vcc_lo, 1, v100
	v_lshlrev_b64 v[60:61], 2, v[58:59]
	s_cbranch_vccnz .LBB100_64
; %bb.63:
	s_delay_alu instid0(VALU_DEP_1) | instskip(NEXT) | instid1(VALU_DEP_2)
	v_add_co_u32 v118, vcc_lo, v129, v60
	v_add_co_ci_u32_e32 v119, vcc_lo, v130, v61, vcc_lo
	flat_load_b32 v118, v[118:119]
	s_waitcnt vmcnt(0) lgkmcnt(0)
	v_mul_f32_e32 v118, s19, v118
	s_branch .LBB100_65
.LBB100_64:
	v_mov_b32_e32 v118, 0
.LBB100_65:
	v_dual_max_f32 v119, v45, v45 :: v_dual_max_f32 v122, v12, v12
	v_dual_max_f32 v120, v13, v13 :: v_dual_max_f32 v121, v44, v44
	;; [unrolled: 1-line block ×3, first 2 shown]
	v_add_co_u32 v60, vcc_lo, v127, v60
	s_delay_alu instid0(VALU_DEP_3) | instskip(NEXT) | instid1(VALU_DEP_4)
	v_dual_min_f32 v119, v120, v119 :: v_dual_max_f32 v120, v14, v14
	v_min_f32_e32 v121, v122, v121
	v_max_f32_e32 v125, v15, v15
	v_add_co_ci_u32_e32 v61, vcc_lo, v128, v61, vcc_lo
	s_delay_alu instid0(VALU_DEP_4) | instskip(NEXT) | instid1(VALU_DEP_4)
	v_add_f32_e32 v63, v63, v119
	v_dual_min_f32 v119, v120, v123 :: v_dual_add_f32 v62, v62, v121
	s_delay_alu instid0(VALU_DEP_4) | instskip(NEXT) | instid1(VALU_DEP_1)
	v_min_f32_e32 v120, v125, v124
	v_dual_add_f32 v62, v62, v119 :: v_dual_add_f32 v63, v63, v120
	s_delay_alu instid0(VALU_DEP_1) | instskip(NEXT) | instid1(VALU_DEP_1)
	v_add_f32_e32 v62, v62, v63
	v_add_f32_e32 v62, v62, v118
	global_store_b32 v[60:61], v62, off
.LBB100_66:
	s_or_b32 exec_lo, exec_lo, s6
	v_add_nc_u32_e32 v60, 48, v48
	s_delay_alu instid0(VALU_DEP_1) | instskip(SKIP_1) | instid1(VALU_DEP_2)
	v_cmp_gt_i32_e64 s6, s16, v60
	v_ashrrev_i32_e32 v61, 31, v60
	s_and_b32 s15, s6, s8
	s_delay_alu instid0(SALU_CYCLE_1)
	s_and_saveexec_b32 s7, s15
	s_cbranch_execz .LBB100_71
; %bb.67:
	v_cmp_ne_u32_e32 vcc_lo, 1, v100
	v_lshlrev_b64 v[62:63], 2, v[60:61]
	s_cbranch_vccnz .LBB100_69
; %bb.68:
	s_delay_alu instid0(VALU_DEP_1) | instskip(NEXT) | instid1(VALU_DEP_2)
	v_add_co_u32 v118, vcc_lo, v129, v62
	v_add_co_ci_u32_e32 v119, vcc_lo, v130, v63, vcc_lo
	flat_load_b32 v118, v[118:119]
	s_waitcnt vmcnt(0) lgkmcnt(0)
	v_mul_f32_e32 v118, s19, v118
	s_branch .LBB100_70
.LBB100_69:
	v_mov_b32_e32 v118, 0
.LBB100_70:
	v_dual_max_f32 v119, v45, v45 :: v_dual_max_f32 v122, v8, v8
	v_dual_max_f32 v120, v9, v9 :: v_dual_max_f32 v121, v44, v44
	;; [unrolled: 1-line block ×3, first 2 shown]
	v_add_co_u32 v62, vcc_lo, v127, v62
	s_delay_alu instid0(VALU_DEP_3) | instskip(NEXT) | instid1(VALU_DEP_4)
	v_dual_min_f32 v119, v120, v119 :: v_dual_max_f32 v120, v10, v10
	v_min_f32_e32 v121, v122, v121
	v_add_co_ci_u32_e32 v63, vcc_lo, v128, v63, vcc_lo
	s_delay_alu instid0(VALU_DEP_3) | instskip(SKIP_3) | instid1(VALU_DEP_3)
	v_add_f32_e32 v64, v64, v119
	v_max_f32_e32 v125, v11, v11
	v_min_f32_e32 v119, v120, v123
	v_add_f32_e32 v65, v65, v121
	v_min_f32_e32 v120, v125, v124
	s_delay_alu instid0(VALU_DEP_1) | instskip(NEXT) | instid1(VALU_DEP_1)
	v_dual_add_f32 v65, v65, v119 :: v_dual_add_f32 v64, v64, v120
	v_add_f32_e32 v64, v65, v64
	s_delay_alu instid0(VALU_DEP_1)
	v_add_f32_e32 v64, v64, v118
	global_store_b32 v[62:63], v64, off
.LBB100_71:
	s_or_b32 exec_lo, exec_lo, s7
	v_add_nc_u32_e32 v62, 56, v48
	s_delay_alu instid0(VALU_DEP_1) | instskip(SKIP_1) | instid1(VALU_DEP_2)
	v_cmp_gt_i32_e64 s7, s16, v62
	v_ashrrev_i32_e32 v63, 31, v62
	s_and_b32 s15, s7, s8
	s_delay_alu instid0(SALU_CYCLE_1)
	s_and_saveexec_b32 s8, s15
	s_cbranch_execz .LBB100_76
; %bb.72:
	v_cmp_ne_u32_e32 vcc_lo, 1, v100
	v_lshlrev_b64 v[64:65], 2, v[62:63]
	s_cbranch_vccnz .LBB100_74
; %bb.73:
	s_delay_alu instid0(VALU_DEP_1) | instskip(NEXT) | instid1(VALU_DEP_2)
	v_add_co_u32 v118, vcc_lo, v129, v64
	v_add_co_ci_u32_e32 v119, vcc_lo, v130, v65, vcc_lo
	flat_load_b32 v118, v[118:119]
	s_waitcnt vmcnt(0) lgkmcnt(0)
	v_mul_f32_e32 v118, s19, v118
	s_branch .LBB100_75
.LBB100_74:
	v_mov_b32_e32 v118, 0
.LBB100_75:
	v_dual_max_f32 v45, v45, v45 :: v_dual_max_f32 v44, v44, v44
	v_dual_max_f32 v119, v1, v1 :: v_dual_max_f32 v120, v0, v0
	s_delay_alu instid0(VALU_DEP_1) | instskip(NEXT) | instid1(VALU_DEP_2)
	v_dual_max_f32 v46, v46, v46 :: v_dual_min_f32 v45, v119, v45
	v_dual_max_f32 v119, v2, v2 :: v_dual_min_f32 v44, v120, v44
	v_max_f32_e32 v47, v47, v47
	s_delay_alu instid0(VALU_DEP_2) | instskip(NEXT) | instid1(VALU_DEP_3)
	v_dual_add_f32 v45, v115, v45 :: v_dual_add_f32 v44, v116, v44
	v_min_f32_e32 v46, v119, v46
	s_delay_alu instid0(VALU_DEP_1) | instskip(NEXT) | instid1(VALU_DEP_1)
	v_dual_max_f32 v121, v3, v3 :: v_dual_add_f32 v44, v44, v46
	v_min_f32_e32 v47, v121, v47
	s_delay_alu instid0(VALU_DEP_1) | instskip(NEXT) | instid1(VALU_DEP_1)
	v_add_f32_e32 v45, v45, v47
	v_add_f32_e32 v44, v44, v45
	s_delay_alu instid0(VALU_DEP_1)
	v_add_f32_e32 v46, v44, v118
	v_add_co_u32 v44, vcc_lo, v127, v64
	v_add_co_ci_u32_e32 v45, vcc_lo, v128, v65, vcc_lo
	global_store_b32 v[44:45], v46, off
.LBB100_76:
	s_or_b32 exec_lo, exec_lo, s8
	v_add_nc_u32_e32 v64, 32, v117
	s_delay_alu instid0(VALU_DEP_1) | instskip(SKIP_2) | instid1(VALU_DEP_3)
	v_mad_i64_i32 v[44:45], null, v64, s12, 0
	v_mad_i64_i32 v[46:47], null, v64, s9, 0
	v_cmp_gt_i32_e64 s8, s17, v64
	v_lshlrev_b64 v[44:45], 2, v[44:45]
	s_delay_alu instid0(VALU_DEP_2) | instskip(NEXT) | instid1(VALU_DEP_3)
	s_and_b32 s16, s0, s8
	v_lshlrev_b64 v[46:47], 2, v[46:47]
	s_delay_alu instid0(VALU_DEP_2) | instskip(NEXT) | instid1(VALU_DEP_3)
	v_add_co_u32 v64, vcc_lo, s10, v44
	v_add_co_ci_u32_e32 v65, vcc_lo, s11, v45, vcc_lo
	s_delay_alu instid0(VALU_DEP_3) | instskip(NEXT) | instid1(VALU_DEP_4)
	v_add_co_u32 v46, vcc_lo, s13, v46
	v_add_co_ci_u32_e32 v47, vcc_lo, s14, v47, vcc_lo
	s_and_saveexec_b32 s15, s16
	s_cbranch_execnz .LBB100_84
; %bb.77:
	s_or_b32 exec_lo, exec_lo, s15
	s_and_b32 s16, s1, s8
	s_delay_alu instid0(SALU_CYCLE_1)
	s_and_saveexec_b32 s15, s16
	s_cbranch_execnz .LBB100_88
.LBB100_78:
	s_or_b32 exec_lo, exec_lo, s15
	s_and_b32 s16, s2, s8
	s_delay_alu instid0(SALU_CYCLE_1)
	s_and_saveexec_b32 s15, s16
	s_cbranch_execnz .LBB100_92
.LBB100_79:
	s_or_b32 exec_lo, exec_lo, s15
	s_and_b32 s16, s3, s8
	s_delay_alu instid0(SALU_CYCLE_1)
	s_and_saveexec_b32 s15, s16
	s_cbranch_execnz .LBB100_96
.LBB100_80:
	s_or_b32 exec_lo, exec_lo, s15
	s_and_b32 s16, s4, s8
	s_delay_alu instid0(SALU_CYCLE_1)
	s_and_saveexec_b32 s15, s16
	s_cbranch_execnz .LBB100_100
.LBB100_81:
	s_or_b32 exec_lo, exec_lo, s15
	s_and_b32 s16, s5, s8
	s_delay_alu instid0(SALU_CYCLE_1)
	s_and_saveexec_b32 s15, s16
	s_cbranch_execnz .LBB100_104
.LBB100_82:
	s_or_b32 exec_lo, exec_lo, s15
	s_and_b32 s16, s6, s8
	s_delay_alu instid0(SALU_CYCLE_1)
	s_and_saveexec_b32 s15, s16
	s_cbranch_execnz .LBB100_108
.LBB100_83:
	s_or_b32 exec_lo, exec_lo, s15
	s_and_b32 s15, s7, s8
	s_delay_alu instid0(SALU_CYCLE_1)
	s_and_saveexec_b32 s8, s15
	s_cbranch_execnz .LBB100_112
	s_branch .LBB100_116
.LBB100_84:
	v_cmp_ne_u32_e32 vcc_lo, 1, v100
	v_lshlrev_b64 v[44:45], 2, v[48:49]
	s_cbranch_vccnz .LBB100_86
; %bb.85:
	s_delay_alu instid0(VALU_DEP_1) | instskip(NEXT) | instid1(VALU_DEP_2)
	v_add_co_u32 v115, vcc_lo, v64, v44
	v_add_co_ci_u32_e32 v116, vcc_lo, v65, v45, vcc_lo
	flat_load_b32 v115, v[115:116]
	s_waitcnt vmcnt(0) lgkmcnt(0)
	v_mul_f32_e32 v115, s19, v115
	s_branch .LBB100_87
.LBB100_86:
	v_mov_b32_e32 v115, 0
.LBB100_87:
	v_dual_max_f32 v116, v41, v41 :: v_dual_max_f32 v119, v40, v40
	v_dual_max_f32 v118, v33, v33 :: v_dual_max_f32 v121, v42, v42
	;; [unrolled: 1-line block ×3, first 2 shown]
	v_add_co_u32 v44, vcc_lo, v46, v44
	s_delay_alu instid0(VALU_DEP_2) | instskip(SKIP_2) | instid1(VALU_DEP_3)
	v_dual_min_f32 v116, v118, v116 :: v_dual_min_f32 v119, v120, v119
	v_max_f32_e32 v118, v34, v34
	v_add_co_ci_u32_e32 v45, vcc_lo, v47, v45, vcc_lo
	v_dual_add_f32 v114, v114, v116 :: v_dual_add_f32 v113, v113, v119
	s_delay_alu instid0(VALU_DEP_3) | instskip(NEXT) | instid1(VALU_DEP_1)
	v_min_f32_e32 v116, v118, v121
	v_dual_max_f32 v122, v43, v43 :: v_dual_add_f32 v113, v113, v116
	s_delay_alu instid0(VALU_DEP_1) | instskip(NEXT) | instid1(VALU_DEP_1)
	v_min_f32_e32 v118, v123, v122
	v_add_f32_e32 v114, v114, v118
	s_delay_alu instid0(VALU_DEP_1) | instskip(NEXT) | instid1(VALU_DEP_1)
	v_add_f32_e32 v113, v113, v114
	v_add_f32_e32 v113, v113, v115
	global_store_b32 v[44:45], v113, off
	s_or_b32 exec_lo, exec_lo, s15
	s_and_b32 s16, s1, s8
	s_delay_alu instid0(SALU_CYCLE_1)
	s_and_saveexec_b32 s15, s16
	s_cbranch_execz .LBB100_78
.LBB100_88:
	v_cmp_ne_u32_e32 vcc_lo, 1, v100
	v_lshlrev_b64 v[44:45], 2, v[50:51]
	s_cbranch_vccnz .LBB100_90
; %bb.89:
	s_delay_alu instid0(VALU_DEP_1) | instskip(NEXT) | instid1(VALU_DEP_2)
	v_add_co_u32 v113, vcc_lo, v64, v44
	v_add_co_ci_u32_e32 v114, vcc_lo, v65, v45, vcc_lo
	flat_load_b32 v113, v[113:114]
	s_waitcnt vmcnt(0) lgkmcnt(0)
	v_mul_f32_e32 v113, s19, v113
	s_branch .LBB100_91
.LBB100_90:
	v_mov_b32_e32 v113, 0
.LBB100_91:
	v_dual_max_f32 v114, v41, v41 :: v_dual_max_f32 v119, v42, v42
	v_dual_max_f32 v115, v29, v29 :: v_dual_max_f32 v116, v40, v40
	v_max_f32_e32 v118, v28, v28
	v_max_f32_e32 v120, v43, v43
	;; [unrolled: 1-line block ×3, first 2 shown]
	s_delay_alu instid0(VALU_DEP_4) | instskip(SKIP_3) | instid1(VALU_DEP_4)
	v_min_f32_e32 v114, v115, v114
	v_max_f32_e32 v115, v30, v30
	v_min_f32_e32 v116, v118, v116
	v_add_co_u32 v44, vcc_lo, v46, v44
	v_add_f32_e32 v111, v111, v114
	s_delay_alu instid0(VALU_DEP_4) | instskip(NEXT) | instid1(VALU_DEP_4)
	v_min_f32_e32 v114, v115, v119
	v_add_f32_e32 v112, v112, v116
	v_min_f32_e32 v115, v121, v120
	v_add_co_ci_u32_e32 v45, vcc_lo, v47, v45, vcc_lo
	s_delay_alu instid0(VALU_DEP_2) | instskip(NEXT) | instid1(VALU_DEP_1)
	v_dual_add_f32 v112, v112, v114 :: v_dual_add_f32 v111, v111, v115
	v_add_f32_e32 v111, v112, v111
	s_delay_alu instid0(VALU_DEP_1) | instskip(SKIP_3) | instid1(SALU_CYCLE_1)
	v_add_f32_e32 v111, v111, v113
	global_store_b32 v[44:45], v111, off
	s_or_b32 exec_lo, exec_lo, s15
	s_and_b32 s16, s2, s8
	s_and_saveexec_b32 s15, s16
	s_cbranch_execz .LBB100_79
.LBB100_92:
	v_cmp_ne_u32_e32 vcc_lo, 1, v100
	v_lshlrev_b64 v[44:45], 2, v[52:53]
	s_cbranch_vccnz .LBB100_94
; %bb.93:
	s_delay_alu instid0(VALU_DEP_1) | instskip(NEXT) | instid1(VALU_DEP_2)
	v_add_co_u32 v111, vcc_lo, v64, v44
	v_add_co_ci_u32_e32 v112, vcc_lo, v65, v45, vcc_lo
	flat_load_b32 v111, v[111:112]
	s_waitcnt vmcnt(0) lgkmcnt(0)
	v_mul_f32_e32 v111, s19, v111
	s_branch .LBB100_95
.LBB100_94:
	v_mov_b32_e32 v111, 0
.LBB100_95:
	v_dual_max_f32 v112, v41, v41 :: v_dual_max_f32 v115, v24, v24
	v_dual_max_f32 v113, v25, v25 :: v_dual_max_f32 v114, v40, v40
	;; [unrolled: 1-line block ×3, first 2 shown]
	v_add_co_u32 v44, vcc_lo, v46, v44
	s_delay_alu instid0(VALU_DEP_3) | instskip(SKIP_1) | instid1(VALU_DEP_2)
	v_dual_min_f32 v112, v113, v112 :: v_dual_max_f32 v113, v26, v26
	v_add_co_ci_u32_e32 v45, vcc_lo, v47, v45, vcc_lo
	v_add_f32_e32 v110, v110, v112
	s_delay_alu instid0(VALU_DEP_3) | instskip(SKIP_1) | instid1(VALU_DEP_1)
	v_min_f32_e32 v112, v113, v116
	v_min_f32_e32 v114, v115, v114
	v_dual_max_f32 v118, v43, v43 :: v_dual_add_f32 v109, v109, v114
	s_delay_alu instid0(VALU_DEP_1) | instskip(NEXT) | instid1(VALU_DEP_1)
	v_min_f32_e32 v113, v119, v118
	v_dual_add_f32 v109, v109, v112 :: v_dual_add_f32 v110, v110, v113
	s_delay_alu instid0(VALU_DEP_1) | instskip(NEXT) | instid1(VALU_DEP_1)
	v_add_f32_e32 v109, v109, v110
	v_add_f32_e32 v109, v109, v111
	global_store_b32 v[44:45], v109, off
	s_or_b32 exec_lo, exec_lo, s15
	s_and_b32 s16, s3, s8
	s_delay_alu instid0(SALU_CYCLE_1)
	s_and_saveexec_b32 s15, s16
	s_cbranch_execz .LBB100_80
.LBB100_96:
	v_cmp_ne_u32_e32 vcc_lo, 1, v100
	v_lshlrev_b64 v[44:45], 2, v[54:55]
	s_cbranch_vccnz .LBB100_98
; %bb.97:
	s_delay_alu instid0(VALU_DEP_1) | instskip(NEXT) | instid1(VALU_DEP_2)
	v_add_co_u32 v109, vcc_lo, v64, v44
	v_add_co_ci_u32_e32 v110, vcc_lo, v65, v45, vcc_lo
	flat_load_b32 v109, v[109:110]
	s_waitcnt vmcnt(0) lgkmcnt(0)
	v_mul_f32_e32 v109, s19, v109
	s_branch .LBB100_99
.LBB100_98:
	v_mov_b32_e32 v109, 0
.LBB100_99:
	v_dual_max_f32 v110, v41, v41 :: v_dual_max_f32 v113, v20, v20
	v_dual_max_f32 v111, v21, v21 :: v_dual_max_f32 v112, v40, v40
	;; [unrolled: 1-line block ×3, first 2 shown]
	v_max_f32_e32 v116, v23, v23
	s_delay_alu instid0(VALU_DEP_3) | instskip(NEXT) | instid1(VALU_DEP_4)
	v_min_f32_e32 v110, v111, v110
	v_dual_max_f32 v111, v22, v22 :: v_dual_min_f32 v112, v113, v112
	v_add_co_u32 v44, vcc_lo, v46, v44
	s_delay_alu instid0(VALU_DEP_3) | instskip(NEXT) | instid1(VALU_DEP_3)
	v_add_f32_e32 v107, v107, v110
	v_dual_min_f32 v110, v111, v114 :: v_dual_min_f32 v111, v116, v115
	s_delay_alu instid0(VALU_DEP_4) | instskip(SKIP_1) | instid1(VALU_DEP_2)
	v_add_f32_e32 v108, v108, v112
	v_add_co_ci_u32_e32 v45, vcc_lo, v47, v45, vcc_lo
	v_dual_add_f32 v107, v107, v111 :: v_dual_add_f32 v108, v108, v110
	s_delay_alu instid0(VALU_DEP_1) | instskip(NEXT) | instid1(VALU_DEP_1)
	v_add_f32_e32 v107, v108, v107
	v_add_f32_e32 v107, v107, v109
	global_store_b32 v[44:45], v107, off
	s_or_b32 exec_lo, exec_lo, s15
	s_and_b32 s16, s4, s8
	s_delay_alu instid0(SALU_CYCLE_1)
	s_and_saveexec_b32 s15, s16
	s_cbranch_execz .LBB100_81
.LBB100_100:
	v_cmp_ne_u32_e32 vcc_lo, 1, v100
	v_lshlrev_b64 v[44:45], 2, v[56:57]
	s_cbranch_vccnz .LBB100_102
; %bb.101:
	s_delay_alu instid0(VALU_DEP_1) | instskip(NEXT) | instid1(VALU_DEP_2)
	v_add_co_u32 v107, vcc_lo, v64, v44
	v_add_co_ci_u32_e32 v108, vcc_lo, v65, v45, vcc_lo
	flat_load_b32 v107, v[107:108]
	s_waitcnt vmcnt(0) lgkmcnt(0)
	v_mul_f32_e32 v107, s19, v107
	s_branch .LBB100_103
.LBB100_102:
	v_mov_b32_e32 v107, 0
.LBB100_103:
	v_dual_max_f32 v108, v41, v41 :: v_dual_max_f32 v111, v16, v16
	v_dual_max_f32 v109, v17, v17 :: v_dual_max_f32 v110, v40, v40
	;; [unrolled: 1-line block ×3, first 2 shown]
	v_add_co_u32 v44, vcc_lo, v46, v44
	s_delay_alu instid0(VALU_DEP_3) | instskip(SKIP_2) | instid1(VALU_DEP_3)
	v_dual_min_f32 v108, v109, v108 :: v_dual_max_f32 v109, v18, v18
	v_max_f32_e32 v114, v19, v19
	v_add_co_ci_u32_e32 v45, vcc_lo, v47, v45, vcc_lo
	v_dual_add_f32 v105, v105, v108 :: v_dual_min_f32 v110, v111, v110
	s_delay_alu instid0(VALU_DEP_3) | instskip(NEXT) | instid1(VALU_DEP_1)
	v_dual_min_f32 v108, v109, v112 :: v_dual_min_f32 v109, v114, v113
	v_dual_add_f32 v106, v106, v110 :: v_dual_add_f32 v105, v105, v109
	s_delay_alu instid0(VALU_DEP_1) | instskip(NEXT) | instid1(VALU_DEP_1)
	v_add_f32_e32 v106, v106, v108
	v_add_f32_e32 v105, v106, v105
	s_delay_alu instid0(VALU_DEP_1) | instskip(SKIP_3) | instid1(SALU_CYCLE_1)
	v_add_f32_e32 v105, v105, v107
	global_store_b32 v[44:45], v105, off
	s_or_b32 exec_lo, exec_lo, s15
	s_and_b32 s16, s5, s8
	s_and_saveexec_b32 s15, s16
	s_cbranch_execz .LBB100_82
.LBB100_104:
	v_cmp_ne_u32_e32 vcc_lo, 1, v100
	v_lshlrev_b64 v[44:45], 2, v[58:59]
	s_cbranch_vccnz .LBB100_106
; %bb.105:
	s_delay_alu instid0(VALU_DEP_1) | instskip(NEXT) | instid1(VALU_DEP_2)
	v_add_co_u32 v105, vcc_lo, v64, v44
	v_add_co_ci_u32_e32 v106, vcc_lo, v65, v45, vcc_lo
	flat_load_b32 v105, v[105:106]
	s_waitcnt vmcnt(0) lgkmcnt(0)
	v_mul_f32_e32 v105, s19, v105
	s_branch .LBB100_107
.LBB100_106:
	v_mov_b32_e32 v105, 0
.LBB100_107:
	v_dual_max_f32 v106, v41, v41 :: v_dual_max_f32 v109, v12, v12
	v_dual_max_f32 v107, v13, v13 :: v_dual_max_f32 v108, v40, v40
	;; [unrolled: 1-line block ×3, first 2 shown]
	v_max_f32_e32 v112, v15, v15
	s_delay_alu instid0(VALU_DEP_3) | instskip(NEXT) | instid1(VALU_DEP_4)
	v_min_f32_e32 v106, v107, v106
	v_dual_max_f32 v107, v14, v14 :: v_dual_min_f32 v108, v109, v108
	v_add_co_u32 v44, vcc_lo, v46, v44
	s_delay_alu instid0(VALU_DEP_3) | instskip(NEXT) | instid1(VALU_DEP_3)
	v_add_f32_e32 v104, v104, v106
	v_min_f32_e32 v106, v107, v110
	s_delay_alu instid0(VALU_DEP_4) | instskip(SKIP_2) | instid1(VALU_DEP_2)
	v_add_f32_e32 v103, v103, v108
	v_min_f32_e32 v107, v112, v111
	v_add_co_ci_u32_e32 v45, vcc_lo, v47, v45, vcc_lo
	v_dual_add_f32 v103, v103, v106 :: v_dual_add_f32 v104, v104, v107
	s_delay_alu instid0(VALU_DEP_1) | instskip(NEXT) | instid1(VALU_DEP_1)
	v_add_f32_e32 v103, v103, v104
	v_add_f32_e32 v103, v103, v105
	global_store_b32 v[44:45], v103, off
	s_or_b32 exec_lo, exec_lo, s15
	s_and_b32 s16, s6, s8
	s_delay_alu instid0(SALU_CYCLE_1)
	s_and_saveexec_b32 s15, s16
	s_cbranch_execz .LBB100_83
.LBB100_108:
	v_cmp_ne_u32_e32 vcc_lo, 1, v100
	v_lshlrev_b64 v[44:45], 2, v[60:61]
	s_cbranch_vccnz .LBB100_110
; %bb.109:
	s_delay_alu instid0(VALU_DEP_1) | instskip(NEXT) | instid1(VALU_DEP_2)
	v_add_co_u32 v103, vcc_lo, v64, v44
	v_add_co_ci_u32_e32 v104, vcc_lo, v65, v45, vcc_lo
	flat_load_b32 v103, v[103:104]
	s_waitcnt vmcnt(0) lgkmcnt(0)
	v_mul_f32_e32 v103, s19, v103
	s_branch .LBB100_111
.LBB100_110:
	v_mov_b32_e32 v103, 0
.LBB100_111:
	v_dual_max_f32 v104, v41, v41 :: v_dual_max_f32 v107, v8, v8
	v_dual_max_f32 v105, v9, v9 :: v_dual_max_f32 v106, v40, v40
	;; [unrolled: 1-line block ×3, first 2 shown]
	v_add_co_u32 v44, vcc_lo, v46, v44
	s_delay_alu instid0(VALU_DEP_3) | instskip(SKIP_2) | instid1(VALU_DEP_3)
	v_dual_min_f32 v104, v105, v104 :: v_dual_max_f32 v105, v10, v10
	v_max_f32_e32 v110, v11, v11
	v_add_co_ci_u32_e32 v45, vcc_lo, v47, v45, vcc_lo
	v_dual_add_f32 v101, v101, v104 :: v_dual_min_f32 v106, v107, v106
	s_delay_alu instid0(VALU_DEP_3) | instskip(NEXT) | instid1(VALU_DEP_1)
	v_dual_min_f32 v104, v105, v108 :: v_dual_min_f32 v105, v110, v109
	v_dual_add_f32 v102, v102, v106 :: v_dual_add_f32 v101, v101, v105
	s_delay_alu instid0(VALU_DEP_1) | instskip(NEXT) | instid1(VALU_DEP_1)
	v_add_f32_e32 v102, v102, v104
	v_add_f32_e32 v101, v102, v101
	s_delay_alu instid0(VALU_DEP_1) | instskip(SKIP_3) | instid1(SALU_CYCLE_1)
	v_add_f32_e32 v101, v101, v103
	global_store_b32 v[44:45], v101, off
	s_or_b32 exec_lo, exec_lo, s15
	s_and_b32 s15, s7, s8
	s_and_saveexec_b32 s8, s15
	s_cbranch_execz .LBB100_116
.LBB100_112:
	v_cmp_ne_u32_e32 vcc_lo, 1, v100
	v_lshlrev_b64 v[44:45], 2, v[62:63]
	s_cbranch_vccnz .LBB100_114
; %bb.113:
	s_delay_alu instid0(VALU_DEP_1) | instskip(NEXT) | instid1(VALU_DEP_2)
	v_add_co_u32 v64, vcc_lo, v64, v44
	v_add_co_ci_u32_e32 v65, vcc_lo, v65, v45, vcc_lo
	flat_load_b32 v64, v[64:65]
	s_waitcnt vmcnt(0) lgkmcnt(0)
	v_mul_f32_e32 v64, s19, v64
	s_branch .LBB100_115
.LBB100_114:
	v_mov_b32_e32 v64, 0
.LBB100_115:
	v_dual_max_f32 v41, v41, v41 :: v_dual_max_f32 v40, v40, v40
	v_dual_max_f32 v65, v1, v1 :: v_dual_max_f32 v42, v42, v42
	;; [unrolled: 1-line block ×3, first 2 shown]
	s_delay_alu instid0(VALU_DEP_1) | instskip(NEXT) | instid1(VALU_DEP_1)
	v_dual_max_f32 v43, v43, v43 :: v_dual_min_f32 v40, v101, v40
	v_dual_min_f32 v41, v65, v41 :: v_dual_add_f32 v40, v98, v40
	s_delay_alu instid0(VALU_DEP_1) | instskip(NEXT) | instid1(VALU_DEP_3)
	v_add_f32_e32 v41, v99, v41
	v_min_f32_e32 v43, v102, v43
	s_delay_alu instid0(VALU_DEP_1) | instskip(SKIP_1) | instid1(VALU_DEP_1)
	v_add_f32_e32 v41, v41, v43
	v_max_f32_e32 v65, v2, v2
	v_min_f32_e32 v42, v65, v42
	s_delay_alu instid0(VALU_DEP_1) | instskip(NEXT) | instid1(VALU_DEP_1)
	v_add_f32_e32 v40, v40, v42
	v_add_f32_e32 v40, v40, v41
	s_delay_alu instid0(VALU_DEP_1)
	v_add_f32_e32 v42, v40, v64
	v_add_co_u32 v40, vcc_lo, v46, v44
	v_add_co_ci_u32_e32 v41, vcc_lo, v47, v45, vcc_lo
	global_store_b32 v[40:41], v42, off
.LBB100_116:
	s_or_b32 exec_lo, exec_lo, s8
	v_add_nc_u32_e32 v44, 64, v117
	s_delay_alu instid0(VALU_DEP_1) | instskip(SKIP_2) | instid1(VALU_DEP_3)
	v_mad_i64_i32 v[40:41], null, v44, s12, 0
	v_mad_i64_i32 v[42:43], null, v44, s9, 0
	v_cmp_gt_i32_e64 s8, s17, v44
	v_lshlrev_b64 v[40:41], 2, v[40:41]
	s_delay_alu instid0(VALU_DEP_2) | instskip(NEXT) | instid1(VALU_DEP_3)
	s_and_b32 s16, s0, s8
	v_lshlrev_b64 v[42:43], 2, v[42:43]
	s_delay_alu instid0(VALU_DEP_2) | instskip(NEXT) | instid1(VALU_DEP_3)
	v_add_co_u32 v44, vcc_lo, s10, v40
	v_add_co_ci_u32_e32 v45, vcc_lo, s11, v41, vcc_lo
	s_delay_alu instid0(VALU_DEP_3) | instskip(NEXT) | instid1(VALU_DEP_4)
	v_add_co_u32 v42, vcc_lo, s13, v42
	v_add_co_ci_u32_e32 v43, vcc_lo, s14, v43, vcc_lo
	s_and_saveexec_b32 s15, s16
	s_cbranch_execnz .LBB100_124
; %bb.117:
	s_or_b32 exec_lo, exec_lo, s15
	s_and_b32 s16, s1, s8
	s_delay_alu instid0(SALU_CYCLE_1)
	s_and_saveexec_b32 s15, s16
	s_cbranch_execnz .LBB100_128
.LBB100_118:
	s_or_b32 exec_lo, exec_lo, s15
	s_and_b32 s16, s2, s8
	s_delay_alu instid0(SALU_CYCLE_1)
	s_and_saveexec_b32 s15, s16
	s_cbranch_execnz .LBB100_132
.LBB100_119:
	s_or_b32 exec_lo, exec_lo, s15
	s_and_b32 s16, s3, s8
	s_delay_alu instid0(SALU_CYCLE_1)
	s_and_saveexec_b32 s15, s16
	s_cbranch_execnz .LBB100_136
.LBB100_120:
	s_or_b32 exec_lo, exec_lo, s15
	s_and_b32 s16, s4, s8
	s_delay_alu instid0(SALU_CYCLE_1)
	s_and_saveexec_b32 s15, s16
	s_cbranch_execnz .LBB100_140
.LBB100_121:
	s_or_b32 exec_lo, exec_lo, s15
	s_and_b32 s16, s5, s8
	s_delay_alu instid0(SALU_CYCLE_1)
	s_and_saveexec_b32 s15, s16
	s_cbranch_execnz .LBB100_144
.LBB100_122:
	s_or_b32 exec_lo, exec_lo, s15
	s_and_b32 s16, s6, s8
	s_delay_alu instid0(SALU_CYCLE_1)
	s_and_saveexec_b32 s15, s16
	s_cbranch_execnz .LBB100_148
.LBB100_123:
	s_or_b32 exec_lo, exec_lo, s15
	s_and_b32 s15, s7, s8
	s_delay_alu instid0(SALU_CYCLE_1)
	s_and_saveexec_b32 s8, s15
	s_cbranch_execnz .LBB100_152
	s_branch .LBB100_156
.LBB100_124:
	v_cmp_ne_u32_e32 vcc_lo, 1, v100
	v_lshlrev_b64 v[40:41], 2, v[48:49]
	s_cbranch_vccnz .LBB100_126
; %bb.125:
	s_delay_alu instid0(VALU_DEP_1) | instskip(NEXT) | instid1(VALU_DEP_2)
	v_add_co_u32 v46, vcc_lo, v44, v40
	v_add_co_ci_u32_e32 v47, vcc_lo, v45, v41, vcc_lo
	flat_load_b32 v46, v[46:47]
	s_waitcnt vmcnt(0) lgkmcnt(0)
	v_mul_f32_e32 v46, s19, v46
	s_branch .LBB100_127
.LBB100_126:
	v_mov_b32_e32 v46, 0
.LBB100_127:
	v_dual_max_f32 v47, v37, v37 :: v_dual_max_f32 v98, v32, v32
	v_dual_max_f32 v64, v33, v33 :: v_dual_max_f32 v65, v36, v36
	;; [unrolled: 1-line block ×3, first 2 shown]
	v_add_co_u32 v40, vcc_lo, v42, v40
	s_delay_alu instid0(VALU_DEP_3) | instskip(NEXT) | instid1(VALU_DEP_4)
	v_dual_min_f32 v47, v64, v47 :: v_dual_max_f32 v64, v34, v34
	v_min_f32_e32 v65, v98, v65
	v_add_co_ci_u32_e32 v41, vcc_lo, v43, v41, vcc_lo
	s_delay_alu instid0(VALU_DEP_3) | instskip(NEXT) | instid1(VALU_DEP_4)
	v_add_f32_e32 v47, v97, v47
	v_min_f32_e32 v64, v64, v99
	s_delay_alu instid0(VALU_DEP_4) | instskip(NEXT) | instid1(VALU_DEP_1)
	v_add_f32_e32 v65, v96, v65
	v_dual_max_f32 v101, v39, v39 :: v_dual_add_f32 v64, v65, v64
	s_delay_alu instid0(VALU_DEP_1) | instskip(NEXT) | instid1(VALU_DEP_1)
	v_min_f32_e32 v97, v102, v101
	v_add_f32_e32 v47, v47, v97
	s_delay_alu instid0(VALU_DEP_1) | instskip(NEXT) | instid1(VALU_DEP_1)
	v_add_f32_e32 v47, v64, v47
	v_add_f32_e32 v46, v47, v46
	global_store_b32 v[40:41], v46, off
	s_or_b32 exec_lo, exec_lo, s15
	s_and_b32 s16, s1, s8
	s_delay_alu instid0(SALU_CYCLE_1)
	s_and_saveexec_b32 s15, s16
	s_cbranch_execz .LBB100_118
.LBB100_128:
	v_cmp_ne_u32_e32 vcc_lo, 1, v100
	v_lshlrev_b64 v[40:41], 2, v[50:51]
	s_cbranch_vccnz .LBB100_130
; %bb.129:
	s_delay_alu instid0(VALU_DEP_1) | instskip(NEXT) | instid1(VALU_DEP_2)
	v_add_co_u32 v46, vcc_lo, v44, v40
	v_add_co_ci_u32_e32 v47, vcc_lo, v45, v41, vcc_lo
	flat_load_b32 v46, v[46:47]
	s_waitcnt vmcnt(0) lgkmcnt(0)
	v_mul_f32_e32 v46, s19, v46
	s_branch .LBB100_131
.LBB100_130:
	v_mov_b32_e32 v46, 0
.LBB100_131:
	v_dual_max_f32 v47, v37, v37 :: v_dual_max_f32 v96, v28, v28
	v_dual_max_f32 v64, v29, v29 :: v_dual_max_f32 v65, v36, v36
	;; [unrolled: 1-line block ×3, first 2 shown]
	v_add_co_u32 v40, vcc_lo, v42, v40
	s_delay_alu instid0(VALU_DEP_3) | instskip(SKIP_2) | instid1(VALU_DEP_3)
	v_dual_min_f32 v47, v64, v47 :: v_dual_max_f32 v64, v30, v30
	v_max_f32_e32 v99, v31, v31
	v_add_co_ci_u32_e32 v41, vcc_lo, v43, v41, vcc_lo
	v_min_f32_e32 v64, v64, v97
	v_min_f32_e32 v65, v96, v65
	s_delay_alu instid0(VALU_DEP_4) | instskip(NEXT) | instid1(VALU_DEP_2)
	v_dual_add_f32 v47, v94, v47 :: v_dual_min_f32 v94, v99, v98
	v_add_f32_e32 v65, v95, v65
	s_delay_alu instid0(VALU_DEP_1) | instskip(NEXT) | instid1(VALU_DEP_1)
	v_dual_add_f32 v64, v65, v64 :: v_dual_add_f32 v47, v47, v94
	v_add_f32_e32 v47, v64, v47
	s_delay_alu instid0(VALU_DEP_1) | instskip(SKIP_3) | instid1(SALU_CYCLE_1)
	v_add_f32_e32 v46, v47, v46
	global_store_b32 v[40:41], v46, off
	s_or_b32 exec_lo, exec_lo, s15
	s_and_b32 s16, s2, s8
	s_and_saveexec_b32 s15, s16
	s_cbranch_execz .LBB100_119
.LBB100_132:
	v_cmp_ne_u32_e32 vcc_lo, 1, v100
	v_lshlrev_b64 v[40:41], 2, v[52:53]
	s_cbranch_vccnz .LBB100_134
; %bb.133:
	s_delay_alu instid0(VALU_DEP_1) | instskip(NEXT) | instid1(VALU_DEP_2)
	v_add_co_u32 v46, vcc_lo, v44, v40
	v_add_co_ci_u32_e32 v47, vcc_lo, v45, v41, vcc_lo
	flat_load_b32 v46, v[46:47]
	s_waitcnt vmcnt(0) lgkmcnt(0)
	v_mul_f32_e32 v46, s19, v46
	s_branch .LBB100_135
.LBB100_134:
	v_mov_b32_e32 v46, 0
.LBB100_135:
	v_dual_max_f32 v47, v37, v37 :: v_dual_max_f32 v94, v24, v24
	v_dual_max_f32 v64, v25, v25 :: v_dual_max_f32 v65, v36, v36
	;; [unrolled: 1-line block ×3, first 2 shown]
	v_add_co_u32 v40, vcc_lo, v42, v40
	s_delay_alu instid0(VALU_DEP_3) | instskip(NEXT) | instid1(VALU_DEP_4)
	v_dual_min_f32 v47, v64, v47 :: v_dual_max_f32 v64, v26, v26
	v_min_f32_e32 v65, v94, v65
	v_add_co_ci_u32_e32 v41, vcc_lo, v43, v41, vcc_lo
	s_delay_alu instid0(VALU_DEP_2) | instskip(NEXT) | instid1(VALU_DEP_1)
	v_dual_min_f32 v64, v64, v95 :: v_dual_add_f32 v65, v93, v65
	v_dual_max_f32 v97, v27, v27 :: v_dual_add_f32 v64, v65, v64
	s_delay_alu instid0(VALU_DEP_1) | instskip(NEXT) | instid1(VALU_DEP_1)
	v_dual_add_f32 v47, v92, v47 :: v_dual_min_f32 v92, v97, v96
	v_add_f32_e32 v47, v47, v92
	s_delay_alu instid0(VALU_DEP_1) | instskip(NEXT) | instid1(VALU_DEP_1)
	v_add_f32_e32 v47, v64, v47
	v_add_f32_e32 v46, v47, v46
	global_store_b32 v[40:41], v46, off
	s_or_b32 exec_lo, exec_lo, s15
	s_and_b32 s16, s3, s8
	s_delay_alu instid0(SALU_CYCLE_1)
	s_and_saveexec_b32 s15, s16
	s_cbranch_execz .LBB100_120
.LBB100_136:
	v_cmp_ne_u32_e32 vcc_lo, 1, v100
	v_lshlrev_b64 v[40:41], 2, v[54:55]
	s_cbranch_vccnz .LBB100_138
; %bb.137:
	s_delay_alu instid0(VALU_DEP_1) | instskip(NEXT) | instid1(VALU_DEP_2)
	v_add_co_u32 v46, vcc_lo, v44, v40
	v_add_co_ci_u32_e32 v47, vcc_lo, v45, v41, vcc_lo
	flat_load_b32 v46, v[46:47]
	s_waitcnt vmcnt(0) lgkmcnt(0)
	v_mul_f32_e32 v46, s19, v46
	s_branch .LBB100_139
.LBB100_138:
	v_mov_b32_e32 v46, 0
.LBB100_139:
	v_dual_max_f32 v47, v37, v37 :: v_dual_max_f32 v92, v20, v20
	v_dual_max_f32 v64, v21, v21 :: v_dual_max_f32 v65, v36, v36
	;; [unrolled: 1-line block ×3, first 2 shown]
	v_add_co_u32 v40, vcc_lo, v42, v40
	s_delay_alu instid0(VALU_DEP_3) | instskip(SKIP_2) | instid1(VALU_DEP_3)
	v_dual_min_f32 v47, v64, v47 :: v_dual_max_f32 v64, v22, v22
	v_max_f32_e32 v95, v23, v23
	v_add_co_ci_u32_e32 v41, vcc_lo, v43, v41, vcc_lo
	v_min_f32_e32 v64, v64, v93
	v_min_f32_e32 v65, v92, v65
	s_delay_alu instid0(VALU_DEP_4) | instskip(NEXT) | instid1(VALU_DEP_2)
	v_dual_add_f32 v47, v90, v47 :: v_dual_min_f32 v90, v95, v94
	v_add_f32_e32 v65, v91, v65
	s_delay_alu instid0(VALU_DEP_1) | instskip(NEXT) | instid1(VALU_DEP_1)
	v_dual_add_f32 v64, v65, v64 :: v_dual_add_f32 v47, v47, v90
	v_add_f32_e32 v47, v64, v47
	s_delay_alu instid0(VALU_DEP_1) | instskip(SKIP_3) | instid1(SALU_CYCLE_1)
	v_add_f32_e32 v46, v47, v46
	global_store_b32 v[40:41], v46, off
	s_or_b32 exec_lo, exec_lo, s15
	s_and_b32 s16, s4, s8
	s_and_saveexec_b32 s15, s16
	s_cbranch_execz .LBB100_121
.LBB100_140:
	v_cmp_ne_u32_e32 vcc_lo, 1, v100
	v_lshlrev_b64 v[40:41], 2, v[56:57]
	s_cbranch_vccnz .LBB100_142
; %bb.141:
	s_delay_alu instid0(VALU_DEP_1) | instskip(NEXT) | instid1(VALU_DEP_2)
	v_add_co_u32 v46, vcc_lo, v44, v40
	v_add_co_ci_u32_e32 v47, vcc_lo, v45, v41, vcc_lo
	flat_load_b32 v46, v[46:47]
	s_waitcnt vmcnt(0) lgkmcnt(0)
	v_mul_f32_e32 v46, s19, v46
	s_branch .LBB100_143
.LBB100_142:
	v_mov_b32_e32 v46, 0
.LBB100_143:
	v_dual_max_f32 v47, v37, v37 :: v_dual_max_f32 v90, v16, v16
	v_dual_max_f32 v64, v17, v17 :: v_dual_max_f32 v65, v36, v36
	;; [unrolled: 1-line block ×3, first 2 shown]
	v_add_co_u32 v40, vcc_lo, v42, v40
	s_delay_alu instid0(VALU_DEP_3) | instskip(NEXT) | instid1(VALU_DEP_4)
	v_dual_min_f32 v47, v64, v47 :: v_dual_max_f32 v64, v18, v18
	v_min_f32_e32 v65, v90, v65
	v_add_co_ci_u32_e32 v41, vcc_lo, v43, v41, vcc_lo
	s_delay_alu instid0(VALU_DEP_3) | instskip(NEXT) | instid1(VALU_DEP_4)
	v_add_f32_e32 v47, v89, v47
	v_min_f32_e32 v64, v64, v91
	s_delay_alu instid0(VALU_DEP_4) | instskip(NEXT) | instid1(VALU_DEP_1)
	v_add_f32_e32 v65, v88, v65
	v_dual_max_f32 v93, v19, v19 :: v_dual_add_f32 v64, v65, v64
	s_delay_alu instid0(VALU_DEP_1) | instskip(NEXT) | instid1(VALU_DEP_1)
	v_min_f32_e32 v89, v93, v92
	v_add_f32_e32 v47, v47, v89
	s_delay_alu instid0(VALU_DEP_1) | instskip(NEXT) | instid1(VALU_DEP_1)
	v_add_f32_e32 v47, v64, v47
	v_add_f32_e32 v46, v47, v46
	global_store_b32 v[40:41], v46, off
	s_or_b32 exec_lo, exec_lo, s15
	s_and_b32 s16, s5, s8
	s_delay_alu instid0(SALU_CYCLE_1)
	s_and_saveexec_b32 s15, s16
	s_cbranch_execz .LBB100_122
.LBB100_144:
	v_cmp_ne_u32_e32 vcc_lo, 1, v100
	v_lshlrev_b64 v[40:41], 2, v[58:59]
	s_cbranch_vccnz .LBB100_146
; %bb.145:
	s_delay_alu instid0(VALU_DEP_1) | instskip(NEXT) | instid1(VALU_DEP_2)
	v_add_co_u32 v46, vcc_lo, v44, v40
	v_add_co_ci_u32_e32 v47, vcc_lo, v45, v41, vcc_lo
	flat_load_b32 v46, v[46:47]
	s_waitcnt vmcnt(0) lgkmcnt(0)
	v_mul_f32_e32 v46, s19, v46
	s_branch .LBB100_147
.LBB100_146:
	v_mov_b32_e32 v46, 0
.LBB100_147:
	v_dual_max_f32 v47, v37, v37 :: v_dual_max_f32 v88, v12, v12
	v_dual_max_f32 v64, v13, v13 :: v_dual_max_f32 v65, v36, v36
	;; [unrolled: 1-line block ×3, first 2 shown]
	v_add_co_u32 v40, vcc_lo, v42, v40
	s_delay_alu instid0(VALU_DEP_3) | instskip(SKIP_3) | instid1(VALU_DEP_4)
	v_dual_min_f32 v47, v64, v47 :: v_dual_max_f32 v64, v14, v14
	v_max_f32_e32 v91, v15, v15
	v_min_f32_e32 v65, v88, v65
	v_add_co_ci_u32_e32 v41, vcc_lo, v43, v41, vcc_lo
	v_min_f32_e32 v64, v64, v89
	s_delay_alu instid0(VALU_DEP_3) | instskip(SKIP_1) | instid1(VALU_DEP_2)
	v_add_f32_e32 v65, v86, v65
	v_add_f32_e32 v47, v87, v47
	v_dual_min_f32 v87, v91, v90 :: v_dual_add_f32 v64, v65, v64
	s_delay_alu instid0(VALU_DEP_1) | instskip(NEXT) | instid1(VALU_DEP_1)
	v_add_f32_e32 v47, v47, v87
	v_add_f32_e32 v47, v64, v47
	s_delay_alu instid0(VALU_DEP_1) | instskip(SKIP_3) | instid1(SALU_CYCLE_1)
	v_add_f32_e32 v46, v47, v46
	global_store_b32 v[40:41], v46, off
	s_or_b32 exec_lo, exec_lo, s15
	s_and_b32 s16, s6, s8
	s_and_saveexec_b32 s15, s16
	s_cbranch_execz .LBB100_123
.LBB100_148:
	v_cmp_ne_u32_e32 vcc_lo, 1, v100
	v_lshlrev_b64 v[40:41], 2, v[60:61]
	s_cbranch_vccnz .LBB100_150
; %bb.149:
	s_delay_alu instid0(VALU_DEP_1) | instskip(NEXT) | instid1(VALU_DEP_2)
	v_add_co_u32 v46, vcc_lo, v44, v40
	v_add_co_ci_u32_e32 v47, vcc_lo, v45, v41, vcc_lo
	flat_load_b32 v46, v[46:47]
	s_waitcnt vmcnt(0) lgkmcnt(0)
	v_mul_f32_e32 v46, s19, v46
	s_branch .LBB100_151
.LBB100_150:
	v_mov_b32_e32 v46, 0
.LBB100_151:
	v_dual_max_f32 v47, v37, v37 :: v_dual_max_f32 v86, v8, v8
	v_dual_max_f32 v64, v9, v9 :: v_dual_max_f32 v65, v36, v36
	v_dual_max_f32 v87, v38, v38 :: v_dual_max_f32 v88, v39, v39
	v_add_co_u32 v40, vcc_lo, v42, v40
	s_delay_alu instid0(VALU_DEP_3) | instskip(NEXT) | instid1(VALU_DEP_4)
	v_dual_min_f32 v47, v64, v47 :: v_dual_max_f32 v64, v10, v10
	v_min_f32_e32 v65, v86, v65
	v_add_co_ci_u32_e32 v41, vcc_lo, v43, v41, vcc_lo
	s_delay_alu instid0(VALU_DEP_2) | instskip(NEXT) | instid1(VALU_DEP_1)
	v_dual_min_f32 v64, v64, v87 :: v_dual_add_f32 v65, v85, v65
	v_dual_max_f32 v89, v11, v11 :: v_dual_add_f32 v64, v65, v64
	s_delay_alu instid0(VALU_DEP_1) | instskip(NEXT) | instid1(VALU_DEP_1)
	v_dual_add_f32 v47, v84, v47 :: v_dual_min_f32 v84, v89, v88
	v_add_f32_e32 v47, v47, v84
	s_delay_alu instid0(VALU_DEP_1) | instskip(NEXT) | instid1(VALU_DEP_1)
	v_add_f32_e32 v47, v64, v47
	v_add_f32_e32 v46, v47, v46
	global_store_b32 v[40:41], v46, off
	s_or_b32 exec_lo, exec_lo, s15
	s_and_b32 s15, s7, s8
	s_delay_alu instid0(SALU_CYCLE_1)
	s_and_saveexec_b32 s8, s15
	s_cbranch_execz .LBB100_156
.LBB100_152:
	v_cmp_ne_u32_e32 vcc_lo, 1, v100
	v_lshlrev_b64 v[40:41], 2, v[62:63]
	s_cbranch_vccnz .LBB100_154
; %bb.153:
	s_delay_alu instid0(VALU_DEP_1) | instskip(NEXT) | instid1(VALU_DEP_2)
	v_add_co_u32 v44, vcc_lo, v44, v40
	v_add_co_ci_u32_e32 v45, vcc_lo, v45, v41, vcc_lo
	flat_load_b32 v44, v[44:45]
	s_waitcnt vmcnt(0) lgkmcnt(0)
	v_mul_f32_e32 v44, s19, v44
	s_branch .LBB100_155
.LBB100_154:
	v_mov_b32_e32 v44, 0
.LBB100_155:
	v_dual_max_f32 v37, v37, v37 :: v_dual_max_f32 v36, v36, v36
	v_dual_max_f32 v45, v1, v1 :: v_dual_max_f32 v46, v0, v0
	;; [unrolled: 1-line block ×3, first 2 shown]
	s_delay_alu instid0(VALU_DEP_2) | instskip(SKIP_1) | instid1(VALU_DEP_2)
	v_dual_min_f32 v37, v45, v37 :: v_dual_min_f32 v36, v46, v36
	v_max_f32_e32 v47, v3, v3
	v_dual_add_f32 v37, v83, v37 :: v_dual_add_f32 v36, v82, v36
	s_delay_alu instid0(VALU_DEP_2) | instskip(NEXT) | instid1(VALU_DEP_1)
	v_min_f32_e32 v39, v47, v39
	v_add_f32_e32 v37, v37, v39
	v_max_f32_e32 v45, v2, v2
	s_delay_alu instid0(VALU_DEP_1) | instskip(NEXT) | instid1(VALU_DEP_1)
	v_min_f32_e32 v38, v45, v38
	v_add_f32_e32 v36, v36, v38
	s_delay_alu instid0(VALU_DEP_1) | instskip(NEXT) | instid1(VALU_DEP_1)
	v_add_f32_e32 v36, v36, v37
	v_add_f32_e32 v38, v36, v44
	v_add_co_u32 v36, vcc_lo, v42, v40
	v_add_co_ci_u32_e32 v37, vcc_lo, v43, v41, vcc_lo
	global_store_b32 v[36:37], v38, off
.LBB100_156:
	s_or_b32 exec_lo, exec_lo, s8
	v_add_nc_u32_e32 v40, 0x60, v117
	s_delay_alu instid0(VALU_DEP_1) | instskip(SKIP_2) | instid1(VALU_DEP_3)
	v_mad_i64_i32 v[36:37], null, v40, s12, 0
	v_mad_i64_i32 v[38:39], null, v40, s9, 0
	v_cmp_gt_i32_e64 s8, s17, v40
	v_lshlrev_b64 v[36:37], 2, v[36:37]
	s_delay_alu instid0(VALU_DEP_2) | instskip(NEXT) | instid1(VALU_DEP_3)
	s_and_b32 s9, s0, s8
	v_lshlrev_b64 v[38:39], 2, v[38:39]
	s_delay_alu instid0(VALU_DEP_2) | instskip(NEXT) | instid1(VALU_DEP_3)
	v_add_co_u32 v40, vcc_lo, s10, v36
	v_add_co_ci_u32_e32 v41, vcc_lo, s11, v37, vcc_lo
	s_delay_alu instid0(VALU_DEP_3) | instskip(NEXT) | instid1(VALU_DEP_4)
	v_add_co_u32 v38, vcc_lo, s13, v38
	v_add_co_ci_u32_e32 v39, vcc_lo, s14, v39, vcc_lo
	s_and_saveexec_b32 s0, s9
	s_cbranch_execnz .LBB100_165
; %bb.157:
	s_or_b32 exec_lo, exec_lo, s0
	s_and_b32 s1, s1, s8
	s_delay_alu instid0(SALU_CYCLE_1)
	s_and_saveexec_b32 s0, s1
	s_cbranch_execnz .LBB100_169
.LBB100_158:
	s_or_b32 exec_lo, exec_lo, s0
	s_and_b32 s1, s2, s8
	s_delay_alu instid0(SALU_CYCLE_1)
	s_and_saveexec_b32 s0, s1
	s_cbranch_execnz .LBB100_173
.LBB100_159:
	s_or_b32 exec_lo, exec_lo, s0
	s_and_b32 s1, s3, s8
	s_delay_alu instid0(SALU_CYCLE_1)
	s_and_saveexec_b32 s0, s1
	s_cbranch_execnz .LBB100_177
.LBB100_160:
	s_or_b32 exec_lo, exec_lo, s0
	s_and_b32 s1, s4, s8
	s_delay_alu instid0(SALU_CYCLE_1)
	s_and_saveexec_b32 s0, s1
	s_cbranch_execnz .LBB100_181
.LBB100_161:
	s_or_b32 exec_lo, exec_lo, s0
	s_and_b32 s1, s5, s8
	s_delay_alu instid0(SALU_CYCLE_1)
	s_and_saveexec_b32 s0, s1
	s_cbranch_execnz .LBB100_185
.LBB100_162:
	s_or_b32 exec_lo, exec_lo, s0
	s_and_b32 s1, s6, s8
	s_delay_alu instid0(SALU_CYCLE_1)
	s_and_saveexec_b32 s0, s1
	s_cbranch_execnz .LBB100_189
.LBB100_163:
	s_or_b32 exec_lo, exec_lo, s0
	s_and_b32 s0, s7, s8
	s_delay_alu instid0(SALU_CYCLE_1)
	s_and_saveexec_b32 s1, s0
	s_cbranch_execnz .LBB100_193
.LBB100_164:
	s_nop 0
	s_sendmsg sendmsg(MSG_DEALLOC_VGPRS)
	s_endpgm
.LBB100_165:
	v_cmp_ne_u32_e32 vcc_lo, 1, v100
	v_lshlrev_b64 v[36:37], 2, v[48:49]
	s_cbranch_vccnz .LBB100_167
; %bb.166:
	s_delay_alu instid0(VALU_DEP_1) | instskip(NEXT) | instid1(VALU_DEP_2)
	v_add_co_u32 v42, vcc_lo, v40, v36
	v_add_co_ci_u32_e32 v43, vcc_lo, v41, v37, vcc_lo
	flat_load_b32 v42, v[42:43]
	s_waitcnt vmcnt(0) lgkmcnt(0)
	v_mul_f32_e32 v42, s19, v42
	s_branch .LBB100_168
.LBB100_167:
	v_mov_b32_e32 v42, 0
.LBB100_168:
	v_dual_max_f32 v43, v5, v5 :: v_dual_max_f32 v44, v4, v4
	v_dual_max_f32 v33, v33, v33 :: v_dual_max_f32 v32, v32, v32
	v_max_f32_e32 v45, v6, v6
	s_delay_alu instid0(VALU_DEP_2) | instskip(NEXT) | instid1(VALU_DEP_3)
	v_dual_max_f32 v34, v34, v34 :: v_dual_min_f32 v33, v33, v43
	v_dual_min_f32 v32, v32, v44 :: v_dual_max_f32 v43, v7, v7
	s_delay_alu instid0(VALU_DEP_2) | instskip(NEXT) | instid1(VALU_DEP_2)
	v_dual_min_f32 v34, v34, v45 :: v_dual_max_f32 v35, v35, v35
	v_dual_add_f32 v33, v80, v33 :: v_dual_add_f32 v32, v81, v32
	s_delay_alu instid0(VALU_DEP_1) | instskip(NEXT) | instid1(VALU_DEP_1)
	v_dual_min_f32 v35, v35, v43 :: v_dual_add_f32 v32, v32, v34
	v_add_f32_e32 v33, v33, v35
	s_delay_alu instid0(VALU_DEP_1) | instskip(NEXT) | instid1(VALU_DEP_1)
	v_add_f32_e32 v32, v32, v33
	v_add_f32_e32 v34, v32, v42
	v_add_co_u32 v32, vcc_lo, v38, v36
	v_add_co_ci_u32_e32 v33, vcc_lo, v39, v37, vcc_lo
	global_store_b32 v[32:33], v34, off
	s_or_b32 exec_lo, exec_lo, s0
	s_and_b32 s1, s1, s8
	s_delay_alu instid0(SALU_CYCLE_1)
	s_and_saveexec_b32 s0, s1
	s_cbranch_execz .LBB100_158
.LBB100_169:
	v_cmp_ne_u32_e32 vcc_lo, 1, v100
	v_lshlrev_b64 v[32:33], 2, v[50:51]
	s_cbranch_vccnz .LBB100_171
; %bb.170:
	s_delay_alu instid0(VALU_DEP_1) | instskip(NEXT) | instid1(VALU_DEP_2)
	v_add_co_u32 v34, vcc_lo, v40, v32
	v_add_co_ci_u32_e32 v35, vcc_lo, v41, v33, vcc_lo
	flat_load_b32 v34, v[34:35]
	s_waitcnt vmcnt(0) lgkmcnt(0)
	v_mul_f32_e32 v34, s19, v34
	s_branch .LBB100_172
.LBB100_171:
	v_mov_b32_e32 v34, 0
.LBB100_172:
	v_dual_max_f32 v35, v5, v5 :: v_dual_max_f32 v36, v4, v4
	v_dual_max_f32 v29, v29, v29 :: v_dual_max_f32 v28, v28, v28
	v_max_f32_e32 v37, v6, v6
	s_delay_alu instid0(VALU_DEP_2) | instskip(NEXT) | instid1(VALU_DEP_3)
	v_dual_max_f32 v30, v30, v30 :: v_dual_min_f32 v29, v29, v35
	v_dual_min_f32 v28, v28, v36 :: v_dual_max_f32 v35, v7, v7
	s_delay_alu instid0(VALU_DEP_2) | instskip(NEXT) | instid1(VALU_DEP_2)
	v_dual_min_f32 v30, v30, v37 :: v_dual_max_f32 v31, v31, v31
	v_dual_add_f32 v28, v78, v28 :: v_dual_add_f32 v29, v79, v29
	s_delay_alu instid0(VALU_DEP_1) | instskip(NEXT) | instid1(VALU_DEP_1)
	v_dual_add_f32 v28, v28, v30 :: v_dual_min_f32 v31, v31, v35
	v_add_f32_e32 v29, v29, v31
	s_delay_alu instid0(VALU_DEP_1) | instskip(NEXT) | instid1(VALU_DEP_1)
	v_add_f32_e32 v28, v28, v29
	v_add_f32_e32 v30, v28, v34
	v_add_co_u32 v28, vcc_lo, v38, v32
	v_add_co_ci_u32_e32 v29, vcc_lo, v39, v33, vcc_lo
	global_store_b32 v[28:29], v30, off
	s_or_b32 exec_lo, exec_lo, s0
	s_and_b32 s1, s2, s8
	s_delay_alu instid0(SALU_CYCLE_1)
	s_and_saveexec_b32 s0, s1
	s_cbranch_execz .LBB100_159
.LBB100_173:
	v_cmp_ne_u32_e32 vcc_lo, 1, v100
	v_lshlrev_b64 v[28:29], 2, v[52:53]
	s_cbranch_vccnz .LBB100_175
; %bb.174:
	s_delay_alu instid0(VALU_DEP_1) | instskip(NEXT) | instid1(VALU_DEP_2)
	v_add_co_u32 v30, vcc_lo, v40, v28
	v_add_co_ci_u32_e32 v31, vcc_lo, v41, v29, vcc_lo
	flat_load_b32 v30, v[30:31]
	s_waitcnt vmcnt(0) lgkmcnt(0)
	v_mul_f32_e32 v30, s19, v30
	s_branch .LBB100_176
.LBB100_175:
	v_mov_b32_e32 v30, 0
.LBB100_176:
	v_dual_max_f32 v31, v5, v5 :: v_dual_max_f32 v32, v4, v4
	v_dual_max_f32 v25, v25, v25 :: v_dual_max_f32 v24, v24, v24
	v_max_f32_e32 v33, v6, v6
	s_delay_alu instid0(VALU_DEP_2) | instskip(NEXT) | instid1(VALU_DEP_3)
	v_dual_max_f32 v26, v26, v26 :: v_dual_min_f32 v25, v25, v31
	v_dual_min_f32 v24, v24, v32 :: v_dual_max_f32 v31, v7, v7
	s_delay_alu instid0(VALU_DEP_2) | instskip(NEXT) | instid1(VALU_DEP_2)
	v_dual_min_f32 v26, v26, v33 :: v_dual_max_f32 v27, v27, v27
	v_dual_add_f32 v25, v76, v25 :: v_dual_add_f32 v24, v77, v24
	s_delay_alu instid0(VALU_DEP_1) | instskip(NEXT) | instid1(VALU_DEP_1)
	v_dual_min_f32 v27, v27, v31 :: v_dual_add_f32 v24, v24, v26
	v_add_f32_e32 v25, v25, v27
	s_delay_alu instid0(VALU_DEP_1) | instskip(NEXT) | instid1(VALU_DEP_1)
	v_add_f32_e32 v24, v24, v25
	v_add_f32_e32 v26, v24, v30
	v_add_co_u32 v24, vcc_lo, v38, v28
	v_add_co_ci_u32_e32 v25, vcc_lo, v39, v29, vcc_lo
	global_store_b32 v[24:25], v26, off
	s_or_b32 exec_lo, exec_lo, s0
	s_and_b32 s1, s3, s8
	s_delay_alu instid0(SALU_CYCLE_1)
	s_and_saveexec_b32 s0, s1
	s_cbranch_execz .LBB100_160
.LBB100_177:
	v_cmp_ne_u32_e32 vcc_lo, 1, v100
	v_lshlrev_b64 v[24:25], 2, v[54:55]
	s_cbranch_vccnz .LBB100_179
; %bb.178:
	s_delay_alu instid0(VALU_DEP_1) | instskip(NEXT) | instid1(VALU_DEP_2)
	v_add_co_u32 v26, vcc_lo, v40, v24
	v_add_co_ci_u32_e32 v27, vcc_lo, v41, v25, vcc_lo
	flat_load_b32 v26, v[26:27]
	s_waitcnt vmcnt(0) lgkmcnt(0)
	v_mul_f32_e32 v26, s19, v26
	s_branch .LBB100_180
.LBB100_179:
	v_mov_b32_e32 v26, 0
.LBB100_180:
	v_dual_max_f32 v27, v5, v5 :: v_dual_max_f32 v28, v4, v4
	v_dual_max_f32 v21, v21, v21 :: v_dual_max_f32 v20, v20, v20
	v_max_f32_e32 v29, v6, v6
	s_delay_alu instid0(VALU_DEP_2) | instskip(NEXT) | instid1(VALU_DEP_3)
	v_dual_max_f32 v22, v22, v22 :: v_dual_min_f32 v21, v21, v27
	v_dual_min_f32 v20, v20, v28 :: v_dual_max_f32 v27, v7, v7
	s_delay_alu instid0(VALU_DEP_2) | instskip(NEXT) | instid1(VALU_DEP_2)
	v_min_f32_e32 v22, v22, v29
	v_dual_add_f32 v21, v74, v21 :: v_dual_add_f32 v20, v75, v20
	s_delay_alu instid0(VALU_DEP_1) | instskip(NEXT) | instid1(VALU_DEP_1)
	v_dual_max_f32 v23, v23, v23 :: v_dual_add_f32 v20, v20, v22
	v_min_f32_e32 v23, v23, v27
	s_delay_alu instid0(VALU_DEP_1) | instskip(NEXT) | instid1(VALU_DEP_1)
	v_add_f32_e32 v21, v21, v23
	v_add_f32_e32 v20, v20, v21
	s_delay_alu instid0(VALU_DEP_1)
	v_add_f32_e32 v22, v20, v26
	v_add_co_u32 v20, vcc_lo, v38, v24
	v_add_co_ci_u32_e32 v21, vcc_lo, v39, v25, vcc_lo
	global_store_b32 v[20:21], v22, off
	s_or_b32 exec_lo, exec_lo, s0
	s_and_b32 s1, s4, s8
	s_delay_alu instid0(SALU_CYCLE_1)
	s_and_saveexec_b32 s0, s1
	s_cbranch_execz .LBB100_161
.LBB100_181:
	v_cmp_ne_u32_e32 vcc_lo, 1, v100
	v_lshlrev_b64 v[20:21], 2, v[56:57]
	s_cbranch_vccnz .LBB100_183
; %bb.182:
	s_delay_alu instid0(VALU_DEP_1) | instskip(NEXT) | instid1(VALU_DEP_2)
	v_add_co_u32 v22, vcc_lo, v40, v20
	v_add_co_ci_u32_e32 v23, vcc_lo, v41, v21, vcc_lo
	flat_load_b32 v22, v[22:23]
	s_waitcnt vmcnt(0) lgkmcnt(0)
	v_mul_f32_e32 v22, s19, v22
	s_branch .LBB100_184
.LBB100_183:
	v_mov_b32_e32 v22, 0
.LBB100_184:
	v_dual_max_f32 v23, v5, v5 :: v_dual_max_f32 v24, v4, v4
	v_dual_max_f32 v17, v17, v17 :: v_dual_max_f32 v16, v16, v16
	v_max_f32_e32 v25, v6, v6
	s_delay_alu instid0(VALU_DEP_2) | instskip(NEXT) | instid1(VALU_DEP_3)
	v_dual_max_f32 v18, v18, v18 :: v_dual_min_f32 v17, v17, v23
	v_dual_min_f32 v16, v16, v24 :: v_dual_max_f32 v23, v7, v7
	s_delay_alu instid0(VALU_DEP_2) | instskip(NEXT) | instid1(VALU_DEP_2)
	v_dual_min_f32 v18, v18, v25 :: v_dual_max_f32 v19, v19, v19
	v_dual_add_f32 v16, v72, v16 :: v_dual_add_f32 v17, v73, v17
	s_delay_alu instid0(VALU_DEP_1) | instskip(NEXT) | instid1(VALU_DEP_1)
	v_dual_add_f32 v16, v16, v18 :: v_dual_min_f32 v19, v19, v23
	v_add_f32_e32 v17, v17, v19
	s_delay_alu instid0(VALU_DEP_1) | instskip(NEXT) | instid1(VALU_DEP_1)
	v_add_f32_e32 v16, v16, v17
	v_add_f32_e32 v18, v16, v22
	v_add_co_u32 v16, vcc_lo, v38, v20
	v_add_co_ci_u32_e32 v17, vcc_lo, v39, v21, vcc_lo
	global_store_b32 v[16:17], v18, off
	s_or_b32 exec_lo, exec_lo, s0
	s_and_b32 s1, s5, s8
	s_delay_alu instid0(SALU_CYCLE_1)
	s_and_saveexec_b32 s0, s1
	s_cbranch_execz .LBB100_162
.LBB100_185:
	v_cmp_ne_u32_e32 vcc_lo, 1, v100
	v_lshlrev_b64 v[16:17], 2, v[58:59]
	s_cbranch_vccnz .LBB100_187
; %bb.186:
	s_delay_alu instid0(VALU_DEP_1) | instskip(NEXT) | instid1(VALU_DEP_2)
	v_add_co_u32 v18, vcc_lo, v40, v16
	v_add_co_ci_u32_e32 v19, vcc_lo, v41, v17, vcc_lo
	flat_load_b32 v18, v[18:19]
	s_waitcnt vmcnt(0) lgkmcnt(0)
	v_mul_f32_e32 v18, s19, v18
	s_branch .LBB100_188
.LBB100_187:
	v_mov_b32_e32 v18, 0
.LBB100_188:
	v_dual_max_f32 v19, v5, v5 :: v_dual_max_f32 v20, v4, v4
	v_dual_max_f32 v13, v13, v13 :: v_dual_max_f32 v12, v12, v12
	v_max_f32_e32 v21, v6, v6
	s_delay_alu instid0(VALU_DEP_2) | instskip(NEXT) | instid1(VALU_DEP_3)
	v_dual_max_f32 v14, v14, v14 :: v_dual_min_f32 v13, v13, v19
	v_dual_min_f32 v12, v12, v20 :: v_dual_max_f32 v19, v7, v7
	s_delay_alu instid0(VALU_DEP_2) | instskip(NEXT) | instid1(VALU_DEP_2)
	v_min_f32_e32 v14, v14, v21
	v_dual_add_f32 v13, v70, v13 :: v_dual_add_f32 v12, v71, v12
	s_delay_alu instid0(VALU_DEP_1) | instskip(NEXT) | instid1(VALU_DEP_1)
	v_dual_max_f32 v15, v15, v15 :: v_dual_add_f32 v12, v12, v14
	v_min_f32_e32 v15, v15, v19
	s_delay_alu instid0(VALU_DEP_1) | instskip(NEXT) | instid1(VALU_DEP_1)
	v_add_f32_e32 v13, v13, v15
	v_add_f32_e32 v12, v12, v13
	s_delay_alu instid0(VALU_DEP_1)
	v_add_f32_e32 v14, v12, v18
	v_add_co_u32 v12, vcc_lo, v38, v16
	v_add_co_ci_u32_e32 v13, vcc_lo, v39, v17, vcc_lo
	global_store_b32 v[12:13], v14, off
	s_or_b32 exec_lo, exec_lo, s0
	s_and_b32 s1, s6, s8
	s_delay_alu instid0(SALU_CYCLE_1)
	s_and_saveexec_b32 s0, s1
	s_cbranch_execz .LBB100_163
.LBB100_189:
	v_cmp_ne_u32_e32 vcc_lo, 1, v100
	v_lshlrev_b64 v[12:13], 2, v[60:61]
	s_cbranch_vccnz .LBB100_191
; %bb.190:
	s_delay_alu instid0(VALU_DEP_1) | instskip(NEXT) | instid1(VALU_DEP_2)
	v_add_co_u32 v14, vcc_lo, v40, v12
	v_add_co_ci_u32_e32 v15, vcc_lo, v41, v13, vcc_lo
	flat_load_b32 v14, v[14:15]
	s_waitcnt vmcnt(0) lgkmcnt(0)
	v_mul_f32_e32 v14, s19, v14
	s_branch .LBB100_192
.LBB100_191:
	v_mov_b32_e32 v14, 0
.LBB100_192:
	v_dual_max_f32 v15, v5, v5 :: v_dual_max_f32 v16, v4, v4
	v_dual_max_f32 v9, v9, v9 :: v_dual_max_f32 v8, v8, v8
	v_max_f32_e32 v17, v6, v6
	s_delay_alu instid0(VALU_DEP_2) | instskip(NEXT) | instid1(VALU_DEP_3)
	v_dual_max_f32 v10, v10, v10 :: v_dual_min_f32 v9, v9, v15
	v_dual_min_f32 v8, v8, v16 :: v_dual_max_f32 v15, v7, v7
	s_delay_alu instid0(VALU_DEP_2) | instskip(NEXT) | instid1(VALU_DEP_2)
	v_dual_min_f32 v10, v10, v17 :: v_dual_max_f32 v11, v11, v11
	v_dual_add_f32 v8, v68, v8 :: v_dual_add_f32 v9, v69, v9
	s_delay_alu instid0(VALU_DEP_1) | instskip(NEXT) | instid1(VALU_DEP_1)
	v_dual_add_f32 v8, v8, v10 :: v_dual_min_f32 v11, v11, v15
	v_add_f32_e32 v9, v9, v11
	s_delay_alu instid0(VALU_DEP_1) | instskip(NEXT) | instid1(VALU_DEP_1)
	v_add_f32_e32 v8, v8, v9
	v_add_f32_e32 v10, v8, v14
	v_add_co_u32 v8, vcc_lo, v38, v12
	v_add_co_ci_u32_e32 v9, vcc_lo, v39, v13, vcc_lo
	global_store_b32 v[8:9], v10, off
	s_or_b32 exec_lo, exec_lo, s0
	s_and_b32 s0, s7, s8
	s_delay_alu instid0(SALU_CYCLE_1)
	s_and_saveexec_b32 s1, s0
	s_cbranch_execz .LBB100_164
.LBB100_193:
	v_cmp_ne_u32_e32 vcc_lo, 1, v100
	v_lshlrev_b64 v[8:9], 2, v[62:63]
	s_cbranch_vccnz .LBB100_195
; %bb.194:
	s_delay_alu instid0(VALU_DEP_1) | instskip(NEXT) | instid1(VALU_DEP_2)
	v_add_co_u32 v10, vcc_lo, v40, v8
	v_add_co_ci_u32_e32 v11, vcc_lo, v41, v9, vcc_lo
	flat_load_b32 v10, v[10:11]
	s_waitcnt vmcnt(0) lgkmcnt(0)
	v_mul_f32_e32 v10, s19, v10
	s_branch .LBB100_196
.LBB100_195:
	v_mov_b32_e32 v10, 0
.LBB100_196:
	v_dual_max_f32 v5, v5, v5 :: v_dual_max_f32 v4, v4, v4
	v_dual_max_f32 v1, v1, v1 :: v_dual_max_f32 v0, v0, v0
	v_max_f32_e32 v6, v6, v6
	v_dual_max_f32 v2, v2, v2 :: v_dual_max_f32 v3, v3, v3
	s_delay_alu instid0(VALU_DEP_3) | instskip(NEXT) | instid1(VALU_DEP_2)
	v_dual_min_f32 v1, v1, v5 :: v_dual_min_f32 v0, v0, v4
	v_dual_max_f32 v5, v7, v7 :: v_dual_min_f32 v2, v2, v6
	s_delay_alu instid0(VALU_DEP_2) | instskip(NEXT) | instid1(VALU_DEP_1)
	v_dual_add_f32 v1, v67, v1 :: v_dual_add_f32 v0, v66, v0
	v_dual_min_f32 v3, v3, v5 :: v_dual_add_f32 v0, v0, v2
	s_delay_alu instid0(VALU_DEP_1) | instskip(NEXT) | instid1(VALU_DEP_1)
	v_add_f32_e32 v1, v1, v3
	v_add_f32_e32 v0, v0, v1
	s_delay_alu instid0(VALU_DEP_1)
	v_add_f32_e32 v2, v0, v10
	v_add_co_u32 v0, vcc_lo, v38, v8
	v_add_co_ci_u32_e32 v1, vcc_lo, v39, v9, vcc_lo
	global_store_b32 v[0:1], v2, off
	s_nop 0
	s_sendmsg sendmsg(MSG_DEALLOC_VGPRS)
	s_endpgm
	.section	.rodata,"a",@progbits
	.p2align	6, 0x0
	.amdhsa_kernel _ZN12_GLOBAL__N_120geam_min_plus_kernelIf15HIP_vector_typeIfLj2EES2_Li8ELi32ELi64ELi128ELi4ELi4ELi64ELi64ELi4ELc84ELc84ELb1ELb1ELb0EfKffEEviiiT16_PT17_ilS6_ilS4_S6_ilPT18_ili26rocblas_geam_ex_operation_
		.amdhsa_group_segment_fixed_size 6144
		.amdhsa_private_segment_fixed_size 0
		.amdhsa_kernarg_size 128
		.amdhsa_user_sgpr_count 14
		.amdhsa_user_sgpr_dispatch_ptr 0
		.amdhsa_user_sgpr_queue_ptr 0
		.amdhsa_user_sgpr_kernarg_segment_ptr 1
		.amdhsa_user_sgpr_dispatch_id 0
		.amdhsa_user_sgpr_private_segment_size 0
		.amdhsa_wavefront_size32 1
		.amdhsa_uses_dynamic_stack 0
		.amdhsa_enable_private_segment 0
		.amdhsa_system_sgpr_workgroup_id_x 1
		.amdhsa_system_sgpr_workgroup_id_y 0
		.amdhsa_system_sgpr_workgroup_id_z 1
		.amdhsa_system_sgpr_workgroup_info 0
		.amdhsa_system_vgpr_workitem_id 1
		.amdhsa_next_free_vgpr 228
		.amdhsa_next_free_sgpr 27
		.amdhsa_reserve_vcc 1
		.amdhsa_float_round_mode_32 0
		.amdhsa_float_round_mode_16_64 0
		.amdhsa_float_denorm_mode_32 3
		.amdhsa_float_denorm_mode_16_64 3
		.amdhsa_dx10_clamp 1
		.amdhsa_ieee_mode 1
		.amdhsa_fp16_overflow 0
		.amdhsa_workgroup_processor_mode 1
		.amdhsa_memory_ordered 1
		.amdhsa_forward_progress 0
		.amdhsa_shared_vgpr_count 0
		.amdhsa_exception_fp_ieee_invalid_op 0
		.amdhsa_exception_fp_denorm_src 0
		.amdhsa_exception_fp_ieee_div_zero 0
		.amdhsa_exception_fp_ieee_overflow 0
		.amdhsa_exception_fp_ieee_underflow 0
		.amdhsa_exception_fp_ieee_inexact 0
		.amdhsa_exception_int_div_zero 0
	.end_amdhsa_kernel
	.section	.text._ZN12_GLOBAL__N_120geam_min_plus_kernelIf15HIP_vector_typeIfLj2EES2_Li8ELi32ELi64ELi128ELi4ELi4ELi64ELi64ELi4ELc84ELc84ELb1ELb1ELb0EfKffEEviiiT16_PT17_ilS6_ilS4_S6_ilPT18_ili26rocblas_geam_ex_operation_,"axG",@progbits,_ZN12_GLOBAL__N_120geam_min_plus_kernelIf15HIP_vector_typeIfLj2EES2_Li8ELi32ELi64ELi128ELi4ELi4ELi64ELi64ELi4ELc84ELc84ELb1ELb1ELb0EfKffEEviiiT16_PT17_ilS6_ilS4_S6_ilPT18_ili26rocblas_geam_ex_operation_,comdat
.Lfunc_end100:
	.size	_ZN12_GLOBAL__N_120geam_min_plus_kernelIf15HIP_vector_typeIfLj2EES2_Li8ELi32ELi64ELi128ELi4ELi4ELi64ELi64ELi4ELc84ELc84ELb1ELb1ELb0EfKffEEviiiT16_PT17_ilS6_ilS4_S6_ilPT18_ili26rocblas_geam_ex_operation_, .Lfunc_end100-_ZN12_GLOBAL__N_120geam_min_plus_kernelIf15HIP_vector_typeIfLj2EES2_Li8ELi32ELi64ELi128ELi4ELi4ELi64ELi64ELi4ELc84ELc84ELb1ELb1ELb0EfKffEEviiiT16_PT17_ilS6_ilS4_S6_ilPT18_ili26rocblas_geam_ex_operation_
                                        ; -- End function
	.section	.AMDGPU.csdata,"",@progbits
; Kernel info:
; codeLenInByte = 13120
; NumSgprs: 29
; NumVgprs: 228
; ScratchSize: 0
; MemoryBound: 0
; FloatMode: 240
; IeeeMode: 1
; LDSByteSize: 6144 bytes/workgroup (compile time only)
; SGPRBlocks: 3
; VGPRBlocks: 28
; NumSGPRsForWavesPerEU: 29
; NumVGPRsForWavesPerEU: 228
; Occupancy: 6
; WaveLimiterHint : 0
; COMPUTE_PGM_RSRC2:SCRATCH_EN: 0
; COMPUTE_PGM_RSRC2:USER_SGPR: 14
; COMPUTE_PGM_RSRC2:TRAP_HANDLER: 0
; COMPUTE_PGM_RSRC2:TGID_X_EN: 1
; COMPUTE_PGM_RSRC2:TGID_Y_EN: 0
; COMPUTE_PGM_RSRC2:TGID_Z_EN: 1
; COMPUTE_PGM_RSRC2:TIDIG_COMP_CNT: 1
	.section	.text._ZN12_GLOBAL__N_120geam_min_plus_kernelIf15HIP_vector_typeIfLj2EES2_Li8ELi32ELi64ELi128ELi4ELi4ELi64ELi64ELi4ELc84ELc84ELb0ELb1ELb0EfKffEEviiiT16_PT17_ilS6_ilS4_S6_ilPT18_ili26rocblas_geam_ex_operation_,"axG",@progbits,_ZN12_GLOBAL__N_120geam_min_plus_kernelIf15HIP_vector_typeIfLj2EES2_Li8ELi32ELi64ELi128ELi4ELi4ELi64ELi64ELi4ELc84ELc84ELb0ELb1ELb0EfKffEEviiiT16_PT17_ilS6_ilS4_S6_ilPT18_ili26rocblas_geam_ex_operation_,comdat
	.globl	_ZN12_GLOBAL__N_120geam_min_plus_kernelIf15HIP_vector_typeIfLj2EES2_Li8ELi32ELi64ELi128ELi4ELi4ELi64ELi64ELi4ELc84ELc84ELb0ELb1ELb0EfKffEEviiiT16_PT17_ilS6_ilS4_S6_ilPT18_ili26rocblas_geam_ex_operation_ ; -- Begin function _ZN12_GLOBAL__N_120geam_min_plus_kernelIf15HIP_vector_typeIfLj2EES2_Li8ELi32ELi64ELi128ELi4ELi4ELi64ELi64ELi4ELc84ELc84ELb0ELb1ELb0EfKffEEviiiT16_PT17_ilS6_ilS4_S6_ilPT18_ili26rocblas_geam_ex_operation_
	.p2align	8
	.type	_ZN12_GLOBAL__N_120geam_min_plus_kernelIf15HIP_vector_typeIfLj2EES2_Li8ELi32ELi64ELi128ELi4ELi4ELi64ELi64ELi4ELc84ELc84ELb0ELb1ELb0EfKffEEviiiT16_PT17_ilS6_ilS4_S6_ilPT18_ili26rocblas_geam_ex_operation_,@function
_ZN12_GLOBAL__N_120geam_min_plus_kernelIf15HIP_vector_typeIfLj2EES2_Li8ELi32ELi64ELi128ELi4ELi4ELi64ELi64ELi4ELc84ELc84ELb0ELb1ELb0EfKffEEviiiT16_PT17_ilS6_ilS4_S6_ilPT18_ili26rocblas_geam_ex_operation_: ; @_ZN12_GLOBAL__N_120geam_min_plus_kernelIf15HIP_vector_typeIfLj2EES2_Li8ELi32ELi64ELi128ELi4ELi4ELi64ELi64ELi4ELc84ELc84ELb0ELb1ELb0EfKffEEviiiT16_PT17_ilS6_ilS4_S6_ilPT18_ili26rocblas_geam_ex_operation_
; %bb.0:
	s_clause 0x1
	s_load_b128 s[16:19], s[0:1], 0x0
	s_load_b128 s[4:7], s[0:1], 0x20
	s_waitcnt lgkmcnt(0)
	v_cmp_eq_f32_e64 s2, s19, 0
	v_cmp_neq_f32_e64 s23, s19, 0
	s_delay_alu instid0(VALU_DEP_2)
	s_and_b32 vcc_lo, exec_lo, s2
	s_cbranch_vccnz .LBB101_3
; %bb.1:
	s_load_b64 s[8:9], s[0:1], 0x10
	s_mul_i32 s3, s15, s5
	s_mul_hi_u32 s5, s15, s4
	s_mul_i32 s4, s15, s4
	s_add_i32 s5, s5, s3
	s_delay_alu instid0(SALU_CYCLE_1)
	s_lshl_b64 s[4:5], s[4:5], 2
	s_waitcnt lgkmcnt(0)
	s_add_u32 s12, s8, s4
	s_addc_u32 s13, s9, s5
	s_and_not1_b32 vcc_lo, exec_lo, s2
	s_cbranch_vccnz .LBB101_4
.LBB101_2:
	s_mov_b32 s22, 0
	s_mov_b64 s[8:9], 0
	s_cbranch_execz .LBB101_5
	s_branch .LBB101_6
.LBB101_3:
	s_mov_b64 s[12:13], 0
	s_and_not1_b32 vcc_lo, exec_lo, s2
	s_cbranch_vccz .LBB101_2
.LBB101_4:
	s_mov_b32 s22, -1
                                        ; implicit-def: $sgpr8_sgpr9
.LBB101_5:
	s_load_b64 s[2:3], s[0:1], 0x38
	s_mov_b32 s22, 0
	s_waitcnt lgkmcnt(0)
	s_mul_i32 s3, s15, s3
	s_mul_hi_u32 s4, s15, s2
	s_mul_i32 s2, s15, s2
	s_add_i32 s3, s4, s3
	s_delay_alu instid0(SALU_CYCLE_1) | instskip(NEXT) | instid1(SALU_CYCLE_1)
	s_lshl_b64 s[2:3], s[2:3], 2
	s_add_u32 s8, s6, s2
	s_addc_u32 s9, s7, s3
.LBB101_6:
	s_clause 0x1
	s_load_b32 s20, s[0:1], 0x40
	s_load_b128 s[4:7], s[0:1], 0x58
	s_waitcnt lgkmcnt(0)
	v_cmp_eq_f32_e64 s2, s20, 0
	v_cmp_neq_f32_e64 s21, s20, 0
	s_delay_alu instid0(VALU_DEP_2)
	s_and_b32 vcc_lo, exec_lo, s2
	s_cbranch_vccnz .LBB101_8
; %bb.7:
	s_load_b64 s[2:3], s[0:1], 0x48
	s_mul_i32 s5, s15, s5
	s_mul_hi_u32 s10, s15, s4
	s_delay_alu instid0(SALU_CYCLE_1) | instskip(SKIP_3) | instid1(SALU_CYCLE_1)
	s_add_i32 s5, s10, s5
	s_mul_i32 s10, s22, s4
	s_mul_i32 s4, s15, s4
	s_add_i32 s5, s5, s10
	s_lshl_b64 s[4:5], s[4:5], 2
	s_waitcnt lgkmcnt(0)
	s_add_u32 s10, s2, s4
	s_addc_u32 s11, s3, s5
	s_branch .LBB101_9
.LBB101_8:
	s_mov_b64 s[10:11], 0
.LBB101_9:
	s_add_i32 s2, s16, -1
	v_dual_mov_b32 v9, 0 :: v_dual_and_b32 v52, 0x3ff, v0
	s_ashr_i32 s3, s2, 31
	v_bfe_u32 v53, v0, 10, 10
	s_lshr_b32 s3, s3, 26
	s_load_b32 s29, s[0:1], 0x18
	s_add_i32 s2, s2, s3
	v_and_b32_e32 v54, 3, v52
	s_ashr_i32 s2, s2, 6
	v_lshl_add_u32 v0, v53, 3, v52
	s_add_i32 s4, s2, 1
	s_not_b32 s2, s2
	v_cvt_f32_u32_e32 v1, s4
	v_lshlrev_b32_e32 v2, 2, v54
	v_lshrrev_b32_e32 v7, 2, v0
	v_mov_b32_e32 v8, 0
	s_delay_alu instid0(VALU_DEP_4) | instskip(SKIP_2) | instid1(VALU_DEP_1)
	v_rcp_iflag_f32_e32 v1, v1
	s_waitcnt_depctr 0xfff
	v_mul_f32_e32 v1, 0x4f7ffffe, v1
	v_cvt_u32_f32_e32 v1, v1
	s_delay_alu instid0(VALU_DEP_1) | instskip(NEXT) | instid1(VALU_DEP_1)
	v_readfirstlane_b32 s3, v1
	s_mul_i32 s2, s2, s3
	s_delay_alu instid0(SALU_CYCLE_1) | instskip(NEXT) | instid1(SALU_CYCLE_1)
	s_mul_hi_u32 s2, s3, s2
	s_add_i32 s3, s3, s2
	s_delay_alu instid0(SALU_CYCLE_1) | instskip(NEXT) | instid1(SALU_CYCLE_1)
	s_mul_hi_u32 s2, s14, s3
	s_mul_i32 s3, s2, s4
	s_add_i32 s5, s2, 1
	s_sub_i32 s3, s14, s3
	s_delay_alu instid0(SALU_CYCLE_1)
	s_sub_i32 s24, s3, s4
	s_cmp_ge_u32 s3, s4
	s_cselect_b32 s2, s5, s2
	s_cselect_b32 s3, s24, s3
	s_add_i32 s5, s2, 1
	s_cmp_ge_u32 s3, s4
	s_cselect_b32 s3, s5, s2
	s_delay_alu instid0(SALU_CYCLE_1) | instskip(NEXT) | instid1(SALU_CYCLE_1)
	s_mul_i32 s2, s3, s4
	s_sub_i32 s2, s14, s2
	s_delay_alu instid0(SALU_CYCLE_1) | instskip(SKIP_2) | instid1(VALU_DEP_1)
	s_lshl_b32 s14, s2, 6
	v_cmp_gt_i32_e64 s2, s18, v54
	v_add_nc_u32_e32 v3, s14, v7
	v_cmp_gt_i32_e32 vcc_lo, s16, v3
	s_delay_alu instid0(VALU_DEP_3) | instskip(NEXT) | instid1(SALU_CYCLE_1)
	s_and_b32 s2, s2, vcc_lo
	s_and_b32 s2, s23, s2
	s_delay_alu instid0(SALU_CYCLE_1)
	s_and_saveexec_b32 s4, s2
	s_cbranch_execz .LBB101_11
; %bb.10:
	s_waitcnt lgkmcnt(0)
	v_mad_i64_i32 v[4:5], null, v3, s29, 0
	s_delay_alu instid0(VALU_DEP_1) | instskip(NEXT) | instid1(VALU_DEP_1)
	v_lshlrev_b64 v[4:5], 2, v[4:5]
	v_add_co_u32 v1, s2, s12, v4
	s_delay_alu instid0(VALU_DEP_1) | instskip(NEXT) | instid1(VALU_DEP_2)
	v_add_co_ci_u32_e64 v5, s2, s13, v5, s2
	v_add_co_u32 v4, s2, v1, v2
	s_delay_alu instid0(VALU_DEP_1)
	v_add_co_ci_u32_e64 v5, s2, 0, v5, s2
	flat_load_b32 v1, v[4:5]
	s_waitcnt vmcnt(0) lgkmcnt(0)
	v_mul_f32_e32 v9, s19, v1
.LBB101_11:
	s_or_b32 exec_lo, exec_lo, s4
	s_load_b32 s25, s[0:1], 0x30
	v_lshrrev_b32_e32 v55, 6, v0
	s_add_i32 s26, s18, -1
	v_and_b32_e32 v10, 63, v0
	s_lshl_b32 s24, s3, 7
	s_xor_b32 s27, s23, -1
	v_min_i32_e32 v1, s26, v55
	v_cmp_le_i32_e64 s4, s18, v55
	v_or_b32_e32 v0, s24, v10
	s_delay_alu instid0(VALU_DEP_1) | instskip(NEXT) | instid1(VALU_DEP_1)
	v_cmp_le_i32_e64 s2, s17, v0
	s_or_b32 s5, s2, s4
	s_waitcnt lgkmcnt(0)
	v_mad_i64_i32 v[4:5], null, s25, v1, 0
	v_ashrrev_i32_e32 v1, 31, v0
	s_delay_alu instid0(VALU_DEP_2) | instskip(NEXT) | instid1(VALU_DEP_1)
	v_lshlrev_b64 v[5:6], 2, v[4:5]
	v_add_co_u32 v5, s3, s8, v5
	s_delay_alu instid0(VALU_DEP_1) | instskip(SKIP_1) | instid1(SALU_CYCLE_1)
	v_add_co_ci_u32_e64 v6, s3, s9, v6, s3
	s_or_b32 s3, s5, s27
	s_xor_b32 s3, s3, -1
	s_delay_alu instid0(SALU_CYCLE_1)
	s_and_saveexec_b32 s5, s3
	s_cbranch_execz .LBB101_13
; %bb.12:
	v_lshlrev_b64 v[11:12], 2, v[0:1]
	s_delay_alu instid0(VALU_DEP_1) | instskip(NEXT) | instid1(VALU_DEP_1)
	v_add_co_u32 v11, s3, v5, v11
	v_add_co_ci_u32_e64 v12, s3, v6, v12, s3
	flat_load_b32 v4, v[11:12]
	s_waitcnt vmcnt(0) lgkmcnt(0)
	v_mul_f32_e32 v8, s19, v4
.LBB101_13:
	s_or_b32 exec_lo, exec_lo, s5
	v_or_b32_e32 v4, 64, v0
	v_mov_b32_e32 v11, 0
	s_delay_alu instid0(VALU_DEP_2) | instskip(SKIP_1) | instid1(VALU_DEP_2)
	v_cmp_le_i32_e64 s3, s17, v4
	v_mov_b32_e32 v4, 0
	s_or_b32 s4, s3, s4
	s_delay_alu instid0(SALU_CYCLE_1) | instskip(NEXT) | instid1(SALU_CYCLE_1)
	s_or_b32 s4, s4, s27
	s_xor_b32 s4, s4, -1
	s_delay_alu instid0(SALU_CYCLE_1)
	s_and_saveexec_b32 s5, s4
	s_cbranch_execz .LBB101_15
; %bb.14:
	v_lshlrev_b64 v[11:12], 2, v[0:1]
	s_delay_alu instid0(VALU_DEP_1) | instskip(NEXT) | instid1(VALU_DEP_1)
	v_add_co_u32 v5, s4, v5, v11
	v_add_co_ci_u32_e64 v6, s4, v6, v12, s4
	flat_load_b32 v5, v[5:6] offset:256
	s_waitcnt vmcnt(0) lgkmcnt(0)
	v_mul_f32_e32 v11, s19, v5
.LBB101_15:
	s_or_b32 exec_lo, exec_lo, s5
	v_or_b32_e32 v5, 4, v54
	s_delay_alu instid0(VALU_DEP_1) | instskip(NEXT) | instid1(VALU_DEP_1)
	v_cmp_gt_i32_e64 s4, s18, v5
	s_and_b32 s4, s4, vcc_lo
	s_delay_alu instid0(SALU_CYCLE_1) | instskip(NEXT) | instid1(SALU_CYCLE_1)
	s_and_b32 s4, s23, s4
	s_and_saveexec_b32 s5, s4
	s_cbranch_execz .LBB101_17
; %bb.16:
	v_mad_i64_i32 v[4:5], null, v3, s29, 0
	s_delay_alu instid0(VALU_DEP_1) | instskip(NEXT) | instid1(VALU_DEP_1)
	v_lshlrev_b64 v[4:5], 2, v[4:5]
	v_add_co_u32 v4, s4, s12, v4
	s_delay_alu instid0(VALU_DEP_1) | instskip(NEXT) | instid1(VALU_DEP_2)
	v_add_co_ci_u32_e64 v5, s4, s13, v5, s4
	v_add_co_u32 v4, s4, v4, v2
	s_delay_alu instid0(VALU_DEP_1)
	v_add_co_ci_u32_e64 v5, s4, 0, v5, s4
	flat_load_b32 v4, v[4:5] offset:16
	s_waitcnt vmcnt(0) lgkmcnt(0)
	v_mul_f32_e32 v4, s19, v4
.LBB101_17:
	s_or_b32 exec_lo, exec_lo, s5
	v_add_nc_u32_e32 v12, 4, v55
	s_delay_alu instid0(VALU_DEP_1) | instskip(SKIP_1) | instid1(VALU_DEP_2)
	v_min_i32_e32 v13, s26, v12
	v_cmp_le_i32_e64 s4, s18, v12
	v_mad_i64_i32 v[5:6], null, s25, v13, 0
	s_delay_alu instid0(VALU_DEP_2) | instskip(NEXT) | instid1(VALU_DEP_1)
	s_or_b32 s28, s2, s4
	v_lshlrev_b64 v[12:13], 2, v[5:6]
	v_dual_mov_b32 v5, 0 :: v_dual_mov_b32 v6, 0
	s_delay_alu instid0(VALU_DEP_2) | instskip(NEXT) | instid1(VALU_DEP_1)
	v_add_co_u32 v12, s5, s8, v12
	v_add_co_ci_u32_e64 v13, s5, s9, v13, s5
	s_or_b32 s5, s28, s27
	s_delay_alu instid0(SALU_CYCLE_1) | instskip(NEXT) | instid1(SALU_CYCLE_1)
	s_xor_b32 s5, s5, -1
	s_and_saveexec_b32 s28, s5
	s_cbranch_execz .LBB101_19
; %bb.18:
	v_lshlrev_b64 v[14:15], 2, v[0:1]
	s_delay_alu instid0(VALU_DEP_1) | instskip(NEXT) | instid1(VALU_DEP_1)
	v_add_co_u32 v14, s5, v12, v14
	v_add_co_ci_u32_e64 v15, s5, v13, v15, s5
	flat_load_b32 v6, v[14:15]
	s_waitcnt vmcnt(0) lgkmcnt(0)
	v_mul_f32_e32 v6, s19, v6
.LBB101_19:
	s_or_b32 exec_lo, exec_lo, s28
	s_or_b32 s4, s3, s4
	s_delay_alu instid0(SALU_CYCLE_1) | instskip(NEXT) | instid1(SALU_CYCLE_1)
	s_or_b32 s4, s4, s27
	s_xor_b32 s4, s4, -1
	s_delay_alu instid0(SALU_CYCLE_1)
	s_and_saveexec_b32 s5, s4
	s_cbranch_execz .LBB101_21
; %bb.20:
	v_lshlrev_b64 v[14:15], 2, v[0:1]
	s_delay_alu instid0(VALU_DEP_1) | instskip(NEXT) | instid1(VALU_DEP_1)
	v_add_co_u32 v12, s4, v12, v14
	v_add_co_ci_u32_e64 v13, s4, v13, v15, s4
	flat_load_b32 v5, v[12:13] offset:256
	s_waitcnt vmcnt(0) lgkmcnt(0)
	v_mul_f32_e32 v5, s19, v5
.LBB101_21:
	s_or_b32 exec_lo, exec_lo, s5
	v_lshlrev_b32_e32 v12, 2, v55
	v_lshl_or_b32 v7, v7, 4, v2
	v_lshlrev_b32_e32 v57, 4, v53
	v_lshlrev_b32_e32 v56, 4, v52
	s_mov_b32 s28, 0
	v_lshl_add_u32 v58, v10, 4, v12
	s_cmp_lt_i32 s18, 9
	ds_store_b32 v7, v9 offset:4096
	ds_store_2addr_stride64_b32 v58, v8, v11 offset1:4
	s_waitcnt lgkmcnt(0)
	s_barrier
	buffer_gl0_inv
	ds_load_b128 v[8:11], v57
	ds_load_b128 v[12:15], v56 offset:4096
	ds_load_b128 v[16:19], v56 offset:4224
	;; [unrolled: 1-line block ×11, first 2 shown]
	ds_store_b32 v7, v4 offset:5120
	ds_store_2addr_stride64_b32 v58, v6, v5 offset0:8 offset1:12
	s_waitcnt lgkmcnt(0)
	s_barrier
	buffer_gl0_inv
	v_dual_max_f32 v8, v8, v8 :: v_dual_max_f32 v13, v13, v13
	v_dual_max_f32 v12, v12, v12 :: v_dual_max_f32 v17, v17, v17
	;; [unrolled: 1-line block ×9, first 2 shown]
	v_max_f32_e32 v9, v9, v9
	v_min_f32_e32 v63, v12, v8
	v_min_f32_e32 v65, v16, v8
	;; [unrolled: 1-line block ×3, first 2 shown]
	s_delay_alu instid0(VALU_DEP_4)
	v_dual_min_f32 v69, v24, v8 :: v_dual_min_f32 v70, v25, v9
	v_dual_min_f32 v71, v28, v8 :: v_dual_min_f32 v72, v29, v9
	v_dual_min_f32 v73, v32, v8 :: v_dual_min_f32 v74, v33, v9
	v_dual_min_f32 v75, v36, v8 :: v_dual_min_f32 v76, v37, v9
	v_dual_min_f32 v8, v40, v8 :: v_dual_max_f32 v45, v45, v45
	v_dual_max_f32 v44, v44, v44 :: v_dual_max_f32 v15, v15, v15
	v_min_f32_e32 v64, v13, v9
	v_min_f32_e32 v66, v17, v9
	v_max_f32_e32 v10, v10, v10
	s_delay_alu instid0(VALU_DEP_4)
	v_dual_max_f32 v14, v14, v14 :: v_dual_min_f32 v77, v12, v44
	v_dual_min_f32 v78, v13, v45 :: v_dual_max_f32 v19, v19, v19
	v_dual_max_f32 v18, v18, v18 :: v_dual_min_f32 v79, v16, v44
	v_dual_max_f32 v22, v22, v22 :: v_dual_min_f32 v81, v20, v44
	;; [unrolled: 1-line block ×5, first 2 shown]
	v_dual_max_f32 v48, v48, v48 :: v_dual_max_f32 v39, v39, v39
	v_dual_min_f32 v88, v36, v44 :: v_dual_max_f32 v43, v43, v43
	v_dual_min_f32 v44, v40, v44 :: v_dual_max_f32 v49, v49, v49
	v_dual_max_f32 v59, v59, v59 :: v_dual_max_f32 v60, v60, v60
	v_min_f32_e32 v68, v21, v9
	v_min_f32_e32 v9, v41, v9
	v_dual_min_f32 v80, v17, v45 :: v_dual_max_f32 v23, v23, v23
	v_dual_min_f32 v82, v21, v45 :: v_dual_max_f32 v27, v27, v27
	;; [unrolled: 1-line block ×4, first 2 shown]
	v_dual_max_f32 v38, v38, v38 :: v_dual_min_f32 v89, v12, v48
	v_dual_min_f32 v90, v16, v48 :: v_dual_max_f32 v51, v51, v51
	v_dual_max_f32 v46, v46, v46 :: v_dual_min_f32 v91, v20, v48
	v_dual_min_f32 v101, v24, v48 :: v_dual_max_f32 v50, v50, v50
	v_dual_max_f32 v117, v61, v61 :: v_dual_min_f32 v126, v28, v48
	v_dual_max_f32 v125, v62, v62 :: v_dual_min_f32 v128, v36, v48
	v_dual_min_f32 v127, v32, v48 :: v_dual_min_f32 v92, v33, v45
	v_dual_min_f32 v48, v40, v48 :: v_dual_min_f32 v93, v37, v45
	v_dual_min_f32 v12, v12, v59 :: v_dual_min_f32 v45, v41, v45
	v_dual_min_f32 v16, v16, v59 :: v_dual_min_f32 v95, v17, v49
	v_dual_min_f32 v20, v20, v59 :: v_dual_min_f32 v129, v21, v49
	v_dual_min_f32 v24, v24, v59 :: v_dual_min_f32 v131, v29, v49
	v_dual_min_f32 v28, v28, v59 :: v_dual_min_f32 v133, v37, v49
	v_min_f32_e32 v32, v32, v59
	v_min_f32_e32 v36, v36, v59
	v_dual_min_f32 v40, v40, v59 :: v_dual_min_f32 v17, v17, v60
	v_dual_min_f32 v94, v13, v49 :: v_dual_add_f32 v59, 0, v64
	v_dual_min_f32 v130, v25, v49 :: v_dual_min_f32 v61, v15, v11
	v_min_f32_e32 v132, v33, v49
	v_dual_min_f32 v21, v21, v60 :: v_dual_add_f32 v62, 0, v63
	v_dual_min_f32 v25, v25, v60 :: v_dual_add_f32 v64, 0, v66
	v_dual_min_f32 v29, v29, v60 :: v_dual_min_f32 v66, v19, v11
	v_dual_min_f32 v33, v33, v60 :: v_dual_min_f32 v96, v18, v10
	v_min_f32_e32 v63, v14, v10
	v_add_f32_e32 v65, 0, v65
	v_min_f32_e32 v49, v41, v49
	v_min_f32_e32 v13, v13, v60
	v_dual_min_f32 v37, v37, v60 :: v_dual_add_f32 v124, v59, v61
	v_min_f32_e32 v41, v41, v60
	v_dual_add_f32 v121, v64, v66 :: v_dual_min_f32 v64, v27, v11
	v_dual_add_f32 v59, 0, v68 :: v_dual_min_f32 v66, v26, v10
	v_min_f32_e32 v60, v23, v11
	v_dual_add_f32 v123, v62, v63 :: v_dual_add_f32 v122, v65, v96
	v_min_f32_e32 v62, v22, v10
	v_dual_add_f32 v63, 0, v70 :: v_dual_min_f32 v68, v31, v11
	v_add_f32_e32 v65, 0, v69
	v_add_f32_e32 v61, 0, v67
	;; [unrolled: 1-line block ×3, first 2 shown]
	v_dual_add_f32 v119, v59, v60 :: v_dual_max_f32 v42, v42, v42
	s_delay_alu instid0(VALU_DEP_4) | instskip(NEXT) | instid1(VALU_DEP_4)
	v_dual_max_f32 v47, v47, v47 :: v_dual_add_f32 v118, v65, v66
	v_dual_add_f32 v120, v61, v62 :: v_dual_add_f32 v61, 0, v71
	v_min_f32_e32 v62, v30, v10
	v_dual_add_f32 v60, v67, v68 :: v_dual_add_f32 v65, 0, v73
	v_min_f32_e32 v68, v39, v11
	v_dual_min_f32 v66, v34, v10 :: v_dual_add_f32 v59, v63, v64
	v_min_f32_e32 v70, v38, v10
	v_dual_add_f32 v63, 0, v74 :: v_dual_min_f32 v64, v35, v11
	v_add_f32_e32 v67, 0, v76
	v_dual_add_f32 v61, v61, v62 :: v_dual_add_f32 v8, 0, v8
	v_dual_add_f32 v62, v65, v66 :: v_dual_add_f32 v69, 0, v75
	s_delay_alu instid0(VALU_DEP_4) | instskip(NEXT) | instid1(VALU_DEP_4)
	v_dual_add_f32 v63, v63, v64 :: v_dual_min_f32 v10, v42, v10
	v_dual_add_f32 v64, v67, v68 :: v_dual_add_f32 v9, 0, v9
	v_add_f32_e32 v66, 0, v78
	s_delay_alu instid0(VALU_DEP_4) | instskip(SKIP_4) | instid1(VALU_DEP_4)
	v_dual_add_f32 v65, v69, v70 :: v_dual_add_f32 v68, 0, v77
	v_dual_min_f32 v11, v43, v11 :: v_dual_add_f32 v70, 0, v80
	v_min_f32_e32 v71, v19, v47
	v_dual_min_f32 v67, v15, v47 :: v_dual_add_f32 v116, v8, v10
	v_dual_min_f32 v69, v14, v46 :: v_dual_add_f32 v8, 0, v79
	v_add_f32_e32 v115, v9, v11
	v_min_f32_e32 v9, v18, v46
	v_dual_add_f32 v10, 0, v82 :: v_dual_add_f32 v111, v70, v71
	v_add_f32_e32 v70, 0, v83
	s_delay_alu instid0(VALU_DEP_3)
	v_dual_min_f32 v11, v23, v47 :: v_dual_add_f32 v112, v8, v9
	v_dual_add_f32 v114, v66, v67 :: v_dual_add_f32 v113, v68, v69
	v_dual_add_f32 v66, 0, v81 :: v_dual_min_f32 v67, v22, v46
	v_dual_add_f32 v68, 0, v84 :: v_dual_min_f32 v69, v27, v47
	v_add_f32_e32 v8, 0, v86
	v_min_f32_e32 v71, v26, v46
	v_add_f32_e32 v110, v10, v11
	v_dual_min_f32 v9, v31, v47 :: v_dual_add_f32 v10, 0, v85
	v_min_f32_e32 v11, v30, v46
	v_add_f32_e32 v109, v66, v67
	v_dual_add_f32 v107, v68, v69 :: v_dual_add_f32 v66, 0, v92
	s_delay_alu instid0(VALU_DEP_4)
	v_dual_add_f32 v108, v70, v71 :: v_dual_add_f32 v105, v8, v9
	v_min_f32_e32 v67, v35, v47
	v_dual_add_f32 v68, 0, v87 :: v_dual_min_f32 v69, v34, v46
	v_add_f32_e32 v44, 0, v44
	v_add_f32_e32 v106, v10, v11
	v_dual_add_f32 v8, 0, v88 :: v_dual_min_f32 v9, v38, v46
	v_dual_add_f32 v10, 0, v45 :: v_dual_min_f32 v11, v43, v47
	v_min_f32_e32 v45, v42, v46
	v_dual_min_f32 v71, v39, v47 :: v_dual_add_f32 v46, 0, v94
	s_delay_alu instid0(VALU_DEP_3)
	v_dual_add_f32 v102, v8, v9 :: v_dual_add_f32 v99, v10, v11
	v_add_f32_e32 v10, 0, v90
	v_add_f32_e32 v8, 0, v95
	v_dual_min_f32 v47, v15, v51 :: v_dual_add_f32 v98, v44, v45
	v_min_f32_e32 v11, v18, v50
	v_min_f32_e32 v45, v23, v51
	v_dual_min_f32 v9, v19, v51 :: v_dual_add_f32 v70, 0, v93
	s_delay_alu instid0(VALU_DEP_4) | instskip(SKIP_1) | instid1(VALU_DEP_3)
	v_dual_add_f32 v97, v46, v47 :: v_dual_add_f32 v44, 0, v129
	v_dual_add_f32 v46, 0, v91 :: v_dual_min_f32 v47, v22, v50
	v_add_f32_e32 v94, v8, v9
	v_dual_add_f32 v8, 0, v101 :: v_dual_add_f32 v95, v10, v11
	v_dual_min_f32 v9, v26, v50 :: v_dual_add_f32 v10, 0, v131
	v_add_f32_e32 v104, v66, v67
	v_dual_add_f32 v66, 0, v89 :: v_dual_min_f32 v67, v14, v50
	v_min_f32_e32 v11, v31, v51
	v_dual_add_f32 v100, v70, v71 :: v_dual_add_f32 v13, 0, v13
	v_add_f32_e32 v92, v44, v45
	s_delay_alu instid0(VALU_DEP_4)
	v_dual_add_f32 v96, v66, v67 :: v_dual_min_f32 v15, v15, v125
	v_dual_add_f32 v66, 0, v130 :: v_dual_min_f32 v67, v27, v51
	v_add_f32_e32 v44, 0, v126
	v_min_f32_e32 v45, v30, v50
	v_dual_add_f32 v93, v46, v47 :: v_dual_add_f32 v46, 0, v132
	v_min_f32_e32 v47, v35, v51
	v_add_f32_e32 v91, v8, v9
	v_dual_add_f32 v8, 0, v133 :: v_dual_add_f32 v89, v10, v11
	v_dual_min_f32 v9, v39, v51 :: v_dual_add_f32 v10, 0, v128
	v_dual_min_f32 v11, v38, v50 :: v_dual_add_f32 v80, v13, v15
	v_dual_add_f32 v88, v44, v45 :: v_dual_add_f32 v87, v46, v47
	s_delay_alu instid0(VALU_DEP_3) | instskip(SKIP_4) | instid1(VALU_DEP_4)
	v_add_f32_e32 v84, v8, v9
	v_dual_add_f32 v44, 0, v49 :: v_dual_min_f32 v45, v43, v51
	v_dual_add_f32 v46, 0, v48 :: v_dual_min_f32 v47, v42, v50
	v_dual_add_f32 v85, v10, v11 :: v_dual_add_f32 v8, 0, v12
	v_add_f32_e32 v10, 0, v17
	v_dual_add_f32 v90, v66, v67 :: v_dual_add_f32 v83, v44, v45
	v_min_f32_e32 v67, v34, v50
	v_dual_add_f32 v13, 0, v24 :: v_dual_min_f32 v14, v14, v117
	v_dual_add_f32 v66, 0, v127 :: v_dual_add_f32 v11, 0, v20
	v_add_f32_e32 v12, 0, v21
	v_dual_add_f32 v82, v46, v47 :: v_dual_add_f32 v17, 0, v29
	v_add_f32_e32 v24, 0, v36
	v_dual_min_f32 v18, v18, v117 :: v_dual_add_f32 v81, v8, v14
	v_min_f32_e32 v8, v22, v117
	v_dual_add_f32 v86, v66, v67 :: v_dual_add_f32 v9, 0, v16
	v_dual_add_f32 v16, 0, v28 :: v_dual_add_f32 v103, v68, v69
	s_delay_alu instid0(VALU_DEP_3) | instskip(SKIP_4) | instid1(VALU_DEP_4)
	v_dual_add_f32 v77, v11, v8 :: v_dual_min_f32 v8, v26, v117
	v_min_f32_e32 v11, v30, v117
	v_min_f32_e32 v19, v19, v125
	v_dual_add_f32 v15, 0, v25 :: v_dual_add_f32 v20, 0, v32
	v_dual_add_f32 v21, 0, v33 :: v_dual_add_f32 v28, 0, v40
	v_add_f32_e32 v72, v16, v11
	s_delay_alu instid0(VALU_DEP_4) | instskip(SKIP_3) | instid1(VALU_DEP_4)
	v_dual_add_f32 v79, v10, v19 :: v_dual_min_f32 v10, v31, v125
	v_dual_add_f32 v25, 0, v37 :: v_dual_add_f32 v78, v9, v18
	v_min_f32_e32 v11, v43, v125
	v_add_f32_e32 v75, v13, v8
	v_dual_add_f32 v73, v17, v10 :: v_dual_min_f32 v10, v38, v117
	s_delay_alu instid0(VALU_DEP_1) | instskip(NEXT) | instid1(VALU_DEP_1)
	v_dual_min_f32 v23, v23, v125 :: v_dual_add_f32 v68, v24, v10
	v_dual_add_f32 v29, 0, v41 :: v_dual_add_f32 v76, v12, v23
	v_min_f32_e32 v12, v42, v117
	v_min_f32_e32 v9, v27, v125
	s_delay_alu instid0(VALU_DEP_3) | instskip(NEXT) | instid1(VALU_DEP_3)
	v_dual_min_f32 v8, v34, v117 :: v_dual_add_f32 v67, v29, v11
	v_add_f32_e32 v66, v28, v12
	s_delay_alu instid0(VALU_DEP_3) | instskip(SKIP_1) | instid1(VALU_DEP_1)
	v_add_f32_e32 v74, v15, v9
	v_min_f32_e32 v9, v35, v125
	v_dual_add_f32 v71, v20, v8 :: v_dual_add_f32 v70, v21, v9
	v_min_f32_e32 v9, v39, v125
	s_delay_alu instid0(VALU_DEP_1)
	v_add_f32_e32 v69, v25, v9
	s_cbranch_scc1 .LBB101_36
; %bb.22:
	v_mad_i64_i32 v[4:5], null, s29, v3, 0
	v_lshlrev_b64 v[48:49], 2, v[0:1]
	v_add_nc_u32_e32 v101, 0x1000, v7
	v_add_nc_u32_e32 v117, 0x1000, v56
	;; [unrolled: 1-line block ×3, first 2 shown]
	v_or_b32_e32 v126, 0x800, v58
	v_lshl_add_u32 v127, v52, 4, 0x1400
	v_lshlrev_b64 v[3:4], 2, v[4:5]
	v_lshl_add_u32 v128, v53, 4, 0x800
	s_delay_alu instid0(VALU_DEP_2) | instskip(NEXT) | instid1(VALU_DEP_1)
	v_add_co_u32 v2, s4, v3, v2
	v_add_co_ci_u32_e64 v3, s4, 0, v4, s4
	s_delay_alu instid0(VALU_DEP_2) | instskip(NEXT) | instid1(VALU_DEP_1)
	v_add_co_u32 v2, s4, v2, s12
	v_add_co_ci_u32_e64 v3, s4, s13, v3, s4
	s_add_i32 s12, s18, -8
	s_delay_alu instid0(VALU_DEP_2) | instskip(NEXT) | instid1(VALU_DEP_1)
	v_add_co_u32 v50, s4, v2, 48
	v_add_co_ci_u32_e64 v51, s4, 0, v3, s4
	s_branch .LBB101_24
.LBB101_23:                             ;   in Loop: Header=BB101_24 Depth=1
	s_or_b32 exec_lo, exec_lo, s5
	v_dual_add_f32 v36, v123, v36 :: v_dual_add_f32 v41, v122, v41
	v_dual_add_f32 v40, v124, v40 :: v_dual_add_f32 v33, v118, v33
	;; [unrolled: 1-line block ×14, first 2 shown]
	v_add_f32_e32 v103, v104, v140
	v_dual_add_f32 v1, v84, v1 :: v_dual_add_f32 v78, v78, v160
	v_dual_add_f32 v81, v81, v158 :: v_dual_add_f32 v76, v76, v163
	;; [unrolled: 1-line block ×10, first 2 shown]
	ds_load_b128 v[20:23], v57
	ds_load_b128 v[28:31], v117
	v_dual_add_f32 v113, v12, v184 :: v_dual_add_f32 v114, v9, v175
	v_dual_add_f32 v76, v76, v26 :: v_dual_add_f32 v75, v75, v11
	;; [unrolled: 1-line block ×3, first 2 shown]
	ds_load_b128 v[8:11], v117 offset:128
	v_dual_add_f32 v4, v100, v4 :: v_dual_add_f32 v5, v98, v5
	v_dual_add_f32 v79, v79, v161 :: v_dual_add_f32 v72, v72, v166
	;; [unrolled: 1-line block ×4, first 2 shown]
	v_add_f32_e32 v98, v99, v142
	v_dual_add_f32 v83, v83, v157 :: v_dual_add_f32 v80, v80, v159
	v_dual_add_f32 v99, v41, v42 :: v_dual_add_f32 v100, v32, v35
	;; [unrolled: 1-line block ×10, first 2 shown]
	s_waitcnt lgkmcnt(2)
	v_dual_add_f32 v123, v46, v19 :: v_dual_max_f32 v20, v20, v20
	ds_load_b128 v[1:4], v117 offset:256
	ds_load_b128 v[12:15], v117 offset:384
	;; [unrolled: 1-line block ×5, first 2 shown]
	v_dual_add_f32 v124, v43, v7 :: v_dual_max_f32 v21, v21, v21
	s_waitcnt lgkmcnt(6)
	v_dual_max_f32 v28, v28, v28 :: v_dual_max_f32 v29, v29, v29
	ds_load_b128 v[36:39], v117 offset:768
	ds_load_b128 v[40:43], v117 offset:896
	s_waitcnt lgkmcnt(7)
	v_max_f32_e32 v132, v8, v8
	v_dual_add_f32 v118, v45, v186 :: v_dual_add_f32 v63, v63, v180
	v_min_f32_e32 v133, v29, v21
	v_min_f32_e32 v131, v28, v20
	s_delay_alu instid0(VALU_DEP_4) | instskip(SKIP_1) | instid1(VALU_DEP_3)
	v_dual_max_f32 v9, v9, v9 :: v_dual_min_f32 v134, v132, v20
	v_dual_add_f32 v59, v59, v178 :: v_dual_add_f32 v62, v62, v188
	v_dual_add_f32 v66, v66, v133 :: v_dual_add_f32 v67, v67, v131
	s_waitcnt lgkmcnt(6)
	v_dual_max_f32 v2, v2, v2 :: v_dual_max_f32 v1, v1, v1
	s_waitcnt lgkmcnt(5)
	v_dual_max_f32 v12, v12, v12 :: v_dual_min_f32 v131, v9, v21
	v_add_f32_e32 v99, v99, v134
	s_waitcnt lgkmcnt(4)
	v_dual_max_f32 v13, v13, v13 :: v_dual_max_f32 v16, v16, v16
	s_delay_alu instid0(VALU_DEP_3)
	v_min_f32_e32 v134, v12, v20
	v_dual_add_f32 v84, v84, v131 :: v_dual_min_f32 v131, v2, v21
	s_waitcnt lgkmcnt(3)
	v_max_f32_e32 v24, v24, v24
	v_min_f32_e32 v133, v1, v20
	v_dual_max_f32 v25, v25, v25 :: v_dual_add_f32 v106, v106, v134
	v_dual_max_f32 v17, v17, v17 :: v_dual_add_f32 v100, v100, v131
	s_delay_alu instid0(VALU_DEP_2) | instskip(NEXT) | instid1(VALU_DEP_4)
	v_dual_min_f32 v131, v16, v20 :: v_dual_min_f32 v134, v25, v21
	v_add_f32_e32 v104, v104, v133
	s_waitcnt lgkmcnt(1)
	v_dual_min_f32 v133, v13, v21 :: v_dual_max_f32 v36, v36, v36
	s_delay_alu instid0(VALU_DEP_3) | instskip(NEXT) | instid1(VALU_DEP_2)
	v_dual_add_f32 v108, v108, v131 :: v_dual_max_f32 v37, v37, v37
	v_dual_max_f32 v32, v32, v32 :: v_dual_add_f32 v105, v105, v133
	s_waitcnt lgkmcnt(0)
	v_dual_min_f32 v133, v17, v21 :: v_dual_max_f32 v40, v40, v40
	v_max_f32_e32 v33, v33, v33
	v_min_f32_e32 v131, v24, v20
	v_max_f32_e32 v41, v41, v41
	s_delay_alu instid0(VALU_DEP_4) | instskip(SKIP_4) | instid1(VALU_DEP_3)
	v_add_f32_e32 v107, v107, v133
	v_min_f32_e32 v133, v36, v20
	v_min_f32_e32 v20, v40, v20
	v_dual_add_f32 v110, v110, v131 :: v_dual_min_f32 v131, v37, v21
	v_dual_add_f32 v98, v98, v200 :: v_dual_add_f32 v121, v5, v191
	v_add_f32_e32 v20, v114, v20
	s_delay_alu instid0(VALU_DEP_3)
	v_dual_add_f32 v112, v112, v133 :: v_dual_add_f32 v111, v111, v131
	v_min_f32_e32 v131, v28, v32
	v_dual_min_f32 v114, v132, v32 :: v_dual_min_f32 v21, v41, v21
	ds_load_b128 v[5:8], v57 offset:1024
	ds_load_b128 v[44:47], v57 offset:1536
	v_dual_add_f32 v65, v65, v181 :: v_dual_add_f32 v102, v102, v182
	v_dual_add_f32 v61, v61, v179 :: v_dual_add_f32 v64, v64, v189
	v_add_f32_e32 v21, v113, v21
	v_dual_add_f32 v113, v116, v131 :: v_dual_min_f32 v116, v2, v33
	v_dual_add_f32 v93, v93, v147 :: v_dual_add_f32 v92, v92, v148
	v_dual_add_f32 v91, v91, v149 :: v_dual_add_f32 v90, v90, v150
	s_delay_alu instid0(VALU_DEP_3) | instskip(SKIP_1) | instid1(VALU_DEP_4)
	v_add_f32_e32 v136, v60, v116
	v_min_f32_e32 v60, v17, v33
	v_dual_min_f32 v133, v29, v33 :: v_dual_add_f32 v92, v92, v203
	s_delay_alu instid0(VALU_DEP_4) | instskip(NEXT) | instid1(VALU_DEP_3)
	v_dual_add_f32 v93, v93, v194 :: v_dual_add_f32 v90, v90, v204
	v_dual_add_f32 v91, v91, v195 :: v_dual_add_f32 v140, v64, v60
	s_waitcnt lgkmcnt(1)
	s_delay_alu instid0(VALU_DEP_3) | instskip(SKIP_4) | instid1(VALU_DEP_4)
	v_dual_add_f32 v131, v115, v133 :: v_dual_max_f32 v6, v6, v6
	v_dual_add_f32 v133, v119, v114 :: v_dual_min_f32 v114, v1, v32
	v_min_f32_e32 v115, v9, v33
	v_dual_min_f32 v119, v12, v32 :: v_dual_min_f32 v60, v37, v33
	v_add_f32_e32 v109, v109, v134
	v_add_f32_e32 v135, v59, v114
	v_min_f32_e32 v59, v16, v32
	v_max_f32_e32 v5, v5, v5
	v_add_f32_e32 v137, v61, v119
	v_min_f32_e32 v61, v24, v32
	v_dual_add_f32 v95, v95, v145 :: v_dual_add_f32 v94, v94, v146
	v_add_f32_e32 v139, v63, v59
	v_min_f32_e32 v59, v36, v32
	v_min_f32_e32 v32, v40, v32
	v_dual_add_f32 v134, v118, v115 :: v_dual_min_f32 v115, v13, v33
	v_add_f32_e32 v142, v120, v60
	v_dual_add_f32 v96, v96, v143 :: v_dual_add_f32 v97, v97, v144
	v_dual_add_f32 v94, v94, v202 :: v_dual_add_f32 v95, v95, v193
	s_delay_alu instid0(VALU_DEP_4) | instskip(SKIP_1) | instid1(VALU_DEP_4)
	v_add_f32_e32 v138, v62, v115
	v_min_f32_e32 v62, v25, v33
	v_dual_add_f32 v97, v97, v201 :: v_dual_add_f32 v96, v96, v192
	v_min_f32_e32 v60, v29, v6
	s_waitcnt lgkmcnt(0)
	v_max_f32_e32 v45, v45, v45
	v_dual_add_f32 v103, v103, v62 :: v_dual_min_f32 v62, v12, v5
	v_dual_add_f32 v86, v86, v153 :: v_dual_add_f32 v87, v87, v154
	v_add_f32_e32 v97, v97, v60
	s_delay_alu instid0(VALU_DEP_3)
	v_dual_min_f32 v60, v1, v5 :: v_dual_add_f32 v91, v91, v62
	v_min_f32_e32 v62, v25, v6
	v_dual_add_f32 v102, v102, v59 :: v_dual_min_f32 v59, v28, v5
	v_dual_add_f32 v141, v65, v61 :: v_dual_add_f32 v88, v88, v151
	v_add_f32_e32 v89, v89, v152
	v_dual_add_f32 v87, v87, v206 :: v_dual_add_f32 v86, v86, v197
	s_delay_alu instid0(VALU_DEP_4) | instskip(NEXT) | instid1(VALU_DEP_3)
	v_dual_add_f32 v96, v96, v59 :: v_dual_min_f32 v59, v9, v6
	v_dual_add_f32 v89, v89, v205 :: v_dual_add_f32 v88, v88, v196
	v_dual_add_f32 v81, v81, v208 :: v_dual_add_f32 v78, v78, v209
	s_delay_alu instid0(VALU_DEP_3) | instskip(SKIP_3) | instid1(VALU_DEP_4)
	v_dual_add_f32 v94, v94, v59 :: v_dual_min_f32 v59, v13, v6
	v_add_f32_e32 v93, v93, v60
	v_dual_max_f32 v44, v44, v44 :: v_dual_add_f32 v85, v85, v155
	v_add_f32_e32 v82, v82, v156
	v_add_f32_e32 v90, v90, v59
	v_min_f32_e32 v60, v16, v5
	v_min_f32_e32 v33, v41, v33
	;; [unrolled: 1-line block ×3, first 2 shown]
	v_dual_min_f32 v59, v17, v6 :: v_dual_min_f32 v12, v12, v44
	s_delay_alu instid0(VALU_DEP_3) | instskip(NEXT) | instid1(VALU_DEP_3)
	v_dual_add_f32 v88, v88, v60 :: v_dual_add_f32 v33, v98, v33
	v_dual_add_f32 v95, v95, v61 :: v_dual_min_f32 v28, v28, v44
	v_min_f32_e32 v61, v2, v6
	v_dual_add_f32 v85, v85, v198 :: v_dual_add_f32 v82, v82, v207
	v_dual_add_f32 v80, v80, v212 :: v_dual_add_f32 v79, v79, v213
	v_dual_min_f32 v60, v36, v5 :: v_dual_add_f32 v89, v89, v59
	v_dual_min_f32 v16, v16, v44 :: v_dual_min_f32 v59, v37, v6
	v_add_f32_e32 v28, v81, v28
	v_add_f32_e32 v92, v92, v61
	v_dual_min_f32 v61, v24, v5 :: v_dual_add_f32 v12, v75, v12
	v_min_f32_e32 v24, v24, v44
	v_min_f32_e32 v5, v40, v5
	v_dual_min_f32 v36, v36, v44 :: v_dual_min_f32 v29, v29, v45
	v_dual_max_f32 v22, v22, v22 :: v_dual_max_f32 v23, v23, v23
	v_max_f32_e32 v31, v31, v31
	s_delay_alu instid0(VALU_DEP_3)
	v_dual_add_f32 v143, v122, v59 :: v_dual_add_f32 v36, v68, v36
	v_dual_min_f32 v59, v132, v44 :: v_dual_max_f32 v30, v30, v30
	v_add_f32_e32 v29, v80, v29
	v_dual_min_f32 v1, v1, v44 :: v_dual_max_f32 v10, v10, v10
	v_dual_add_f32 v24, v71, v24 :: v_dual_add_f32 v5, v82, v5
	v_dual_min_f32 v40, v40, v44 :: v_dual_min_f32 v9, v9, v45
	v_dual_min_f32 v44, v31, v23 :: v_dual_min_f32 v13, v13, v45
	s_delay_alu instid0(VALU_DEP_4) | instskip(NEXT) | instid1(VALU_DEP_3)
	v_dual_max_f32 v4, v4, v4 :: v_dual_add_f32 v1, v77, v1
	v_dual_add_f32 v40, v124, v40 :: v_dual_add_f32 v9, v79, v9
	s_delay_alu instid0(VALU_DEP_3) | instskip(SKIP_3) | instid1(VALU_DEP_3)
	v_add_f32_e32 v124, v66, v44
	v_dual_min_f32 v44, v10, v22 :: v_dual_max_f32 v3, v3, v3
	v_max_f32_e32 v34, v34, v34
	v_add_f32_e32 v13, v74, v13
	v_dual_min_f32 v25, v25, v45 :: v_dual_add_f32 v122, v99, v44
	s_delay_alu instid0(VALU_DEP_4) | instskip(SKIP_3) | instid1(VALU_DEP_4)
	v_dual_min_f32 v44, v3, v22 :: v_dual_min_f32 v37, v37, v45
	v_min_f32_e32 v6, v41, v6
	v_min_f32_e32 v2, v2, v45
	v_dual_min_f32 v17, v17, v45 :: v_dual_max_f32 v14, v14, v14
	v_dual_min_f32 v41, v41, v45 :: v_dual_add_f32 v120, v104, v44
	v_dual_add_f32 v37, v69, v37 :: v_dual_max_f32 v26, v26, v26
	v_max_f32_e32 v27, v27, v27
	v_min_f32_e32 v45, v30, v22
	v_dual_add_f32 v87, v87, v62 :: v_dual_add_f32 v16, v72, v16
	s_delay_alu instid0(VALU_DEP_4) | instskip(NEXT) | instid1(VALU_DEP_3)
	v_dual_min_f32 v62, v26, v22 :: v_dual_add_f32 v41, v123, v41
	v_dual_add_f32 v123, v67, v45 :: v_dual_max_f32 v42, v42, v42
	v_min_f32_e32 v45, v4, v23
	v_max_f32_e32 v19, v19, v19
	v_dual_max_f32 v35, v35, v35 :: v_dual_max_f32 v8, v8, v8
	v_dual_add_f32 v85, v85, v60 :: v_dual_add_f32 v2, v76, v2
	s_delay_alu instid0(VALU_DEP_4) | instskip(SKIP_3) | instid1(VALU_DEP_3)
	v_add_f32_e32 v119, v100, v45
	v_min_f32_e32 v45, v14, v22
	v_dual_add_f32 v17, v73, v17 :: v_dual_max_f32 v18, v18, v18
	v_dual_max_f32 v11, v11, v11 :: v_dual_max_f32 v38, v38, v38
	v_add_f32_e32 v118, v106, v45
	v_dual_add_f32 v25, v70, v25 :: v_dual_min_f32 v44, v19, v23
	v_add_f32_e32 v78, v78, v59
	s_delay_alu instid0(VALU_DEP_4) | instskip(SKIP_1) | instid1(VALU_DEP_4)
	v_min_f32_e32 v59, v11, v23
	v_max_f32_e32 v15, v15, v15
	v_dual_min_f32 v45, v18, v22 :: v_dual_add_f32 v60, v107, v44
	v_min_f32_e32 v44, v27, v23
	v_dual_max_f32 v39, v39, v39 :: v_dual_add_f32 v32, v121, v32
	v_add_f32_e32 v86, v86, v61
	s_delay_alu instid0(VALU_DEP_4) | instskip(NEXT) | instid1(VALU_DEP_4)
	v_add_f32_e32 v61, v108, v45
	v_dual_add_f32 v63, v109, v44 :: v_dual_min_f32 v44, v38, v22
	s_delay_alu instid0(VALU_DEP_4) | instskip(SKIP_2) | instid1(VALU_DEP_3)
	v_dual_min_f32 v22, v42, v22 :: v_dual_min_f32 v45, v39, v23
	v_add_f32_e32 v121, v84, v59
	v_min_f32_e32 v59, v15, v23
	v_dual_max_f32 v43, v43, v43 :: v_dual_add_f32 v116, v20, v22
	v_dual_min_f32 v20, v10, v34 :: v_dual_add_f32 v65, v112, v44
	s_delay_alu instid0(VALU_DEP_3) | instskip(NEXT) | instid1(VALU_DEP_2)
	v_dual_add_f32 v59, v105, v59 :: v_dual_min_f32 v22, v3, v34
	v_dual_min_f32 v23, v43, v23 :: v_dual_add_f32 v112, v133, v20
	v_dual_min_f32 v20, v14, v34 :: v_dual_max_f32 v7, v7, v7
	s_delay_alu instid0(VALU_DEP_3) | instskip(SKIP_2) | instid1(VALU_DEP_4)
	v_add_f32_e32 v109, v135, v22
	v_min_f32_e32 v22, v27, v35
	v_add_f32_e32 v62, v110, v62
	v_add_f32_e32 v108, v137, v20
	v_min_f32_e32 v20, v18, v34
	v_add_f32_e32 v6, v83, v6
	v_add_f32_e32 v104, v103, v22
	v_dual_min_f32 v22, v42, v34 :: v_dual_add_f32 v115, v21, v23
	s_delay_alu instid0(VALU_DEP_4) | instskip(SKIP_2) | instid1(VALU_DEP_4)
	v_add_f32_e32 v106, v139, v20
	v_dual_min_f32 v23, v15, v35 :: v_dual_min_f32 v20, v38, v34
	v_dual_add_f32 v64, v111, v45 :: v_dual_min_f32 v45, v30, v34
	v_dual_min_f32 v21, v11, v35 :: v_dual_add_f32 v98, v32, v22
	s_delay_alu instid0(VALU_DEP_3) | instskip(NEXT) | instid1(VALU_DEP_3)
	v_add_f32_e32 v102, v102, v20
	v_dual_min_f32 v20, v31, v8 :: v_dual_add_f32 v113, v113, v45
	v_dual_min_f32 v22, v4, v8 :: v_dual_add_f32 v107, v138, v23
	v_min_f32_e32 v23, v26, v34
	s_delay_alu instid0(VALU_DEP_3) | instskip(NEXT) | instid1(VALU_DEP_3)
	v_dual_add_f32 v97, v97, v20 :: v_dual_min_f32 v20, v10, v7
	v_add_f32_e32 v92, v92, v22
	v_min_f32_e32 v22, v18, v7
	s_delay_alu instid0(VALU_DEP_4) | instskip(SKIP_4) | instid1(VALU_DEP_4)
	v_add_f32_e32 v103, v141, v23
	v_min_f32_e32 v23, v30, v7
	v_add_f32_e32 v111, v134, v21
	v_min_f32_e32 v21, v4, v35
	v_dual_add_f32 v95, v95, v20 :: v_dual_min_f32 v20, v14, v7
	v_dual_add_f32 v96, v96, v23 :: v_dual_min_f32 v23, v15, v8
	v_add_f32_e32 v88, v88, v22
	v_max_f32_e32 v22, v47, v47
	s_delay_alu instid0(VALU_DEP_4) | instskip(SKIP_2) | instid1(VALU_DEP_4)
	v_add_f32_e32 v91, v91, v20
	v_min_f32_e32 v20, v27, v8
	v_dual_add_f32 v110, v136, v21 :: v_dual_min_f32 v21, v19, v35
	v_min_f32_e32 v4, v4, v22
	s_delay_alu instid0(VALU_DEP_3) | instskip(NEXT) | instid1(VALU_DEP_3)
	v_dual_add_f32 v90, v90, v23 :: v_dual_add_f32 v87, v87, v20
	v_dual_min_f32 v44, v31, v35 :: v_dual_add_f32 v105, v140, v21
	s_delay_alu instid0(VALU_DEP_3) | instskip(SKIP_2) | instid1(VALU_DEP_3)
	v_dual_min_f32 v21, v39, v35 :: v_dual_add_f32 v76, v2, v4
	v_dual_min_f32 v2, v15, v22 :: v_dual_min_f32 v23, v26, v7
	v_min_f32_e32 v20, v38, v7
	v_dual_add_f32 v100, v142, v21 :: v_dual_min_f32 v21, v43, v35
	s_delay_alu instid0(VALU_DEP_3) | instskip(NEXT) | instid1(VALU_DEP_4)
	v_add_f32_e32 v74, v13, v2
	v_dual_add_f32 v86, v86, v23 :: v_dual_min_f32 v23, v31, v22
	s_delay_alu instid0(VALU_DEP_3) | instskip(SKIP_2) | instid1(VALU_DEP_4)
	v_dual_min_f32 v2, v27, v22 :: v_dual_add_f32 v99, v33, v21
	v_min_f32_e32 v21, v11, v8
	v_add_f32_e32 v85, v85, v20
	v_add_f32_e32 v80, v29, v23
	s_delay_alu instid0(VALU_DEP_4) | instskip(SKIP_4) | instid1(VALU_DEP_3)
	v_add_f32_e32 v70, v25, v2
	v_min_f32_e32 v2, v39, v22
	v_dual_add_f32 v94, v94, v21 :: v_dual_min_f32 v21, v3, v7
	v_min_f32_e32 v7, v42, v7
	v_add_co_u32 v50, s4, v50, 32
	v_dual_add_f32 v114, v131, v44 :: v_dual_add_f32 v93, v93, v21
	s_delay_alu instid0(VALU_DEP_3) | instskip(SKIP_2) | instid1(VALU_DEP_3)
	v_dual_min_f32 v21, v19, v8 :: v_dual_add_f32 v82, v5, v7
	v_add_f32_e32 v69, v37, v2
	v_add_co_ci_u32_e64 v51, s4, 0, v51, s4
	v_add_f32_e32 v89, v89, v21
	v_min_f32_e32 v21, v39, v8
	v_min_f32_e32 v8, v43, v8
	s_add_i32 s28, s28, 8
	ds_store_b32 v125, v129
	ds_store_2addr_stride64_b32 v126, v130, v0 offset1:4
	s_cmp_ge_i32 s28, s12
	v_dual_add_f32 v84, v143, v21 :: v_dual_max_f32 v21, v46, v46
	v_dual_add_f32 v83, v6, v8 :: v_dual_min_f32 v6, v11, v22
	s_waitcnt lgkmcnt(0)
	s_barrier
	s_delay_alu instid0(VALU_DEP_2) | instskip(SKIP_4) | instid1(VALU_DEP_1)
	v_min_f32_e32 v3, v3, v21
	buffer_gl0_inv
	v_add_f32_e32 v79, v9, v6
	v_add_f32_e32 v77, v1, v3
	v_min_f32_e32 v3, v19, v22
	v_add_f32_e32 v73, v17, v3
	v_min_f32_e32 v3, v38, v21
	s_delay_alu instid0(VALU_DEP_1) | instskip(SKIP_3) | instid1(VALU_DEP_4)
	v_dual_add_f32 v68, v36, v3 :: v_dual_min_f32 v5, v30, v21
	v_min_f32_e32 v1, v14, v21
	v_min_f32_e32 v4, v18, v21
	;; [unrolled: 1-line block ×3, first 2 shown]
	v_add_f32_e32 v81, v28, v5
	s_delay_alu instid0(VALU_DEP_4) | instskip(NEXT) | instid1(VALU_DEP_4)
	v_add_f32_e32 v75, v12, v1
	v_dual_add_f32 v72, v16, v4 :: v_dual_min_f32 v1, v26, v21
	v_dual_min_f32 v4, v43, v22 :: v_dual_min_f32 v5, v42, v21
	s_delay_alu instid0(VALU_DEP_2) | instskip(NEXT) | instid1(VALU_DEP_2)
	v_dual_add_f32 v78, v78, v7 :: v_dual_add_f32 v71, v24, v1
	v_dual_add_f32 v67, v41, v4 :: v_dual_add_f32 v66, v40, v5
	s_cbranch_scc1 .LBB101_36
.LBB101_24:                             ; =>This Inner Loop Header: Depth=1
	v_dual_mov_b32 v130, 0 :: v_dual_add_nc_u32 v129, s28, v54
	s_delay_alu instid0(VALU_DEP_1) | instskip(NEXT) | instid1(VALU_DEP_1)
	v_add_nc_u32_e32 v0, 8, v129
	v_cmp_gt_i32_e64 s4, s18, v0
	s_delay_alu instid0(VALU_DEP_1) | instskip(NEXT) | instid1(SALU_CYCLE_1)
	s_and_b32 s4, s4, vcc_lo
	s_and_b32 s4, s23, s4
	s_delay_alu instid0(SALU_CYCLE_1)
	s_and_saveexec_b32 s5, s4
	s_cbranch_execz .LBB101_26
; %bb.25:                               ;   in Loop: Header=BB101_24 Depth=1
	v_add_co_u32 v0, s4, -16, v50
	s_delay_alu instid0(VALU_DEP_1)
	v_add_co_ci_u32_e64 v1, s4, -1, v51, s4
	flat_load_b32 v0, v[0:1]
	s_waitcnt vmcnt(0) lgkmcnt(0)
	v_mul_f32_e32 v130, s19, v0
.LBB101_26:                             ;   in Loop: Header=BB101_24 Depth=1
	s_or_b32 exec_lo, exec_lo, s5
	v_dual_mov_b32 v132, 0 :: v_dual_add_nc_u32 v131, s28, v55
	s_delay_alu instid0(VALU_DEP_1) | instskip(NEXT) | instid1(VALU_DEP_1)
	v_dual_mov_b32 v133, 0 :: v_dual_add_nc_u32 v2, 8, v131
	v_min_i32_e32 v3, s26, v2
	v_cmp_le_i32_e64 s4, s18, v2
	s_delay_alu instid0(VALU_DEP_2) | instskip(NEXT) | instid1(VALU_DEP_2)
	v_mad_i64_i32 v[0:1], null, v3, s25, 0
	s_or_b32 s13, s2, s4
	s_delay_alu instid0(VALU_DEP_1) | instskip(NEXT) | instid1(VALU_DEP_1)
	v_lshlrev_b64 v[0:1], 2, v[0:1]
	v_add_co_u32 v0, s5, s8, v0
	s_delay_alu instid0(VALU_DEP_1) | instskip(SKIP_1) | instid1(SALU_CYCLE_1)
	v_add_co_ci_u32_e64 v1, s5, s9, v1, s5
	s_or_b32 s5, s13, s27
	s_xor_b32 s5, s5, -1
	s_delay_alu instid0(SALU_CYCLE_1)
	s_and_saveexec_b32 s13, s5
	s_cbranch_execz .LBB101_28
; %bb.27:                               ;   in Loop: Header=BB101_24 Depth=1
	v_add_co_u32 v2, s5, v0, v48
	s_delay_alu instid0(VALU_DEP_1)
	v_add_co_ci_u32_e64 v3, s5, v1, v49, s5
	flat_load_b32 v2, v[2:3]
	s_waitcnt vmcnt(0) lgkmcnt(0)
	v_mul_f32_e32 v133, s19, v2
.LBB101_28:                             ;   in Loop: Header=BB101_24 Depth=1
	s_or_b32 exec_lo, exec_lo, s13
	s_or_b32 s4, s3, s4
	s_delay_alu instid0(SALU_CYCLE_1) | instskip(NEXT) | instid1(SALU_CYCLE_1)
	s_or_b32 s4, s4, s27
	s_xor_b32 s4, s4, -1
	s_delay_alu instid0(SALU_CYCLE_1)
	s_and_saveexec_b32 s5, s4
	s_cbranch_execz .LBB101_30
; %bb.29:                               ;   in Loop: Header=BB101_24 Depth=1
	v_add_co_u32 v0, s4, v0, v48
	s_delay_alu instid0(VALU_DEP_1)
	v_add_co_ci_u32_e64 v1, s4, v1, v49, s4
	flat_load_b32 v0, v[0:1] offset:256
	s_waitcnt vmcnt(0) lgkmcnt(0)
	v_mul_f32_e32 v132, s19, v0
.LBB101_30:                             ;   in Loop: Header=BB101_24 Depth=1
	s_or_b32 exec_lo, exec_lo, s5
	ds_load_b128 v[40:43], v127
	ds_load_b128 v[36:39], v127 offset:128
	ds_load_b128 v[32:35], v127 offset:256
	;; [unrolled: 1-line block ×7, first 2 shown]
	ds_load_b128 v[44:47], v128
	ds_load_b128 v[8:11], v128 offset:512
	ds_load_b128 v[4:7], v128 offset:1024
	;; [unrolled: 1-line block ×3, first 2 shown]
	v_add_nc_u32_e32 v129, 12, v129
	ds_store_b32 v101, v130
	v_mov_b32_e32 v130, 0
	ds_store_2addr_stride64_b32 v58, v133, v132 offset1:4
	s_waitcnt lgkmcnt(0)
	v_cmp_gt_i32_e64 s4, s18, v129
	v_mov_b32_e32 v129, 0
	s_barrier
	buffer_gl0_inv
	s_and_b32 s4, s4, vcc_lo
	s_delay_alu instid0(SALU_CYCLE_1) | instskip(NEXT) | instid1(SALU_CYCLE_1)
	s_and_b32 s5, s23, s4
	s_and_saveexec_b32 s4, s5
	s_cbranch_execz .LBB101_32
; %bb.31:                               ;   in Loop: Header=BB101_24 Depth=1
	flat_load_b32 v129, v[50:51]
	s_waitcnt vmcnt(0) lgkmcnt(0)
	v_mul_f32_e32 v129, s19, v129
.LBB101_32:                             ;   in Loop: Header=BB101_24 Depth=1
	s_or_b32 exec_lo, exec_lo, s4
	v_add_nc_u32_e32 v133, 12, v131
	s_delay_alu instid0(VALU_DEP_1) | instskip(SKIP_1) | instid1(VALU_DEP_2)
	v_min_i32_e32 v134, s26, v133
	v_cmp_le_i32_e64 s4, s18, v133
	v_mad_i64_i32 v[131:132], null, v134, s25, 0
	s_delay_alu instid0(VALU_DEP_2) | instskip(NEXT) | instid1(VALU_DEP_1)
	s_or_b32 s13, s2, s4
	v_lshlrev_b64 v[131:132], 2, v[131:132]
	s_delay_alu instid0(VALU_DEP_1) | instskip(NEXT) | instid1(VALU_DEP_1)
	v_add_co_u32 v131, s5, s8, v131
	v_add_co_ci_u32_e64 v132, s5, s9, v132, s5
	s_or_b32 s5, s13, s27
	s_delay_alu instid0(SALU_CYCLE_1) | instskip(NEXT) | instid1(SALU_CYCLE_1)
	s_xor_b32 s5, s5, -1
	s_and_saveexec_b32 s13, s5
	s_cbranch_execz .LBB101_34
; %bb.33:                               ;   in Loop: Header=BB101_24 Depth=1
	v_add_co_u32 v133, s5, v131, v48
	s_delay_alu instid0(VALU_DEP_1)
	v_add_co_ci_u32_e64 v134, s5, v132, v49, s5
	flat_load_b32 v130, v[133:134]
	s_waitcnt vmcnt(0) lgkmcnt(0)
	v_mul_f32_e32 v130, s19, v130
.LBB101_34:                             ;   in Loop: Header=BB101_24 Depth=1
	s_or_b32 exec_lo, exec_lo, s13
	v_dual_max_f32 v44, v44, v44 :: v_dual_max_f32 v45, v45, v45
	v_dual_max_f32 v158, v40, v40 :: v_dual_max_f32 v159, v41, v41
	;; [unrolled: 1-line block ×5, first 2 shown]
	v_max_f32_e32 v142, v8, v8
	v_dual_max_f32 v160, v36, v36 :: v_dual_max_f32 v161, v37, v37
	v_dual_min_f32 v36, v158, v44 :: v_dual_max_f32 v163, v33, v33
	v_dual_max_f32 v162, v32, v32 :: v_dual_max_f32 v165, v29, v29
	v_max_f32_e32 v164, v28, v28
	v_dual_max_f32 v168, v20, v20 :: v_dual_max_f32 v169, v21, v21
	v_dual_min_f32 v16, v166, v44 :: v_dual_max_f32 v173, v13, v13
	v_min_f32_e32 v17, v159, v143
	v_dual_min_f32 v141, v170, v142 :: v_dual_max_f32 v156, v4, v4
	v_dual_max_f32 v157, v5, v5 :: v_dual_min_f32 v4, v171, v143
	v_dual_max_f32 v0, v0, v0 :: v_dual_max_f32 v175, v46, v46
	v_max_f32_e32 v176, v47, v47
	v_dual_max_f32 v208, v42, v42 :: v_dual_max_f32 v209, v43, v43
	v_dual_max_f32 v213, v38, v38 :: v_dual_min_f32 v40, v159, v45
	v_dual_min_f32 v41, v160, v44 :: v_dual_min_f32 v28, v161, v45
	v_min_f32_e32 v29, v162, v44
	v_min_f32_e32 v37, v165, v45
	v_dual_min_f32 v32, v163, v45 :: v_dual_min_f32 v33, v164, v44
	v_dual_min_f32 v20, v167, v45 :: v_dual_min_f32 v21, v168, v44
	;; [unrolled: 1-line block ×17, first 2 shown]
	v_dual_min_f32 v155, v170, v156 :: v_dual_max_f32 v174, v1, v1
	v_dual_min_f32 v1, v171, v157 :: v_dual_min_f32 v156, v172, v156
	v_dual_min_f32 v157, v173, v157 :: v_dual_min_f32 v158, v158, v0
	s_delay_alu instid0(VALU_DEP_3)
	v_dual_min_f32 v159, v159, v174 :: v_dual_min_f32 v160, v160, v0
	v_dual_min_f32 v161, v161, v174 :: v_dual_min_f32 v162, v162, v0
	;; [unrolled: 1-line block ×6, first 2 shown]
	v_min_f32_e32 v171, v171, v174
	v_dual_min_f32 v43, v172, v0 :: v_dual_min_f32 v46, v173, v174
	v_dual_min_f32 v38, v208, v175 :: v_dual_min_f32 v47, v209, v176
	v_max_f32_e32 v0, v39, v39
	v_dual_min_f32 v42, v213, v175 :: v_dual_max_f32 v215, v30, v30
	v_max_f32_e32 v172, v34, v34
	v_max_f32_e32 v216, v31, v31
	;; [unrolled: 1-line block ×3, first 2 shown]
	v_dual_min_f32 v34, v0, v176 :: v_dual_max_f32 v217, v26, v26
	v_min_f32_e32 v31, v215, v175
	v_dual_min_f32 v30, v172, v175 :: v_dual_max_f32 v219, v22, v22
	v_dual_max_f32 v218, v27, v27 :: v_dual_max_f32 v221, v18, v18
	v_max_f32_e32 v220, v23, v23
	v_dual_max_f32 v19, v19, v19 :: v_dual_max_f32 v222, v14, v14
	v_dual_max_f32 v223, v15, v15 :: v_dual_max_f32 v10, v10, v10
	;; [unrolled: 1-line block ×4, first 2 shown]
	v_max_f32_e32 v225, v3, v3
	s_or_b32 s4, s3, s4
	v_min_f32_e32 v39, v216, v176
	v_dual_min_f32 v35, v214, v176 :: v_dual_min_f32 v18, v217, v175
	v_min_f32_e32 v183, v19, v176
	v_dual_min_f32 v173, v218, v176 :: v_dual_min_f32 v22, v219, v175
	v_dual_min_f32 v177, v213, v10 :: v_dual_min_f32 v174, v220, v176
	v_min_f32_e32 v23, v221, v175
	v_dual_min_f32 v175, v222, v175 :: v_dual_min_f32 v184, v223, v176
	;; [unrolled: 3-line block ×3, first 2 shown]
	v_dual_min_f32 v187, v214, v11 :: v_dual_min_f32 v180, v217, v10
	v_dual_min_f32 v188, v216, v11 :: v_dual_min_f32 v181, v219, v10
	;; [unrolled: 1-line block ×12, first 2 shown]
	v_min_f32_e32 v210, v19, v7
	v_dual_min_f32 v211, v223, v7 :: v_dual_min_f32 v208, v208, v224
	v_dual_min_f32 v212, v209, v225 :: v_dual_min_f32 v11, v215, v224
	v_min_f32_e32 v209, v213, v224
	v_dual_min_f32 v213, v0, v225 :: v_dual_min_f32 v2, v217, v224
	v_dual_min_f32 v10, v172, v224 :: v_dual_min_f32 v15, v19, v225
	;; [unrolled: 1-line block ×4, first 2 shown]
	v_min_f32_e32 v172, v218, v225
	v_dual_min_f32 v14, v220, v225 :: v_dual_min_f32 v7, v222, v224
	v_dual_min_f32 v19, v223, v225 :: v_dual_mov_b32 v0, 0
	s_or_b32 s4, s4, s27
	s_delay_alu instid0(SALU_CYCLE_1) | instskip(NEXT) | instid1(SALU_CYCLE_1)
	s_xor_b32 s4, s4, -1
	s_and_saveexec_b32 s5, s4
	s_cbranch_execz .LBB101_23
; %bb.35:                               ;   in Loop: Header=BB101_24 Depth=1
	v_add_co_u32 v131, s4, v131, v48
	s_delay_alu instid0(VALU_DEP_1)
	v_add_co_ci_u32_e64 v132, s4, v132, v49, s4
	flat_load_b32 v0, v[131:132] offset:256
	s_waitcnt vmcnt(0) lgkmcnt(0)
	v_mul_f32_e32 v0, s19, v0
	s_branch .LBB101_23
.LBB101_36:
	s_clause 0x2
	s_load_b64 s[2:3], s[0:1], 0x70
	s_load_b32 s12, s[0:1], 0x50
	s_load_b32 s9, s[0:1], 0x68
	ds_load_b128 v[32:35], v56 offset:5120
	ds_load_b128 v[28:31], v56 offset:5248
	;; [unrolled: 1-line block ×12, first 2 shown]
	v_add_nc_u32_e32 v117, s24, v53
	v_add_nc_u32_e32 v48, s14, v52
	v_cndmask_b32_e64 v101, 0, 1, s21
	s_delay_alu instid0(VALU_DEP_3)
	v_cmp_gt_i32_e64 s8, s17, v117
	s_waitcnt lgkmcnt(0)
	s_mul_i32 s0, s15, s3
	v_mad_i64_i32 v[49:50], null, v117, s12, 0
	v_mad_i64_i32 v[53:54], null, v117, s9, 0
	s_mul_hi_u32 s1, s15, s2
	s_mul_i32 s3, s22, s2
	s_add_i32 s1, s1, s0
	s_mul_i32 s0, s15, s2
	s_delay_alu instid0(VALU_DEP_2) | instskip(SKIP_1) | instid1(VALU_DEP_2)
	v_lshlrev_b64 v[49:50], 2, v[49:50]
	s_add_i32 s1, s1, s3
	v_lshlrev_b64 v[51:52], 2, v[53:54]
	s_lshl_b64 s[0:1], s[0:1], 2
	s_delay_alu instid0(SALU_CYCLE_1) | instskip(NEXT) | instid1(VALU_DEP_2)
	s_add_u32 s13, s6, s0
	v_add_co_u32 v127, vcc_lo, s10, v49
	v_add_co_ci_u32_e32 v128, vcc_lo, s11, v50, vcc_lo
	s_addc_u32 s14, s7, s1
	v_add_co_u32 v125, vcc_lo, s13, v51
	v_cmp_gt_i32_e64 s0, s16, v48
	v_add_co_ci_u32_e32 v126, vcc_lo, s14, v52, vcc_lo
	v_ashrrev_i32_e32 v49, 31, v48
	s_delay_alu instid0(VALU_DEP_3) | instskip(NEXT) | instid1(SALU_CYCLE_1)
	s_and_b32 s2, s0, s8
	s_and_saveexec_b32 s1, s2
	s_cbranch_execz .LBB101_41
; %bb.37:
	s_delay_alu instid0(VALU_DEP_1)
	v_lshlrev_b64 v[50:51], 2, v[48:49]
	s_and_not1_b32 vcc_lo, exec_lo, s21
	s_cbranch_vccnz .LBB101_39
; %bb.38:
	s_delay_alu instid0(VALU_DEP_1) | instskip(NEXT) | instid1(VALU_DEP_2)
	v_add_co_u32 v52, vcc_lo, v127, v50
	v_add_co_ci_u32_e32 v53, vcc_lo, v128, v51, vcc_lo
	flat_load_b32 v52, v[52:53]
	s_waitcnt vmcnt(0) lgkmcnt(0)
	v_mul_f32_e32 v52, s20, v52
	s_branch .LBB101_40
.LBB101_39:
	v_mov_b32_e32 v52, 0
.LBB101_40:
	v_dual_max_f32 v53, v45, v45 :: v_dual_max_f32 v56, v32, v32
	v_dual_max_f32 v54, v33, v33 :: v_dual_max_f32 v55, v44, v44
	;; [unrolled: 1-line block ×3, first 2 shown]
	v_max_f32_e32 v129, v35, v35
	s_delay_alu instid0(VALU_DEP_3) | instskip(NEXT) | instid1(VALU_DEP_4)
	v_min_f32_e32 v53, v54, v53
	v_dual_max_f32 v54, v34, v34 :: v_dual_min_f32 v55, v56, v55
	v_add_co_u32 v50, vcc_lo, v125, v50
	v_add_co_ci_u32_e32 v51, vcc_lo, v126, v51, vcc_lo
	s_delay_alu instid0(VALU_DEP_3) | instskip(NEXT) | instid1(VALU_DEP_4)
	v_min_f32_e32 v54, v54, v57
	v_dual_min_f32 v56, v129, v58 :: v_dual_add_f32 v55, v123, v55
	s_delay_alu instid0(VALU_DEP_1) | instskip(NEXT) | instid1(VALU_DEP_1)
	v_dual_add_f32 v53, v124, v53 :: v_dual_add_f32 v54, v55, v54
	v_add_f32_e32 v53, v53, v56
	s_delay_alu instid0(VALU_DEP_1) | instskip(NEXT) | instid1(VALU_DEP_1)
	v_add_f32_e32 v53, v54, v53
	v_add_f32_e32 v52, v53, v52
	global_store_b32 v[50:51], v52, off
.LBB101_41:
	s_or_b32 exec_lo, exec_lo, s1
	v_add_nc_u32_e32 v50, 8, v48
	s_delay_alu instid0(VALU_DEP_1) | instskip(SKIP_1) | instid1(VALU_DEP_2)
	v_cmp_gt_i32_e64 s1, s16, v50
	v_ashrrev_i32_e32 v51, 31, v50
	s_and_b32 s3, s1, s8
	s_delay_alu instid0(SALU_CYCLE_1)
	s_and_saveexec_b32 s2, s3
	s_cbranch_execz .LBB101_46
; %bb.42:
	v_cmp_ne_u32_e32 vcc_lo, 1, v101
	v_lshlrev_b64 v[52:53], 2, v[50:51]
	s_cbranch_vccnz .LBB101_44
; %bb.43:
	s_delay_alu instid0(VALU_DEP_1) | instskip(NEXT) | instid1(VALU_DEP_2)
	v_add_co_u32 v54, vcc_lo, v127, v52
	v_add_co_ci_u32_e32 v55, vcc_lo, v128, v53, vcc_lo
	flat_load_b32 v54, v[54:55]
	s_waitcnt vmcnt(0) lgkmcnt(0)
	v_mul_f32_e32 v54, s20, v54
	s_branch .LBB101_45
.LBB101_44:
	v_mov_b32_e32 v54, 0
.LBB101_45:
	v_dual_max_f32 v55, v45, v45 :: v_dual_max_f32 v58, v28, v28
	v_dual_max_f32 v56, v29, v29 :: v_dual_max_f32 v57, v44, v44
	;; [unrolled: 1-line block ×3, first 2 shown]
	v_add_co_u32 v52, vcc_lo, v125, v52
	s_delay_alu instid0(VALU_DEP_3) | instskip(NEXT) | instid1(VALU_DEP_4)
	v_dual_min_f32 v55, v56, v55 :: v_dual_max_f32 v56, v30, v30
	v_min_f32_e32 v57, v58, v57
	v_add_co_ci_u32_e32 v53, vcc_lo, v126, v53, vcc_lo
	s_delay_alu instid0(VALU_DEP_3) | instskip(NEXT) | instid1(VALU_DEP_3)
	v_add_f32_e32 v55, v121, v55
	v_dual_min_f32 v56, v56, v123 :: v_dual_add_f32 v57, v122, v57
	s_delay_alu instid0(VALU_DEP_1) | instskip(NEXT) | instid1(VALU_DEP_1)
	v_dual_max_f32 v129, v31, v31 :: v_dual_add_f32 v56, v57, v56
	v_min_f32_e32 v58, v129, v124
	s_delay_alu instid0(VALU_DEP_1) | instskip(NEXT) | instid1(VALU_DEP_1)
	v_add_f32_e32 v55, v55, v58
	v_add_f32_e32 v55, v56, v55
	s_delay_alu instid0(VALU_DEP_1)
	v_add_f32_e32 v54, v55, v54
	global_store_b32 v[52:53], v54, off
.LBB101_46:
	s_or_b32 exec_lo, exec_lo, s2
	v_add_nc_u32_e32 v52, 16, v48
	s_delay_alu instid0(VALU_DEP_1) | instskip(SKIP_1) | instid1(VALU_DEP_2)
	v_cmp_gt_i32_e64 s2, s16, v52
	v_ashrrev_i32_e32 v53, 31, v52
	s_and_b32 s4, s2, s8
	s_delay_alu instid0(SALU_CYCLE_1)
	s_and_saveexec_b32 s3, s4
	s_cbranch_execz .LBB101_51
; %bb.47:
	v_cmp_ne_u32_e32 vcc_lo, 1, v101
	v_lshlrev_b64 v[54:55], 2, v[52:53]
	s_cbranch_vccnz .LBB101_49
; %bb.48:
	s_delay_alu instid0(VALU_DEP_1) | instskip(NEXT) | instid1(VALU_DEP_2)
	v_add_co_u32 v56, vcc_lo, v127, v54
	v_add_co_ci_u32_e32 v57, vcc_lo, v128, v55, vcc_lo
	flat_load_b32 v56, v[56:57]
	s_waitcnt vmcnt(0) lgkmcnt(0)
	v_mul_f32_e32 v56, s20, v56
	s_branch .LBB101_50
.LBB101_49:
	v_mov_b32_e32 v56, 0
.LBB101_50:
	v_dual_max_f32 v57, v45, v45 :: v_dual_max_f32 v122, v24, v24
	v_dual_max_f32 v58, v25, v25 :: v_dual_max_f32 v121, v44, v44
	v_dual_max_f32 v123, v46, v46 :: v_dual_max_f32 v124, v47, v47
	v_add_co_u32 v54, vcc_lo, v125, v54
	s_delay_alu instid0(VALU_DEP_3) | instskip(SKIP_1) | instid1(VALU_DEP_2)
	v_min_f32_e32 v121, v122, v121
	v_add_co_ci_u32_e32 v55, vcc_lo, v126, v55, vcc_lo
	v_dual_max_f32 v129, v27, v27 :: v_dual_add_f32 v120, v120, v121
	v_min_f32_e32 v57, v58, v57
	v_max_f32_e32 v58, v26, v26
	s_delay_alu instid0(VALU_DEP_1) | instskip(NEXT) | instid1(VALU_DEP_1)
	v_min_f32_e32 v58, v58, v123
	v_dual_add_f32 v58, v120, v58 :: v_dual_add_f32 v57, v119, v57
	v_min_f32_e32 v119, v129, v124
	s_delay_alu instid0(VALU_DEP_1) | instskip(NEXT) | instid1(VALU_DEP_1)
	v_add_f32_e32 v57, v57, v119
	v_add_f32_e32 v57, v58, v57
	s_delay_alu instid0(VALU_DEP_1)
	v_add_f32_e32 v56, v57, v56
	global_store_b32 v[54:55], v56, off
.LBB101_51:
	s_or_b32 exec_lo, exec_lo, s3
	v_add_nc_u32_e32 v54, 24, v48
	s_delay_alu instid0(VALU_DEP_1) | instskip(SKIP_1) | instid1(VALU_DEP_2)
	v_cmp_gt_i32_e64 s3, s16, v54
	v_ashrrev_i32_e32 v55, 31, v54
	s_and_b32 s5, s3, s8
	s_delay_alu instid0(SALU_CYCLE_1)
	s_and_saveexec_b32 s4, s5
	s_cbranch_execz .LBB101_56
; %bb.52:
	v_cmp_ne_u32_e32 vcc_lo, 1, v101
	v_lshlrev_b64 v[56:57], 2, v[54:55]
	s_cbranch_vccnz .LBB101_54
; %bb.53:
	s_delay_alu instid0(VALU_DEP_1) | instskip(NEXT) | instid1(VALU_DEP_2)
	v_add_co_u32 v119, vcc_lo, v127, v56
	v_add_co_ci_u32_e32 v120, vcc_lo, v128, v57, vcc_lo
	flat_load_b32 v58, v[119:120]
	s_waitcnt vmcnt(0) lgkmcnt(0)
	v_mul_f32_e32 v58, s20, v58
	s_branch .LBB101_55
.LBB101_54:
	v_mov_b32_e32 v58, 0
.LBB101_55:
	v_dual_max_f32 v119, v45, v45 :: v_dual_max_f32 v122, v20, v20
	v_dual_max_f32 v120, v21, v21 :: v_dual_max_f32 v121, v44, v44
	;; [unrolled: 1-line block ×3, first 2 shown]
	v_add_co_u32 v56, vcc_lo, v125, v56
	s_delay_alu instid0(VALU_DEP_3) | instskip(NEXT) | instid1(VALU_DEP_4)
	v_dual_min_f32 v119, v120, v119 :: v_dual_max_f32 v120, v22, v22
	v_min_f32_e32 v121, v122, v121
	v_max_f32_e32 v129, v23, v23
	v_add_co_ci_u32_e32 v57, vcc_lo, v126, v57, vcc_lo
	s_delay_alu instid0(VALU_DEP_3) | instskip(NEXT) | instid1(VALU_DEP_3)
	v_dual_add_f32 v59, v59, v119 :: v_dual_add_f32 v118, v118, v121
	v_dual_min_f32 v119, v120, v123 :: v_dual_min_f32 v120, v129, v124
	s_delay_alu instid0(VALU_DEP_1) | instskip(NEXT) | instid1(VALU_DEP_1)
	v_dual_add_f32 v118, v118, v119 :: v_dual_add_f32 v59, v59, v120
	v_add_f32_e32 v59, v118, v59
	s_delay_alu instid0(VALU_DEP_1)
	v_add_f32_e32 v58, v59, v58
	global_store_b32 v[56:57], v58, off
.LBB101_56:
	s_or_b32 exec_lo, exec_lo, s4
	v_add_nc_u32_e32 v56, 32, v48
	s_delay_alu instid0(VALU_DEP_1) | instskip(SKIP_1) | instid1(VALU_DEP_2)
	v_cmp_gt_i32_e64 s4, s16, v56
	v_ashrrev_i32_e32 v57, 31, v56
	s_and_b32 s6, s4, s8
	s_delay_alu instid0(SALU_CYCLE_1)
	s_and_saveexec_b32 s5, s6
	s_cbranch_execz .LBB101_61
; %bb.57:
	v_cmp_ne_u32_e32 vcc_lo, 1, v101
	v_lshlrev_b64 v[58:59], 2, v[56:57]
	s_cbranch_vccnz .LBB101_59
; %bb.58:
	s_delay_alu instid0(VALU_DEP_1) | instskip(NEXT) | instid1(VALU_DEP_2)
	v_add_co_u32 v118, vcc_lo, v127, v58
	v_add_co_ci_u32_e32 v119, vcc_lo, v128, v59, vcc_lo
	flat_load_b32 v118, v[118:119]
	s_waitcnt vmcnt(0) lgkmcnt(0)
	v_mul_f32_e32 v118, s20, v118
	s_branch .LBB101_60
.LBB101_59:
	v_mov_b32_e32 v118, 0
.LBB101_60:
	v_dual_max_f32 v119, v45, v45 :: v_dual_max_f32 v122, v16, v16
	v_dual_max_f32 v120, v17, v17 :: v_dual_max_f32 v121, v44, v44
	;; [unrolled: 1-line block ×3, first 2 shown]
	v_add_co_u32 v58, vcc_lo, v125, v58
	s_delay_alu instid0(VALU_DEP_3) | instskip(NEXT) | instid1(VALU_DEP_4)
	v_dual_min_f32 v119, v120, v119 :: v_dual_max_f32 v120, v18, v18
	v_min_f32_e32 v121, v122, v121
	v_add_co_ci_u32_e32 v59, vcc_lo, v126, v59, vcc_lo
	s_delay_alu instid0(VALU_DEP_3) | instskip(SKIP_3) | instid1(VALU_DEP_3)
	v_add_f32_e32 v60, v60, v119
	v_max_f32_e32 v129, v19, v19
	v_min_f32_e32 v119, v120, v123
	v_add_f32_e32 v61, v61, v121
	v_min_f32_e32 v120, v129, v124
	s_delay_alu instid0(VALU_DEP_1) | instskip(NEXT) | instid1(VALU_DEP_1)
	v_dual_add_f32 v61, v61, v119 :: v_dual_add_f32 v60, v60, v120
	v_add_f32_e32 v60, v61, v60
	s_delay_alu instid0(VALU_DEP_1)
	v_add_f32_e32 v60, v60, v118
	global_store_b32 v[58:59], v60, off
.LBB101_61:
	s_or_b32 exec_lo, exec_lo, s5
	v_add_nc_u32_e32 v58, 40, v48
	s_delay_alu instid0(VALU_DEP_1) | instskip(SKIP_1) | instid1(VALU_DEP_2)
	v_cmp_gt_i32_e64 s5, s16, v58
	v_ashrrev_i32_e32 v59, 31, v58
	s_and_b32 s7, s5, s8
	s_delay_alu instid0(SALU_CYCLE_1)
	s_and_saveexec_b32 s6, s7
	s_cbranch_execz .LBB101_66
; %bb.62:
	v_cmp_ne_u32_e32 vcc_lo, 1, v101
	v_lshlrev_b64 v[60:61], 2, v[58:59]
	s_cbranch_vccnz .LBB101_64
; %bb.63:
	s_delay_alu instid0(VALU_DEP_1) | instskip(NEXT) | instid1(VALU_DEP_2)
	v_add_co_u32 v118, vcc_lo, v127, v60
	v_add_co_ci_u32_e32 v119, vcc_lo, v128, v61, vcc_lo
	flat_load_b32 v118, v[118:119]
	s_waitcnt vmcnt(0) lgkmcnt(0)
	v_mul_f32_e32 v118, s20, v118
	s_branch .LBB101_65
.LBB101_64:
	v_mov_b32_e32 v118, 0
.LBB101_65:
	v_dual_max_f32 v119, v45, v45 :: v_dual_max_f32 v122, v12, v12
	v_dual_max_f32 v120, v13, v13 :: v_dual_max_f32 v121, v44, v44
	v_dual_max_f32 v123, v46, v46 :: v_dual_max_f32 v124, v47, v47
	v_add_co_u32 v60, vcc_lo, v125, v60
	s_delay_alu instid0(VALU_DEP_3) | instskip(NEXT) | instid1(VALU_DEP_4)
	v_dual_min_f32 v119, v120, v119 :: v_dual_max_f32 v120, v14, v14
	v_min_f32_e32 v121, v122, v121
	v_max_f32_e32 v129, v15, v15
	v_add_co_ci_u32_e32 v61, vcc_lo, v126, v61, vcc_lo
	s_delay_alu instid0(VALU_DEP_4) | instskip(NEXT) | instid1(VALU_DEP_4)
	v_add_f32_e32 v63, v63, v119
	v_dual_min_f32 v119, v120, v123 :: v_dual_add_f32 v62, v62, v121
	s_delay_alu instid0(VALU_DEP_4) | instskip(NEXT) | instid1(VALU_DEP_1)
	v_min_f32_e32 v120, v129, v124
	v_dual_add_f32 v62, v62, v119 :: v_dual_add_f32 v63, v63, v120
	s_delay_alu instid0(VALU_DEP_1) | instskip(NEXT) | instid1(VALU_DEP_1)
	v_add_f32_e32 v62, v62, v63
	v_add_f32_e32 v62, v62, v118
	global_store_b32 v[60:61], v62, off
.LBB101_66:
	s_or_b32 exec_lo, exec_lo, s6
	v_add_nc_u32_e32 v60, 48, v48
	s_delay_alu instid0(VALU_DEP_1) | instskip(SKIP_1) | instid1(VALU_DEP_2)
	v_cmp_gt_i32_e64 s6, s16, v60
	v_ashrrev_i32_e32 v61, 31, v60
	s_and_b32 s15, s6, s8
	s_delay_alu instid0(SALU_CYCLE_1)
	s_and_saveexec_b32 s7, s15
	s_cbranch_execz .LBB101_71
; %bb.67:
	v_cmp_ne_u32_e32 vcc_lo, 1, v101
	v_lshlrev_b64 v[62:63], 2, v[60:61]
	s_cbranch_vccnz .LBB101_69
; %bb.68:
	s_delay_alu instid0(VALU_DEP_1) | instskip(NEXT) | instid1(VALU_DEP_2)
	v_add_co_u32 v118, vcc_lo, v127, v62
	v_add_co_ci_u32_e32 v119, vcc_lo, v128, v63, vcc_lo
	flat_load_b32 v118, v[118:119]
	s_waitcnt vmcnt(0) lgkmcnt(0)
	v_mul_f32_e32 v118, s20, v118
	s_branch .LBB101_70
.LBB101_69:
	v_mov_b32_e32 v118, 0
.LBB101_70:
	v_dual_max_f32 v119, v45, v45 :: v_dual_max_f32 v122, v8, v8
	v_dual_max_f32 v120, v9, v9 :: v_dual_max_f32 v121, v44, v44
	v_dual_max_f32 v123, v46, v46 :: v_dual_max_f32 v124, v47, v47
	v_add_co_u32 v62, vcc_lo, v125, v62
	s_delay_alu instid0(VALU_DEP_3) | instskip(NEXT) | instid1(VALU_DEP_4)
	v_dual_min_f32 v119, v120, v119 :: v_dual_max_f32 v120, v10, v10
	v_min_f32_e32 v121, v122, v121
	v_add_co_ci_u32_e32 v63, vcc_lo, v126, v63, vcc_lo
	s_delay_alu instid0(VALU_DEP_3) | instskip(SKIP_3) | instid1(VALU_DEP_3)
	v_add_f32_e32 v64, v64, v119
	v_max_f32_e32 v129, v11, v11
	v_min_f32_e32 v119, v120, v123
	v_add_f32_e32 v65, v65, v121
	v_min_f32_e32 v120, v129, v124
	s_delay_alu instid0(VALU_DEP_1) | instskip(NEXT) | instid1(VALU_DEP_1)
	v_dual_add_f32 v65, v65, v119 :: v_dual_add_f32 v64, v64, v120
	v_add_f32_e32 v64, v65, v64
	s_delay_alu instid0(VALU_DEP_1)
	v_add_f32_e32 v64, v64, v118
	global_store_b32 v[62:63], v64, off
.LBB101_71:
	s_or_b32 exec_lo, exec_lo, s7
	v_add_nc_u32_e32 v62, 56, v48
	s_delay_alu instid0(VALU_DEP_1) | instskip(SKIP_1) | instid1(VALU_DEP_2)
	v_cmp_gt_i32_e64 s7, s16, v62
	v_ashrrev_i32_e32 v63, 31, v62
	s_and_b32 s15, s7, s8
	s_delay_alu instid0(SALU_CYCLE_1)
	s_and_saveexec_b32 s8, s15
	s_cbranch_execz .LBB101_76
; %bb.72:
	v_cmp_ne_u32_e32 vcc_lo, 1, v101
	v_lshlrev_b64 v[64:65], 2, v[62:63]
	s_cbranch_vccnz .LBB101_74
; %bb.73:
	s_delay_alu instid0(VALU_DEP_1) | instskip(NEXT) | instid1(VALU_DEP_2)
	v_add_co_u32 v118, vcc_lo, v127, v64
	v_add_co_ci_u32_e32 v119, vcc_lo, v128, v65, vcc_lo
	flat_load_b32 v118, v[118:119]
	s_waitcnt vmcnt(0) lgkmcnt(0)
	v_mul_f32_e32 v118, s20, v118
	s_branch .LBB101_75
.LBB101_74:
	v_mov_b32_e32 v118, 0
.LBB101_75:
	v_dual_max_f32 v45, v45, v45 :: v_dual_max_f32 v44, v44, v44
	v_dual_max_f32 v119, v1, v1 :: v_dual_max_f32 v120, v0, v0
	s_delay_alu instid0(VALU_DEP_1) | instskip(NEXT) | instid1(VALU_DEP_2)
	v_dual_max_f32 v46, v46, v46 :: v_dual_min_f32 v45, v119, v45
	v_dual_max_f32 v119, v2, v2 :: v_dual_min_f32 v44, v120, v44
	v_max_f32_e32 v47, v47, v47
	s_delay_alu instid0(VALU_DEP_2) | instskip(NEXT) | instid1(VALU_DEP_3)
	v_dual_add_f32 v45, v115, v45 :: v_dual_add_f32 v44, v116, v44
	v_min_f32_e32 v46, v119, v46
	s_delay_alu instid0(VALU_DEP_1) | instskip(NEXT) | instid1(VALU_DEP_1)
	v_dual_max_f32 v121, v3, v3 :: v_dual_add_f32 v44, v44, v46
	v_min_f32_e32 v47, v121, v47
	s_delay_alu instid0(VALU_DEP_1) | instskip(NEXT) | instid1(VALU_DEP_1)
	v_add_f32_e32 v45, v45, v47
	v_add_f32_e32 v44, v44, v45
	s_delay_alu instid0(VALU_DEP_1)
	v_add_f32_e32 v46, v44, v118
	v_add_co_u32 v44, vcc_lo, v125, v64
	v_add_co_ci_u32_e32 v45, vcc_lo, v126, v65, vcc_lo
	global_store_b32 v[44:45], v46, off
.LBB101_76:
	s_or_b32 exec_lo, exec_lo, s8
	v_add_nc_u32_e32 v64, 32, v117
	s_delay_alu instid0(VALU_DEP_1) | instskip(SKIP_2) | instid1(VALU_DEP_3)
	v_mad_i64_i32 v[44:45], null, v64, s12, 0
	v_mad_i64_i32 v[46:47], null, v64, s9, 0
	v_cmp_gt_i32_e64 s8, s17, v64
	v_lshlrev_b64 v[44:45], 2, v[44:45]
	s_delay_alu instid0(VALU_DEP_2) | instskip(NEXT) | instid1(VALU_DEP_3)
	s_and_b32 s16, s0, s8
	v_lshlrev_b64 v[46:47], 2, v[46:47]
	s_delay_alu instid0(VALU_DEP_2) | instskip(NEXT) | instid1(VALU_DEP_3)
	v_add_co_u32 v64, vcc_lo, s10, v44
	v_add_co_ci_u32_e32 v65, vcc_lo, s11, v45, vcc_lo
	s_delay_alu instid0(VALU_DEP_3) | instskip(NEXT) | instid1(VALU_DEP_4)
	v_add_co_u32 v46, vcc_lo, s13, v46
	v_add_co_ci_u32_e32 v47, vcc_lo, s14, v47, vcc_lo
	s_and_saveexec_b32 s15, s16
	s_cbranch_execnz .LBB101_84
; %bb.77:
	s_or_b32 exec_lo, exec_lo, s15
	s_and_b32 s16, s1, s8
	s_delay_alu instid0(SALU_CYCLE_1)
	s_and_saveexec_b32 s15, s16
	s_cbranch_execnz .LBB101_88
.LBB101_78:
	s_or_b32 exec_lo, exec_lo, s15
	s_and_b32 s16, s2, s8
	s_delay_alu instid0(SALU_CYCLE_1)
	s_and_saveexec_b32 s15, s16
	s_cbranch_execnz .LBB101_92
.LBB101_79:
	s_or_b32 exec_lo, exec_lo, s15
	s_and_b32 s16, s3, s8
	s_delay_alu instid0(SALU_CYCLE_1)
	s_and_saveexec_b32 s15, s16
	s_cbranch_execnz .LBB101_96
.LBB101_80:
	s_or_b32 exec_lo, exec_lo, s15
	s_and_b32 s16, s4, s8
	s_delay_alu instid0(SALU_CYCLE_1)
	s_and_saveexec_b32 s15, s16
	s_cbranch_execnz .LBB101_100
.LBB101_81:
	s_or_b32 exec_lo, exec_lo, s15
	s_and_b32 s16, s5, s8
	s_delay_alu instid0(SALU_CYCLE_1)
	s_and_saveexec_b32 s15, s16
	s_cbranch_execnz .LBB101_104
.LBB101_82:
	s_or_b32 exec_lo, exec_lo, s15
	s_and_b32 s16, s6, s8
	s_delay_alu instid0(SALU_CYCLE_1)
	s_and_saveexec_b32 s15, s16
	s_cbranch_execnz .LBB101_108
.LBB101_83:
	s_or_b32 exec_lo, exec_lo, s15
	s_and_b32 s15, s7, s8
	s_delay_alu instid0(SALU_CYCLE_1)
	s_and_saveexec_b32 s8, s15
	s_cbranch_execnz .LBB101_112
	s_branch .LBB101_116
.LBB101_84:
	v_cmp_ne_u32_e32 vcc_lo, 1, v101
	v_lshlrev_b64 v[44:45], 2, v[48:49]
	s_cbranch_vccnz .LBB101_86
; %bb.85:
	s_delay_alu instid0(VALU_DEP_1) | instskip(NEXT) | instid1(VALU_DEP_2)
	v_add_co_u32 v115, vcc_lo, v64, v44
	v_add_co_ci_u32_e32 v116, vcc_lo, v65, v45, vcc_lo
	flat_load_b32 v115, v[115:116]
	s_waitcnt vmcnt(0) lgkmcnt(0)
	v_mul_f32_e32 v115, s20, v115
	s_branch .LBB101_87
.LBB101_86:
	v_mov_b32_e32 v115, 0
.LBB101_87:
	v_dual_max_f32 v116, v41, v41 :: v_dual_max_f32 v119, v40, v40
	v_dual_max_f32 v118, v33, v33 :: v_dual_max_f32 v121, v42, v42
	;; [unrolled: 1-line block ×3, first 2 shown]
	v_add_co_u32 v44, vcc_lo, v46, v44
	s_delay_alu instid0(VALU_DEP_2) | instskip(SKIP_2) | instid1(VALU_DEP_3)
	v_dual_min_f32 v116, v118, v116 :: v_dual_min_f32 v119, v120, v119
	v_max_f32_e32 v118, v34, v34
	v_add_co_ci_u32_e32 v45, vcc_lo, v47, v45, vcc_lo
	v_dual_add_f32 v114, v114, v116 :: v_dual_add_f32 v113, v113, v119
	s_delay_alu instid0(VALU_DEP_3) | instskip(NEXT) | instid1(VALU_DEP_1)
	v_min_f32_e32 v116, v118, v121
	v_dual_max_f32 v122, v43, v43 :: v_dual_add_f32 v113, v113, v116
	s_delay_alu instid0(VALU_DEP_1) | instskip(NEXT) | instid1(VALU_DEP_1)
	v_min_f32_e32 v118, v123, v122
	v_add_f32_e32 v114, v114, v118
	s_delay_alu instid0(VALU_DEP_1) | instskip(NEXT) | instid1(VALU_DEP_1)
	v_add_f32_e32 v113, v113, v114
	v_add_f32_e32 v113, v113, v115
	global_store_b32 v[44:45], v113, off
	s_or_b32 exec_lo, exec_lo, s15
	s_and_b32 s16, s1, s8
	s_delay_alu instid0(SALU_CYCLE_1)
	s_and_saveexec_b32 s15, s16
	s_cbranch_execz .LBB101_78
.LBB101_88:
	v_cmp_ne_u32_e32 vcc_lo, 1, v101
	v_lshlrev_b64 v[44:45], 2, v[50:51]
	s_cbranch_vccnz .LBB101_90
; %bb.89:
	s_delay_alu instid0(VALU_DEP_1) | instskip(NEXT) | instid1(VALU_DEP_2)
	v_add_co_u32 v113, vcc_lo, v64, v44
	v_add_co_ci_u32_e32 v114, vcc_lo, v65, v45, vcc_lo
	flat_load_b32 v113, v[113:114]
	s_waitcnt vmcnt(0) lgkmcnt(0)
	v_mul_f32_e32 v113, s20, v113
	s_branch .LBB101_91
.LBB101_90:
	v_mov_b32_e32 v113, 0
.LBB101_91:
	v_dual_max_f32 v114, v41, v41 :: v_dual_max_f32 v119, v42, v42
	v_dual_max_f32 v115, v29, v29 :: v_dual_max_f32 v116, v40, v40
	v_max_f32_e32 v118, v28, v28
	v_max_f32_e32 v120, v43, v43
	;; [unrolled: 1-line block ×3, first 2 shown]
	s_delay_alu instid0(VALU_DEP_4) | instskip(SKIP_3) | instid1(VALU_DEP_4)
	v_min_f32_e32 v114, v115, v114
	v_max_f32_e32 v115, v30, v30
	v_min_f32_e32 v116, v118, v116
	v_add_co_u32 v44, vcc_lo, v46, v44
	v_add_f32_e32 v111, v111, v114
	s_delay_alu instid0(VALU_DEP_4) | instskip(NEXT) | instid1(VALU_DEP_4)
	v_min_f32_e32 v114, v115, v119
	v_add_f32_e32 v112, v112, v116
	v_min_f32_e32 v115, v121, v120
	v_add_co_ci_u32_e32 v45, vcc_lo, v47, v45, vcc_lo
	s_delay_alu instid0(VALU_DEP_2) | instskip(NEXT) | instid1(VALU_DEP_1)
	v_dual_add_f32 v112, v112, v114 :: v_dual_add_f32 v111, v111, v115
	v_add_f32_e32 v111, v112, v111
	s_delay_alu instid0(VALU_DEP_1) | instskip(SKIP_3) | instid1(SALU_CYCLE_1)
	v_add_f32_e32 v111, v111, v113
	global_store_b32 v[44:45], v111, off
	s_or_b32 exec_lo, exec_lo, s15
	s_and_b32 s16, s2, s8
	s_and_saveexec_b32 s15, s16
	s_cbranch_execz .LBB101_79
.LBB101_92:
	v_cmp_ne_u32_e32 vcc_lo, 1, v101
	v_lshlrev_b64 v[44:45], 2, v[52:53]
	s_cbranch_vccnz .LBB101_94
; %bb.93:
	s_delay_alu instid0(VALU_DEP_1) | instskip(NEXT) | instid1(VALU_DEP_2)
	v_add_co_u32 v111, vcc_lo, v64, v44
	v_add_co_ci_u32_e32 v112, vcc_lo, v65, v45, vcc_lo
	flat_load_b32 v111, v[111:112]
	s_waitcnt vmcnt(0) lgkmcnt(0)
	v_mul_f32_e32 v111, s20, v111
	s_branch .LBB101_95
.LBB101_94:
	v_mov_b32_e32 v111, 0
.LBB101_95:
	v_dual_max_f32 v112, v41, v41 :: v_dual_max_f32 v115, v24, v24
	v_dual_max_f32 v113, v25, v25 :: v_dual_max_f32 v114, v40, v40
	;; [unrolled: 1-line block ×3, first 2 shown]
	v_add_co_u32 v44, vcc_lo, v46, v44
	s_delay_alu instid0(VALU_DEP_3) | instskip(SKIP_1) | instid1(VALU_DEP_2)
	v_dual_min_f32 v112, v113, v112 :: v_dual_max_f32 v113, v26, v26
	v_add_co_ci_u32_e32 v45, vcc_lo, v47, v45, vcc_lo
	v_add_f32_e32 v110, v110, v112
	s_delay_alu instid0(VALU_DEP_3) | instskip(SKIP_1) | instid1(VALU_DEP_1)
	v_min_f32_e32 v112, v113, v116
	v_min_f32_e32 v114, v115, v114
	v_dual_max_f32 v118, v43, v43 :: v_dual_add_f32 v109, v109, v114
	s_delay_alu instid0(VALU_DEP_1) | instskip(NEXT) | instid1(VALU_DEP_1)
	v_min_f32_e32 v113, v119, v118
	v_dual_add_f32 v109, v109, v112 :: v_dual_add_f32 v110, v110, v113
	s_delay_alu instid0(VALU_DEP_1) | instskip(NEXT) | instid1(VALU_DEP_1)
	v_add_f32_e32 v109, v109, v110
	v_add_f32_e32 v109, v109, v111
	global_store_b32 v[44:45], v109, off
	s_or_b32 exec_lo, exec_lo, s15
	s_and_b32 s16, s3, s8
	s_delay_alu instid0(SALU_CYCLE_1)
	s_and_saveexec_b32 s15, s16
	s_cbranch_execz .LBB101_80
.LBB101_96:
	v_cmp_ne_u32_e32 vcc_lo, 1, v101
	v_lshlrev_b64 v[44:45], 2, v[54:55]
	s_cbranch_vccnz .LBB101_98
; %bb.97:
	s_delay_alu instid0(VALU_DEP_1) | instskip(NEXT) | instid1(VALU_DEP_2)
	v_add_co_u32 v109, vcc_lo, v64, v44
	v_add_co_ci_u32_e32 v110, vcc_lo, v65, v45, vcc_lo
	flat_load_b32 v109, v[109:110]
	s_waitcnt vmcnt(0) lgkmcnt(0)
	v_mul_f32_e32 v109, s20, v109
	s_branch .LBB101_99
.LBB101_98:
	v_mov_b32_e32 v109, 0
.LBB101_99:
	v_dual_max_f32 v110, v41, v41 :: v_dual_max_f32 v113, v20, v20
	v_dual_max_f32 v111, v21, v21 :: v_dual_max_f32 v112, v40, v40
	;; [unrolled: 1-line block ×3, first 2 shown]
	v_max_f32_e32 v116, v23, v23
	s_delay_alu instid0(VALU_DEP_3) | instskip(NEXT) | instid1(VALU_DEP_4)
	v_min_f32_e32 v110, v111, v110
	v_dual_max_f32 v111, v22, v22 :: v_dual_min_f32 v112, v113, v112
	v_add_co_u32 v44, vcc_lo, v46, v44
	s_delay_alu instid0(VALU_DEP_3) | instskip(NEXT) | instid1(VALU_DEP_3)
	v_add_f32_e32 v107, v107, v110
	v_dual_min_f32 v110, v111, v114 :: v_dual_min_f32 v111, v116, v115
	s_delay_alu instid0(VALU_DEP_4) | instskip(SKIP_1) | instid1(VALU_DEP_2)
	v_add_f32_e32 v108, v108, v112
	v_add_co_ci_u32_e32 v45, vcc_lo, v47, v45, vcc_lo
	v_dual_add_f32 v107, v107, v111 :: v_dual_add_f32 v108, v108, v110
	s_delay_alu instid0(VALU_DEP_1) | instskip(NEXT) | instid1(VALU_DEP_1)
	v_add_f32_e32 v107, v108, v107
	v_add_f32_e32 v107, v107, v109
	global_store_b32 v[44:45], v107, off
	s_or_b32 exec_lo, exec_lo, s15
	s_and_b32 s16, s4, s8
	s_delay_alu instid0(SALU_CYCLE_1)
	s_and_saveexec_b32 s15, s16
	s_cbranch_execz .LBB101_81
.LBB101_100:
	v_cmp_ne_u32_e32 vcc_lo, 1, v101
	v_lshlrev_b64 v[44:45], 2, v[56:57]
	s_cbranch_vccnz .LBB101_102
; %bb.101:
	s_delay_alu instid0(VALU_DEP_1) | instskip(NEXT) | instid1(VALU_DEP_2)
	v_add_co_u32 v107, vcc_lo, v64, v44
	v_add_co_ci_u32_e32 v108, vcc_lo, v65, v45, vcc_lo
	flat_load_b32 v107, v[107:108]
	s_waitcnt vmcnt(0) lgkmcnt(0)
	v_mul_f32_e32 v107, s20, v107
	s_branch .LBB101_103
.LBB101_102:
	v_mov_b32_e32 v107, 0
.LBB101_103:
	v_dual_max_f32 v108, v41, v41 :: v_dual_max_f32 v111, v16, v16
	v_dual_max_f32 v109, v17, v17 :: v_dual_max_f32 v110, v40, v40
	;; [unrolled: 1-line block ×3, first 2 shown]
	v_add_co_u32 v44, vcc_lo, v46, v44
	s_delay_alu instid0(VALU_DEP_3) | instskip(SKIP_2) | instid1(VALU_DEP_3)
	v_dual_min_f32 v108, v109, v108 :: v_dual_max_f32 v109, v18, v18
	v_max_f32_e32 v114, v19, v19
	v_add_co_ci_u32_e32 v45, vcc_lo, v47, v45, vcc_lo
	v_dual_add_f32 v105, v105, v108 :: v_dual_min_f32 v110, v111, v110
	s_delay_alu instid0(VALU_DEP_3) | instskip(NEXT) | instid1(VALU_DEP_1)
	v_dual_min_f32 v108, v109, v112 :: v_dual_min_f32 v109, v114, v113
	v_dual_add_f32 v106, v106, v110 :: v_dual_add_f32 v105, v105, v109
	s_delay_alu instid0(VALU_DEP_1) | instskip(NEXT) | instid1(VALU_DEP_1)
	v_add_f32_e32 v106, v106, v108
	v_add_f32_e32 v105, v106, v105
	s_delay_alu instid0(VALU_DEP_1) | instskip(SKIP_3) | instid1(SALU_CYCLE_1)
	v_add_f32_e32 v105, v105, v107
	global_store_b32 v[44:45], v105, off
	s_or_b32 exec_lo, exec_lo, s15
	s_and_b32 s16, s5, s8
	s_and_saveexec_b32 s15, s16
	s_cbranch_execz .LBB101_82
.LBB101_104:
	v_cmp_ne_u32_e32 vcc_lo, 1, v101
	v_lshlrev_b64 v[44:45], 2, v[58:59]
	s_cbranch_vccnz .LBB101_106
; %bb.105:
	s_delay_alu instid0(VALU_DEP_1) | instskip(NEXT) | instid1(VALU_DEP_2)
	v_add_co_u32 v105, vcc_lo, v64, v44
	v_add_co_ci_u32_e32 v106, vcc_lo, v65, v45, vcc_lo
	flat_load_b32 v105, v[105:106]
	s_waitcnt vmcnt(0) lgkmcnt(0)
	v_mul_f32_e32 v105, s20, v105
	s_branch .LBB101_107
.LBB101_106:
	v_mov_b32_e32 v105, 0
.LBB101_107:
	v_dual_max_f32 v106, v41, v41 :: v_dual_max_f32 v109, v12, v12
	v_dual_max_f32 v107, v13, v13 :: v_dual_max_f32 v108, v40, v40
	;; [unrolled: 1-line block ×3, first 2 shown]
	v_max_f32_e32 v112, v15, v15
	s_delay_alu instid0(VALU_DEP_3) | instskip(NEXT) | instid1(VALU_DEP_4)
	v_min_f32_e32 v106, v107, v106
	v_dual_max_f32 v107, v14, v14 :: v_dual_min_f32 v108, v109, v108
	v_add_co_u32 v44, vcc_lo, v46, v44
	s_delay_alu instid0(VALU_DEP_3) | instskip(NEXT) | instid1(VALU_DEP_3)
	v_add_f32_e32 v104, v104, v106
	v_min_f32_e32 v106, v107, v110
	s_delay_alu instid0(VALU_DEP_4) | instskip(SKIP_2) | instid1(VALU_DEP_2)
	v_add_f32_e32 v103, v103, v108
	v_min_f32_e32 v107, v112, v111
	v_add_co_ci_u32_e32 v45, vcc_lo, v47, v45, vcc_lo
	v_dual_add_f32 v103, v103, v106 :: v_dual_add_f32 v104, v104, v107
	s_delay_alu instid0(VALU_DEP_1) | instskip(NEXT) | instid1(VALU_DEP_1)
	v_add_f32_e32 v103, v103, v104
	v_add_f32_e32 v103, v103, v105
	global_store_b32 v[44:45], v103, off
	s_or_b32 exec_lo, exec_lo, s15
	s_and_b32 s16, s6, s8
	s_delay_alu instid0(SALU_CYCLE_1)
	s_and_saveexec_b32 s15, s16
	s_cbranch_execz .LBB101_83
.LBB101_108:
	v_cmp_ne_u32_e32 vcc_lo, 1, v101
	v_lshlrev_b64 v[44:45], 2, v[60:61]
	s_cbranch_vccnz .LBB101_110
; %bb.109:
	s_delay_alu instid0(VALU_DEP_1) | instskip(NEXT) | instid1(VALU_DEP_2)
	v_add_co_u32 v103, vcc_lo, v64, v44
	v_add_co_ci_u32_e32 v104, vcc_lo, v65, v45, vcc_lo
	flat_load_b32 v103, v[103:104]
	s_waitcnt vmcnt(0) lgkmcnt(0)
	v_mul_f32_e32 v103, s20, v103
	s_branch .LBB101_111
.LBB101_110:
	v_mov_b32_e32 v103, 0
.LBB101_111:
	v_dual_max_f32 v104, v41, v41 :: v_dual_max_f32 v107, v8, v8
	v_dual_max_f32 v105, v9, v9 :: v_dual_max_f32 v106, v40, v40
	;; [unrolled: 1-line block ×3, first 2 shown]
	v_max_f32_e32 v110, v11, v11
	s_delay_alu instid0(VALU_DEP_3) | instskip(NEXT) | instid1(VALU_DEP_4)
	v_dual_min_f32 v104, v105, v104 :: v_dual_max_f32 v105, v10, v10
	v_min_f32_e32 v106, v107, v106
	v_add_co_u32 v44, vcc_lo, v46, v44
	s_delay_alu instid0(VALU_DEP_3) | instskip(NEXT) | instid1(VALU_DEP_4)
	v_add_f32_e32 v100, v100, v104
	v_dual_min_f32 v104, v105, v108 :: v_dual_min_f32 v105, v110, v109
	s_delay_alu instid0(VALU_DEP_4) | instskip(SKIP_1) | instid1(VALU_DEP_3)
	v_add_f32_e32 v102, v102, v106
	v_add_co_ci_u32_e32 v45, vcc_lo, v47, v45, vcc_lo
	v_add_f32_e32 v100, v100, v105
	s_delay_alu instid0(VALU_DEP_3) | instskip(NEXT) | instid1(VALU_DEP_1)
	v_add_f32_e32 v102, v102, v104
	v_add_f32_e32 v100, v102, v100
	s_delay_alu instid0(VALU_DEP_1) | instskip(SKIP_3) | instid1(SALU_CYCLE_1)
	v_add_f32_e32 v100, v100, v103
	global_store_b32 v[44:45], v100, off
	s_or_b32 exec_lo, exec_lo, s15
	s_and_b32 s15, s7, s8
	s_and_saveexec_b32 s8, s15
	s_cbranch_execz .LBB101_116
.LBB101_112:
	v_cmp_ne_u32_e32 vcc_lo, 1, v101
	v_lshlrev_b64 v[44:45], 2, v[62:63]
	s_cbranch_vccnz .LBB101_114
; %bb.113:
	s_delay_alu instid0(VALU_DEP_1) | instskip(NEXT) | instid1(VALU_DEP_2)
	v_add_co_u32 v64, vcc_lo, v64, v44
	v_add_co_ci_u32_e32 v65, vcc_lo, v65, v45, vcc_lo
	flat_load_b32 v64, v[64:65]
	s_waitcnt vmcnt(0) lgkmcnt(0)
	v_mul_f32_e32 v64, s20, v64
	s_branch .LBB101_115
.LBB101_114:
	v_mov_b32_e32 v64, 0
.LBB101_115:
	v_dual_max_f32 v41, v41, v41 :: v_dual_max_f32 v40, v40, v40
	v_dual_max_f32 v65, v1, v1 :: v_dual_max_f32 v100, v0, v0
	;; [unrolled: 1-line block ×3, first 2 shown]
	s_delay_alu instid0(VALU_DEP_2) | instskip(NEXT) | instid1(VALU_DEP_3)
	v_dual_max_f32 v102, v3, v3 :: v_dual_min_f32 v41, v65, v41
	v_dual_min_f32 v40, v100, v40 :: v_dual_max_f32 v65, v2, v2
	s_delay_alu instid0(VALU_DEP_1) | instskip(NEXT) | instid1(VALU_DEP_2)
	v_dual_add_f32 v41, v99, v41 :: v_dual_min_f32 v42, v65, v42
	v_add_f32_e32 v40, v98, v40
	s_delay_alu instid0(VALU_DEP_1) | instskip(NEXT) | instid1(VALU_DEP_1)
	v_dual_min_f32 v43, v102, v43 :: v_dual_add_f32 v40, v40, v42
	v_add_f32_e32 v41, v41, v43
	s_delay_alu instid0(VALU_DEP_1) | instskip(NEXT) | instid1(VALU_DEP_1)
	v_add_f32_e32 v40, v40, v41
	v_add_f32_e32 v42, v40, v64
	v_add_co_u32 v40, vcc_lo, v46, v44
	v_add_co_ci_u32_e32 v41, vcc_lo, v47, v45, vcc_lo
	global_store_b32 v[40:41], v42, off
.LBB101_116:
	s_or_b32 exec_lo, exec_lo, s8
	v_add_nc_u32_e32 v44, 64, v117
	s_delay_alu instid0(VALU_DEP_1) | instskip(SKIP_2) | instid1(VALU_DEP_3)
	v_mad_i64_i32 v[40:41], null, v44, s12, 0
	v_mad_i64_i32 v[42:43], null, v44, s9, 0
	v_cmp_gt_i32_e64 s8, s17, v44
	v_lshlrev_b64 v[40:41], 2, v[40:41]
	s_delay_alu instid0(VALU_DEP_2) | instskip(NEXT) | instid1(VALU_DEP_3)
	s_and_b32 s16, s0, s8
	v_lshlrev_b64 v[42:43], 2, v[42:43]
	s_delay_alu instid0(VALU_DEP_2) | instskip(NEXT) | instid1(VALU_DEP_3)
	v_add_co_u32 v44, vcc_lo, s10, v40
	v_add_co_ci_u32_e32 v45, vcc_lo, s11, v41, vcc_lo
	s_delay_alu instid0(VALU_DEP_3) | instskip(NEXT) | instid1(VALU_DEP_4)
	v_add_co_u32 v42, vcc_lo, s13, v42
	v_add_co_ci_u32_e32 v43, vcc_lo, s14, v43, vcc_lo
	s_and_saveexec_b32 s15, s16
	s_cbranch_execnz .LBB101_124
; %bb.117:
	s_or_b32 exec_lo, exec_lo, s15
	s_and_b32 s16, s1, s8
	s_delay_alu instid0(SALU_CYCLE_1)
	s_and_saveexec_b32 s15, s16
	s_cbranch_execnz .LBB101_128
.LBB101_118:
	s_or_b32 exec_lo, exec_lo, s15
	s_and_b32 s16, s2, s8
	s_delay_alu instid0(SALU_CYCLE_1)
	s_and_saveexec_b32 s15, s16
	s_cbranch_execnz .LBB101_132
.LBB101_119:
	s_or_b32 exec_lo, exec_lo, s15
	s_and_b32 s16, s3, s8
	s_delay_alu instid0(SALU_CYCLE_1)
	s_and_saveexec_b32 s15, s16
	s_cbranch_execnz .LBB101_136
.LBB101_120:
	s_or_b32 exec_lo, exec_lo, s15
	s_and_b32 s16, s4, s8
	s_delay_alu instid0(SALU_CYCLE_1)
	s_and_saveexec_b32 s15, s16
	s_cbranch_execnz .LBB101_140
.LBB101_121:
	s_or_b32 exec_lo, exec_lo, s15
	s_and_b32 s16, s5, s8
	s_delay_alu instid0(SALU_CYCLE_1)
	s_and_saveexec_b32 s15, s16
	s_cbranch_execnz .LBB101_144
.LBB101_122:
	s_or_b32 exec_lo, exec_lo, s15
	s_and_b32 s16, s6, s8
	s_delay_alu instid0(SALU_CYCLE_1)
	s_and_saveexec_b32 s15, s16
	s_cbranch_execnz .LBB101_148
.LBB101_123:
	s_or_b32 exec_lo, exec_lo, s15
	s_and_b32 s15, s7, s8
	s_delay_alu instid0(SALU_CYCLE_1)
	s_and_saveexec_b32 s8, s15
	s_cbranch_execnz .LBB101_152
	s_branch .LBB101_156
.LBB101_124:
	v_cmp_ne_u32_e32 vcc_lo, 1, v101
	v_lshlrev_b64 v[40:41], 2, v[48:49]
	s_cbranch_vccnz .LBB101_126
; %bb.125:
	s_delay_alu instid0(VALU_DEP_1) | instskip(NEXT) | instid1(VALU_DEP_2)
	v_add_co_u32 v46, vcc_lo, v44, v40
	v_add_co_ci_u32_e32 v47, vcc_lo, v45, v41, vcc_lo
	flat_load_b32 v46, v[46:47]
	s_waitcnt vmcnt(0) lgkmcnt(0)
	v_mul_f32_e32 v46, s20, v46
	s_branch .LBB101_127
.LBB101_126:
	v_mov_b32_e32 v46, 0
.LBB101_127:
	v_dual_max_f32 v47, v37, v37 :: v_dual_max_f32 v98, v32, v32
	v_dual_max_f32 v64, v33, v33 :: v_dual_max_f32 v65, v36, v36
	;; [unrolled: 1-line block ×3, first 2 shown]
	v_max_f32_e32 v102, v35, v35
	s_delay_alu instid0(VALU_DEP_3) | instskip(NEXT) | instid1(VALU_DEP_4)
	v_dual_min_f32 v47, v64, v47 :: v_dual_max_f32 v64, v34, v34
	v_min_f32_e32 v65, v98, v65
	v_add_co_u32 v40, vcc_lo, v42, v40
	s_delay_alu instid0(VALU_DEP_3) | instskip(NEXT) | instid1(VALU_DEP_4)
	v_add_f32_e32 v47, v97, v47
	v_dual_min_f32 v64, v64, v99 :: v_dual_min_f32 v97, v102, v100
	s_delay_alu instid0(VALU_DEP_4) | instskip(SKIP_1) | instid1(VALU_DEP_2)
	v_add_f32_e32 v65, v96, v65
	v_add_co_ci_u32_e32 v41, vcc_lo, v43, v41, vcc_lo
	v_dual_add_f32 v47, v47, v97 :: v_dual_add_f32 v64, v65, v64
	s_delay_alu instid0(VALU_DEP_1) | instskip(NEXT) | instid1(VALU_DEP_1)
	v_add_f32_e32 v47, v64, v47
	v_add_f32_e32 v46, v47, v46
	global_store_b32 v[40:41], v46, off
	s_or_b32 exec_lo, exec_lo, s15
	s_and_b32 s16, s1, s8
	s_delay_alu instid0(SALU_CYCLE_1)
	s_and_saveexec_b32 s15, s16
	s_cbranch_execz .LBB101_118
.LBB101_128:
	v_cmp_ne_u32_e32 vcc_lo, 1, v101
	v_lshlrev_b64 v[40:41], 2, v[50:51]
	s_cbranch_vccnz .LBB101_130
; %bb.129:
	s_delay_alu instid0(VALU_DEP_1) | instskip(NEXT) | instid1(VALU_DEP_2)
	v_add_co_u32 v46, vcc_lo, v44, v40
	v_add_co_ci_u32_e32 v47, vcc_lo, v45, v41, vcc_lo
	flat_load_b32 v46, v[46:47]
	s_waitcnt vmcnt(0) lgkmcnt(0)
	v_mul_f32_e32 v46, s20, v46
	s_branch .LBB101_131
.LBB101_130:
	v_mov_b32_e32 v46, 0
.LBB101_131:
	v_dual_max_f32 v47, v37, v37 :: v_dual_max_f32 v96, v28, v28
	v_dual_max_f32 v64, v29, v29 :: v_dual_max_f32 v65, v36, v36
	;; [unrolled: 1-line block ×3, first 2 shown]
	v_add_co_u32 v40, vcc_lo, v42, v40
	s_delay_alu instid0(VALU_DEP_3) | instskip(SKIP_2) | instid1(VALU_DEP_3)
	v_dual_min_f32 v47, v64, v47 :: v_dual_max_f32 v64, v30, v30
	v_max_f32_e32 v99, v31, v31
	v_add_co_ci_u32_e32 v41, vcc_lo, v43, v41, vcc_lo
	v_min_f32_e32 v64, v64, v97
	v_min_f32_e32 v65, v96, v65
	s_delay_alu instid0(VALU_DEP_4) | instskip(NEXT) | instid1(VALU_DEP_2)
	v_dual_add_f32 v47, v94, v47 :: v_dual_min_f32 v94, v99, v98
	v_add_f32_e32 v65, v95, v65
	s_delay_alu instid0(VALU_DEP_1) | instskip(NEXT) | instid1(VALU_DEP_1)
	v_dual_add_f32 v64, v65, v64 :: v_dual_add_f32 v47, v47, v94
	v_add_f32_e32 v47, v64, v47
	s_delay_alu instid0(VALU_DEP_1) | instskip(SKIP_3) | instid1(SALU_CYCLE_1)
	v_add_f32_e32 v46, v47, v46
	global_store_b32 v[40:41], v46, off
	s_or_b32 exec_lo, exec_lo, s15
	s_and_b32 s16, s2, s8
	s_and_saveexec_b32 s15, s16
	s_cbranch_execz .LBB101_119
.LBB101_132:
	v_cmp_ne_u32_e32 vcc_lo, 1, v101
	v_lshlrev_b64 v[40:41], 2, v[52:53]
	s_cbranch_vccnz .LBB101_134
; %bb.133:
	s_delay_alu instid0(VALU_DEP_1) | instskip(NEXT) | instid1(VALU_DEP_2)
	v_add_co_u32 v46, vcc_lo, v44, v40
	v_add_co_ci_u32_e32 v47, vcc_lo, v45, v41, vcc_lo
	flat_load_b32 v46, v[46:47]
	s_waitcnt vmcnt(0) lgkmcnt(0)
	v_mul_f32_e32 v46, s20, v46
	s_branch .LBB101_135
.LBB101_134:
	v_mov_b32_e32 v46, 0
.LBB101_135:
	v_dual_max_f32 v47, v37, v37 :: v_dual_max_f32 v94, v24, v24
	v_dual_max_f32 v64, v25, v25 :: v_dual_max_f32 v65, v36, v36
	;; [unrolled: 1-line block ×3, first 2 shown]
	v_add_co_u32 v40, vcc_lo, v42, v40
	s_delay_alu instid0(VALU_DEP_3) | instskip(NEXT) | instid1(VALU_DEP_4)
	v_dual_min_f32 v47, v64, v47 :: v_dual_max_f32 v64, v26, v26
	v_min_f32_e32 v65, v94, v65
	v_add_co_ci_u32_e32 v41, vcc_lo, v43, v41, vcc_lo
	s_delay_alu instid0(VALU_DEP_2) | instskip(NEXT) | instid1(VALU_DEP_1)
	v_dual_min_f32 v64, v64, v95 :: v_dual_add_f32 v65, v93, v65
	v_dual_max_f32 v97, v27, v27 :: v_dual_add_f32 v64, v65, v64
	s_delay_alu instid0(VALU_DEP_1) | instskip(NEXT) | instid1(VALU_DEP_1)
	v_dual_add_f32 v47, v92, v47 :: v_dual_min_f32 v92, v97, v96
	v_add_f32_e32 v47, v47, v92
	s_delay_alu instid0(VALU_DEP_1) | instskip(NEXT) | instid1(VALU_DEP_1)
	v_add_f32_e32 v47, v64, v47
	v_add_f32_e32 v46, v47, v46
	global_store_b32 v[40:41], v46, off
	s_or_b32 exec_lo, exec_lo, s15
	s_and_b32 s16, s3, s8
	s_delay_alu instid0(SALU_CYCLE_1)
	s_and_saveexec_b32 s15, s16
	s_cbranch_execz .LBB101_120
.LBB101_136:
	v_cmp_ne_u32_e32 vcc_lo, 1, v101
	v_lshlrev_b64 v[40:41], 2, v[54:55]
	s_cbranch_vccnz .LBB101_138
; %bb.137:
	s_delay_alu instid0(VALU_DEP_1) | instskip(NEXT) | instid1(VALU_DEP_2)
	v_add_co_u32 v46, vcc_lo, v44, v40
	v_add_co_ci_u32_e32 v47, vcc_lo, v45, v41, vcc_lo
	flat_load_b32 v46, v[46:47]
	s_waitcnt vmcnt(0) lgkmcnt(0)
	v_mul_f32_e32 v46, s20, v46
	s_branch .LBB101_139
.LBB101_138:
	v_mov_b32_e32 v46, 0
.LBB101_139:
	v_dual_max_f32 v47, v37, v37 :: v_dual_max_f32 v92, v20, v20
	v_dual_max_f32 v64, v21, v21 :: v_dual_max_f32 v65, v36, v36
	;; [unrolled: 1-line block ×3, first 2 shown]
	v_add_co_u32 v40, vcc_lo, v42, v40
	s_delay_alu instid0(VALU_DEP_3) | instskip(SKIP_2) | instid1(VALU_DEP_3)
	v_dual_min_f32 v47, v64, v47 :: v_dual_max_f32 v64, v22, v22
	v_max_f32_e32 v95, v23, v23
	v_add_co_ci_u32_e32 v41, vcc_lo, v43, v41, vcc_lo
	v_min_f32_e32 v64, v64, v93
	v_min_f32_e32 v65, v92, v65
	s_delay_alu instid0(VALU_DEP_4) | instskip(NEXT) | instid1(VALU_DEP_2)
	v_dual_add_f32 v47, v90, v47 :: v_dual_min_f32 v90, v95, v94
	v_add_f32_e32 v65, v91, v65
	s_delay_alu instid0(VALU_DEP_1) | instskip(NEXT) | instid1(VALU_DEP_1)
	v_dual_add_f32 v64, v65, v64 :: v_dual_add_f32 v47, v47, v90
	v_add_f32_e32 v47, v64, v47
	s_delay_alu instid0(VALU_DEP_1) | instskip(SKIP_3) | instid1(SALU_CYCLE_1)
	v_add_f32_e32 v46, v47, v46
	global_store_b32 v[40:41], v46, off
	s_or_b32 exec_lo, exec_lo, s15
	s_and_b32 s16, s4, s8
	s_and_saveexec_b32 s15, s16
	s_cbranch_execz .LBB101_121
.LBB101_140:
	v_cmp_ne_u32_e32 vcc_lo, 1, v101
	v_lshlrev_b64 v[40:41], 2, v[56:57]
	s_cbranch_vccnz .LBB101_142
; %bb.141:
	s_delay_alu instid0(VALU_DEP_1) | instskip(NEXT) | instid1(VALU_DEP_2)
	v_add_co_u32 v46, vcc_lo, v44, v40
	v_add_co_ci_u32_e32 v47, vcc_lo, v45, v41, vcc_lo
	flat_load_b32 v46, v[46:47]
	s_waitcnt vmcnt(0) lgkmcnt(0)
	v_mul_f32_e32 v46, s20, v46
	s_branch .LBB101_143
.LBB101_142:
	v_mov_b32_e32 v46, 0
.LBB101_143:
	v_dual_max_f32 v47, v37, v37 :: v_dual_max_f32 v90, v16, v16
	v_dual_max_f32 v64, v17, v17 :: v_dual_max_f32 v65, v36, v36
	;; [unrolled: 1-line block ×3, first 2 shown]
	v_add_co_u32 v40, vcc_lo, v42, v40
	s_delay_alu instid0(VALU_DEP_3) | instskip(NEXT) | instid1(VALU_DEP_4)
	v_dual_min_f32 v47, v64, v47 :: v_dual_max_f32 v64, v18, v18
	v_min_f32_e32 v65, v90, v65
	v_add_co_ci_u32_e32 v41, vcc_lo, v43, v41, vcc_lo
	s_delay_alu instid0(VALU_DEP_3) | instskip(NEXT) | instid1(VALU_DEP_4)
	v_add_f32_e32 v47, v89, v47
	v_min_f32_e32 v64, v64, v91
	s_delay_alu instid0(VALU_DEP_4) | instskip(NEXT) | instid1(VALU_DEP_1)
	v_add_f32_e32 v65, v88, v65
	v_dual_max_f32 v93, v19, v19 :: v_dual_add_f32 v64, v65, v64
	s_delay_alu instid0(VALU_DEP_1) | instskip(NEXT) | instid1(VALU_DEP_1)
	v_min_f32_e32 v89, v93, v92
	v_add_f32_e32 v47, v47, v89
	s_delay_alu instid0(VALU_DEP_1) | instskip(NEXT) | instid1(VALU_DEP_1)
	v_add_f32_e32 v47, v64, v47
	v_add_f32_e32 v46, v47, v46
	global_store_b32 v[40:41], v46, off
	s_or_b32 exec_lo, exec_lo, s15
	s_and_b32 s16, s5, s8
	s_delay_alu instid0(SALU_CYCLE_1)
	s_and_saveexec_b32 s15, s16
	s_cbranch_execz .LBB101_122
.LBB101_144:
	v_cmp_ne_u32_e32 vcc_lo, 1, v101
	v_lshlrev_b64 v[40:41], 2, v[58:59]
	s_cbranch_vccnz .LBB101_146
; %bb.145:
	s_delay_alu instid0(VALU_DEP_1) | instskip(NEXT) | instid1(VALU_DEP_2)
	v_add_co_u32 v46, vcc_lo, v44, v40
	v_add_co_ci_u32_e32 v47, vcc_lo, v45, v41, vcc_lo
	flat_load_b32 v46, v[46:47]
	s_waitcnt vmcnt(0) lgkmcnt(0)
	v_mul_f32_e32 v46, s20, v46
	s_branch .LBB101_147
.LBB101_146:
	v_mov_b32_e32 v46, 0
.LBB101_147:
	v_dual_max_f32 v47, v37, v37 :: v_dual_max_f32 v88, v12, v12
	v_dual_max_f32 v64, v13, v13 :: v_dual_max_f32 v65, v36, v36
	;; [unrolled: 1-line block ×3, first 2 shown]
	v_add_co_u32 v40, vcc_lo, v42, v40
	s_delay_alu instid0(VALU_DEP_3) | instskip(SKIP_3) | instid1(VALU_DEP_4)
	v_dual_min_f32 v47, v64, v47 :: v_dual_max_f32 v64, v14, v14
	v_max_f32_e32 v91, v15, v15
	v_min_f32_e32 v65, v88, v65
	v_add_co_ci_u32_e32 v41, vcc_lo, v43, v41, vcc_lo
	v_min_f32_e32 v64, v64, v89
	s_delay_alu instid0(VALU_DEP_3) | instskip(SKIP_1) | instid1(VALU_DEP_2)
	v_add_f32_e32 v65, v86, v65
	v_add_f32_e32 v47, v87, v47
	v_dual_min_f32 v87, v91, v90 :: v_dual_add_f32 v64, v65, v64
	s_delay_alu instid0(VALU_DEP_1) | instskip(NEXT) | instid1(VALU_DEP_1)
	v_add_f32_e32 v47, v47, v87
	v_add_f32_e32 v47, v64, v47
	s_delay_alu instid0(VALU_DEP_1) | instskip(SKIP_3) | instid1(SALU_CYCLE_1)
	v_add_f32_e32 v46, v47, v46
	global_store_b32 v[40:41], v46, off
	s_or_b32 exec_lo, exec_lo, s15
	s_and_b32 s16, s6, s8
	s_and_saveexec_b32 s15, s16
	s_cbranch_execz .LBB101_123
.LBB101_148:
	v_cmp_ne_u32_e32 vcc_lo, 1, v101
	v_lshlrev_b64 v[40:41], 2, v[60:61]
	s_cbranch_vccnz .LBB101_150
; %bb.149:
	s_delay_alu instid0(VALU_DEP_1) | instskip(NEXT) | instid1(VALU_DEP_2)
	v_add_co_u32 v46, vcc_lo, v44, v40
	v_add_co_ci_u32_e32 v47, vcc_lo, v45, v41, vcc_lo
	flat_load_b32 v46, v[46:47]
	s_waitcnt vmcnt(0) lgkmcnt(0)
	v_mul_f32_e32 v46, s20, v46
	s_branch .LBB101_151
.LBB101_150:
	v_mov_b32_e32 v46, 0
.LBB101_151:
	v_dual_max_f32 v47, v37, v37 :: v_dual_max_f32 v86, v8, v8
	v_dual_max_f32 v64, v9, v9 :: v_dual_max_f32 v65, v36, v36
	;; [unrolled: 1-line block ×3, first 2 shown]
	v_add_co_u32 v40, vcc_lo, v42, v40
	s_delay_alu instid0(VALU_DEP_3) | instskip(NEXT) | instid1(VALU_DEP_4)
	v_dual_min_f32 v47, v64, v47 :: v_dual_max_f32 v64, v10, v10
	v_min_f32_e32 v65, v86, v65
	v_add_co_ci_u32_e32 v41, vcc_lo, v43, v41, vcc_lo
	s_delay_alu instid0(VALU_DEP_2) | instskip(NEXT) | instid1(VALU_DEP_1)
	v_dual_min_f32 v64, v64, v87 :: v_dual_add_f32 v65, v85, v65
	v_dual_max_f32 v89, v11, v11 :: v_dual_add_f32 v64, v65, v64
	s_delay_alu instid0(VALU_DEP_1) | instskip(NEXT) | instid1(VALU_DEP_1)
	v_dual_add_f32 v47, v84, v47 :: v_dual_min_f32 v84, v89, v88
	v_add_f32_e32 v47, v47, v84
	s_delay_alu instid0(VALU_DEP_1) | instskip(NEXT) | instid1(VALU_DEP_1)
	v_add_f32_e32 v47, v64, v47
	v_add_f32_e32 v46, v47, v46
	global_store_b32 v[40:41], v46, off
	s_or_b32 exec_lo, exec_lo, s15
	s_and_b32 s15, s7, s8
	s_delay_alu instid0(SALU_CYCLE_1)
	s_and_saveexec_b32 s8, s15
	s_cbranch_execz .LBB101_156
.LBB101_152:
	v_cmp_ne_u32_e32 vcc_lo, 1, v101
	v_lshlrev_b64 v[40:41], 2, v[62:63]
	s_cbranch_vccnz .LBB101_154
; %bb.153:
	s_delay_alu instid0(VALU_DEP_1) | instskip(NEXT) | instid1(VALU_DEP_2)
	v_add_co_u32 v44, vcc_lo, v44, v40
	v_add_co_ci_u32_e32 v45, vcc_lo, v45, v41, vcc_lo
	flat_load_b32 v44, v[44:45]
	s_waitcnt vmcnt(0) lgkmcnt(0)
	v_mul_f32_e32 v44, s20, v44
	s_branch .LBB101_155
.LBB101_154:
	v_mov_b32_e32 v44, 0
.LBB101_155:
	v_dual_max_f32 v37, v37, v37 :: v_dual_max_f32 v36, v36, v36
	v_dual_max_f32 v45, v1, v1 :: v_dual_max_f32 v46, v0, v0
	;; [unrolled: 1-line block ×3, first 2 shown]
	s_delay_alu instid0(VALU_DEP_2) | instskip(SKIP_1) | instid1(VALU_DEP_2)
	v_dual_min_f32 v37, v45, v37 :: v_dual_min_f32 v36, v46, v36
	v_max_f32_e32 v47, v3, v3
	v_dual_add_f32 v37, v83, v37 :: v_dual_add_f32 v36, v82, v36
	s_delay_alu instid0(VALU_DEP_2) | instskip(NEXT) | instid1(VALU_DEP_1)
	v_min_f32_e32 v39, v47, v39
	v_add_f32_e32 v37, v37, v39
	v_max_f32_e32 v45, v2, v2
	s_delay_alu instid0(VALU_DEP_1) | instskip(NEXT) | instid1(VALU_DEP_1)
	v_min_f32_e32 v38, v45, v38
	v_add_f32_e32 v36, v36, v38
	s_delay_alu instid0(VALU_DEP_1) | instskip(NEXT) | instid1(VALU_DEP_1)
	v_add_f32_e32 v36, v36, v37
	v_add_f32_e32 v38, v36, v44
	v_add_co_u32 v36, vcc_lo, v42, v40
	v_add_co_ci_u32_e32 v37, vcc_lo, v43, v41, vcc_lo
	global_store_b32 v[36:37], v38, off
.LBB101_156:
	s_or_b32 exec_lo, exec_lo, s8
	v_add_nc_u32_e32 v40, 0x60, v117
	s_delay_alu instid0(VALU_DEP_1) | instskip(SKIP_2) | instid1(VALU_DEP_3)
	v_mad_i64_i32 v[36:37], null, v40, s12, 0
	v_mad_i64_i32 v[38:39], null, v40, s9, 0
	v_cmp_gt_i32_e64 s8, s17, v40
	v_lshlrev_b64 v[36:37], 2, v[36:37]
	s_delay_alu instid0(VALU_DEP_2) | instskip(NEXT) | instid1(VALU_DEP_3)
	s_and_b32 s9, s0, s8
	v_lshlrev_b64 v[38:39], 2, v[38:39]
	s_delay_alu instid0(VALU_DEP_2) | instskip(NEXT) | instid1(VALU_DEP_3)
	v_add_co_u32 v40, vcc_lo, s10, v36
	v_add_co_ci_u32_e32 v41, vcc_lo, s11, v37, vcc_lo
	s_delay_alu instid0(VALU_DEP_3) | instskip(NEXT) | instid1(VALU_DEP_4)
	v_add_co_u32 v38, vcc_lo, s13, v38
	v_add_co_ci_u32_e32 v39, vcc_lo, s14, v39, vcc_lo
	s_and_saveexec_b32 s0, s9
	s_cbranch_execnz .LBB101_165
; %bb.157:
	s_or_b32 exec_lo, exec_lo, s0
	s_and_b32 s1, s1, s8
	s_delay_alu instid0(SALU_CYCLE_1)
	s_and_saveexec_b32 s0, s1
	s_cbranch_execnz .LBB101_169
.LBB101_158:
	s_or_b32 exec_lo, exec_lo, s0
	s_and_b32 s1, s2, s8
	s_delay_alu instid0(SALU_CYCLE_1)
	s_and_saveexec_b32 s0, s1
	s_cbranch_execnz .LBB101_173
.LBB101_159:
	s_or_b32 exec_lo, exec_lo, s0
	s_and_b32 s1, s3, s8
	s_delay_alu instid0(SALU_CYCLE_1)
	s_and_saveexec_b32 s0, s1
	s_cbranch_execnz .LBB101_177
.LBB101_160:
	s_or_b32 exec_lo, exec_lo, s0
	s_and_b32 s1, s4, s8
	s_delay_alu instid0(SALU_CYCLE_1)
	s_and_saveexec_b32 s0, s1
	s_cbranch_execnz .LBB101_181
.LBB101_161:
	s_or_b32 exec_lo, exec_lo, s0
	s_and_b32 s1, s5, s8
	s_delay_alu instid0(SALU_CYCLE_1)
	s_and_saveexec_b32 s0, s1
	s_cbranch_execnz .LBB101_185
.LBB101_162:
	s_or_b32 exec_lo, exec_lo, s0
	s_and_b32 s1, s6, s8
	s_delay_alu instid0(SALU_CYCLE_1)
	s_and_saveexec_b32 s0, s1
	s_cbranch_execnz .LBB101_189
.LBB101_163:
	s_or_b32 exec_lo, exec_lo, s0
	s_and_b32 s0, s7, s8
	s_delay_alu instid0(SALU_CYCLE_1)
	s_and_saveexec_b32 s1, s0
	s_cbranch_execnz .LBB101_193
.LBB101_164:
	s_nop 0
	s_sendmsg sendmsg(MSG_DEALLOC_VGPRS)
	s_endpgm
.LBB101_165:
	v_cmp_ne_u32_e32 vcc_lo, 1, v101
	v_lshlrev_b64 v[36:37], 2, v[48:49]
	s_cbranch_vccnz .LBB101_167
; %bb.166:
	s_delay_alu instid0(VALU_DEP_1) | instskip(NEXT) | instid1(VALU_DEP_2)
	v_add_co_u32 v42, vcc_lo, v40, v36
	v_add_co_ci_u32_e32 v43, vcc_lo, v41, v37, vcc_lo
	flat_load_b32 v42, v[42:43]
	s_waitcnt vmcnt(0) lgkmcnt(0)
	v_mul_f32_e32 v42, s20, v42
	s_branch .LBB101_168
.LBB101_167:
	v_mov_b32_e32 v42, 0
.LBB101_168:
	v_dual_max_f32 v43, v5, v5 :: v_dual_max_f32 v44, v4, v4
	v_dual_max_f32 v33, v33, v33 :: v_dual_max_f32 v32, v32, v32
	v_max_f32_e32 v45, v6, v6
	s_delay_alu instid0(VALU_DEP_2) | instskip(NEXT) | instid1(VALU_DEP_3)
	v_dual_max_f32 v34, v34, v34 :: v_dual_min_f32 v33, v33, v43
	v_dual_min_f32 v32, v32, v44 :: v_dual_max_f32 v43, v7, v7
	s_delay_alu instid0(VALU_DEP_2) | instskip(NEXT) | instid1(VALU_DEP_2)
	v_dual_min_f32 v34, v34, v45 :: v_dual_max_f32 v35, v35, v35
	v_dual_add_f32 v33, v80, v33 :: v_dual_add_f32 v32, v81, v32
	s_delay_alu instid0(VALU_DEP_1) | instskip(NEXT) | instid1(VALU_DEP_1)
	v_dual_min_f32 v35, v35, v43 :: v_dual_add_f32 v32, v32, v34
	v_add_f32_e32 v33, v33, v35
	s_delay_alu instid0(VALU_DEP_1) | instskip(NEXT) | instid1(VALU_DEP_1)
	v_add_f32_e32 v32, v32, v33
	v_add_f32_e32 v34, v32, v42
	v_add_co_u32 v32, vcc_lo, v38, v36
	v_add_co_ci_u32_e32 v33, vcc_lo, v39, v37, vcc_lo
	global_store_b32 v[32:33], v34, off
	s_or_b32 exec_lo, exec_lo, s0
	s_and_b32 s1, s1, s8
	s_delay_alu instid0(SALU_CYCLE_1)
	s_and_saveexec_b32 s0, s1
	s_cbranch_execz .LBB101_158
.LBB101_169:
	v_cmp_ne_u32_e32 vcc_lo, 1, v101
	v_lshlrev_b64 v[32:33], 2, v[50:51]
	s_cbranch_vccnz .LBB101_171
; %bb.170:
	s_delay_alu instid0(VALU_DEP_1) | instskip(NEXT) | instid1(VALU_DEP_2)
	v_add_co_u32 v34, vcc_lo, v40, v32
	v_add_co_ci_u32_e32 v35, vcc_lo, v41, v33, vcc_lo
	flat_load_b32 v34, v[34:35]
	s_waitcnt vmcnt(0) lgkmcnt(0)
	v_mul_f32_e32 v34, s20, v34
	s_branch .LBB101_172
.LBB101_171:
	v_mov_b32_e32 v34, 0
.LBB101_172:
	v_dual_max_f32 v35, v5, v5 :: v_dual_max_f32 v36, v4, v4
	v_dual_max_f32 v29, v29, v29 :: v_dual_max_f32 v28, v28, v28
	v_max_f32_e32 v37, v6, v6
	s_delay_alu instid0(VALU_DEP_2) | instskip(NEXT) | instid1(VALU_DEP_3)
	v_dual_max_f32 v30, v30, v30 :: v_dual_min_f32 v29, v29, v35
	v_dual_min_f32 v28, v28, v36 :: v_dual_max_f32 v35, v7, v7
	s_delay_alu instid0(VALU_DEP_2) | instskip(NEXT) | instid1(VALU_DEP_2)
	v_dual_min_f32 v30, v30, v37 :: v_dual_max_f32 v31, v31, v31
	v_dual_add_f32 v28, v78, v28 :: v_dual_add_f32 v29, v79, v29
	s_delay_alu instid0(VALU_DEP_1) | instskip(NEXT) | instid1(VALU_DEP_1)
	v_dual_add_f32 v28, v28, v30 :: v_dual_min_f32 v31, v31, v35
	v_add_f32_e32 v29, v29, v31
	s_delay_alu instid0(VALU_DEP_1) | instskip(NEXT) | instid1(VALU_DEP_1)
	v_add_f32_e32 v28, v28, v29
	v_add_f32_e32 v30, v28, v34
	v_add_co_u32 v28, vcc_lo, v38, v32
	v_add_co_ci_u32_e32 v29, vcc_lo, v39, v33, vcc_lo
	global_store_b32 v[28:29], v30, off
	s_or_b32 exec_lo, exec_lo, s0
	s_and_b32 s1, s2, s8
	s_delay_alu instid0(SALU_CYCLE_1)
	s_and_saveexec_b32 s0, s1
	s_cbranch_execz .LBB101_159
.LBB101_173:
	v_cmp_ne_u32_e32 vcc_lo, 1, v101
	v_lshlrev_b64 v[28:29], 2, v[52:53]
	s_cbranch_vccnz .LBB101_175
; %bb.174:
	s_delay_alu instid0(VALU_DEP_1) | instskip(NEXT) | instid1(VALU_DEP_2)
	v_add_co_u32 v30, vcc_lo, v40, v28
	v_add_co_ci_u32_e32 v31, vcc_lo, v41, v29, vcc_lo
	flat_load_b32 v30, v[30:31]
	s_waitcnt vmcnt(0) lgkmcnt(0)
	v_mul_f32_e32 v30, s20, v30
	s_branch .LBB101_176
.LBB101_175:
	v_mov_b32_e32 v30, 0
.LBB101_176:
	v_dual_max_f32 v31, v5, v5 :: v_dual_max_f32 v32, v4, v4
	v_dual_max_f32 v25, v25, v25 :: v_dual_max_f32 v24, v24, v24
	v_max_f32_e32 v33, v6, v6
	s_delay_alu instid0(VALU_DEP_2) | instskip(NEXT) | instid1(VALU_DEP_3)
	v_dual_max_f32 v26, v26, v26 :: v_dual_min_f32 v25, v25, v31
	v_dual_min_f32 v24, v24, v32 :: v_dual_max_f32 v31, v7, v7
	s_delay_alu instid0(VALU_DEP_2) | instskip(NEXT) | instid1(VALU_DEP_2)
	v_dual_min_f32 v26, v26, v33 :: v_dual_max_f32 v27, v27, v27
	v_dual_add_f32 v25, v76, v25 :: v_dual_add_f32 v24, v77, v24
	s_delay_alu instid0(VALU_DEP_1) | instskip(NEXT) | instid1(VALU_DEP_1)
	v_dual_min_f32 v27, v27, v31 :: v_dual_add_f32 v24, v24, v26
	v_add_f32_e32 v25, v25, v27
	s_delay_alu instid0(VALU_DEP_1) | instskip(NEXT) | instid1(VALU_DEP_1)
	v_add_f32_e32 v24, v24, v25
	v_add_f32_e32 v26, v24, v30
	v_add_co_u32 v24, vcc_lo, v38, v28
	v_add_co_ci_u32_e32 v25, vcc_lo, v39, v29, vcc_lo
	global_store_b32 v[24:25], v26, off
	s_or_b32 exec_lo, exec_lo, s0
	s_and_b32 s1, s3, s8
	s_delay_alu instid0(SALU_CYCLE_1)
	s_and_saveexec_b32 s0, s1
	s_cbranch_execz .LBB101_160
.LBB101_177:
	v_cmp_ne_u32_e32 vcc_lo, 1, v101
	v_lshlrev_b64 v[24:25], 2, v[54:55]
	s_cbranch_vccnz .LBB101_179
; %bb.178:
	s_delay_alu instid0(VALU_DEP_1) | instskip(NEXT) | instid1(VALU_DEP_2)
	v_add_co_u32 v26, vcc_lo, v40, v24
	v_add_co_ci_u32_e32 v27, vcc_lo, v41, v25, vcc_lo
	flat_load_b32 v26, v[26:27]
	s_waitcnt vmcnt(0) lgkmcnt(0)
	v_mul_f32_e32 v26, s20, v26
	s_branch .LBB101_180
.LBB101_179:
	v_mov_b32_e32 v26, 0
.LBB101_180:
	v_dual_max_f32 v27, v5, v5 :: v_dual_max_f32 v28, v4, v4
	v_dual_max_f32 v21, v21, v21 :: v_dual_max_f32 v20, v20, v20
	v_max_f32_e32 v29, v6, v6
	s_delay_alu instid0(VALU_DEP_2) | instskip(NEXT) | instid1(VALU_DEP_3)
	v_dual_max_f32 v22, v22, v22 :: v_dual_min_f32 v21, v21, v27
	v_dual_min_f32 v20, v20, v28 :: v_dual_max_f32 v27, v7, v7
	s_delay_alu instid0(VALU_DEP_2) | instskip(NEXT) | instid1(VALU_DEP_2)
	v_min_f32_e32 v22, v22, v29
	v_dual_add_f32 v21, v74, v21 :: v_dual_add_f32 v20, v75, v20
	s_delay_alu instid0(VALU_DEP_1) | instskip(NEXT) | instid1(VALU_DEP_1)
	v_dual_max_f32 v23, v23, v23 :: v_dual_add_f32 v20, v20, v22
	v_min_f32_e32 v23, v23, v27
	s_delay_alu instid0(VALU_DEP_1) | instskip(NEXT) | instid1(VALU_DEP_1)
	v_add_f32_e32 v21, v21, v23
	v_add_f32_e32 v20, v20, v21
	s_delay_alu instid0(VALU_DEP_1)
	v_add_f32_e32 v22, v20, v26
	v_add_co_u32 v20, vcc_lo, v38, v24
	v_add_co_ci_u32_e32 v21, vcc_lo, v39, v25, vcc_lo
	global_store_b32 v[20:21], v22, off
	s_or_b32 exec_lo, exec_lo, s0
	s_and_b32 s1, s4, s8
	s_delay_alu instid0(SALU_CYCLE_1)
	s_and_saveexec_b32 s0, s1
	s_cbranch_execz .LBB101_161
.LBB101_181:
	v_cmp_ne_u32_e32 vcc_lo, 1, v101
	v_lshlrev_b64 v[20:21], 2, v[56:57]
	s_cbranch_vccnz .LBB101_183
; %bb.182:
	s_delay_alu instid0(VALU_DEP_1) | instskip(NEXT) | instid1(VALU_DEP_2)
	v_add_co_u32 v22, vcc_lo, v40, v20
	v_add_co_ci_u32_e32 v23, vcc_lo, v41, v21, vcc_lo
	flat_load_b32 v22, v[22:23]
	s_waitcnt vmcnt(0) lgkmcnt(0)
	v_mul_f32_e32 v22, s20, v22
	s_branch .LBB101_184
.LBB101_183:
	v_mov_b32_e32 v22, 0
.LBB101_184:
	v_dual_max_f32 v23, v5, v5 :: v_dual_max_f32 v24, v4, v4
	v_dual_max_f32 v17, v17, v17 :: v_dual_max_f32 v16, v16, v16
	v_max_f32_e32 v25, v6, v6
	s_delay_alu instid0(VALU_DEP_2) | instskip(NEXT) | instid1(VALU_DEP_3)
	v_dual_max_f32 v18, v18, v18 :: v_dual_min_f32 v17, v17, v23
	v_dual_min_f32 v16, v16, v24 :: v_dual_max_f32 v23, v7, v7
	s_delay_alu instid0(VALU_DEP_2) | instskip(NEXT) | instid1(VALU_DEP_2)
	v_dual_min_f32 v18, v18, v25 :: v_dual_max_f32 v19, v19, v19
	v_dual_add_f32 v16, v72, v16 :: v_dual_add_f32 v17, v73, v17
	s_delay_alu instid0(VALU_DEP_1) | instskip(NEXT) | instid1(VALU_DEP_1)
	v_dual_add_f32 v16, v16, v18 :: v_dual_min_f32 v19, v19, v23
	v_add_f32_e32 v17, v17, v19
	s_delay_alu instid0(VALU_DEP_1) | instskip(NEXT) | instid1(VALU_DEP_1)
	v_add_f32_e32 v16, v16, v17
	v_add_f32_e32 v18, v16, v22
	v_add_co_u32 v16, vcc_lo, v38, v20
	v_add_co_ci_u32_e32 v17, vcc_lo, v39, v21, vcc_lo
	global_store_b32 v[16:17], v18, off
	s_or_b32 exec_lo, exec_lo, s0
	s_and_b32 s1, s5, s8
	s_delay_alu instid0(SALU_CYCLE_1)
	s_and_saveexec_b32 s0, s1
	s_cbranch_execz .LBB101_162
.LBB101_185:
	v_cmp_ne_u32_e32 vcc_lo, 1, v101
	v_lshlrev_b64 v[16:17], 2, v[58:59]
	s_cbranch_vccnz .LBB101_187
; %bb.186:
	s_delay_alu instid0(VALU_DEP_1) | instskip(NEXT) | instid1(VALU_DEP_2)
	v_add_co_u32 v18, vcc_lo, v40, v16
	v_add_co_ci_u32_e32 v19, vcc_lo, v41, v17, vcc_lo
	flat_load_b32 v18, v[18:19]
	s_waitcnt vmcnt(0) lgkmcnt(0)
	v_mul_f32_e32 v18, s20, v18
	s_branch .LBB101_188
.LBB101_187:
	v_mov_b32_e32 v18, 0
.LBB101_188:
	v_dual_max_f32 v19, v5, v5 :: v_dual_max_f32 v20, v4, v4
	v_dual_max_f32 v13, v13, v13 :: v_dual_max_f32 v12, v12, v12
	v_max_f32_e32 v21, v6, v6
	s_delay_alu instid0(VALU_DEP_2) | instskip(NEXT) | instid1(VALU_DEP_3)
	v_dual_max_f32 v14, v14, v14 :: v_dual_min_f32 v13, v13, v19
	v_dual_min_f32 v12, v12, v20 :: v_dual_max_f32 v19, v7, v7
	s_delay_alu instid0(VALU_DEP_2) | instskip(NEXT) | instid1(VALU_DEP_2)
	v_min_f32_e32 v14, v14, v21
	v_dual_add_f32 v13, v70, v13 :: v_dual_add_f32 v12, v71, v12
	s_delay_alu instid0(VALU_DEP_1) | instskip(NEXT) | instid1(VALU_DEP_1)
	v_dual_max_f32 v15, v15, v15 :: v_dual_add_f32 v12, v12, v14
	v_min_f32_e32 v15, v15, v19
	s_delay_alu instid0(VALU_DEP_1) | instskip(NEXT) | instid1(VALU_DEP_1)
	v_add_f32_e32 v13, v13, v15
	v_add_f32_e32 v12, v12, v13
	s_delay_alu instid0(VALU_DEP_1)
	v_add_f32_e32 v14, v12, v18
	v_add_co_u32 v12, vcc_lo, v38, v16
	v_add_co_ci_u32_e32 v13, vcc_lo, v39, v17, vcc_lo
	global_store_b32 v[12:13], v14, off
	s_or_b32 exec_lo, exec_lo, s0
	s_and_b32 s1, s6, s8
	s_delay_alu instid0(SALU_CYCLE_1)
	s_and_saveexec_b32 s0, s1
	s_cbranch_execz .LBB101_163
.LBB101_189:
	v_cmp_ne_u32_e32 vcc_lo, 1, v101
	v_lshlrev_b64 v[12:13], 2, v[60:61]
	s_cbranch_vccnz .LBB101_191
; %bb.190:
	s_delay_alu instid0(VALU_DEP_1) | instskip(NEXT) | instid1(VALU_DEP_2)
	v_add_co_u32 v14, vcc_lo, v40, v12
	v_add_co_ci_u32_e32 v15, vcc_lo, v41, v13, vcc_lo
	flat_load_b32 v14, v[14:15]
	s_waitcnt vmcnt(0) lgkmcnt(0)
	v_mul_f32_e32 v14, s20, v14
	s_branch .LBB101_192
.LBB101_191:
	v_mov_b32_e32 v14, 0
.LBB101_192:
	v_dual_max_f32 v15, v5, v5 :: v_dual_max_f32 v16, v4, v4
	v_dual_max_f32 v9, v9, v9 :: v_dual_max_f32 v8, v8, v8
	v_max_f32_e32 v17, v6, v6
	s_delay_alu instid0(VALU_DEP_2) | instskip(NEXT) | instid1(VALU_DEP_3)
	v_dual_max_f32 v10, v10, v10 :: v_dual_min_f32 v9, v9, v15
	v_dual_min_f32 v8, v8, v16 :: v_dual_max_f32 v15, v7, v7
	s_delay_alu instid0(VALU_DEP_2) | instskip(NEXT) | instid1(VALU_DEP_2)
	v_dual_min_f32 v10, v10, v17 :: v_dual_max_f32 v11, v11, v11
	v_dual_add_f32 v8, v68, v8 :: v_dual_add_f32 v9, v69, v9
	s_delay_alu instid0(VALU_DEP_1) | instskip(NEXT) | instid1(VALU_DEP_1)
	v_dual_add_f32 v8, v8, v10 :: v_dual_min_f32 v11, v11, v15
	v_add_f32_e32 v9, v9, v11
	s_delay_alu instid0(VALU_DEP_1) | instskip(NEXT) | instid1(VALU_DEP_1)
	v_add_f32_e32 v8, v8, v9
	v_add_f32_e32 v10, v8, v14
	v_add_co_u32 v8, vcc_lo, v38, v12
	v_add_co_ci_u32_e32 v9, vcc_lo, v39, v13, vcc_lo
	global_store_b32 v[8:9], v10, off
	s_or_b32 exec_lo, exec_lo, s0
	s_and_b32 s0, s7, s8
	s_delay_alu instid0(SALU_CYCLE_1)
	s_and_saveexec_b32 s1, s0
	s_cbranch_execz .LBB101_164
.LBB101_193:
	v_cmp_ne_u32_e32 vcc_lo, 1, v101
	v_lshlrev_b64 v[8:9], 2, v[62:63]
	s_cbranch_vccnz .LBB101_195
; %bb.194:
	s_delay_alu instid0(VALU_DEP_1) | instskip(NEXT) | instid1(VALU_DEP_2)
	v_add_co_u32 v10, vcc_lo, v40, v8
	v_add_co_ci_u32_e32 v11, vcc_lo, v41, v9, vcc_lo
	flat_load_b32 v10, v[10:11]
	s_waitcnt vmcnt(0) lgkmcnt(0)
	v_mul_f32_e32 v10, s20, v10
	s_branch .LBB101_196
.LBB101_195:
	v_mov_b32_e32 v10, 0
.LBB101_196:
	v_dual_max_f32 v5, v5, v5 :: v_dual_max_f32 v4, v4, v4
	v_dual_max_f32 v1, v1, v1 :: v_dual_max_f32 v0, v0, v0
	v_max_f32_e32 v6, v6, v6
	v_dual_max_f32 v2, v2, v2 :: v_dual_max_f32 v3, v3, v3
	s_delay_alu instid0(VALU_DEP_3) | instskip(NEXT) | instid1(VALU_DEP_2)
	v_dual_min_f32 v1, v1, v5 :: v_dual_min_f32 v0, v0, v4
	v_dual_max_f32 v5, v7, v7 :: v_dual_min_f32 v2, v2, v6
	s_delay_alu instid0(VALU_DEP_2) | instskip(NEXT) | instid1(VALU_DEP_1)
	v_dual_add_f32 v1, v67, v1 :: v_dual_add_f32 v0, v66, v0
	v_dual_min_f32 v3, v3, v5 :: v_dual_add_f32 v0, v0, v2
	s_delay_alu instid0(VALU_DEP_1) | instskip(NEXT) | instid1(VALU_DEP_1)
	v_add_f32_e32 v1, v1, v3
	v_add_f32_e32 v0, v0, v1
	s_delay_alu instid0(VALU_DEP_1)
	v_add_f32_e32 v2, v0, v10
	v_add_co_u32 v0, vcc_lo, v38, v8
	v_add_co_ci_u32_e32 v1, vcc_lo, v39, v9, vcc_lo
	global_store_b32 v[0:1], v2, off
	s_nop 0
	s_sendmsg sendmsg(MSG_DEALLOC_VGPRS)
	s_endpgm
	.section	.rodata,"a",@progbits
	.p2align	6, 0x0
	.amdhsa_kernel _ZN12_GLOBAL__N_120geam_min_plus_kernelIf15HIP_vector_typeIfLj2EES2_Li8ELi32ELi64ELi128ELi4ELi4ELi64ELi64ELi4ELc84ELc84ELb0ELb1ELb0EfKffEEviiiT16_PT17_ilS6_ilS4_S6_ilPT18_ili26rocblas_geam_ex_operation_
		.amdhsa_group_segment_fixed_size 6144
		.amdhsa_private_segment_fixed_size 0
		.amdhsa_kernarg_size 128
		.amdhsa_user_sgpr_count 14
		.amdhsa_user_sgpr_dispatch_ptr 0
		.amdhsa_user_sgpr_queue_ptr 0
		.amdhsa_user_sgpr_kernarg_segment_ptr 1
		.amdhsa_user_sgpr_dispatch_id 0
		.amdhsa_user_sgpr_private_segment_size 0
		.amdhsa_wavefront_size32 1
		.amdhsa_uses_dynamic_stack 0
		.amdhsa_enable_private_segment 0
		.amdhsa_system_sgpr_workgroup_id_x 1
		.amdhsa_system_sgpr_workgroup_id_y 0
		.amdhsa_system_sgpr_workgroup_id_z 1
		.amdhsa_system_sgpr_workgroup_info 0
		.amdhsa_system_vgpr_workitem_id 1
		.amdhsa_next_free_vgpr 226
		.amdhsa_next_free_sgpr 30
		.amdhsa_reserve_vcc 1
		.amdhsa_float_round_mode_32 0
		.amdhsa_float_round_mode_16_64 0
		.amdhsa_float_denorm_mode_32 3
		.amdhsa_float_denorm_mode_16_64 3
		.amdhsa_dx10_clamp 1
		.amdhsa_ieee_mode 1
		.amdhsa_fp16_overflow 0
		.amdhsa_workgroup_processor_mode 1
		.amdhsa_memory_ordered 1
		.amdhsa_forward_progress 0
		.amdhsa_shared_vgpr_count 0
		.amdhsa_exception_fp_ieee_invalid_op 0
		.amdhsa_exception_fp_denorm_src 0
		.amdhsa_exception_fp_ieee_div_zero 0
		.amdhsa_exception_fp_ieee_overflow 0
		.amdhsa_exception_fp_ieee_underflow 0
		.amdhsa_exception_fp_ieee_inexact 0
		.amdhsa_exception_int_div_zero 0
	.end_amdhsa_kernel
	.section	.text._ZN12_GLOBAL__N_120geam_min_plus_kernelIf15HIP_vector_typeIfLj2EES2_Li8ELi32ELi64ELi128ELi4ELi4ELi64ELi64ELi4ELc84ELc84ELb0ELb1ELb0EfKffEEviiiT16_PT17_ilS6_ilS4_S6_ilPT18_ili26rocblas_geam_ex_operation_,"axG",@progbits,_ZN12_GLOBAL__N_120geam_min_plus_kernelIf15HIP_vector_typeIfLj2EES2_Li8ELi32ELi64ELi128ELi4ELi4ELi64ELi64ELi4ELc84ELc84ELb0ELb1ELb0EfKffEEviiiT16_PT17_ilS6_ilS4_S6_ilPT18_ili26rocblas_geam_ex_operation_,comdat
.Lfunc_end101:
	.size	_ZN12_GLOBAL__N_120geam_min_plus_kernelIf15HIP_vector_typeIfLj2EES2_Li8ELi32ELi64ELi128ELi4ELi4ELi64ELi64ELi4ELc84ELc84ELb0ELb1ELb0EfKffEEviiiT16_PT17_ilS6_ilS4_S6_ilPT18_ili26rocblas_geam_ex_operation_, .Lfunc_end101-_ZN12_GLOBAL__N_120geam_min_plus_kernelIf15HIP_vector_typeIfLj2EES2_Li8ELi32ELi64ELi128ELi4ELi4ELi64ELi64ELi4ELc84ELc84ELb0ELb1ELb0EfKffEEviiiT16_PT17_ilS6_ilS4_S6_ilPT18_ili26rocblas_geam_ex_operation_
                                        ; -- End function
	.section	.AMDGPU.csdata,"",@progbits
; Kernel info:
; codeLenInByte = 13332
; NumSgprs: 32
; NumVgprs: 226
; ScratchSize: 0
; MemoryBound: 0
; FloatMode: 240
; IeeeMode: 1
; LDSByteSize: 6144 bytes/workgroup (compile time only)
; SGPRBlocks: 3
; VGPRBlocks: 28
; NumSGPRsForWavesPerEU: 32
; NumVGPRsForWavesPerEU: 226
; Occupancy: 6
; WaveLimiterHint : 0
; COMPUTE_PGM_RSRC2:SCRATCH_EN: 0
; COMPUTE_PGM_RSRC2:USER_SGPR: 14
; COMPUTE_PGM_RSRC2:TRAP_HANDLER: 0
; COMPUTE_PGM_RSRC2:TGID_X_EN: 1
; COMPUTE_PGM_RSRC2:TGID_Y_EN: 0
; COMPUTE_PGM_RSRC2:TGID_Z_EN: 1
; COMPUTE_PGM_RSRC2:TIDIG_COMP_CNT: 1
	.section	.text._ZN12_GLOBAL__N_120geam_ex_scale_kernelILi32ELi32EddPKPKdPKPdEEviiT2_T3_lilT4_lil,"axG",@progbits,_ZN12_GLOBAL__N_120geam_ex_scale_kernelILi32ELi32EddPKPKdPKPdEEviiT2_T3_lilT4_lil,comdat
	.globl	_ZN12_GLOBAL__N_120geam_ex_scale_kernelILi32ELi32EddPKPKdPKPdEEviiT2_T3_lilT4_lil ; -- Begin function _ZN12_GLOBAL__N_120geam_ex_scale_kernelILi32ELi32EddPKPKdPKPdEEviiT2_T3_lilT4_lil
	.p2align	8
	.type	_ZN12_GLOBAL__N_120geam_ex_scale_kernelILi32ELi32EddPKPKdPKPdEEviiT2_T3_lilT4_lil,@function
_ZN12_GLOBAL__N_120geam_ex_scale_kernelILi32ELi32EddPKPKdPKPdEEviiT2_T3_lilT4_lil: ; @_ZN12_GLOBAL__N_120geam_ex_scale_kernelILi32ELi32EddPKPKdPKPdEEviiT2_T3_lilT4_lil
; %bb.0:
	s_load_b128 s[4:7], s[0:1], 0x8
	s_mov_b32 s16, s15
	s_mov_b64 s[12:13], 0
	s_mov_b32 s17, 0
	s_waitcnt lgkmcnt(0)
	v_cmp_eq_f64_e64 s15, s[4:5], 0
	s_delay_alu instid0(VALU_DEP_1)
	s_and_b32 vcc_lo, exec_lo, s15
	s_cbranch_vccnz .LBB102_2
; %bb.1:
	s_lshl_b64 s[2:3], s[16:17], 3
	s_load_b64 s[8:9], s[0:1], 0x18
	s_add_u32 s2, s6, s2
	s_addc_u32 s3, s7, s3
	s_load_b64 s[2:3], s[2:3], 0x0
	s_waitcnt lgkmcnt(0)
	s_lshl_b64 s[6:7], s[8:9], 3
	s_delay_alu instid0(SALU_CYCLE_1)
	s_add_u32 s12, s2, s6
	s_addc_u32 s13, s3, s7
.LBB102_2:
	s_load_b64 s[2:3], s[0:1], 0x0
	v_bfe_u32 v2, v0, 10, 10
	s_waitcnt lgkmcnt(0)
	s_add_i32 s6, s2, -1
	s_delay_alu instid0(SALU_CYCLE_1) | instskip(NEXT) | instid1(SALU_CYCLE_1)
	s_ashr_i32 s7, s6, 31
	s_lshr_b32 s7, s7, 27
	s_delay_alu instid0(SALU_CYCLE_1) | instskip(NEXT) | instid1(SALU_CYCLE_1)
	s_add_i32 s6, s6, s7
	s_ashr_i32 s6, s6, 5
	s_delay_alu instid0(SALU_CYCLE_1) | instskip(SKIP_2) | instid1(VALU_DEP_1)
	s_add_i32 s7, s6, 1
	s_not_b32 s6, s6
	v_cvt_f32_u32_e32 v1, s7
	v_rcp_iflag_f32_e32 v1, v1
	s_waitcnt_depctr 0xfff
	v_mul_f32_e32 v1, 0x4f7ffffe, v1
	s_delay_alu instid0(VALU_DEP_1) | instskip(NEXT) | instid1(VALU_DEP_1)
	v_cvt_u32_f32_e32 v1, v1
	v_readfirstlane_b32 s8, v1
	v_and_b32_e32 v1, 0x3ff, v0
	s_delay_alu instid0(VALU_DEP_2) | instskip(NEXT) | instid1(SALU_CYCLE_1)
	s_mul_i32 s6, s6, s8
	s_mul_hi_u32 s6, s8, s6
	s_delay_alu instid0(SALU_CYCLE_1) | instskip(NEXT) | instid1(SALU_CYCLE_1)
	s_add_i32 s8, s8, s6
	s_mul_hi_u32 s6, s14, s8
	s_delay_alu instid0(SALU_CYCLE_1) | instskip(SKIP_2) | instid1(SALU_CYCLE_1)
	s_mul_i32 s8, s6, s7
	s_add_i32 s9, s6, 1
	s_sub_i32 s8, s14, s8
	s_sub_i32 s10, s8, s7
	s_cmp_ge_u32 s8, s7
	s_cselect_b32 s6, s9, s6
	s_cselect_b32 s8, s10, s8
	s_add_i32 s9, s6, 1
	s_cmp_ge_u32 s8, s7
	s_cselect_b32 s6, s9, s6
	s_delay_alu instid0(SALU_CYCLE_1) | instskip(SKIP_4) | instid1(VALU_DEP_1)
	s_mul_i32 s7, s6, s7
	v_lshl_add_u32 v4, s6, 5, v2
	s_sub_i32 s7, s14, s7
	s_mov_b32 s14, -1
	v_lshl_add_u32 v0, s7, 5, v1
	v_cmp_gt_u32_e32 vcc_lo, s2, v0
	v_cmp_gt_u32_e64 s2, s3, v4
	s_delay_alu instid0(VALU_DEP_1) | instskip(NEXT) | instid1(SALU_CYCLE_1)
	s_and_b32 s2, vcc_lo, s2
	s_and_saveexec_b32 s3, s2
	s_cbranch_execz .LBB102_8
; %bb.3:
	s_load_b128 s[8:11], s[0:1], 0x30
	s_lshl_b64 s[2:3], s[16:17], 3
	s_waitcnt lgkmcnt(0)
	s_add_u32 s2, s8, s2
	s_addc_u32 s3, s9, s3
	s_and_not1_b32 vcc_lo, exec_lo, s15
	s_load_b64 s[2:3], s[2:3], 0x0
	s_cbranch_vccnz .LBB102_5
; %bb.4:
	v_mov_b32_e32 v1, 0
	s_mov_b64 s[6:7], 0
	s_delay_alu instid0(SALU_CYCLE_1)
	v_dual_mov_b32 v2, s6 :: v_dual_mov_b32 v3, s7
	s_cbranch_execz .LBB102_6
	s_branch .LBB102_7
.LBB102_5:
                                        ; implicit-def: $sgpr6_sgpr7
	v_dual_mov_b32 v2, s6 :: v_dual_mov_b32 v3, s7
	s_and_not1_b32 vcc_lo, exec_lo, s14
	s_cbranch_vccnz .LBB102_7
.LBB102_6:
	s_load_b32 s6, s[0:1], 0x20
	v_mov_b32_e32 v1, 0
	s_waitcnt lgkmcnt(0)
	s_delay_alu instid0(VALU_DEP_1)
	v_mad_u64_u32 v[2:3], null, v4, s6, v[0:1]
	s_ashr_i32 s6, s6, 31
	s_delay_alu instid0(VALU_DEP_1) | instid1(SALU_CYCLE_1)
	v_mad_u64_u32 v[5:6], null, v4, s6, v[3:4]
	s_delay_alu instid0(VALU_DEP_1) | instskip(NEXT) | instid1(VALU_DEP_1)
	v_mov_b32_e32 v3, v5
	v_lshlrev_b64 v[2:3], 3, v[2:3]
	s_delay_alu instid0(VALU_DEP_1) | instskip(NEXT) | instid1(VALU_DEP_2)
	v_add_co_u32 v2, vcc_lo, s12, v2
	v_add_co_ci_u32_e32 v3, vcc_lo, s13, v3, vcc_lo
	flat_load_b64 v[2:3], v[2:3]
	s_waitcnt vmcnt(0) lgkmcnt(0)
	v_mul_f64 v[2:3], v[2:3], s[4:5]
.LBB102_7:
	s_load_b32 s4, s[0:1], 0x40
	s_lshl_b64 s[0:1], s[10:11], 3
	v_lshlrev_b64 v[0:1], 3, v[0:1]
	s_waitcnt lgkmcnt(0)
	s_add_u32 s0, s2, s0
	s_addc_u32 s1, s3, s1
	v_mad_u64_u32 v[5:6], null, v4, s4, 0
	s_ashr_i32 s2, s4, 31
	s_delay_alu instid0(VALU_DEP_1) | instid1(SALU_CYCLE_1)
	v_mad_u64_u32 v[7:8], null, v4, s2, v[6:7]
	s_delay_alu instid0(VALU_DEP_1) | instskip(NEXT) | instid1(VALU_DEP_1)
	v_mov_b32_e32 v6, v7
	v_lshlrev_b64 v[4:5], 3, v[5:6]
	s_delay_alu instid0(VALU_DEP_1) | instskip(NEXT) | instid1(VALU_DEP_2)
	v_add_co_u32 v4, vcc_lo, s0, v4
	v_add_co_ci_u32_e32 v5, vcc_lo, s1, v5, vcc_lo
	s_delay_alu instid0(VALU_DEP_2) | instskip(NEXT) | instid1(VALU_DEP_2)
	v_add_co_u32 v0, vcc_lo, v4, v0
	v_add_co_ci_u32_e32 v1, vcc_lo, v5, v1, vcc_lo
	global_store_b64 v[0:1], v[2:3], off
.LBB102_8:
	s_nop 0
	s_sendmsg sendmsg(MSG_DEALLOC_VGPRS)
	s_endpgm
	.section	.rodata,"a",@progbits
	.p2align	6, 0x0
	.amdhsa_kernel _ZN12_GLOBAL__N_120geam_ex_scale_kernelILi32ELi32EddPKPKdPKPdEEviiT2_T3_lilT4_lil
		.amdhsa_group_segment_fixed_size 0
		.amdhsa_private_segment_fixed_size 0
		.amdhsa_kernarg_size 80
		.amdhsa_user_sgpr_count 14
		.amdhsa_user_sgpr_dispatch_ptr 0
		.amdhsa_user_sgpr_queue_ptr 0
		.amdhsa_user_sgpr_kernarg_segment_ptr 1
		.amdhsa_user_sgpr_dispatch_id 0
		.amdhsa_user_sgpr_private_segment_size 0
		.amdhsa_wavefront_size32 1
		.amdhsa_uses_dynamic_stack 0
		.amdhsa_enable_private_segment 0
		.amdhsa_system_sgpr_workgroup_id_x 1
		.amdhsa_system_sgpr_workgroup_id_y 0
		.amdhsa_system_sgpr_workgroup_id_z 1
		.amdhsa_system_sgpr_workgroup_info 0
		.amdhsa_system_vgpr_workitem_id 1
		.amdhsa_next_free_vgpr 9
		.amdhsa_next_free_sgpr 18
		.amdhsa_reserve_vcc 1
		.amdhsa_float_round_mode_32 0
		.amdhsa_float_round_mode_16_64 0
		.amdhsa_float_denorm_mode_32 3
		.amdhsa_float_denorm_mode_16_64 3
		.amdhsa_dx10_clamp 1
		.amdhsa_ieee_mode 1
		.amdhsa_fp16_overflow 0
		.amdhsa_workgroup_processor_mode 1
		.amdhsa_memory_ordered 1
		.amdhsa_forward_progress 0
		.amdhsa_shared_vgpr_count 0
		.amdhsa_exception_fp_ieee_invalid_op 0
		.amdhsa_exception_fp_denorm_src 0
		.amdhsa_exception_fp_ieee_div_zero 0
		.amdhsa_exception_fp_ieee_overflow 0
		.amdhsa_exception_fp_ieee_underflow 0
		.amdhsa_exception_fp_ieee_inexact 0
		.amdhsa_exception_int_div_zero 0
	.end_amdhsa_kernel
	.section	.text._ZN12_GLOBAL__N_120geam_ex_scale_kernelILi32ELi32EddPKPKdPKPdEEviiT2_T3_lilT4_lil,"axG",@progbits,_ZN12_GLOBAL__N_120geam_ex_scale_kernelILi32ELi32EddPKPKdPKPdEEviiT2_T3_lilT4_lil,comdat
.Lfunc_end102:
	.size	_ZN12_GLOBAL__N_120geam_ex_scale_kernelILi32ELi32EddPKPKdPKPdEEviiT2_T3_lilT4_lil, .Lfunc_end102-_ZN12_GLOBAL__N_120geam_ex_scale_kernelILi32ELi32EddPKPKdPKPdEEviiT2_T3_lilT4_lil
                                        ; -- End function
	.section	.AMDGPU.csdata,"",@progbits
; Kernel info:
; codeLenInByte = 624
; NumSgprs: 20
; NumVgprs: 9
; ScratchSize: 0
; MemoryBound: 0
; FloatMode: 240
; IeeeMode: 1
; LDSByteSize: 0 bytes/workgroup (compile time only)
; SGPRBlocks: 2
; VGPRBlocks: 1
; NumSGPRsForWavesPerEU: 20
; NumVGPRsForWavesPerEU: 9
; Occupancy: 16
; WaveLimiterHint : 1
; COMPUTE_PGM_RSRC2:SCRATCH_EN: 0
; COMPUTE_PGM_RSRC2:USER_SGPR: 14
; COMPUTE_PGM_RSRC2:TRAP_HANDLER: 0
; COMPUTE_PGM_RSRC2:TGID_X_EN: 1
; COMPUTE_PGM_RSRC2:TGID_Y_EN: 0
; COMPUTE_PGM_RSRC2:TGID_Z_EN: 1
; COMPUTE_PGM_RSRC2:TIDIG_COMP_CNT: 1
	.section	.text._ZN12_GLOBAL__N_120geam_ex_scale_kernelILi32ELi32EdPKdPKS2_PKPdEEviiT2_T3_lilT4_lil,"axG",@progbits,_ZN12_GLOBAL__N_120geam_ex_scale_kernelILi32ELi32EdPKdPKS2_PKPdEEviiT2_T3_lilT4_lil,comdat
	.globl	_ZN12_GLOBAL__N_120geam_ex_scale_kernelILi32ELi32EdPKdPKS2_PKPdEEviiT2_T3_lilT4_lil ; -- Begin function _ZN12_GLOBAL__N_120geam_ex_scale_kernelILi32ELi32EdPKdPKS2_PKPdEEviiT2_T3_lilT4_lil
	.p2align	8
	.type	_ZN12_GLOBAL__N_120geam_ex_scale_kernelILi32ELi32EdPKdPKS2_PKPdEEviiT2_T3_lilT4_lil,@function
_ZN12_GLOBAL__N_120geam_ex_scale_kernelILi32ELi32EdPKdPKS2_PKPdEEviiT2_T3_lilT4_lil: ; @_ZN12_GLOBAL__N_120geam_ex_scale_kernelILi32ELi32EdPKdPKS2_PKPdEEviiT2_T3_lilT4_lil
; %bb.0:
	s_load_b128 s[4:7], s[0:1], 0x8
	s_mov_b32 s12, s15
	s_mov_b64 s[10:11], 0
	s_mov_b32 s13, 0
	s_waitcnt lgkmcnt(0)
	s_load_b64 s[8:9], s[4:5], 0x0
	s_waitcnt lgkmcnt(0)
	v_cmp_eq_f64_e64 s15, s[8:9], 0
	s_delay_alu instid0(VALU_DEP_1)
	s_and_b32 vcc_lo, exec_lo, s15
	s_cbranch_vccnz .LBB103_2
; %bb.1:
	s_lshl_b64 s[2:3], s[12:13], 3
	s_load_b64 s[4:5], s[0:1], 0x18
	s_add_u32 s2, s6, s2
	s_addc_u32 s3, s7, s3
	s_load_b64 s[2:3], s[2:3], 0x0
	s_waitcnt lgkmcnt(0)
	s_lshl_b64 s[4:5], s[4:5], 3
	s_delay_alu instid0(SALU_CYCLE_1)
	s_add_u32 s10, s2, s4
	s_addc_u32 s11, s3, s5
.LBB103_2:
	s_load_b64 s[2:3], s[0:1], 0x0
	v_bfe_u32 v2, v0, 10, 10
	s_waitcnt lgkmcnt(0)
	s_add_i32 s4, s2, -1
	s_delay_alu instid0(SALU_CYCLE_1) | instskip(NEXT) | instid1(SALU_CYCLE_1)
	s_ashr_i32 s5, s4, 31
	s_lshr_b32 s5, s5, 27
	s_delay_alu instid0(SALU_CYCLE_1) | instskip(NEXT) | instid1(SALU_CYCLE_1)
	s_add_i32 s4, s4, s5
	s_ashr_i32 s4, s4, 5
	s_delay_alu instid0(SALU_CYCLE_1) | instskip(SKIP_2) | instid1(VALU_DEP_1)
	s_add_i32 s5, s4, 1
	s_not_b32 s4, s4
	v_cvt_f32_u32_e32 v1, s5
	v_rcp_iflag_f32_e32 v1, v1
	s_waitcnt_depctr 0xfff
	v_mul_f32_e32 v1, 0x4f7ffffe, v1
	s_delay_alu instid0(VALU_DEP_1) | instskip(NEXT) | instid1(VALU_DEP_1)
	v_cvt_u32_f32_e32 v1, v1
	v_readfirstlane_b32 s6, v1
	v_and_b32_e32 v1, 0x3ff, v0
	s_delay_alu instid0(VALU_DEP_2) | instskip(NEXT) | instid1(SALU_CYCLE_1)
	s_mul_i32 s4, s4, s6
	s_mul_hi_u32 s4, s6, s4
	s_delay_alu instid0(SALU_CYCLE_1) | instskip(NEXT) | instid1(SALU_CYCLE_1)
	s_add_i32 s6, s6, s4
	s_mul_hi_u32 s4, s14, s6
	s_delay_alu instid0(SALU_CYCLE_1) | instskip(SKIP_2) | instid1(SALU_CYCLE_1)
	s_mul_i32 s6, s4, s5
	s_add_i32 s7, s4, 1
	s_sub_i32 s6, s14, s6
	s_sub_i32 s16, s6, s5
	s_cmp_ge_u32 s6, s5
	s_cselect_b32 s4, s7, s4
	s_cselect_b32 s6, s16, s6
	s_add_i32 s7, s4, 1
	s_cmp_ge_u32 s6, s5
	s_cselect_b32 s4, s7, s4
	s_delay_alu instid0(SALU_CYCLE_1) | instskip(SKIP_4) | instid1(VALU_DEP_1)
	s_mul_i32 s5, s4, s5
	v_lshl_add_u32 v4, s4, 5, v2
	s_sub_i32 s5, s14, s5
	s_mov_b32 s14, -1
	v_lshl_add_u32 v0, s5, 5, v1
	v_cmp_gt_u32_e32 vcc_lo, s2, v0
	v_cmp_gt_u32_e64 s2, s3, v4
	s_delay_alu instid0(VALU_DEP_1) | instskip(NEXT) | instid1(SALU_CYCLE_1)
	s_and_b32 s2, vcc_lo, s2
	s_and_saveexec_b32 s3, s2
	s_cbranch_execz .LBB103_8
; %bb.3:
	s_load_b128 s[4:7], s[0:1], 0x30
	s_lshl_b64 s[2:3], s[12:13], 3
	s_waitcnt lgkmcnt(0)
	s_add_u32 s2, s4, s2
	s_addc_u32 s3, s5, s3
	s_and_not1_b32 vcc_lo, exec_lo, s15
	s_load_b64 s[2:3], s[2:3], 0x0
	s_cbranch_vccnz .LBB103_5
; %bb.4:
	v_mov_b32_e32 v1, 0
	s_mov_b64 s[4:5], 0
	s_delay_alu instid0(SALU_CYCLE_1)
	v_dual_mov_b32 v2, s4 :: v_dual_mov_b32 v3, s5
	s_cbranch_execz .LBB103_6
	s_branch .LBB103_7
.LBB103_5:
                                        ; implicit-def: $sgpr4_sgpr5
	v_dual_mov_b32 v2, s4 :: v_dual_mov_b32 v3, s5
	s_and_not1_b32 vcc_lo, exec_lo, s14
	s_cbranch_vccnz .LBB103_7
.LBB103_6:
	s_load_b32 s4, s[0:1], 0x20
	v_mov_b32_e32 v1, 0
	s_waitcnt lgkmcnt(0)
	s_delay_alu instid0(VALU_DEP_1)
	v_mad_u64_u32 v[2:3], null, v4, s4, v[0:1]
	s_ashr_i32 s4, s4, 31
	s_delay_alu instid0(VALU_DEP_1) | instid1(SALU_CYCLE_1)
	v_mad_u64_u32 v[5:6], null, v4, s4, v[3:4]
	s_delay_alu instid0(VALU_DEP_1) | instskip(NEXT) | instid1(VALU_DEP_1)
	v_mov_b32_e32 v3, v5
	v_lshlrev_b64 v[2:3], 3, v[2:3]
	s_delay_alu instid0(VALU_DEP_1) | instskip(NEXT) | instid1(VALU_DEP_2)
	v_add_co_u32 v2, vcc_lo, s10, v2
	v_add_co_ci_u32_e32 v3, vcc_lo, s11, v3, vcc_lo
	flat_load_b64 v[2:3], v[2:3]
	s_waitcnt vmcnt(0) lgkmcnt(0)
	v_mul_f64 v[2:3], s[8:9], v[2:3]
.LBB103_7:
	s_load_b32 s4, s[0:1], 0x40
	s_lshl_b64 s[0:1], s[6:7], 3
	v_lshlrev_b64 v[0:1], 3, v[0:1]
	s_waitcnt lgkmcnt(0)
	s_add_u32 s0, s2, s0
	s_addc_u32 s1, s3, s1
	v_mad_u64_u32 v[5:6], null, v4, s4, 0
	s_ashr_i32 s2, s4, 31
	s_delay_alu instid0(VALU_DEP_1) | instid1(SALU_CYCLE_1)
	v_mad_u64_u32 v[7:8], null, v4, s2, v[6:7]
	s_delay_alu instid0(VALU_DEP_1) | instskip(NEXT) | instid1(VALU_DEP_1)
	v_mov_b32_e32 v6, v7
	v_lshlrev_b64 v[4:5], 3, v[5:6]
	s_delay_alu instid0(VALU_DEP_1) | instskip(NEXT) | instid1(VALU_DEP_2)
	v_add_co_u32 v4, vcc_lo, s0, v4
	v_add_co_ci_u32_e32 v5, vcc_lo, s1, v5, vcc_lo
	s_delay_alu instid0(VALU_DEP_2) | instskip(NEXT) | instid1(VALU_DEP_2)
	v_add_co_u32 v0, vcc_lo, v4, v0
	v_add_co_ci_u32_e32 v1, vcc_lo, v5, v1, vcc_lo
	global_store_b64 v[0:1], v[2:3], off
.LBB103_8:
	s_nop 0
	s_sendmsg sendmsg(MSG_DEALLOC_VGPRS)
	s_endpgm
	.section	.rodata,"a",@progbits
	.p2align	6, 0x0
	.amdhsa_kernel _ZN12_GLOBAL__N_120geam_ex_scale_kernelILi32ELi32EdPKdPKS2_PKPdEEviiT2_T3_lilT4_lil
		.amdhsa_group_segment_fixed_size 0
		.amdhsa_private_segment_fixed_size 0
		.amdhsa_kernarg_size 80
		.amdhsa_user_sgpr_count 14
		.amdhsa_user_sgpr_dispatch_ptr 0
		.amdhsa_user_sgpr_queue_ptr 0
		.amdhsa_user_sgpr_kernarg_segment_ptr 1
		.amdhsa_user_sgpr_dispatch_id 0
		.amdhsa_user_sgpr_private_segment_size 0
		.amdhsa_wavefront_size32 1
		.amdhsa_uses_dynamic_stack 0
		.amdhsa_enable_private_segment 0
		.amdhsa_system_sgpr_workgroup_id_x 1
		.amdhsa_system_sgpr_workgroup_id_y 0
		.amdhsa_system_sgpr_workgroup_id_z 1
		.amdhsa_system_sgpr_workgroup_info 0
		.amdhsa_system_vgpr_workitem_id 1
		.amdhsa_next_free_vgpr 9
		.amdhsa_next_free_sgpr 17
		.amdhsa_reserve_vcc 1
		.amdhsa_float_round_mode_32 0
		.amdhsa_float_round_mode_16_64 0
		.amdhsa_float_denorm_mode_32 3
		.amdhsa_float_denorm_mode_16_64 3
		.amdhsa_dx10_clamp 1
		.amdhsa_ieee_mode 1
		.amdhsa_fp16_overflow 0
		.amdhsa_workgroup_processor_mode 1
		.amdhsa_memory_ordered 1
		.amdhsa_forward_progress 0
		.amdhsa_shared_vgpr_count 0
		.amdhsa_exception_fp_ieee_invalid_op 0
		.amdhsa_exception_fp_denorm_src 0
		.amdhsa_exception_fp_ieee_div_zero 0
		.amdhsa_exception_fp_ieee_overflow 0
		.amdhsa_exception_fp_ieee_underflow 0
		.amdhsa_exception_fp_ieee_inexact 0
		.amdhsa_exception_int_div_zero 0
	.end_amdhsa_kernel
	.section	.text._ZN12_GLOBAL__N_120geam_ex_scale_kernelILi32ELi32EdPKdPKS2_PKPdEEviiT2_T3_lilT4_lil,"axG",@progbits,_ZN12_GLOBAL__N_120geam_ex_scale_kernelILi32ELi32EdPKdPKS2_PKPdEEviiT2_T3_lilT4_lil,comdat
.Lfunc_end103:
	.size	_ZN12_GLOBAL__N_120geam_ex_scale_kernelILi32ELi32EdPKdPKS2_PKPdEEviiT2_T3_lilT4_lil, .Lfunc_end103-_ZN12_GLOBAL__N_120geam_ex_scale_kernelILi32ELi32EdPKdPKS2_PKPdEEviiT2_T3_lilT4_lil
                                        ; -- End function
	.section	.AMDGPU.csdata,"",@progbits
; Kernel info:
; codeLenInByte = 636
; NumSgprs: 19
; NumVgprs: 9
; ScratchSize: 0
; MemoryBound: 0
; FloatMode: 240
; IeeeMode: 1
; LDSByteSize: 0 bytes/workgroup (compile time only)
; SGPRBlocks: 2
; VGPRBlocks: 1
; NumSGPRsForWavesPerEU: 19
; NumVGPRsForWavesPerEU: 9
; Occupancy: 16
; WaveLimiterHint : 1
; COMPUTE_PGM_RSRC2:SCRATCH_EN: 0
; COMPUTE_PGM_RSRC2:USER_SGPR: 14
; COMPUTE_PGM_RSRC2:TRAP_HANDLER: 0
; COMPUTE_PGM_RSRC2:TGID_X_EN: 1
; COMPUTE_PGM_RSRC2:TGID_Y_EN: 0
; COMPUTE_PGM_RSRC2:TGID_Z_EN: 1
; COMPUTE_PGM_RSRC2:TIDIG_COMP_CNT: 1
	.section	.text._ZN12_GLOBAL__N_120geam_ex_round_kernelILi32ELi32EddPKPKdPKPdEEviiT2_T3_lilT4_lil,"axG",@progbits,_ZN12_GLOBAL__N_120geam_ex_round_kernelILi32ELi32EddPKPKdPKPdEEviiT2_T3_lilT4_lil,comdat
	.globl	_ZN12_GLOBAL__N_120geam_ex_round_kernelILi32ELi32EddPKPKdPKPdEEviiT2_T3_lilT4_lil ; -- Begin function _ZN12_GLOBAL__N_120geam_ex_round_kernelILi32ELi32EddPKPKdPKPdEEviiT2_T3_lilT4_lil
	.p2align	8
	.type	_ZN12_GLOBAL__N_120geam_ex_round_kernelILi32ELi32EddPKPKdPKPdEEviiT2_T3_lilT4_lil,@function
_ZN12_GLOBAL__N_120geam_ex_round_kernelILi32ELi32EddPKPKdPKPdEEviiT2_T3_lilT4_lil: ; @_ZN12_GLOBAL__N_120geam_ex_round_kernelILi32ELi32EddPKPKdPKPdEEviiT2_T3_lilT4_lil
; %bb.0:
	s_load_b128 s[4:7], s[0:1], 0x8
	s_mov_b32 s16, s15
	s_mov_b64 s[12:13], 0
	s_mov_b32 s17, 0
	s_waitcnt lgkmcnt(0)
	v_cmp_eq_f64_e64 s15, s[4:5], 0
	s_delay_alu instid0(VALU_DEP_1)
	s_and_b32 vcc_lo, exec_lo, s15
	s_cbranch_vccnz .LBB104_2
; %bb.1:
	s_lshl_b64 s[2:3], s[16:17], 3
	s_load_b64 s[8:9], s[0:1], 0x18
	s_add_u32 s2, s6, s2
	s_addc_u32 s3, s7, s3
	s_load_b64 s[2:3], s[2:3], 0x0
	s_waitcnt lgkmcnt(0)
	s_lshl_b64 s[6:7], s[8:9], 3
	s_delay_alu instid0(SALU_CYCLE_1)
	s_add_u32 s12, s2, s6
	s_addc_u32 s13, s3, s7
.LBB104_2:
	s_load_b64 s[2:3], s[0:1], 0x0
	v_bfe_u32 v2, v0, 10, 10
	s_waitcnt lgkmcnt(0)
	s_add_i32 s6, s2, -1
	s_delay_alu instid0(SALU_CYCLE_1) | instskip(NEXT) | instid1(SALU_CYCLE_1)
	s_ashr_i32 s7, s6, 31
	s_lshr_b32 s7, s7, 27
	s_delay_alu instid0(SALU_CYCLE_1) | instskip(NEXT) | instid1(SALU_CYCLE_1)
	s_add_i32 s6, s6, s7
	s_ashr_i32 s6, s6, 5
	s_delay_alu instid0(SALU_CYCLE_1) | instskip(SKIP_2) | instid1(VALU_DEP_1)
	s_add_i32 s7, s6, 1
	s_not_b32 s6, s6
	v_cvt_f32_u32_e32 v1, s7
	v_rcp_iflag_f32_e32 v1, v1
	s_waitcnt_depctr 0xfff
	v_mul_f32_e32 v1, 0x4f7ffffe, v1
	s_delay_alu instid0(VALU_DEP_1) | instskip(NEXT) | instid1(VALU_DEP_1)
	v_cvt_u32_f32_e32 v1, v1
	v_readfirstlane_b32 s8, v1
	v_and_b32_e32 v1, 0x3ff, v0
	s_delay_alu instid0(VALU_DEP_2) | instskip(NEXT) | instid1(SALU_CYCLE_1)
	s_mul_i32 s6, s6, s8
	s_mul_hi_u32 s6, s8, s6
	s_delay_alu instid0(SALU_CYCLE_1) | instskip(NEXT) | instid1(SALU_CYCLE_1)
	s_add_i32 s8, s8, s6
	s_mul_hi_u32 s6, s14, s8
	s_delay_alu instid0(SALU_CYCLE_1) | instskip(SKIP_2) | instid1(SALU_CYCLE_1)
	s_mul_i32 s8, s6, s7
	s_add_i32 s9, s6, 1
	s_sub_i32 s8, s14, s8
	s_sub_i32 s10, s8, s7
	s_cmp_ge_u32 s8, s7
	s_cselect_b32 s6, s9, s6
	s_cselect_b32 s8, s10, s8
	s_add_i32 s9, s6, 1
	s_cmp_ge_u32 s8, s7
	s_cselect_b32 s6, s9, s6
	s_delay_alu instid0(SALU_CYCLE_1) | instskip(SKIP_4) | instid1(VALU_DEP_1)
	s_mul_i32 s7, s6, s7
	v_lshl_add_u32 v5, s6, 5, v2
	s_sub_i32 s7, s14, s7
	s_mov_b32 s14, -1
	v_lshl_add_u32 v0, s7, 5, v1
	v_cmp_gt_u32_e32 vcc_lo, s2, v0
	v_cmp_gt_u32_e64 s2, s3, v5
	s_delay_alu instid0(VALU_DEP_1) | instskip(NEXT) | instid1(SALU_CYCLE_1)
	s_and_b32 s2, vcc_lo, s2
	s_and_saveexec_b32 s3, s2
	s_cbranch_execz .LBB104_8
; %bb.3:
	s_load_b128 s[8:11], s[0:1], 0x30
	s_lshl_b64 s[2:3], s[16:17], 3
	s_waitcnt lgkmcnt(0)
	s_add_u32 s2, s8, s2
	s_addc_u32 s3, s9, s3
	s_and_not1_b32 vcc_lo, exec_lo, s15
	s_load_b64 s[2:3], s[2:3], 0x0
	s_cbranch_vccnz .LBB104_5
; %bb.4:
	v_mov_b32_e32 v2, 0
	s_mov_b64 s[6:7], 0
	s_delay_alu instid0(VALU_DEP_1)
	v_mov_b32_e32 v1, v2
	v_dual_mov_b32 v3, s6 :: v_dual_mov_b32 v4, s7
	s_cbranch_execz .LBB104_6
	s_branch .LBB104_7
.LBB104_5:
                                        ; implicit-def: $sgpr6_sgpr7
                                        ; implicit-def: $vgpr1_vgpr2
	v_dual_mov_b32 v3, s6 :: v_dual_mov_b32 v4, s7
	s_and_not1_b32 vcc_lo, exec_lo, s14
	s_cbranch_vccnz .LBB104_7
.LBB104_6:
	s_load_b32 s6, s[0:1], 0x20
	v_mov_b32_e32 v2, 0
	s_delay_alu instid0(VALU_DEP_1) | instskip(SKIP_1) | instid1(VALU_DEP_1)
	v_mov_b32_e32 v1, v2
	s_waitcnt lgkmcnt(0)
	v_mad_u64_u32 v[3:4], null, v5, s6, v[0:1]
	s_ashr_i32 s6, s6, 31
	s_delay_alu instid0(VALU_DEP_1) | instid1(SALU_CYCLE_1)
	v_mad_u64_u32 v[6:7], null, v5, s6, v[4:5]
	s_delay_alu instid0(VALU_DEP_1) | instskip(NEXT) | instid1(VALU_DEP_1)
	v_mov_b32_e32 v4, v6
	v_lshlrev_b64 v[3:4], 3, v[3:4]
	s_delay_alu instid0(VALU_DEP_1) | instskip(NEXT) | instid1(VALU_DEP_2)
	v_add_co_u32 v3, vcc_lo, s12, v3
	v_add_co_ci_u32_e32 v4, vcc_lo, s13, v4, vcc_lo
	flat_load_b64 v[3:4], v[3:4]
	s_waitcnt vmcnt(0) lgkmcnt(0)
	v_mul_f64 v[3:4], v[3:4], s[4:5]
.LBB104_7:
	s_load_b32 s4, s[0:1], 0x40
	s_delay_alu instid0(VALU_DEP_1)
	v_cmp_nlt_f64_e32 vcc_lo, 0, v[3:4]
	s_lshl_b64 s[0:1], s[10:11], 3
	v_lshlrev_b64 v[0:1], 3, v[0:1]
	s_waitcnt lgkmcnt(0)
	s_add_u32 s0, s2, s0
	s_addc_u32 s1, s3, s1
	s_ashr_i32 s2, s4, 31
	v_mul_lo_u32 v2, v2, s4
	v_mad_u64_u32 v[6:7], null, v5, s4, 0
	v_mul_lo_u32 v5, v5, s2
	s_delay_alu instid0(VALU_DEP_1) | instskip(NEXT) | instid1(VALU_DEP_1)
	v_add3_u32 v7, v7, v5, v2
	v_lshlrev_b64 v[5:6], 3, v[6:7]
	v_cndmask_b32_e32 v2, 0, v4, vcc_lo
	s_delay_alu instid0(VALU_DEP_2) | instskip(NEXT) | instid1(VALU_DEP_1)
	v_add_co_u32 v5, s0, s0, v5
	v_add_co_ci_u32_e64 v6, s0, s1, v6, s0
	s_delay_alu instid0(VALU_DEP_2) | instskip(NEXT) | instid1(VALU_DEP_1)
	v_add_co_u32 v4, s0, v5, v0
	v_add_co_ci_u32_e64 v5, s0, v6, v1, s0
	v_cndmask_b32_e32 v1, 0, v3, vcc_lo
	global_store_b64 v[4:5], v[1:2], off
.LBB104_8:
	s_nop 0
	s_sendmsg sendmsg(MSG_DEALLOC_VGPRS)
	s_endpgm
	.section	.rodata,"a",@progbits
	.p2align	6, 0x0
	.amdhsa_kernel _ZN12_GLOBAL__N_120geam_ex_round_kernelILi32ELi32EddPKPKdPKPdEEviiT2_T3_lilT4_lil
		.amdhsa_group_segment_fixed_size 0
		.amdhsa_private_segment_fixed_size 0
		.amdhsa_kernarg_size 80
		.amdhsa_user_sgpr_count 14
		.amdhsa_user_sgpr_dispatch_ptr 0
		.amdhsa_user_sgpr_queue_ptr 0
		.amdhsa_user_sgpr_kernarg_segment_ptr 1
		.amdhsa_user_sgpr_dispatch_id 0
		.amdhsa_user_sgpr_private_segment_size 0
		.amdhsa_wavefront_size32 1
		.amdhsa_uses_dynamic_stack 0
		.amdhsa_enable_private_segment 0
		.amdhsa_system_sgpr_workgroup_id_x 1
		.amdhsa_system_sgpr_workgroup_id_y 0
		.amdhsa_system_sgpr_workgroup_id_z 1
		.amdhsa_system_sgpr_workgroup_info 0
		.amdhsa_system_vgpr_workitem_id 1
		.amdhsa_next_free_vgpr 8
		.amdhsa_next_free_sgpr 18
		.amdhsa_reserve_vcc 1
		.amdhsa_float_round_mode_32 0
		.amdhsa_float_round_mode_16_64 0
		.amdhsa_float_denorm_mode_32 3
		.amdhsa_float_denorm_mode_16_64 3
		.amdhsa_dx10_clamp 1
		.amdhsa_ieee_mode 1
		.amdhsa_fp16_overflow 0
		.amdhsa_workgroup_processor_mode 1
		.amdhsa_memory_ordered 1
		.amdhsa_forward_progress 0
		.amdhsa_shared_vgpr_count 0
		.amdhsa_exception_fp_ieee_invalid_op 0
		.amdhsa_exception_fp_denorm_src 0
		.amdhsa_exception_fp_ieee_div_zero 0
		.amdhsa_exception_fp_ieee_overflow 0
		.amdhsa_exception_fp_ieee_underflow 0
		.amdhsa_exception_fp_ieee_inexact 0
		.amdhsa_exception_int_div_zero 0
	.end_amdhsa_kernel
	.section	.text._ZN12_GLOBAL__N_120geam_ex_round_kernelILi32ELi32EddPKPKdPKPdEEviiT2_T3_lilT4_lil,"axG",@progbits,_ZN12_GLOBAL__N_120geam_ex_round_kernelILi32ELi32EddPKPKdPKPdEEviiT2_T3_lilT4_lil,comdat
.Lfunc_end104:
	.size	_ZN12_GLOBAL__N_120geam_ex_round_kernelILi32ELi32EddPKPKdPKPdEEviiT2_T3_lilT4_lil, .Lfunc_end104-_ZN12_GLOBAL__N_120geam_ex_round_kernelILi32ELi32EddPKPKdPKPdEEviiT2_T3_lilT4_lil
                                        ; -- End function
	.section	.AMDGPU.csdata,"",@progbits
; Kernel info:
; codeLenInByte = 664
; NumSgprs: 20
; NumVgprs: 8
; ScratchSize: 0
; MemoryBound: 0
; FloatMode: 240
; IeeeMode: 1
; LDSByteSize: 0 bytes/workgroup (compile time only)
; SGPRBlocks: 2
; VGPRBlocks: 0
; NumSGPRsForWavesPerEU: 20
; NumVGPRsForWavesPerEU: 8
; Occupancy: 16
; WaveLimiterHint : 1
; COMPUTE_PGM_RSRC2:SCRATCH_EN: 0
; COMPUTE_PGM_RSRC2:USER_SGPR: 14
; COMPUTE_PGM_RSRC2:TRAP_HANDLER: 0
; COMPUTE_PGM_RSRC2:TGID_X_EN: 1
; COMPUTE_PGM_RSRC2:TGID_Y_EN: 0
; COMPUTE_PGM_RSRC2:TGID_Z_EN: 1
; COMPUTE_PGM_RSRC2:TIDIG_COMP_CNT: 1
	.section	.text._ZN12_GLOBAL__N_120geam_min_plus_kernelId15HIP_vector_typeIdLj2EEdLi32ELi8ELi256ELi64ELi4ELi64ELi4ELi4ELi64ELc78ELc78ELb0ELb0ELb1EPKdKS4_KPdEEviiiT16_PT17_ilSA_ilS8_SA_ilPT18_ili26rocblas_geam_ex_operation_,"axG",@progbits,_ZN12_GLOBAL__N_120geam_min_plus_kernelId15HIP_vector_typeIdLj2EEdLi32ELi8ELi256ELi64ELi4ELi64ELi4ELi4ELi64ELc78ELc78ELb0ELb0ELb1EPKdKS4_KPdEEviiiT16_PT17_ilSA_ilS8_SA_ilPT18_ili26rocblas_geam_ex_operation_,comdat
	.globl	_ZN12_GLOBAL__N_120geam_min_plus_kernelId15HIP_vector_typeIdLj2EEdLi32ELi8ELi256ELi64ELi4ELi64ELi4ELi4ELi64ELc78ELc78ELb0ELb0ELb1EPKdKS4_KPdEEviiiT16_PT17_ilSA_ilS8_SA_ilPT18_ili26rocblas_geam_ex_operation_ ; -- Begin function _ZN12_GLOBAL__N_120geam_min_plus_kernelId15HIP_vector_typeIdLj2EEdLi32ELi8ELi256ELi64ELi4ELi64ELi4ELi4ELi64ELc78ELc78ELb0ELb0ELb1EPKdKS4_KPdEEviiiT16_PT17_ilSA_ilS8_SA_ilPT18_ili26rocblas_geam_ex_operation_
	.p2align	8
	.type	_ZN12_GLOBAL__N_120geam_min_plus_kernelId15HIP_vector_typeIdLj2EEdLi32ELi8ELi256ELi64ELi4ELi64ELi4ELi4ELi64ELc78ELc78ELb0ELb0ELb1EPKdKS4_KPdEEviiiT16_PT17_ilSA_ilS8_SA_ilPT18_ili26rocblas_geam_ex_operation_,@function
_ZN12_GLOBAL__N_120geam_min_plus_kernelId15HIP_vector_typeIdLj2EEdLi32ELi8ELi256ELi64ELi4ELi64ELi4ELi4ELi64ELc78ELc78ELb0ELb0ELb1EPKdKS4_KPdEEviiiT16_PT17_ilSA_ilS8_SA_ilPT18_ili26rocblas_geam_ex_operation_: ; @_ZN12_GLOBAL__N_120geam_min_plus_kernelId15HIP_vector_typeIdLj2EEdLi32ELi8ELi256ELi64ELi4ELi64ELi4ELi4ELi64ELc78ELc78ELb0ELb0ELb1EPKdKS4_KPdEEviiiT16_PT17_ilSA_ilS8_SA_ilPT18_ili26rocblas_geam_ex_operation_
; %bb.0:
	s_clause 0x1
	s_load_b128 s[16:19], s[0:1], 0x10
	s_load_b128 s[4:7], s[0:1], 0x28
	s_mov_b32 s2, s15
	s_mov_b32 s3, 0
	s_mov_b64 s[20:21], 0
	s_lshl_b64 s[22:23], s[2:3], 3
	s_waitcnt lgkmcnt(0)
	s_add_u32 s2, s16, s22
	s_addc_u32 s3, s17, s23
	s_load_b64 s[12:13], s[2:3], 0x0
	s_clause 0x1
	s_load_b128 s[8:11], s[0:1], 0x40
	s_load_b64 s[24:25], s[0:1], 0x50
	s_waitcnt lgkmcnt(0)
	s_add_u32 s2, s10, s22
	v_cmp_eq_f64_e64 s16, s[12:13], 0
	v_cmp_neq_f64_e64 s15, s[12:13], 0
	s_addc_u32 s3, s11, s23
	s_delay_alu instid0(VALU_DEP_2)
	s_and_b32 vcc_lo, exec_lo, s16
	s_mov_b64 s[16:17], 0
	s_cbranch_vccnz .LBB105_2
; %bb.1:
	s_add_u32 s10, s18, s22
	s_addc_u32 s11, s19, s23
	s_lshl_b64 s[4:5], s[4:5], 3
	s_load_b64 s[10:11], s[10:11], 0x0
	s_waitcnt lgkmcnt(0)
	s_add_u32 s16, s10, s4
	s_addc_u32 s17, s11, s5
.LBB105_2:
	s_load_b64 s[10:11], s[2:3], 0x0
	s_delay_alu instid0(VALU_DEP_1) | instskip(SKIP_1) | instid1(VALU_DEP_1)
	v_cndmask_b32_e64 v1, 0, 1, s15
	s_and_not1_b32 vcc_lo, exec_lo, s15
	v_cmp_ne_u32_e64 s3, 1, v1
	s_cbranch_vccnz .LBB105_4
; %bb.3:
	s_add_u32 s4, s6, s22
	s_addc_u32 s5, s7, s23
	s_lshl_b64 s[6:7], s[8:9], 3
	s_load_b64 s[4:5], s[4:5], 0x0
	s_waitcnt lgkmcnt(0)
	s_add_u32 s20, s4, s6
	s_addc_u32 s21, s5, s7
.LBB105_4:
	s_waitcnt lgkmcnt(0)
	v_cmp_eq_f64_e64 s2, s[10:11], 0
	s_load_b128 s[4:7], s[0:1], 0x60
	s_mov_b64 s[8:9], 0
	s_delay_alu instid0(VALU_DEP_1) | instskip(NEXT) | instid1(SALU_CYCLE_1)
	s_and_b32 s2, exec_lo, s2
	s_mov_b32 vcc_lo, s2
	s_cbranch_vccnz .LBB105_6
; %bb.5:
	s_add_u32 s8, s24, s22
	s_addc_u32 s9, s25, s23
	s_waitcnt lgkmcnt(0)
	s_lshl_b64 s[4:5], s[4:5], 3
	s_load_b64 s[8:9], s[8:9], 0x0
	s_waitcnt lgkmcnt(0)
	s_add_u32 s8, s8, s4
	s_addc_u32 s9, s9, s5
.LBB105_6:
	s_clause 0x1
	s_load_b32 s15, s[0:1], 0x20
	s_load_b32 s19, s[0:1], 0x0
	s_waitcnt lgkmcnt(0)
	s_ashr_i32 s18, s15, 31
	s_add_u32 s4, s6, s22
	s_addc_u32 s5, s7, s23
	s_add_i32 s6, s19, -1
	s_load_b64 s[4:5], s[4:5], 0x0
	s_ashr_i32 s7, s6, 31
	s_delay_alu instid0(SALU_CYCLE_1) | instskip(NEXT) | instid1(SALU_CYCLE_1)
	s_lshr_b32 s7, s7, 24
	s_add_i32 s6, s6, s7
	s_delay_alu instid0(SALU_CYCLE_1) | instskip(NEXT) | instid1(SALU_CYCLE_1)
	s_ashr_i32 s6, s6, 8
	s_add_i32 s19, s6, 1
	s_not_b32 s6, s6
	v_cvt_f32_u32_e32 v1, s19
	s_delay_alu instid0(VALU_DEP_1) | instskip(SKIP_2) | instid1(VALU_DEP_1)
	v_rcp_iflag_f32_e32 v1, v1
	s_waitcnt_depctr 0xfff
	v_mul_f32_e32 v1, 0x4f7ffffe, v1
	v_cvt_u32_f32_e32 v1, v1
	s_delay_alu instid0(VALU_DEP_1) | instskip(SKIP_2) | instid1(VALU_DEP_3)
	v_readfirstlane_b32 s7, v1
	v_and_b32_e32 v1, 0x3ff, v0
	v_bfe_u32 v0, v0, 10, 10
	s_mul_i32 s6, s6, s7
	s_delay_alu instid0(SALU_CYCLE_1) | instskip(NEXT) | instid1(VALU_DEP_1)
	s_mul_hi_u32 s6, s7, s6
	v_lshl_add_u32 v6, v0, 5, v1
	s_add_i32 s7, s7, s6
	v_mov_b32_e32 v36, v1
	s_mul_hi_u32 s6, s14, s7
	s_delay_alu instid0(VALU_DEP_2)
	v_and_b32_e32 v61, 63, v6
	s_mul_i32 s7, s6, s19
	v_lshrrev_b32_e32 v2, 6, v6
	s_sub_i32 s7, s14, s7
	s_add_i32 s22, s6, 1
	s_sub_i32 s23, s7, s19
	s_cmp_ge_u32 s7, s19
	s_clause 0x1
	scratch_store_b32 off, v0, off offset:8
	scratch_store_b32 off, v2, off offset:356
	s_cselect_b32 s6, s22, s6
	s_cselect_b32 s7, s23, s7
	v_mad_i64_i32 v[0:1], null, s15, v2, 0
	s_add_i32 s22, s6, 1
	s_cmp_ge_u32 s7, s19
	s_cselect_b32 s7, s22, s6
	s_delay_alu instid0(SALU_CYCLE_1) | instskip(NEXT) | instid1(VALU_DEP_1)
	s_mul_i32 s6, s7, s19
	v_lshlrev_b64 v[0:1], 3, v[0:1]
	s_sub_i32 s6, s14, s6
	s_delay_alu instid0(SALU_CYCLE_1) | instskip(NEXT) | instid1(SALU_CYCLE_1)
	s_lshl_b32 s6, s6, 8
	v_or_b32_e32 v217, s6, v61
	s_delay_alu instid0(VALU_DEP_2) | instskip(NEXT) | instid1(VALU_DEP_3)
	v_add_co_u32 v7, vcc_lo, s16, v0
	v_add_co_ci_u32_e32 v8, vcc_lo, s17, v1, vcc_lo
	s_delay_alu instid0(VALU_DEP_3)
	v_ashrrev_i32_e32 v218, 31, v217
	s_and_b32 vcc_lo, exec_lo, s3
	s_cbranch_vccnz .LBB105_9
; %bb.7:
	s_delay_alu instid0(VALU_DEP_1) | instskip(NEXT) | instid1(VALU_DEP_1)
	v_lshlrev_b64 v[0:1], 3, v[217:218]
	v_add_co_u32 v0, vcc_lo, v7, v0
	s_delay_alu instid0(VALU_DEP_2)
	v_add_co_ci_u32_e32 v1, vcc_lo, v8, v1, vcc_lo
	s_clause 0x1
	flat_load_b64 v[2:3], v[0:1]
	flat_load_b64 v[9:10], v[0:1] offset:512
	s_waitcnt vmcnt(1) lgkmcnt(0)
	v_mul_f64 v[0:1], s[12:13], v[2:3]
	s_waitcnt vmcnt(0)
	v_mul_f64 v[2:3], s[12:13], v[9:10]
	s_and_b32 vcc_lo, exec_lo, s3
	s_cbranch_vccnz .LBB105_10
.LBB105_8:
	v_lshlrev_b64 v[9:10], 3, v[217:218]
	s_delay_alu instid0(VALU_DEP_1) | instskip(NEXT) | instid1(VALU_DEP_2)
	v_add_co_u32 v7, vcc_lo, v7, v9
	v_add_co_ci_u32_e32 v8, vcc_lo, v8, v10, vcc_lo
	s_clause 0x1
	flat_load_b64 v[9:10], v[7:8] offset:1024
	flat_load_b64 v[7:8], v[7:8] offset:1536
	s_waitcnt vmcnt(1) lgkmcnt(0)
	v_mul_f64 v[16:17], s[12:13], v[9:10]
	s_waitcnt vmcnt(0)
	v_mul_f64 v[18:19], s[12:13], v[7:8]
	s_branch .LBB105_11
.LBB105_9:
	v_mov_b32_e32 v0, 0
	v_dual_mov_b32 v1, 0 :: v_dual_mov_b32 v2, 0
	v_mov_b32_e32 v3, 0
	s_and_b32 vcc_lo, exec_lo, s3
	s_cbranch_vccz .LBB105_8
.LBB105_10:
	v_mov_b32_e32 v16, 0
	v_dual_mov_b32 v17, 0 :: v_dual_mov_b32 v18, 0
	v_mov_b32_e32 v19, 0
.LBB105_11:
	s_load_b32 s19, s[0:1], 0x38
	v_lshrrev_b32_e32 v24, 2, v6
	v_and_b32_e32 v4, 3, v36
	s_lshl_b32 s7, s7, 6
	s_and_b32 vcc_lo, exec_lo, s3
	s_delay_alu instid0(VALU_DEP_2) | instskip(NEXT) | instid1(VALU_DEP_2)
	v_add_nc_u32_e32 v219, s7, v24
	v_lshlrev_b32_e32 v25, 3, v4
	scratch_store_b32 off, v4, off offset:352 ; 4-byte Folded Spill
	s_cbranch_vccnz .LBB105_13
; %bb.12:
	s_waitcnt lgkmcnt(0)
	v_mad_i64_i32 v[6:7], null, v219, s19, 0
	s_delay_alu instid0(VALU_DEP_1) | instskip(NEXT) | instid1(VALU_DEP_1)
	v_lshlrev_b64 v[6:7], 3, v[6:7]
	v_add_co_u32 v4, vcc_lo, s20, v6
	s_delay_alu instid0(VALU_DEP_2) | instskip(NEXT) | instid1(VALU_DEP_2)
	v_add_co_ci_u32_e32 v5, vcc_lo, s21, v7, vcc_lo
	v_add_co_u32 v6, vcc_lo, v4, v25
	s_delay_alu instid0(VALU_DEP_2)
	v_add_co_ci_u32_e32 v7, vcc_lo, 0, v5, vcc_lo
	flat_load_b64 v[6:7], v[6:7]
	s_waitcnt vmcnt(0) lgkmcnt(0)
	v_mul_f64 v[20:21], s[12:13], v[6:7]
	s_branch .LBB105_14
.LBB105_13:
	v_mov_b32_e32 v20, 0
	v_mov_b32_e32 v21, 0
.LBB105_14:
	scratch_load_b32 v4, off, off offset:356 ; 4-byte Folded Reload
	s_waitcnt vmcnt(0)
	v_add_nc_u32_e32 v4, 4, v4
	s_delay_alu instid0(VALU_DEP_1) | instskip(SKIP_2) | instid1(VALU_DEP_1)
	v_mad_i64_i32 v[6:7], null, s15, v4, 0
	scratch_store_b32 off, v4, off offset:360 ; 4-byte Folded Spill
	v_lshlrev_b64 v[6:7], 3, v[6:7]
	v_add_co_u32 v10, vcc_lo, s16, v6
	s_delay_alu instid0(VALU_DEP_2)
	v_add_co_ci_u32_e32 v11, vcc_lo, s17, v7, vcc_lo
	s_and_b32 vcc_lo, exec_lo, s3
	s_cbranch_vccnz .LBB105_18
; %bb.15:
	v_lshlrev_b64 v[6:7], 3, v[217:218]
	s_delay_alu instid0(VALU_DEP_1) | instskip(NEXT) | instid1(VALU_DEP_2)
	v_add_co_u32 v6, vcc_lo, v10, v6
	v_add_co_ci_u32_e32 v7, vcc_lo, v11, v7, vcc_lo
	s_clause 0x1
	flat_load_b64 v[8:9], v[6:7]
	flat_load_b64 v[12:13], v[6:7] offset:512
	s_waitcnt vmcnt(1) lgkmcnt(0)
	v_mul_f64 v[220:221], s[12:13], v[8:9]
	s_waitcnt vmcnt(0)
	v_mul_f64 v[4:5], s[12:13], v[12:13]
	s_and_b32 vcc_lo, exec_lo, s3
	scratch_store_b64 off, v[4:5], off offset:312 ; 8-byte Folded Spill
	s_cbranch_vccnz .LBB105_19
.LBB105_16:
	v_lshlrev_b64 v[12:13], 3, v[217:218]
	s_delay_alu instid0(VALU_DEP_1) | instskip(NEXT) | instid1(VALU_DEP_2)
	v_add_co_u32 v10, vcc_lo, v10, v12
	v_add_co_ci_u32_e32 v11, vcc_lo, v11, v13, vcc_lo
	s_clause 0x1
	flat_load_b64 v[12:13], v[10:11] offset:1024
	flat_load_b64 v[14:15], v[10:11] offset:1536
	s_waitcnt vmcnt(1) lgkmcnt(0)
	v_mul_f64 v[4:5], s[12:13], v[12:13]
	scratch_store_b64 off, v[4:5], off offset:320 ; 8-byte Folded Spill
	s_waitcnt vmcnt(0)
	v_mul_f64 v[4:5], s[12:13], v[14:15]
	s_and_b32 vcc_lo, exec_lo, s3
	scratch_store_b64 off, v[4:5], off offset:328 ; 8-byte Folded Spill
	s_cbranch_vccnz .LBB105_20
.LBB105_17:
	s_waitcnt lgkmcnt(0)
	v_mad_i64_i32 v[14:15], null, v219, s19, 0
	s_delay_alu instid0(VALU_DEP_1) | instskip(NEXT) | instid1(VALU_DEP_1)
	v_lshlrev_b64 v[14:15], 3, v[14:15]
	v_add_co_u32 v4, vcc_lo, s20, v14
	s_delay_alu instid0(VALU_DEP_2) | instskip(NEXT) | instid1(VALU_DEP_2)
	v_add_co_ci_u32_e32 v5, vcc_lo, s21, v15, vcc_lo
	v_add_co_u32 v14, vcc_lo, v4, v25
	s_delay_alu instid0(VALU_DEP_2)
	v_add_co_ci_u32_e32 v15, vcc_lo, 0, v5, vcc_lo
	flat_load_b64 v[14:15], v[14:15] offset:32
	s_waitcnt vmcnt(0) lgkmcnt(0)
	v_mul_f64 v[4:5], s[12:13], v[14:15]
	s_branch .LBB105_21
.LBB105_18:
	v_mov_b32_e32 v220, 0
	v_dual_mov_b32 v221, 0 :: v_dual_mov_b32 v4, 0
	v_mov_b32_e32 v5, 0
	s_and_b32 vcc_lo, exec_lo, s3
	scratch_store_b64 off, v[4:5], off offset:312 ; 8-byte Folded Spill
	s_cbranch_vccz .LBB105_16
.LBB105_19:
	v_mov_b32_e32 v4, 0
	v_mov_b32_e32 v5, 0
	scratch_store_b64 off, v[4:5], off offset:320 ; 8-byte Folded Spill
	v_mov_b32_e32 v4, 0
	v_mov_b32_e32 v5, 0
	s_and_b32 vcc_lo, exec_lo, s3
	scratch_store_b64 off, v[4:5], off offset:328 ; 8-byte Folded Spill
	s_cbranch_vccz .LBB105_17
.LBB105_20:
	v_mov_b32_e32 v4, 0
	v_mov_b32_e32 v5, 0
.LBB105_21:
	scratch_store_b64 off, v[4:5], off offset:336 ; 8-byte Folded Spill
	scratch_load_b32 v4, off, off offset:356 ; 4-byte Folded Reload
	v_lshl_or_b32 v22, v24, 5, v25
	v_dual_mov_b32 v118, 0x7f800000 :: v_dual_mov_b32 v125, 0x7f800000
	v_dual_mov_b32 v120, 0x7f800000 :: v_dual_mov_b32 v197, 0x7f800000
	;; [unrolled: 1-line block ×29, first 2 shown]
	v_mov_b32_e32 v143, 0x7f800000
	s_mov_b32 s22, 0
	s_mov_b32 s14, -1
	v_mov_b32_e32 v243, 0x7f800000
	v_mov_b32_e32 v123, 0x7f800000
	s_waitcnt vmcnt(0)
	v_dual_mov_b32 v205, 0x7f800000 :: v_dual_lshlrev_b32 v4, 3, v4
	s_delay_alu instid0(VALU_DEP_1)
	v_lshl_add_u32 v5, v61, 5, v4
	v_mov_b32_e32 v4, 0x7f800000
	scratch_store_b32 off, v4, off          ; 4-byte Folded Spill
	v_add_nc_u32_e32 v4, 0x4000, v22
	scratch_store_b32 off, v4, off offset:368 ; 4-byte Folded Spill
	ds_store_b64 v22, v[20:21] offset:16384
	ds_store_2addr_stride64_b64 v5, v[0:1], v[2:3] offset1:4
	v_mov_b32_e32 v0, 0x7f800000
	scratch_store_b32 off, v5, off offset:364 ; 4-byte Folded Spill
	ds_store_2addr_stride64_b64 v5, v[16:17], v[18:19] offset0:8 offset1:12
	s_waitcnt lgkmcnt(0)
	s_waitcnt_vscnt null, 0x0
	scratch_store_b32 off, v0, off offset:4 ; 4-byte Folded Spill
	s_waitcnt_vscnt null, 0x0
	s_barrier
	buffer_gl0_inv
	scratch_store_b32 off, v36, off offset:292 ; 4-byte Folded Spill
.LBB105_22:                             ; =>This Inner Loop Header: Depth=1
	scratch_load_b32 v0, off, off offset:8  ; 4-byte Folded Reload
	s_lshl_b32 s22, s22, 3
	v_dual_mov_b32 v196, v107 :: v_dual_mov_b32 v77, v69
	v_lshl_add_u32 v5, v36, 5, s22
	v_dual_mov_b32 v191, v75 :: v_dual_mov_b32 v132, v70
	v_dual_mov_b32 v204, v95 :: v_dual_mov_b32 v133, v73
	;; [unrolled: 1-line block ×3, first 2 shown]
	v_mov_b32_e32 v192, v74
	v_mov_b32_e32 v130, v68
	;; [unrolled: 1-line block ×3, first 2 shown]
	s_and_not1_b32 vcc_lo, exec_lo, s14
	s_mov_b32 s14, 0
	s_waitcnt vmcnt(0)
	v_lshl_add_u32 v4, v0, 5, s22
	s_mov_b32 s22, 2
	ds_load_b128 v[16:19], v4 offset:16384
	ds_load_b128 v[0:3], v5
	ds_load_b128 v[112:115], v5 offset:1024
	ds_load_b128 v[29:32], v4 offset:16640
	s_waitcnt lgkmcnt(2)
	v_add_f64 v[6:7], v[2:3], v[18:19]
	scratch_store_b64 off, v[6:7], off offset:44 ; 8-byte Folded Spill
	v_add_f64 v[6:7], v[0:1], v[16:17]
	scratch_store_b64 off, v[6:7], off offset:108 ; 8-byte Folded Spill
	s_waitcnt lgkmcnt(1)
	v_add_f64 v[6:7], v[114:115], v[18:19]
	scratch_store_b64 off, v[6:7], off offset:12 ; 8-byte Folded Spill
	v_add_f64 v[6:7], v[112:113], v[16:17]
	scratch_store_b64 off, v[6:7], off offset:76 ; 8-byte Folded Spill
	ds_load_b128 v[33:36], v5 offset:2048
	ds_load_b128 v[37:40], v5 offset:3072
	s_waitcnt lgkmcnt(1)
	v_add_f64 v[6:7], v[35:36], v[18:19]
	scratch_store_b64 off, v[6:7], off offset:52 ; 8-byte Folded Spill
	v_add_f64 v[6:7], v[33:34], v[16:17]
	scratch_store_b64 off, v[6:7], off offset:116 ; 8-byte Folded Spill
	s_waitcnt lgkmcnt(0)
	v_add_f64 v[6:7], v[39:40], v[18:19]
	scratch_store_b64 off, v[6:7], off offset:20 ; 8-byte Folded Spill
	v_add_f64 v[6:7], v[37:38], v[16:17]
	scratch_store_b64 off, v[6:7], off offset:84 ; 8-byte Folded Spill
	;; [unrolled: 12-line block ×4, first 2 shown]
	v_add_f64 v[5:6], v[2:3], v[31:32]
	scratch_store_b64 off, v[5:6], off offset:140 ; 8-byte Folded Spill
	v_add_f64 v[5:6], v[0:1], v[29:30]
	scratch_store_b64 off, v[5:6], off offset:148 ; 8-byte Folded Spill
	;; [unrolled: 2-line block ×16, first 2 shown]
	ds_load_b128 v[16:19], v4 offset:16896
	ds_load_b128 v[29:32], v4 offset:17152
	s_waitcnt lgkmcnt(1)
	v_add_f64 v[5:6], v[43:44], v[18:19]
	v_add_f64 v[88:89], v[2:3], v[18:19]
	v_add_f64 v[96:97], v[0:1], v[16:17]
	v_add_f64 v[126:127], v[114:115], v[18:19]
	v_add_f64 v[92:93], v[112:113], v[16:17]
	v_add_f64 v[82:83], v[35:36], v[18:19]
	v_add_f64 v[106:107], v[33:34], v[16:17]
	v_add_f64 v[75:76], v[39:40], v[18:19]
	v_add_f64 v[100:101], v[37:38], v[16:17]
	v_add_f64 v[94:95], v[41:42], v[16:17]
	v_add_f64 v[90:91], v[45:46], v[16:17]
	v_add_f64 v[86:87], v[49:50], v[16:17]
	s_waitcnt lgkmcnt(0)
	v_add_f64 v[223:224], v[2:3], v[31:32]
	v_add_f64 v[225:226], v[0:1], v[29:30]
	;; [unrolled: 1-line block ×16, first 2 shown]
	scratch_store_b64 off, v[5:6], off offset:304 ; 8-byte Folded Spill
	v_add_f64 v[5:6], v[47:48], v[18:19]
	scratch_store_b64 off, v[5:6], off offset:284 ; 8-byte Folded Spill
	v_add_f64 v[5:6], v[51:52], v[18:19]
	;; [unrolled: 2-line block ×4, first 2 shown]
	scratch_store_b64 off, v[5:6], off offset:296 ; 8-byte Folded Spill
	ds_load_b128 v[16:19], v4 offset:17408
	ds_load_b128 v[29:32], v4 offset:17664
	s_waitcnt lgkmcnt(1)
	v_add_f64 v[62:63], v[2:3], v[18:19]
	v_add_f64 v[69:70], v[0:1], v[16:17]
	;; [unrolled: 1-line block ×16, first 2 shown]
	s_waitcnt lgkmcnt(0)
	v_add_f64 v[98:99], v[2:3], v[31:32]
	v_add_f64 v[102:103], v[0:1], v[29:30]
	;; [unrolled: 1-line block ×16, first 2 shown]
	ds_load_b128 v[16:19], v4 offset:17920
	ds_load_b128 v[29:32], v4 offset:18176
	s_waitcnt lgkmcnt(1)
	v_add_f64 v[4:5], v[0:1], v[16:17]
	v_add_f64 v[6:7], v[112:113], v[16:17]
	v_add_f64 v[10:11], v[33:34], v[16:17]
	v_add_f64 v[14:15], v[37:38], v[16:17]
	v_add_f64 v[116:117], v[41:42], v[16:17]
	v_add_f64 v[80:81], v[45:46], v[16:17]
	v_add_f64 v[59:60], v[49:50], v[16:17]
	v_add_f64 v[16:17], v[53:54], v[16:17]
	s_waitcnt lgkmcnt(0)
	v_add_f64 v[0:1], v[0:1], v[29:30]
	v_add_f64 v[112:113], v[112:113], v[29:30]
	;; [unrolled: 1-line block ×8, first 2 shown]
	scratch_load_b64 v[53:54], off, off offset:108 ; 8-byte Folded Reload
	v_add_f64 v[8:9], v[2:3], v[18:19]
	v_add_f64 v[12:13], v[114:115], v[18:19]
	;; [unrolled: 1-line block ×16, first 2 shown]
	v_cvt_f32_f64_e32 v4, v[4:5]
	v_cvt_f32_f64_e32 v0, v[0:1]
	;; [unrolled: 1-line block ×4, first 2 shown]
	s_delay_alu instid0(VALU_DEP_2) | instskip(SKIP_2) | instid1(VALU_DEP_4)
	v_min3_f32 v205, v4, v5, v205
	v_cvt_f32_f64_e32 v4, v[6:7]
	v_cvt_f32_f64_e32 v5, v[12:13]
	v_min3_f32 v125, v0, v1, v125
	v_cvt_f32_f64_e32 v0, v[112:113]
	v_cvt_f32_f64_e32 v1, v[114:115]
	s_delay_alu instid0(VALU_DEP_4) | instskip(SKIP_2) | instid1(VALU_DEP_4)
	v_min3_f32 v236, v4, v5, v236
	v_cvt_f32_f64_e32 v4, v[10:11]
	v_cvt_f32_f64_e32 v5, v[64:65]
	v_min3_f32 v124, v0, v1, v124
	v_cvt_f32_f64_e32 v1, v[35:36]
	v_cvt_f32_f64_e32 v0, v[33:34]
	s_delay_alu instid0(VALU_DEP_4) | instskip(SKIP_2) | instid1(VALU_DEP_1)
	v_min3_f32 v134, v4, v5, v134
	v_cvt_f32_f64_e32 v4, v[14:15]
	v_cvt_f32_f64_e32 v5, v[23:24]
	v_min3_f32 v135, v4, v5, v135
	v_cvt_f32_f64_e32 v4, v[116:117]
	v_cvt_f32_f64_e32 v5, v[57:58]
	s_delay_alu instid0(VALU_DEP_1) | instskip(SKIP_2) | instid1(VALU_DEP_1)
	v_min3_f32 v197, v4, v5, v197
	v_cvt_f32_f64_e32 v4, v[80:81]
	v_cvt_f32_f64_e32 v5, v[25:26]
	v_min3_f32 v78, v4, v5, v78
	v_cvt_f32_f64_e32 v4, v[59:60]
	v_cvt_f32_f64_e32 v5, v[27:28]
	s_delay_alu instid0(VALU_DEP_1)
	v_min3_f32 v128, v4, v5, v128
	v_cvt_f32_f64_e32 v4, v[16:17]
	v_cvt_f32_f64_e32 v5, v[18:19]
	s_waitcnt vmcnt(0)
	v_cvt_f32_f64_e32 v53, v[53:54]
	scratch_load_b64 v[54:55], off, off offset:44 ; 8-byte Folded Reload
	v_min3_f32 v123, v4, v5, v123
	s_waitcnt vmcnt(0)
	v_cvt_f32_f64_e32 v54, v[54:55]
	s_delay_alu instid0(VALU_DEP_1)
	v_min3_f32 v143, v53, v54, v143
	scratch_load_b64 v[53:54], off, off offset:76 ; 8-byte Folded Reload
	s_waitcnt vmcnt(0)
	v_cvt_f32_f64_e32 v53, v[53:54]
	scratch_load_b64 v[54:55], off, off offset:12 ; 8-byte Folded Reload
	s_waitcnt vmcnt(0)
	v_cvt_f32_f64_e32 v54, v[54:55]
	s_delay_alu instid0(VALU_DEP_1)
	v_min3_f32 v142, v53, v54, v142
	scratch_load_b64 v[53:54], off, off offset:116 ; 8-byte Folded Reload
	s_waitcnt vmcnt(0)
	v_cvt_f32_f64_e32 v53, v[53:54]
	scratch_load_b64 v[54:55], off, off offset:52 ; 8-byte Folded Reload
	;; [unrolled: 8-line block ×15, first 2 shown]
	s_waitcnt vmcnt(0)
	v_cvt_f32_f64_e32 v54, v[54:55]
	s_delay_alu instid0(VALU_DEP_1) | instskip(SKIP_2) | instid1(VALU_DEP_1)
	v_min3_f32 v255, v53, v54, v255
	v_cvt_f32_f64_e32 v53, v[96:97]
	v_cvt_f32_f64_e32 v54, v[88:89]
	v_min3_f32 v212, v53, v54, v212
	v_cvt_f32_f64_e32 v53, v[92:93]
	v_cvt_f32_f64_e32 v54, v[126:127]
	s_delay_alu instid0(VALU_DEP_1) | instskip(SKIP_3) | instid1(VALU_DEP_2)
	v_min3_f32 v211, v53, v54, v211
	v_cvt_f32_f64_e32 v53, v[106:107]
	v_cvt_f32_f64_e32 v54, v[82:83]
	v_mov_b32_e32 v107, v196
	v_min3_f32 v210, v53, v54, v210
	v_cvt_f32_f64_e32 v53, v[100:101]
	v_cvt_f32_f64_e32 v54, v[75:76]
	v_mov_b32_e32 v75, v191
	s_delay_alu instid0(VALU_DEP_2)
	v_min3_f32 v209, v53, v54, v209
	scratch_load_b64 v[54:55], off, off offset:304 ; 8-byte Folded Reload
	v_cvt_f32_f64_e32 v53, v[94:95]
	v_mov_b32_e32 v95, v204
	s_waitcnt vmcnt(0)
	v_cvt_f32_f64_e32 v54, v[54:55]
	s_delay_alu instid0(VALU_DEP_1) | instskip(SKIP_4) | instid1(VALU_DEP_1)
	v_min3_f32 v208, v53, v54, v208
	scratch_load_b64 v[54:55], off, off offset:284 ; 8-byte Folded Reload
	v_cvt_f32_f64_e32 v53, v[90:91]
	s_waitcnt vmcnt(0)
	v_cvt_f32_f64_e32 v54, v[54:55]
	v_min3_f32 v207, v53, v54, v207
	scratch_load_b64 v[54:55], off, off offset:276 ; 8-byte Folded Reload
	v_cvt_f32_f64_e32 v53, v[86:87]
	s_waitcnt vmcnt(0)
	v_cvt_f32_f64_e32 v54, v[54:55]
	s_delay_alu instid0(VALU_DEP_1)
	v_min3_f32 v95, v53, v54, v95
	scratch_load_b64 v[53:54], off, off offset:296 ; 8-byte Folded Reload
	s_waitcnt vmcnt(0)
	v_cvt_f32_f64_e32 v53, v[53:54]
	s_clause 0x2
	scratch_load_b64 v[54:55], off, off offset:268
	scratch_load_b32 v36, off, off offset:292
	scratch_load_b32 v2, off, off offset:4
	s_waitcnt vmcnt(2)
	v_cvt_f32_f64_e32 v54, v[54:55]
	s_waitcnt vmcnt(0)
	v_min3_f32 v2, v0, v1, v2
	v_cvt_f32_f64_e32 v0, v[37:38]
	v_cvt_f32_f64_e32 v1, v[39:40]
	scratch_store_b32 off, v2, off offset:4 ; 4-byte Folded Spill
	scratch_load_b32 v2, off, off           ; 4-byte Folded Reload
	v_min3_f32 v203, v53, v54, v203
	v_cvt_f32_f64_e32 v53, v[225:226]
	v_cvt_f32_f64_e32 v54, v[223:224]
	v_min3_f32 v122, v0, v1, v122
	v_cvt_f32_f64_e32 v0, v[41:42]
	v_cvt_f32_f64_e32 v1, v[43:44]
	s_delay_alu instid0(VALU_DEP_4) | instskip(SKIP_2) | instid1(VALU_DEP_4)
	v_min3_f32 v201, v53, v54, v201
	v_cvt_f32_f64_e32 v53, v[229:230]
	v_cvt_f32_f64_e32 v54, v[227:228]
	v_min3_f32 v243, v0, v1, v243
	v_cvt_f32_f64_e32 v0, v[45:46]
	v_cvt_f32_f64_e32 v1, v[47:48]
	s_delay_alu instid0(VALU_DEP_4) | instskip(SKIP_2) | instid1(VALU_DEP_4)
	v_min3_f32 v200, v53, v54, v200
	v_cvt_f32_f64_e32 v53, v[233:234]
	v_cvt_f32_f64_e32 v54, v[231:232]
	v_min3_f32 v120, v0, v1, v120
	v_cvt_f32_f64_e32 v0, v[49:50]
	v_cvt_f32_f64_e32 v1, v[51:52]
	s_delay_alu instid0(VALU_DEP_4) | instskip(SKIP_2) | instid1(VALU_DEP_1)
	v_min3_f32 v199, v53, v54, v199
	v_cvt_f32_f64_e32 v53, v[237:238]
	v_cvt_f32_f64_e32 v54, v[84:85]
	v_min3_f32 v107, v53, v54, v107
	v_cvt_f32_f64_e32 v53, v[241:242]
	v_cvt_f32_f64_e32 v54, v[66:67]
	s_delay_alu instid0(VALU_DEP_1) | instskip(SKIP_2) | instid1(VALU_DEP_1)
	v_min3_f32 v195, v53, v54, v195
	v_cvt_f32_f64_e32 v53, v[245:246]
	v_cvt_f32_f64_e32 v54, v[20:21]
	v_min3_f32 v194, v53, v54, v194
	v_cvt_f32_f64_e32 v53, v[249:250]
	v_cvt_f32_f64_e32 v54, v[247:248]
	s_delay_alu instid0(VALU_DEP_1)
	v_min3_f32 v240, v53, v54, v240
	v_cvt_f32_f64_e32 v53, v[253:254]
	v_cvt_f32_f64_e32 v54, v[251:252]
	s_waitcnt vmcnt(0)
	v_min3_f32 v2, v0, v1, v2
	v_cvt_f32_f64_e32 v0, v[29:30]
	v_cvt_f32_f64_e32 v1, v[31:32]
	scratch_store_b32 off, v2, off          ; 4-byte Folded Spill
	v_min3_f32 v239, v53, v54, v239
	v_cvt_f32_f64_e32 v53, v[69:70]
	v_cvt_f32_f64_e32 v54, v[62:63]
	v_dual_mov_b32 v70, v132 :: v_dual_mov_b32 v69, v77
	v_min3_f32 v118, v0, v1, v118
	s_delay_alu instid0(VALU_DEP_3) | instskip(SKIP_4) | instid1(VALU_DEP_2)
	v_min3_f32 v202, v53, v54, v202
	v_cvt_f32_f64_e32 v53, v[71:72]
	v_mov_b32_e32 v71, v131
	v_cvt_f32_f64_e32 v54, v[146:147]
	v_mov_b32_e32 v72, v190
	v_min3_f32 v193, v53, v54, v193
	v_cvt_f32_f64_e32 v53, v[73:74]
	v_cvt_f32_f64_e32 v54, v[148:149]
	v_dual_mov_b32 v74, v192 :: v_dual_mov_b32 v73, v133
	s_delay_alu instid0(VALU_DEP_1) | instskip(SKIP_4) | instid1(VALU_DEP_3)
	v_min3_f32 v74, v53, v54, v74
	v_cvt_f32_f64_e32 v53, v[144:145]
	v_cvt_f32_f64_e32 v54, v[152:153]
	v_mov_b32_e32 v152, v68
	v_mov_b32_e32 v68, v130
	v_min3_f32 v75, v53, v54, v75
	v_cvt_f32_f64_e32 v53, v[150:151]
	v_cvt_f32_f64_e32 v54, v[158:159]
	s_delay_alu instid0(VALU_DEP_1) | instskip(SKIP_2) | instid1(VALU_DEP_1)
	v_min3_f32 v72, v53, v54, v72
	v_cvt_f32_f64_e32 v53, v[154:155]
	v_cvt_f32_f64_e32 v54, v[160:161]
	v_min3_f32 v73, v53, v54, v73
	v_cvt_f32_f64_e32 v53, v[156:157]
	v_cvt_f32_f64_e32 v54, v[164:165]
	s_delay_alu instid0(VALU_DEP_1) | instskip(SKIP_2) | instid1(VALU_DEP_1)
	v_min3_f32 v70, v53, v54, v70
	v_cvt_f32_f64_e32 v53, v[162:163]
	v_cvt_f32_f64_e32 v54, v[166:167]
	v_min3_f32 v71, v53, v54, v71
	v_cvt_f32_f64_e32 v53, v[102:103]
	v_cvt_f32_f64_e32 v54, v[98:99]
	s_delay_alu instid0(VALU_DEP_1) | instskip(SKIP_2) | instid1(VALU_DEP_1)
	v_min3_f32 v68, v53, v54, v68
	v_cvt_f32_f64_e32 v53, v[108:109]
	v_cvt_f32_f64_e32 v54, v[104:105]
	v_min3_f32 v69, v53, v54, v69
	v_cvt_f32_f64_e32 v53, v[188:189]
	v_cvt_f32_f64_e32 v54, v[110:111]
	s_delay_alu instid0(VALU_DEP_1) | instskip(SKIP_2) | instid1(VALU_DEP_1)
	v_min3_f32 v152, v53, v54, v152
	v_cvt_f32_f64_e32 v53, v[184:185]
	v_cvt_f32_f64_e32 v54, v[186:187]
	v_min3_f32 v213, v53, v54, v213
	v_cvt_f32_f64_e32 v53, v[180:181]
	v_cvt_f32_f64_e32 v54, v[182:183]
	s_delay_alu instid0(VALU_DEP_1) | instskip(SKIP_2) | instid1(VALU_DEP_1)
	v_min3_f32 v216, v53, v54, v216
	v_cvt_f32_f64_e32 v53, v[176:177]
	v_cvt_f32_f64_e32 v54, v[178:179]
	v_min3_f32 v215, v53, v54, v215
	v_cvt_f32_f64_e32 v53, v[172:173]
	v_cvt_f32_f64_e32 v54, v[174:175]
	s_delay_alu instid0(VALU_DEP_1) | instskip(SKIP_2) | instid1(VALU_DEP_1)
	v_min3_f32 v214, v53, v54, v214
	v_cvt_f32_f64_e32 v53, v[168:169]
	v_cvt_f32_f64_e32 v54, v[170:171]
	v_min3_f32 v206, v53, v54, v206
	s_cbranch_vccz .LBB105_22
; %bb.23:
	scratch_load_b32 v1, off, off offset:356 ; 4-byte Folded Reload
	v_lshlrev_b32_e32 v0, 5, v61
	s_load_b32 s22, s[0:1], 0x8
	v_dual_mov_b32 v41, v212 :: v_dual_mov_b32 v40, v211
	v_dual_mov_b32 v39, v210 :: v_dual_mov_b32 v104, v208
	;; [unrolled: 1-line block ×6, first 2 shown]
	s_mov_b32 s14, 8
	s_waitcnt lgkmcnt(0)
	s_cmp_gt_i32 s22, 8
	s_waitcnt vmcnt(0)
	v_lshl_add_u32 v0, v1, 3, v0
	scratch_load_b64 v[1:2], off, off offset:312 ; 8-byte Folded Reload
	s_waitcnt vmcnt(0)
	ds_store_2addr_stride64_b64 v0, v[220:221], v[1:2] offset0:16 offset1:20
	s_clause 0x1
	scratch_load_b64 v[1:2], off, off offset:320
	scratch_load_b64 v[3:4], off, off offset:328
	s_waitcnt vmcnt(0)
	ds_store_2addr_stride64_b64 v0, v[1:2], v[3:4] offset0:24 offset1:28
	scratch_load_b64 v[1:2], off, off offset:336 ; 8-byte Folded Reload
	s_waitcnt vmcnt(0)
	ds_store_b64 v22, v[1:2] offset:18432
	s_waitcnt lgkmcnt(0)
	s_waitcnt_vscnt null, 0x0
	s_barrier
	buffer_gl0_inv
	s_cbranch_scc0 .LBB105_48
; %bb.24:
	v_mad_i64_i32 v[1:2], null, v219, s19, 0
	v_dual_mov_b32 v37, v215 :: v_dual_add_nc_u32 v0, 0x2000, v0
	s_add_i32 s19, s22, -8
	v_mov_b32_e32 v201, v193
	scratch_store_b32 off, v0, off offset:372 ; 4-byte Folded Spill
	v_lshlrev_b64 v[1:2], 3, v[1:2]
	v_add_nc_u32_e32 v0, 0x4800, v22
	scratch_store_b32 off, v0, off offset:376 ; 4-byte Folded Spill
	v_add_co_u32 v0, vcc_lo, s20, v1
	v_add_co_ci_u32_e32 v1, vcc_lo, s21, v2, vcc_lo
	v_lshlrev_b64 v[2:3], 3, v[217:218]
	s_mov_b32 s20, 0
	s_clause 0x1
	scratch_store_b64 off, v[2:3], off offset:296
	scratch_store_b32 off, v0, off offset:380
	v_add_co_u32 v0, vcc_lo, v0, 32
	s_clause 0x1
	scratch_store_b32 off, v0, off offset:388
	scratch_store_b32 off, v1, off offset:384
	v_add_co_ci_u32_e32 v0, vcc_lo, 0, v1, vcc_lo
	v_mov_b32_e32 v1, 0
	s_clause 0x1
	scratch_store_b32 off, v0, off offset:392
	scratch_store_b64 off, v[0:1], off offset:304
.LBB105_25:                             ; =>This Loop Header: Depth=1
                                        ;     Child Loop BB105_34 Depth 2
                                        ;     Child Loop BB105_45 Depth 2
	scratch_load_b32 v0, off, off offset:356 ; 4-byte Folded Reload
	v_mov_b32_e32 v53, v103
	v_mov_b32_e32 v65, v99
	v_mov_b32_e32 v51, v109
	s_waitcnt vmcnt(0)
	v_dual_mov_b32 v45, v104 :: v_dual_add_nc_u32 v4, s14, v0
	s_delay_alu instid0(VALU_DEP_1) | instskip(NEXT) | instid1(VALU_DEP_1)
	v_mad_u64_u32 v[0:1], null, v4, s15, 0
	v_mad_u64_u32 v[2:3], null, v4, s18, v[1:2]
	s_delay_alu instid0(VALU_DEP_1) | instskip(NEXT) | instid1(VALU_DEP_1)
	v_mov_b32_e32 v1, v2
	v_lshlrev_b64 v[0:1], 3, v[0:1]
	s_delay_alu instid0(VALU_DEP_1) | instskip(NEXT) | instid1(VALU_DEP_2)
	v_add_co_u32 v0, vcc_lo, s16, v0
	v_add_co_ci_u32_e32 v1, vcc_lo, s17, v1, vcc_lo
	s_and_b32 vcc_lo, exec_lo, s3
	s_cbranch_vccnz .LBB105_28
; %bb.26:                               ;   in Loop: Header=BB105_25 Depth=1
	scratch_load_b64 v[2:3], off, off offset:296 ; 8-byte Folded Reload
	s_waitcnt vmcnt(0)
	v_add_co_u32 v2, vcc_lo, v0, v2
	v_add_co_ci_u32_e32 v3, vcc_lo, v1, v3, vcc_lo
	s_clause 0x1
	flat_load_b64 v[8:9], v[2:3]
	flat_load_b64 v[2:3], v[2:3] offset:512
	s_waitcnt vmcnt(1) lgkmcnt(1)
	v_mul_f64 v[4:5], s[12:13], v[8:9]
	s_waitcnt vmcnt(0) lgkmcnt(0)
	v_mul_f64 v[2:3], s[12:13], v[2:3]
	scratch_store_b64 off, v[4:5], off offset:312 ; 8-byte Folded Spill
	s_and_b32 vcc_lo, exec_lo, s3
	scratch_store_b64 off, v[2:3], off offset:320 ; 8-byte Folded Spill
	s_cbranch_vccnz .LBB105_29
.LBB105_27:                             ;   in Loop: Header=BB105_25 Depth=1
	scratch_load_b64 v[2:3], off, off offset:296 ; 8-byte Folded Reload
	s_waitcnt vmcnt(0)
	v_add_co_u32 v0, vcc_lo, v0, v2
	v_add_co_ci_u32_e32 v1, vcc_lo, v1, v3, vcc_lo
	s_clause 0x1
	flat_load_b64 v[2:3], v[0:1] offset:1024
	flat_load_b64 v[0:1], v[0:1] offset:1536
	s_waitcnt vmcnt(1) lgkmcnt(1)
	v_mul_f64 v[2:3], s[12:13], v[2:3]
	s_waitcnt vmcnt(0) lgkmcnt(0)
	v_mul_f64 v[0:1], s[12:13], v[0:1]
	scratch_store_b64 off, v[2:3], off offset:328 ; 8-byte Folded Spill
	s_branch .LBB105_30
.LBB105_28:                             ;   in Loop: Header=BB105_25 Depth=1
	v_mov_b32_e32 v2, 0
	v_mov_b32_e32 v3, 0
	scratch_store_b64 off, v[2:3], off offset:312 ; 8-byte Folded Spill
	v_mov_b32_e32 v2, 0
	v_mov_b32_e32 v3, 0
	s_and_b32 vcc_lo, exec_lo, s3
	scratch_store_b64 off, v[2:3], off offset:320 ; 8-byte Folded Spill
	s_cbranch_vccz .LBB105_27
.LBB105_29:                             ;   in Loop: Header=BB105_25 Depth=1
	v_mov_b32_e32 v0, 0
	v_mov_b32_e32 v1, 0
	scratch_store_b64 off, v[0:1], off offset:328 ; 8-byte Folded Spill
	v_mov_b32_e32 v0, 0
	v_mov_b32_e32 v1, 0
.LBB105_30:                             ;   in Loop: Header=BB105_25 Depth=1
	v_dual_mov_b32 v30, v216 :: v_dual_mov_b32 v35, v214
	v_mov_b32_e32 v34, v213
	v_mov_b32_e32 v38, v105
	;; [unrolled: 1-line block ×3, first 2 shown]
	s_and_b32 vcc_lo, exec_lo, s3
	scratch_store_b64 off, v[0:1], off offset:336 ; 8-byte Folded Spill
	s_cbranch_vccnz .LBB105_32
; %bb.31:                               ;   in Loop: Header=BB105_25 Depth=1
	s_clause 0x1
	scratch_load_b32 v0, off, off offset:352
	scratch_load_b64 v[1:2], off, off offset:304
	s_waitcnt vmcnt(0)
	v_mov_b32_e32 v3, v2
	v_or_b32_e32 v2, s14, v0
	s_delay_alu instid0(VALU_DEP_2)
	v_mov_b32_e32 v1, v3
	scratch_store_b64 off, v[0:1], off offset:304 ; 8-byte Folded Spill
	v_lshlrev_b64 v[0:1], 3, v[2:3]
	scratch_load_b32 v2, off, off offset:380 ; 4-byte Folded Reload
	s_waitcnt vmcnt(0)
	v_add_co_u32 v0, vcc_lo, v2, v0
	scratch_load_b32 v2, off, off offset:384 ; 4-byte Folded Reload
	s_waitcnt vmcnt(0)
	v_add_co_ci_u32_e32 v1, vcc_lo, v2, v1, vcc_lo
	flat_load_b64 v[0:1], v[0:1]
	s_waitcnt vmcnt(0) lgkmcnt(0)
	v_mul_f64 v[0:1], s[12:13], v[0:1]
	s_branch .LBB105_33
.LBB105_32:                             ;   in Loop: Header=BB105_25 Depth=1
	v_mov_b32_e32 v0, 0
	v_mov_b32_e32 v1, 0
.LBB105_33:                             ;   in Loop: Header=BB105_25 Depth=1
	v_dual_mov_b32 v52, v102 :: v_dual_mov_b32 v43, v95
	v_mov_b32_e32 v50, v108
	s_mov_b32 s22, 0
	s_mov_b32 s21, -1
	scratch_store_b64 off, v[0:1], off offset:344 ; 8-byte Folded Spill
.LBB105_34:                             ;   Parent Loop BB105_25 Depth=1
                                        ; =>  This Inner Loop Header: Depth=2
	scratch_load_b32 v0, off, off offset:8  ; 4-byte Folded Reload
	s_lshl_b32 s22, s22, 3
	s_and_not1_b32 vcc_lo, exec_lo, s21
	v_lshl_add_u32 v4, v36, 5, s22
	s_mov_b32 s21, 0
	s_waitcnt vmcnt(0)
	v_lshl_add_u32 v104, v0, 5, s22
	s_mov_b32 s22, 2
	ds_load_b128 v[46:49], v104 offset:18432
	ds_load_b128 v[0:3], v4 offset:8192
	;; [unrolled: 1-line block ×4, first 2 shown]
	s_waitcnt lgkmcnt(2)
	v_add_f64 v[144:145], v[2:3], v[48:49]
	s_waitcnt lgkmcnt(1)
	v_add_f64 v[5:6], v[157:158], v[48:49]
	v_add_f64 v[146:147], v[0:1], v[46:47]
	s_delay_alu instid0(VALU_DEP_3)
	v_cvt_f32_f64_e32 v117, v[144:145]
	scratch_store_b64 off, v[5:6], off offset:12 ; 8-byte Folded Spill
	v_add_f64 v[5:6], v[155:156], v[46:47]
	v_cvt_f32_f64_e32 v116, v[146:147]
	scratch_store_b64 off, v[5:6], off offset:68 ; 8-byte Folded Spill
	ds_load_b128 v[163:166], v4 offset:10240
	ds_load_b128 v[167:170], v4 offset:11264
	v_min3_f32 v143, v116, v117, v143
	s_waitcnt lgkmcnt(1)
	v_add_f64 v[5:6], v[165:166], v[48:49]
	s_waitcnt lgkmcnt(0)
	v_add_f64 v[54:55], v[167:168], v[159:160]
	scratch_store_b64 off, v[5:6], off offset:44 ; 8-byte Folded Spill
	v_add_f64 v[5:6], v[163:164], v[46:47]
	v_cvt_f32_f64_e32 v54, v[54:55]
	scratch_store_b64 off, v[5:6], off offset:100 ; 8-byte Folded Spill
	v_add_f64 v[5:6], v[169:170], v[48:49]
	scratch_store_b64 off, v[5:6], off offset:20 ; 8-byte Folded Spill
	v_add_f64 v[5:6], v[167:168], v[46:47]
	scratch_store_b64 off, v[5:6], off offset:76 ; 8-byte Folded Spill
	ds_load_b128 v[171:174], v4 offset:12288
	ds_load_b128 v[175:178], v4 offset:13312
	s_waitcnt lgkmcnt(1)
	v_add_f64 v[5:6], v[173:174], v[48:49]
	v_add_f64 v[28:29], v[171:172], v[159:160]
	scratch_store_b64 off, v[5:6], off offset:52 ; 8-byte Folded Spill
	v_add_f64 v[5:6], v[171:172], v[46:47]
	v_cvt_f32_f64_e32 v28, v[28:29]
	scratch_store_b64 off, v[5:6], off offset:108 ; 8-byte Folded Spill
	s_waitcnt lgkmcnt(0)
	v_add_f64 v[5:6], v[177:178], v[48:49]
	scratch_store_b64 off, v[5:6], off offset:28 ; 8-byte Folded Spill
	v_add_f64 v[5:6], v[175:176], v[46:47]
	scratch_store_b64 off, v[5:6], off offset:84 ; 8-byte Folded Spill
	ds_load_b128 v[179:182], v4 offset:14336
	ds_load_b128 v[183:186], v4 offset:15360
	s_waitcnt lgkmcnt(1)
	v_add_f64 v[4:5], v[181:182], v[48:49]
	scratch_store_b64 off, v[4:5], off offset:60 ; 8-byte Folded Spill
	v_add_f64 v[4:5], v[179:180], v[46:47]
	scratch_store_b64 off, v[4:5], off offset:116 ; 8-byte Folded Spill
	s_waitcnt lgkmcnt(0)
	v_add_f64 v[4:5], v[185:186], v[48:49]
	scratch_store_b64 off, v[4:5], off offset:36 ; 8-byte Folded Spill
	v_add_f64 v[4:5], v[183:184], v[46:47]
	scratch_store_b64 off, v[4:5], off offset:92 ; 8-byte Folded Spill
	;; [unrolled: 2-line block ×16, first 2 shown]
	ds_load_b128 v[159:162], v104 offset:18944
	ds_load_b128 v[187:190], v104 offset:19200
	s_waitcnt lgkmcnt(1)
	v_add_f64 v[4:5], v[169:170], v[161:162]
	v_add_f64 v[110:111], v[2:3], v[161:162]
	;; [unrolled: 1-line block ×10, first 2 shown]
	s_waitcnt lgkmcnt(0)
	v_add_f64 v[223:224], v[2:3], v[189:190]
	v_add_f64 v[225:226], v[0:1], v[187:188]
	;; [unrolled: 1-line block ×16, first 2 shown]
	scratch_store_b64 off, v[4:5], off offset:284 ; 8-byte Folded Spill
	v_add_f64 v[4:5], v[173:174], v[161:162]
	v_cvt_f32_f64_e32 v26, v[26:27]
	scratch_store_b64 off, v[4:5], off offset:268 ; 8-byte Folded Spill
	v_add_f64 v[4:5], v[177:178], v[161:162]
	scratch_store_b64 off, v[4:5], off offset:252 ; 8-byte Folded Spill
	v_add_f64 v[4:5], v[181:182], v[161:162]
	;; [unrolled: 2-line block ×5, first 2 shown]
	scratch_store_b64 off, v[4:5], off offset:260 ; 8-byte Folded Spill
	ds_load_b128 v[159:162], v104 offset:19456
	ds_load_b128 v[187:190], v104 offset:19712
	s_waitcnt lgkmcnt(1)
	v_add_f64 v[153:154], v[2:3], v[161:162]
	v_add_f64 v[150:151], v[0:1], v[159:160]
	;; [unrolled: 1-line block ×16, first 2 shown]
	s_waitcnt lgkmcnt(0)
	v_add_f64 v[22:23], v[2:3], v[189:190]
	v_add_f64 v[24:25], v[0:1], v[187:188]
	;; [unrolled: 1-line block ×16, first 2 shown]
	ds_load_b128 v[159:162], v104 offset:19968
	ds_load_b128 v[187:190], v104 offset:20224
	s_clause 0x1
	scratch_load_b64 v[116:117], off, off offset:68
	scratch_load_b64 v[144:145], off, off offset:12
	v_cvt_f32_f64_e32 v4, v[4:5]
	v_cvt_f32_f64_e32 v5, v[148:149]
	s_waitcnt lgkmcnt(1)
	v_add_f64 v[104:105], v[2:3], v[161:162]
	v_add_f64 v[106:107], v[0:1], v[159:160]
	s_waitcnt lgkmcnt(0)
	v_add_f64 v[2:3], v[2:3], v[189:190]
	v_add_f64 v[0:1], v[0:1], v[187:188]
	;; [unrolled: 1-line block ×27, first 2 shown]
	v_min3_f32 v201, v4, v5, v201
	v_cvt_f32_f64_e32 v4, v[8:9]
	v_cvt_f32_f64_e32 v5, v[6:7]
	v_add_f64 v[159:160], v[183:184], v[159:160]
	v_add_f64 v[185:186], v[185:186], v[189:190]
	;; [unrolled: 1-line block ×3, first 2 shown]
	v_cvt_f32_f64_e32 v0, v[0:1]
	v_cvt_f32_f64_e32 v1, v[2:3]
	scratch_load_b32 v2, off, off offset:4  ; 4-byte Folded Reload
	v_min3_f32 v74, v4, v5, v74
	v_cvt_f32_f64_e32 v4, v[12:13]
	v_cvt_f32_f64_e32 v5, v[10:11]
	v_min3_f32 v125, v0, v1, v125
	v_cvt_f32_f64_e32 v0, v[155:156]
	v_cvt_f32_f64_e32 v1, v[157:158]
	s_delay_alu instid0(VALU_DEP_4) | instskip(SKIP_2) | instid1(VALU_DEP_4)
	v_min3_f32 v75, v4, v5, v75
	v_cvt_f32_f64_e32 v4, v[16:17]
	v_cvt_f32_f64_e32 v5, v[14:15]
	v_min3_f32 v124, v0, v1, v124
	v_cvt_f32_f64_e32 v0, v[163:164]
	v_cvt_f32_f64_e32 v1, v[165:166]
	s_delay_alu instid0(VALU_DEP_4) | instskip(SKIP_2) | instid1(VALU_DEP_1)
	v_min3_f32 v72, v4, v5, v72
	v_cvt_f32_f64_e32 v4, v[80:81]
	v_cvt_f32_f64_e32 v5, v[130:131]
	v_min3_f32 v73, v4, v5, v73
	v_cvt_f32_f64_e32 v4, v[82:83]
	v_cvt_f32_f64_e32 v5, v[18:19]
	s_delay_alu instid0(VALU_DEP_1) | instskip(SKIP_2) | instid1(VALU_DEP_1)
	v_min3_f32 v70, v4, v5, v70
	v_cvt_f32_f64_e32 v4, v[132:133]
	v_cvt_f32_f64_e32 v5, v[66:67]
	v_min3_f32 v71, v4, v5, v71
	v_cvt_f32_f64_e32 v4, v[24:25]
	v_cvt_f32_f64_e32 v5, v[22:23]
	s_waitcnt vmcnt(2)
	v_cvt_f32_f64_e32 v116, v[116:117]
	s_delay_alu instid0(VALU_DEP_2) | instskip(SKIP_2) | instid1(VALU_DEP_1)
	v_min3_f32 v68, v4, v5, v68
	v_cvt_f32_f64_e32 v4, v[88:89]
	v_cvt_f32_f64_e32 v5, v[86:87]
	v_min3_f32 v69, v4, v5, v69
	v_cvt_f32_f64_e32 v4, v[56:57]
	v_cvt_f32_f64_e32 v5, v[90:91]
	s_waitcnt vmcnt(0)
	v_min3_f32 v2, v0, v1, v2
	v_cvt_f32_f64_e32 v0, v[167:168]
	v_cvt_f32_f64_e32 v1, v[169:170]
	scratch_store_b32 off, v2, off offset:4 ; 4-byte Folded Spill
	scratch_load_b32 v2, off, off           ; 4-byte Folded Reload
	v_cvt_f32_f64_e32 v117, v[144:145]
	scratch_load_b64 v[144:145], off, off offset:44 ; 8-byte Folded Reload
	v_min3_f32 v152, v4, v5, v152
	v_cvt_f32_f64_e32 v4, v[60:61]
	v_cvt_f32_f64_e32 v5, v[58:59]
	v_min3_f32 v122, v0, v1, v122
	v_cvt_f32_f64_e32 v0, v[171:172]
	v_cvt_f32_f64_e32 v1, v[173:174]
	v_min3_f32 v142, v116, v117, v142
	scratch_load_b64 v[116:117], off, off offset:100 ; 8-byte Folded Reload
	v_min3_f32 v34, v4, v5, v34
	v_cvt_f32_f64_e32 v4, v[92:93]
	v_cvt_f32_f64_e32 v5, v[62:63]
	v_min3_f32 v243, v0, v1, v243
	v_cvt_f32_f64_e32 v0, v[175:176]
	v_cvt_f32_f64_e32 v1, v[177:178]
	s_delay_alu instid0(VALU_DEP_4) | instskip(SKIP_2) | instid1(VALU_DEP_4)
	v_min3_f32 v30, v4, v5, v30
	v_cvt_f32_f64_e32 v4, v[76:77]
	v_cvt_f32_f64_e32 v5, v[94:95]
	v_min3_f32 v120, v0, v1, v120
	v_cvt_f32_f64_e32 v0, v[179:180]
	v_cvt_f32_f64_e32 v1, v[181:182]
	s_delay_alu instid0(VALU_DEP_4) | instskip(SKIP_2) | instid1(VALU_DEP_1)
	v_min3_f32 v37, v4, v5, v37
	v_cvt_f32_f64_e32 v4, v[98:99]
	v_cvt_f32_f64_e32 v5, v[96:97]
	v_min3_f32 v35, v4, v5, v35
	v_cvt_f32_f64_e32 v4, v[102:103]
	v_cvt_f32_f64_e32 v5, v[100:101]
	s_delay_alu instid0(VALU_DEP_1) | instskip(SKIP_2) | instid1(VALU_DEP_1)
	v_min3_f32 v206, v4, v5, v206
	v_cvt_f32_f64_e32 v4, v[106:107]
	v_cvt_f32_f64_e32 v5, v[104:105]
	v_min3_f32 v205, v4, v5, v205
	v_cvt_f32_f64_e32 v4, v[215:216]
	v_cvt_f32_f64_e32 v5, v[219:220]
	s_delay_alu instid0(VALU_DEP_1)
	v_min3_f32 v236, v4, v5, v236
	v_cvt_f32_f64_e32 v4, v[211:212]
	v_cvt_f32_f64_e32 v5, v[108:109]
	s_waitcnt vmcnt(2)
	v_min3_f32 v2, v0, v1, v2
	v_cvt_f32_f64_e32 v0, v[183:184]
	v_cvt_f32_f64_e32 v1, v[185:186]
	scratch_store_b32 off, v2, off          ; 4-byte Folded Spill
	v_min3_f32 v134, v4, v5, v134
	v_cvt_f32_f64_e32 v4, v[207:208]
	v_cvt_f32_f64_e32 v5, v[221:222]
	s_waitcnt vmcnt(0)
	v_cvt_f32_f64_e32 v116, v[116:117]
	v_cvt_f32_f64_e32 v117, v[144:145]
	scratch_load_b64 v[144:145], off, off offset:20 ; 8-byte Folded Reload
	v_min3_f32 v118, v0, v1, v118
	v_min3_f32 v135, v4, v5, v135
	v_cvt_f32_f64_e32 v4, v[203:204]
	v_cvt_f32_f64_e32 v5, v[217:218]
	v_min3_f32 v141, v116, v117, v141
	scratch_load_b64 v[116:117], off, off offset:76 ; 8-byte Folded Reload
	v_min3_f32 v197, v4, v5, v197
	v_cvt_f32_f64_e32 v4, v[199:200]
	v_cvt_f32_f64_e32 v5, v[213:214]
	s_delay_alu instid0(VALU_DEP_1) | instskip(SKIP_2) | instid1(VALU_DEP_1)
	v_min3_f32 v78, v4, v5, v78
	v_cvt_f32_f64_e32 v4, v[195:196]
	v_cvt_f32_f64_e32 v5, v[209:210]
	v_min3_f32 v128, v4, v5, v128
	v_cvt_f32_f64_e32 v4, v[159:160]
	v_cvt_f32_f64_e32 v5, v[161:162]
	s_delay_alu instid0(VALU_DEP_1)
	v_min3_f32 v123, v4, v5, v123
	s_waitcnt vmcnt(0)
	v_cvt_f32_f64_e32 v116, v[116:117]
	v_cvt_f32_f64_e32 v117, v[144:145]
	scratch_load_b64 v[144:145], off, off offset:52 ; 8-byte Folded Reload
	v_min3_f32 v140, v116, v117, v140
	scratch_load_b64 v[116:117], off, off offset:108 ; 8-byte Folded Reload
	s_waitcnt vmcnt(0)
	v_cvt_f32_f64_e32 v116, v[116:117]
	v_cvt_f32_f64_e32 v117, v[144:145]
	scratch_load_b64 v[144:145], off, off offset:28 ; 8-byte Folded Reload
	v_min3_f32 v139, v116, v117, v139
	scratch_load_b64 v[116:117], off, off offset:84 ; 8-byte Folded Reload
	;; [unrolled: 6-line block ×7, first 2 shown]
	s_waitcnt vmcnt(0)
	v_cvt_f32_f64_e32 v116, v[116:117]
	v_cvt_f32_f64_e32 v117, v[144:145]
	s_delay_alu instid0(VALU_DEP_1) | instskip(SKIP_3) | instid1(VALU_DEP_1)
	v_min3_f32 v121, v116, v117, v121
	scratch_load_b64 v[116:117], off, off offset:172 ; 8-byte Folded Reload
	s_waitcnt vmcnt(0)
	v_cvt_f32_f64_e32 v55, v[116:117]
	v_min3_f32 v244, v54, v55, v244
	scratch_load_b64 v[54:55], off, off offset:180 ; 8-byte Folded Reload
	s_waitcnt vmcnt(0)
	v_cvt_f32_f64_e32 v29, v[54:55]
	scratch_load_b64 v[54:55], off, off offset:188 ; 8-byte Folded Reload
	v_min3_f32 v136, v28, v29, v136
	scratch_load_b64 v[28:29], off, off offset:196 ; 8-byte Folded Reload
	s_waitcnt vmcnt(0)
	v_cvt_f32_f64_e32 v28, v[28:29]
	v_cvt_f32_f64_e32 v29, v[54:55]
	scratch_load_b64 v[54:55], off, off offset:204 ; 8-byte Folded Reload
	v_min3_f32 v119, v28, v29, v119
	scratch_load_b64 v[28:29], off, off offset:212 ; 8-byte Folded Reload
	s_waitcnt vmcnt(0)
	v_cvt_f32_f64_e32 v28, v[28:29]
	;; [unrolled: 6-line block ×3, first 2 shown]
	v_cvt_f32_f64_e32 v29, v[54:55]
	s_delay_alu instid0(VALU_DEP_1) | instskip(SKIP_2) | instid1(VALU_DEP_1)
	v_min3_f32 v255, v28, v29, v255
	v_cvt_f32_f64_e32 v28, v[112:113]
	v_cvt_f32_f64_e32 v29, v[110:111]
	v_min3_f32 v41, v28, v29, v41
	v_cvt_f32_f64_e32 v28, v[191:192]
	v_cvt_f32_f64_e32 v29, v[193:194]
	s_delay_alu instid0(VALU_DEP_1) | instskip(SKIP_2) | instid1(VALU_DEP_1)
	v_min3_f32 v40, v28, v29, v40
	v_cvt_f32_f64_e32 v28, v[114:115]
	v_cvt_f32_f64_e32 v29, v[46:47]
	v_min3_f32 v39, v28, v29, v39
	scratch_load_b64 v[27:28], off, off offset:284 ; 8-byte Folded Reload
	s_waitcnt vmcnt(0)
	v_cvt_f32_f64_e32 v27, v[27:28]
	s_delay_alu instid0(VALU_DEP_1) | instskip(SKIP_4) | instid1(VALU_DEP_1)
	v_min3_f32 v38, v26, v27, v38
	scratch_load_b64 v[27:28], off, off offset:268 ; 8-byte Folded Reload
	v_cvt_f32_f64_e32 v26, v[32:33]
	s_waitcnt vmcnt(0)
	v_cvt_f32_f64_e32 v27, v[27:28]
	v_min3_f32 v45, v26, v27, v45
	scratch_load_b64 v[27:28], off, off offset:252 ; 8-byte Folded Reload
	v_cvt_f32_f64_e32 v26, v[48:49]
	s_waitcnt vmcnt(0)
	v_cvt_f32_f64_e32 v27, v[27:28]
	s_delay_alu instid0(VALU_DEP_1)
	v_min3_f32 v44, v26, v27, v44
	scratch_load_b64 v[26:27], off, off offset:276 ; 8-byte Folded Reload
	s_waitcnt vmcnt(0)
	v_cvt_f32_f64_e32 v26, v[26:27]
	scratch_load_b64 v[27:28], off, off offset:244 ; 8-byte Folded Reload
	s_waitcnt vmcnt(0)
	v_cvt_f32_f64_e32 v27, v[27:28]
	s_delay_alu instid0(VALU_DEP_1)
	v_min3_f32 v43, v26, v27, v43
	scratch_load_b64 v[26:27], off, off offset:260 ; 8-byte Folded Reload
	s_waitcnt vmcnt(0)
	v_cvt_f32_f64_e32 v26, v[26:27]
	scratch_load_b64 v[27:28], off, off offset:236 ; 8-byte Folded Reload
	s_waitcnt vmcnt(0)
	v_cvt_f32_f64_e32 v27, v[27:28]
	s_delay_alu instid0(VALU_DEP_1) | instskip(SKIP_2) | instid1(VALU_DEP_1)
	v_min3_f32 v42, v26, v27, v42
	v_cvt_f32_f64_e32 v26, v[225:226]
	v_cvt_f32_f64_e32 v27, v[223:224]
	v_min3_f32 v51, v26, v27, v51
	v_cvt_f32_f64_e32 v26, v[229:230]
	v_cvt_f32_f64_e32 v27, v[227:228]
	s_delay_alu instid0(VALU_DEP_1) | instskip(SKIP_2) | instid1(VALU_DEP_1)
	v_min3_f32 v50, v26, v27, v50
	v_cvt_f32_f64_e32 v26, v[233:234]
	v_cvt_f32_f64_e32 v27, v[231:232]
	v_min3_f32 v65, v26, v27, v65
	v_cvt_f32_f64_e32 v26, v[237:238]
	;; [unrolled: 7-line block ×4, first 2 shown]
	v_cvt_f32_f64_e32 v27, v[251:252]
	s_delay_alu instid0(VALU_DEP_1) | instskip(SKIP_2) | instid1(VALU_DEP_1)
	v_min3_f32 v239, v26, v27, v239
	v_cvt_f32_f64_e32 v26, v[150:151]
	v_cvt_f32_f64_e32 v27, v[153:154]
	v_min3_f32 v202, v26, v27, v202
	s_cbranch_vccz .LBB105_34
; %bb.35:                               ;   in Loop: Header=BB105_25 Depth=1
	scratch_load_b32 v0, off, off offset:360 ; 4-byte Folded Reload
	v_dual_mov_b32 v91, v43 :: v_dual_mov_b32 v102, v52
	v_mov_b32_e32 v60, v74
	s_waitcnt vmcnt(0)
	v_add_nc_u32_e32 v4, s14, v0
	s_delay_alu instid0(VALU_DEP_1) | instskip(NEXT) | instid1(VALU_DEP_1)
	v_mad_u64_u32 v[0:1], null, v4, s15, 0
	v_mad_u64_u32 v[2:3], null, v4, s18, v[1:2]
	s_delay_alu instid0(VALU_DEP_1)
	v_dual_mov_b32 v100, v201 :: v_dual_mov_b32 v1, v2
	s_clause 0x2
	scratch_load_b32 v2, off, off offset:364
	scratch_load_b64 v[3:4], off, off offset:312
	scratch_load_b64 v[5:6], off, off offset:320
	v_lshlrev_b64 v[0:1], 3, v[0:1]
	s_delay_alu instid0(VALU_DEP_1) | instskip(NEXT) | instid1(VALU_DEP_2)
	v_add_co_u32 v0, vcc_lo, s16, v0
	v_add_co_ci_u32_e32 v1, vcc_lo, s17, v1, vcc_lo
	s_and_b32 vcc_lo, exec_lo, s3
	s_waitcnt vmcnt(0)
	ds_store_2addr_stride64_b64 v2, v[3:4], v[5:6] offset1:4
	s_clause 0x1
	scratch_load_b64 v[3:4], off, off offset:328
	scratch_load_b64 v[5:6], off, off offset:336
	s_waitcnt vmcnt(0)
	ds_store_2addr_stride64_b64 v2, v[3:4], v[5:6] offset0:8 offset1:12
	s_clause 0x1
	scratch_load_b32 v2, off, off offset:368
	scratch_load_b64 v[3:4], off, off offset:344
	s_waitcnt vmcnt(0)
	ds_store_b64 v2, v[3:4]
	s_waitcnt lgkmcnt(0)
	s_waitcnt_vscnt null, 0x0
	s_barrier
	buffer_gl0_inv
	s_cbranch_vccnz .LBB105_37
; %bb.36:                               ;   in Loop: Header=BB105_25 Depth=1
	scratch_load_b64 v[2:3], off, off offset:296 ; 8-byte Folded Reload
	s_waitcnt vmcnt(0)
	v_add_co_u32 v2, vcc_lo, v0, v2
	v_add_co_ci_u32_e32 v3, vcc_lo, v1, v3, vcc_lo
	s_clause 0x1
	flat_load_b64 v[8:9], v[2:3]
	flat_load_b64 v[2:3], v[2:3] offset:512
	s_waitcnt vmcnt(1) lgkmcnt(1)
	v_mul_f64 v[4:5], s[12:13], v[8:9]
	s_waitcnt vmcnt(0) lgkmcnt(0)
	v_mul_f64 v[2:3], s[12:13], v[2:3]
	scratch_store_b64 off, v[4:5], off offset:284 ; 8-byte Folded Spill
	s_branch .LBB105_38
.LBB105_37:                             ;   in Loop: Header=BB105_25 Depth=1
	v_mov_b32_e32 v2, 0
	v_mov_b32_e32 v3, 0
	scratch_store_b64 off, v[2:3], off offset:284 ; 8-byte Folded Spill
	v_mov_b32_e32 v2, 0
	v_mov_b32_e32 v3, 0
.LBB105_38:                             ;   in Loop: Header=BB105_25 Depth=1
	v_dual_mov_b32 v105, v38 :: v_dual_mov_b32 v74, v72
	v_mov_b32_e32 v72, v70
	s_and_b32 vcc_lo, exec_lo, s3
	scratch_store_b64 off, v[2:3], off offset:312 ; 8-byte Folded Spill
	s_cbranch_vccnz .LBB105_40
; %bb.39:                               ;   in Loop: Header=BB105_25 Depth=1
	scratch_load_b64 v[2:3], off, off offset:296 ; 8-byte Folded Reload
	s_waitcnt vmcnt(0)
	v_add_co_u32 v0, vcc_lo, v0, v2
	v_add_co_ci_u32_e32 v1, vcc_lo, v1, v3, vcc_lo
	s_clause 0x1
	flat_load_b64 v[2:3], v[0:1] offset:1024
	flat_load_b64 v[0:1], v[0:1] offset:1536
	s_waitcnt vmcnt(1) lgkmcnt(1)
	v_mul_f64 v[2:3], s[12:13], v[2:3]
	s_waitcnt vmcnt(0) lgkmcnt(0)
	v_mul_f64 v[0:1], s[12:13], v[0:1]
	scratch_store_b64 off, v[2:3], off offset:320 ; 8-byte Folded Spill
	s_branch .LBB105_41
.LBB105_40:                             ;   in Loop: Header=BB105_25 Depth=1
	v_mov_b32_e32 v0, 0
	v_mov_b32_e32 v1, 0
	scratch_store_b64 off, v[0:1], off offset:320 ; 8-byte Folded Spill
	v_mov_b32_e32 v0, 0
	v_mov_b32_e32 v1, 0
.LBB105_41:                             ;   in Loop: Header=BB105_25 Depth=1
	v_dual_mov_b32 v61, v202 :: v_dual_mov_b32 v70, v68
	v_mov_b32_e32 v104, v45
	v_mov_b32_e32 v68, v152
	s_and_b32 vcc_lo, exec_lo, s3
	scratch_store_b64 off, v[0:1], off offset:328 ; 8-byte Folded Spill
	s_cbranch_vccnz .LBB105_43
; %bb.42:                               ;   in Loop: Header=BB105_25 Depth=1
	s_clause 0x1
	scratch_load_b32 v0, off, off offset:352
	scratch_load_b64 v[1:2], off, off offset:304
	s_waitcnt vmcnt(0)
	v_mov_b32_e32 v3, v2
	v_or_b32_e32 v2, s14, v0
	s_delay_alu instid0(VALU_DEP_2)
	v_mov_b32_e32 v1, v3
	scratch_store_b64 off, v[0:1], off offset:304 ; 8-byte Folded Spill
	v_lshlrev_b64 v[0:1], 3, v[2:3]
	scratch_load_b32 v2, off, off offset:388 ; 4-byte Folded Reload
	s_waitcnt vmcnt(0)
	v_add_co_u32 v0, vcc_lo, v2, v0
	scratch_load_b32 v2, off, off offset:392 ; 4-byte Folded Reload
	s_waitcnt vmcnt(0)
	v_add_co_ci_u32_e32 v1, vcc_lo, v2, v1, vcc_lo
	flat_load_b64 v[0:1], v[0:1]
	s_waitcnt vmcnt(0) lgkmcnt(0)
	v_mul_f64 v[0:1], s[12:13], v[0:1]
	s_branch .LBB105_44
.LBB105_43:                             ;   in Loop: Header=BB105_25 Depth=1
	v_mov_b32_e32 v0, 0
	v_mov_b32_e32 v1, 0
.LBB105_44:                             ;   in Loop: Header=BB105_25 Depth=1
	v_dual_mov_b32 v152, v35 :: v_dual_mov_b32 v59, v34
	v_dual_mov_b32 v58, v30 :: v_dual_mov_b32 v107, v240
	;; [unrolled: 1-line block ×6, first 2 shown]
	v_mov_b32_e32 v90, v40
	s_mov_b32 s22, 0
	s_mov_b32 s21, -1
	scratch_store_b64 off, v[0:1], off offset:336 ; 8-byte Folded Spill
.LBB105_45:                             ;   Parent Loop BB105_25 Depth=1
                                        ; =>  This Inner Loop Header: Depth=2
	scratch_load_b32 v0, off, off offset:8  ; 4-byte Folded Reload
	s_lshl_b32 s22, s22, 3
	v_mov_b32_e32 v10, v39
	v_lshl_add_u32 v4, v36, 5, s22
	v_mov_b32_e32 v36, v41
	s_and_not1_b32 vcc_lo, exec_lo, s21
	s_mov_b32 s21, 0
	s_waitcnt vmcnt(0)
	v_lshl_add_u32 v26, v0, 5, s22
	s_mov_b32 s22, 2
	ds_load_b128 v[46:49], v26 offset:16384
	ds_load_b128 v[0:3], v4
	ds_load_b128 v[155:158], v4 offset:1024
	ds_load_b128 v[159:162], v26 offset:16640
	s_waitcnt lgkmcnt(2)
	v_add_f64 v[62:63], v[2:3], v[48:49]
	s_waitcnt lgkmcnt(1)
	v_add_f64 v[5:6], v[157:158], v[48:49]
	v_add_f64 v[76:77], v[0:1], v[46:47]
	s_delay_alu instid0(VALU_DEP_3)
	v_cvt_f32_f64_e32 v62, v[62:63]
	scratch_store_b64 off, v[5:6], off offset:12 ; 8-byte Folded Spill
	v_add_f64 v[5:6], v[155:156], v[46:47]
	v_cvt_f32_f64_e32 v76, v[76:77]
	scratch_store_b64 off, v[5:6], off offset:68 ; 8-byte Folded Spill
	ds_load_b128 v[163:166], v4 offset:2048
	ds_load_b128 v[167:170], v4 offset:3072
	v_min3_f32 v143, v76, v62, v143
	s_waitcnt lgkmcnt(1)
	v_add_f64 v[5:6], v[165:166], v[48:49]
	v_add_f64 v[38:39], v[163:164], v[159:160]
	;; [unrolled: 1-line block ×3, first 2 shown]
	scratch_store_b64 off, v[5:6], off offset:44 ; 8-byte Folded Spill
	s_waitcnt lgkmcnt(0)
	v_add_f64 v[5:6], v[169:170], v[48:49]
	v_cvt_f32_f64_e32 v40, v[40:41]
	v_cvt_f32_f64_e32 v38, v[38:39]
	scratch_store_b64 off, v[5:6], off offset:20 ; 8-byte Folded Spill
	v_add_f64 v[5:6], v[167:168], v[46:47]
	scratch_store_b64 off, v[5:6], off offset:76 ; 8-byte Folded Spill
	ds_load_b128 v[171:174], v4 offset:4096
	ds_load_b128 v[175:178], v4 offset:5120
	s_waitcnt lgkmcnt(1)
	v_add_f64 v[5:6], v[173:174], v[48:49]
	v_add_f64 v[34:35], v[171:172], v[159:160]
	s_waitcnt lgkmcnt(0)
	v_add_f64 v[32:33], v[175:176], v[159:160]
	scratch_store_b64 off, v[5:6], off offset:52 ; 8-byte Folded Spill
	v_add_f64 v[5:6], v[171:172], v[46:47]
	v_cvt_f32_f64_e32 v34, v[34:35]
	scratch_store_b64 off, v[5:6], off offset:100 ; 8-byte Folded Spill
	v_add_f64 v[5:6], v[177:178], v[48:49]
	scratch_store_b64 off, v[5:6], off offset:28 ; 8-byte Folded Spill
	v_add_f64 v[5:6], v[175:176], v[46:47]
	scratch_store_b64 off, v[5:6], off offset:84 ; 8-byte Folded Spill
	ds_load_b128 v[179:182], v4 offset:6144
	ds_load_b128 v[183:186], v4 offset:7168
	s_waitcnt lgkmcnt(1)
	v_add_f64 v[4:5], v[181:182], v[48:49]
	scratch_store_b64 off, v[4:5], off offset:60 ; 8-byte Folded Spill
	v_add_f64 v[4:5], v[179:180], v[46:47]
	scratch_store_b64 off, v[4:5], off offset:108 ; 8-byte Folded Spill
	s_waitcnt lgkmcnt(0)
	v_add_f64 v[4:5], v[185:186], v[48:49]
	scratch_store_b64 off, v[4:5], off offset:36 ; 8-byte Folded Spill
	v_add_f64 v[4:5], v[183:184], v[46:47]
	scratch_store_b64 off, v[4:5], off offset:92 ; 8-byte Folded Spill
	;; [unrolled: 2-line block ×15, first 2 shown]
	ds_load_b128 v[159:162], v26 offset:16896
	ds_load_b128 v[187:190], v26 offset:17152
	s_waitcnt lgkmcnt(1)
	v_add_f64 v[4:5], v[169:170], v[161:162]
	v_add_f64 v[56:57], v[2:3], v[161:162]
	;; [unrolled: 1-line block ×9, first 2 shown]
	s_waitcnt lgkmcnt(0)
	v_add_f64 v[144:145], v[2:3], v[189:190]
	v_add_f64 v[146:147], v[0:1], v[187:188]
	;; [unrolled: 1-line block ×16, first 2 shown]
	scratch_store_b64 off, v[4:5], off offset:268 ; 8-byte Folded Spill
	v_add_f64 v[4:5], v[173:174], v[161:162]
	v_cvt_f32_f64_e32 v30, v[30:31]
	v_cvt_f32_f64_e32 v31, v[153:154]
	;; [unrolled: 1-line block ×6, first 2 shown]
	scratch_store_b64 off, v[4:5], off offset:252 ; 8-byte Folded Spill
	v_add_f64 v[4:5], v[177:178], v[161:162]
	v_min3_f32 v99, v30, v31, v99
	v_cvt_f32_f64_e32 v30, v[195:196]
	scratch_store_b64 off, v[4:5], off offset:236 ; 8-byte Folded Spill
	v_add_f64 v[4:5], v[175:176], v[159:160]
	v_min3_f32 v98, v30, v24, v98
	v_cvt_f32_f64_e32 v24, v[199:200]
	;; [unrolled: 4-line block ×5, first 2 shown]
	v_cvt_f32_f64_e32 v19, v[211:212]
	scratch_store_b64 off, v[4:5], off offset:220 ; 8-byte Folded Spill
	v_add_f64 v[4:5], v[183:184], v[159:160]
	v_min3_f32 v106, v18, v19, v106
	scratch_store_b64 off, v[4:5], off offset:244 ; 8-byte Folded Spill
	ds_load_b128 v[159:162], v26 offset:17408
	ds_load_b128 v[187:190], v26 offset:17664
	s_waitcnt lgkmcnt(1)
	v_add_f64 v[215:216], v[2:3], v[161:162]
	v_add_f64 v[217:218], v[0:1], v[159:160]
	;; [unrolled: 1-line block ×16, first 2 shown]
	s_waitcnt lgkmcnt(0)
	v_add_f64 v[247:248], v[2:3], v[189:190]
	v_add_f64 v[249:250], v[0:1], v[187:188]
	;; [unrolled: 1-line block ×16, first 2 shown]
	ds_load_b128 v[159:162], v26 offset:17920
	ds_load_b128 v[187:190], v26 offset:18176
	s_clause 0x1
	scratch_load_b64 v[62:63], off, off offset:68
	scratch_load_b64 v[76:77], off, off offset:12
	v_cvt_f32_f64_e32 v19, v[215:216]
	v_cvt_f32_f64_e32 v18, v[217:218]
	s_waitcnt lgkmcnt(1)
	v_add_f64 v[84:85], v[2:3], v[161:162]
	v_add_f64 v[114:115], v[0:1], v[159:160]
	s_waitcnt lgkmcnt(0)
	v_add_f64 v[2:3], v[2:3], v[189:190]
	v_add_f64 v[0:1], v[0:1], v[187:188]
	;; [unrolled: 1-line block ×10, first 2 shown]
	v_cvt_f32_f64_e32 v4, v[4:5]
	v_cvt_f32_f64_e32 v5, v[16:17]
	v_add_f64 v[64:65], v[169:170], v[161:162]
	v_add_f64 v[66:67], v[167:168], v[159:160]
	;; [unrolled: 1-line block ×12, first 2 shown]
	v_min3_f32 v61, v18, v19, v61
	v_cvt_f32_f64_e32 v18, v[221:222]
	v_cvt_f32_f64_e32 v19, v[219:220]
	v_add_f64 v[126:127], v[181:182], v[161:162]
	v_add_f64 v[239:240], v[179:180], v[159:160]
	;; [unrolled: 1-line block ×8, first 2 shown]
	v_cvt_f32_f64_e32 v0, v[0:1]
	v_cvt_f32_f64_e32 v1, v[2:3]
	scratch_load_b32 v2, off, off offset:4  ; 4-byte Folded Reload
	v_min3_f32 v58, v4, v5, v58
	v_cvt_f32_f64_e32 v4, v[11:12]
	v_cvt_f32_f64_e32 v5, v[14:15]
	v_min3_f32 v100, v18, v19, v100
	v_cvt_f32_f64_e32 v18, v[225:226]
	v_cvt_f32_f64_e32 v19, v[223:224]
	;; [unrolled: 3-line block ×8, first 2 shown]
	s_delay_alu instid0(VALU_DEP_4) | instskip(SKIP_2) | instid1(VALU_DEP_4)
	v_min3_f32 v206, v4, v5, v206
	v_cvt_f32_f64_e32 v4, v[114:115]
	v_cvt_f32_f64_e32 v5, v[84:85]
	v_min3_f32 v74, v18, v19, v74
	v_cvt_f32_f64_e32 v18, v[237:238]
	v_cvt_f32_f64_e32 v19, v[48:49]
	s_delay_alu instid0(VALU_DEP_4) | instskip(SKIP_2) | instid1(VALU_DEP_4)
	v_min3_f32 v205, v4, v5, v205
	v_cvt_f32_f64_e32 v4, v[26:27]
	v_cvt_f32_f64_e32 v5, v[201:202]
	v_min3_f32 v73, v18, v19, v73
	v_cvt_f32_f64_e32 v18, v[241:242]
	v_cvt_f32_f64_e32 v19, v[50:51]
	;; [unrolled: 7-line block ×3, first 2 shown]
	s_delay_alu instid0(VALU_DEP_4)
	v_min3_f32 v134, v4, v5, v134
	v_cvt_f32_f64_e32 v4, v[66:67]
	v_cvt_f32_f64_e32 v5, v[64:65]
	s_waitcnt vmcnt(2)
	v_cvt_f32_f64_e32 v62, v[62:63]
	v_min3_f32 v71, v18, v19, v71
	v_cvt_f32_f64_e32 v18, v[249:250]
	v_cvt_f32_f64_e32 v19, v[247:248]
	v_min3_f32 v135, v4, v5, v135
	v_cvt_f32_f64_e32 v4, v[130:131]
	v_cvt_f32_f64_e32 v5, v[20:21]
	s_delay_alu instid0(VALU_DEP_4)
	v_min3_f32 v70, v18, v19, v70
	v_cvt_f32_f64_e32 v18, v[253:254]
	v_cvt_f32_f64_e32 v19, v[251:252]
	s_waitcnt vmcnt(0)
	v_min3_f32 v2, v0, v1, v2
	v_cvt_f32_f64_e32 v0, v[167:168]
	v_cvt_f32_f64_e32 v1, v[169:170]
	scratch_store_b32 off, v2, off offset:4 ; 4-byte Folded Spill
	scratch_load_b32 v2, off, off           ; 4-byte Folded Reload
	v_cvt_f32_f64_e32 v63, v[76:77]
	v_min3_f32 v197, v4, v5, v197
	v_cvt_f32_f64_e32 v4, v[132:133]
	v_cvt_f32_f64_e32 v5, v[6:7]
	v_min3_f32 v69, v18, v19, v69
	v_min3_f32 v122, v0, v1, v122
	v_cvt_f32_f64_e32 v0, v[171:172]
	v_cvt_f32_f64_e32 v1, v[173:174]
	v_min3_f32 v142, v62, v63, v142
	scratch_load_b64 v[62:63], off, off offset:44 ; 8-byte Folded Reload
	v_min3_f32 v78, v4, v5, v78
	v_cvt_f32_f64_e32 v4, v[239:240]
	v_cvt_f32_f64_e32 v5, v[126:127]
	v_min3_f32 v243, v0, v1, v243
	v_cvt_f32_f64_e32 v0, v[175:176]
	v_cvt_f32_f64_e32 v1, v[177:178]
	s_delay_alu instid0(VALU_DEP_4) | instskip(SKIP_2) | instid1(VALU_DEP_4)
	v_min3_f32 v128, v4, v5, v128
	v_cvt_f32_f64_e32 v4, v[159:160]
	v_cvt_f32_f64_e32 v5, v[161:162]
	v_min3_f32 v120, v0, v1, v120
	v_cvt_f32_f64_e32 v0, v[179:180]
	v_cvt_f32_f64_e32 v1, v[181:182]
	s_delay_alu instid0(VALU_DEP_4) | instskip(SKIP_1) | instid1(VALU_DEP_2)
	v_min3_f32 v123, v4, v5, v123
	s_waitcnt vmcnt(1)
	v_min3_f32 v2, v0, v1, v2
	v_cvt_f32_f64_e32 v0, v[183:184]
	v_cvt_f32_f64_e32 v1, v[185:186]
	scratch_store_b32 off, v2, off          ; 4-byte Folded Spill
	s_waitcnt vmcnt(0)
	v_cvt_f32_f64_e32 v41, v[62:63]
	scratch_load_b64 v[62:63], off, off offset:20 ; 8-byte Folded Reload
	v_min3_f32 v118, v0, v1, v118
	v_min3_f32 v141, v40, v41, v141
	scratch_load_b64 v[40:41], off, off offset:76 ; 8-byte Folded Reload
	s_waitcnt vmcnt(0)
	v_cvt_f32_f64_e32 v40, v[40:41]
	v_cvt_f32_f64_e32 v41, v[62:63]
	scratch_load_b64 v[62:63], off, off offset:52 ; 8-byte Folded Reload
	v_min3_f32 v140, v40, v41, v140
	scratch_load_b64 v[40:41], off, off offset:100 ; 8-byte Folded Reload
	s_waitcnt vmcnt(0)
	v_cvt_f32_f64_e32 v40, v[40:41]
	v_cvt_f32_f64_e32 v41, v[62:63]
	scratch_load_b64 v[62:63], off, off offset:28 ; 8-byte Folded Reload
	;; [unrolled: 6-line block ×7, first 2 shown]
	v_min3_f32 v129, v40, v41, v129
	scratch_load_b64 v[39:40], off, off offset:148 ; 8-byte Folded Reload
	s_waitcnt vmcnt(0)
	v_cvt_f32_f64_e32 v39, v[39:40]
	s_delay_alu instid0(VALU_DEP_1)
	v_min3_f32 v121, v38, v39, v121
	v_cvt_f32_f64_e32 v38, v[62:63]
	scratch_load_b64 v[62:63], off, off offset:156 ; 8-byte Folded Reload
	v_mov_b32_e32 v39, v10
	v_mov_b32_e32 v41, v36
	v_cvt_f32_f64_e32 v10, v[8:9]
	v_cvt_f32_f64_e32 v8, v[44:45]
	;; [unrolled: 1-line block ×3, first 2 shown]
	s_delay_alu instid0(VALU_DEP_2) | instskip(SKIP_1) | instid1(VALU_DEP_1)
	v_min3_f32 v68, v10, v8, v68
	v_cvt_f32_f64_e32 v8, v[42:43]
	v_min3_f32 v59, v8, v9, v59
	s_waitcnt vmcnt(0)
	v_cvt_f32_f64_e32 v36, v[62:63]
	s_delay_alu instid0(VALU_DEP_1)
	v_min3_f32 v244, v38, v36, v244
	scratch_load_b64 v[35:36], off, off offset:172 ; 8-byte Folded Reload
	s_waitcnt vmcnt(0)
	v_cvt_f32_f64_e32 v35, v[35:36]
	scratch_load_b32 v36, off, off offset:292 ; 4-byte Folded Reload
	v_min3_f32 v136, v34, v35, v136
	v_cvt_f32_f64_e32 v34, v[32:33]
	scratch_load_b64 v[32:33], off, off offset:180 ; 8-byte Folded Reload
	s_waitcnt vmcnt(0)
	v_cvt_f32_f64_e32 v32, v[32:33]
	s_delay_alu instid0(VALU_DEP_1)
	v_min3_f32 v119, v34, v32, v119
	scratch_load_b64 v[32:33], off, off offset:196 ; 8-byte Folded Reload
	s_waitcnt vmcnt(0)
	v_cvt_f32_f64_e32 v32, v[32:33]
	scratch_load_b64 v[33:34], off, off offset:188 ; 8-byte Folded Reload
	s_waitcnt vmcnt(0)
	v_cvt_f32_f64_e32 v33, v[33:34]
	s_delay_alu instid0(VALU_DEP_1)
	v_min3_f32 v138, v32, v33, v138
	scratch_load_b64 v[32:33], off, off offset:212 ; 8-byte Folded Reload
	s_waitcnt vmcnt(0)
	v_cvt_f32_f64_e32 v32, v[32:33]
	scratch_load_b64 v[33:34], off, off offset:204 ; 8-byte Folded Reload
	s_waitcnt vmcnt(0)
	v_cvt_f32_f64_e32 v33, v[33:34]
	s_delay_alu instid0(VALU_DEP_1) | instskip(SKIP_2) | instid1(VALU_DEP_1)
	v_min3_f32 v255, v32, v33, v255
	v_cvt_f32_f64_e32 v32, v[80:81]
	v_cvt_f32_f64_e32 v33, v[56:57]
	v_min3_f32 v41, v32, v33, v41
	v_cvt_f32_f64_e32 v32, v[54:55]
	v_cvt_f32_f64_e32 v33, v[82:83]
	s_delay_alu instid0(VALU_DEP_1) | instskip(SKIP_2) | instid1(VALU_DEP_1)
	v_min3_f32 v90, v32, v33, v90
	v_cvt_f32_f64_e32 v32, v[88:89]
	v_cvt_f32_f64_e32 v33, v[86:87]
	v_min3_f32 v39, v32, v33, v39
	scratch_load_b64 v[33:34], off, off offset:268 ; 8-byte Folded Reload
	v_cvt_f32_f64_e32 v32, v[92:93]
	s_waitcnt vmcnt(0)
	v_cvt_f32_f64_e32 v33, v[33:34]
	s_delay_alu instid0(VALU_DEP_1) | instskip(SKIP_4) | instid1(VALU_DEP_1)
	v_min3_f32 v105, v32, v33, v105
	scratch_load_b64 v[33:34], off, off offset:252 ; 8-byte Folded Reload
	v_cvt_f32_f64_e32 v32, v[96:97]
	s_waitcnt vmcnt(0)
	v_cvt_f32_f64_e32 v33, v[33:34]
	v_min3_f32 v104, v32, v33, v104
	scratch_load_b64 v[32:33], off, off offset:276 ; 8-byte Folded Reload
	s_waitcnt vmcnt(0)
	v_cvt_f32_f64_e32 v32, v[32:33]
	scratch_load_b64 v[33:34], off, off offset:236 ; 8-byte Folded Reload
	s_waitcnt vmcnt(0)
	v_cvt_f32_f64_e32 v33, v[33:34]
	s_delay_alu instid0(VALU_DEP_1)
	v_min3_f32 v95, v32, v33, v95
	scratch_load_b64 v[32:33], off, off offset:260 ; 8-byte Folded Reload
	s_waitcnt vmcnt(0)
	v_cvt_f32_f64_e32 v32, v[32:33]
	scratch_load_b64 v[33:34], off, off offset:228 ; 8-byte Folded Reload
	s_waitcnt vmcnt(0)
	v_cvt_f32_f64_e32 v33, v[33:34]
	s_delay_alu instid0(VALU_DEP_1)
	v_min3_f32 v91, v32, v33, v91
	scratch_load_b64 v[32:33], off, off offset:244 ; 8-byte Folded Reload
	s_waitcnt vmcnt(0)
	v_cvt_f32_f64_e32 v32, v[32:33]
	scratch_load_b64 v[33:34], off, off offset:220 ; 8-byte Folded Reload
	s_waitcnt vmcnt(0)
	v_cvt_f32_f64_e32 v33, v[33:34]
	s_delay_alu instid0(VALU_DEP_1) | instskip(SKIP_2) | instid1(VALU_DEP_1)
	v_min3_f32 v94, v32, v33, v94
	v_cvt_f32_f64_e32 v32, v[146:147]
	v_cvt_f32_f64_e32 v33, v[144:145]
	v_min3_f32 v109, v32, v33, v109
	v_cvt_f32_f64_e32 v32, v[150:151]
	v_cvt_f32_f64_e32 v33, v[148:149]
	s_delay_alu instid0(VALU_DEP_1)
	v_min3_f32 v108, v32, v33, v108
	s_cbranch_vccz .LBB105_45
; %bb.46:                               ;   in Loop: Header=BB105_25 Depth=1
	s_clause 0x2
	scratch_load_b32 v0, off, off offset:372
	scratch_load_b64 v[1:2], off, off offset:284
	scratch_load_b64 v[3:4], off, off offset:312
	v_mov_b32_e32 v40, v90
	v_dual_mov_b32 v44, v95 :: v_dual_mov_b32 v239, v106
	v_mov_b32_e32 v42, v94
	v_mov_b32_e32 v214, v152
	s_add_i32 s20, s20, 8
	s_add_i32 s14, s14, 8
	s_cmp_ge_i32 s20, s19
	s_waitcnt vmcnt(0)
	ds_store_2addr_stride64_b64 v0, v[1:2], v[3:4] offset1:4
	s_clause 0x1
	scratch_load_b64 v[1:2], off, off offset:320
	scratch_load_b64 v[3:4], off, off offset:328
	s_waitcnt vmcnt(0)
	ds_store_2addr_stride64_b64 v0, v[1:2], v[3:4] offset0:8 offset1:12
	s_clause 0x1
	scratch_load_b32 v0, off, off offset:376
	scratch_load_b64 v[1:2], off, off offset:336
	s_waitcnt vmcnt(0)
	ds_store_b64 v0, v[1:2]
	s_waitcnt lgkmcnt(0)
	s_waitcnt_vscnt null, 0x0
	s_barrier
	buffer_gl0_inv
	s_cbranch_scc1 .LBB105_49
; %bb.47:                               ;   in Loop: Header=BB105_25 Depth=1
	v_dual_mov_b32 v216, v58 :: v_dual_mov_b32 v213, v59
	v_mov_b32_e32 v152, v68
	v_dual_mov_b32 v68, v70 :: v_dual_mov_b32 v95, v91
	v_mov_b32_e32 v70, v72
	;; [unrolled: 2-line block ×3, first 2 shown]
	v_mov_b32_e32 v202, v61
	v_dual_mov_b32 v240, v107 :: v_dual_mov_b32 v107, v98
	s_branch .LBB105_25
.LBB105_48:
	v_dual_mov_b32 v60, v74 :: v_dual_mov_b32 v61, v193
	v_mov_b32_e32 v74, v72
	v_mov_b32_e32 v72, v70
	;; [unrolled: 1-line block ×5, first 2 shown]
	s_branch .LBB105_50
.LBB105_49:
	v_dual_mov_b32 v200, v37 :: v_dual_mov_b32 v213, v59
	v_dual_mov_b32 v216, v58 :: v_dual_mov_b32 v95, v91
	v_mov_b32_e32 v202, v61
	v_dual_mov_b32 v240, v107 :: v_dual_mov_b32 v61, v100
	v_mov_b32_e32 v107, v98
.LBB105_50:
	v_dual_mov_b32 v98, v41 :: v_dual_mov_b32 v113, v40
	v_dual_mov_b32 v112, v39 :: v_dual_mov_b32 v53, v69
	s_delay_alu instid0(VALU_DEP_4)
	v_dual_mov_b32 v110, v240 :: v_dual_mov_b32 v51, v71
	v_dual_mov_b32 v52, v68 :: v_dual_mov_b32 v55, v74
	;; [unrolled: 1-line block ×5, first 2 shown]
	v_mov_b32_e32 v56, v75
	v_dual_mov_b32 v106, v103 :: v_dual_mov_b32 v103, v108
	v_dual_mov_b32 v108, v109 :: v_dual_mov_b32 v109, v42
	v_mov_b32_e32 v94, v44
	s_mov_b32 s12, 0
	s_mov_b32 s3, -1
.LBB105_51:                             ; =>This Inner Loop Header: Depth=1
	scratch_load_b32 v0, off, off offset:8  ; 4-byte Folded Reload
	s_lshl_b32 s12, s12, 3
	v_dual_mov_b32 v245, v123 :: v_dual_mov_b32 v204, v206
	v_lshl_add_u32 v5, v36, 5, s12
	v_dual_mov_b32 v241, v197 :: v_dual_mov_b32 v234, v236
	s_and_not1_b32 vcc_lo, exec_lo, s3
	s_mov_b32 s3, 0
	v_dual_mov_b32 v242, v122 :: v_dual_mov_b32 v99, v213
	s_waitcnt vmcnt(0)
	v_lshl_add_u32 v4, v0, 5, s12
	ds_load_b128 v[32:35], v4 offset:18432
	ds_load_b128 v[0:3], v5 offset:8192
	;; [unrolled: 1-line block ×4, first 2 shown]
	s_mov_b32 s12, 2
	s_waitcnt lgkmcnt(2)
	v_add_f64 v[64:65], v[2:3], v[34:35]
	s_waitcnt lgkmcnt(1)
	v_add_f64 v[6:7], v[82:83], v[34:35]
	v_add_f64 v[66:67], v[0:1], v[32:33]
	s_delay_alu instid0(VALU_DEP_3)
	v_cvt_f32_f64_e32 v64, v[64:65]
	scratch_store_b64 off, v[6:7], off offset:12 ; 8-byte Folded Spill
	v_add_f64 v[6:7], v[80:81], v[32:33]
	v_cvt_f32_f64_e32 v66, v[66:67]
	scratch_store_b64 off, v[6:7], off offset:68 ; 8-byte Folded Spill
	ds_load_b128 v[72:75], v5 offset:10240
	ds_load_b128 v[144:147], v5 offset:11264
	v_min3_f32 v143, v66, v64, v143
	s_waitcnt lgkmcnt(1)
	v_add_f64 v[6:7], v[74:75], v[34:35]
	v_add_f64 v[62:63], v[72:73], v[32:33]
	scratch_store_b64 off, v[6:7], off offset:44 ; 8-byte Folded Spill
	s_waitcnt lgkmcnt(0)
	v_add_f64 v[6:7], v[146:147], v[34:35]
	v_cvt_f32_f64_e32 v62, v[62:63]
	scratch_store_b64 off, v[6:7], off offset:20 ; 8-byte Folded Spill
	v_add_f64 v[6:7], v[144:145], v[32:33]
	scratch_store_b64 off, v[6:7], off offset:76 ; 8-byte Folded Spill
	ds_load_b128 v[148:151], v5 offset:12288
	ds_load_b128 v[152:155], v5 offset:13312
	s_waitcnt lgkmcnt(1)
	v_add_f64 v[6:7], v[150:151], v[34:35]
	scratch_store_b64 off, v[6:7], off offset:52 ; 8-byte Folded Spill
	s_waitcnt lgkmcnt(0)
	v_add_f64 v[7:8], v[154:155], v[34:35]
	v_mov_b32_e32 v6, v61
	v_add_f64 v[60:61], v[148:149], v[32:33]
	scratch_store_b64 off, v[7:8], off offset:28 ; 8-byte Folded Spill
	v_add_f64 v[7:8], v[152:153], v[32:33]
	v_cvt_f32_f64_e32 v60, v[60:61]
	scratch_store_b64 off, v[7:8], off offset:84 ; 8-byte Folded Spill
	ds_load_b128 v[156:159], v5 offset:14336
	ds_load_b128 v[160:163], v5 offset:15360
	v_mov_b32_e32 v5, v239
	v_mov_b32_e32 v239, v216
	;; [unrolled: 1-line block ×3, first 2 shown]
	s_waitcnt lgkmcnt(1)
	v_add_f64 v[7:8], v[158:159], v[34:35]
	v_add_f64 v[28:29], v[156:157], v[68:69]
	;; [unrolled: 1-line block ×3, first 2 shown]
	scratch_store_b64 off, v[7:8], off offset:60 ; 8-byte Folded Spill
	s_waitcnt lgkmcnt(0)
	v_add_f64 v[7:8], v[162:163], v[34:35]
	v_cvt_f32_f64_e32 v30, v[30:31]
	scratch_store_b64 off, v[7:8], off offset:36 ; 8-byte Folded Spill
	v_add_f64 v[7:8], v[160:161], v[32:33]
	scratch_store_b64 off, v[7:8], off offset:92 ; 8-byte Folded Spill
	v_add_f64 v[7:8], v[2:3], v[70:71]
	;; [unrolled: 2-line block ×16, first 2 shown]
	scratch_store_b64 off, v[7:8], off offset:212 ; 8-byte Folded Spill
	ds_load_b128 v[68:71], v4 offset:18944
	ds_load_b128 v[164:167], v4 offset:19200
	s_waitcnt lgkmcnt(1)
	v_add_f64 v[7:8], v[74:75], v[70:71]
	v_add_f64 v[86:87], v[2:3], v[70:71]
	;; [unrolled: 1-line block ×8, first 2 shown]
	s_waitcnt lgkmcnt(0)
	v_add_f64 v[114:115], v[2:3], v[166:167]
	v_add_f64 v[116:117], v[0:1], v[164:165]
	;; [unrolled: 1-line block ×16, first 2 shown]
	scratch_store_b64 off, v[7:8], off offset:284 ; 8-byte Folded Spill
	v_add_f64 v[7:8], v[146:147], v[70:71]
	scratch_store_b64 off, v[7:8], off offset:268 ; 8-byte Folded Spill
	v_add_f64 v[7:8], v[150:151], v[70:71]
	;; [unrolled: 2-line block ×8, first 2 shown]
	scratch_store_b64 off, v[7:8], off offset:244 ; 8-byte Folded Spill
	ds_load_b128 v[68:71], v4 offset:19456
	ds_load_b128 v[164:167], v4 offset:19712
	s_waitcnt lgkmcnt(1)
	v_add_f64 v[184:185], v[2:3], v[70:71]
	v_add_f64 v[186:187], v[0:1], v[68:69]
	v_add_f64 v[188:189], v[82:83], v[70:71]
	v_add_f64 v[190:191], v[80:81], v[68:69]
	v_add_f64 v[192:193], v[74:75], v[70:71]
	v_add_f64 v[194:195], v[72:73], v[68:69]
	v_add_f64 v[196:197], v[146:147], v[70:71]
	v_add_f64 v[42:43], v[144:145], v[68:69]
	v_add_f64 v[44:45], v[150:151], v[70:71]
	v_add_f64 v[202:203], v[148:149], v[68:69]
	v_add_f64 v[46:47], v[154:155], v[70:71]
	v_add_f64 v[206:207], v[152:153], v[68:69]
	v_add_f64 v[208:209], v[158:159], v[70:71]
	v_add_f64 v[210:211], v[156:157], v[68:69]
	v_add_f64 v[212:213], v[162:163], v[70:71]
	v_add_f64 v[214:215], v[160:161], v[68:69]
	s_waitcnt lgkmcnt(0)
	v_add_f64 v[216:217], v[2:3], v[166:167]
	v_add_f64 v[218:219], v[0:1], v[164:165]
	;; [unrolled: 1-line block ×16, first 2 shown]
	ds_load_b128 v[68:71], v4 offset:19968
	ds_load_b128 v[164:167], v4 offset:20224
	v_mov_b32_e32 v4, v239
	scratch_load_b64 v[64:65], off, off offset:68 ; 8-byte Folded Reload
	v_mov_b32_e32 v239, v5
	s_waitcnt lgkmcnt(1)
	v_add_f64 v[248:249], v[2:3], v[70:71]
	v_add_f64 v[250:251], v[0:1], v[68:69]
	s_waitcnt lgkmcnt(0)
	v_add_f64 v[2:3], v[2:3], v[166:167]
	v_add_f64 v[0:1], v[0:1], v[164:165]
	;; [unrolled: 1-line block ×30, first 2 shown]
	v_cvt_f32_f64_e32 v0, v[0:1]
	v_cvt_f32_f64_e32 v1, v[2:3]
	s_delay_alu instid0(VALU_DEP_1) | instskip(SKIP_2) | instid1(VALU_DEP_1)
	v_min3_f32 v125, v0, v1, v125
	v_cvt_f32_f64_e32 v0, v[80:81]
	v_cvt_f32_f64_e32 v1, v[82:83]
	v_min3_f32 v124, v0, v1, v124
	v_cvt_f32_f64_e32 v0, v[72:73]
	v_cvt_f32_f64_e32 v1, v[74:75]
	s_waitcnt vmcnt(0)
	v_cvt_f32_f64_e32 v64, v[64:65]
	scratch_load_b64 v[65:66], off, off offset:12 ; 8-byte Folded Reload
	s_waitcnt vmcnt(0)
	v_cvt_f32_f64_e32 v65, v[65:66]
	s_delay_alu instid0(VALU_DEP_1)
	v_min3_f32 v142, v64, v65, v142
	scratch_load_b64 v[65:66], off, off offset:44 ; 8-byte Folded Reload
	s_waitcnt vmcnt(0)
	v_cvt_f32_f64_e32 v63, v[65:66]
	scratch_load_b64 v[65:66], off, off offset:20 ; 8-byte Folded Reload
	v_min3_f32 v141, v62, v63, v141
	scratch_load_b64 v[62:63], off, off offset:76 ; 8-byte Folded Reload
	s_waitcnt vmcnt(0)
	v_cvt_f32_f64_e32 v62, v[62:63]
	v_cvt_f32_f64_e32 v63, v[65:66]
	s_delay_alu instid0(VALU_DEP_1) | instskip(SKIP_3) | instid1(VALU_DEP_1)
	v_min3_f32 v140, v62, v63, v140
	scratch_load_b64 v[61:62], off, off offset:52 ; 8-byte Folded Reload
	s_waitcnt vmcnt(0)
	v_cvt_f32_f64_e32 v61, v[61:62]
	v_min3_f32 v139, v60, v61, v139
	scratch_load_b64 v[60:61], off, off offset:84 ; 8-byte Folded Reload
	s_waitcnt vmcnt(0)
	v_cvt_f32_f64_e32 v60, v[60:61]
	scratch_load_b64 v[61:62], off, off offset:28 ; 8-byte Folded Reload
	s_waitcnt vmcnt(0)
	v_cvt_f32_f64_e32 v61, v[61:62]
	scratch_load_b64 v[62:63], off, off offset:60 ; 8-byte Folded Reload
	v_min3_f32 v137, v60, v61, v137
	v_mov_b32_e32 v61, v6
	scratch_load_b64 v[5:6], off, off offset:196 ; 8-byte Folded Reload
	s_waitcnt vmcnt(1)
	v_cvt_f32_f64_e32 v31, v[62:63]
	scratch_load_b64 v[62:63], off, off offset:36 ; 8-byte Folded Reload
	v_min3_f32 v235, v30, v31, v235
	scratch_load_b64 v[30:31], off, off offset:92 ; 8-byte Folded Reload
	s_waitcnt vmcnt(0)
	v_cvt_f32_f64_e32 v30, v[30:31]
	v_cvt_f32_f64_e32 v31, v[62:63]
	scratch_load_b64 v[62:63], off, off offset:100 ; 8-byte Folded Reload
	v_min3_f32 v79, v30, v31, v79
	scratch_load_b64 v[30:31], off, off offset:108 ; 8-byte Folded Reload
	s_waitcnt vmcnt(0)
	v_cvt_f32_f64_e32 v30, v[30:31]
	;; [unrolled: 6-line block ×7, first 2 shown]
	v_cvt_f32_f64_e32 v31, v[62:63]
	s_delay_alu instid0(VALU_DEP_1)
	v_min3_f32 v119, v30, v31, v119
	v_cvt_f32_f64_e32 v30, v[28:29]
	v_cvt_f32_f64_e32 v28, v[5:6]
	scratch_load_b64 v[5:6], off, off offset:212 ; 8-byte Folded Reload
	v_min3_f32 v138, v30, v28, v138
	s_waitcnt vmcnt(0)
	v_cvt_f32_f64_e32 v28, v[5:6]
	scratch_load_b64 v[5:6], off, off offset:204 ; 8-byte Folded Reload
	s_waitcnt vmcnt(0)
	v_cvt_f32_f64_e32 v29, v[5:6]
	scratch_load_b64 v[5:6], off, off offset:284 ; 8-byte Folded Reload
	v_min3_f32 v255, v28, v29, v255
	v_cvt_f32_f64_e32 v28, v[84:85]
	v_cvt_f32_f64_e32 v29, v[86:87]
	s_delay_alu instid0(VALU_DEP_1) | instskip(SKIP_2) | instid1(VALU_DEP_1)
	v_min3_f32 v98, v28, v29, v98
	v_cvt_f32_f64_e32 v28, v[88:89]
	v_cvt_f32_f64_e32 v29, v[90:91]
	v_min3_f32 v113, v28, v29, v113
	v_cvt_f32_f64_e32 v28, v[92:93]
	s_waitcnt vmcnt(0)
	v_cvt_f32_f64_e32 v29, v[5:6]
	scratch_load_b64 v[5:6], off, off offset:268 ; 8-byte Folded Reload
	v_min3_f32 v112, v28, v29, v112
	v_cvt_f32_f64_e32 v28, v[96:97]
	s_waitcnt vmcnt(0)
	v_cvt_f32_f64_e32 v29, v[5:6]
	scratch_load_b64 v[5:6], off, off offset:252 ; 8-byte Folded Reload
	;; [unrolled: 5-line block ×3, first 2 shown]
	v_min3_f32 v104, v28, v29, v104
	s_waitcnt vmcnt(0)
	v_cvt_f32_f64_e32 v28, v[5:6]
	scratch_load_b64 v[5:6], off, off offset:236 ; 8-byte Folded Reload
	s_waitcnt vmcnt(0)
	v_cvt_f32_f64_e32 v29, v[5:6]
	scratch_load_b64 v[5:6], off, off offset:260 ; 8-byte Folded Reload
	v_min3_f32 v94, v28, v29, v94
	s_waitcnt vmcnt(0)
	v_cvt_f32_f64_e32 v28, v[5:6]
	scratch_load_b64 v[5:6], off, off offset:228 ; 8-byte Folded Reload
	s_waitcnt vmcnt(0)
	v_cvt_f32_f64_e32 v29, v[5:6]
	scratch_load_b64 v[5:6], off, off offset:244 ; 8-byte Folded Reload
	v_min3_f32 v95, v28, v29, v95
	s_waitcnt vmcnt(0)
	v_cvt_f32_f64_e32 v28, v[5:6]
	scratch_load_b64 v[5:6], off, off offset:220 ; 8-byte Folded Reload
	s_waitcnt vmcnt(0)
	v_cvt_f32_f64_e32 v29, v[5:6]
	v_cvt_f32_f64_e32 v5, v[252:253]
	s_delay_alu instid0(VALU_DEP_2) | instskip(SKIP_2) | instid1(VALU_DEP_1)
	v_min3_f32 v109, v28, v29, v109
	v_cvt_f32_f64_e32 v28, v[116:117]
	v_cvt_f32_f64_e32 v29, v[114:115]
	v_min3_f32 v108, v28, v29, v108
	v_cvt_f32_f64_e32 v28, v[58:59]
	v_cvt_f32_f64_e32 v29, v[76:77]
	s_delay_alu instid0(VALU_DEP_1)
	v_min3_f32 v103, v28, v29, v103
	v_cvt_f32_f64_e32 v28, v[20:21]
	v_cvt_f32_f64_e32 v29, v[122:123]
	scratch_load_b32 v21, off, off offset:4 ; 4-byte Folded Reload
	v_dual_mov_b32 v122, v242 :: v_dual_mov_b32 v123, v245
	v_min3_f32 v111, v28, v29, v111
	v_cvt_f32_f64_e32 v28, v[48:49]
	v_cvt_f32_f64_e32 v29, v[126:127]
	s_delay_alu instid0(VALU_DEP_1) | instskip(SKIP_2) | instid1(VALU_DEP_1)
	v_min3_f32 v107, v28, v29, v107
	v_cvt_f32_f64_e32 v28, v[170:171]
	v_cvt_f32_f64_e32 v29, v[168:169]
	v_min3_f32 v106, v28, v29, v106
	v_cvt_f32_f64_e32 v28, v[174:175]
	v_cvt_f32_f64_e32 v29, v[172:173]
	s_delay_alu instid0(VALU_DEP_1) | instskip(SKIP_2) | instid1(VALU_DEP_1)
	v_min3_f32 v102, v28, v29, v102
	v_cvt_f32_f64_e32 v28, v[178:179]
	v_cvt_f32_f64_e32 v29, v[176:177]
	;; [unrolled: 7-line block ×4, first 2 shown]
	v_min3_f32 v57, v28, v29, v57
	v_cvt_f32_f64_e32 v28, v[42:43]
	v_cvt_f32_f64_e32 v29, v[196:197]
	v_mov_b32_e32 v197, v241
	s_delay_alu instid0(VALU_DEP_2) | instskip(SKIP_2) | instid1(VALU_DEP_1)
	v_min3_f32 v56, v28, v29, v56
	v_cvt_f32_f64_e32 v28, v[202:203]
	v_cvt_f32_f64_e32 v29, v[44:45]
	v_min3_f32 v55, v28, v29, v55
	v_cvt_f32_f64_e32 v28, v[206:207]
	v_cvt_f32_f64_e32 v29, v[46:47]
	v_mov_b32_e32 v206, v204
	s_delay_alu instid0(VALU_DEP_2) | instskip(SKIP_2) | instid1(VALU_DEP_1)
	v_min3_f32 v54, v28, v29, v54
	v_cvt_f32_f64_e32 v28, v[210:211]
	v_cvt_f32_f64_e32 v29, v[208:209]
	v_min3_f32 v240, v28, v29, v240
	v_cvt_f32_f64_e32 v28, v[214:215]
	v_cvt_f32_f64_e32 v29, v[212:213]
	v_dual_mov_b32 v214, v201 :: v_dual_mov_b32 v213, v99
	s_delay_alu instid0(VALU_DEP_2) | instskip(SKIP_4) | instid1(VALU_DEP_3)
	v_min3_f32 v51, v28, v29, v51
	v_cvt_f32_f64_e32 v28, v[218:219]
	v_cvt_f32_f64_e32 v29, v[216:217]
	v_mov_b32_e32 v216, v4
	v_cvt_f32_f64_e32 v4, v[7:8]
	v_min3_f32 v50, v28, v29, v50
	v_cvt_f32_f64_e32 v28, v[222:223]
	v_cvt_f32_f64_e32 v29, v[220:221]
	s_delay_alu instid0(VALU_DEP_1) | instskip(SKIP_2) | instid1(VALU_DEP_1)
	v_min3_f32 v53, v28, v29, v53
	v_cvt_f32_f64_e32 v28, v[226:227]
	v_cvt_f32_f64_e32 v29, v[224:225]
	v_min3_f32 v52, v28, v29, v52
	v_cvt_f32_f64_e32 v28, v[230:231]
	v_cvt_f32_f64_e32 v29, v[228:229]
	s_delay_alu instid0(VALU_DEP_1) | instskip(SKIP_2) | instid1(VALU_DEP_1)
	v_min3_f32 v213, v28, v29, v213
	v_cvt_f32_f64_e32 v28, v[40:41]
	v_cvt_f32_f64_e32 v29, v[232:233]
	v_min3_f32 v216, v28, v29, v216
	v_cvt_f32_f64_e32 v28, v[132:133]
	v_cvt_f32_f64_e32 v29, v[236:237]
	v_mov_b32_e32 v236, v234
	s_delay_alu instid0(VALU_DEP_1)
	v_min3_f32 v236, v4, v5, v236
	v_cvt_f32_f64_e32 v4, v[9:10]
	v_cvt_f32_f64_e32 v5, v[14:15]
	v_min3_f32 v200, v28, v29, v200
	v_cvt_f32_f64_e32 v28, v[36:37]
	s_clause 0x1
	scratch_load_b32 v36, off, off offset:292
	scratch_load_b32 v20, off, off
	s_waitcnt vmcnt(2)
	v_min3_f32 v21, v0, v1, v21
	v_cvt_f32_f64_e32 v0, v[144:145]
	v_cvt_f32_f64_e32 v1, v[146:147]
	;; [unrolled: 1-line block ×3, first 2 shown]
	v_min3_f32 v134, v4, v5, v134
	v_cvt_f32_f64_e32 v4, v[12:13]
	v_cvt_f32_f64_e32 v5, v[18:19]
	v_min3_f32 v122, v0, v1, v122
	v_cvt_f32_f64_e32 v0, v[148:149]
	v_cvt_f32_f64_e32 v1, v[150:151]
	v_min3_f32 v214, v28, v29, v214
	v_min3_f32 v135, v4, v5, v135
	v_cvt_f32_f64_e32 v4, v[16:17]
	v_cvt_f32_f64_e32 v5, v[24:25]
	;; [unrolled: 1-line block ×4, first 2 shown]
	v_min3_f32 v243, v0, v1, v243
	v_cvt_f32_f64_e32 v0, v[152:153]
	v_cvt_f32_f64_e32 v1, v[154:155]
	v_min3_f32 v197, v4, v5, v197
	v_cvt_f32_f64_e32 v4, v[22:23]
	v_cvt_f32_f64_e32 v5, v[32:33]
	;; [unrolled: 3-line block ×5, first 2 shown]
	v_min3_f32 v205, v28, v29, v205
	s_delay_alu instid0(VALU_DEP_2) | instskip(SKIP_2) | instid1(VALU_DEP_1)
	v_min3_f32 v128, v4, v5, v128
	v_cvt_f32_f64_e32 v4, v[68:69]
	v_cvt_f32_f64_e32 v5, v[70:71]
	v_min3_f32 v123, v4, v5, v123
	s_waitcnt vmcnt(0)
	v_min3_f32 v20, v0, v1, v20
	v_cvt_f32_f64_e32 v0, v[160:161]
	v_cvt_f32_f64_e32 v1, v[162:163]
	s_clause 0x1
	scratch_store_b32 off, v21, off offset:4
	scratch_store_b32 off, v20, off
	v_min3_f32 v118, v0, v1, v118
	s_cbranch_vccz .LBB105_51
; %bb.52:
	s_clause 0x2
	s_load_b32 s12, s[0:1], 0x70
	s_load_b32 s3, s[0:1], 0x58
	s_load_b64 s[0:1], s[0:1], 0x78
	scratch_load_b32 v0, off, off offset:8  ; 4-byte Folded Reload
	v_add_nc_u32_e32 v12, s6, v36
	v_mov_b32_e32 v46, v200
	s_delay_alu instid0(VALU_DEP_2) | instskip(SKIP_1) | instid1(VALU_DEP_1)
	v_ashrrev_i32_e32 v13, 31, v12
	v_add_nc_u32_e32 v2, 32, v12
	v_ashrrev_i32_e32 v3, 31, v2
	s_waitcnt lgkmcnt(0)
	s_lshl_b64 s[0:1], s[0:1], 3
	s_delay_alu instid0(SALU_CYCLE_1) | instskip(SKIP_3) | instid1(VALU_DEP_1)
	s_add_u32 s4, s4, s0
	s_addc_u32 s5, s5, s1
	s_waitcnt vmcnt(0)
	v_add_nc_u32_e32 v18, s7, v0
	v_mad_i64_i32 v[0:1], null, v18, s12, 0
	v_mad_i64_i32 v[4:5], null, v18, s3, 0
	s_delay_alu instid0(VALU_DEP_2) | instskip(SKIP_1) | instid1(VALU_DEP_3)
	v_lshlrev_b64 v[6:7], 3, v[0:1]
	v_lshlrev_b64 v[0:1], 3, v[12:13]
	;; [unrolled: 1-line block ×3, first 2 shown]
	s_delay_alu instid0(VALU_DEP_3) | instskip(NEXT) | instid1(VALU_DEP_4)
	v_add_co_u32 v19, vcc_lo, s4, v6
	v_add_co_ci_u32_e32 v22, vcc_lo, s5, v7, vcc_lo
	s_delay_alu instid0(VALU_DEP_3) | instskip(NEXT) | instid1(VALU_DEP_4)
	v_add_co_u32 v16, vcc_lo, s8, v4
	v_add_co_ci_u32_e32 v17, vcc_lo, s9, v5, vcc_lo
	v_max_f32_e32 v4, v143, v143
	s_mov_b32 vcc_lo, s2
	s_cbranch_vccz .LBB105_54
; %bb.53:
	s_delay_alu instid0(VALU_DEP_1) | instskip(SKIP_2) | instid1(VALU_DEP_3)
	v_min_f32_e32 v5, 0, v4
	v_add_co_u32 v7, vcc_lo, v19, v0
	v_add_co_ci_u32_e32 v8, vcc_lo, v22, v1, vcc_lo
	v_cvt_f64_f32_e32 v[5:6], v5
	s_mov_b32 s6, 0
	s_mov_b64 s[0:1], 0
	global_store_b64 v[7:8], v[5:6], off
	s_branch .LBB105_55
.LBB105_54:
	s_mov_b32 s6, -1
                                        ; implicit-def: $sgpr0_sgpr1
.LBB105_55:
	v_lshlrev_b64 v[2:3], 3, v[2:3]
	v_dual_mov_b32 v34, v53 :: v_dual_mov_b32 v37, v240
	v_dual_mov_b32 v36, v51 :: v_dual_mov_b32 v41, v57
	v_mov_b32_e32 v39, v55
	v_mov_b32_e32 v42, v11
	s_and_not1_b32 vcc_lo, exec_lo, s6
	s_cbranch_vccnz .LBB105_57
; %bb.56:
	v_add_co_u32 v5, vcc_lo, v16, v0
	v_add_co_ci_u32_e32 v6, vcc_lo, v17, v1, vcc_lo
	flat_load_b64 v[5:6], v[5:6]
	s_waitcnt vmcnt(0) lgkmcnt(0)
	v_mul_f64 v[5:6], s[10:11], v[5:6]
	s_delay_alu instid0(VALU_DEP_1)
	v_cvt_f32_f64_e32 v5, v[5:6]
	v_add_co_u32 v6, vcc_lo, v19, v0
	v_add_co_ci_u32_e32 v7, vcc_lo, v22, v1, vcc_lo
	v_add_co_u32 v8, vcc_lo, v16, v2
	v_add_co_ci_u32_e32 v9, vcc_lo, v17, v3, vcc_lo
	v_min_f32_e32 v4, v5, v4
	s_delay_alu instid0(VALU_DEP_1)
	v_cvt_f64_f32_e32 v[4:5], v4
	global_store_b64 v[6:7], v[4:5], off
	flat_load_b64 v[4:5], v[8:9]
	s_waitcnt vmcnt(0) lgkmcnt(0)
	v_mul_f64 v[4:5], s[10:11], v[4:5]
	s_branch .LBB105_58
.LBB105_57:
	v_dual_mov_b32 v5, s1 :: v_dual_mov_b32 v4, s0
.LBB105_58:
	s_delay_alu instid0(VALU_DEP_1) | instskip(SKIP_4) | instid1(VALU_DEP_4)
	v_cvt_f32_f64_e32 v4, v[4:5]
	v_dual_max_f32 v5, v142, v142 :: v_dual_add_nc_u32 v6, 0x60, v12
	v_add_co_u32 v13, vcc_lo, v19, v2
	v_add_co_ci_u32_e32 v14, vcc_lo, v22, v3, vcc_lo
	v_max_f32_e32 v8, v141, v141
	v_ashrrev_i32_e32 v7, 31, v6
	s_mov_b32 vcc_lo, s2
	v_min_f32_e32 v4, v4, v5
	s_delay_alu instid0(VALU_DEP_1) | instskip(SKIP_1) | instid1(VALU_DEP_1)
	v_cvt_f64_f32_e32 v[9:10], v4
	v_add_nc_u32_e32 v4, 64, v12
	v_ashrrev_i32_e32 v5, 31, v4
	s_delay_alu instid0(VALU_DEP_1)
	v_lshlrev_b64 v[4:5], 3, v[4:5]
	global_store_b64 v[13:14], v[9:10], off
	s_cbranch_vccz .LBB105_61
; %bb.59:
	v_min_f32_e32 v9, 0, v8
	v_add_co_u32 v13, vcc_lo, v19, v4
	v_add_co_ci_u32_e32 v14, vcc_lo, v22, v5, vcc_lo
	s_delay_alu instid0(VALU_DEP_3)
	v_cvt_f64_f32_e32 v[9:10], v9
	s_mov_b64 s[0:1], 0
	global_store_b64 v[13:14], v[9:10], off
	v_lshlrev_b64 v[6:7], 3, v[6:7]
	s_cbranch_execz .LBB105_62
; %bb.60:
	v_dual_mov_b32 v9, s1 :: v_dual_mov_b32 v8, s0
	s_branch .LBB105_63
.LBB105_61:
                                        ; implicit-def: $sgpr0_sgpr1
	v_lshlrev_b64 v[6:7], 3, v[6:7]
.LBB105_62:
	v_add_co_u32 v9, vcc_lo, v16, v4
	v_add_co_ci_u32_e32 v10, vcc_lo, v17, v5, vcc_lo
	flat_load_b64 v[9:10], v[9:10]
	s_waitcnt vmcnt(0) lgkmcnt(0)
	v_mul_f64 v[9:10], s[10:11], v[9:10]
	s_delay_alu instid0(VALU_DEP_1)
	v_cvt_f32_f64_e32 v9, v[9:10]
	v_add_co_u32 v10, vcc_lo, v19, v4
	v_add_co_ci_u32_e32 v11, vcc_lo, v22, v5, vcc_lo
	v_add_co_u32 v13, vcc_lo, v16, v6
	v_add_co_ci_u32_e32 v14, vcc_lo, v17, v7, vcc_lo
	v_min_f32_e32 v8, v9, v8
	s_delay_alu instid0(VALU_DEP_1)
	v_cvt_f64_f32_e32 v[8:9], v8
	global_store_b64 v[10:11], v[8:9], off
	flat_load_b64 v[8:9], v[13:14]
	s_waitcnt vmcnt(0) lgkmcnt(0)
	v_mul_f64 v[8:9], s[10:11], v[8:9]
.LBB105_63:
	s_delay_alu instid0(VALU_DEP_1) | instskip(SKIP_4) | instid1(VALU_DEP_3)
	v_cvt_f32_f64_e32 v8, v[8:9]
	v_max_f32_e32 v9, v140, v140
	v_add_nc_u32_e32 v10, 0xa0, v12
	v_add_co_u32 v23, vcc_lo, v19, v6
	v_add_co_ci_u32_e32 v24, vcc_lo, v22, v7, vcc_lo
	v_ashrrev_i32_e32 v11, 31, v10
	s_mov_b32 vcc_lo, s2
	v_dual_max_f32 v13, v139, v139 :: v_dual_min_f32 v8, v8, v9
	s_delay_alu instid0(VALU_DEP_1) | instskip(SKIP_1) | instid1(VALU_DEP_1)
	v_cvt_f64_f32_e32 v[14:15], v8
	v_add_nc_u32_e32 v8, 0x80, v12
	v_ashrrev_i32_e32 v9, 31, v8
	s_delay_alu instid0(VALU_DEP_1)
	v_lshlrev_b64 v[8:9], 3, v[8:9]
	global_store_b64 v[23:24], v[14:15], off
	s_cbranch_vccz .LBB105_66
; %bb.64:
	v_min_f32_e32 v14, 0, v13
	v_add_co_u32 v23, vcc_lo, v19, v8
	v_add_co_ci_u32_e32 v24, vcc_lo, v22, v9, vcc_lo
	s_delay_alu instid0(VALU_DEP_3)
	v_cvt_f64_f32_e32 v[14:15], v14
	s_mov_b64 s[0:1], 0
	global_store_b64 v[23:24], v[14:15], off
	v_lshlrev_b64 v[10:11], 3, v[10:11]
	s_cbranch_execz .LBB105_67
; %bb.65:
	v_dual_mov_b32 v14, s1 :: v_dual_mov_b32 v13, s0
	s_branch .LBB105_68
.LBB105_66:
                                        ; implicit-def: $sgpr0_sgpr1
	v_lshlrev_b64 v[10:11], 3, v[10:11]
.LBB105_67:
	v_add_co_u32 v14, vcc_lo, v16, v8
	v_add_co_ci_u32_e32 v15, vcc_lo, v17, v9, vcc_lo
	v_add_co_u32 v23, vcc_lo, v19, v8
	v_add_co_ci_u32_e32 v24, vcc_lo, v22, v9, vcc_lo
	flat_load_b64 v[14:15], v[14:15]
	v_add_co_u32 v25, vcc_lo, v16, v10
	v_add_co_ci_u32_e32 v26, vcc_lo, v17, v11, vcc_lo
	s_waitcnt vmcnt(0) lgkmcnt(0)
	v_mul_f64 v[14:15], s[10:11], v[14:15]
	s_delay_alu instid0(VALU_DEP_1) | instskip(NEXT) | instid1(VALU_DEP_1)
	v_cvt_f32_f64_e32 v14, v[14:15]
	v_min_f32_e32 v13, v14, v13
	s_delay_alu instid0(VALU_DEP_1)
	v_cvt_f64_f32_e32 v[13:14], v13
	global_store_b64 v[23:24], v[13:14], off
	flat_load_b64 v[13:14], v[25:26]
	s_waitcnt vmcnt(0) lgkmcnt(0)
	v_mul_f64 v[13:14], s[10:11], v[13:14]
.LBB105_68:
	s_delay_alu instid0(VALU_DEP_1)
	v_cvt_f32_f64_e32 v13, v[13:14]
	v_dual_max_f32 v14, v137, v137 :: v_dual_max_f32 v23, v235, v235
	v_add_co_u32 v28, vcc_lo, v19, v10
	v_add_co_ci_u32_e32 v29, vcc_lo, v22, v11, vcc_lo
	s_mov_b32 vcc_lo, s2
	v_add_nc_u32_e32 v26, 0xc0, v12
	s_delay_alu instid0(VALU_DEP_1) | instskip(SKIP_1) | instid1(VALU_DEP_1)
	v_ashrrev_i32_e32 v27, 31, v26
	v_dual_min_f32 v13, v13, v14 :: v_dual_add_nc_u32 v14, 0xe0, v12
	v_cvt_f64_f32_e32 v[24:25], v13
	s_delay_alu instid0(VALU_DEP_2) | instskip(NEXT) | instid1(VALU_DEP_4)
	v_ashrrev_i32_e32 v15, 31, v14
	v_lshlrev_b64 v[12:13], 3, v[26:27]
	global_store_b64 v[28:29], v[24:25], off
	s_cbranch_vccz .LBB105_71
; %bb.69:
	v_min_f32_e32 v24, 0, v23
	v_add_co_u32 v26, vcc_lo, v19, v12
	v_add_co_ci_u32_e32 v27, vcc_lo, v22, v13, vcc_lo
	s_delay_alu instid0(VALU_DEP_3)
	v_cvt_f64_f32_e32 v[24:25], v24
	s_mov_b64 s[0:1], 0
	global_store_b64 v[26:27], v[24:25], off
	v_lshlrev_b64 v[14:15], 3, v[14:15]
	s_cbranch_execz .LBB105_72
; %bb.70:
	v_dual_mov_b32 v17, s1 :: v_dual_mov_b32 v16, s0
	s_branch .LBB105_73
.LBB105_71:
                                        ; implicit-def: $sgpr0_sgpr1
	v_lshlrev_b64 v[14:15], 3, v[14:15]
.LBB105_72:
	v_add_co_u32 v24, vcc_lo, v16, v12
	v_add_co_ci_u32_e32 v25, vcc_lo, v17, v13, vcc_lo
	flat_load_b64 v[24:25], v[24:25]
	s_waitcnt vmcnt(0) lgkmcnt(0)
	v_mul_f64 v[24:25], s[10:11], v[24:25]
	s_delay_alu instid0(VALU_DEP_1)
	v_cvt_f32_f64_e32 v24, v[24:25]
	v_add_co_u32 v25, vcc_lo, v19, v12
	v_add_co_ci_u32_e32 v26, vcc_lo, v22, v13, vcc_lo
	v_add_co_u32 v16, vcc_lo, v16, v14
	v_add_co_ci_u32_e32 v17, vcc_lo, v17, v15, vcc_lo
	v_min_f32_e32 v23, v24, v23
	s_delay_alu instid0(VALU_DEP_1)
	v_cvt_f64_f32_e32 v[23:24], v23
	global_store_b64 v[25:26], v[23:24], off
	flat_load_b64 v[16:17], v[16:17]
	s_waitcnt vmcnt(0) lgkmcnt(0)
	v_mul_f64 v[16:17], s[10:11], v[16:17]
.LBB105_73:
	s_delay_alu instid0(VALU_DEP_1) | instskip(SKIP_4) | instid1(VALU_DEP_1)
	v_cvt_f32_f64_e32 v16, v[16:17]
	v_max_f32_e32 v17, v79, v79
	v_add_co_u32 v29, vcc_lo, v19, v14
	v_add_co_ci_u32_e32 v30, vcc_lo, v22, v15, vcc_lo
	v_add_nc_u32_e32 v27, 8, v18
	v_mad_i64_i32 v[23:24], null, v27, s3, 0
	s_delay_alu instid0(VALU_DEP_1) | instskip(SKIP_1) | instid1(VALU_DEP_1)
	v_lshlrev_b64 v[31:32], 3, v[23:24]
	v_min_f32_e32 v16, v16, v17
	v_cvt_f64_f32_e32 v[25:26], v16
	v_mad_i64_i32 v[16:17], null, v27, s12, 0
	s_delay_alu instid0(VALU_DEP_1) | instskip(SKIP_1) | instid1(VALU_DEP_2)
	v_lshlrev_b64 v[27:28], 3, v[16:17]
	v_max_f32_e32 v16, v198, v198
	v_add_co_u32 v19, vcc_lo, s4, v27
	s_delay_alu instid0(VALU_DEP_3)
	v_add_co_ci_u32_e32 v23, vcc_lo, s5, v28, vcc_lo
	v_add_co_u32 v24, vcc_lo, s8, v31
	v_add_co_ci_u32_e32 v22, vcc_lo, s9, v32, vcc_lo
	s_mov_b32 vcc_lo, s2
	global_store_b64 v[29:30], v[25:26], off
	s_cbranch_vccz .LBB105_76
; %bb.74:
	v_min_f32_e32 v17, 0, v16
	v_add_co_u32 v27, vcc_lo, v19, v0
	v_add_co_ci_u32_e32 v28, vcc_lo, v23, v1, vcc_lo
	s_delay_alu instid0(VALU_DEP_3)
	v_cvt_f64_f32_e32 v[25:26], v17
	s_mov_b64 s[0:1], 0
	global_store_b64 v[27:28], v[25:26], off
	s_cbranch_execz .LBB105_77
; %bb.75:
	v_dual_mov_b32 v17, s1 :: v_dual_mov_b32 v16, s0
	s_branch .LBB105_78
.LBB105_76:
                                        ; implicit-def: $sgpr0_sgpr1
.LBB105_77:
	v_add_co_u32 v25, vcc_lo, v24, v0
	v_add_co_ci_u32_e32 v26, vcc_lo, v22, v1, vcc_lo
	flat_load_b64 v[25:26], v[25:26]
	s_waitcnt vmcnt(0) lgkmcnt(0)
	v_mul_f64 v[25:26], s[10:11], v[25:26]
	s_delay_alu instid0(VALU_DEP_1)
	v_cvt_f32_f64_e32 v17, v[25:26]
	v_add_co_u32 v25, vcc_lo, v19, v0
	v_add_co_ci_u32_e32 v26, vcc_lo, v23, v1, vcc_lo
	v_add_co_u32 v27, vcc_lo, v24, v2
	v_add_co_ci_u32_e32 v28, vcc_lo, v22, v3, vcc_lo
	v_min_f32_e32 v16, v17, v16
	s_delay_alu instid0(VALU_DEP_1)
	v_cvt_f64_f32_e32 v[16:17], v16
	global_store_b64 v[25:26], v[16:17], off
	flat_load_b64 v[16:17], v[27:28]
	s_waitcnt vmcnt(0) lgkmcnt(0)
	v_mul_f64 v[16:17], s[10:11], v[16:17]
.LBB105_78:
	s_delay_alu instid0(VALU_DEP_1) | instskip(SKIP_4) | instid1(VALU_DEP_3)
	v_cvt_f32_f64_e32 v16, v[16:17]
	v_max_f32_e32 v17, v129, v129
	v_add_co_u32 v27, vcc_lo, v19, v2
	v_add_co_ci_u32_e32 v28, vcc_lo, v23, v3, vcc_lo
	s_mov_b32 vcc_lo, s2
	v_min_f32_e32 v16, v16, v17
	s_delay_alu instid0(VALU_DEP_1)
	v_cvt_f64_f32_e32 v[25:26], v16
	v_max_f32_e32 v16, v121, v121
	global_store_b64 v[27:28], v[25:26], off
	s_cbranch_vccz .LBB105_81
; %bb.79:
	v_min_f32_e32 v17, 0, v16
	v_add_co_u32 v27, vcc_lo, v19, v4
	v_add_co_ci_u32_e32 v28, vcc_lo, v23, v5, vcc_lo
	s_delay_alu instid0(VALU_DEP_3)
	v_cvt_f64_f32_e32 v[25:26], v17
	s_mov_b64 s[0:1], 0
	global_store_b64 v[27:28], v[25:26], off
	s_cbranch_execz .LBB105_82
; %bb.80:
	v_dual_mov_b32 v17, s1 :: v_dual_mov_b32 v16, s0
	s_branch .LBB105_83
.LBB105_81:
                                        ; implicit-def: $sgpr0_sgpr1
.LBB105_82:
	v_add_co_u32 v25, vcc_lo, v24, v4
	v_add_co_ci_u32_e32 v26, vcc_lo, v22, v5, vcc_lo
	flat_load_b64 v[25:26], v[25:26]
	s_waitcnt vmcnt(0) lgkmcnt(0)
	v_mul_f64 v[25:26], s[10:11], v[25:26]
	s_delay_alu instid0(VALU_DEP_1)
	v_cvt_f32_f64_e32 v17, v[25:26]
	v_add_co_u32 v25, vcc_lo, v19, v4
	v_add_co_ci_u32_e32 v26, vcc_lo, v23, v5, vcc_lo
	v_add_co_u32 v27, vcc_lo, v24, v6
	v_add_co_ci_u32_e32 v28, vcc_lo, v22, v7, vcc_lo
	v_min_f32_e32 v16, v17, v16
	s_delay_alu instid0(VALU_DEP_1)
	v_cvt_f64_f32_e32 v[16:17], v16
	global_store_b64 v[25:26], v[16:17], off
	flat_load_b64 v[16:17], v[27:28]
	s_waitcnt vmcnt(0) lgkmcnt(0)
	v_mul_f64 v[16:17], s[10:11], v[16:17]
.LBB105_83:
	s_delay_alu instid0(VALU_DEP_1) | instskip(SKIP_4) | instid1(VALU_DEP_3)
	v_cvt_f32_f64_e32 v16, v[16:17]
	v_max_f32_e32 v17, v244, v244
	v_add_co_u32 v27, vcc_lo, v19, v6
	v_add_co_ci_u32_e32 v28, vcc_lo, v23, v7, vcc_lo
	s_mov_b32 vcc_lo, s2
	v_min_f32_e32 v16, v16, v17
	s_delay_alu instid0(VALU_DEP_1)
	v_cvt_f64_f32_e32 v[25:26], v16
	v_max_f32_e32 v16, v136, v136
	;; [unrolled: 46-line block ×3, first 2 shown]
	global_store_b64 v[25:26], v[20:21], off
	s_cbranch_vccz .LBB105_91
; %bb.89:
	v_min_f32_e32 v17, 0, v16
	v_add_co_u32 v25, vcc_lo, v19, v12
	v_add_co_ci_u32_e32 v26, vcc_lo, v23, v13, vcc_lo
	s_delay_alu instid0(VALU_DEP_3)
	v_cvt_f64_f32_e32 v[20:21], v17
	s_mov_b64 s[0:1], 0
	global_store_b64 v[25:26], v[20:21], off
	s_cbranch_execz .LBB105_92
; %bb.90:
	v_dual_mov_b32 v17, s1 :: v_dual_mov_b32 v16, s0
	s_branch .LBB105_93
.LBB105_91:
                                        ; implicit-def: $sgpr0_sgpr1
.LBB105_92:
	v_add_co_u32 v20, vcc_lo, v24, v12
	v_add_co_ci_u32_e32 v21, vcc_lo, v22, v13, vcc_lo
	flat_load_b64 v[20:21], v[20:21]
	s_waitcnt vmcnt(0) lgkmcnt(0)
	v_mul_f64 v[20:21], s[10:11], v[20:21]
	s_delay_alu instid0(VALU_DEP_1)
	v_cvt_f32_f64_e32 v17, v[20:21]
	v_add_co_u32 v20, vcc_lo, v19, v12
	v_add_co_ci_u32_e32 v21, vcc_lo, v23, v13, vcc_lo
	v_add_co_u32 v24, vcc_lo, v24, v14
	v_add_co_ci_u32_e32 v25, vcc_lo, v22, v15, vcc_lo
	v_min_f32_e32 v16, v17, v16
	s_delay_alu instid0(VALU_DEP_1)
	v_cvt_f64_f32_e32 v[16:17], v16
	global_store_b64 v[20:21], v[16:17], off
	flat_load_b64 v[16:17], v[24:25]
	s_waitcnt vmcnt(0) lgkmcnt(0)
	v_mul_f64 v[16:17], s[10:11], v[16:17]
.LBB105_93:
	s_delay_alu instid0(VALU_DEP_1) | instskip(SKIP_3) | instid1(VALU_DEP_3)
	v_cvt_f32_f64_e32 v16, v[16:17]
	v_dual_max_f32 v17, v255, v255 :: v_dual_add_nc_u32 v22, 16, v18
	v_add_co_u32 v28, vcc_lo, v19, v14
	v_add_co_ci_u32_e32 v29, vcc_lo, v23, v15, vcc_lo
	v_mad_i64_i32 v[20:21], null, v22, s3, 0
	s_delay_alu instid0(VALU_DEP_4) | instskip(NEXT) | instid1(VALU_DEP_1)
	v_min_f32_e32 v16, v16, v17
	v_cvt_f64_f32_e32 v[24:25], v16
	v_mad_i64_i32 v[16:17], null, v22, s12, 0
	s_delay_alu instid0(VALU_DEP_4) | instskip(NEXT) | instid1(VALU_DEP_2)
	v_lshlrev_b64 v[21:22], 3, v[20:21]
	v_lshlrev_b64 v[26:27], 3, v[16:17]
	v_max_f32_e32 v16, v98, v98
	s_delay_alu instid0(VALU_DEP_2) | instskip(NEXT) | instid1(VALU_DEP_3)
	v_add_co_u32 v19, vcc_lo, s4, v26
	v_add_co_ci_u32_e32 v20, vcc_lo, s5, v27, vcc_lo
	v_add_co_u32 v21, vcc_lo, s8, v21
	v_add_co_ci_u32_e32 v22, vcc_lo, s9, v22, vcc_lo
	s_mov_b32 vcc_lo, s2
	global_store_b64 v[28:29], v[24:25], off
	s_cbranch_vccz .LBB105_96
; %bb.94:
	v_min_f32_e32 v17, 0, v16
	v_add_co_u32 v25, vcc_lo, v19, v0
	v_add_co_ci_u32_e32 v26, vcc_lo, v20, v1, vcc_lo
	s_delay_alu instid0(VALU_DEP_3)
	v_cvt_f64_f32_e32 v[23:24], v17
	s_mov_b64 s[0:1], 0
	global_store_b64 v[25:26], v[23:24], off
	s_cbranch_execz .LBB105_97
; %bb.95:
	v_dual_mov_b32 v17, s1 :: v_dual_mov_b32 v16, s0
	s_branch .LBB105_98
.LBB105_96:
                                        ; implicit-def: $sgpr0_sgpr1
.LBB105_97:
	v_add_co_u32 v23, vcc_lo, v21, v0
	v_add_co_ci_u32_e32 v24, vcc_lo, v22, v1, vcc_lo
	flat_load_b64 v[23:24], v[23:24]
	s_waitcnt vmcnt(0) lgkmcnt(0)
	v_mul_f64 v[23:24], s[10:11], v[23:24]
	s_delay_alu instid0(VALU_DEP_1)
	v_cvt_f32_f64_e32 v17, v[23:24]
	v_add_co_u32 v23, vcc_lo, v19, v0
	v_add_co_ci_u32_e32 v24, vcc_lo, v20, v1, vcc_lo
	v_add_co_u32 v25, vcc_lo, v21, v2
	v_add_co_ci_u32_e32 v26, vcc_lo, v22, v3, vcc_lo
	v_min_f32_e32 v16, v17, v16
	s_delay_alu instid0(VALU_DEP_1)
	v_cvt_f64_f32_e32 v[16:17], v16
	global_store_b64 v[23:24], v[16:17], off
	flat_load_b64 v[16:17], v[25:26]
	s_waitcnt vmcnt(0) lgkmcnt(0)
	v_mul_f64 v[16:17], s[10:11], v[16:17]
.LBB105_98:
	s_delay_alu instid0(VALU_DEP_1) | instskip(SKIP_4) | instid1(VALU_DEP_3)
	v_cvt_f32_f64_e32 v16, v[16:17]
	v_max_f32_e32 v17, v113, v113
	v_add_co_u32 v25, vcc_lo, v19, v2
	v_add_co_ci_u32_e32 v26, vcc_lo, v20, v3, vcc_lo
	s_mov_b32 vcc_lo, s2
	v_min_f32_e32 v16, v16, v17
	s_delay_alu instid0(VALU_DEP_1)
	v_cvt_f64_f32_e32 v[23:24], v16
	v_max_f32_e32 v16, v112, v112
	global_store_b64 v[25:26], v[23:24], off
	s_cbranch_vccz .LBB105_101
; %bb.99:
	v_min_f32_e32 v17, 0, v16
	v_add_co_u32 v25, vcc_lo, v19, v4
	v_add_co_ci_u32_e32 v26, vcc_lo, v20, v5, vcc_lo
	s_delay_alu instid0(VALU_DEP_3)
	v_cvt_f64_f32_e32 v[23:24], v17
	s_mov_b64 s[0:1], 0
	global_store_b64 v[25:26], v[23:24], off
	s_cbranch_execz .LBB105_102
; %bb.100:
	v_dual_mov_b32 v17, s1 :: v_dual_mov_b32 v16, s0
	s_branch .LBB105_103
.LBB105_101:
                                        ; implicit-def: $sgpr0_sgpr1
.LBB105_102:
	v_add_co_u32 v23, vcc_lo, v21, v4
	v_add_co_ci_u32_e32 v24, vcc_lo, v22, v5, vcc_lo
	flat_load_b64 v[23:24], v[23:24]
	s_waitcnt vmcnt(0) lgkmcnt(0)
	v_mul_f64 v[23:24], s[10:11], v[23:24]
	s_delay_alu instid0(VALU_DEP_1)
	v_cvt_f32_f64_e32 v17, v[23:24]
	v_add_co_u32 v23, vcc_lo, v19, v4
	v_add_co_ci_u32_e32 v24, vcc_lo, v20, v5, vcc_lo
	v_add_co_u32 v25, vcc_lo, v21, v6
	v_add_co_ci_u32_e32 v26, vcc_lo, v22, v7, vcc_lo
	v_min_f32_e32 v16, v17, v16
	s_delay_alu instid0(VALU_DEP_1)
	v_cvt_f64_f32_e32 v[16:17], v16
	global_store_b64 v[23:24], v[16:17], off
	flat_load_b64 v[16:17], v[25:26]
	s_waitcnt vmcnt(0) lgkmcnt(0)
	v_mul_f64 v[16:17], s[10:11], v[16:17]
.LBB105_103:
	s_delay_alu instid0(VALU_DEP_1) | instskip(SKIP_4) | instid1(VALU_DEP_3)
	v_cvt_f32_f64_e32 v16, v[16:17]
	v_max_f32_e32 v17, v105, v105
	v_add_co_u32 v25, vcc_lo, v19, v6
	v_add_co_ci_u32_e32 v26, vcc_lo, v20, v7, vcc_lo
	s_mov_b32 vcc_lo, s2
	v_min_f32_e32 v16, v16, v17
	s_delay_alu instid0(VALU_DEP_1)
	v_cvt_f64_f32_e32 v[23:24], v16
	v_max_f32_e32 v16, v104, v104
	;; [unrolled: 46-line block ×3, first 2 shown]
	global_store_b64 v[25:26], v[23:24], off
	s_cbranch_vccz .LBB105_111
; %bb.109:
	v_min_f32_e32 v17, 0, v16
	v_add_co_u32 v25, vcc_lo, v19, v12
	v_add_co_ci_u32_e32 v26, vcc_lo, v20, v13, vcc_lo
	s_delay_alu instid0(VALU_DEP_3)
	v_cvt_f64_f32_e32 v[23:24], v17
	s_mov_b64 s[0:1], 0
	global_store_b64 v[25:26], v[23:24], off
	s_cbranch_execz .LBB105_112
; %bb.110:
	v_dual_mov_b32 v17, s1 :: v_dual_mov_b32 v16, s0
	s_branch .LBB105_113
.LBB105_111:
                                        ; implicit-def: $sgpr0_sgpr1
.LBB105_112:
	v_add_co_u32 v23, vcc_lo, v21, v12
	v_add_co_ci_u32_e32 v24, vcc_lo, v22, v13, vcc_lo
	flat_load_b64 v[23:24], v[23:24]
	s_waitcnt vmcnt(0) lgkmcnt(0)
	v_mul_f64 v[23:24], s[10:11], v[23:24]
	s_delay_alu instid0(VALU_DEP_1)
	v_cvt_f32_f64_e32 v17, v[23:24]
	v_add_co_u32 v23, vcc_lo, v19, v12
	v_add_co_ci_u32_e32 v24, vcc_lo, v20, v13, vcc_lo
	v_add_co_u32 v21, vcc_lo, v21, v14
	v_add_co_ci_u32_e32 v22, vcc_lo, v22, v15, vcc_lo
	v_min_f32_e32 v16, v17, v16
	s_delay_alu instid0(VALU_DEP_1)
	v_cvt_f64_f32_e32 v[16:17], v16
	global_store_b64 v[23:24], v[16:17], off
	flat_load_b64 v[16:17], v[21:22]
	s_waitcnt vmcnt(0) lgkmcnt(0)
	v_mul_f64 v[16:17], s[10:11], v[16:17]
.LBB105_113:
	s_delay_alu instid0(VALU_DEP_1) | instskip(SKIP_4) | instid1(VALU_DEP_1)
	v_cvt_f32_f64_e32 v16, v[16:17]
	v_max_f32_e32 v17, v109, v109
	v_add_co_u32 v27, vcc_lo, v19, v14
	v_add_co_ci_u32_e32 v28, vcc_lo, v20, v15, vcc_lo
	v_add_nc_u32_e32 v25, 24, v18
	v_mad_i64_i32 v[21:22], null, v25, s3, 0
	s_delay_alu instid0(VALU_DEP_1) | instskip(SKIP_1) | instid1(VALU_DEP_1)
	v_lshlrev_b64 v[21:22], 3, v[21:22]
	v_min_f32_e32 v16, v16, v17
	v_cvt_f64_f32_e32 v[23:24], v16
	v_mad_i64_i32 v[16:17], null, v25, s12, 0
	s_delay_alu instid0(VALU_DEP_1) | instskip(SKIP_1) | instid1(VALU_DEP_2)
	v_lshlrev_b64 v[25:26], 3, v[16:17]
	v_max_f32_e32 v16, v108, v108
	v_add_co_u32 v19, vcc_lo, s4, v25
	s_delay_alu instid0(VALU_DEP_3)
	v_add_co_ci_u32_e32 v20, vcc_lo, s5, v26, vcc_lo
	v_add_co_u32 v21, vcc_lo, s8, v21
	v_add_co_ci_u32_e32 v22, vcc_lo, s9, v22, vcc_lo
	s_mov_b32 vcc_lo, s2
	global_store_b64 v[27:28], v[23:24], off
	s_cbranch_vccz .LBB105_116
; %bb.114:
	v_min_f32_e32 v17, 0, v16
	v_add_co_u32 v25, vcc_lo, v19, v0
	v_add_co_ci_u32_e32 v26, vcc_lo, v20, v1, vcc_lo
	s_delay_alu instid0(VALU_DEP_3)
	v_cvt_f64_f32_e32 v[23:24], v17
	s_mov_b64 s[0:1], 0
	global_store_b64 v[25:26], v[23:24], off
	s_cbranch_execz .LBB105_117
; %bb.115:
	v_dual_mov_b32 v17, s1 :: v_dual_mov_b32 v16, s0
	s_branch .LBB105_118
.LBB105_116:
                                        ; implicit-def: $sgpr0_sgpr1
.LBB105_117:
	v_add_co_u32 v23, vcc_lo, v21, v0
	v_add_co_ci_u32_e32 v24, vcc_lo, v22, v1, vcc_lo
	flat_load_b64 v[23:24], v[23:24]
	s_waitcnt vmcnt(0) lgkmcnt(0)
	v_mul_f64 v[23:24], s[10:11], v[23:24]
	s_delay_alu instid0(VALU_DEP_1)
	v_cvt_f32_f64_e32 v17, v[23:24]
	v_add_co_u32 v23, vcc_lo, v19, v0
	v_add_co_ci_u32_e32 v24, vcc_lo, v20, v1, vcc_lo
	v_add_co_u32 v25, vcc_lo, v21, v2
	v_add_co_ci_u32_e32 v26, vcc_lo, v22, v3, vcc_lo
	v_min_f32_e32 v16, v17, v16
	s_delay_alu instid0(VALU_DEP_1)
	v_cvt_f64_f32_e32 v[16:17], v16
	global_store_b64 v[23:24], v[16:17], off
	flat_load_b64 v[16:17], v[25:26]
	s_waitcnt vmcnt(0) lgkmcnt(0)
	v_mul_f64 v[16:17], s[10:11], v[16:17]
.LBB105_118:
	s_delay_alu instid0(VALU_DEP_1) | instskip(SKIP_4) | instid1(VALU_DEP_3)
	v_cvt_f32_f64_e32 v16, v[16:17]
	v_max_f32_e32 v17, v103, v103
	v_add_co_u32 v25, vcc_lo, v19, v2
	v_add_co_ci_u32_e32 v26, vcc_lo, v20, v3, vcc_lo
	s_mov_b32 vcc_lo, s2
	v_min_f32_e32 v16, v16, v17
	s_delay_alu instid0(VALU_DEP_1)
	v_cvt_f64_f32_e32 v[23:24], v16
	v_max_f32_e32 v16, v111, v111
	global_store_b64 v[25:26], v[23:24], off
	s_cbranch_vccz .LBB105_121
; %bb.119:
	v_min_f32_e32 v17, 0, v16
	v_add_co_u32 v25, vcc_lo, v19, v4
	v_add_co_ci_u32_e32 v26, vcc_lo, v20, v5, vcc_lo
	s_delay_alu instid0(VALU_DEP_3)
	v_cvt_f64_f32_e32 v[23:24], v17
	s_mov_b64 s[0:1], 0
	global_store_b64 v[25:26], v[23:24], off
	s_cbranch_execz .LBB105_122
; %bb.120:
	v_dual_mov_b32 v17, s1 :: v_dual_mov_b32 v16, s0
	s_branch .LBB105_123
.LBB105_121:
                                        ; implicit-def: $sgpr0_sgpr1
.LBB105_122:
	v_add_co_u32 v23, vcc_lo, v21, v4
	v_add_co_ci_u32_e32 v24, vcc_lo, v22, v5, vcc_lo
	flat_load_b64 v[23:24], v[23:24]
	s_waitcnt vmcnt(0) lgkmcnt(0)
	v_mul_f64 v[23:24], s[10:11], v[23:24]
	s_delay_alu instid0(VALU_DEP_1)
	v_cvt_f32_f64_e32 v17, v[23:24]
	v_add_co_u32 v23, vcc_lo, v19, v4
	v_add_co_ci_u32_e32 v24, vcc_lo, v20, v5, vcc_lo
	v_add_co_u32 v25, vcc_lo, v21, v6
	v_add_co_ci_u32_e32 v26, vcc_lo, v22, v7, vcc_lo
	v_min_f32_e32 v16, v17, v16
	s_delay_alu instid0(VALU_DEP_1)
	v_cvt_f64_f32_e32 v[16:17], v16
	global_store_b64 v[23:24], v[16:17], off
	flat_load_b64 v[16:17], v[25:26]
	s_waitcnt vmcnt(0) lgkmcnt(0)
	v_mul_f64 v[16:17], s[10:11], v[16:17]
.LBB105_123:
	s_delay_alu instid0(VALU_DEP_1) | instskip(SKIP_4) | instid1(VALU_DEP_3)
	v_cvt_f32_f64_e32 v16, v[16:17]
	v_max_f32_e32 v17, v107, v107
	v_add_co_u32 v25, vcc_lo, v19, v6
	v_add_co_ci_u32_e32 v26, vcc_lo, v20, v7, vcc_lo
	s_mov_b32 vcc_lo, s2
	v_min_f32_e32 v16, v16, v17
	s_delay_alu instid0(VALU_DEP_1)
	v_cvt_f64_f32_e32 v[23:24], v16
	v_max_f32_e32 v16, v106, v106
	;; [unrolled: 46-line block ×3, first 2 shown]
	global_store_b64 v[25:26], v[23:24], off
	s_cbranch_vccz .LBB105_131
; %bb.129:
	v_min_f32_e32 v17, 0, v16
	v_add_co_u32 v25, vcc_lo, v19, v12
	v_add_co_ci_u32_e32 v26, vcc_lo, v20, v13, vcc_lo
	s_delay_alu instid0(VALU_DEP_3)
	v_cvt_f64_f32_e32 v[23:24], v17
	s_mov_b64 s[0:1], 0
	global_store_b64 v[25:26], v[23:24], off
	s_cbranch_execz .LBB105_132
; %bb.130:
	v_dual_mov_b32 v17, s1 :: v_dual_mov_b32 v16, s0
	s_branch .LBB105_133
.LBB105_131:
                                        ; implicit-def: $sgpr0_sgpr1
.LBB105_132:
	v_add_co_u32 v23, vcc_lo, v21, v12
	v_add_co_ci_u32_e32 v24, vcc_lo, v22, v13, vcc_lo
	flat_load_b64 v[23:24], v[23:24]
	s_waitcnt vmcnt(0) lgkmcnt(0)
	v_mul_f64 v[23:24], s[10:11], v[23:24]
	s_delay_alu instid0(VALU_DEP_1)
	v_cvt_f32_f64_e32 v17, v[23:24]
	v_add_co_u32 v23, vcc_lo, v19, v12
	v_add_co_ci_u32_e32 v24, vcc_lo, v20, v13, vcc_lo
	v_add_co_u32 v21, vcc_lo, v21, v14
	v_add_co_ci_u32_e32 v22, vcc_lo, v22, v15, vcc_lo
	v_min_f32_e32 v16, v17, v16
	s_delay_alu instid0(VALU_DEP_1)
	v_cvt_f64_f32_e32 v[16:17], v16
	global_store_b64 v[23:24], v[16:17], off
	flat_load_b64 v[16:17], v[21:22]
	s_waitcnt vmcnt(0) lgkmcnt(0)
	v_mul_f64 v[16:17], s[10:11], v[16:17]
.LBB105_133:
	s_delay_alu instid0(VALU_DEP_1) | instskip(SKIP_4) | instid1(VALU_DEP_1)
	v_cvt_f32_f64_e32 v16, v[16:17]
	v_max_f32_e32 v17, v239, v239
	v_add_co_u32 v27, vcc_lo, v19, v14
	v_add_co_ci_u32_e32 v28, vcc_lo, v20, v15, vcc_lo
	v_add_nc_u32_e32 v25, 32, v18
	v_mad_i64_i32 v[21:22], null, v25, s3, 0
	s_delay_alu instid0(VALU_DEP_1) | instskip(SKIP_1) | instid1(VALU_DEP_1)
	v_lshlrev_b64 v[21:22], 3, v[21:22]
	v_min_f32_e32 v16, v16, v17
	v_cvt_f64_f32_e32 v[23:24], v16
	v_mad_i64_i32 v[16:17], null, v25, s12, 0
	s_delay_alu instid0(VALU_DEP_1) | instskip(SKIP_1) | instid1(VALU_DEP_2)
	v_lshlrev_b64 v[25:26], 3, v[16:17]
	v_max_f32_e32 v16, v42, v42
	v_add_co_u32 v19, vcc_lo, s4, v25
	s_delay_alu instid0(VALU_DEP_3)
	v_add_co_ci_u32_e32 v20, vcc_lo, s5, v26, vcc_lo
	v_add_co_u32 v21, vcc_lo, s8, v21
	v_add_co_ci_u32_e32 v22, vcc_lo, s9, v22, vcc_lo
	s_mov_b32 vcc_lo, s2
	global_store_b64 v[27:28], v[23:24], off
	s_cbranch_vccz .LBB105_136
; %bb.134:
	v_min_f32_e32 v17, 0, v16
	v_add_co_u32 v25, vcc_lo, v19, v0
	v_add_co_ci_u32_e32 v26, vcc_lo, v20, v1, vcc_lo
	s_delay_alu instid0(VALU_DEP_3)
	v_cvt_f64_f32_e32 v[23:24], v17
	s_mov_b64 s[0:1], 0
	global_store_b64 v[25:26], v[23:24], off
	s_cbranch_execz .LBB105_137
; %bb.135:
	v_dual_mov_b32 v17, s1 :: v_dual_mov_b32 v16, s0
	s_branch .LBB105_138
.LBB105_136:
                                        ; implicit-def: $sgpr0_sgpr1
.LBB105_137:
	v_add_co_u32 v23, vcc_lo, v21, v0
	v_add_co_ci_u32_e32 v24, vcc_lo, v22, v1, vcc_lo
	flat_load_b64 v[23:24], v[23:24]
	s_waitcnt vmcnt(0) lgkmcnt(0)
	v_mul_f64 v[23:24], s[10:11], v[23:24]
	s_delay_alu instid0(VALU_DEP_1)
	v_cvt_f32_f64_e32 v17, v[23:24]
	v_add_co_u32 v23, vcc_lo, v19, v0
	v_add_co_ci_u32_e32 v24, vcc_lo, v20, v1, vcc_lo
	v_add_co_u32 v25, vcc_lo, v21, v2
	v_add_co_ci_u32_e32 v26, vcc_lo, v22, v3, vcc_lo
	v_min_f32_e32 v16, v17, v16
	s_delay_alu instid0(VALU_DEP_1)
	v_cvt_f64_f32_e32 v[16:17], v16
	global_store_b64 v[23:24], v[16:17], off
	flat_load_b64 v[16:17], v[25:26]
	s_waitcnt vmcnt(0) lgkmcnt(0)
	v_mul_f64 v[16:17], s[10:11], v[16:17]
.LBB105_138:
	s_delay_alu instid0(VALU_DEP_1) | instskip(SKIP_4) | instid1(VALU_DEP_3)
	v_cvt_f32_f64_e32 v16, v[16:17]
	v_max_f32_e32 v17, v61, v61
	v_add_co_u32 v25, vcc_lo, v19, v2
	v_add_co_ci_u32_e32 v26, vcc_lo, v20, v3, vcc_lo
	s_mov_b32 vcc_lo, s2
	v_min_f32_e32 v16, v16, v17
	s_delay_alu instid0(VALU_DEP_1)
	v_cvt_f64_f32_e32 v[23:24], v16
	v_max_f32_e32 v16, v41, v41
	global_store_b64 v[25:26], v[23:24], off
	s_cbranch_vccz .LBB105_141
; %bb.139:
	v_min_f32_e32 v17, 0, v16
	v_add_co_u32 v25, vcc_lo, v19, v4
	v_add_co_ci_u32_e32 v26, vcc_lo, v20, v5, vcc_lo
	s_delay_alu instid0(VALU_DEP_3)
	v_cvt_f64_f32_e32 v[23:24], v17
	s_mov_b64 s[0:1], 0
	global_store_b64 v[25:26], v[23:24], off
	s_cbranch_execz .LBB105_142
; %bb.140:
	v_dual_mov_b32 v17, s1 :: v_dual_mov_b32 v16, s0
	s_branch .LBB105_143
.LBB105_141:
                                        ; implicit-def: $sgpr0_sgpr1
.LBB105_142:
	v_add_co_u32 v23, vcc_lo, v21, v4
	v_add_co_ci_u32_e32 v24, vcc_lo, v22, v5, vcc_lo
	flat_load_b64 v[23:24], v[23:24]
	s_waitcnt vmcnt(0) lgkmcnt(0)
	v_mul_f64 v[23:24], s[10:11], v[23:24]
	s_delay_alu instid0(VALU_DEP_1)
	v_cvt_f32_f64_e32 v17, v[23:24]
	v_add_co_u32 v23, vcc_lo, v19, v4
	v_add_co_ci_u32_e32 v24, vcc_lo, v20, v5, vcc_lo
	v_add_co_u32 v25, vcc_lo, v21, v6
	v_add_co_ci_u32_e32 v26, vcc_lo, v22, v7, vcc_lo
	v_min_f32_e32 v16, v17, v16
	s_delay_alu instid0(VALU_DEP_1)
	v_cvt_f64_f32_e32 v[16:17], v16
	global_store_b64 v[23:24], v[16:17], off
	flat_load_b64 v[16:17], v[25:26]
	s_waitcnt vmcnt(0) lgkmcnt(0)
	v_mul_f64 v[16:17], s[10:11], v[16:17]
.LBB105_143:
	s_delay_alu instid0(VALU_DEP_1) | instskip(SKIP_4) | instid1(VALU_DEP_3)
	v_cvt_f32_f64_e32 v16, v[16:17]
	v_max_f32_e32 v17, v56, v56
	v_add_co_u32 v25, vcc_lo, v19, v6
	v_add_co_ci_u32_e32 v26, vcc_lo, v20, v7, vcc_lo
	s_mov_b32 vcc_lo, s2
	v_min_f32_e32 v16, v16, v17
	s_delay_alu instid0(VALU_DEP_1)
	v_cvt_f64_f32_e32 v[23:24], v16
	v_max_f32_e32 v16, v39, v39
	;; [unrolled: 46-line block ×3, first 2 shown]
	global_store_b64 v[25:26], v[23:24], off
	s_cbranch_vccz .LBB105_151
; %bb.149:
	v_min_f32_e32 v17, 0, v16
	v_add_co_u32 v25, vcc_lo, v19, v12
	v_add_co_ci_u32_e32 v26, vcc_lo, v20, v13, vcc_lo
	s_delay_alu instid0(VALU_DEP_3)
	v_cvt_f64_f32_e32 v[23:24], v17
	s_mov_b64 s[0:1], 0
	global_store_b64 v[25:26], v[23:24], off
	s_cbranch_execz .LBB105_152
; %bb.150:
	v_dual_mov_b32 v17, s1 :: v_dual_mov_b32 v16, s0
	s_branch .LBB105_153
.LBB105_151:
                                        ; implicit-def: $sgpr0_sgpr1
.LBB105_152:
	v_add_co_u32 v23, vcc_lo, v21, v12
	v_add_co_ci_u32_e32 v24, vcc_lo, v22, v13, vcc_lo
	flat_load_b64 v[23:24], v[23:24]
	s_waitcnt vmcnt(0) lgkmcnt(0)
	v_mul_f64 v[23:24], s[10:11], v[23:24]
	s_delay_alu instid0(VALU_DEP_1)
	v_cvt_f32_f64_e32 v17, v[23:24]
	v_add_co_u32 v23, vcc_lo, v19, v12
	v_add_co_ci_u32_e32 v24, vcc_lo, v20, v13, vcc_lo
	v_add_co_u32 v21, vcc_lo, v21, v14
	v_add_co_ci_u32_e32 v22, vcc_lo, v22, v15, vcc_lo
	v_min_f32_e32 v16, v17, v16
	s_delay_alu instid0(VALU_DEP_1)
	v_cvt_f64_f32_e32 v[16:17], v16
	global_store_b64 v[23:24], v[16:17], off
	flat_load_b64 v[16:17], v[21:22]
	s_waitcnt vmcnt(0) lgkmcnt(0)
	v_mul_f64 v[16:17], s[10:11], v[16:17]
.LBB105_153:
	s_delay_alu instid0(VALU_DEP_1) | instskip(SKIP_4) | instid1(VALU_DEP_1)
	v_cvt_f32_f64_e32 v16, v[16:17]
	v_max_f32_e32 v17, v36, v36
	v_add_co_u32 v27, vcc_lo, v19, v14
	v_add_co_ci_u32_e32 v28, vcc_lo, v20, v15, vcc_lo
	v_add_nc_u32_e32 v25, 40, v18
	v_mad_i64_i32 v[21:22], null, v25, s3, 0
	s_delay_alu instid0(VALU_DEP_1) | instskip(SKIP_1) | instid1(VALU_DEP_1)
	v_lshlrev_b64 v[21:22], 3, v[21:22]
	v_min_f32_e32 v16, v16, v17
	v_cvt_f64_f32_e32 v[23:24], v16
	v_mad_i64_i32 v[16:17], null, v25, s12, 0
	s_delay_alu instid0(VALU_DEP_1) | instskip(SKIP_1) | instid1(VALU_DEP_2)
	v_lshlrev_b64 v[25:26], 3, v[16:17]
	v_max_f32_e32 v16, v50, v50
	v_add_co_u32 v19, vcc_lo, s4, v25
	s_delay_alu instid0(VALU_DEP_3)
	v_add_co_ci_u32_e32 v20, vcc_lo, s5, v26, vcc_lo
	v_add_co_u32 v21, vcc_lo, s8, v21
	v_add_co_ci_u32_e32 v22, vcc_lo, s9, v22, vcc_lo
	s_mov_b32 vcc_lo, s2
	global_store_b64 v[27:28], v[23:24], off
	s_cbranch_vccz .LBB105_156
; %bb.154:
	v_min_f32_e32 v17, 0, v16
	v_add_co_u32 v25, vcc_lo, v19, v0
	v_add_co_ci_u32_e32 v26, vcc_lo, v20, v1, vcc_lo
	s_delay_alu instid0(VALU_DEP_3)
	v_cvt_f64_f32_e32 v[23:24], v17
	s_mov_b64 s[0:1], 0
	global_store_b64 v[25:26], v[23:24], off
	s_cbranch_execz .LBB105_157
; %bb.155:
	v_dual_mov_b32 v17, s1 :: v_dual_mov_b32 v16, s0
	s_branch .LBB105_158
.LBB105_156:
                                        ; implicit-def: $sgpr0_sgpr1
.LBB105_157:
	v_add_co_u32 v23, vcc_lo, v21, v0
	v_add_co_ci_u32_e32 v24, vcc_lo, v22, v1, vcc_lo
	flat_load_b64 v[23:24], v[23:24]
	s_waitcnt vmcnt(0) lgkmcnt(0)
	v_mul_f64 v[23:24], s[10:11], v[23:24]
	s_delay_alu instid0(VALU_DEP_1)
	v_cvt_f32_f64_e32 v17, v[23:24]
	v_add_co_u32 v23, vcc_lo, v19, v0
	v_add_co_ci_u32_e32 v24, vcc_lo, v20, v1, vcc_lo
	v_add_co_u32 v25, vcc_lo, v21, v2
	v_add_co_ci_u32_e32 v26, vcc_lo, v22, v3, vcc_lo
	v_min_f32_e32 v16, v17, v16
	s_delay_alu instid0(VALU_DEP_1)
	v_cvt_f64_f32_e32 v[16:17], v16
	global_store_b64 v[23:24], v[16:17], off
	flat_load_b64 v[16:17], v[25:26]
	s_waitcnt vmcnt(0) lgkmcnt(0)
	v_mul_f64 v[16:17], s[10:11], v[16:17]
.LBB105_158:
	s_delay_alu instid0(VALU_DEP_1) | instskip(SKIP_4) | instid1(VALU_DEP_3)
	v_cvt_f32_f64_e32 v16, v[16:17]
	v_max_f32_e32 v17, v34, v34
	v_add_co_u32 v25, vcc_lo, v19, v2
	v_add_co_ci_u32_e32 v26, vcc_lo, v20, v3, vcc_lo
	s_mov_b32 vcc_lo, s2
	v_min_f32_e32 v16, v16, v17
	s_delay_alu instid0(VALU_DEP_1)
	v_cvt_f64_f32_e32 v[23:24], v16
	v_max_f32_e32 v16, v52, v52
	global_store_b64 v[25:26], v[23:24], off
	s_cbranch_vccz .LBB105_161
; %bb.159:
	v_min_f32_e32 v17, 0, v16
	v_add_co_u32 v25, vcc_lo, v19, v4
	v_add_co_ci_u32_e32 v26, vcc_lo, v20, v5, vcc_lo
	s_delay_alu instid0(VALU_DEP_3)
	v_cvt_f64_f32_e32 v[23:24], v17
	s_mov_b32 s0, 0
	global_store_b64 v[25:26], v[23:24], off
	s_cbranch_execz .LBB105_162
; %bb.160:
	v_mov_b32_e32 v16, s0
	s_branch .LBB105_163
.LBB105_161:
	s_mov_b32 s0, -1
.LBB105_162:
	v_add_co_u32 v23, vcc_lo, v21, v4
	v_add_co_ci_u32_e32 v24, vcc_lo, v22, v5, vcc_lo
	flat_load_b64 v[23:24], v[23:24]
	s_waitcnt vmcnt(0) lgkmcnt(0)
	v_mul_f64 v[23:24], s[10:11], v[23:24]
	s_delay_alu instid0(VALU_DEP_1)
	v_cvt_f32_f64_e32 v17, v[23:24]
	v_add_co_u32 v23, vcc_lo, v19, v4
	v_add_co_ci_u32_e32 v24, vcc_lo, v20, v5, vcc_lo
	v_add_co_u32 v25, vcc_lo, v21, v6
	v_add_co_ci_u32_e32 v26, vcc_lo, v22, v7, vcc_lo
	v_min_f32_e32 v16, v17, v16
	s_delay_alu instid0(VALU_DEP_1) | instskip(SKIP_4) | instid1(VALU_DEP_1)
	v_cvt_f64_f32_e32 v[16:17], v16
	global_store_b64 v[23:24], v[16:17], off
	flat_load_b64 v[16:17], v[25:26]
	s_waitcnt vmcnt(0) lgkmcnt(0)
	v_mul_f64 v[16:17], s[10:11], v[16:17]
	v_cvt_f32_f64_e32 v16, v[16:17]
.LBB105_163:
	s_delay_alu instid0(VALU_DEP_1) | instskip(SKIP_2) | instid1(VALU_DEP_3)
	v_dual_max_f32 v17, v213, v213 :: v_dual_max_f32 v16, v16, v16
	v_add_co_u32 v25, vcc_lo, v19, v6
	v_add_co_ci_u32_e32 v26, vcc_lo, v20, v7, vcc_lo
	v_min_f32_e32 v16, v16, v17
	s_mov_b32 vcc_lo, s2
	s_delay_alu instid0(VALU_DEP_1)
	v_cvt_f64_f32_e32 v[23:24], v16
	v_max_f32_e32 v16, v216, v216
	global_store_b64 v[25:26], v[23:24], off
	s_cbranch_vccz .LBB105_166
; %bb.164:
	v_min_f32_e32 v17, 0, v16
	v_add_co_u32 v25, vcc_lo, v19, v8
	v_add_co_ci_u32_e32 v26, vcc_lo, v20, v9, vcc_lo
	s_delay_alu instid0(VALU_DEP_3)
	v_cvt_f64_f32_e32 v[23:24], v17
	s_mov_b32 s0, 0
	global_store_b64 v[25:26], v[23:24], off
	s_cbranch_execz .LBB105_167
; %bb.165:
	v_mov_b32_e32 v16, s0
	s_branch .LBB105_168
.LBB105_166:
	s_mov_b32 s0, -1
.LBB105_167:
	v_add_co_u32 v23, vcc_lo, v21, v8
	v_add_co_ci_u32_e32 v24, vcc_lo, v22, v9, vcc_lo
	flat_load_b64 v[23:24], v[23:24]
	s_waitcnt vmcnt(0) lgkmcnt(0)
	v_mul_f64 v[23:24], s[10:11], v[23:24]
	s_delay_alu instid0(VALU_DEP_1)
	v_cvt_f32_f64_e32 v17, v[23:24]
	v_add_co_u32 v23, vcc_lo, v19, v8
	v_add_co_ci_u32_e32 v24, vcc_lo, v20, v9, vcc_lo
	v_add_co_u32 v25, vcc_lo, v21, v10
	v_add_co_ci_u32_e32 v26, vcc_lo, v22, v11, vcc_lo
	v_min_f32_e32 v16, v17, v16
	s_delay_alu instid0(VALU_DEP_1) | instskip(SKIP_4) | instid1(VALU_DEP_1)
	v_cvt_f64_f32_e32 v[16:17], v16
	global_store_b64 v[23:24], v[16:17], off
	flat_load_b64 v[16:17], v[25:26]
	s_waitcnt vmcnt(0) lgkmcnt(0)
	v_mul_f64 v[16:17], s[10:11], v[16:17]
	v_cvt_f32_f64_e32 v16, v[16:17]
.LBB105_168:
	s_delay_alu instid0(VALU_DEP_1) | instskip(SKIP_2) | instid1(VALU_DEP_3)
	v_dual_max_f32 v17, v46, v46 :: v_dual_max_f32 v16, v16, v16
	v_add_co_u32 v25, vcc_lo, v19, v10
	v_add_co_ci_u32_e32 v26, vcc_lo, v20, v11, vcc_lo
	v_min_f32_e32 v16, v16, v17
	s_mov_b32 vcc_lo, s2
	s_delay_alu instid0(VALU_DEP_1)
	v_cvt_f64_f32_e32 v[23:24], v16
	v_max_f32_e32 v16, v214, v214
	global_store_b64 v[25:26], v[23:24], off
	s_cbranch_vccz .LBB105_171
; %bb.169:
	v_min_f32_e32 v17, 0, v16
	v_add_co_u32 v25, vcc_lo, v19, v12
	v_add_co_ci_u32_e32 v26, vcc_lo, v20, v13, vcc_lo
	s_delay_alu instid0(VALU_DEP_3)
	v_cvt_f64_f32_e32 v[23:24], v17
	s_mov_b32 s0, 0
	global_store_b64 v[25:26], v[23:24], off
	s_cbranch_execz .LBB105_172
; %bb.170:
	v_mov_b32_e32 v16, s0
	s_branch .LBB105_173
.LBB105_171:
	s_mov_b32 s0, -1
.LBB105_172:
	v_add_co_u32 v23, vcc_lo, v21, v12
	v_add_co_ci_u32_e32 v24, vcc_lo, v22, v13, vcc_lo
	flat_load_b64 v[23:24], v[23:24]
	s_waitcnt vmcnt(0) lgkmcnt(0)
	v_mul_f64 v[23:24], s[10:11], v[23:24]
	s_delay_alu instid0(VALU_DEP_1)
	v_cvt_f32_f64_e32 v17, v[23:24]
	v_add_co_u32 v23, vcc_lo, v19, v12
	v_add_co_ci_u32_e32 v24, vcc_lo, v20, v13, vcc_lo
	v_add_co_u32 v21, vcc_lo, v21, v14
	v_add_co_ci_u32_e32 v22, vcc_lo, v22, v15, vcc_lo
	v_min_f32_e32 v16, v17, v16
	s_delay_alu instid0(VALU_DEP_1) | instskip(SKIP_4) | instid1(VALU_DEP_1)
	v_cvt_f64_f32_e32 v[16:17], v16
	global_store_b64 v[23:24], v[16:17], off
	flat_load_b64 v[16:17], v[21:22]
	s_waitcnt vmcnt(0) lgkmcnt(0)
	v_mul_f64 v[16:17], s[10:11], v[16:17]
	v_cvt_f32_f64_e32 v16, v[16:17]
.LBB105_173:
	s_delay_alu instid0(VALU_DEP_1) | instskip(SKIP_2) | instid1(VALU_DEP_3)
	v_dual_max_f32 v17, v206, v206 :: v_dual_max_f32 v16, v16, v16
	v_add_co_u32 v26, vcc_lo, v19, v14
	v_add_co_ci_u32_e32 v27, vcc_lo, v20, v15, vcc_lo
	v_dual_min_f32 v16, v16, v17 :: v_dual_add_nc_u32 v21, 48, v18
	s_delay_alu instid0(VALU_DEP_1) | instskip(NEXT) | instid1(VALU_DEP_2)
	v_cvt_f64_f32_e32 v[22:23], v16
	v_mad_i64_i32 v[16:17], null, v21, s12, 0
	v_mad_i64_i32 v[24:25], null, v21, s3, 0
	v_max_f32_e32 v21, v205, v205
	s_delay_alu instid0(VALU_DEP_3) | instskip(NEXT) | instid1(VALU_DEP_3)
	v_lshlrev_b64 v[16:17], 3, v[16:17]
	v_lshlrev_b64 v[19:20], 3, v[24:25]
	s_delay_alu instid0(VALU_DEP_2) | instskip(NEXT) | instid1(VALU_DEP_3)
	v_add_co_u32 v16, vcc_lo, s4, v16
	v_add_co_ci_u32_e32 v17, vcc_lo, s5, v17, vcc_lo
	s_delay_alu instid0(VALU_DEP_3) | instskip(NEXT) | instid1(VALU_DEP_4)
	v_add_co_u32 v19, vcc_lo, s8, v19
	v_add_co_ci_u32_e32 v20, vcc_lo, s9, v20, vcc_lo
	s_mov_b32 vcc_lo, s2
	global_store_b64 v[26:27], v[22:23], off
	s_cbranch_vccz .LBB105_176
; %bb.174:
	v_min_f32_e32 v22, 0, v21
	v_add_co_u32 v24, vcc_lo, v16, v0
	v_add_co_ci_u32_e32 v25, vcc_lo, v17, v1, vcc_lo
	s_delay_alu instid0(VALU_DEP_3)
	v_cvt_f64_f32_e32 v[22:23], v22
	s_mov_b32 s0, 0
	global_store_b64 v[24:25], v[22:23], off
	s_cbranch_execz .LBB105_177
; %bb.175:
	v_mov_b32_e32 v21, s0
	s_branch .LBB105_178
.LBB105_176:
	s_mov_b32 s0, -1
.LBB105_177:
	v_add_co_u32 v22, vcc_lo, v19, v0
	v_add_co_ci_u32_e32 v23, vcc_lo, v20, v1, vcc_lo
	flat_load_b64 v[22:23], v[22:23]
	s_waitcnt vmcnt(0) lgkmcnt(0)
	v_mul_f64 v[22:23], s[10:11], v[22:23]
	s_delay_alu instid0(VALU_DEP_1)
	v_cvt_f32_f64_e32 v22, v[22:23]
	v_add_co_u32 v23, vcc_lo, v16, v0
	v_add_co_ci_u32_e32 v24, vcc_lo, v17, v1, vcc_lo
	v_add_co_u32 v25, vcc_lo, v19, v2
	v_add_co_ci_u32_e32 v26, vcc_lo, v20, v3, vcc_lo
	v_min_f32_e32 v21, v22, v21
	s_delay_alu instid0(VALU_DEP_1) | instskip(SKIP_4) | instid1(VALU_DEP_1)
	v_cvt_f64_f32_e32 v[21:22], v21
	global_store_b64 v[23:24], v[21:22], off
	flat_load_b64 v[21:22], v[25:26]
	s_waitcnt vmcnt(0) lgkmcnt(0)
	v_mul_f64 v[21:22], s[10:11], v[21:22]
	v_cvt_f32_f64_e32 v21, v[21:22]
.LBB105_178:
	s_delay_alu instid0(VALU_DEP_1) | instskip(SKIP_2) | instid1(VALU_DEP_3)
	v_dual_max_f32 v22, v236, v236 :: v_dual_max_f32 v21, v21, v21
	v_add_co_u32 v24, vcc_lo, v16, v2
	v_add_co_ci_u32_e32 v25, vcc_lo, v17, v3, vcc_lo
	v_min_f32_e32 v21, v21, v22
	s_mov_b32 vcc_lo, s2
	s_delay_alu instid0(VALU_DEP_1)
	v_cvt_f64_f32_e32 v[22:23], v21
	v_max_f32_e32 v21, v134, v134
	global_store_b64 v[24:25], v[22:23], off
	s_cbranch_vccz .LBB105_181
; %bb.179:
	v_min_f32_e32 v22, 0, v21
	v_add_co_u32 v24, vcc_lo, v16, v4
	v_add_co_ci_u32_e32 v25, vcc_lo, v17, v5, vcc_lo
	s_delay_alu instid0(VALU_DEP_3)
	v_cvt_f64_f32_e32 v[22:23], v22
	s_mov_b32 s0, 0
	global_store_b64 v[24:25], v[22:23], off
	s_cbranch_execz .LBB105_182
; %bb.180:
	v_mov_b32_e32 v21, s0
	s_branch .LBB105_183
.LBB105_181:
	s_mov_b32 s0, -1
.LBB105_182:
	v_add_co_u32 v22, vcc_lo, v19, v4
	v_add_co_ci_u32_e32 v23, vcc_lo, v20, v5, vcc_lo
	flat_load_b64 v[22:23], v[22:23]
	s_waitcnt vmcnt(0) lgkmcnt(0)
	v_mul_f64 v[22:23], s[10:11], v[22:23]
	s_delay_alu instid0(VALU_DEP_1)
	v_cvt_f32_f64_e32 v22, v[22:23]
	v_add_co_u32 v23, vcc_lo, v16, v4
	v_add_co_ci_u32_e32 v24, vcc_lo, v17, v5, vcc_lo
	v_add_co_u32 v25, vcc_lo, v19, v6
	v_add_co_ci_u32_e32 v26, vcc_lo, v20, v7, vcc_lo
	v_min_f32_e32 v21, v22, v21
	s_delay_alu instid0(VALU_DEP_1) | instskip(SKIP_4) | instid1(VALU_DEP_1)
	v_cvt_f64_f32_e32 v[21:22], v21
	global_store_b64 v[23:24], v[21:22], off
	flat_load_b64 v[21:22], v[25:26]
	s_waitcnt vmcnt(0) lgkmcnt(0)
	v_mul_f64 v[21:22], s[10:11], v[21:22]
	v_cvt_f32_f64_e32 v21, v[21:22]
.LBB105_183:
	s_delay_alu instid0(VALU_DEP_1) | instskip(SKIP_2) | instid1(VALU_DEP_3)
	v_dual_max_f32 v22, v135, v135 :: v_dual_max_f32 v21, v21, v21
	v_add_co_u32 v24, vcc_lo, v16, v6
	v_add_co_ci_u32_e32 v25, vcc_lo, v17, v7, vcc_lo
	v_min_f32_e32 v21, v21, v22
	s_mov_b32 vcc_lo, s2
	s_delay_alu instid0(VALU_DEP_1)
	v_cvt_f64_f32_e32 v[22:23], v21
	v_max_f32_e32 v21, v197, v197
	;; [unrolled: 46-line block ×3, first 2 shown]
	global_store_b64 v[24:25], v[22:23], off
	s_cbranch_vccz .LBB105_191
; %bb.189:
	v_min_f32_e32 v22, 0, v21
	v_add_co_u32 v24, vcc_lo, v16, v12
	v_add_co_ci_u32_e32 v25, vcc_lo, v17, v13, vcc_lo
	s_delay_alu instid0(VALU_DEP_3)
	v_cvt_f64_f32_e32 v[22:23], v22
	s_mov_b32 s0, 0
	global_store_b64 v[24:25], v[22:23], off
	s_cbranch_execz .LBB105_192
; %bb.190:
	v_mov_b32_e32 v19, s0
	s_branch .LBB105_193
.LBB105_191:
	s_mov_b32 s0, -1
.LBB105_192:
	v_add_co_u32 v22, vcc_lo, v19, v12
	v_add_co_ci_u32_e32 v23, vcc_lo, v20, v13, vcc_lo
	flat_load_b64 v[22:23], v[22:23]
	s_waitcnt vmcnt(0) lgkmcnt(0)
	v_mul_f64 v[22:23], s[10:11], v[22:23]
	s_delay_alu instid0(VALU_DEP_1)
	v_cvt_f32_f64_e32 v22, v[22:23]
	v_add_co_u32 v23, vcc_lo, v16, v12
	v_add_co_ci_u32_e32 v24, vcc_lo, v17, v13, vcc_lo
	v_add_co_u32 v19, vcc_lo, v19, v14
	v_add_co_ci_u32_e32 v20, vcc_lo, v20, v15, vcc_lo
	v_min_f32_e32 v21, v22, v21
	s_delay_alu instid0(VALU_DEP_1) | instskip(SKIP_4) | instid1(VALU_DEP_1)
	v_cvt_f64_f32_e32 v[21:22], v21
	global_store_b64 v[23:24], v[21:22], off
	flat_load_b64 v[19:20], v[19:20]
	s_waitcnt vmcnt(0) lgkmcnt(0)
	v_mul_f64 v[19:20], s[10:11], v[19:20]
	v_cvt_f32_f64_e32 v19, v[19:20]
.LBB105_193:
	v_max_f32_e32 v20, v123, v123
	s_delay_alu instid0(VALU_DEP_2) | instskip(SKIP_2) | instid1(VALU_DEP_3)
	v_max_f32_e32 v19, v19, v19
	v_add_co_u32 v25, vcc_lo, v16, v14
	v_add_co_ci_u32_e32 v26, vcc_lo, v17, v15, vcc_lo
	v_dual_min_f32 v19, v19, v20 :: v_dual_add_nc_u32 v20, 56, v18
	s_delay_alu instid0(VALU_DEP_1) | instskip(NEXT) | instid1(VALU_DEP_2)
	v_cvt_f64_f32_e32 v[21:22], v19
	v_mad_i64_i32 v[18:19], null, v20, s12, 0
	v_mad_i64_i32 v[23:24], null, v20, s3, 0
	v_max_f32_e32 v20, v125, v125
	s_delay_alu instid0(VALU_DEP_3) | instskip(NEXT) | instid1(VALU_DEP_3)
	v_lshlrev_b64 v[18:19], 3, v[18:19]
	v_lshlrev_b64 v[23:24], 3, v[23:24]
	s_delay_alu instid0(VALU_DEP_2) | instskip(NEXT) | instid1(VALU_DEP_3)
	v_add_co_u32 v16, vcc_lo, s4, v18
	v_add_co_ci_u32_e32 v17, vcc_lo, s5, v19, vcc_lo
	s_delay_alu instid0(VALU_DEP_3) | instskip(NEXT) | instid1(VALU_DEP_4)
	v_add_co_u32 v18, vcc_lo, s8, v23
	v_add_co_ci_u32_e32 v19, vcc_lo, s9, v24, vcc_lo
	s_mov_b32 vcc_lo, s2
	global_store_b64 v[25:26], v[21:22], off
	s_cbranch_vccz .LBB105_196
; %bb.194:
	v_min_f32_e32 v21, 0, v20
	v_add_co_u32 v23, vcc_lo, v16, v0
	v_add_co_ci_u32_e32 v24, vcc_lo, v17, v1, vcc_lo
	s_delay_alu instid0(VALU_DEP_3)
	v_cvt_f64_f32_e32 v[21:22], v21
	s_mov_b32 s0, 0
	global_store_b64 v[23:24], v[21:22], off
	s_cbranch_execz .LBB105_197
; %bb.195:
	v_mov_b32_e32 v0, s0
	s_branch .LBB105_198
.LBB105_196:
	s_mov_b32 s0, -1
.LBB105_197:
	v_add_co_u32 v21, vcc_lo, v18, v0
	v_add_co_ci_u32_e32 v22, vcc_lo, v19, v1, vcc_lo
	v_add_co_u32 v0, vcc_lo, v16, v0
	v_add_co_ci_u32_e32 v1, vcc_lo, v17, v1, vcc_lo
	flat_load_b64 v[21:22], v[21:22]
	s_waitcnt vmcnt(0) lgkmcnt(0)
	v_mul_f64 v[21:22], s[10:11], v[21:22]
	s_delay_alu instid0(VALU_DEP_1) | instskip(SKIP_2) | instid1(VALU_DEP_3)
	v_cvt_f32_f64_e32 v21, v[21:22]
	v_add_co_u32 v22, vcc_lo, v18, v2
	v_add_co_ci_u32_e32 v23, vcc_lo, v19, v3, vcc_lo
	v_min_f32_e32 v20, v21, v20
	s_delay_alu instid0(VALU_DEP_1) | instskip(SKIP_4) | instid1(VALU_DEP_1)
	v_cvt_f64_f32_e32 v[20:21], v20
	global_store_b64 v[0:1], v[20:21], off
	flat_load_b64 v[0:1], v[22:23]
	s_waitcnt vmcnt(0) lgkmcnt(0)
	v_mul_f64 v[0:1], s[10:11], v[0:1]
	v_cvt_f32_f64_e32 v0, v[0:1]
.LBB105_198:
	v_max_f32_e32 v1, v124, v124
	s_delay_alu instid0(VALU_DEP_2) | instskip(NEXT) | instid1(VALU_DEP_1)
	v_max_f32_e32 v0, v0, v0
	v_min_f32_e32 v0, v0, v1
	v_add_co_u32 v1, vcc_lo, v16, v2
	v_add_co_ci_u32_e32 v2, vcc_lo, v17, v3, vcc_lo
	s_delay_alu instid0(VALU_DEP_3)
	v_cvt_f64_f32_e32 v[20:21], v0
	scratch_load_b32 v0, off, off offset:4  ; 4-byte Folded Reload
	s_mov_b32 vcc_lo, s2
	global_store_b64 v[1:2], v[20:21], off
	s_waitcnt vmcnt(0)
	v_max_f32_e32 v0, v0, v0
	s_cbranch_vccz .LBB105_201
; %bb.199:
	s_delay_alu instid0(VALU_DEP_1) | instskip(SKIP_2) | instid1(VALU_DEP_3)
	v_min_f32_e32 v1, 0, v0
	v_add_co_u32 v20, vcc_lo, v16, v4
	v_add_co_ci_u32_e32 v21, vcc_lo, v17, v5, vcc_lo
	v_cvt_f64_f32_e32 v[1:2], v1
	s_mov_b32 s0, 0
	global_store_b64 v[20:21], v[1:2], off
	s_cbranch_execz .LBB105_202
; %bb.200:
	v_mov_b32_e32 v0, s0
	s_branch .LBB105_203
.LBB105_201:
	s_mov_b32 s0, -1
.LBB105_202:
	v_add_co_u32 v1, vcc_lo, v18, v4
	v_add_co_ci_u32_e32 v2, vcc_lo, v19, v5, vcc_lo
	flat_load_b64 v[1:2], v[1:2]
	s_waitcnt vmcnt(0) lgkmcnt(0)
	v_mul_f64 v[1:2], s[10:11], v[1:2]
	s_delay_alu instid0(VALU_DEP_1)
	v_cvt_f32_f64_e32 v1, v[1:2]
	v_add_co_u32 v2, vcc_lo, v16, v4
	v_add_co_ci_u32_e32 v3, vcc_lo, v17, v5, vcc_lo
	v_add_co_u32 v4, vcc_lo, v18, v6
	v_add_co_ci_u32_e32 v5, vcc_lo, v19, v7, vcc_lo
	v_min_f32_e32 v0, v1, v0
	s_delay_alu instid0(VALU_DEP_1) | instskip(SKIP_4) | instid1(VALU_DEP_1)
	v_cvt_f64_f32_e32 v[0:1], v0
	global_store_b64 v[2:3], v[0:1], off
	flat_load_b64 v[0:1], v[4:5]
	s_waitcnt vmcnt(0) lgkmcnt(0)
	v_mul_f64 v[0:1], s[10:11], v[0:1]
	v_cvt_f32_f64_e32 v0, v[0:1]
.LBB105_203:
	s_delay_alu instid0(VALU_DEP_1) | instskip(SKIP_2) | instid1(VALU_DEP_3)
	v_dual_max_f32 v1, v122, v122 :: v_dual_max_f32 v0, v0, v0
	v_add_co_u32 v3, vcc_lo, v16, v6
	v_add_co_ci_u32_e32 v4, vcc_lo, v17, v7, vcc_lo
	v_min_f32_e32 v0, v0, v1
	s_mov_b32 vcc_lo, s2
	s_delay_alu instid0(VALU_DEP_1)
	v_cvt_f64_f32_e32 v[1:2], v0
	v_max_f32_e32 v0, v243, v243
	global_store_b64 v[3:4], v[1:2], off
	s_cbranch_vccz .LBB105_206
; %bb.204:
	v_min_f32_e32 v1, 0, v0
	v_add_co_u32 v3, vcc_lo, v16, v8
	v_add_co_ci_u32_e32 v4, vcc_lo, v17, v9, vcc_lo
	s_delay_alu instid0(VALU_DEP_3)
	v_cvt_f64_f32_e32 v[1:2], v1
	s_mov_b32 s0, 0
	global_store_b64 v[3:4], v[1:2], off
	s_cbranch_execz .LBB105_207
; %bb.205:
	v_mov_b32_e32 v0, s0
	s_branch .LBB105_208
.LBB105_206:
	s_mov_b32 s0, -1
.LBB105_207:
	v_add_co_u32 v1, vcc_lo, v18, v8
	v_add_co_ci_u32_e32 v2, vcc_lo, v19, v9, vcc_lo
	flat_load_b64 v[1:2], v[1:2]
	s_waitcnt vmcnt(0) lgkmcnt(0)
	v_mul_f64 v[1:2], s[10:11], v[1:2]
	s_delay_alu instid0(VALU_DEP_1)
	v_cvt_f32_f64_e32 v1, v[1:2]
	v_add_co_u32 v2, vcc_lo, v16, v8
	v_add_co_ci_u32_e32 v3, vcc_lo, v17, v9, vcc_lo
	v_add_co_u32 v4, vcc_lo, v18, v10
	v_add_co_ci_u32_e32 v5, vcc_lo, v19, v11, vcc_lo
	v_min_f32_e32 v0, v1, v0
	s_delay_alu instid0(VALU_DEP_1) | instskip(SKIP_4) | instid1(VALU_DEP_1)
	v_cvt_f64_f32_e32 v[0:1], v0
	global_store_b64 v[2:3], v[0:1], off
	flat_load_b64 v[0:1], v[4:5]
	s_waitcnt vmcnt(0) lgkmcnt(0)
	v_mul_f64 v[0:1], s[10:11], v[0:1]
	v_cvt_f32_f64_e32 v0, v[0:1]
.LBB105_208:
	v_max_f32_e32 v1, v120, v120
	s_delay_alu instid0(VALU_DEP_2) | instskip(SKIP_2) | instid1(VALU_DEP_3)
	v_max_f32_e32 v0, v0, v0
	v_add_co_u32 v3, vcc_lo, v16, v10
	v_add_co_ci_u32_e32 v4, vcc_lo, v17, v11, vcc_lo
	v_min_f32_e32 v0, v0, v1
	s_mov_b32 vcc_lo, s2
	s_delay_alu instid0(VALU_DEP_1)
	v_cvt_f64_f32_e32 v[1:2], v0
	scratch_load_b32 v0, off, off           ; 4-byte Folded Reload
	global_store_b64 v[3:4], v[1:2], off
	s_waitcnt vmcnt(0)
	v_max_f32_e32 v0, v0, v0
	s_cbranch_vccz .LBB105_211
; %bb.209:
	s_delay_alu instid0(VALU_DEP_1) | instskip(SKIP_2) | instid1(VALU_DEP_3)
	v_min_f32_e32 v1, 0, v0
	v_add_co_u32 v3, vcc_lo, v16, v12
	v_add_co_ci_u32_e32 v4, vcc_lo, v17, v13, vcc_lo
	v_cvt_f64_f32_e32 v[1:2], v1
	s_mov_b32 s0, 0
	global_store_b64 v[3:4], v[1:2], off
	s_cbranch_execz .LBB105_212
; %bb.210:
	v_mov_b32_e32 v0, s0
	s_branch .LBB105_213
.LBB105_211:
	s_mov_b32 s0, -1
.LBB105_212:
	v_add_co_u32 v1, vcc_lo, v18, v12
	v_add_co_ci_u32_e32 v2, vcc_lo, v19, v13, vcc_lo
	flat_load_b64 v[1:2], v[1:2]
	s_waitcnt vmcnt(0) lgkmcnt(0)
	v_mul_f64 v[1:2], s[10:11], v[1:2]
	s_delay_alu instid0(VALU_DEP_1)
	v_cvt_f32_f64_e32 v1, v[1:2]
	v_add_co_u32 v2, vcc_lo, v16, v12
	v_add_co_ci_u32_e32 v3, vcc_lo, v17, v13, vcc_lo
	v_add_co_u32 v4, vcc_lo, v18, v14
	v_add_co_ci_u32_e32 v5, vcc_lo, v19, v15, vcc_lo
	v_min_f32_e32 v0, v1, v0
	s_delay_alu instid0(VALU_DEP_1) | instskip(SKIP_4) | instid1(VALU_DEP_1)
	v_cvt_f64_f32_e32 v[0:1], v0
	global_store_b64 v[2:3], v[0:1], off
	flat_load_b64 v[0:1], v[4:5]
	s_waitcnt vmcnt(0) lgkmcnt(0)
	v_mul_f64 v[0:1], s[10:11], v[0:1]
	v_cvt_f32_f64_e32 v0, v[0:1]
.LBB105_213:
	s_delay_alu instid0(VALU_DEP_1) | instskip(SKIP_2) | instid1(VALU_DEP_3)
	v_dual_max_f32 v1, v118, v118 :: v_dual_max_f32 v0, v0, v0
	v_add_co_u32 v2, vcc_lo, v16, v14
	v_add_co_ci_u32_e32 v3, vcc_lo, v17, v15, vcc_lo
	v_min_f32_e32 v0, v0, v1
	s_delay_alu instid0(VALU_DEP_1)
	v_cvt_f64_f32_e32 v[0:1], v0
	global_store_b64 v[2:3], v[0:1], off
	s_endpgm
	.section	.rodata,"a",@progbits
	.p2align	6, 0x0
	.amdhsa_kernel _ZN12_GLOBAL__N_120geam_min_plus_kernelId15HIP_vector_typeIdLj2EEdLi32ELi8ELi256ELi64ELi4ELi64ELi4ELi4ELi64ELc78ELc78ELb0ELb0ELb1EPKdKS4_KPdEEviiiT16_PT17_ilSA_ilS8_SA_ilPT18_ili26rocblas_geam_ex_operation_
		.amdhsa_group_segment_fixed_size 20480
		.amdhsa_private_segment_fixed_size 400
		.amdhsa_kernarg_size 136
		.amdhsa_user_sgpr_count 14
		.amdhsa_user_sgpr_dispatch_ptr 0
		.amdhsa_user_sgpr_queue_ptr 0
		.amdhsa_user_sgpr_kernarg_segment_ptr 1
		.amdhsa_user_sgpr_dispatch_id 0
		.amdhsa_user_sgpr_private_segment_size 0
		.amdhsa_wavefront_size32 1
		.amdhsa_uses_dynamic_stack 0
		.amdhsa_enable_private_segment 1
		.amdhsa_system_sgpr_workgroup_id_x 1
		.amdhsa_system_sgpr_workgroup_id_y 0
		.amdhsa_system_sgpr_workgroup_id_z 1
		.amdhsa_system_sgpr_workgroup_info 0
		.amdhsa_system_vgpr_workitem_id 1
		.amdhsa_next_free_vgpr 256
		.amdhsa_next_free_sgpr 26
		.amdhsa_reserve_vcc 1
		.amdhsa_float_round_mode_32 0
		.amdhsa_float_round_mode_16_64 0
		.amdhsa_float_denorm_mode_32 3
		.amdhsa_float_denorm_mode_16_64 3
		.amdhsa_dx10_clamp 1
		.amdhsa_ieee_mode 1
		.amdhsa_fp16_overflow 0
		.amdhsa_workgroup_processor_mode 1
		.amdhsa_memory_ordered 1
		.amdhsa_forward_progress 0
		.amdhsa_shared_vgpr_count 0
		.amdhsa_exception_fp_ieee_invalid_op 0
		.amdhsa_exception_fp_denorm_src 0
		.amdhsa_exception_fp_ieee_div_zero 0
		.amdhsa_exception_fp_ieee_overflow 0
		.amdhsa_exception_fp_ieee_underflow 0
		.amdhsa_exception_fp_ieee_inexact 0
		.amdhsa_exception_int_div_zero 0
	.end_amdhsa_kernel
	.section	.text._ZN12_GLOBAL__N_120geam_min_plus_kernelId15HIP_vector_typeIdLj2EEdLi32ELi8ELi256ELi64ELi4ELi64ELi4ELi4ELi64ELc78ELc78ELb0ELb0ELb1EPKdKS4_KPdEEviiiT16_PT17_ilSA_ilS8_SA_ilPT18_ili26rocblas_geam_ex_operation_,"axG",@progbits,_ZN12_GLOBAL__N_120geam_min_plus_kernelId15HIP_vector_typeIdLj2EEdLi32ELi8ELi256ELi64ELi4ELi64ELi4ELi4ELi64ELc78ELc78ELb0ELb0ELb1EPKdKS4_KPdEEviiiT16_PT17_ilSA_ilS8_SA_ilPT18_ili26rocblas_geam_ex_operation_,comdat
.Lfunc_end105:
	.size	_ZN12_GLOBAL__N_120geam_min_plus_kernelId15HIP_vector_typeIdLj2EEdLi32ELi8ELi256ELi64ELi4ELi64ELi4ELi4ELi64ELc78ELc78ELb0ELb0ELb1EPKdKS4_KPdEEviiiT16_PT17_ilSA_ilS8_SA_ilPT18_ili26rocblas_geam_ex_operation_, .Lfunc_end105-_ZN12_GLOBAL__N_120geam_min_plus_kernelId15HIP_vector_typeIdLj2EEdLi32ELi8ELi256ELi64ELi4ELi64ELi4ELi4ELi64ELc78ELc78ELb0ELb0ELb1EPKdKS4_KPdEEviiiT16_PT17_ilSA_ilS8_SA_ilPT18_ili26rocblas_geam_ex_operation_
                                        ; -- End function
	.section	.AMDGPU.csdata,"",@progbits
; Kernel info:
; codeLenInByte = 24096
; NumSgprs: 28
; NumVgprs: 256
; ScratchSize: 400
; MemoryBound: 1
; FloatMode: 240
; IeeeMode: 1
; LDSByteSize: 20480 bytes/workgroup (compile time only)
; SGPRBlocks: 3
; VGPRBlocks: 31
; NumSGPRsForWavesPerEU: 28
; NumVGPRsForWavesPerEU: 256
; Occupancy: 5
; WaveLimiterHint : 1
; COMPUTE_PGM_RSRC2:SCRATCH_EN: 1
; COMPUTE_PGM_RSRC2:USER_SGPR: 14
; COMPUTE_PGM_RSRC2:TRAP_HANDLER: 0
; COMPUTE_PGM_RSRC2:TGID_X_EN: 1
; COMPUTE_PGM_RSRC2:TGID_Y_EN: 0
; COMPUTE_PGM_RSRC2:TGID_Z_EN: 1
; COMPUTE_PGM_RSRC2:TIDIG_COMP_CNT: 1
	.section	.text._ZN12_GLOBAL__N_120geam_min_plus_kernelId15HIP_vector_typeIdLj2EEdLi32ELi8ELi256ELi64ELi4ELi64ELi4ELi4ELi64ELc78ELc78ELb1ELb0ELb1EdKPKdKPdEEviiiT16_PT17_ilSA_ilS8_SA_ilPT18_ili26rocblas_geam_ex_operation_,"axG",@progbits,_ZN12_GLOBAL__N_120geam_min_plus_kernelId15HIP_vector_typeIdLj2EEdLi32ELi8ELi256ELi64ELi4ELi64ELi4ELi4ELi64ELc78ELc78ELb1ELb0ELb1EdKPKdKPdEEviiiT16_PT17_ilSA_ilS8_SA_ilPT18_ili26rocblas_geam_ex_operation_,comdat
	.globl	_ZN12_GLOBAL__N_120geam_min_plus_kernelId15HIP_vector_typeIdLj2EEdLi32ELi8ELi256ELi64ELi4ELi64ELi4ELi4ELi64ELc78ELc78ELb1ELb0ELb1EdKPKdKPdEEviiiT16_PT17_ilSA_ilS8_SA_ilPT18_ili26rocblas_geam_ex_operation_ ; -- Begin function _ZN12_GLOBAL__N_120geam_min_plus_kernelId15HIP_vector_typeIdLj2EEdLi32ELi8ELi256ELi64ELi4ELi64ELi4ELi4ELi64ELc78ELc78ELb1ELb0ELb1EdKPKdKPdEEviiiT16_PT17_ilSA_ilS8_SA_ilPT18_ili26rocblas_geam_ex_operation_
	.p2align	8
	.type	_ZN12_GLOBAL__N_120geam_min_plus_kernelId15HIP_vector_typeIdLj2EEdLi32ELi8ELi256ELi64ELi4ELi64ELi4ELi4ELi64ELc78ELc78ELb1ELb0ELb1EdKPKdKPdEEviiiT16_PT17_ilSA_ilS8_SA_ilPT18_ili26rocblas_geam_ex_operation_,@function
_ZN12_GLOBAL__N_120geam_min_plus_kernelId15HIP_vector_typeIdLj2EEdLi32ELi8ELi256ELi64ELi4ELi64ELi4ELi4ELi64ELc78ELc78ELb1ELb0ELb1EdKPKdKPdEEviiiT16_PT17_ilSA_ilS8_SA_ilPT18_ili26rocblas_geam_ex_operation_: ; @_ZN12_GLOBAL__N_120geam_min_plus_kernelId15HIP_vector_typeIdLj2EEdLi32ELi8ELi256ELi64ELi4ELi64ELi4ELi4ELi64ELc78ELc78ELb1ELb0ELb1EdKPKdKPdEEviiiT16_PT17_ilSA_ilS8_SA_ilPT18_ili26rocblas_geam_ex_operation_
; %bb.0:
	s_clause 0x1
	s_load_b128 s[4:7], s[0:1], 0x10
	s_load_b128 s[8:11], s[0:1], 0x28
	s_mov_b32 s18, s15
	s_mov_b64 s[12:13], 0
	s_waitcnt lgkmcnt(0)
	v_cmp_eq_f64_e64 s2, s[4:5], 0
	s_delay_alu instid0(VALU_DEP_1)
	s_and_b32 vcc_lo, exec_lo, s2
	s_cbranch_vccnz .LBB106_2
; %bb.1:
	s_mov_b32 s19, 0
	s_delay_alu instid0(SALU_CYCLE_1) | instskip(NEXT) | instid1(SALU_CYCLE_1)
	s_lshl_b64 s[4:5], s[18:19], 3
	s_add_u32 s4, s6, s4
	s_addc_u32 s5, s7, s5
	s_lshl_b64 s[6:7], s[8:9], 3
	s_load_b64 s[4:5], s[4:5], 0x0
	s_waitcnt lgkmcnt(0)
	s_add_u32 s12, s4, s6
	s_addc_u32 s13, s5, s7
.LBB106_2:
	s_clause 0x1
	s_load_b128 s[4:7], s[0:1], 0x40
	s_load_b64 s[20:21], s[0:1], 0x50
	s_and_not1_b32 vcc_lo, exec_lo, s2
	s_cbranch_vccnz .LBB106_4
; %bb.3:
	s_mov_b32 s19, 0
	s_mov_b64 s[16:17], 0
	s_cbranch_execz .LBB106_5
	s_branch .LBB106_6
.LBB106_4:
	s_mov_b32 s19, -1
                                        ; implicit-def: $sgpr16_sgpr17
.LBB106_5:
	s_mov_b32 s19, 0
	s_delay_alu instid0(SALU_CYCLE_1) | instskip(NEXT) | instid1(SALU_CYCLE_1)
	s_lshl_b64 s[2:3], s[18:19], 3
	s_add_u32 s2, s10, s2
	s_addc_u32 s3, s11, s3
	s_waitcnt lgkmcnt(0)
	s_lshl_b64 s[4:5], s[4:5], 3
	s_load_b64 s[2:3], s[2:3], 0x0
	s_waitcnt lgkmcnt(0)
	s_add_u32 s16, s2, s4
	s_addc_u32 s17, s3, s5
.LBB106_6:
	s_waitcnt lgkmcnt(0)
	v_cmp_eq_f64_e64 s2, s[6:7], 0
	s_load_b128 s[8:11], s[0:1], 0x60
	s_mov_b64 s[4:5], 0
	s_delay_alu instid0(VALU_DEP_1) | instskip(NEXT) | instid1(SALU_CYCLE_1)
	s_and_b32 s2, exec_lo, s2
	s_mov_b32 vcc_lo, s2
	s_cbranch_vccnz .LBB106_8
; %bb.7:
	s_lshl_b64 s[4:5], s[18:19], 3
	s_delay_alu instid0(SALU_CYCLE_1)
	s_add_u32 s4, s20, s4
	s_addc_u32 s5, s21, s5
	s_waitcnt lgkmcnt(0)
	s_lshl_b64 s[8:9], s[8:9], 3
	s_load_b64 s[4:5], s[4:5], 0x0
	s_waitcnt lgkmcnt(0)
	s_add_u32 s4, s4, s8
	s_addc_u32 s5, s5, s9
.LBB106_8:
	s_clause 0x2
	s_load_b32 s15, s[0:1], 0x20
	s_load_b32 s3, s[0:1], 0x0
	;; [unrolled: 1-line block ×3, first 2 shown]
	s_waitcnt lgkmcnt(0)
	s_lshl_b64 s[8:9], s[18:19], 3
	v_and_b32_e32 v113, 0x3ff, v0
	v_bfe_u32 v221, v0, 10, 10
	v_dual_mov_b32 v122, 0x7f800000 :: v_dual_mov_b32 v79, 0x7f800000
	v_dual_mov_b32 v116, 0x7f800000 :: v_dual_mov_b32 v241, 0x7f800000
	s_delay_alu instid0(VALU_DEP_3) | instskip(SKIP_2) | instid1(VALU_DEP_3)
	v_lshl_add_u32 v0, v221, 5, v113
	v_dual_mov_b32 v138, 0x7f800000 :: v_dual_mov_b32 v227, 0x7f800000
	v_dual_mov_b32 v216, 0x7f800000 :: v_dual_mov_b32 v147, 0x7f800000
	v_lshrrev_b32_e32 v12, 6, v0
	v_lshrrev_b32_e32 v9, 2, v0
	v_dual_mov_b32 v249, 0x7f800000 :: v_dual_mov_b32 v218, 0x7f800000
	v_mov_b32_e32 v201, 0x7f800000
	s_ashr_i32 s18, s15, 31
	s_add_u32 s8, s10, s8
	s_addc_u32 s9, s11, s9
	s_add_i32 s3, s3, -1
	v_add_nc_u32_e32 v4, 4, v12
	s_ashr_i32 s10, s3, 31
	v_dual_mov_b32 v234, 0x7f800000 :: v_dual_mov_b32 v203, 0x7f800000
	s_lshr_b32 s10, s10, 24
	s_delay_alu instid0(VALU_DEP_2)
	v_mad_i64_i32 v[2:3], null, s15, v4, 0
	s_add_i32 s3, s3, s10
	v_dual_mov_b32 v246, 0x7f800000 :: v_dual_mov_b32 v237, 0x7f800000
	s_ashr_i32 s3, s3, 8
	v_dual_mov_b32 v248, 0x7f800000 :: v_dual_mov_b32 v209, 0x7f800000
	s_add_i32 s10, s3, 1
	s_not_b32 s3, s3
	v_cvt_f32_u32_e32 v1, s10
	v_lshlrev_b64 v[2:3], 3, v[2:3]
	v_dual_mov_b32 v134, 0x7f800000 :: v_dual_mov_b32 v211, 0x7f800000
	v_dual_mov_b32 v230, 0x7f800000 :: v_dual_mov_b32 v107, 0x7f800000
	s_delay_alu instid0(VALU_DEP_4)
	v_rcp_iflag_f32_e32 v1, v1
	v_dual_mov_b32 v208, 0x7f800000 :: v_dual_mov_b32 v215, 0x7f800000
	v_dual_mov_b32 v224, 0x7f800000 :: v_dual_mov_b32 v217, 0x7f800000
	v_and_b32_e32 v76, 63, v0
	v_dual_mov_b32 v202, 0x7f800000 :: v_dual_mov_b32 v219, 0x7f800000
	v_dual_mov_b32 v204, 0x7f800000 :: v_dual_mov_b32 v121, 0x7f800000
	s_waitcnt_depctr 0xfff
	v_mul_f32_e32 v1, 0x4f7ffffe, v1
	v_dual_mov_b32 v206, 0x7f800000 :: v_dual_mov_b32 v231, 0x7f800000
	v_dual_mov_b32 v210, 0x7f800000 :: v_dual_mov_b32 v245, 0x7f800000
	s_delay_alu instid0(VALU_DEP_3)
	v_cvt_u32_f32_e32 v1, v1
	v_mov_b32_e32 v124, 0x7f800000
	v_dual_mov_b32 v212, 0x7f800000 :: v_dual_mov_b32 v123, 0x7f800000
	scratch_store_b32 off, v4, off offset:368 ; 4-byte Folded Spill
	v_readfirstlane_b32 s11, v1
	v_and_b32_e32 v1, 3, v113
	v_dual_mov_b32 v117, 0x7f800000 :: v_dual_mov_b32 v52, 0x7f800000
	v_mov_b32_e32 v235, 0x7f800000
	s_delay_alu instid0(VALU_DEP_4)
	s_mul_i32 s3, s3, s11
	scratch_store_b32 off, v1, off offset:364 ; 4-byte Folded Spill
	s_mul_hi_u32 s3, s11, s3
	v_lshlrev_b32_e32 v10, 3, v1
	s_add_i32 s11, s11, s3
	v_mad_i64_i32 v[0:1], null, s15, v12, 0
	s_mul_hi_u32 s3, s14, s11
	v_dual_mov_b32 v214, 0x7f800000 :: v_dual_mov_b32 v137, 0x7f800000
	s_mul_i32 s11, s3, s10
	s_add_i32 s19, s3, 1
	s_sub_i32 s11, s14, s11
	s_delay_alu instid0(VALU_DEP_2)
	v_lshlrev_b64 v[0:1], 3, v[0:1]
	s_sub_i32 s21, s11, s10
	s_cmp_ge_u32 s11, s10
	v_dual_mov_b32 v220, 0x7f800000 :: v_dual_mov_b32 v141, 0x7f800000
	s_cselect_b32 s3, s19, s3
	s_cselect_b32 s11, s21, s11
	s_add_i32 s19, s3, 1
	s_cmp_ge_u32 s11, s10
	v_mov_b32_e32 v247, 0x7f800000
	s_cselect_b32 s11, s19, s3
	v_add_co_u32 v8, vcc_lo, s12, v0
	s_lshl_b32 s3, s11, 6
	s_mul_i32 s11, s11, s10
	v_add_nc_u32_e32 v6, s3, v9
	s_sub_i32 s10, s14, s11
	v_add_co_ci_u32_e32 v11, vcc_lo, s13, v1, vcc_lo
	s_lshl_b32 s10, s10, 8
	s_delay_alu instid0(VALU_DEP_2) | instskip(SKIP_3) | instid1(VALU_DEP_3)
	v_mad_i64_i32 v[4:5], null, v6, s20, 0
	v_or_b32_e32 v6, s10, v76
	v_add_co_u32 v2, vcc_lo, s12, v2
	v_add_co_ci_u32_e32 v3, vcc_lo, s13, v3, vcc_lo
	v_ashrrev_i32_e32 v7, 31, v6
	v_lshlrev_b64 v[0:1], 3, v[4:5]
	v_lshl_or_b32 v9, v9, 5, v10
	v_mov_b32_e32 v118, 0x7f800000
	v_mov_b32_e32 v242, 0x7f800000
	v_lshlrev_b64 v[243:244], 3, v[6:7]
	v_mov_b32_e32 v6, 0x7f800000
	v_add_co_u32 v4, vcc_lo, s16, v0
	v_add_co_ci_u32_e32 v5, vcc_lo, s17, v1, vcc_lo
	s_delay_alu instid0(VALU_DEP_4)
	v_add_co_u32 v0, vcc_lo, v8, v243
	v_add_co_ci_u32_e32 v1, vcc_lo, v11, v244, vcc_lo
	v_add_co_u32 v2, vcc_lo, v2, v243
	v_add_co_ci_u32_e32 v3, vcc_lo, v3, v244, vcc_lo
	v_add_co_u32 v14, vcc_lo, v4, v10
	s_clause 0x1
	scratch_store_b32 off, v4, off offset:372
	scratch_store_b32 off, v5, off offset:376
	v_add_co_ci_u32_e32 v15, vcc_lo, 0, v5, vcc_lo
	s_clause 0x3
	flat_load_b64 v[18:19], v[0:1]
	flat_load_b64 v[20:21], v[0:1] offset:512
	flat_load_b64 v[4:5], v[0:1] offset:1024
	;; [unrolled: 1-line block ×3, first 2 shown]
	flat_load_b64 v[7:8], v[14:15]
	flat_load_b64 v[16:17], v[2:3]
	s_load_b64 s[8:9], s[8:9], 0x0
	v_mov_b32_e32 v80, 0x7f800000
	v_mov_b32_e32 v238, 0x7f800000
	;; [unrolled: 1-line block ×7, first 2 shown]
	s_mov_b32 s11, -1
	s_mov_b32 s14, 0
	v_mov_b32_e32 v127, 0x7f800000
	v_mov_b32_e32 v131, 0x7f800000
	;; [unrolled: 1-line block ×4, first 2 shown]
	scratch_store_b32 off, v12, off offset:360 ; 4-byte Folded Spill
	v_mov_b32_e32 v205, 0x7f800000
	scratch_store_b32 off, v9, off offset:352 ; 4-byte Folded Spill
	s_waitcnt vmcnt(0) lgkmcnt(0)
	scratch_store_b64 off, v[16:17], off offset:312 ; 8-byte Folded Spill
	flat_load_b64 v[16:17], v[2:3] offset:512
	s_waitcnt vmcnt(0) lgkmcnt(0)
	scratch_store_b64 off, v[16:17], off offset:320 ; 8-byte Folded Spill
	s_clause 0x1
	flat_load_b64 v[16:17], v[2:3] offset:1024
	flat_load_b64 v[2:3], v[2:3] offset:1536
	s_waitcnt vmcnt(0) lgkmcnt(0)
	scratch_store_b64 off, v[2:3], off offset:336 ; 8-byte Folded Spill
	flat_load_b64 v[2:3], v[14:15] offset:32
	ds_store_b64 v9, v[7:8] offset:16384
	s_waitcnt vmcnt(0) lgkmcnt(1)
	scratch_store_b64 off, v[2:3], off offset:344 ; 8-byte Folded Spill
	v_mov_b32_e32 v2, 0x7f800000
	scratch_store_b64 off, v[16:17], off offset:328 ; 8-byte Folded Spill
	v_add_nc_u32_e32 v3, 0x4000, v9
	scratch_store_b32 off, v2, off          ; 4-byte Folded Spill
	v_mov_b32_e32 v2, 0x7f800000
	s_clause 0x1
	scratch_store_b32 off, v3, off offset:384
	scratch_store_b32 off, v2, off offset:4
	v_mov_b32_e32 v2, 0x7f800000
	scratch_store_b32 off, v2, off offset:8 ; 4-byte Folded Spill
	v_mov_b32_e32 v2, 0x7f800000
	scratch_store_b32 off, v2, off offset:12 ; 4-byte Folded Spill
	;; [unrolled: 2-line block ×3, first 2 shown]
	v_lshlrev_b32_e32 v2, 3, v12
	s_delay_alu instid0(VALU_DEP_1)
	v_lshl_add_u32 v2, v76, 5, v2
	ds_store_2addr_stride64_b64 v2, v[18:19], v[20:21] offset1:4
	scratch_store_b32 off, v2, off offset:380 ; 4-byte Folded Spill
	ds_store_2addr_stride64_b64 v2, v[4:5], v[0:1] offset0:8 offset1:12
	s_waitcnt lgkmcnt(0)
	s_waitcnt_vscnt null, 0x0
	s_barrier
	buffer_gl0_inv
	scratch_store_b32 off, v113, off offset:20 ; 4-byte Folded Spill
.LBB106_9:                              ; =>This Inner Loop Header: Depth=1
	s_lshl_b32 s14, s14, 3
	v_mov_b32_e32 v213, v107
	v_lshl_add_u32 v4, v221, 5, s14
	v_lshl_add_u32 v5, v113, 5, s14
	v_mov_b32_e32 v119, v116
	s_mov_b32 s14, 2
	ds_load_b128 v[18:21], v4 offset:16384
	ds_load_b128 v[0:3], v5
	ds_load_b128 v[105:108], v5 offset:1024
	ds_load_b128 v[26:29], v4 offset:16640
	s_waitcnt lgkmcnt(2)
	v_add_f64 v[7:8], v[2:3], v[20:21]
	scratch_store_b64 off, v[7:8], off offset:56 ; 8-byte Folded Spill
	v_add_f64 v[7:8], v[0:1], v[18:19]
	scratch_store_b64 off, v[7:8], off offset:120 ; 8-byte Folded Spill
	s_waitcnt lgkmcnt(1)
	v_add_f64 v[7:8], v[107:108], v[20:21]
	scratch_store_b64 off, v[7:8], off offset:24 ; 8-byte Folded Spill
	v_add_f64 v[7:8], v[105:106], v[18:19]
	scratch_store_b64 off, v[7:8], off offset:88 ; 8-byte Folded Spill
	ds_load_b128 v[30:33], v5 offset:2048
	ds_load_b128 v[34:37], v5 offset:3072
	s_waitcnt lgkmcnt(1)
	v_add_f64 v[7:8], v[32:33], v[20:21]
	scratch_store_b64 off, v[7:8], off offset:64 ; 8-byte Folded Spill
	v_add_f64 v[7:8], v[30:31], v[18:19]
	scratch_store_b64 off, v[7:8], off offset:128 ; 8-byte Folded Spill
	s_waitcnt lgkmcnt(0)
	v_add_f64 v[7:8], v[36:37], v[20:21]
	scratch_store_b64 off, v[7:8], off offset:32 ; 8-byte Folded Spill
	v_add_f64 v[7:8], v[34:35], v[18:19]
	scratch_store_b64 off, v[7:8], off offset:96 ; 8-byte Folded Spill
	ds_load_b128 v[38:41], v5 offset:4096
	ds_load_b128 v[42:45], v5 offset:5120
	;; [unrolled: 1-line block ×3, first 2 shown]
	s_waitcnt lgkmcnt(2)
	v_add_f64 v[7:8], v[40:41], v[20:21]
	scratch_store_b64 off, v[7:8], off offset:72 ; 8-byte Folded Spill
	v_add_f64 v[7:8], v[38:39], v[18:19]
	scratch_store_b64 off, v[7:8], off offset:136 ; 8-byte Folded Spill
	s_waitcnt lgkmcnt(1)
	v_add_f64 v[7:8], v[44:45], v[20:21]
	scratch_store_b64 off, v[7:8], off offset:40 ; 8-byte Folded Spill
	v_add_f64 v[7:8], v[42:43], v[18:19]
	scratch_store_b64 off, v[7:8], off offset:104 ; 8-byte Folded Spill
	v_mov_b32_e32 v7, v52
	ds_load_b128 v[50:53], v5 offset:7168
	s_waitcnt lgkmcnt(1)
	v_add_f64 v[8:9], v[48:49], v[20:21]
	scratch_store_b64 off, v[8:9], off offset:80 ; 8-byte Folded Spill
	v_add_f64 v[8:9], v[46:47], v[18:19]
	scratch_store_b64 off, v[8:9], off offset:144 ; 8-byte Folded Spill
	s_waitcnt lgkmcnt(0)
	v_add_f64 v[8:9], v[52:53], v[20:21]
	scratch_store_b64 off, v[8:9], off offset:48 ; 8-byte Folded Spill
	v_add_f64 v[8:9], v[50:51], v[18:19]
	scratch_store_b64 off, v[8:9], off offset:112 ; 8-byte Folded Spill
	;; [unrolled: 2-line block ×18, first 2 shown]
	ds_load_b128 v[18:21], v4 offset:16896
	ds_load_b128 v[26:29], v4 offset:17152
	s_waitcnt lgkmcnt(1)
	v_add_f64 v[8:9], v[44:45], v[20:21]
	v_add_f64 v[193:194], v[2:3], v[20:21]
	;; [unrolled: 1-line block ×13, first 2 shown]
	s_waitcnt lgkmcnt(0)
	v_add_f64 v[199:200], v[2:3], v[28:29]
	v_add_f64 v[135:136], v[0:1], v[26:27]
	;; [unrolled: 1-line block ×16, first 2 shown]
	scratch_store_b64 off, v[8:9], off offset:296 ; 8-byte Folded Spill
	v_add_f64 v[8:9], v[48:49], v[20:21]
	scratch_store_b64 off, v[8:9], off offset:288 ; 8-byte Folded Spill
	v_add_f64 v[8:9], v[52:53], v[20:21]
	;; [unrolled: 2-line block ×3, first 2 shown]
	scratch_store_b64 off, v[8:9], off offset:304 ; 8-byte Folded Spill
	ds_load_b128 v[18:21], v4 offset:17408
	ds_load_b128 v[26:29], v4 offset:17664
	s_waitcnt lgkmcnt(1)
	v_add_f64 v[54:55], v[2:3], v[20:21]
	v_add_f64 v[125:126], v[0:1], v[18:19]
	;; [unrolled: 1-line block ×16, first 2 shown]
	s_waitcnt lgkmcnt(0)
	v_add_f64 v[184:185], v[2:3], v[28:29]
	v_add_f64 v[180:181], v[0:1], v[26:27]
	;; [unrolled: 1-line block ×16, first 2 shown]
	ds_load_b128 v[18:21], v4 offset:17920
	ds_load_b128 v[26:29], v4 offset:18176
	v_cvt_f32_f64_e32 v24, v[24:25]
	scratch_load_b32 v25, off, off offset:16 ; 4-byte Folded Reload
	s_waitcnt lgkmcnt(1)
	v_add_f64 v[64:65], v[0:1], v[18:19]
	v_add_f64 v[99:100], v[105:106], v[18:19]
	;; [unrolled: 1-line block ×8, first 2 shown]
	s_waitcnt lgkmcnt(0)
	v_add_f64 v[0:1], v[0:1], v[26:27]
	v_add_f64 v[105:106], v[105:106], v[26:27]
	;; [unrolled: 1-line block ×8, first 2 shown]
	scratch_load_b64 v[50:51], off, off offset:120 ; 8-byte Folded Reload
	v_add_f64 v[4:5], v[2:3], v[20:21]
	v_add_f64 v[132:133], v[107:108], v[20:21]
	;; [unrolled: 1-line block ×16, first 2 shown]
	v_dual_mov_b32 v52, v7 :: v_dual_mov_b32 v107, v213
	v_cvt_f32_f64_e32 v0, v[0:1]
	v_cvt_f32_f64_e32 v4, v[4:5]
	;; [unrolled: 1-line block ×4, first 2 shown]
	scratch_load_b32 v2, off, off offset:4  ; 4-byte Folded Reload
	v_min3_f32 v247, v0, v1, v247
	v_cvt_f32_f64_e32 v0, v[105:106]
	v_cvt_f32_f64_e32 v1, v[22:23]
	s_waitcnt vmcnt(1)
	v_cvt_f32_f64_e32 v7, v[50:51]
	scratch_load_b64 v[50:51], off, off offset:56 ; 8-byte Folded Reload
	s_waitcnt vmcnt(0)
	v_cvt_f32_f64_e32 v50, v[50:51]
	s_delay_alu instid0(VALU_DEP_1)
	v_min3_f32 v142, v7, v50, v142
	scratch_load_b64 v[50:51], off, off offset:88 ; 8-byte Folded Reload
	s_waitcnt vmcnt(0)
	v_cvt_f32_f64_e32 v7, v[50:51]
	scratch_load_b64 v[50:51], off, off offset:24 ; 8-byte Folded Reload
	s_waitcnt vmcnt(0)
	v_cvt_f32_f64_e32 v50, v[50:51]
	s_delay_alu instid0(VALU_DEP_1)
	v_min3_f32 v141, v7, v50, v141
	scratch_load_b64 v[50:51], off, off offset:128 ; 8-byte Folded Reload
	;; [unrolled: 8-line block ×15, first 2 shown]
	s_waitcnt vmcnt(0)
	v_cvt_f32_f64_e32 v7, v[50:51]
	scratch_load_b64 v[50:51], off, off offset:264 ; 8-byte Folded Reload
	s_waitcnt vmcnt(0)
	v_cvt_f32_f64_e32 v50, v[50:51]
	s_delay_alu instid0(VALU_DEP_1) | instskip(SKIP_2) | instid1(VALU_DEP_1)
	v_min3_f32 v118, v7, v50, v118
	v_cvt_f32_f64_e32 v7, v[95:96]
	v_cvt_f32_f64_e32 v50, v[193:194]
	v_min3_f32 v6, v7, v50, v6
	v_cvt_f32_f64_e32 v7, v[91:92]
	v_cvt_f32_f64_e32 v50, v[190:191]
	s_delay_alu instid0(VALU_DEP_1) | instskip(SKIP_2) | instid1(VALU_DEP_1)
	v_min3_f32 v220, v7, v50, v220
	v_cvt_f32_f64_e32 v7, v[87:88]
	v_cvt_f32_f64_e32 v50, v[101:102]
	v_min3_f32 v219, v7, v50, v219
	v_cvt_f32_f64_e32 v7, v[83:84]
	v_cvt_f32_f64_e32 v50, v[97:98]
	s_delay_alu instid0(VALU_DEP_1) | instskip(SKIP_2) | instid1(VALU_DEP_1)
	v_min3_f32 v217, v7, v50, v217
	v_cvt_f32_f64_e32 v7, v[62:63]
	v_cvt_f32_f64_e32 v50, v[186:187]
	v_min3_f32 v215, v7, v50, v215
	scratch_load_b64 v[50:51], off, off offset:296 ; 8-byte Folded Reload
	v_cvt_f32_f64_e32 v7, v[60:61]
	s_waitcnt vmcnt(0)
	v_cvt_f32_f64_e32 v50, v[50:51]
	s_delay_alu instid0(VALU_DEP_1) | instskip(SKIP_4) | instid1(VALU_DEP_1)
	v_min3_f32 v214, v7, v50, v214
	scratch_load_b64 v[50:51], off, off offset:288 ; 8-byte Folded Reload
	v_cvt_f32_f64_e32 v7, v[188:189]
	s_waitcnt vmcnt(0)
	v_cvt_f32_f64_e32 v50, v[50:51]
	v_min3_f32 v107, v7, v50, v107
	scratch_load_b64 v[50:51], off, off offset:304 ; 8-byte Folded Reload
	s_waitcnt vmcnt(0)
	v_cvt_f32_f64_e32 v7, v[50:51]
	scratch_load_b64 v[50:51], off, off offset:280 ; 8-byte Folded Reload
	s_waitcnt vmcnt(0)
	v_cvt_f32_f64_e32 v50, v[50:51]
	s_delay_alu instid0(VALU_DEP_1) | instskip(SKIP_2) | instid1(VALU_DEP_1)
	v_min3_f32 v52, v7, v50, v52
	v_cvt_f32_f64_e32 v7, v[135:136]
	v_cvt_f32_f64_e32 v50, v[199:200]
	v_min3_f32 v212, v7, v50, v212
	v_cvt_f32_f64_e32 v7, v[77:78]
	v_cvt_f32_f64_e32 v50, v[228:229]
	s_delay_alu instid0(VALU_DEP_1) | instskip(SKIP_2) | instid1(VALU_DEP_1)
	v_min3_f32 v211, v7, v50, v211
	v_cvt_f32_f64_e32 v7, v[128:129]
	v_cvt_f32_f64_e32 v50, v[232:233]
	v_min3_f32 v210, v7, v50, v210
	v_cvt_f32_f64_e32 v7, v[81:82]
	;; [unrolled: 7-line block ×3, first 2 shown]
	v_cvt_f32_f64_e32 v50, v[195:196]
	s_delay_alu instid0(VALU_DEP_1) | instskip(SKIP_3) | instid1(VALU_DEP_1)
	v_min3_f32 v206, v7, v50, v206
	v_cvt_f32_f64_e32 v7, v[250:251]
	v_cvt_f32_f64_e32 v50, v[115:116]
	v_mov_b32_e32 v116, v119
	v_min3_f32 v116, v0, v1, v116
	v_cvt_f32_f64_e32 v0, v[30:31]
	v_cvt_f32_f64_e32 v1, v[32:33]
	v_min3_f32 v205, v7, v50, v205
	v_cvt_f32_f64_e32 v7, v[254:255]
	v_cvt_f32_f64_e32 v50, v[252:253]
	s_delay_alu instid0(VALU_DEP_4)
	v_min3_f32 v2, v0, v1, v2
	v_cvt_f32_f64_e32 v0, v[34:35]
	v_cvt_f32_f64_e32 v1, v[36:37]
	scratch_store_b32 off, v2, off offset:4 ; 4-byte Folded Spill
	scratch_load_b32 v2, off, off           ; 4-byte Folded Reload
	v_min3_f32 v204, v7, v50, v204
	v_cvt_f32_f64_e32 v7, v[125:126]
	v_cvt_f32_f64_e32 v50, v[54:55]
	v_min3_f32 v249, v0, v1, v249
	v_cvt_f32_f64_e32 v0, v[38:39]
	v_cvt_f32_f64_e32 v1, v[40:41]
	s_delay_alu instid0(VALU_DEP_4)
	v_min3_f32 v203, v7, v50, v203
	v_cvt_f32_f64_e32 v7, v[113:114]
	v_cvt_f32_f64_e32 v50, v[58:59]
	scratch_load_b32 v113, off, off offset:20 ; 4-byte Folded Reload
	v_min3_f32 v117, v0, v1, v117
	v_cvt_f32_f64_e32 v0, v[42:43]
	v_cvt_f32_f64_e32 v1, v[44:45]
	v_min3_f32 v202, v7, v50, v202
	v_cvt_f32_f64_e32 v7, v[56:57]
	s_delay_alu instid0(VALU_DEP_1) | instskip(SKIP_2) | instid1(VALU_DEP_1)
	v_min3_f32 v201, v7, v24, v201
	v_cvt_f32_f64_e32 v7, v[143:144]
	v_cvt_f32_f64_e32 v24, v[68:69]
	v_min3_f32 v224, v7, v24, v224
	v_cvt_f32_f64_e32 v7, v[145:146]
	v_cvt_f32_f64_e32 v24, v[148:149]
	s_delay_alu instid0(VALU_DEP_1) | instskip(SKIP_2) | instid1(VALU_DEP_1)
	v_min3_f32 v147, v7, v24, v147
	v_cvt_f32_f64_e32 v7, v[109:110]
	v_cvt_f32_f64_e32 v24, v[74:75]
	v_min3_f32 v225, v7, v24, v225
	v_cvt_f32_f64_e32 v7, v[70:71]
	v_cvt_f32_f64_e32 v24, v[150:151]
	s_delay_alu instid0(VALU_DEP_1)
	v_min3_f32 v208, v7, v24, v208
	v_cvt_f32_f64_e32 v7, v[72:73]
	v_cvt_f32_f64_e32 v24, v[152:153]
	s_waitcnt vmcnt(1)
	v_min3_f32 v2, v0, v1, v2
	v_cvt_f32_f64_e32 v0, v[46:47]
	v_cvt_f32_f64_e32 v1, v[48:49]
	scratch_store_b32 off, v2, off          ; 4-byte Folded Spill
	v_min3_f32 v230, v7, v24, v230
	v_cvt_f32_f64_e32 v7, v[180:181]
	v_cvt_f32_f64_e32 v24, v[184:185]
	v_min3_f32 v122, v0, v1, v122
	v_cvt_f32_f64_e32 v0, v[26:27]
	v_cvt_f32_f64_e32 v1, v[28:29]
	s_delay_alu instid0(VALU_DEP_4) | instskip(SKIP_2) | instid1(VALU_DEP_4)
	v_min3_f32 v227, v7, v24, v227
	v_cvt_f32_f64_e32 v7, v[176:177]
	v_cvt_f32_f64_e32 v24, v[182:183]
	v_min3_f32 v124, v0, v1, v124
	v_cndmask_b32_e64 v0, 0, 1, s11
	s_mov_b32 s11, 0
	s_delay_alu instid0(VALU_DEP_1) | instskip(SKIP_1) | instid1(VALU_DEP_4)
	v_cmp_ne_u32_e32 vcc_lo, 1, v0
	s_and_b32 vcc_lo, exec_lo, vcc_lo
	v_min3_f32 v239, v7, v24, v239
	v_cvt_f32_f64_e32 v7, v[172:173]
	v_cvt_f32_f64_e32 v24, v[178:179]
	s_delay_alu instid0(VALU_DEP_1) | instskip(SKIP_2) | instid1(VALU_DEP_1)
	v_min3_f32 v241, v7, v24, v241
	v_cvt_f32_f64_e32 v7, v[168:169]
	v_cvt_f32_f64_e32 v24, v[174:175]
	v_min3_f32 v134, v7, v24, v134
	v_cvt_f32_f64_e32 v7, v[164:165]
	v_cvt_f32_f64_e32 v24, v[170:171]
	s_delay_alu instid0(VALU_DEP_1) | instskip(SKIP_2) | instid1(VALU_DEP_1)
	v_min3_f32 v248, v7, v24, v248
	v_cvt_f32_f64_e32 v7, v[160:161]
	v_cvt_f32_f64_e32 v24, v[166:167]
	;; [unrolled: 7-line block ×3, first 2 shown]
	v_min3_f32 v234, v7, v24, v234
	v_cvt_f32_f64_e32 v7, v[64:65]
	s_delay_alu instid0(VALU_DEP_1) | instskip(SKIP_2) | instid1(VALU_DEP_1)
	v_min3_f32 v131, v7, v4, v131
	scratch_load_b32 v7, off, off offset:12 ; 4-byte Folded Reload
	v_cvt_f32_f64_e32 v4, v[99:100]
	v_min3_f32 v218, v4, v5, v218
	v_cvt_f32_f64_e32 v4, v[103:104]
	v_cvt_f32_f64_e32 v5, v[8:9]
	s_delay_alu instid0(VALU_DEP_1) | instskip(SKIP_3) | instid1(VALU_DEP_1)
	v_min3_f32 v216, v4, v5, v216
	v_cvt_f32_f64_e32 v4, v[85:86]
	v_cvt_f32_f64_e32 v5, v[10:11]
	s_waitcnt vmcnt(0)
	v_min3_f32 v7, v4, v5, v7
	v_cvt_f32_f64_e32 v4, v[89:90]
	v_cvt_f32_f64_e32 v5, v[12:13]
	scratch_store_b32 off, v7, off offset:12 ; 4-byte Folded Spill
	scratch_load_b32 v7, off, off offset:8  ; 4-byte Folded Reload
	v_min3_f32 v138, v4, v5, v138
	v_cvt_f32_f64_e32 v4, v[222:223]
	v_cvt_f32_f64_e32 v5, v[14:15]
	s_waitcnt vmcnt(0)
	s_delay_alu instid0(VALU_DEP_1)
	v_min3_f32 v7, v4, v5, v7
	v_cvt_f32_f64_e32 v4, v[93:94]
	v_cvt_f32_f64_e32 v5, v[16:17]
	s_clause 0x1
	scratch_store_b32 off, v25, off offset:16
	scratch_store_b32 off, v7, off offset:8
	v_min3_f32 v127, v4, v5, v127
	v_cvt_f32_f64_e32 v4, v[18:19]
	v_cvt_f32_f64_e32 v5, v[20:21]
	s_delay_alu instid0(VALU_DEP_1)
	v_min3_f32 v79, v4, v5, v79
	s_cbranch_vccz .LBB106_9
; %bb.10:
	scratch_load_b32 v1, off, off offset:360 ; 4-byte Folded Reload
	v_lshlrev_b32_e32 v0, 5, v76
	s_load_b32 s11, s[0:1], 0x8
	v_dual_mov_b32 v28, v220 :: v_dual_mov_b32 v43, v218
	v_dual_mov_b32 v42, v217 :: v_dual_mov_b32 v41, v215
	;; [unrolled: 1-line block ×6, first 2 shown]
	v_mov_b32_e32 v146, v206
	v_mov_b32_e32 v72, v204
	;; [unrolled: 1-line block ×3, first 2 shown]
	s_waitcnt lgkmcnt(0)
	s_cmp_lt_i32 s11, 9
	s_waitcnt vmcnt(0)
	v_lshl_add_u32 v0, v1, 3, v0
	s_clause 0x1
	scratch_load_b64 v[1:2], off, off offset:312
	scratch_load_b64 v[3:4], off, off offset:320
	s_waitcnt vmcnt(0)
	ds_store_2addr_stride64_b64 v0, v[1:2], v[3:4] offset0:16 offset1:20
	s_clause 0x1
	scratch_load_b64 v[1:2], off, off offset:328
	scratch_load_b64 v[3:4], off, off offset:336
	s_waitcnt vmcnt(0)
	ds_store_2addr_stride64_b64 v0, v[1:2], v[3:4] offset0:24 offset1:28
	s_clause 0x1
	scratch_load_b64 v[1:2], off, off offset:344
	scratch_load_b32 v3, off, off offset:352
	s_waitcnt vmcnt(0)
	ds_store_b64 v3, v[1:2] offset:18432
	s_waitcnt lgkmcnt(0)
	s_waitcnt_vscnt null, 0x0
	s_barrier
	buffer_gl0_inv
	scratch_store_b32 off, v221, off offset:24 ; 4-byte Folded Spill
	s_cbranch_scc1 .LBB106_18
; %bb.11:
	v_dual_mov_b32 v37, v107 :: v_dual_add_nc_u32 v0, 0x2000, v0
	v_mov_b32_e32 v145, v205
	v_mov_b32_e32 v71, v203
	;; [unrolled: 1-line block ×4, first 2 shown]
	scratch_store_b32 off, v0, off offset:388 ; 4-byte Folded Spill
	v_add_nc_u32_e32 v0, 0x4800, v3
	s_add_i32 s11, s11, -8
	scratch_store_b32 off, v0, off offset:392 ; 4-byte Folded Spill
	v_add_co_u32 v0, vcc_lo, s12, v243
	s_mov_b32 s12, 8
	scratch_store_b32 off, v0, off offset:288 ; 4-byte Folded Spill
	v_add_co_ci_u32_e32 v0, vcc_lo, s13, v244, vcc_lo
	s_mov_b32 s13, 0
	scratch_store_b32 off, v0, off offset:296 ; 4-byte Folded Spill
.LBB106_12:                             ; =>This Loop Header: Depth=1
                                        ;     Child Loop BB106_13 Depth 2
                                        ;     Child Loop BB106_15 Depth 2
	scratch_load_b32 v0, off, off offset:360 ; 4-byte Folded Reload
	s_mov_b32 s14, -1
	s_mov_b32 s16, 0
	s_waitcnt vmcnt(0)
	v_add_nc_u32_e32 v4, s12, v0
	s_delay_alu instid0(VALU_DEP_1) | instskip(NEXT) | instid1(VALU_DEP_1)
	v_mad_u64_u32 v[0:1], null, v4, s15, 0
	v_mad_u64_u32 v[2:3], null, v4, s18, v[1:2]
	s_delay_alu instid0(VALU_DEP_1)
	v_mov_b32_e32 v1, v2
	scratch_load_b32 v2, off, off offset:364 ; 4-byte Folded Reload
	v_lshlrev_b64 v[0:1], 3, v[0:1]
	s_waitcnt vmcnt(0)
	v_or_b32_e32 v4, s12, v2
	v_mov_b32_e32 v2, v5
	scratch_store_b64 off, v[1:2], off offset:352 ; 8-byte Folded Spill
	v_lshlrev_b64 v[2:3], 3, v[4:5]
	scratch_load_b32 v4, off, off offset:288 ; 4-byte Folded Reload
	s_waitcnt vmcnt(0)
	v_add_co_u32 v0, vcc_lo, v4, v0
	scratch_load_b32 v4, off, off offset:296 ; 4-byte Folded Reload
	s_waitcnt vmcnt(0)
	v_add_co_ci_u32_e32 v1, vcc_lo, v4, v1, vcc_lo
	scratch_load_b32 v4, off, off offset:372 ; 4-byte Folded Reload
	s_waitcnt vmcnt(0)
	v_add_co_u32 v4, vcc_lo, v4, v2
	scratch_load_b32 v2, off, off offset:376 ; 4-byte Folded Reload
	s_waitcnt vmcnt(0)
	v_add_co_ci_u32_e32 v5, vcc_lo, v2, v3, vcc_lo
	flat_load_b64 v[2:3], v[0:1]
	s_waitcnt vmcnt(0) lgkmcnt(0)
	scratch_store_b64 off, v[2:3], off offset:312 ; 8-byte Folded Spill
	flat_load_b64 v[2:3], v[0:1] offset:512
	s_waitcnt vmcnt(0) lgkmcnt(0)
	scratch_store_b64 off, v[2:3], off offset:320 ; 8-byte Folded Spill
	s_clause 0x1
	flat_load_b64 v[2:3], v[0:1] offset:1024
	flat_load_b64 v[0:1], v[0:1] offset:1536
	s_waitcnt vmcnt(1) lgkmcnt(1)
	scratch_store_b64 off, v[2:3], off offset:328 ; 8-byte Folded Spill
	s_waitcnt vmcnt(0) lgkmcnt(0)
	s_clause 0x1
	scratch_store_b64 off, v[0:1], off offset:336
	scratch_store_b64 off, v[4:5], off offset:304
	flat_load_b64 v[0:1], v[4:5]
	s_waitcnt vmcnt(0) lgkmcnt(0)
	scratch_store_b64 off, v[0:1], off offset:344 ; 8-byte Folded Spill
.LBB106_13:                             ;   Parent Loop BB106_12 Depth=1
                                        ; =>  This Inner Loop Header: Depth=2
	s_lshl_b32 s16, s16, 3
	v_mov_b32_e32 v32, v28
	v_lshl_add_u32 v101, v221, 5, s16
	s_waitcnt vmcnt(0)
	v_lshl_add_u32 v4, v113, 5, s16
	s_mov_b32 s16, 2
	s_and_not1_b32 vcc_lo, exec_lo, s14
	s_mov_b32 s14, 0
	ds_load_b128 v[45:48], v101 offset:18432
	ds_load_b128 v[0:3], v4 offset:8192
	ds_load_b128 v[154:157], v4 offset:9216
	ds_load_b128 v[158:161], v101 offset:18688
	s_waitcnt lgkmcnt(2)
	v_add_f64 v[21:22], v[0:1], v[45:46]
	s_waitcnt lgkmcnt(1)
	v_add_f64 v[7:8], v[156:157], v[47:48]
	v_add_f64 v[67:68], v[2:3], v[47:48]
	s_delay_alu instid0(VALU_DEP_3)
	v_cvt_f32_f64_e32 v115, v[21:22]
	scratch_store_b64 off, v[7:8], off offset:32 ; 8-byte Folded Spill
	v_add_f64 v[7:8], v[154:155], v[45:46]
	v_cvt_f32_f64_e32 v67, v[67:68]
	scratch_store_b64 off, v[7:8], off offset:88 ; 8-byte Folded Spill
	ds_load_b128 v[162:165], v4 offset:10240
	ds_load_b128 v[166:169], v4 offset:11264
	v_min3_f32 v142, v115, v67, v142
	s_waitcnt lgkmcnt(1)
	v_add_f64 v[7:8], v[164:165], v[47:48]
	scratch_store_b64 off, v[7:8], off offset:64 ; 8-byte Folded Spill
	v_add_f64 v[7:8], v[162:163], v[45:46]
	scratch_store_b64 off, v[7:8], off offset:120 ; 8-byte Folded Spill
	s_waitcnt lgkmcnt(0)
	v_add_f64 v[7:8], v[168:169], v[47:48]
	scratch_store_b64 off, v[7:8], off offset:40 ; 8-byte Folded Spill
	v_add_f64 v[7:8], v[166:167], v[45:46]
	scratch_store_b64 off, v[7:8], off offset:96 ; 8-byte Folded Spill
	ds_load_b128 v[170:173], v4 offset:12288
	ds_load_b128 v[174:177], v4 offset:13312
	s_waitcnt lgkmcnt(1)
	v_add_f64 v[7:8], v[172:173], v[47:48]
	v_add_f64 v[49:50], v[170:171], v[158:159]
	s_waitcnt lgkmcnt(0)
	v_add_f64 v[25:26], v[174:175], v[158:159]
	scratch_store_b64 off, v[7:8], off offset:72 ; 8-byte Folded Spill
	v_add_f64 v[7:8], v[170:171], v[45:46]
	v_cvt_f32_f64_e32 v49, v[49:50]
	scratch_store_b64 off, v[7:8], off offset:128 ; 8-byte Folded Spill
	v_add_f64 v[7:8], v[176:177], v[47:48]
	scratch_store_b64 off, v[7:8], off offset:48 ; 8-byte Folded Spill
	v_add_f64 v[7:8], v[174:175], v[45:46]
	scratch_store_b64 off, v[7:8], off offset:104 ; 8-byte Folded Spill
	ds_load_b128 v[178:181], v4 offset:14336
	ds_load_b128 v[182:185], v4 offset:15360
	s_waitcnt lgkmcnt(1)
	v_add_f64 v[4:5], v[180:181], v[47:48]
	scratch_store_b64 off, v[4:5], off offset:80 ; 8-byte Folded Spill
	v_add_f64 v[4:5], v[178:179], v[45:46]
	scratch_store_b64 off, v[4:5], off offset:136 ; 8-byte Folded Spill
	s_waitcnt lgkmcnt(0)
	v_add_f64 v[4:5], v[184:185], v[47:48]
	scratch_store_b64 off, v[4:5], off offset:56 ; 8-byte Folded Spill
	v_add_f64 v[4:5], v[182:183], v[45:46]
	scratch_store_b64 off, v[4:5], off offset:112 ; 8-byte Folded Spill
	;; [unrolled: 2-line block ×16, first 2 shown]
	ds_load_b128 v[158:161], v101 offset:18944
	ds_load_b128 v[186:189], v101 offset:19200
	s_waitcnt lgkmcnt(1)
	v_add_f64 v[4:5], v[176:177], v[160:161]
	v_add_f64 v[30:31], v[2:3], v[160:161]
	;; [unrolled: 1-line block ×13, first 2 shown]
	s_waitcnt lgkmcnt(0)
	v_add_f64 v[35:36], v[2:3], v[188:189]
	v_add_f64 v[222:223], v[0:1], v[186:187]
	;; [unrolled: 1-line block ×16, first 2 shown]
	scratch_store_b64 off, v[4:5], off offset:272 ; 8-byte Folded Spill
	v_add_f64 v[4:5], v[180:181], v[160:161]
	scratch_store_b64 off, v[4:5], off offset:264 ; 8-byte Folded Spill
	v_add_f64 v[4:5], v[184:185], v[160:161]
	;; [unrolled: 2-line block ×3, first 2 shown]
	scratch_store_b64 off, v[4:5], off offset:280 ; 8-byte Folded Spill
	ds_load_b128 v[158:161], v101 offset:19456
	ds_load_b128 v[186:189], v101 offset:19712
	s_waitcnt lgkmcnt(1)
	v_add_f64 v[252:253], v[2:3], v[160:161]
	v_add_f64 v[254:255], v[0:1], v[158:159]
	;; [unrolled: 1-line block ×16, first 2 shown]
	s_waitcnt lgkmcnt(0)
	v_add_f64 v[83:84], v[2:3], v[188:189]
	v_add_f64 v[53:54], v[0:1], v[186:187]
	v_add_f64 v[85:86], v[156:157], v[188:189]
	v_add_f64 v[55:56], v[154:155], v[186:187]
	v_add_f64 v[57:58], v[164:165], v[188:189]
	v_add_f64 v[59:60], v[162:163], v[186:187]
	v_add_f64 v[61:62], v[168:169], v[188:189]
	v_add_f64 v[63:64], v[166:167], v[186:187]
	v_add_f64 v[87:88], v[172:173], v[188:189]
	v_add_f64 v[89:90], v[170:171], v[186:187]
	v_add_f64 v[91:92], v[176:177], v[188:189]
	v_add_f64 v[93:94], v[174:175], v[186:187]
	v_add_f64 v[95:96], v[180:181], v[188:189]
	v_add_f64 v[97:98], v[178:179], v[186:187]
	v_add_f64 v[99:100], v[184:185], v[188:189]
	v_add_f64 v[214:215], v[182:183], v[186:187]
	ds_load_b128 v[158:161], v101 offset:19968
	ds_load_b128 v[186:189], v101 offset:20224
	scratch_load_b64 v[21:22], off, off offset:88 ; 8-byte Folded Reload
	v_cvt_f32_f64_e32 v7, v[7:8]
	v_cvt_f32_f64_e32 v9, v[9:10]
	;; [unrolled: 1-line block ×5, first 2 shown]
	s_waitcnt lgkmcnt(1)
	v_add_f64 v[101:102], v[2:3], v[160:161]
	v_add_f64 v[210:211], v[0:1], v[158:159]
	s_waitcnt lgkmcnt(0)
	v_add_f64 v[2:3], v[2:3], v[188:189]
	v_add_f64 v[0:1], v[0:1], v[186:187]
	;; [unrolled: 1-line block ×28, first 2 shown]
	v_min3_f32 v69, v9, v7, v69
	v_cvt_f32_f64_e32 v7, v[13:14]
	v_add_f64 v[184:185], v[184:185], v[188:189]
	v_add_f64 v[182:183], v[182:183], v[186:187]
	v_min3_f32 v147, v4, v5, v147
	v_cvt_f32_f64_e32 v4, v[132:133]
	v_cvt_f32_f64_e32 v5, v[218:219]
	;; [unrolled: 1-line block ×4, first 2 shown]
	scratch_load_b32 v2, off, off offset:4  ; 4-byte Folded Reload
	v_min3_f32 v224, v7, v8, v224
	scratch_load_b32 v7, off, off offset:16 ; 4-byte Folded Reload
	v_min3_f32 v225, v4, v5, v225
	v_cvt_f32_f64_e32 v4, v[119:120]
	v_cvt_f32_f64_e32 v5, v[17:18]
	v_min3_f32 v247, v0, v1, v247
	v_cvt_f32_f64_e32 v0, v[154:155]
	v_cvt_f32_f64_e32 v1, v[156:157]
	s_delay_alu instid0(VALU_DEP_4) | instskip(SKIP_2) | instid1(VALU_DEP_4)
	v_min3_f32 v148, v4, v5, v148
	v_cvt_f32_f64_e32 v4, v[111:112]
	v_cvt_f32_f64_e32 v5, v[19:20]
	v_min3_f32 v116, v0, v1, v116
	v_cvt_f32_f64_e32 v0, v[162:163]
	v_cvt_f32_f64_e32 v1, v[164:165]
	s_delay_alu instid0(VALU_DEP_4) | instskip(SKIP_2) | instid1(VALU_DEP_1)
	v_min3_f32 v230, v4, v5, v230
	v_cvt_f32_f64_e32 v4, v[53:54]
	v_cvt_f32_f64_e32 v5, v[83:84]
	v_min3_f32 v227, v4, v5, v227
	v_cvt_f32_f64_e32 v4, v[55:56]
	v_cvt_f32_f64_e32 v5, v[85:86]
	s_delay_alu instid0(VALU_DEP_1) | instskip(SKIP_2) | instid1(VALU_DEP_1)
	v_min3_f32 v239, v4, v5, v239
	v_cvt_f32_f64_e32 v4, v[59:60]
	v_cvt_f32_f64_e32 v5, v[57:58]
	v_min3_f32 v241, v4, v5, v241
	v_cvt_f32_f64_e32 v4, v[63:64]
	v_cvt_f32_f64_e32 v5, v[61:62]
	s_waitcnt vmcnt(2)
	v_cvt_f32_f64_e32 v67, v[21:22]
	scratch_load_b64 v[21:22], off, off offset:32 ; 8-byte Folded Reload
	v_min3_f32 v134, v4, v5, v134
	v_cvt_f32_f64_e32 v4, v[89:90]
	v_cvt_f32_f64_e32 v5, v[87:88]
	s_delay_alu instid0(VALU_DEP_1)
	v_min3_f32 v248, v4, v5, v248
	v_cvt_f32_f64_e32 v4, v[93:94]
	v_cvt_f32_f64_e32 v5, v[91:92]
	s_waitcnt vmcnt(2)
	v_min3_f32 v2, v0, v1, v2
	v_cvt_f32_f64_e32 v0, v[166:167]
	v_cvt_f32_f64_e32 v1, v[168:169]
	scratch_store_b32 off, v2, off offset:4 ; 4-byte Folded Spill
	scratch_load_b32 v2, off, off           ; 4-byte Folded Reload
	v_min3_f32 v246, v4, v5, v246
	v_cvt_f32_f64_e32 v4, v[97:98]
	v_cvt_f32_f64_e32 v5, v[95:96]
	v_min3_f32 v249, v0, v1, v249
	v_cvt_f32_f64_e32 v0, v[170:171]
	v_cvt_f32_f64_e32 v1, v[172:173]
	s_waitcnt vmcnt(2)
	s_delay_alu instid0(VALU_DEP_4)
	v_min3_f32 v7, v4, v5, v7
	v_cvt_f32_f64_e32 v4, v[214:215]
	v_cvt_f32_f64_e32 v5, v[99:100]
	scratch_store_b32 off, v7, off offset:16 ; 4-byte Folded Spill
	scratch_load_b32 v7, off, off offset:12 ; 4-byte Folded Reload
	v_min3_f32 v117, v0, v1, v117
	v_cvt_f32_f64_e32 v0, v[174:175]
	v_cvt_f32_f64_e32 v1, v[176:177]
	v_min3_f32 v234, v4, v5, v234
	v_cvt_f32_f64_e32 v4, v[210:211]
	v_cvt_f32_f64_e32 v5, v[101:102]
	s_delay_alu instid0(VALU_DEP_1) | instskip(SKIP_2) | instid1(VALU_DEP_1)
	v_min3_f32 v131, v4, v5, v131
	v_cvt_f32_f64_e32 v4, v[216:217]
	v_cvt_f32_f64_e32 v5, v[206:207]
	v_min3_f32 v43, v4, v5, v43
	v_cvt_f32_f64_e32 v4, v[212:213]
	v_cvt_f32_f64_e32 v5, v[202:203]
	s_delay_alu instid0(VALU_DEP_1)
	v_min3_f32 v44, v4, v5, v44
	v_cvt_f32_f64_e32 v4, v[198:199]
	v_cvt_f32_f64_e32 v5, v[103:104]
	s_waitcnt vmcnt(2)
	v_cvt_f32_f64_e32 v68, v[21:22]
	scratch_load_b64 v[21:22], off, off offset:120 ; 8-byte Folded Reload
	v_min3_f32 v141, v67, v68, v141
	s_waitcnt vmcnt(2)
	v_min3_f32 v2, v0, v1, v2
	v_cvt_f32_f64_e32 v0, v[178:179]
	v_cvt_f32_f64_e32 v1, v[180:181]
	scratch_store_b32 off, v2, off          ; 4-byte Folded Spill
	v_min3_f32 v122, v0, v1, v122
	v_cvt_f32_f64_e32 v0, v[182:183]
	v_cvt_f32_f64_e32 v1, v[184:185]
	s_waitcnt vmcnt(1)
	v_min3_f32 v7, v4, v5, v7
	v_cvt_f32_f64_e32 v4, v[194:195]
	v_cvt_f32_f64_e32 v5, v[208:209]
	scratch_store_b32 off, v7, off offset:12 ; 4-byte Folded Spill
	scratch_load_b32 v7, off, off offset:8  ; 4-byte Folded Reload
	v_min3_f32 v124, v0, v1, v124
	v_min3_f32 v138, v4, v5, v138
	v_cvt_f32_f64_e32 v4, v[190:191]
	v_cvt_f32_f64_e32 v5, v[204:205]
	s_waitcnt vmcnt(1)
	v_cvt_f32_f64_e32 v67, v[21:22]
	scratch_load_b64 v[21:22], off, off offset:64 ; 8-byte Folded Reload
	s_waitcnt vmcnt(1)
	v_min3_f32 v7, v4, v5, v7
	v_cvt_f32_f64_e32 v4, v[220:221]
	scratch_load_b32 v221, off, off offset:24 ; 4-byte Folded Reload
	v_cvt_f32_f64_e32 v5, v[200:201]
	scratch_store_b32 off, v7, off offset:8 ; 4-byte Folded Spill
	v_min3_f32 v127, v4, v5, v127
	v_cvt_f32_f64_e32 v4, v[158:159]
	v_cvt_f32_f64_e32 v5, v[160:161]
	s_delay_alu instid0(VALU_DEP_1)
	v_min3_f32 v79, v4, v5, v79
	s_waitcnt vmcnt(1)
	v_cvt_f32_f64_e32 v68, v[21:22]
	scratch_load_b64 v[21:22], off, off offset:96 ; 8-byte Folded Reload
	v_min3_f32 v236, v67, v68, v236
	s_waitcnt vmcnt(0)
	v_cvt_f32_f64_e32 v67, v[21:22]
	scratch_load_b64 v[21:22], off, off offset:40 ; 8-byte Folded Reload
	s_waitcnt vmcnt(0)
	v_cvt_f32_f64_e32 v68, v[21:22]
	scratch_load_b64 v[21:22], off, off offset:128 ; 8-byte Folded Reload
	v_min3_f32 v137, v67, v68, v137
	s_waitcnt vmcnt(0)
	v_cvt_f32_f64_e32 v67, v[21:22]
	scratch_load_b64 v[21:22], off, off offset:72 ; 8-byte Folded Reload
	;; [unrolled: 7-line block ×10, first 2 shown]
	v_min3_f32 v80, v49, v50, v80
	v_cvt_f32_f64_e32 v49, v[25:26]
	s_waitcnt vmcnt(0)
	v_cvt_f32_f64_e32 v25, v[21:22]
	scratch_load_b64 v[21:22], off, off offset:232 ; 8-byte Folded Reload
	v_min3_f32 v242, v49, v25, v242
	s_waitcnt vmcnt(0)
	v_cvt_f32_f64_e32 v25, v[21:22]
	scratch_load_b64 v[21:22], off, off offset:224 ; 8-byte Folded Reload
	s_waitcnt vmcnt(0)
	v_cvt_f32_f64_e32 v26, v[21:22]
	scratch_load_b64 v[21:22], off, off offset:248 ; 8-byte Folded Reload
	v_min3_f32 v121, v25, v26, v121
	s_waitcnt vmcnt(0)
	v_cvt_f32_f64_e32 v25, v[21:22]
	scratch_load_b64 v[21:22], off, off offset:240 ; 8-byte Folded Reload
	s_waitcnt vmcnt(0)
	v_cvt_f32_f64_e32 v26, v[21:22]
	v_cvt_f32_f64_e32 v21, v[39:40]
	;; [unrolled: 1-line block ×3, first 2 shown]
	s_delay_alu instid0(VALU_DEP_3)
	v_min3_f32 v118, v25, v26, v118
	v_cvt_f32_f64_e32 v25, v[28:29]
	v_cvt_f32_f64_e32 v26, v[30:31]
	v_mov_b32_e32 v28, v32
	v_min3_f32 v42, v21, v22, v42
	v_cvt_f32_f64_e32 v21, v[47:48]
	v_cvt_f32_f64_e32 v22, v[75:76]
	v_min3_f32 v6, v25, v26, v6
	v_cvt_f32_f64_e32 v25, v[196:197]
	v_cvt_f32_f64_e32 v26, v[33:34]
	s_delay_alu instid0(VALU_DEP_4) | instskip(SKIP_1) | instid1(VALU_DEP_3)
	v_min3_f32 v41, v21, v22, v41
	v_cvt_f32_f64_e32 v21, v[73:74]
	v_min3_f32 v28, v25, v26, v28
	v_cvt_f32_f64_e32 v25, v[105:106]
	v_cvt_f32_f64_e32 v26, v[45:46]
	s_delay_alu instid0(VALU_DEP_1)
	v_min3_f32 v27, v25, v26, v27
	scratch_load_b64 v[25:26], off, off offset:272 ; 8-byte Folded Reload
	s_waitcnt vmcnt(0)
	v_cvt_f32_f64_e32 v22, v[25:26]
	scratch_load_b64 v[25:26], off, off offset:264 ; 8-byte Folded Reload
	v_min3_f32 v38, v21, v22, v38
	v_cvt_f32_f64_e32 v21, v[243:244]
	s_waitcnt vmcnt(0)
	v_cvt_f32_f64_e32 v22, v[25:26]
	scratch_load_b64 v[25:26], off, off offset:256 ; 8-byte Folded Reload
	v_min3_f32 v37, v21, v22, v37
	scratch_load_b64 v[21:22], off, off offset:280 ; 8-byte Folded Reload
	s_waitcnt vmcnt(0)
	v_cvt_f32_f64_e32 v21, v[21:22]
	v_cvt_f32_f64_e32 v22, v[25:26]
	s_delay_alu instid0(VALU_DEP_1) | instskip(SKIP_2) | instid1(VALU_DEP_1)
	v_min3_f32 v52, v21, v22, v52
	v_cvt_f32_f64_e32 v21, v[222:223]
	v_cvt_f32_f64_e32 v22, v[35:36]
	v_min3_f32 v51, v21, v22, v51
	v_cvt_f32_f64_e32 v21, v[135:136]
	v_cvt_f32_f64_e32 v22, v[23:24]
	s_delay_alu instid0(VALU_DEP_1) | instskip(SKIP_2) | instid1(VALU_DEP_1)
	v_min3_f32 v144, v21, v22, v144
	v_cvt_f32_f64_e32 v21, v[77:78]
	v_cvt_f32_f64_e32 v22, v[228:229]
	v_min3_f32 v143, v21, v22, v143
	;; [unrolled: 7-line block ×4, first 2 shown]
	v_cvt_f32_f64_e32 v22, v[113:114]
	scratch_load_b32 v113, off, off offset:20 ; 4-byte Folded Reload
	v_cvt_f32_f64_e32 v21, v[250:251]
	s_delay_alu instid0(VALU_DEP_1) | instskip(SKIP_2) | instid1(VALU_DEP_1)
	v_min3_f32 v72, v21, v22, v72
	v_cvt_f32_f64_e32 v21, v[254:255]
	v_cvt_f32_f64_e32 v22, v[252:253]
	v_min3_f32 v71, v21, v22, v71
	v_cvt_f32_f64_e32 v21, v[152:153]
	v_cvt_f32_f64_e32 v22, v[150:151]
	s_delay_alu instid0(VALU_DEP_1)
	v_min3_f32 v70, v21, v22, v70
	s_cbranch_vccz .LBB106_13
; %bb.14:                               ;   in Loop: Header=BB106_12 Depth=1
	scratch_load_b32 v0, off, off offset:368 ; 4-byte Folded Reload
	v_dual_mov_b32 v243, v44 :: v_dual_mov_b32 v244, v43
	v_mov_b32_e32 v62, v52
	s_mov_b32 s16, 0
	s_mov_b32 s14, -1
	s_waitcnt vmcnt(0)
	v_add_nc_u32_e32 v4, s12, v0
	s_delay_alu instid0(VALU_DEP_1) | instskip(NEXT) | instid1(VALU_DEP_1)
	v_mad_u64_u32 v[0:1], null, v4, s15, 0
	v_mad_u64_u32 v[2:3], null, v4, s18, v[1:2]
	s_delay_alu instid0(VALU_DEP_1)
	v_mov_b32_e32 v1, v2
	s_clause 0x2
	scratch_load_b32 v2, off, off offset:380
	scratch_load_b64 v[3:4], off, off offset:312
	scratch_load_b64 v[7:8], off, off offset:320
	v_lshlrev_b64 v[0:1], 3, v[0:1]
	s_waitcnt vmcnt(0)
	ds_store_2addr_stride64_b64 v2, v[3:4], v[7:8] offset1:4
	s_clause 0x1
	scratch_load_b64 v[3:4], off, off offset:328
	scratch_load_b64 v[7:8], off, off offset:336
	s_waitcnt vmcnt(0)
	ds_store_2addr_stride64_b64 v2, v[3:4], v[7:8] offset0:8 offset1:12
	scratch_load_b32 v2, off, off offset:288 ; 4-byte Folded Reload
	s_waitcnt vmcnt(0)
	v_add_co_u32 v0, vcc_lo, v2, v0
	scratch_load_b32 v2, off, off offset:296 ; 4-byte Folded Reload
	s_waitcnt vmcnt(0)
	v_add_co_ci_u32_e32 v1, vcc_lo, v2, v1, vcc_lo
	s_clause 0x1
	scratch_load_b32 v2, off, off offset:384
	scratch_load_b64 v[3:4], off, off offset:344
	s_waitcnt vmcnt(0)
	ds_store_b64 v2, v[3:4]
	s_waitcnt lgkmcnt(0)
	s_waitcnt_vscnt null, 0x0
	s_barrier
	buffer_gl0_inv
	flat_load_b64 v[2:3], v[0:1]
	s_waitcnt vmcnt(0) lgkmcnt(0)
	scratch_store_b64 off, v[2:3], off offset:312 ; 8-byte Folded Spill
	flat_load_b64 v[2:3], v[0:1] offset:512
	s_waitcnt vmcnt(0) lgkmcnt(0)
	scratch_store_b64 off, v[2:3], off offset:320 ; 8-byte Folded Spill
	s_clause 0x1
	flat_load_b64 v[2:3], v[0:1] offset:1024
	flat_load_b64 v[0:1], v[0:1] offset:1536
	s_waitcnt vmcnt(0) lgkmcnt(0)
	scratch_store_b64 off, v[0:1], off offset:336 ; 8-byte Folded Spill
	scratch_load_b64 v[0:1], off, off offset:304 ; 8-byte Folded Reload
	s_waitcnt vmcnt(0)
	flat_load_b64 v[0:1], v[0:1] offset:32
	scratch_store_b64 off, v[2:3], off offset:328 ; 8-byte Folded Spill
	s_waitcnt vmcnt(0) lgkmcnt(0)
	scratch_store_b64 off, v[0:1], off offset:304 ; 8-byte Folded Spill
.LBB106_15:                             ;   Parent Loop BB106_12 Depth=1
                                        ; =>  This Inner Loop Header: Depth=2
	s_lshl_b32 s16, s16, 3
	s_and_not1_b32 vcc_lo, exec_lo, s14
	s_waitcnt vmcnt(0)
	v_lshl_add_u32 v65, v221, 5, s16
	v_lshl_add_u32 v4, v113, 5, s16
	s_mov_b32 s16, 2
	s_mov_b32 s14, 0
	ds_load_b128 v[43:46], v65 offset:16384
	ds_load_b128 v[0:3], v4
	ds_load_b128 v[154:157], v4 offset:1024
	ds_load_b128 v[73:76], v65 offset:16640
	s_waitcnt lgkmcnt(2)
	v_add_f64 v[29:30], v[0:1], v[43:44]
	s_waitcnt lgkmcnt(1)
	v_add_f64 v[7:8], v[156:157], v[45:46]
	v_add_f64 v[63:64], v[2:3], v[45:46]
	scratch_store_b64 off, v[7:8], off offset:32 ; 8-byte Folded Spill
	v_add_f64 v[7:8], v[154:155], v[43:44]
	v_cvt_f32_f64_e32 v63, v[63:64]
	scratch_store_b64 off, v[7:8], off offset:88 ; 8-byte Folded Spill
	ds_load_b128 v[158:161], v4 offset:2048
	ds_load_b128 v[162:165], v4 offset:3072
	s_waitcnt lgkmcnt(1)
	v_add_f64 v[7:8], v[160:161], v[45:46]
	scratch_store_b64 off, v[7:8], off offset:64 ; 8-byte Folded Spill
	v_add_f64 v[7:8], v[158:159], v[43:44]
	scratch_store_b64 off, v[7:8], off offset:120 ; 8-byte Folded Spill
	s_waitcnt lgkmcnt(0)
	v_add_f64 v[7:8], v[164:165], v[45:46]
	scratch_store_b64 off, v[7:8], off offset:40 ; 8-byte Folded Spill
	v_add_f64 v[7:8], v[162:163], v[43:44]
	scratch_store_b64 off, v[7:8], off offset:96 ; 8-byte Folded Spill
	ds_load_b128 v[166:169], v4 offset:4096
	ds_load_b128 v[170:173], v4 offset:5120
	s_waitcnt lgkmcnt(1)
	v_add_f64 v[7:8], v[168:169], v[45:46]
	s_waitcnt lgkmcnt(0)
	v_add_f64 v[35:36], v[170:171], v[73:74]
	v_add_f64 v[39:40], v[166:167], v[43:44]
	scratch_store_b64 off, v[7:8], off offset:72 ; 8-byte Folded Spill
	v_add_f64 v[7:8], v[172:173], v[45:46]
	v_cvt_f32_f64_e32 v39, v[39:40]
	v_cvt_f32_f64_e32 v35, v[35:36]
	scratch_store_b64 off, v[7:8], off offset:48 ; 8-byte Folded Spill
	v_add_f64 v[7:8], v[170:171], v[43:44]
	scratch_store_b64 off, v[7:8], off offset:104 ; 8-byte Folded Spill
	ds_load_b128 v[174:177], v4 offset:6144
	ds_load_b128 v[178:181], v4 offset:7168
	s_waitcnt lgkmcnt(1)
	v_add_f64 v[4:5], v[176:177], v[45:46]
	scratch_store_b64 off, v[4:5], off offset:80 ; 8-byte Folded Spill
	v_add_f64 v[4:5], v[174:175], v[43:44]
	scratch_store_b64 off, v[4:5], off offset:128 ; 8-byte Folded Spill
	s_waitcnt lgkmcnt(0)
	v_add_f64 v[4:5], v[180:181], v[45:46]
	scratch_store_b64 off, v[4:5], off offset:56 ; 8-byte Folded Spill
	v_add_f64 v[4:5], v[178:179], v[43:44]
	scratch_store_b64 off, v[4:5], off offset:112 ; 8-byte Folded Spill
	;; [unrolled: 2-line block ×17, first 2 shown]
	ds_load_b128 v[182:185], v65 offset:16896
	ds_load_b128 v[186:189], v65 offset:17152
	s_waitcnt lgkmcnt(1)
	v_add_f64 v[4:5], v[172:173], v[184:185]
	v_add_f64 v[75:76], v[2:3], v[184:185]
	;; [unrolled: 1-line block ×13, first 2 shown]
	s_waitcnt lgkmcnt(0)
	v_add_f64 v[87:88], v[2:3], v[188:189]
	v_add_f64 v[150:151], v[0:1], v[186:187]
	;; [unrolled: 1-line block ×16, first 2 shown]
	scratch_store_b64 off, v[4:5], off offset:272 ; 8-byte Folded Spill
	v_add_f64 v[4:5], v[176:177], v[184:185]
	v_cvt_f32_f64_e32 v31, v[31:32]
	v_cvt_f32_f64_e32 v32, v[75:76]
	scratch_store_b64 off, v[4:5], off offset:264 ; 8-byte Folded Spill
	v_add_f64 v[4:5], v[180:181], v[184:185]
	v_min3_f32 v6, v31, v32, v6
	v_cvt_f32_f64_e32 v31, v[85:86]
	v_cvt_f32_f64_e32 v32, v[83:84]
	scratch_store_b64 off, v[4:5], off offset:256 ; 8-byte Folded Spill
	v_add_f64 v[4:5], v[178:179], v[182:183]
	v_min3_f32 v28, v31, v32, v28
	v_cvt_f32_f64_e32 v31, v[89:90]
	v_cvt_f32_f64_e32 v32, v[91:92]
	scratch_store_b64 off, v[4:5], off offset:280 ; 8-byte Folded Spill
	ds_load_b128 v[182:185], v65 offset:17408
	ds_load_b128 v[186:189], v65 offset:17664
	v_min3_f32 v27, v31, v32, v27
	v_cvt_f32_f64_e32 v31, v[93:94]
	v_cvt_f32_f64_e32 v32, v[95:96]
	s_waitcnt lgkmcnt(1)
	v_add_f64 v[218:219], v[2:3], v[184:185]
	v_add_f64 v[220:221], v[0:1], v[182:183]
	;; [unrolled: 1-line block ×16, first 2 shown]
	s_waitcnt lgkmcnt(0)
	v_add_f64 v[250:251], v[2:3], v[188:189]
	v_add_f64 v[252:253], v[0:1], v[186:187]
	;; [unrolled: 1-line block ×16, first 2 shown]
	ds_load_b128 v[182:185], v65 offset:17920
	ds_load_b128 v[186:189], v65 offset:18176
	v_min3_f32 v42, v31, v32, v42
	v_cvt_f32_f64_e32 v31, v[97:98]
	v_cvt_f32_f64_e32 v32, v[103:104]
	s_waitcnt lgkmcnt(1)
	v_add_f64 v[67:68], v[0:1], v[182:183]
	v_add_f64 v[113:114], v[154:155], v[182:183]
	v_add_f64 v[125:126], v[158:159], v[182:183]
	v_add_f64 v[139:140], v[162:163], v[182:183]
	v_add_f64 v[77:78], v[166:167], v[182:183]
	v_add_f64 v[132:133], v[170:171], v[182:183]
	v_add_f64 v[135:136], v[174:175], v[182:183]
	v_add_f64 v[182:183], v[178:179], v[182:183]
	s_waitcnt lgkmcnt(0)
	v_add_f64 v[0:1], v[0:1], v[186:187]
	v_add_f64 v[154:155], v[154:155], v[186:187]
	;; [unrolled: 1-line block ×8, first 2 shown]
	v_mov_b32_e32 v186, v79
	v_cvt_f32_f64_e32 v79, v[29:30]
	scratch_load_b64 v[29:30], off, off offset:88 ; 8-byte Folded Reload
	v_cvt_f32_f64_e32 v7, v[7:8]
	v_cvt_f32_f64_e32 v8, v[254:255]
	;; [unrolled: 1-line block ×4, first 2 shown]
	v_add_f64 v[65:66], v[2:3], v[184:185]
	v_min3_f32 v41, v31, v32, v41
	v_cvt_f32_f64_e32 v31, v[101:102]
	v_add_f64 v[2:3], v[2:3], v[188:189]
	v_add_f64 v[111:112], v[156:157], v[184:185]
	v_add_f64 v[128:129], v[160:161], v[184:185]
	v_add_f64 v[156:157], v[156:157], v[188:189]
	v_add_f64 v[119:120], v[164:165], v[184:185]
	v_add_f64 v[160:161], v[160:161], v[188:189]
	v_add_f64 v[164:165], v[164:165], v[188:189]
	v_add_f64 v[9:10], v[168:169], v[184:185]
	v_add_f64 v[168:169], v[168:169], v[188:189]
	v_add_f64 v[11:12], v[172:173], v[184:185]
	v_add_f64 v[172:173], v[172:173], v[188:189]
	v_add_f64 v[81:82], v[176:177], v[184:185]
	v_add_f64 v[176:177], v[176:177], v[188:189]
	v_add_f64 v[184:185], v[180:181], v[184:185]
	v_add_f64 v[180:181], v[180:181], v[188:189]
	v_cvt_f32_f64_e32 v0, v[0:1]
	v_min3_f32 v142, v79, v63, v142
	v_mov_b32_e32 v79, v186
	v_min3_f32 v239, v7, v8, v239
	v_cvt_f32_f64_e32 v7, v[17:18]
	v_cvt_f32_f64_e32 v8, v[19:20]
	;; [unrolled: 1-line block ×3, first 2 shown]
	scratch_load_b32 v2, off, off offset:4  ; 4-byte Folded Reload
	v_min3_f32 v241, v7, v8, v241
	v_cvt_f32_f64_e32 v7, v[13:14]
	v_min3_f32 v247, v0, v1, v247
	v_cvt_f32_f64_e32 v0, v[154:155]
	v_cvt_f32_f64_e32 v1, v[156:157]
	s_delay_alu instid0(VALU_DEP_4)
	v_min3_f32 v134, v7, v4, v134
	scratch_load_b32 v7, off, off offset:16 ; 4-byte Folded Reload
	v_cvt_f32_f64_e32 v4, v[192:193]
	v_min3_f32 v116, v0, v1, v116
	v_cvt_f32_f64_e32 v0, v[158:159]
	v_cvt_f32_f64_e32 v1, v[160:161]
	s_delay_alu instid0(VALU_DEP_4) | instskip(SKIP_2) | instid1(VALU_DEP_1)
	v_min3_f32 v248, v4, v5, v248
	v_cvt_f32_f64_e32 v4, v[107:108]
	v_cvt_f32_f64_e32 v5, v[105:106]
	v_min3_f32 v246, v4, v5, v246
	v_cvt_f32_f64_e32 v4, v[23:24]
	v_cvt_f32_f64_e32 v5, v[21:22]
	s_waitcnt vmcnt(2)
	v_cvt_f32_f64_e32 v63, v[29:30]
	scratch_load_b64 v[29:30], off, off offset:32 ; 8-byte Folded Reload
	s_waitcnt vmcnt(2)
	v_min3_f32 v2, v0, v1, v2
	v_cvt_f32_f64_e32 v0, v[162:163]
	v_cvt_f32_f64_e32 v1, v[164:165]
	scratch_store_b32 off, v2, off offset:4 ; 4-byte Folded Spill
	scratch_load_b32 v2, off, off           ; 4-byte Folded Reload
	v_min3_f32 v249, v0, v1, v249
	v_cvt_f32_f64_e32 v0, v[166:167]
	v_cvt_f32_f64_e32 v1, v[168:169]
	s_waitcnt vmcnt(2)
	v_min3_f32 v7, v4, v5, v7
	v_cvt_f32_f64_e32 v4, v[109:110]
	v_cvt_f32_f64_e32 v5, v[25:26]
	scratch_store_b32 off, v7, off offset:16 ; 4-byte Folded Spill
	scratch_load_b32 v7, off, off offset:12 ; 4-byte Folded Reload
	v_min3_f32 v117, v0, v1, v117
	v_cvt_f32_f64_e32 v0, v[170:171]
	v_cvt_f32_f64_e32 v1, v[172:173]
	v_min3_f32 v234, v4, v5, v234
	v_cvt_f32_f64_e32 v4, v[67:68]
	v_cvt_f32_f64_e32 v5, v[65:66]
	s_delay_alu instid0(VALU_DEP_1) | instskip(SKIP_3) | instid1(VALU_DEP_1)
	v_min3_f32 v131, v4, v5, v131
	v_cvt_f32_f64_e32 v4, v[113:114]
	scratch_load_b32 v113, off, off offset:20 ; 4-byte Folded Reload
	v_cvt_f32_f64_e32 v5, v[111:112]
	v_min3_f32 v244, v4, v5, v244
	v_cvt_f32_f64_e32 v4, v[125:126]
	v_cvt_f32_f64_e32 v5, v[128:129]
	s_delay_alu instid0(VALU_DEP_1)
	v_min3_f32 v243, v4, v5, v243
	v_cvt_f32_f64_e32 v4, v[139:140]
	v_cvt_f32_f64_e32 v5, v[119:120]
	s_waitcnt vmcnt(3)
	v_cvt_f32_f64_e32 v64, v[29:30]
	scratch_load_b64 v[29:30], off, off offset:120 ; 8-byte Folded Reload
	v_min3_f32 v141, v63, v64, v141
	s_waitcnt vmcnt(3)
	v_min3_f32 v2, v0, v1, v2
	v_cvt_f32_f64_e32 v0, v[174:175]
	v_cvt_f32_f64_e32 v1, v[176:177]
	scratch_store_b32 off, v2, off          ; 4-byte Folded Spill
	v_min3_f32 v122, v0, v1, v122
	v_cvt_f32_f64_e32 v0, v[178:179]
	v_cvt_f32_f64_e32 v1, v[180:181]
	s_waitcnt vmcnt(2)
	v_min3_f32 v7, v4, v5, v7
	v_cvt_f32_f64_e32 v4, v[77:78]
	v_cvt_f32_f64_e32 v5, v[9:10]
	scratch_store_b32 off, v7, off offset:12 ; 4-byte Folded Spill
	scratch_load_b32 v7, off, off offset:8  ; 4-byte Folded Reload
	v_min3_f32 v124, v0, v1, v124
	v_min3_f32 v138, v4, v5, v138
	v_cvt_f32_f64_e32 v4, v[132:133]
	v_cvt_f32_f64_e32 v5, v[11:12]
	s_waitcnt vmcnt(1)
	v_cvt_f32_f64_e32 v63, v[29:30]
	scratch_load_b64 v[29:30], off, off offset:64 ; 8-byte Folded Reload
	s_waitcnt vmcnt(1)
	v_min3_f32 v7, v4, v5, v7
	v_cvt_f32_f64_e32 v4, v[135:136]
	v_cvt_f32_f64_e32 v5, v[81:82]
	scratch_store_b32 off, v7, off offset:8 ; 4-byte Folded Spill
	v_min3_f32 v127, v4, v5, v127
	v_cvt_f32_f64_e32 v4, v[182:183]
	v_cvt_f32_f64_e32 v5, v[184:185]
	s_delay_alu instid0(VALU_DEP_1)
	v_min3_f32 v79, v4, v5, v79
	s_waitcnt vmcnt(0)
	v_cvt_f32_f64_e32 v64, v[29:30]
	scratch_load_b64 v[29:30], off, off offset:96 ; 8-byte Folded Reload
	v_min3_f32 v236, v63, v64, v236
	s_waitcnt vmcnt(0)
	v_cvt_f32_f64_e32 v63, v[29:30]
	scratch_load_b64 v[29:30], off, off offset:40 ; 8-byte Folded Reload
	s_waitcnt vmcnt(0)
	v_cvt_f32_f64_e32 v64, v[29:30]
	scratch_load_b64 v[29:30], off, off offset:72 ; 8-byte Folded Reload
	v_min3_f32 v137, v63, v64, v137
	s_waitcnt vmcnt(0)
	v_cvt_f32_f64_e32 v40, v[29:30]
	scratch_load_b64 v[29:30], off, off offset:104 ; 8-byte Folded Reload
	v_min3_f32 v226, v39, v40, v226
	s_waitcnt vmcnt(0)
	v_cvt_f32_f64_e32 v39, v[29:30]
	scratch_load_b64 v[29:30], off, off offset:48 ; 8-byte Folded Reload
	s_waitcnt vmcnt(0)
	v_cvt_f32_f64_e32 v40, v[29:30]
	scratch_load_b64 v[29:30], off, off offset:128 ; 8-byte Folded Reload
	v_min3_f32 v240, v39, v40, v240
	s_waitcnt vmcnt(0)
	v_cvt_f32_f64_e32 v39, v[29:30]
	scratch_load_b64 v[29:30], off, off offset:80 ; 8-byte Folded Reload
	;; [unrolled: 7-line block ×9, first 2 shown]
	v_min3_f32 v242, v35, v36, v242
	s_waitcnt vmcnt(0)
	v_cvt_f32_f64_e32 v35, v[29:30]
	scratch_load_b64 v[29:30], off, off offset:224 ; 8-byte Folded Reload
	s_waitcnt vmcnt(0)
	v_cvt_f32_f64_e32 v36, v[29:30]
	scratch_load_b64 v[29:30], off, off offset:248 ; 8-byte Folded Reload
	v_min3_f32 v121, v35, v36, v121
	s_waitcnt vmcnt(0)
	v_cvt_f32_f64_e32 v35, v[29:30]
	scratch_load_b64 v[29:30], off, off offset:240 ; 8-byte Folded Reload
	s_waitcnt vmcnt(0)
	v_cvt_f32_f64_e32 v36, v[29:30]
	scratch_load_b64 v[29:30], off, off offset:272 ; 8-byte Folded Reload
	v_min3_f32 v118, v35, v36, v118
	s_waitcnt vmcnt(0)
	v_cvt_f32_f64_e32 v32, v[29:30]
	scratch_load_b64 v[29:30], off, off offset:264 ; 8-byte Folded Reload
	v_min3_f32 v38, v31, v32, v38
	v_cvt_f32_f64_e32 v31, v[99:100]
	s_waitcnt vmcnt(0)
	v_cvt_f32_f64_e32 v32, v[29:30]
	scratch_load_b64 v[29:30], off, off offset:280 ; 8-byte Folded Reload
	v_min3_f32 v37, v31, v32, v37
	s_waitcnt vmcnt(0)
	v_cvt_f32_f64_e32 v31, v[29:30]
	scratch_load_b64 v[29:30], off, off offset:256 ; 8-byte Folded Reload
	s_waitcnt vmcnt(0)
	v_cvt_f32_f64_e32 v32, v[29:30]
	v_cvt_f32_f64_e32 v29, v[73:74]
	;; [unrolled: 1-line block ×3, first 2 shown]
	s_delay_alu instid0(VALU_DEP_3) | instskip(SKIP_2) | instid1(VALU_DEP_1)
	v_min3_f32 v62, v31, v32, v62
	v_cvt_f32_f64_e32 v31, v[150:151]
	v_cvt_f32_f64_e32 v32, v[87:88]
	v_min3_f32 v51, v31, v32, v51
	v_cvt_f32_f64_e32 v31, v[190:191]
	v_cvt_f32_f64_e32 v32, v[152:153]
	s_delay_alu instid0(VALU_DEP_1) | instskip(SKIP_1) | instid1(VALU_DEP_1)
	v_min3_f32 v144, v31, v32, v144
	v_cvt_f32_f64_e32 v31, v[194:195]
	v_min3_f32 v143, v31, v29, v143
	v_cvt_f32_f64_e32 v29, v[200:201]
	s_delay_alu instid0(VALU_DEP_1) | instskip(SKIP_2) | instid1(VALU_DEP_1)
	v_min3_f32 v149, v29, v30, v149
	v_cvt_f32_f64_e32 v29, v[204:205]
	v_cvt_f32_f64_e32 v30, v[202:203]
	v_min3_f32 v237, v29, v30, v237
	v_cvt_f32_f64_e32 v29, v[208:209]
	v_cvt_f32_f64_e32 v30, v[206:207]
	s_delay_alu instid0(VALU_DEP_1) | instskip(SKIP_2) | instid1(VALU_DEP_1)
	v_min3_f32 v146, v29, v30, v146
	v_cvt_f32_f64_e32 v29, v[212:213]
	v_cvt_f32_f64_e32 v30, v[210:211]
	v_min3_f32 v145, v29, v30, v145
	v_cvt_f32_f64_e32 v29, v[216:217]
	v_cvt_f32_f64_e32 v30, v[214:215]
	s_delay_alu instid0(VALU_DEP_1) | instskip(SKIP_3) | instid1(VALU_DEP_1)
	v_min3_f32 v72, v29, v30, v72
	v_cvt_f32_f64_e32 v29, v[220:221]
	scratch_load_b32 v221, off, off offset:24 ; 4-byte Folded Reload
	v_cvt_f32_f64_e32 v30, v[218:219]
	v_min3_f32 v71, v29, v30, v71
	v_cvt_f32_f64_e32 v29, v[15:16]
	v_cvt_f32_f64_e32 v30, v[222:223]
	;; [unrolled: 1-line block ×4, first 2 shown]
	s_delay_alu instid0(VALU_DEP_3) | instskip(SKIP_2) | instid1(VALU_DEP_1)
	v_min3_f32 v70, v29, v30, v70
	v_cvt_f32_f64_e32 v29, v[228:229]
	v_cvt_f32_f64_e32 v30, v[33:34]
	v_min3_f32 v69, v29, v30, v69
	v_cvt_f32_f64_e32 v29, v[232:233]
	v_cvt_f32_f64_e32 v30, v[45:46]
	s_delay_alu instid0(VALU_DEP_1) | instskip(SKIP_2) | instid1(VALU_DEP_1)
	v_min3_f32 v224, v29, v30, v224
	v_cvt_f32_f64_e32 v29, v[43:44]
	v_cvt_f32_f64_e32 v30, v[49:50]
	v_min3_f32 v147, v29, v30, v147
	v_cvt_f32_f64_e32 v29, v[47:48]
	s_delay_alu instid0(VALU_DEP_1) | instskip(SKIP_1) | instid1(VALU_DEP_1)
	v_min3_f32 v225, v29, v15, v225
	v_cvt_f32_f64_e32 v15, v[52:53]
	v_min3_f32 v148, v15, v16, v148
	v_cvt_f32_f64_e32 v15, v[56:57]
	v_cvt_f32_f64_e32 v16, v[60:61]
	s_delay_alu instid0(VALU_DEP_1) | instskip(SKIP_2) | instid1(VALU_DEP_1)
	v_min3_f32 v230, v15, v16, v230
	v_cvt_f32_f64_e32 v15, v[252:253]
	v_cvt_f32_f64_e32 v16, v[250:251]
	v_min3_f32 v227, v15, v16, v227
	s_cbranch_vccz .LBB106_15
; %bb.16:                               ;   in Loop: Header=BB106_12 Depth=1
	s_clause 0x2
	scratch_load_b32 v0, off, off offset:388
	scratch_load_b64 v[1:2], off, off offset:312
	scratch_load_b64 v[3:4], off, off offset:320
	v_dual_mov_b32 v43, v244 :: v_dual_mov_b32 v44, v243
	v_mov_b32_e32 v52, v62
	s_add_i32 s13, s13, 8
	s_add_i32 s12, s12, 8
	s_cmp_ge_i32 s13, s11
	s_waitcnt vmcnt(0)
	ds_store_2addr_stride64_b64 v0, v[1:2], v[3:4] offset1:4
	s_clause 0x1
	scratch_load_b64 v[1:2], off, off offset:328
	scratch_load_b64 v[3:4], off, off offset:336
	s_waitcnt vmcnt(0)
	ds_store_2addr_stride64_b64 v0, v[1:2], v[3:4] offset0:8 offset1:12
	s_clause 0x1
	scratch_load_b32 v0, off, off offset:392
	scratch_load_b64 v[1:2], off, off offset:304
	s_waitcnt vmcnt(0)
	ds_store_b64 v0, v[1:2]
	s_waitcnt lgkmcnt(0)
	s_waitcnt_vscnt null, 0x0
	s_barrier
	buffer_gl0_inv
	s_cbranch_scc1 .LBB106_19
; %bb.17:                               ;   in Loop: Header=BB106_12 Depth=1
	scratch_load_b64 v[4:5], off, off offset:352 ; 8-byte Folded Reload
	s_branch .LBB106_12
.LBB106_18:
	v_mov_b32_e32 v145, v205
	v_mov_b32_e32 v71, v203
	;; [unrolled: 1-line block ×3, first 2 shown]
	s_branch .LBB106_20
.LBB106_19:
	v_mov_b32_e32 v107, v37
.LBB106_20:
	v_dual_mov_b32 v112, v28 :: v_dual_mov_b32 v229, v70
	v_dual_mov_b32 v102, v38 :: v_dual_mov_b32 v57, v237
	;; [unrolled: 1-line block ×10, first 2 shown]
	s_mov_b32 s12, 0
	s_mov_b32 s11, -1
.LBB106_21:                             ; =>This Inner Loop Header: Depth=1
	s_lshl_b32 s12, s12, 3
	v_mov_b32_e32 v81, v127
	v_lshl_add_u32 v4, v221, 5, s12
	v_lshl_add_u32 v5, v113, 5, s12
	s_mov_b32 s12, 2
	s_and_not1_b32 vcc_lo, exec_lo, s11
	s_mov_b32 s11, 0
	ds_load_b128 v[32:35], v4 offset:18432
	ds_load_b128 v[0:3], v5 offset:8192
	;; [unrolled: 1-line block ×4, first 2 shown]
	s_waitcnt lgkmcnt(2)
	v_add_f64 v[127:128], v[0:1], v[32:33]
	s_waitcnt lgkmcnt(1)
	v_add_f64 v[7:8], v[64:65], v[34:35]
	v_add_f64 v[66:67], v[2:3], v[34:35]
	scratch_store_b64 off, v[7:8], off offset:32 ; 8-byte Folded Spill
	v_add_f64 v[7:8], v[62:63], v[32:33]
	v_cvt_f32_f64_e32 v66, v[66:67]
	scratch_store_b64 off, v[7:8], off offset:88 ; 8-byte Folded Spill
	ds_load_b128 v[72:75], v5 offset:10240
	ds_load_b128 v[143:146], v5 offset:11264
	s_waitcnt lgkmcnt(1)
	v_add_f64 v[7:8], v[74:75], v[34:35]
	scratch_store_b64 off, v[7:8], off offset:64 ; 8-byte Folded Spill
	v_add_f64 v[7:8], v[72:73], v[32:33]
	scratch_store_b64 off, v[7:8], off offset:120 ; 8-byte Folded Spill
	s_waitcnt lgkmcnt(0)
	v_add_f64 v[7:8], v[145:146], v[34:35]
	scratch_store_b64 off, v[7:8], off offset:40 ; 8-byte Folded Spill
	v_add_f64 v[7:8], v[143:144], v[32:33]
	scratch_store_b64 off, v[7:8], off offset:96 ; 8-byte Folded Spill
	ds_load_b128 v[147:150], v5 offset:12288
	ds_load_b128 v[151:154], v5 offset:13312
	s_waitcnt lgkmcnt(1)
	v_add_f64 v[7:8], v[149:150], v[34:35]
	scratch_store_b64 off, v[7:8], off offset:72 ; 8-byte Folded Spill
	v_add_f64 v[7:8], v[147:148], v[32:33]
	scratch_store_b64 off, v[7:8], off offset:128 ; 8-byte Folded Spill
	s_waitcnt lgkmcnt(0)
	v_add_f64 v[7:8], v[153:154], v[34:35]
	scratch_store_b64 off, v[7:8], off offset:48 ; 8-byte Folded Spill
	v_add_f64 v[7:8], v[151:152], v[32:33]
	;; [unrolled: 12-line block ×3, first 2 shown]
	v_add_f64 v[31:32], v[155:156], v[68:69]
	v_cvt_f32_f64_e32 v33, v[127:128]
	v_mov_b32_e32 v127, v81
	scratch_store_b64 off, v[7:8], off offset:112 ; 8-byte Folded Spill
	v_add_f64 v[7:8], v[2:3], v[70:71]
	v_min3_f32 v142, v33, v66, v142
	scratch_store_b64 off, v[7:8], off offset:144 ; 8-byte Folded Spill
	v_add_f64 v[7:8], v[0:1], v[68:69]
	scratch_store_b64 off, v[7:8], off offset:152 ; 8-byte Folded Spill
	v_add_f64 v[7:8], v[64:65], v[70:71]
	;; [unrolled: 2-line block ×14, first 2 shown]
	scratch_store_b64 off, v[7:8], off offset:256 ; 8-byte Folded Spill
	ds_load_b128 v[68:71], v4 offset:18944
	ds_load_b128 v[163:166], v4 offset:19200
	s_waitcnt lgkmcnt(1)
	v_add_f64 v[7:8], v[149:150], v[70:71]
	v_add_f64 v[90:91], v[2:3], v[70:71]
	;; [unrolled: 1-line block ×11, first 2 shown]
	s_waitcnt lgkmcnt(0)
	v_add_f64 v[114:115], v[2:3], v[165:166]
	v_add_f64 v[119:120], v[0:1], v[163:164]
	;; [unrolled: 1-line block ×16, first 2 shown]
	scratch_store_b64 off, v[7:8], off offset:296 ; 8-byte Folded Spill
	v_add_f64 v[7:8], v[153:154], v[70:71]
	scratch_store_b64 off, v[7:8], off offset:280 ; 8-byte Folded Spill
	v_add_f64 v[7:8], v[157:158], v[70:71]
	;; [unrolled: 2-line block ×5, first 2 shown]
	scratch_store_b64 off, v[7:8], off offset:288 ; 8-byte Folded Spill
	ds_load_b128 v[68:71], v4 offset:19456
	ds_load_b128 v[163:166], v4 offset:19712
	s_waitcnt lgkmcnt(1)
	v_add_f64 v[187:188], v[2:3], v[70:71]
	v_add_f64 v[189:190], v[0:1], v[68:69]
	;; [unrolled: 1-line block ×16, first 2 shown]
	s_waitcnt lgkmcnt(0)
	v_add_f64 v[219:220], v[2:3], v[165:166]
	v_add_f64 v[221:222], v[0:1], v[163:164]
	v_add_f64 v[243:244], v[64:65], v[165:166]
	v_add_f64 v[135:136], v[62:63], v[163:164]
	v_add_f64 v[227:228], v[74:75], v[165:166]
	v_add_f64 v[76:77], v[72:73], v[163:164]
	v_add_f64 v[51:52], v[145:146], v[165:166]
	v_add_f64 v[37:38], v[143:144], v[163:164]
	v_add_f64 v[47:48], v[149:150], v[165:166]
	v_add_f64 v[139:140], v[147:148], v[163:164]
	v_add_f64 v[45:46], v[153:154], v[165:166]
	v_add_f64 v[40:41], v[151:152], v[163:164]
	v_add_f64 v[35:36], v[157:158], v[165:166]
	v_add_f64 v[132:133], v[155:156], v[163:164]
	v_add_f64 v[250:251], v[161:162], v[165:166]
	v_add_f64 v[252:253], v[159:160], v[163:164]
	ds_load_b128 v[68:71], v4 offset:19968
	ds_load_b128 v[163:166], v4 offset:20224
	s_clause 0x1
	scratch_load_b64 v[33:34], off, off offset:88
	scratch_load_b64 v[66:67], off, off offset:32
	s_waitcnt lgkmcnt(1)
	v_add_f64 v[254:255], v[2:3], v[70:71]
	v_add_f64 v[4:5], v[0:1], v[68:69]
	s_waitcnt lgkmcnt(0)
	v_add_f64 v[2:3], v[2:3], v[165:166]
	v_add_f64 v[0:1], v[0:1], v[163:164]
	v_add_f64 v[11:12], v[64:65], v[70:71]
	v_add_f64 v[7:8], v[62:63], v[68:69]
	v_add_f64 v[64:65], v[64:65], v[165:166]
	v_add_f64 v[62:63], v[62:63], v[163:164]
	v_add_f64 v[15:16], v[74:75], v[70:71]
	v_add_f64 v[9:10], v[72:73], v[68:69]
	v_add_f64 v[74:75], v[74:75], v[165:166]
	v_add_f64 v[72:73], v[72:73], v[163:164]
	v_add_f64 v[19:20], v[145:146], v[70:71]
	v_add_f64 v[13:14], v[143:144], v[68:69]
	v_add_f64 v[145:146], v[145:146], v[165:166]
	v_add_f64 v[143:144], v[143:144], v[163:164]
	v_add_f64 v[23:24], v[149:150], v[70:71]
	v_add_f64 v[17:18], v[147:148], v[68:69]
	v_add_f64 v[149:150], v[149:150], v[165:166]
	v_add_f64 v[147:148], v[147:148], v[163:164]
	v_add_f64 v[27:28], v[153:154], v[70:71]
	v_add_f64 v[21:22], v[151:152], v[68:69]
	v_add_f64 v[153:154], v[153:154], v[165:166]
	v_add_f64 v[151:152], v[151:152], v[163:164]
	v_add_f64 v[29:30], v[157:158], v[70:71]
	v_add_f64 v[25:26], v[155:156], v[68:69]
	v_add_f64 v[157:158], v[157:158], v[165:166]
	v_add_f64 v[155:156], v[155:156], v[163:164]
	v_add_f64 v[70:71], v[161:162], v[70:71]
	v_add_f64 v[68:69], v[159:160], v[68:69]
	v_add_f64 v[161:162], v[161:162], v[165:166]
	v_add_f64 v[159:160], v[159:160], v[163:164]
	v_cvt_f32_f64_e32 v4, v[4:5]
	v_cvt_f32_f64_e32 v5, v[254:255]
	v_cvt_f32_f64_e32 v0, v[0:1]
	v_cvt_f32_f64_e32 v1, v[2:3]
	s_delay_alu instid0(VALU_DEP_3) | instskip(SKIP_2) | instid1(VALU_DEP_4)
	v_min3_f32 v131, v4, v5, v131
	v_cvt_f32_f64_e32 v4, v[7:8]
	v_cvt_f32_f64_e32 v5, v[11:12]
	v_min3_f32 v247, v0, v1, v247
	v_cvt_f32_f64_e32 v0, v[62:63]
	v_cvt_f32_f64_e32 v1, v[64:65]
	s_delay_alu instid0(VALU_DEP_4) | instskip(SKIP_2) | instid1(VALU_DEP_4)
	v_min3_f32 v43, v4, v5, v43
	v_cvt_f32_f64_e32 v4, v[9:10]
	v_cvt_f32_f64_e32 v5, v[15:16]
	v_min3_f32 v116, v0, v1, v116
	v_cvt_f32_f64_e32 v0, v[72:73]
	v_cvt_f32_f64_e32 v1, v[74:75]
	s_delay_alu instid0(VALU_DEP_4)
	v_min3_f32 v44, v4, v5, v44
	v_cvt_f32_f64_e32 v4, v[13:14]
	v_cvt_f32_f64_e32 v5, v[19:20]
	s_waitcnt vmcnt(1)
	v_cvt_f32_f64_e32 v33, v[33:34]
	s_waitcnt vmcnt(0)
	v_cvt_f32_f64_e32 v66, v[66:67]
	s_delay_alu instid0(VALU_DEP_1)
	v_min3_f32 v141, v33, v66, v141
	s_clause 0x1
	scratch_load_b64 v[33:34], off, off offset:120
	scratch_load_b64 v[66:67], off, off offset:64
	s_waitcnt vmcnt(1)
	v_cvt_f32_f64_e32 v33, v[33:34]
	s_waitcnt vmcnt(0)
	v_cvt_f32_f64_e32 v66, v[66:67]
	s_delay_alu instid0(VALU_DEP_1)
	v_min3_f32 v236, v33, v66, v236
	s_clause 0x1
	scratch_load_b64 v[33:34], off, off offset:96
	scratch_load_b64 v[66:67], off, off offset:40
	;; [unrolled: 9-line block ×7, first 2 shown]
	s_waitcnt vmcnt(1)
	v_cvt_f32_f64_e32 v33, v[33:34]
	s_waitcnt vmcnt(0)
	v_cvt_f32_f64_e32 v34, v[66:67]
	scratch_load_b64 v[66:67], off, off offset:160 ; 8-byte Folded Reload
	v_min3_f32 v130, v33, v34, v130
	scratch_load_b64 v[33:34], off, off offset:168 ; 8-byte Folded Reload
	s_waitcnt vmcnt(0)
	v_cvt_f32_f64_e32 v33, v[33:34]
	v_cvt_f32_f64_e32 v34, v[66:67]
	scratch_load_b64 v[66:67], off, off offset:176 ; 8-byte Folded Reload
	v_min3_f32 v238, v33, v34, v238
	scratch_load_b64 v[33:34], off, off offset:184 ; 8-byte Folded Reload
	s_waitcnt vmcnt(0)
	v_cvt_f32_f64_e32 v33, v[33:34]
	;; [unrolled: 6-line block ×4, first 2 shown]
	v_cvt_f32_f64_e32 v34, v[66:67]
	s_delay_alu instid0(VALU_DEP_1)
	v_min3_f32 v80, v33, v34, v80
	s_clause 0x2
	scratch_load_b64 v[33:34], off, off offset:232
	scratch_load_b32 v50, off, off offset:16
	scratch_load_b64 v[66:67], off, off offset:224
	s_waitcnt vmcnt(2)
	v_cvt_f32_f64_e32 v33, v[33:34]
	s_waitcnt vmcnt(0)
	v_cvt_f32_f64_e32 v34, v[66:67]
	s_delay_alu instid0(VALU_DEP_1)
	v_min3_f32 v242, v33, v34, v242
	v_cvt_f32_f64_e32 v33, v[31:32]
	s_clause 0x1
	scratch_load_b64 v[31:32], off, off offset:240
	scratch_load_b32 v34, off, off offset:4
	s_waitcnt vmcnt(1)
	v_cvt_f32_f64_e32 v31, v[31:32]
	s_delay_alu instid0(VALU_DEP_1)
	v_min3_f32 v121, v33, v31, v121
	scratch_load_b64 v[31:32], off, off offset:256 ; 8-byte Folded Reload
	s_waitcnt vmcnt(0)
	v_cvt_f32_f64_e32 v31, v[31:32]
	scratch_load_b64 v[32:33], off, off offset:248 ; 8-byte Folded Reload
	s_waitcnt vmcnt(0)
	v_cvt_f32_f64_e32 v32, v[32:33]
	s_delay_alu instid0(VALU_DEP_1) | instskip(SKIP_2) | instid1(VALU_DEP_1)
	v_min3_f32 v118, v31, v32, v118
	v_cvt_f32_f64_e32 v31, v[86:87]
	v_cvt_f32_f64_e32 v32, v[90:91]
	v_min3_f32 v6, v31, v32, v6
	v_cvt_f32_f64_e32 v31, v[88:89]
	v_cvt_f32_f64_e32 v32, v[94:95]
	s_delay_alu instid0(VALU_DEP_1) | instskip(SKIP_2) | instid1(VALU_DEP_1)
	v_min3_f32 v112, v31, v32, v112
	v_cvt_f32_f64_e32 v31, v[92:93]
	v_cvt_f32_f64_e32 v32, v[98:99]
	v_min3_f32 v42, v31, v32, v42
	v_cvt_f32_f64_e32 v31, v[96:97]
	v_cvt_f32_f64_e32 v32, v[108:109]
	s_delay_alu instid0(VALU_DEP_1) | instskip(SKIP_4) | instid1(VALU_DEP_1)
	v_min3_f32 v49, v31, v32, v49
	scratch_load_b64 v[32:33], off, off offset:296 ; 8-byte Folded Reload
	v_cvt_f32_f64_e32 v31, v[100:101]
	s_waitcnt vmcnt(0)
	v_cvt_f32_f64_e32 v32, v[32:33]
	v_min3_f32 v103, v31, v32, v103
	scratch_load_b64 v[32:33], off, off offset:280 ; 8-byte Folded Reload
	v_cvt_f32_f64_e32 v31, v[104:105]
	s_waitcnt vmcnt(0)
	v_cvt_f32_f64_e32 v32, v[32:33]
	s_delay_alu instid0(VALU_DEP_1)
	v_min3_f32 v102, v31, v32, v102
	scratch_load_b64 v[31:32], off, off offset:304 ; 8-byte Folded Reload
	s_waitcnt vmcnt(0)
	v_cvt_f32_f64_e32 v31, v[31:32]
	scratch_load_b64 v[32:33], off, off offset:272 ; 8-byte Folded Reload
	s_waitcnt vmcnt(0)
	v_cvt_f32_f64_e32 v32, v[32:33]
	s_delay_alu instid0(VALU_DEP_1)
	v_min3_f32 v107, v31, v32, v107
	scratch_load_b64 v[31:32], off, off offset:288 ; 8-byte Folded Reload
	s_waitcnt vmcnt(0)
	v_cvt_f32_f64_e32 v31, v[31:32]
	scratch_load_b64 v[32:33], off, off offset:264 ; 8-byte Folded Reload
	s_waitcnt vmcnt(0)
	v_cvt_f32_f64_e32 v32, v[32:33]
	scratch_load_b32 v33, off, off          ; 4-byte Folded Reload
	v_min3_f32 v106, v31, v32, v106
	v_cvt_f32_f64_e32 v31, v[119:120]
	v_cvt_f32_f64_e32 v32, v[114:115]
	s_delay_alu instid0(VALU_DEP_1) | instskip(SKIP_2) | instid1(VALU_DEP_1)
	v_min3_f32 v111, v31, v32, v111
	v_cvt_f32_f64_e32 v31, v[84:85]
	v_cvt_f32_f64_e32 v32, v[125:126]
	v_min3_f32 v110, v31, v32, v110
	v_cvt_f32_f64_e32 v31, v[54:55]
	v_cvt_f32_f64_e32 v32, v[82:83]
	s_delay_alu instid0(VALU_DEP_1) | instskip(SKIP_2) | instid1(VALU_DEP_1)
	v_min3_f32 v59, v31, v32, v59
	v_cvt_f32_f64_e32 v31, v[169:170]
	v_cvt_f32_f64_e32 v32, v[167:168]
	;; [unrolled: 7-line block ×8, first 2 shown]
	v_min3_f32 v230, v31, v32, v230
	v_cvt_f32_f64_e32 v31, v[221:222]
	v_cvt_f32_f64_e32 v32, v[219:220]
	scratch_load_b32 v221, off, off offset:24 ; 4-byte Folded Reload
	v_min3_f32 v129, v31, v32, v129
	v_cvt_f32_f64_e32 v31, v[135:136]
	v_cvt_f32_f64_e32 v32, v[243:244]
	s_delay_alu instid0(VALU_DEP_1) | instskip(SKIP_2) | instid1(VALU_DEP_1)
	v_min3_f32 v239, v31, v32, v239
	v_cvt_f32_f64_e32 v31, v[76:77]
	v_cvt_f32_f64_e32 v32, v[227:228]
	v_min3_f32 v241, v31, v32, v241
	v_cvt_f32_f64_e32 v31, v[37:38]
	s_clause 0x1
	scratch_load_b32 v38, off, off offset:12
	scratch_load_b32 v37, off, off offset:8
	v_cvt_f32_f64_e32 v32, v[51:52]
	v_min3_f32 v34, v0, v1, v34
	v_cvt_f32_f64_e32 v0, v[143:144]
	v_cvt_f32_f64_e32 v1, v[145:146]
	s_delay_alu instid0(VALU_DEP_4) | instskip(SKIP_2) | instid1(VALU_DEP_4)
	v_min3_f32 v134, v31, v32, v134
	v_cvt_f32_f64_e32 v31, v[139:140]
	v_cvt_f32_f64_e32 v32, v[47:48]
	v_min3_f32 v249, v0, v1, v249
	v_cvt_f32_f64_e32 v0, v[147:148]
	v_cvt_f32_f64_e32 v1, v[149:150]
	s_delay_alu instid0(VALU_DEP_4) | instskip(SKIP_2) | instid1(VALU_DEP_4)
	v_min3_f32 v248, v31, v32, v248
	v_cvt_f32_f64_e32 v31, v[40:41]
	v_cvt_f32_f64_e32 v32, v[45:46]
	v_min3_f32 v117, v0, v1, v117
	v_cvt_f32_f64_e32 v0, v[151:152]
	v_cvt_f32_f64_e32 v1, v[153:154]
	s_delay_alu instid0(VALU_DEP_4) | instskip(SKIP_3) | instid1(VALU_DEP_4)
	v_min3_f32 v246, v31, v32, v246
	v_cvt_f32_f64_e32 v31, v[132:133]
	v_cvt_f32_f64_e32 v32, v[35:36]
	s_waitcnt vmcnt(3)
	v_min3_f32 v33, v0, v1, v33
	v_cvt_f32_f64_e32 v0, v[155:156]
	v_cvt_f32_f64_e32 v1, v[157:158]
	s_clause 0x1
	scratch_store_b32 off, v34, off offset:4
	scratch_store_b32 off, v33, off
	v_min3_f32 v50, v31, v32, v50
	v_cvt_f32_f64_e32 v31, v[252:253]
	v_cvt_f32_f64_e32 v32, v[250:251]
	v_min3_f32 v122, v0, v1, v122
	v_cvt_f32_f64_e32 v0, v[159:160]
	v_cvt_f32_f64_e32 v1, v[161:162]
	s_delay_alu instid0(VALU_DEP_4) | instskip(NEXT) | instid1(VALU_DEP_2)
	v_min3_f32 v234, v31, v32, v234
	v_min3_f32 v124, v0, v1, v124
	s_waitcnt vmcnt(1)
	v_min3_f32 v38, v4, v5, v38
	v_cvt_f32_f64_e32 v4, v[17:18]
	v_cvt_f32_f64_e32 v5, v[23:24]
	s_delay_alu instid0(VALU_DEP_1) | instskip(SKIP_3) | instid1(VALU_DEP_1)
	v_min3_f32 v138, v4, v5, v138
	v_cvt_f32_f64_e32 v4, v[21:22]
	v_cvt_f32_f64_e32 v5, v[27:28]
	s_waitcnt vmcnt(0)
	v_min3_f32 v37, v4, v5, v37
	v_cvt_f32_f64_e32 v4, v[25:26]
	v_cvt_f32_f64_e32 v5, v[29:30]
	s_clause 0x2
	scratch_store_b32 off, v50, off offset:16
	scratch_store_b32 off, v38, off offset:12
	;; [unrolled: 1-line block ×3, first 2 shown]
	v_min3_f32 v127, v4, v5, v127
	v_cvt_f32_f64_e32 v4, v[68:69]
	v_cvt_f32_f64_e32 v5, v[70:71]
	s_delay_alu instid0(VALU_DEP_1)
	v_min3_f32 v79, v4, v5, v79
	s_cbranch_vccz .LBB106_21
; %bb.22:
	s_clause 0x2
	s_load_b32 s12, s[0:1], 0x70
	s_load_b32 s11, s[0:1], 0x58
	s_load_b64 s[0:1], s[0:1], 0x78
	v_dual_mov_b32 v37, v61 :: v_dual_add_nc_u32 v18, s3, v221
	v_dual_mov_b32 v45, v42 :: v_dual_add_nc_u32 v12, s10, v113
	v_mov_b32_e32 v32, v223
	s_delay_alu instid0(VALU_DEP_2) | instskip(SKIP_1) | instid1(VALU_DEP_1)
	v_ashrrev_i32_e32 v13, 31, v12
	v_add_nc_u32_e32 v2, 32, v12
	v_ashrrev_i32_e32 v3, 31, v2
	s_waitcnt lgkmcnt(0)
	v_mad_i64_i32 v[0:1], null, v18, s12, 0
	v_mad_i64_i32 v[4:5], null, v18, s11, 0
	s_lshl_b64 s[0:1], s[0:1], 3
	s_delay_alu instid0(SALU_CYCLE_1) | instskip(SKIP_1) | instid1(VALU_DEP_2)
	s_add_u32 s3, s8, s0
	s_addc_u32 s8, s9, s1
	v_lshlrev_b64 v[7:8], 3, v[0:1]
	v_lshlrev_b64 v[0:1], 3, v[12:13]
	s_delay_alu instid0(VALU_DEP_3) | instskip(NEXT) | instid1(VALU_DEP_3)
	v_lshlrev_b64 v[4:5], 3, v[4:5]
	v_add_co_u32 v19, vcc_lo, s3, v7
	s_delay_alu instid0(VALU_DEP_4) | instskip(NEXT) | instid1(VALU_DEP_3)
	v_add_co_ci_u32_e32 v20, vcc_lo, s8, v8, vcc_lo
	v_add_co_u32 v16, vcc_lo, s4, v4
	s_delay_alu instid0(VALU_DEP_4)
	v_add_co_ci_u32_e32 v17, vcc_lo, s5, v5, vcc_lo
	v_max_f32_e32 v4, v142, v142
	s_mov_b32 vcc_lo, s2
	s_cbranch_vccz .LBB106_24
; %bb.23:
	s_delay_alu instid0(VALU_DEP_1) | instskip(SKIP_2) | instid1(VALU_DEP_3)
	v_min_f32_e32 v5, 0, v4
	v_add_co_u32 v9, vcc_lo, v19, v0
	v_add_co_ci_u32_e32 v10, vcc_lo, v20, v1, vcc_lo
	v_cvt_f64_f32_e32 v[7:8], v5
	s_mov_b32 s9, 0
	s_mov_b64 s[0:1], 0
	global_store_b64 v[9:10], v[7:8], off
	s_branch .LBB106_25
.LBB106_24:
	s_mov_b32 s9, -1
                                        ; implicit-def: $sgpr0_sgpr1
.LBB106_25:
	v_lshlrev_b64 v[2:3], 3, v[2:3]
	v_dual_mov_b32 v31, v129 :: v_dual_mov_b32 v34, v232
	s_and_not1_b32 vcc_lo, exec_lo, s9
	s_cbranch_vccnz .LBB106_27
; %bb.26:
	v_add_co_u32 v7, vcc_lo, v16, v0
	v_add_co_ci_u32_e32 v8, vcc_lo, v17, v1, vcc_lo
	flat_load_b64 v[7:8], v[7:8]
	s_waitcnt vmcnt(0) lgkmcnt(0)
	v_mul_f64 v[7:8], v[7:8], s[6:7]
	s_delay_alu instid0(VALU_DEP_1)
	v_cvt_f32_f64_e32 v5, v[7:8]
	v_add_co_u32 v7, vcc_lo, v19, v0
	v_add_co_ci_u32_e32 v8, vcc_lo, v20, v1, vcc_lo
	v_add_co_u32 v9, vcc_lo, v16, v2
	v_add_co_ci_u32_e32 v10, vcc_lo, v17, v3, vcc_lo
	v_min_f32_e32 v4, v5, v4
	s_delay_alu instid0(VALU_DEP_1)
	v_cvt_f64_f32_e32 v[4:5], v4
	global_store_b64 v[7:8], v[4:5], off
	flat_load_b64 v[4:5], v[9:10]
	s_waitcnt vmcnt(0) lgkmcnt(0)
	v_mul_f64 v[4:5], v[4:5], s[6:7]
	s_branch .LBB106_28
.LBB106_27:
	v_dual_mov_b32 v5, s1 :: v_dual_mov_b32 v4, s0
.LBB106_28:
	s_delay_alu instid0(VALU_DEP_1)
	v_cvt_f32_f64_e32 v4, v[4:5]
	v_max_f32_e32 v5, v141, v141
	v_add_co_u32 v21, vcc_lo, v19, v2
	v_add_co_ci_u32_e32 v22, vcc_lo, v20, v3, vcc_lo
	v_max_f32_e32 v8, v236, v236
	s_mov_b32 vcc_lo, s2
	v_add_nc_u32_e32 v9, 0x60, v12
	s_delay_alu instid0(VALU_DEP_1) | instskip(SKIP_1) | instid1(VALU_DEP_1)
	v_ashrrev_i32_e32 v10, 31, v9
	v_min_f32_e32 v4, v4, v5
	v_cvt_f64_f32_e32 v[13:14], v4
	v_add_nc_u32_e32 v4, 64, v12
	s_delay_alu instid0(VALU_DEP_1) | instskip(NEXT) | instid1(VALU_DEP_1)
	v_ashrrev_i32_e32 v5, 31, v4
	v_lshlrev_b64 v[4:5], 3, v[4:5]
	global_store_b64 v[21:22], v[13:14], off
	s_cbranch_vccz .LBB106_31
; %bb.29:
	v_min_f32_e32 v7, 0, v8
	v_add_co_u32 v21, vcc_lo, v19, v4
	v_add_co_ci_u32_e32 v22, vcc_lo, v20, v5, vcc_lo
	s_delay_alu instid0(VALU_DEP_3)
	v_cvt_f64_f32_e32 v[13:14], v7
	s_mov_b64 s[0:1], 0
	global_store_b64 v[21:22], v[13:14], off
	v_lshlrev_b64 v[23:24], 3, v[9:10]
	s_cbranch_execz .LBB106_32
; %bb.30:
	v_dual_mov_b32 v9, s1 :: v_dual_mov_b32 v8, s0
	s_branch .LBB106_33
.LBB106_31:
                                        ; implicit-def: $sgpr0_sgpr1
	v_lshlrev_b64 v[23:24], 3, v[9:10]
.LBB106_32:
	v_add_co_u32 v9, vcc_lo, v16, v4
	v_add_co_ci_u32_e32 v10, vcc_lo, v17, v5, vcc_lo
	flat_load_b64 v[9:10], v[9:10]
	s_waitcnt vmcnt(0) lgkmcnt(0)
	v_mul_f64 v[9:10], v[9:10], s[6:7]
	s_delay_alu instid0(VALU_DEP_1)
	v_cvt_f32_f64_e32 v7, v[9:10]
	v_add_co_u32 v9, vcc_lo, v19, v4
	v_add_co_ci_u32_e32 v10, vcc_lo, v20, v5, vcc_lo
	v_add_co_u32 v13, vcc_lo, v16, v23
	v_add_co_ci_u32_e32 v14, vcc_lo, v17, v24, vcc_lo
	v_min_f32_e32 v7, v7, v8
	s_delay_alu instid0(VALU_DEP_1)
	v_cvt_f64_f32_e32 v[7:8], v7
	global_store_b64 v[9:10], v[7:8], off
	flat_load_b64 v[7:8], v[13:14]
	s_waitcnt vmcnt(0) lgkmcnt(0)
	v_mul_f64 v[8:9], v[7:8], s[6:7]
.LBB106_33:
	s_delay_alu instid0(VALU_DEP_1) | instskip(SKIP_4) | instid1(VALU_DEP_3)
	v_cvt_f32_f64_e32 v7, v[8:9]
	v_max_f32_e32 v8, v137, v137
	v_dual_max_f32 v13, v226, v226 :: v_dual_add_nc_u32 v10, 0xa0, v12
	v_add_co_u32 v21, vcc_lo, v19, v23
	v_add_co_ci_u32_e32 v22, vcc_lo, v20, v24, vcc_lo
	v_ashrrev_i32_e32 v11, 31, v10
	s_mov_b32 vcc_lo, s2
	v_min_f32_e32 v7, v7, v8
	s_delay_alu instid0(VALU_DEP_1) | instskip(SKIP_1) | instid1(VALU_DEP_1)
	v_cvt_f64_f32_e32 v[14:15], v7
	v_add_nc_u32_e32 v7, 0x80, v12
	v_ashrrev_i32_e32 v8, 31, v7
	s_delay_alu instid0(VALU_DEP_1)
	v_lshlrev_b64 v[8:9], 3, v[7:8]
	global_store_b64 v[21:22], v[14:15], off
	s_cbranch_vccz .LBB106_36
; %bb.34:
	v_min_f32_e32 v7, 0, v13
	v_add_co_u32 v21, vcc_lo, v19, v8
	v_add_co_ci_u32_e32 v22, vcc_lo, v20, v9, vcc_lo
	s_delay_alu instid0(VALU_DEP_3)
	v_cvt_f64_f32_e32 v[14:15], v7
	s_mov_b64 s[0:1], 0
	global_store_b64 v[21:22], v[14:15], off
	v_lshlrev_b64 v[10:11], 3, v[10:11]
	s_cbranch_execz .LBB106_37
; %bb.35:
	v_dual_mov_b32 v14, s1 :: v_dual_mov_b32 v13, s0
	s_branch .LBB106_38
.LBB106_36:
                                        ; implicit-def: $sgpr0_sgpr1
	v_lshlrev_b64 v[10:11], 3, v[10:11]
.LBB106_37:
	v_add_co_u32 v14, vcc_lo, v16, v8
	v_add_co_ci_u32_e32 v15, vcc_lo, v17, v9, vcc_lo
	v_add_co_u32 v21, vcc_lo, v19, v8
	v_add_co_ci_u32_e32 v22, vcc_lo, v20, v9, vcc_lo
	flat_load_b64 v[14:15], v[14:15]
	v_add_co_u32 v25, vcc_lo, v16, v10
	v_add_co_ci_u32_e32 v26, vcc_lo, v17, v11, vcc_lo
	s_waitcnt vmcnt(0) lgkmcnt(0)
	v_mul_f64 v[14:15], v[14:15], s[6:7]
	s_delay_alu instid0(VALU_DEP_1) | instskip(NEXT) | instid1(VALU_DEP_1)
	v_cvt_f32_f64_e32 v7, v[14:15]
	v_min_f32_e32 v7, v7, v13
	s_delay_alu instid0(VALU_DEP_1)
	v_cvt_f64_f32_e32 v[13:14], v7
	global_store_b64 v[21:22], v[13:14], off
	flat_load_b64 v[13:14], v[25:26]
	s_waitcnt vmcnt(0) lgkmcnt(0)
	v_mul_f64 v[13:14], v[13:14], s[6:7]
.LBB106_38:
	s_delay_alu instid0(VALU_DEP_1) | instskip(SKIP_4) | instid1(VALU_DEP_3)
	v_cvt_f32_f64_e32 v7, v[13:14]
	v_max_f32_e32 v13, v240, v240
	v_add_nc_u32_e32 v27, 0xc0, v12
	v_add_co_u32 v29, vcc_lo, v19, v10
	v_add_co_ci_u32_e32 v30, vcc_lo, v20, v11, vcc_lo
	v_ashrrev_i32_e32 v28, 31, v27
	v_max_f32_e32 v21, v235, v235
	s_mov_b32 vcc_lo, s2
	v_add_nc_u32_e32 v14, 0xe0, v12
	s_delay_alu instid0(VALU_DEP_1) | instskip(SKIP_2) | instid1(VALU_DEP_2)
	v_ashrrev_i32_e32 v15, 31, v14
	v_min_f32_e32 v7, v7, v13
	v_lshlrev_b64 v[12:13], 3, v[27:28]
	v_cvt_f64_f32_e32 v[25:26], v7
	global_store_b64 v[29:30], v[25:26], off
	s_cbranch_vccz .LBB106_41
; %bb.39:
	v_min_f32_e32 v7, 0, v21
	v_add_co_u32 v27, vcc_lo, v19, v12
	v_add_co_ci_u32_e32 v28, vcc_lo, v20, v13, vcc_lo
	s_delay_alu instid0(VALU_DEP_3)
	v_cvt_f64_f32_e32 v[25:26], v7
	s_mov_b64 s[0:1], 0
	global_store_b64 v[27:28], v[25:26], off
	v_lshlrev_b64 v[14:15], 3, v[14:15]
	s_cbranch_execz .LBB106_42
; %bb.40:
	v_dual_mov_b32 v17, s1 :: v_dual_mov_b32 v16, s0
	s_branch .LBB106_43
.LBB106_41:
                                        ; implicit-def: $sgpr0_sgpr1
	v_lshlrev_b64 v[14:15], 3, v[14:15]
.LBB106_42:
	v_add_co_u32 v25, vcc_lo, v16, v12
	v_add_co_ci_u32_e32 v26, vcc_lo, v17, v13, vcc_lo
	flat_load_b64 v[25:26], v[25:26]
	s_waitcnt vmcnt(0) lgkmcnt(0)
	v_mul_f64 v[25:26], v[25:26], s[6:7]
	s_delay_alu instid0(VALU_DEP_1)
	v_cvt_f32_f64_e32 v7, v[25:26]
	v_add_co_u32 v25, vcc_lo, v19, v12
	v_add_co_ci_u32_e32 v26, vcc_lo, v20, v13, vcc_lo
	v_add_co_u32 v16, vcc_lo, v16, v14
	v_add_co_ci_u32_e32 v17, vcc_lo, v17, v15, vcc_lo
	v_min_f32_e32 v7, v7, v21
	s_delay_alu instid0(VALU_DEP_1)
	v_cvt_f64_f32_e32 v[21:22], v7
	global_store_b64 v[25:26], v[21:22], off
	flat_load_b64 v[16:17], v[16:17]
	s_waitcnt vmcnt(0) lgkmcnt(0)
	v_mul_f64 v[16:17], v[16:17], s[6:7]
.LBB106_43:
	s_delay_alu instid0(VALU_DEP_1) | instskip(SKIP_3) | instid1(VALU_DEP_3)
	v_cvt_f32_f64_e32 v7, v[16:17]
	v_max_f32_e32 v16, v123, v123
	v_add_co_u32 v29, vcc_lo, v19, v14
	v_add_co_ci_u32_e32 v30, vcc_lo, v20, v15, vcc_lo
	v_min_f32_e32 v7, v7, v16
	s_delay_alu instid0(VALU_DEP_1) | instskip(SKIP_1) | instid1(VALU_DEP_1)
	v_cvt_f64_f32_e32 v[25:26], v7
	v_add_nc_u32_e32 v7, 8, v18
	v_mad_i64_i32 v[16:17], null, v7, s12, 0
	v_mad_i64_i32 v[21:22], null, v7, s11, 0
	s_delay_alu instid0(VALU_DEP_2) | instskip(SKIP_1) | instid1(VALU_DEP_3)
	v_lshlrev_b64 v[27:28], 3, v[16:17]
	v_max_f32_e32 v16, v130, v130
	v_lshlrev_b64 v[21:22], 3, v[21:22]
	s_delay_alu instid0(VALU_DEP_3) | instskip(NEXT) | instid1(VALU_DEP_4)
	v_add_co_u32 v19, vcc_lo, s3, v27
	v_add_co_ci_u32_e32 v20, vcc_lo, s8, v28, vcc_lo
	s_delay_alu instid0(VALU_DEP_3) | instskip(NEXT) | instid1(VALU_DEP_4)
	v_add_co_u32 v21, vcc_lo, s4, v21
	v_add_co_ci_u32_e32 v7, vcc_lo, s5, v22, vcc_lo
	s_mov_b32 vcc_lo, s2
	global_store_b64 v[29:30], v[25:26], off
	s_cbranch_vccz .LBB106_46
; %bb.44:
	v_min_f32_e32 v17, 0, v16
	v_add_co_u32 v27, vcc_lo, v19, v0
	v_add_co_ci_u32_e32 v28, vcc_lo, v20, v1, vcc_lo
	s_delay_alu instid0(VALU_DEP_3)
	v_cvt_f64_f32_e32 v[25:26], v17
	s_mov_b64 s[0:1], 0
	global_store_b64 v[27:28], v[25:26], off
	s_cbranch_execz .LBB106_47
; %bb.45:
	v_dual_mov_b32 v17, s1 :: v_dual_mov_b32 v16, s0
	s_branch .LBB106_48
.LBB106_46:
                                        ; implicit-def: $sgpr0_sgpr1
.LBB106_47:
	v_add_co_u32 v25, vcc_lo, v21, v0
	v_add_co_ci_u32_e32 v26, vcc_lo, v7, v1, vcc_lo
	flat_load_b64 v[25:26], v[25:26]
	s_waitcnt vmcnt(0) lgkmcnt(0)
	v_mul_f64 v[25:26], v[25:26], s[6:7]
	s_delay_alu instid0(VALU_DEP_1)
	v_cvt_f32_f64_e32 v17, v[25:26]
	v_add_co_u32 v25, vcc_lo, v19, v0
	v_add_co_ci_u32_e32 v26, vcc_lo, v20, v1, vcc_lo
	v_add_co_u32 v27, vcc_lo, v21, v2
	v_add_co_ci_u32_e32 v28, vcc_lo, v7, v3, vcc_lo
	v_min_f32_e32 v16, v17, v16
	s_delay_alu instid0(VALU_DEP_1)
	v_cvt_f64_f32_e32 v[16:17], v16
	global_store_b64 v[25:26], v[16:17], off
	flat_load_b64 v[16:17], v[27:28]
	s_waitcnt vmcnt(0) lgkmcnt(0)
	v_mul_f64 v[16:17], v[16:17], s[6:7]
.LBB106_48:
	s_delay_alu instid0(VALU_DEP_1) | instskip(SKIP_4) | instid1(VALU_DEP_3)
	v_cvt_f32_f64_e32 v16, v[16:17]
	v_max_f32_e32 v17, v238, v238
	v_add_co_u32 v27, vcc_lo, v19, v2
	v_add_co_ci_u32_e32 v28, vcc_lo, v20, v3, vcc_lo
	s_mov_b32 vcc_lo, s2
	v_min_f32_e32 v16, v16, v17
	s_delay_alu instid0(VALU_DEP_1)
	v_cvt_f64_f32_e32 v[25:26], v16
	v_max_f32_e32 v16, v245, v245
	global_store_b64 v[27:28], v[25:26], off
	s_cbranch_vccz .LBB106_51
; %bb.49:
	v_min_f32_e32 v17, 0, v16
	v_add_co_u32 v27, vcc_lo, v19, v4
	v_add_co_ci_u32_e32 v28, vcc_lo, v20, v5, vcc_lo
	s_delay_alu instid0(VALU_DEP_3)
	v_cvt_f64_f32_e32 v[25:26], v17
	s_mov_b64 s[0:1], 0
	global_store_b64 v[27:28], v[25:26], off
	s_cbranch_execz .LBB106_52
; %bb.50:
	v_dual_mov_b32 v17, s1 :: v_dual_mov_b32 v16, s0
	s_branch .LBB106_53
.LBB106_51:
                                        ; implicit-def: $sgpr0_sgpr1
.LBB106_52:
	v_add_co_u32 v25, vcc_lo, v21, v4
	v_add_co_ci_u32_e32 v26, vcc_lo, v7, v5, vcc_lo
	flat_load_b64 v[25:26], v[25:26]
	s_waitcnt vmcnt(0) lgkmcnt(0)
	v_mul_f64 v[25:26], v[25:26], s[6:7]
	s_delay_alu instid0(VALU_DEP_1)
	v_cvt_f32_f64_e32 v17, v[25:26]
	v_add_co_u32 v25, vcc_lo, v19, v4
	v_add_co_ci_u32_e32 v26, vcc_lo, v20, v5, vcc_lo
	v_add_co_u32 v27, vcc_lo, v21, v23
	v_add_co_ci_u32_e32 v28, vcc_lo, v7, v24, vcc_lo
	v_min_f32_e32 v16, v17, v16
	s_delay_alu instid0(VALU_DEP_1)
	v_cvt_f64_f32_e32 v[16:17], v16
	global_store_b64 v[25:26], v[16:17], off
	flat_load_b64 v[16:17], v[27:28]
	s_waitcnt vmcnt(0) lgkmcnt(0)
	v_mul_f64 v[16:17], v[16:17], s[6:7]
.LBB106_53:
	s_delay_alu instid0(VALU_DEP_1) | instskip(SKIP_4) | instid1(VALU_DEP_3)
	v_cvt_f32_f64_e32 v16, v[16:17]
	v_max_f32_e32 v17, v231, v231
	v_add_co_u32 v27, vcc_lo, v19, v23
	v_add_co_ci_u32_e32 v28, vcc_lo, v20, v24, vcc_lo
	s_mov_b32 vcc_lo, s2
	v_min_f32_e32 v16, v16, v17
	s_delay_alu instid0(VALU_DEP_1)
	v_cvt_f64_f32_e32 v[25:26], v16
	v_max_f32_e32 v16, v80, v80
	;; [unrolled: 46-line block ×3, first 2 shown]
	global_store_b64 v[27:28], v[25:26], off
	s_cbranch_vccz .LBB106_61
; %bb.59:
	v_min_f32_e32 v17, 0, v16
	v_add_co_u32 v27, vcc_lo, v19, v12
	v_add_co_ci_u32_e32 v28, vcc_lo, v20, v13, vcc_lo
	s_delay_alu instid0(VALU_DEP_3)
	v_cvt_f64_f32_e32 v[25:26], v17
	s_mov_b64 s[0:1], 0
	global_store_b64 v[27:28], v[25:26], off
	s_cbranch_execz .LBB106_62
; %bb.60:
	v_dual_mov_b32 v17, s1 :: v_dual_mov_b32 v16, s0
	s_branch .LBB106_63
.LBB106_61:
                                        ; implicit-def: $sgpr0_sgpr1
.LBB106_62:
	v_add_co_u32 v25, vcc_lo, v21, v12
	v_add_co_ci_u32_e32 v26, vcc_lo, v7, v13, vcc_lo
	flat_load_b64 v[25:26], v[25:26]
	s_waitcnt vmcnt(0) lgkmcnt(0)
	v_mul_f64 v[25:26], v[25:26], s[6:7]
	s_delay_alu instid0(VALU_DEP_1)
	v_cvt_f32_f64_e32 v17, v[25:26]
	v_add_co_u32 v25, vcc_lo, v19, v12
	v_add_co_ci_u32_e32 v26, vcc_lo, v20, v13, vcc_lo
	v_add_co_u32 v21, vcc_lo, v21, v14
	v_add_co_ci_u32_e32 v22, vcc_lo, v7, v15, vcc_lo
	v_min_f32_e32 v16, v17, v16
	s_delay_alu instid0(VALU_DEP_1)
	v_cvt_f64_f32_e32 v[16:17], v16
	global_store_b64 v[25:26], v[16:17], off
	flat_load_b64 v[16:17], v[21:22]
	s_waitcnt vmcnt(0) lgkmcnt(0)
	v_mul_f64 v[16:17], v[16:17], s[6:7]
.LBB106_63:
	s_delay_alu instid0(VALU_DEP_1) | instskip(SKIP_3) | instid1(VALU_DEP_3)
	v_cvt_f32_f64_e32 v7, v[16:17]
	v_max_f32_e32 v16, v118, v118
	v_add_co_u32 v29, vcc_lo, v19, v14
	v_add_co_ci_u32_e32 v30, vcc_lo, v20, v15, vcc_lo
	v_min_f32_e32 v7, v7, v16
	s_delay_alu instid0(VALU_DEP_1) | instskip(SKIP_1) | instid1(VALU_DEP_1)
	v_cvt_f64_f32_e32 v[25:26], v7
	v_add_nc_u32_e32 v7, 16, v18
	v_mad_i64_i32 v[16:17], null, v7, s12, 0
	v_mad_i64_i32 v[21:22], null, v7, s11, 0
	s_delay_alu instid0(VALU_DEP_2) | instskip(SKIP_1) | instid1(VALU_DEP_3)
	v_lshlrev_b64 v[27:28], 3, v[16:17]
	v_max_f32_e32 v16, v6, v6
	v_lshlrev_b64 v[21:22], 3, v[21:22]
	s_delay_alu instid0(VALU_DEP_3) | instskip(NEXT) | instid1(VALU_DEP_4)
	v_add_co_u32 v19, vcc_lo, s3, v27
	v_add_co_ci_u32_e32 v20, vcc_lo, s8, v28, vcc_lo
	s_delay_alu instid0(VALU_DEP_3) | instskip(NEXT) | instid1(VALU_DEP_4)
	v_add_co_u32 v21, vcc_lo, s4, v21
	v_add_co_ci_u32_e32 v7, vcc_lo, s5, v22, vcc_lo
	s_mov_b32 vcc_lo, s2
	global_store_b64 v[29:30], v[25:26], off
	s_cbranch_vccz .LBB106_66
; %bb.64:
	v_min_f32_e32 v17, 0, v16
	v_add_co_u32 v27, vcc_lo, v19, v0
	v_add_co_ci_u32_e32 v28, vcc_lo, v20, v1, vcc_lo
	s_delay_alu instid0(VALU_DEP_3)
	v_cvt_f64_f32_e32 v[25:26], v17
	s_mov_b64 s[0:1], 0
	global_store_b64 v[27:28], v[25:26], off
	s_cbranch_execz .LBB106_67
; %bb.65:
	v_dual_mov_b32 v17, s1 :: v_dual_mov_b32 v16, s0
	s_branch .LBB106_68
.LBB106_66:
                                        ; implicit-def: $sgpr0_sgpr1
.LBB106_67:
	v_add_co_u32 v25, vcc_lo, v21, v0
	v_add_co_ci_u32_e32 v26, vcc_lo, v7, v1, vcc_lo
	flat_load_b64 v[25:26], v[25:26]
	s_waitcnt vmcnt(0) lgkmcnt(0)
	v_mul_f64 v[25:26], v[25:26], s[6:7]
	s_delay_alu instid0(VALU_DEP_1)
	v_cvt_f32_f64_e32 v17, v[25:26]
	v_add_co_u32 v25, vcc_lo, v19, v0
	v_add_co_ci_u32_e32 v26, vcc_lo, v20, v1, vcc_lo
	v_add_co_u32 v27, vcc_lo, v21, v2
	v_add_co_ci_u32_e32 v28, vcc_lo, v7, v3, vcc_lo
	v_min_f32_e32 v16, v17, v16
	s_delay_alu instid0(VALU_DEP_1)
	v_cvt_f64_f32_e32 v[16:17], v16
	global_store_b64 v[25:26], v[16:17], off
	flat_load_b64 v[16:17], v[27:28]
	s_waitcnt vmcnt(0) lgkmcnt(0)
	v_mul_f64 v[16:17], v[16:17], s[6:7]
.LBB106_68:
	s_delay_alu instid0(VALU_DEP_1) | instskip(SKIP_4) | instid1(VALU_DEP_3)
	v_cvt_f32_f64_e32 v16, v[16:17]
	v_max_f32_e32 v17, v112, v112
	v_add_co_u32 v27, vcc_lo, v19, v2
	v_add_co_ci_u32_e32 v28, vcc_lo, v20, v3, vcc_lo
	s_mov_b32 vcc_lo, s2
	v_min_f32_e32 v16, v16, v17
	s_delay_alu instid0(VALU_DEP_1)
	v_cvt_f64_f32_e32 v[25:26], v16
	v_max_f32_e32 v16, v45, v45
	global_store_b64 v[27:28], v[25:26], off
	s_cbranch_vccz .LBB106_71
; %bb.69:
	v_min_f32_e32 v6, 0, v16
	v_add_co_u32 v27, vcc_lo, v19, v4
	v_add_co_ci_u32_e32 v28, vcc_lo, v20, v5, vcc_lo
	s_delay_alu instid0(VALU_DEP_3)
	v_cvt_f64_f32_e32 v[25:26], v6
	s_mov_b64 s[0:1], 0
	global_store_b64 v[27:28], v[25:26], off
	s_cbranch_execz .LBB106_72
; %bb.70:
	v_dual_mov_b32 v17, s1 :: v_dual_mov_b32 v16, s0
	s_branch .LBB106_73
.LBB106_71:
                                        ; implicit-def: $sgpr0_sgpr1
.LBB106_72:
	v_add_co_u32 v25, vcc_lo, v21, v4
	v_add_co_ci_u32_e32 v26, vcc_lo, v7, v5, vcc_lo
	flat_load_b64 v[25:26], v[25:26]
	s_waitcnt vmcnt(0) lgkmcnt(0)
	v_mul_f64 v[25:26], v[25:26], s[6:7]
	s_delay_alu instid0(VALU_DEP_1)
	v_cvt_f32_f64_e32 v6, v[25:26]
	v_add_co_u32 v25, vcc_lo, v19, v4
	v_add_co_ci_u32_e32 v26, vcc_lo, v20, v5, vcc_lo
	v_add_co_u32 v27, vcc_lo, v21, v23
	v_add_co_ci_u32_e32 v28, vcc_lo, v7, v24, vcc_lo
	v_min_f32_e32 v6, v6, v16
	s_delay_alu instid0(VALU_DEP_1)
	v_cvt_f64_f32_e32 v[16:17], v6
	global_store_b64 v[25:26], v[16:17], off
	flat_load_b64 v[16:17], v[27:28]
	s_waitcnt vmcnt(0) lgkmcnt(0)
	v_mul_f64 v[16:17], v[16:17], s[6:7]
.LBB106_73:
	s_delay_alu instid0(VALU_DEP_1) | instskip(SKIP_4) | instid1(VALU_DEP_3)
	v_cvt_f32_f64_e32 v6, v[16:17]
	v_max_f32_e32 v16, v49, v49
	v_add_co_u32 v27, vcc_lo, v19, v23
	v_add_co_ci_u32_e32 v28, vcc_lo, v20, v24, vcc_lo
	s_mov_b32 vcc_lo, s2
	v_min_f32_e32 v6, v6, v16
	v_max_f32_e32 v16, v103, v103
	s_delay_alu instid0(VALU_DEP_2)
	v_cvt_f64_f32_e32 v[25:26], v6
	global_store_b64 v[27:28], v[25:26], off
	s_cbranch_vccz .LBB106_76
; %bb.74:
	v_min_f32_e32 v6, 0, v16
	v_add_co_u32 v27, vcc_lo, v19, v8
	v_add_co_ci_u32_e32 v28, vcc_lo, v20, v9, vcc_lo
	s_delay_alu instid0(VALU_DEP_3)
	v_cvt_f64_f32_e32 v[25:26], v6
	s_mov_b64 s[0:1], 0
	global_store_b64 v[27:28], v[25:26], off
	s_cbranch_execz .LBB106_77
; %bb.75:
	v_dual_mov_b32 v17, s1 :: v_dual_mov_b32 v16, s0
	s_branch .LBB106_78
.LBB106_76:
                                        ; implicit-def: $sgpr0_sgpr1
.LBB106_77:
	v_add_co_u32 v25, vcc_lo, v21, v8
	v_add_co_ci_u32_e32 v26, vcc_lo, v7, v9, vcc_lo
	flat_load_b64 v[25:26], v[25:26]
	s_waitcnt vmcnt(0) lgkmcnt(0)
	v_mul_f64 v[25:26], v[25:26], s[6:7]
	s_delay_alu instid0(VALU_DEP_1)
	v_cvt_f32_f64_e32 v6, v[25:26]
	v_add_co_u32 v25, vcc_lo, v19, v8
	v_add_co_ci_u32_e32 v26, vcc_lo, v20, v9, vcc_lo
	v_add_co_u32 v27, vcc_lo, v21, v10
	v_add_co_ci_u32_e32 v28, vcc_lo, v7, v11, vcc_lo
	v_min_f32_e32 v6, v6, v16
	s_delay_alu instid0(VALU_DEP_1)
	v_cvt_f64_f32_e32 v[16:17], v6
	global_store_b64 v[25:26], v[16:17], off
	flat_load_b64 v[16:17], v[27:28]
	s_waitcnt vmcnt(0) lgkmcnt(0)
	v_mul_f64 v[16:17], v[16:17], s[6:7]
.LBB106_78:
	s_delay_alu instid0(VALU_DEP_1) | instskip(SKIP_4) | instid1(VALU_DEP_3)
	v_cvt_f32_f64_e32 v6, v[16:17]
	v_max_f32_e32 v16, v102, v102
	v_add_co_u32 v27, vcc_lo, v19, v10
	v_add_co_ci_u32_e32 v28, vcc_lo, v20, v11, vcc_lo
	s_mov_b32 vcc_lo, s2
	v_min_f32_e32 v6, v6, v16
	v_max_f32_e32 v16, v107, v107
	s_delay_alu instid0(VALU_DEP_2)
	v_cvt_f64_f32_e32 v[25:26], v6
	global_store_b64 v[27:28], v[25:26], off
	s_cbranch_vccz .LBB106_81
; %bb.79:
	v_min_f32_e32 v6, 0, v16
	v_add_co_u32 v27, vcc_lo, v19, v12
	v_add_co_ci_u32_e32 v28, vcc_lo, v20, v13, vcc_lo
	s_delay_alu instid0(VALU_DEP_3)
	v_cvt_f64_f32_e32 v[25:26], v6
	s_mov_b64 s[0:1], 0
	global_store_b64 v[27:28], v[25:26], off
	s_cbranch_execz .LBB106_82
; %bb.80:
	v_dual_mov_b32 v17, s1 :: v_dual_mov_b32 v16, s0
	s_branch .LBB106_83
.LBB106_81:
                                        ; implicit-def: $sgpr0_sgpr1
.LBB106_82:
	v_add_co_u32 v25, vcc_lo, v21, v12
	v_add_co_ci_u32_e32 v26, vcc_lo, v7, v13, vcc_lo
	flat_load_b64 v[25:26], v[25:26]
	s_waitcnt vmcnt(0) lgkmcnt(0)
	v_mul_f64 v[25:26], v[25:26], s[6:7]
	s_delay_alu instid0(VALU_DEP_1) | instskip(SKIP_2) | instid1(VALU_DEP_3)
	v_cvt_f32_f64_e32 v6, v[25:26]
	v_add_co_u32 v25, vcc_lo, v19, v12
	v_add_co_ci_u32_e32 v26, vcc_lo, v20, v13, vcc_lo
	v_min_f32_e32 v6, v6, v16
	s_delay_alu instid0(VALU_DEP_1)
	v_cvt_f64_f32_e32 v[16:17], v6
	v_add_co_u32 v6, vcc_lo, v21, v14
	v_add_co_ci_u32_e32 v7, vcc_lo, v7, v15, vcc_lo
	global_store_b64 v[25:26], v[16:17], off
	flat_load_b64 v[6:7], v[6:7]
	s_waitcnt vmcnt(0) lgkmcnt(0)
	v_mul_f64 v[16:17], v[6:7], s[6:7]
.LBB106_83:
	s_delay_alu instid0(VALU_DEP_1) | instskip(SKIP_4) | instid1(VALU_DEP_3)
	v_cvt_f32_f64_e32 v6, v[16:17]
	v_max_f32_e32 v7, v106, v106
	v_add_nc_u32_e32 v16, 24, v18
	v_add_co_u32 v27, vcc_lo, v19, v14
	v_add_co_ci_u32_e32 v28, vcc_lo, v20, v15, vcc_lo
	v_mad_i64_i32 v[21:22], null, v16, s11, 0
	s_delay_alu instid0(VALU_DEP_1) | instskip(SKIP_1) | instid1(VALU_DEP_1)
	v_lshlrev_b64 v[21:22], 3, v[21:22]
	v_min_f32_e32 v6, v6, v7
	v_cvt_f64_f32_e32 v[25:26], v6
	v_mad_i64_i32 v[6:7], null, v16, s12, 0
	v_max_f32_e32 v16, v111, v111
	s_delay_alu instid0(VALU_DEP_2) | instskip(NEXT) | instid1(VALU_DEP_1)
	v_lshlrev_b64 v[6:7], 3, v[6:7]
	v_add_co_u32 v19, vcc_lo, s3, v6
	s_delay_alu instid0(VALU_DEP_2)
	v_add_co_ci_u32_e32 v20, vcc_lo, s8, v7, vcc_lo
	v_add_co_u32 v21, vcc_lo, s4, v21
	v_add_co_ci_u32_e32 v7, vcc_lo, s5, v22, vcc_lo
	s_mov_b32 vcc_lo, s2
	global_store_b64 v[27:28], v[25:26], off
	s_cbranch_vccz .LBB106_86
; %bb.84:
	v_min_f32_e32 v6, 0, v16
	v_add_co_u32 v27, vcc_lo, v19, v0
	v_add_co_ci_u32_e32 v28, vcc_lo, v20, v1, vcc_lo
	s_delay_alu instid0(VALU_DEP_3)
	v_cvt_f64_f32_e32 v[25:26], v6
	s_mov_b64 s[0:1], 0
	global_store_b64 v[27:28], v[25:26], off
	s_cbranch_execz .LBB106_87
; %bb.85:
	v_dual_mov_b32 v17, s1 :: v_dual_mov_b32 v16, s0
	s_branch .LBB106_88
.LBB106_86:
                                        ; implicit-def: $sgpr0_sgpr1
.LBB106_87:
	v_add_co_u32 v25, vcc_lo, v21, v0
	v_add_co_ci_u32_e32 v26, vcc_lo, v7, v1, vcc_lo
	flat_load_b64 v[25:26], v[25:26]
	s_waitcnt vmcnt(0) lgkmcnt(0)
	v_mul_f64 v[25:26], v[25:26], s[6:7]
	s_delay_alu instid0(VALU_DEP_1)
	v_cvt_f32_f64_e32 v6, v[25:26]
	v_add_co_u32 v25, vcc_lo, v19, v0
	v_add_co_ci_u32_e32 v26, vcc_lo, v20, v1, vcc_lo
	v_add_co_u32 v27, vcc_lo, v21, v2
	v_add_co_ci_u32_e32 v28, vcc_lo, v7, v3, vcc_lo
	v_min_f32_e32 v6, v6, v16
	s_delay_alu instid0(VALU_DEP_1)
	v_cvt_f64_f32_e32 v[16:17], v6
	global_store_b64 v[25:26], v[16:17], off
	flat_load_b64 v[16:17], v[27:28]
	s_waitcnt vmcnt(0) lgkmcnt(0)
	v_mul_f64 v[16:17], v[16:17], s[6:7]
.LBB106_88:
	s_delay_alu instid0(VALU_DEP_1) | instskip(SKIP_4) | instid1(VALU_DEP_3)
	v_cvt_f32_f64_e32 v6, v[16:17]
	v_max_f32_e32 v16, v110, v110
	v_add_co_u32 v27, vcc_lo, v19, v2
	v_add_co_ci_u32_e32 v28, vcc_lo, v20, v3, vcc_lo
	s_mov_b32 vcc_lo, s2
	v_min_f32_e32 v6, v6, v16
	v_max_f32_e32 v16, v59, v59
	s_delay_alu instid0(VALU_DEP_2)
	v_cvt_f64_f32_e32 v[25:26], v6
	global_store_b64 v[27:28], v[25:26], off
	s_cbranch_vccz .LBB106_91
; %bb.89:
	v_min_f32_e32 v6, 0, v16
	v_add_co_u32 v27, vcc_lo, v19, v4
	v_add_co_ci_u32_e32 v28, vcc_lo, v20, v5, vcc_lo
	s_delay_alu instid0(VALU_DEP_3)
	v_cvt_f64_f32_e32 v[25:26], v6
	s_mov_b64 s[0:1], 0
	global_store_b64 v[27:28], v[25:26], off
	s_cbranch_execz .LBB106_92
; %bb.90:
	v_dual_mov_b32 v17, s1 :: v_dual_mov_b32 v16, s0
	s_branch .LBB106_93
.LBB106_91:
                                        ; implicit-def: $sgpr0_sgpr1
.LBB106_92:
	v_add_co_u32 v25, vcc_lo, v21, v4
	v_add_co_ci_u32_e32 v26, vcc_lo, v7, v5, vcc_lo
	flat_load_b64 v[25:26], v[25:26]
	s_waitcnt vmcnt(0) lgkmcnt(0)
	v_mul_f64 v[25:26], v[25:26], s[6:7]
	s_delay_alu instid0(VALU_DEP_1)
	v_cvt_f32_f64_e32 v6, v[25:26]
	v_add_co_u32 v25, vcc_lo, v19, v4
	v_add_co_ci_u32_e32 v26, vcc_lo, v20, v5, vcc_lo
	v_add_co_u32 v27, vcc_lo, v21, v23
	v_add_co_ci_u32_e32 v28, vcc_lo, v7, v24, vcc_lo
	v_min_f32_e32 v6, v6, v16
	s_delay_alu instid0(VALU_DEP_1)
	v_cvt_f64_f32_e32 v[16:17], v6
	global_store_b64 v[25:26], v[16:17], off
	flat_load_b64 v[16:17], v[27:28]
	s_waitcnt vmcnt(0) lgkmcnt(0)
	v_mul_f64 v[16:17], v[16:17], s[6:7]
.LBB106_93:
	s_delay_alu instid0(VALU_DEP_1) | instskip(SKIP_4) | instid1(VALU_DEP_3)
	v_cvt_f32_f64_e32 v6, v[16:17]
	v_max_f32_e32 v16, v58, v58
	v_add_co_u32 v27, vcc_lo, v19, v23
	v_add_co_ci_u32_e32 v28, vcc_lo, v20, v24, vcc_lo
	s_mov_b32 vcc_lo, s2
	v_min_f32_e32 v6, v6, v16
	v_max_f32_e32 v16, v57, v57
	s_delay_alu instid0(VALU_DEP_2)
	v_cvt_f64_f32_e32 v[25:26], v6
	;; [unrolled: 46-line block ×3, first 2 shown]
	global_store_b64 v[27:28], v[25:26], off
	s_cbranch_vccz .LBB106_101
; %bb.99:
	v_min_f32_e32 v6, 0, v16
	v_add_co_u32 v27, vcc_lo, v19, v12
	v_add_co_ci_u32_e32 v28, vcc_lo, v20, v13, vcc_lo
	s_delay_alu instid0(VALU_DEP_3)
	v_cvt_f64_f32_e32 v[25:26], v6
	s_mov_b64 s[0:1], 0
	global_store_b64 v[27:28], v[25:26], off
	s_cbranch_execz .LBB106_102
; %bb.100:
	v_dual_mov_b32 v17, s1 :: v_dual_mov_b32 v16, s0
	s_branch .LBB106_103
.LBB106_101:
                                        ; implicit-def: $sgpr0_sgpr1
.LBB106_102:
	v_add_co_u32 v25, vcc_lo, v21, v12
	v_add_co_ci_u32_e32 v26, vcc_lo, v7, v13, vcc_lo
	flat_load_b64 v[25:26], v[25:26]
	s_waitcnt vmcnt(0) lgkmcnt(0)
	v_mul_f64 v[25:26], v[25:26], s[6:7]
	s_delay_alu instid0(VALU_DEP_1) | instskip(SKIP_2) | instid1(VALU_DEP_3)
	v_cvt_f32_f64_e32 v6, v[25:26]
	v_add_co_u32 v25, vcc_lo, v19, v12
	v_add_co_ci_u32_e32 v26, vcc_lo, v20, v13, vcc_lo
	v_min_f32_e32 v6, v6, v16
	s_delay_alu instid0(VALU_DEP_1)
	v_cvt_f64_f32_e32 v[16:17], v6
	v_add_co_u32 v6, vcc_lo, v21, v14
	v_add_co_ci_u32_e32 v7, vcc_lo, v7, v15, vcc_lo
	global_store_b64 v[25:26], v[16:17], off
	flat_load_b64 v[6:7], v[6:7]
	s_waitcnt vmcnt(0) lgkmcnt(0)
	v_mul_f64 v[16:17], v[6:7], s[6:7]
.LBB106_103:
	s_delay_alu instid0(VALU_DEP_1) | instskip(SKIP_4) | instid1(VALU_DEP_4)
	v_cvt_f32_f64_e32 v6, v[16:17]
	v_add_nc_u32_e32 v25, 32, v18
	v_max_f32_e32 v7, v37, v37
	v_add_co_u32 v27, vcc_lo, v19, v14
	v_add_co_ci_u32_e32 v28, vcc_lo, v20, v15, vcc_lo
	v_mad_i64_i32 v[16:17], null, v25, s12, 0
	v_mad_i64_i32 v[21:22], null, v25, s11, 0
	s_delay_alu instid0(VALU_DEP_2) | instskip(SKIP_1) | instid1(VALU_DEP_3)
	v_lshlrev_b64 v[25:26], 3, v[16:17]
	v_max_f32_e32 v16, v60, v60
	v_lshlrev_b64 v[21:22], 3, v[21:22]
	s_delay_alu instid0(VALU_DEP_3) | instskip(NEXT) | instid1(VALU_DEP_4)
	v_add_co_u32 v19, vcc_lo, s3, v25
	v_add_co_ci_u32_e32 v20, vcc_lo, s8, v26, vcc_lo
	s_delay_alu instid0(VALU_DEP_3) | instskip(NEXT) | instid1(VALU_DEP_4)
	v_add_co_u32 v21, vcc_lo, s4, v21
	v_add_co_ci_u32_e32 v22, vcc_lo, s5, v22, vcc_lo
	s_mov_b32 vcc_lo, s2
	v_min_f32_e32 v6, v6, v7
	s_delay_alu instid0(VALU_DEP_1)
	v_cvt_f64_f32_e32 v[6:7], v6
	global_store_b64 v[27:28], v[6:7], off
	s_cbranch_vccz .LBB106_106
; %bb.104:
	v_min_f32_e32 v6, 0, v16
	v_add_co_u32 v25, vcc_lo, v19, v0
	v_add_co_ci_u32_e32 v26, vcc_lo, v20, v1, vcc_lo
	s_delay_alu instid0(VALU_DEP_3)
	v_cvt_f64_f32_e32 v[6:7], v6
	s_mov_b64 s[0:1], 0
	global_store_b64 v[25:26], v[6:7], off
	s_cbranch_execz .LBB106_107
; %bb.105:
	v_dual_mov_b32 v17, s1 :: v_dual_mov_b32 v16, s0
	s_branch .LBB106_108
.LBB106_106:
                                        ; implicit-def: $sgpr0_sgpr1
.LBB106_107:
	v_add_co_u32 v6, vcc_lo, v21, v0
	v_add_co_ci_u32_e32 v7, vcc_lo, v22, v1, vcc_lo
	flat_load_b64 v[6:7], v[6:7]
	s_waitcnt vmcnt(0) lgkmcnt(0)
	v_mul_f64 v[6:7], v[6:7], s[6:7]
	s_delay_alu instid0(VALU_DEP_1) | instskip(NEXT) | instid1(VALU_DEP_1)
	v_cvt_f32_f64_e32 v6, v[6:7]
	v_min_f32_e32 v6, v6, v16
	v_add_co_u32 v16, vcc_lo, v19, v0
	v_add_co_ci_u32_e32 v17, vcc_lo, v20, v1, vcc_lo
	s_delay_alu instid0(VALU_DEP_3)
	v_cvt_f64_f32_e32 v[6:7], v6
	v_add_co_u32 v25, vcc_lo, v21, v2
	v_add_co_ci_u32_e32 v26, vcc_lo, v22, v3, vcc_lo
	global_store_b64 v[16:17], v[6:7], off
	flat_load_b64 v[6:7], v[25:26]
	s_waitcnt vmcnt(0) lgkmcnt(0)
	v_mul_f64 v[16:17], v[6:7], s[6:7]
.LBB106_108:
	s_delay_alu instid0(VALU_DEP_1) | instskip(SKIP_4) | instid1(VALU_DEP_3)
	v_cvt_f32_f64_e32 v6, v[16:17]
	v_dual_max_f32 v7, v229, v229 :: v_dual_max_f32 v16, v34, v34
	v_add_co_u32 v25, vcc_lo, v19, v2
	v_add_co_ci_u32_e32 v26, vcc_lo, v20, v3, vcc_lo
	s_mov_b32 vcc_lo, s2
	v_min_f32_e32 v6, v6, v7
	s_delay_alu instid0(VALU_DEP_1)
	v_cvt_f64_f32_e32 v[6:7], v6
	global_store_b64 v[25:26], v[6:7], off
	s_cbranch_vccz .LBB106_111
; %bb.109:
	v_min_f32_e32 v6, 0, v16
	v_add_co_u32 v25, vcc_lo, v19, v4
	v_add_co_ci_u32_e32 v26, vcc_lo, v20, v5, vcc_lo
	s_delay_alu instid0(VALU_DEP_3)
	v_cvt_f64_f32_e32 v[6:7], v6
	s_mov_b64 s[0:1], 0
	global_store_b64 v[25:26], v[6:7], off
	s_cbranch_execz .LBB106_112
; %bb.110:
	v_dual_mov_b32 v17, s1 :: v_dual_mov_b32 v16, s0
	s_branch .LBB106_113
.LBB106_111:
                                        ; implicit-def: $sgpr0_sgpr1
.LBB106_112:
	v_add_co_u32 v6, vcc_lo, v21, v4
	v_add_co_ci_u32_e32 v7, vcc_lo, v22, v5, vcc_lo
	flat_load_b64 v[6:7], v[6:7]
	s_waitcnt vmcnt(0) lgkmcnt(0)
	v_mul_f64 v[6:7], v[6:7], s[6:7]
	s_delay_alu instid0(VALU_DEP_1) | instskip(NEXT) | instid1(VALU_DEP_1)
	v_cvt_f32_f64_e32 v6, v[6:7]
	v_min_f32_e32 v6, v6, v16
	v_add_co_u32 v16, vcc_lo, v19, v4
	v_add_co_ci_u32_e32 v17, vcc_lo, v20, v5, vcc_lo
	s_delay_alu instid0(VALU_DEP_3)
	v_cvt_f64_f32_e32 v[6:7], v6
	v_add_co_u32 v25, vcc_lo, v21, v23
	v_add_co_ci_u32_e32 v26, vcc_lo, v22, v24, vcc_lo
	global_store_b64 v[16:17], v[6:7], off
	flat_load_b64 v[6:7], v[25:26]
	s_waitcnt vmcnt(0) lgkmcnt(0)
	v_mul_f64 v[16:17], v[6:7], s[6:7]
.LBB106_113:
	s_delay_alu instid0(VALU_DEP_1)
	v_cvt_f32_f64_e32 v6, v[16:17]
	v_max_f32_e32 v7, v224, v224
	v_add_co_u32 v25, vcc_lo, v19, v23
	v_add_co_ci_u32_e32 v26, vcc_lo, v20, v24, vcc_lo
	v_max_f32_e32 v16, v32, v32
	s_mov_b32 vcc_lo, s2
	v_min_f32_e32 v6, v6, v7
	s_delay_alu instid0(VALU_DEP_1)
	v_cvt_f64_f32_e32 v[6:7], v6
	global_store_b64 v[25:26], v[6:7], off
	s_cbranch_vccz .LBB106_116
; %bb.114:
	v_min_f32_e32 v6, 0, v16
	v_add_co_u32 v25, vcc_lo, v19, v8
	v_add_co_ci_u32_e32 v26, vcc_lo, v20, v9, vcc_lo
	s_delay_alu instid0(VALU_DEP_3)
	v_cvt_f64_f32_e32 v[6:7], v6
	s_mov_b64 s[0:1], 0
	global_store_b64 v[25:26], v[6:7], off
	s_cbranch_execz .LBB106_117
; %bb.115:
	v_dual_mov_b32 v17, s1 :: v_dual_mov_b32 v16, s0
	s_branch .LBB106_118
.LBB106_116:
                                        ; implicit-def: $sgpr0_sgpr1
.LBB106_117:
	v_add_co_u32 v6, vcc_lo, v21, v8
	v_add_co_ci_u32_e32 v7, vcc_lo, v22, v9, vcc_lo
	flat_load_b64 v[6:7], v[6:7]
	s_waitcnt vmcnt(0) lgkmcnt(0)
	v_mul_f64 v[6:7], v[6:7], s[6:7]
	s_delay_alu instid0(VALU_DEP_1) | instskip(NEXT) | instid1(VALU_DEP_1)
	v_cvt_f32_f64_e32 v6, v[6:7]
	v_min_f32_e32 v6, v6, v16
	v_add_co_u32 v16, vcc_lo, v19, v8
	v_add_co_ci_u32_e32 v17, vcc_lo, v20, v9, vcc_lo
	s_delay_alu instid0(VALU_DEP_3)
	v_cvt_f64_f32_e32 v[6:7], v6
	v_add_co_u32 v25, vcc_lo, v21, v10
	v_add_co_ci_u32_e32 v26, vcc_lo, v22, v11, vcc_lo
	global_store_b64 v[16:17], v[6:7], off
	flat_load_b64 v[6:7], v[25:26]
	s_waitcnt vmcnt(0) lgkmcnt(0)
	v_mul_f64 v[16:17], v[6:7], s[6:7]
.LBB106_118:
	s_delay_alu instid0(VALU_DEP_1)
	v_cvt_f32_f64_e32 v6, v[16:17]
	v_max_f32_e32 v7, v225, v225
	v_add_co_u32 v25, vcc_lo, v19, v10
	v_add_co_ci_u32_e32 v26, vcc_lo, v20, v11, vcc_lo
	v_max_f32_e32 v16, v237, v237
	s_mov_b32 vcc_lo, s2
	v_min_f32_e32 v6, v6, v7
	s_delay_alu instid0(VALU_DEP_1)
	v_cvt_f64_f32_e32 v[6:7], v6
	global_store_b64 v[25:26], v[6:7], off
	s_cbranch_vccz .LBB106_121
; %bb.119:
	v_min_f32_e32 v6, 0, v16
	v_add_co_u32 v25, vcc_lo, v19, v12
	v_add_co_ci_u32_e32 v26, vcc_lo, v20, v13, vcc_lo
	s_delay_alu instid0(VALU_DEP_3)
	v_cvt_f64_f32_e32 v[6:7], v6
	s_mov_b64 s[0:1], 0
	global_store_b64 v[25:26], v[6:7], off
	s_cbranch_execz .LBB106_122
; %bb.120:
	v_dual_mov_b32 v17, s1 :: v_dual_mov_b32 v16, s0
	s_branch .LBB106_123
.LBB106_121:
                                        ; implicit-def: $sgpr0_sgpr1
.LBB106_122:
	v_add_co_u32 v6, vcc_lo, v21, v12
	v_add_co_ci_u32_e32 v7, vcc_lo, v22, v13, vcc_lo
	flat_load_b64 v[6:7], v[6:7]
	s_waitcnt vmcnt(0) lgkmcnt(0)
	v_mul_f64 v[6:7], v[6:7], s[6:7]
	s_delay_alu instid0(VALU_DEP_1) | instskip(NEXT) | instid1(VALU_DEP_1)
	v_cvt_f32_f64_e32 v6, v[6:7]
	v_min_f32_e32 v6, v6, v16
	v_add_co_u32 v16, vcc_lo, v19, v12
	v_add_co_ci_u32_e32 v17, vcc_lo, v20, v13, vcc_lo
	s_delay_alu instid0(VALU_DEP_3)
	v_cvt_f64_f32_e32 v[6:7], v6
	v_add_co_u32 v21, vcc_lo, v21, v14
	v_add_co_ci_u32_e32 v22, vcc_lo, v22, v15, vcc_lo
	global_store_b64 v[16:17], v[6:7], off
	flat_load_b64 v[6:7], v[21:22]
	s_waitcnt vmcnt(0) lgkmcnt(0)
	v_mul_f64 v[16:17], v[6:7], s[6:7]
.LBB106_123:
	s_delay_alu instid0(VALU_DEP_1) | instskip(SKIP_4) | instid1(VALU_DEP_4)
	v_cvt_f32_f64_e32 v6, v[16:17]
	v_add_nc_u32_e32 v25, 40, v18
	v_max_f32_e32 v7, v230, v230
	v_add_co_u32 v27, vcc_lo, v19, v14
	v_add_co_ci_u32_e32 v28, vcc_lo, v20, v15, vcc_lo
	v_mad_i64_i32 v[16:17], null, v25, s12, 0
	v_mad_i64_i32 v[21:22], null, v25, s11, 0
	s_delay_alu instid0(VALU_DEP_2) | instskip(SKIP_1) | instid1(VALU_DEP_3)
	v_lshlrev_b64 v[25:26], 3, v[16:17]
	v_max_f32_e32 v16, v31, v31
	v_lshlrev_b64 v[21:22], 3, v[21:22]
	s_delay_alu instid0(VALU_DEP_3) | instskip(NEXT) | instid1(VALU_DEP_4)
	v_add_co_u32 v19, vcc_lo, s3, v25
	v_add_co_ci_u32_e32 v20, vcc_lo, s8, v26, vcc_lo
	s_delay_alu instid0(VALU_DEP_3) | instskip(NEXT) | instid1(VALU_DEP_4)
	v_add_co_u32 v21, vcc_lo, s4, v21
	v_add_co_ci_u32_e32 v22, vcc_lo, s5, v22, vcc_lo
	s_mov_b32 vcc_lo, s2
	v_min_f32_e32 v6, v6, v7
	s_delay_alu instid0(VALU_DEP_1)
	v_cvt_f64_f32_e32 v[6:7], v6
	global_store_b64 v[27:28], v[6:7], off
	s_cbranch_vccz .LBB106_126
; %bb.124:
	v_min_f32_e32 v6, 0, v16
	v_add_co_u32 v25, vcc_lo, v19, v0
	v_add_co_ci_u32_e32 v26, vcc_lo, v20, v1, vcc_lo
	s_delay_alu instid0(VALU_DEP_3)
	v_cvt_f64_f32_e32 v[6:7], v6
	s_mov_b64 s[0:1], 0
	global_store_b64 v[25:26], v[6:7], off
	s_cbranch_execz .LBB106_127
; %bb.125:
	v_dual_mov_b32 v17, s1 :: v_dual_mov_b32 v16, s0
	s_branch .LBB106_128
.LBB106_126:
                                        ; implicit-def: $sgpr0_sgpr1
.LBB106_127:
	v_add_co_u32 v6, vcc_lo, v21, v0
	v_add_co_ci_u32_e32 v7, vcc_lo, v22, v1, vcc_lo
	flat_load_b64 v[6:7], v[6:7]
	s_waitcnt vmcnt(0) lgkmcnt(0)
	v_mul_f64 v[6:7], v[6:7], s[6:7]
	s_delay_alu instid0(VALU_DEP_1) | instskip(NEXT) | instid1(VALU_DEP_1)
	v_cvt_f32_f64_e32 v6, v[6:7]
	v_min_f32_e32 v6, v6, v16
	v_add_co_u32 v16, vcc_lo, v19, v0
	v_add_co_ci_u32_e32 v17, vcc_lo, v20, v1, vcc_lo
	s_delay_alu instid0(VALU_DEP_3)
	v_cvt_f64_f32_e32 v[6:7], v6
	v_add_co_u32 v25, vcc_lo, v21, v2
	v_add_co_ci_u32_e32 v26, vcc_lo, v22, v3, vcc_lo
	global_store_b64 v[16:17], v[6:7], off
	flat_load_b64 v[6:7], v[25:26]
	s_waitcnt vmcnt(0) lgkmcnt(0)
	v_mul_f64 v[16:17], v[6:7], s[6:7]
.LBB106_128:
	s_delay_alu instid0(VALU_DEP_1) | instskip(SKIP_4) | instid1(VALU_DEP_3)
	v_cvt_f32_f64_e32 v6, v[16:17]
	v_dual_max_f32 v7, v239, v239 :: v_dual_max_f32 v16, v241, v241
	v_add_co_u32 v25, vcc_lo, v19, v2
	v_add_co_ci_u32_e32 v26, vcc_lo, v20, v3, vcc_lo
	s_mov_b32 vcc_lo, s2
	v_min_f32_e32 v6, v6, v7
	s_delay_alu instid0(VALU_DEP_1)
	v_cvt_f64_f32_e32 v[6:7], v6
	global_store_b64 v[25:26], v[6:7], off
	s_cbranch_vccz .LBB106_131
; %bb.129:
	v_min_f32_e32 v6, 0, v16
	v_add_co_u32 v25, vcc_lo, v19, v4
	v_add_co_ci_u32_e32 v26, vcc_lo, v20, v5, vcc_lo
	s_delay_alu instid0(VALU_DEP_3)
	v_cvt_f64_f32_e32 v[6:7], v6
	s_mov_b32 s0, 0
	global_store_b64 v[25:26], v[6:7], off
	s_cbranch_execz .LBB106_132
; %bb.130:
	v_mov_b32_e32 v16, s0
	s_branch .LBB106_133
.LBB106_131:
	s_mov_b32 s0, -1
.LBB106_132:
	v_add_co_u32 v6, vcc_lo, v21, v4
	v_add_co_ci_u32_e32 v7, vcc_lo, v22, v5, vcc_lo
	flat_load_b64 v[6:7], v[6:7]
	s_waitcnt vmcnt(0) lgkmcnt(0)
	v_mul_f64 v[6:7], v[6:7], s[6:7]
	s_delay_alu instid0(VALU_DEP_1) | instskip(NEXT) | instid1(VALU_DEP_1)
	v_cvt_f32_f64_e32 v6, v[6:7]
	v_min_f32_e32 v6, v6, v16
	v_add_co_u32 v16, vcc_lo, v19, v4
	v_add_co_ci_u32_e32 v17, vcc_lo, v20, v5, vcc_lo
	s_delay_alu instid0(VALU_DEP_3)
	v_cvt_f64_f32_e32 v[6:7], v6
	v_add_co_u32 v25, vcc_lo, v21, v23
	v_add_co_ci_u32_e32 v26, vcc_lo, v22, v24, vcc_lo
	global_store_b64 v[16:17], v[6:7], off
	flat_load_b64 v[6:7], v[25:26]
	s_waitcnt vmcnt(0) lgkmcnt(0)
	v_mul_f64 v[6:7], v[6:7], s[6:7]
	s_delay_alu instid0(VALU_DEP_1)
	v_cvt_f32_f64_e32 v16, v[6:7]
.LBB106_133:
	s_delay_alu instid0(VALU_DEP_1) | instskip(SKIP_2) | instid1(VALU_DEP_3)
	v_dual_max_f32 v6, v134, v134 :: v_dual_max_f32 v7, v16, v16
	v_add_co_u32 v25, vcc_lo, v19, v23
	v_add_co_ci_u32_e32 v26, vcc_lo, v20, v24, vcc_lo
	v_min_f32_e32 v6, v7, v6
	v_max_f32_e32 v16, v248, v248
	s_mov_b32 vcc_lo, s2
	s_delay_alu instid0(VALU_DEP_2)
	v_cvt_f64_f32_e32 v[6:7], v6
	global_store_b64 v[25:26], v[6:7], off
	s_cbranch_vccz .LBB106_136
; %bb.134:
	v_min_f32_e32 v6, 0, v16
	v_add_co_u32 v25, vcc_lo, v19, v8
	v_add_co_ci_u32_e32 v26, vcc_lo, v20, v9, vcc_lo
	s_delay_alu instid0(VALU_DEP_3)
	v_cvt_f64_f32_e32 v[6:7], v6
	s_mov_b32 s0, 0
	global_store_b64 v[25:26], v[6:7], off
	s_cbranch_execz .LBB106_137
; %bb.135:
	v_mov_b32_e32 v16, s0
	s_branch .LBB106_138
.LBB106_136:
	s_mov_b32 s0, -1
.LBB106_137:
	v_add_co_u32 v6, vcc_lo, v21, v8
	v_add_co_ci_u32_e32 v7, vcc_lo, v22, v9, vcc_lo
	flat_load_b64 v[6:7], v[6:7]
	s_waitcnt vmcnt(0) lgkmcnt(0)
	v_mul_f64 v[6:7], v[6:7], s[6:7]
	s_delay_alu instid0(VALU_DEP_1) | instskip(NEXT) | instid1(VALU_DEP_1)
	v_cvt_f32_f64_e32 v6, v[6:7]
	v_min_f32_e32 v6, v6, v16
	v_add_co_u32 v16, vcc_lo, v19, v8
	v_add_co_ci_u32_e32 v17, vcc_lo, v20, v9, vcc_lo
	s_delay_alu instid0(VALU_DEP_3)
	v_cvt_f64_f32_e32 v[6:7], v6
	v_add_co_u32 v25, vcc_lo, v21, v10
	v_add_co_ci_u32_e32 v26, vcc_lo, v22, v11, vcc_lo
	global_store_b64 v[16:17], v[6:7], off
	flat_load_b64 v[6:7], v[25:26]
	s_waitcnt vmcnt(0) lgkmcnt(0)
	v_mul_f64 v[6:7], v[6:7], s[6:7]
	s_delay_alu instid0(VALU_DEP_1)
	v_cvt_f32_f64_e32 v16, v[6:7]
.LBB106_138:
	s_delay_alu instid0(VALU_DEP_1)
	v_dual_max_f32 v6, v246, v246 :: v_dual_max_f32 v7, v16, v16
	scratch_load_b32 v16, off, off offset:16 ; 4-byte Folded Reload
	v_add_co_u32 v25, vcc_lo, v19, v10
	v_add_co_ci_u32_e32 v26, vcc_lo, v20, v11, vcc_lo
	v_min_f32_e32 v6, v7, v6
	s_mov_b32 vcc_lo, s2
	s_delay_alu instid0(VALU_DEP_1)
	v_cvt_f64_f32_e32 v[6:7], v6
	global_store_b64 v[25:26], v[6:7], off
	s_waitcnt vmcnt(0)
	v_max_f32_e32 v16, v16, v16
	s_cbranch_vccz .LBB106_141
; %bb.139:
	s_delay_alu instid0(VALU_DEP_1) | instskip(SKIP_2) | instid1(VALU_DEP_3)
	v_min_f32_e32 v6, 0, v16
	v_add_co_u32 v25, vcc_lo, v19, v12
	v_add_co_ci_u32_e32 v26, vcc_lo, v20, v13, vcc_lo
	v_cvt_f64_f32_e32 v[6:7], v6
	s_mov_b32 s0, 0
	global_store_b64 v[25:26], v[6:7], off
	s_cbranch_execz .LBB106_142
; %bb.140:
	v_mov_b32_e32 v16, s0
	s_branch .LBB106_143
.LBB106_141:
	s_mov_b32 s0, -1
.LBB106_142:
	v_add_co_u32 v6, vcc_lo, v21, v12
	v_add_co_ci_u32_e32 v7, vcc_lo, v22, v13, vcc_lo
	flat_load_b64 v[6:7], v[6:7]
	s_waitcnt vmcnt(0) lgkmcnt(0)
	v_mul_f64 v[6:7], v[6:7], s[6:7]
	s_delay_alu instid0(VALU_DEP_1) | instskip(NEXT) | instid1(VALU_DEP_1)
	v_cvt_f32_f64_e32 v6, v[6:7]
	v_min_f32_e32 v6, v6, v16
	v_add_co_u32 v16, vcc_lo, v19, v12
	v_add_co_ci_u32_e32 v17, vcc_lo, v20, v13, vcc_lo
	s_delay_alu instid0(VALU_DEP_3)
	v_cvt_f64_f32_e32 v[6:7], v6
	v_add_co_u32 v21, vcc_lo, v21, v14
	v_add_co_ci_u32_e32 v22, vcc_lo, v22, v15, vcc_lo
	global_store_b64 v[16:17], v[6:7], off
	flat_load_b64 v[6:7], v[21:22]
	s_waitcnt vmcnt(0) lgkmcnt(0)
	v_mul_f64 v[6:7], v[6:7], s[6:7]
	s_delay_alu instid0(VALU_DEP_1)
	v_cvt_f32_f64_e32 v16, v[6:7]
.LBB106_143:
	s_delay_alu instid0(VALU_DEP_1) | instskip(SKIP_3) | instid1(VALU_DEP_4)
	v_dual_max_f32 v6, v234, v234 :: v_dual_max_f32 v7, v16, v16
	v_add_nc_u32_e32 v21, 48, v18
	v_add_co_u32 v27, vcc_lo, v19, v14
	v_add_co_ci_u32_e32 v28, vcc_lo, v20, v15, vcc_lo
	v_min_f32_e32 v6, v7, v6
	s_delay_alu instid0(VALU_DEP_4) | instskip(SKIP_1) | instid1(VALU_DEP_3)
	v_mad_i64_i32 v[16:17], null, v21, s12, 0
	v_mad_i64_i32 v[25:26], null, v21, s11, 0
	v_cvt_f64_f32_e32 v[6:7], v6
	v_max_f32_e32 v21, v131, v131
	s_delay_alu instid0(VALU_DEP_4) | instskip(NEXT) | instid1(VALU_DEP_4)
	v_lshlrev_b64 v[16:17], 3, v[16:17]
	v_lshlrev_b64 v[19:20], 3, v[25:26]
	s_delay_alu instid0(VALU_DEP_2) | instskip(NEXT) | instid1(VALU_DEP_3)
	v_add_co_u32 v16, vcc_lo, s3, v16
	v_add_co_ci_u32_e32 v17, vcc_lo, s8, v17, vcc_lo
	s_delay_alu instid0(VALU_DEP_3) | instskip(NEXT) | instid1(VALU_DEP_4)
	v_add_co_u32 v19, vcc_lo, s4, v19
	v_add_co_ci_u32_e32 v20, vcc_lo, s5, v20, vcc_lo
	s_mov_b32 vcc_lo, s2
	global_store_b64 v[27:28], v[6:7], off
	s_cbranch_vccz .LBB106_146
; %bb.144:
	v_min_f32_e32 v6, 0, v21
	v_add_co_u32 v25, vcc_lo, v16, v0
	v_add_co_ci_u32_e32 v26, vcc_lo, v17, v1, vcc_lo
	s_delay_alu instid0(VALU_DEP_3)
	v_cvt_f64_f32_e32 v[6:7], v6
	s_mov_b32 s0, 0
	global_store_b64 v[25:26], v[6:7], off
	s_cbranch_execz .LBB106_147
; %bb.145:
	v_mov_b32_e32 v21, s0
	s_branch .LBB106_148
.LBB106_146:
	s_mov_b32 s0, -1
.LBB106_147:
	v_add_co_u32 v6, vcc_lo, v19, v0
	v_add_co_ci_u32_e32 v7, vcc_lo, v20, v1, vcc_lo
	flat_load_b64 v[6:7], v[6:7]
	s_waitcnt vmcnt(0) lgkmcnt(0)
	v_mul_f64 v[6:7], v[6:7], s[6:7]
	s_delay_alu instid0(VALU_DEP_1) | instskip(NEXT) | instid1(VALU_DEP_1)
	v_cvt_f32_f64_e32 v6, v[6:7]
	v_min_f32_e32 v6, v6, v21
	v_add_co_u32 v21, vcc_lo, v16, v0
	v_add_co_ci_u32_e32 v22, vcc_lo, v17, v1, vcc_lo
	s_delay_alu instid0(VALU_DEP_3)
	v_cvt_f64_f32_e32 v[6:7], v6
	v_add_co_u32 v25, vcc_lo, v19, v2
	v_add_co_ci_u32_e32 v26, vcc_lo, v20, v3, vcc_lo
	global_store_b64 v[21:22], v[6:7], off
	flat_load_b64 v[6:7], v[25:26]
	s_waitcnt vmcnt(0) lgkmcnt(0)
	v_mul_f64 v[6:7], v[6:7], s[6:7]
	s_delay_alu instid0(VALU_DEP_1)
	v_cvt_f32_f64_e32 v21, v[6:7]
.LBB106_148:
	s_delay_alu instid0(VALU_DEP_1) | instskip(SKIP_2) | instid1(VALU_DEP_3)
	v_dual_max_f32 v6, v43, v43 :: v_dual_max_f32 v7, v21, v21
	v_add_co_u32 v25, vcc_lo, v16, v2
	v_add_co_ci_u32_e32 v26, vcc_lo, v17, v3, vcc_lo
	v_dual_min_f32 v6, v7, v6 :: v_dual_max_f32 v21, v44, v44
	s_mov_b32 vcc_lo, s2
	s_delay_alu instid0(VALU_DEP_1)
	v_cvt_f64_f32_e32 v[6:7], v6
	global_store_b64 v[25:26], v[6:7], off
	s_cbranch_vccz .LBB106_151
; %bb.149:
	v_min_f32_e32 v6, 0, v21
	v_add_co_u32 v25, vcc_lo, v16, v4
	v_add_co_ci_u32_e32 v26, vcc_lo, v17, v5, vcc_lo
	s_delay_alu instid0(VALU_DEP_3)
	v_cvt_f64_f32_e32 v[6:7], v6
	s_mov_b32 s0, 0
	global_store_b64 v[25:26], v[6:7], off
	s_cbranch_execz .LBB106_152
; %bb.150:
	v_mov_b32_e32 v21, s0
	s_branch .LBB106_153
.LBB106_151:
	s_mov_b32 s0, -1
.LBB106_152:
	v_add_co_u32 v6, vcc_lo, v19, v4
	v_add_co_ci_u32_e32 v7, vcc_lo, v20, v5, vcc_lo
	flat_load_b64 v[6:7], v[6:7]
	s_waitcnt vmcnt(0) lgkmcnt(0)
	v_mul_f64 v[6:7], v[6:7], s[6:7]
	s_delay_alu instid0(VALU_DEP_1) | instskip(NEXT) | instid1(VALU_DEP_1)
	v_cvt_f32_f64_e32 v6, v[6:7]
	v_min_f32_e32 v6, v6, v21
	v_add_co_u32 v21, vcc_lo, v16, v4
	v_add_co_ci_u32_e32 v22, vcc_lo, v17, v5, vcc_lo
	s_delay_alu instid0(VALU_DEP_3)
	v_cvt_f64_f32_e32 v[6:7], v6
	v_add_co_u32 v25, vcc_lo, v19, v23
	v_add_co_ci_u32_e32 v26, vcc_lo, v20, v24, vcc_lo
	global_store_b64 v[21:22], v[6:7], off
	flat_load_b64 v[6:7], v[25:26]
	s_waitcnt vmcnt(0) lgkmcnt(0)
	v_mul_f64 v[6:7], v[6:7], s[6:7]
	s_delay_alu instid0(VALU_DEP_1)
	v_cvt_f32_f64_e32 v21, v[6:7]
.LBB106_153:
	scratch_load_b32 v6, off, off offset:12 ; 4-byte Folded Reload
	v_add_co_u32 v25, vcc_lo, v16, v23
	v_add_co_ci_u32_e32 v26, vcc_lo, v17, v24, vcc_lo
	s_mov_b32 vcc_lo, s2
	v_max_f32_e32 v7, v21, v21
	v_max_f32_e32 v21, v138, v138
	s_waitcnt vmcnt(0)
	v_max_f32_e32 v6, v6, v6
	s_delay_alu instid0(VALU_DEP_1) | instskip(NEXT) | instid1(VALU_DEP_1)
	v_min_f32_e32 v6, v7, v6
	v_cvt_f64_f32_e32 v[6:7], v6
	global_store_b64 v[25:26], v[6:7], off
	s_cbranch_vccz .LBB106_156
; %bb.154:
	v_min_f32_e32 v6, 0, v21
	v_add_co_u32 v25, vcc_lo, v16, v8
	v_add_co_ci_u32_e32 v26, vcc_lo, v17, v9, vcc_lo
	s_delay_alu instid0(VALU_DEP_3)
	v_cvt_f64_f32_e32 v[6:7], v6
	s_mov_b32 s0, 0
	global_store_b64 v[25:26], v[6:7], off
	s_cbranch_execz .LBB106_157
; %bb.155:
	v_mov_b32_e32 v21, s0
	s_branch .LBB106_158
.LBB106_156:
	s_mov_b32 s0, -1
.LBB106_157:
	v_add_co_u32 v6, vcc_lo, v19, v8
	v_add_co_ci_u32_e32 v7, vcc_lo, v20, v9, vcc_lo
	flat_load_b64 v[6:7], v[6:7]
	s_waitcnt vmcnt(0) lgkmcnt(0)
	v_mul_f64 v[6:7], v[6:7], s[6:7]
	s_delay_alu instid0(VALU_DEP_1) | instskip(NEXT) | instid1(VALU_DEP_1)
	v_cvt_f32_f64_e32 v6, v[6:7]
	v_min_f32_e32 v6, v6, v21
	v_add_co_u32 v21, vcc_lo, v16, v8
	v_add_co_ci_u32_e32 v22, vcc_lo, v17, v9, vcc_lo
	s_delay_alu instid0(VALU_DEP_3)
	v_cvt_f64_f32_e32 v[6:7], v6
	v_add_co_u32 v25, vcc_lo, v19, v10
	v_add_co_ci_u32_e32 v26, vcc_lo, v20, v11, vcc_lo
	global_store_b64 v[21:22], v[6:7], off
	flat_load_b64 v[6:7], v[25:26]
	s_waitcnt vmcnt(0) lgkmcnt(0)
	v_mul_f64 v[6:7], v[6:7], s[6:7]
	s_delay_alu instid0(VALU_DEP_1)
	v_cvt_f32_f64_e32 v21, v[6:7]
.LBB106_158:
	scratch_load_b32 v6, off, off offset:8  ; 4-byte Folded Reload
	v_add_co_u32 v25, vcc_lo, v16, v10
	v_add_co_ci_u32_e32 v26, vcc_lo, v17, v11, vcc_lo
	s_mov_b32 vcc_lo, s2
	v_max_f32_e32 v7, v21, v21
	s_waitcnt vmcnt(0)
	v_dual_max_f32 v21, v127, v127 :: v_dual_max_f32 v6, v6, v6
	s_delay_alu instid0(VALU_DEP_1) | instskip(NEXT) | instid1(VALU_DEP_1)
	v_min_f32_e32 v6, v7, v6
	v_cvt_f64_f32_e32 v[6:7], v6
	global_store_b64 v[25:26], v[6:7], off
	s_cbranch_vccz .LBB106_161
; %bb.159:
	v_min_f32_e32 v6, 0, v21
	v_add_co_u32 v25, vcc_lo, v16, v12
	v_add_co_ci_u32_e32 v26, vcc_lo, v17, v13, vcc_lo
	s_delay_alu instid0(VALU_DEP_3)
	v_cvt_f64_f32_e32 v[6:7], v6
	s_mov_b32 s0, 0
	global_store_b64 v[25:26], v[6:7], off
	s_cbranch_execz .LBB106_162
; %bb.160:
	v_mov_b32_e32 v19, s0
	s_branch .LBB106_163
.LBB106_161:
	s_mov_b32 s0, -1
.LBB106_162:
	v_add_co_u32 v6, vcc_lo, v19, v12
	v_add_co_ci_u32_e32 v7, vcc_lo, v20, v13, vcc_lo
	flat_load_b64 v[6:7], v[6:7]
	s_waitcnt vmcnt(0) lgkmcnt(0)
	v_mul_f64 v[6:7], v[6:7], s[6:7]
	s_delay_alu instid0(VALU_DEP_1) | instskip(NEXT) | instid1(VALU_DEP_1)
	v_cvt_f32_f64_e32 v6, v[6:7]
	v_min_f32_e32 v6, v6, v21
	v_add_co_u32 v21, vcc_lo, v16, v12
	v_add_co_ci_u32_e32 v22, vcc_lo, v17, v13, vcc_lo
	s_delay_alu instid0(VALU_DEP_3)
	v_cvt_f64_f32_e32 v[6:7], v6
	v_add_co_u32 v19, vcc_lo, v19, v14
	v_add_co_ci_u32_e32 v20, vcc_lo, v20, v15, vcc_lo
	global_store_b64 v[21:22], v[6:7], off
	flat_load_b64 v[6:7], v[19:20]
	s_waitcnt vmcnt(0) lgkmcnt(0)
	v_mul_f64 v[6:7], v[6:7], s[6:7]
	s_delay_alu instid0(VALU_DEP_1)
	v_cvt_f32_f64_e32 v19, v[6:7]
.LBB106_163:
	v_max_f32_e32 v6, v79, v79
	s_delay_alu instid0(VALU_DEP_2) | instskip(SKIP_2) | instid1(VALU_DEP_3)
	v_dual_max_f32 v7, v19, v19 :: v_dual_add_nc_u32 v20, 56, v18
	v_add_co_u32 v25, vcc_lo, v16, v14
	v_add_co_ci_u32_e32 v26, vcc_lo, v17, v15, vcc_lo
	v_min_f32_e32 v6, v7, v6
	s_delay_alu instid0(VALU_DEP_4) | instskip(SKIP_1) | instid1(VALU_DEP_3)
	v_mad_i64_i32 v[18:19], null, v20, s12, 0
	v_mad_i64_i32 v[21:22], null, v20, s11, 0
	v_cvt_f64_f32_e32 v[6:7], v6
	v_max_f32_e32 v20, v247, v247
	s_delay_alu instid0(VALU_DEP_4) | instskip(NEXT) | instid1(VALU_DEP_4)
	v_lshlrev_b64 v[18:19], 3, v[18:19]
	v_lshlrev_b64 v[21:22], 3, v[21:22]
	s_delay_alu instid0(VALU_DEP_2) | instskip(NEXT) | instid1(VALU_DEP_3)
	v_add_co_u32 v16, vcc_lo, s3, v18
	v_add_co_ci_u32_e32 v17, vcc_lo, s8, v19, vcc_lo
	s_delay_alu instid0(VALU_DEP_3) | instskip(NEXT) | instid1(VALU_DEP_4)
	v_add_co_u32 v18, vcc_lo, s4, v21
	v_add_co_ci_u32_e32 v19, vcc_lo, s5, v22, vcc_lo
	s_mov_b32 vcc_lo, s2
	global_store_b64 v[25:26], v[6:7], off
	s_cbranch_vccz .LBB106_166
; %bb.164:
	v_min_f32_e32 v6, 0, v20
	v_add_co_u32 v21, vcc_lo, v16, v0
	v_add_co_ci_u32_e32 v22, vcc_lo, v17, v1, vcc_lo
	s_delay_alu instid0(VALU_DEP_3)
	v_cvt_f64_f32_e32 v[6:7], v6
	s_mov_b32 s0, 0
	global_store_b64 v[21:22], v[6:7], off
	s_cbranch_execz .LBB106_167
; %bb.165:
	v_mov_b32_e32 v0, s0
	s_branch .LBB106_168
.LBB106_166:
	s_mov_b32 s0, -1
.LBB106_167:
	v_add_co_u32 v6, vcc_lo, v18, v0
	v_add_co_ci_u32_e32 v7, vcc_lo, v19, v1, vcc_lo
	v_add_co_u32 v0, vcc_lo, v16, v0
	v_add_co_ci_u32_e32 v1, vcc_lo, v17, v1, vcc_lo
	flat_load_b64 v[6:7], v[6:7]
	s_waitcnt vmcnt(0) lgkmcnt(0)
	v_mul_f64 v[6:7], v[6:7], s[6:7]
	s_delay_alu instid0(VALU_DEP_1) | instskip(NEXT) | instid1(VALU_DEP_1)
	v_cvt_f32_f64_e32 v6, v[6:7]
	v_min_f32_e32 v6, v6, v20
	v_add_co_u32 v20, vcc_lo, v18, v2
	v_add_co_ci_u32_e32 v21, vcc_lo, v19, v3, vcc_lo
	s_delay_alu instid0(VALU_DEP_3) | instskip(SKIP_4) | instid1(VALU_DEP_1)
	v_cvt_f64_f32_e32 v[6:7], v6
	global_store_b64 v[0:1], v[6:7], off
	flat_load_b64 v[0:1], v[20:21]
	s_waitcnt vmcnt(0) lgkmcnt(0)
	v_mul_f64 v[0:1], v[0:1], s[6:7]
	v_cvt_f32_f64_e32 v0, v[0:1]
.LBB106_168:
	v_max_f32_e32 v1, v116, v116
	s_delay_alu instid0(VALU_DEP_2) | instskip(NEXT) | instid1(VALU_DEP_1)
	v_max_f32_e32 v0, v0, v0
	v_min_f32_e32 v0, v0, v1
	v_add_co_u32 v1, vcc_lo, v16, v2
	v_add_co_ci_u32_e32 v2, vcc_lo, v17, v3, vcc_lo
	s_delay_alu instid0(VALU_DEP_3)
	v_cvt_f64_f32_e32 v[6:7], v0
	scratch_load_b32 v0, off, off offset:4  ; 4-byte Folded Reload
	s_mov_b32 vcc_lo, s2
	global_store_b64 v[1:2], v[6:7], off
	s_waitcnt vmcnt(0)
	v_max_f32_e32 v0, v0, v0
	s_cbranch_vccz .LBB106_171
; %bb.169:
	s_delay_alu instid0(VALU_DEP_1) | instskip(SKIP_2) | instid1(VALU_DEP_3)
	v_min_f32_e32 v1, 0, v0
	v_add_co_u32 v6, vcc_lo, v16, v4
	v_add_co_ci_u32_e32 v7, vcc_lo, v17, v5, vcc_lo
	v_cvt_f64_f32_e32 v[1:2], v1
	s_mov_b32 s0, 0
	global_store_b64 v[6:7], v[1:2], off
	s_cbranch_execz .LBB106_172
; %bb.170:
	v_mov_b32_e32 v0, s0
	s_branch .LBB106_173
.LBB106_171:
	s_mov_b32 s0, -1
.LBB106_172:
	v_add_co_u32 v1, vcc_lo, v18, v4
	v_add_co_ci_u32_e32 v2, vcc_lo, v19, v5, vcc_lo
	flat_load_b64 v[1:2], v[1:2]
	s_waitcnt vmcnt(0) lgkmcnt(0)
	v_mul_f64 v[1:2], v[1:2], s[6:7]
	s_delay_alu instid0(VALU_DEP_1)
	v_cvt_f32_f64_e32 v1, v[1:2]
	v_add_co_u32 v2, vcc_lo, v16, v4
	v_add_co_ci_u32_e32 v3, vcc_lo, v17, v5, vcc_lo
	v_add_co_u32 v4, vcc_lo, v18, v23
	v_add_co_ci_u32_e32 v5, vcc_lo, v19, v24, vcc_lo
	v_min_f32_e32 v0, v1, v0
	s_delay_alu instid0(VALU_DEP_1) | instskip(SKIP_4) | instid1(VALU_DEP_1)
	v_cvt_f64_f32_e32 v[0:1], v0
	global_store_b64 v[2:3], v[0:1], off
	flat_load_b64 v[0:1], v[4:5]
	s_waitcnt vmcnt(0) lgkmcnt(0)
	v_mul_f64 v[0:1], v[0:1], s[6:7]
	v_cvt_f32_f64_e32 v0, v[0:1]
.LBB106_173:
	s_delay_alu instid0(VALU_DEP_1) | instskip(SKIP_2) | instid1(VALU_DEP_3)
	v_dual_max_f32 v1, v249, v249 :: v_dual_max_f32 v0, v0, v0
	v_add_co_u32 v3, vcc_lo, v16, v23
	v_add_co_ci_u32_e32 v4, vcc_lo, v17, v24, vcc_lo
	v_min_f32_e32 v0, v0, v1
	s_mov_b32 vcc_lo, s2
	s_delay_alu instid0(VALU_DEP_1)
	v_cvt_f64_f32_e32 v[1:2], v0
	v_max_f32_e32 v0, v117, v117
	global_store_b64 v[3:4], v[1:2], off
	s_cbranch_vccz .LBB106_176
; %bb.174:
	v_min_f32_e32 v1, 0, v0
	v_add_co_u32 v3, vcc_lo, v16, v8
	v_add_co_ci_u32_e32 v4, vcc_lo, v17, v9, vcc_lo
	s_delay_alu instid0(VALU_DEP_3)
	v_cvt_f64_f32_e32 v[1:2], v1
	s_mov_b32 s0, 0
	global_store_b64 v[3:4], v[1:2], off
	s_cbranch_execz .LBB106_177
; %bb.175:
	v_mov_b32_e32 v0, s0
	s_branch .LBB106_178
.LBB106_176:
	s_mov_b32 s0, -1
.LBB106_177:
	v_add_co_u32 v1, vcc_lo, v18, v8
	v_add_co_ci_u32_e32 v2, vcc_lo, v19, v9, vcc_lo
	flat_load_b64 v[1:2], v[1:2]
	s_waitcnt vmcnt(0) lgkmcnt(0)
	v_mul_f64 v[1:2], v[1:2], s[6:7]
	s_delay_alu instid0(VALU_DEP_1)
	v_cvt_f32_f64_e32 v1, v[1:2]
	v_add_co_u32 v2, vcc_lo, v16, v8
	v_add_co_ci_u32_e32 v3, vcc_lo, v17, v9, vcc_lo
	v_add_co_u32 v4, vcc_lo, v18, v10
	v_add_co_ci_u32_e32 v5, vcc_lo, v19, v11, vcc_lo
	v_min_f32_e32 v0, v1, v0
	s_delay_alu instid0(VALU_DEP_1) | instskip(SKIP_4) | instid1(VALU_DEP_1)
	v_cvt_f64_f32_e32 v[0:1], v0
	global_store_b64 v[2:3], v[0:1], off
	flat_load_b64 v[0:1], v[4:5]
	s_waitcnt vmcnt(0) lgkmcnt(0)
	v_mul_f64 v[0:1], v[0:1], s[6:7]
	v_cvt_f32_f64_e32 v0, v[0:1]
.LBB106_178:
	scratch_load_b32 v1, off, off           ; 4-byte Folded Reload
	v_add_co_u32 v3, vcc_lo, v16, v10
	v_add_co_ci_u32_e32 v4, vcc_lo, v17, v11, vcc_lo
	s_mov_b32 vcc_lo, s2
	s_waitcnt vmcnt(0)
	v_dual_max_f32 v0, v0, v0 :: v_dual_max_f32 v1, v1, v1
	s_delay_alu instid0(VALU_DEP_1) | instskip(NEXT) | instid1(VALU_DEP_1)
	v_min_f32_e32 v0, v0, v1
	v_cvt_f64_f32_e32 v[1:2], v0
	v_max_f32_e32 v0, v122, v122
	global_store_b64 v[3:4], v[1:2], off
	s_cbranch_vccz .LBB106_181
; %bb.179:
	v_min_f32_e32 v1, 0, v0
	v_add_co_u32 v3, vcc_lo, v16, v12
	v_add_co_ci_u32_e32 v4, vcc_lo, v17, v13, vcc_lo
	s_delay_alu instid0(VALU_DEP_3)
	v_cvt_f64_f32_e32 v[1:2], v1
	s_mov_b32 s0, 0
	global_store_b64 v[3:4], v[1:2], off
	s_cbranch_execz .LBB106_182
; %bb.180:
	v_mov_b32_e32 v0, s0
	s_branch .LBB106_183
.LBB106_181:
	s_mov_b32 s0, -1
.LBB106_182:
	v_add_co_u32 v1, vcc_lo, v18, v12
	v_add_co_ci_u32_e32 v2, vcc_lo, v19, v13, vcc_lo
	flat_load_b64 v[1:2], v[1:2]
	s_waitcnt vmcnt(0) lgkmcnt(0)
	v_mul_f64 v[1:2], v[1:2], s[6:7]
	s_delay_alu instid0(VALU_DEP_1)
	v_cvt_f32_f64_e32 v1, v[1:2]
	v_add_co_u32 v2, vcc_lo, v16, v12
	v_add_co_ci_u32_e32 v3, vcc_lo, v17, v13, vcc_lo
	v_add_co_u32 v4, vcc_lo, v18, v14
	v_add_co_ci_u32_e32 v5, vcc_lo, v19, v15, vcc_lo
	v_min_f32_e32 v0, v1, v0
	s_delay_alu instid0(VALU_DEP_1) | instskip(SKIP_4) | instid1(VALU_DEP_1)
	v_cvt_f64_f32_e32 v[0:1], v0
	global_store_b64 v[2:3], v[0:1], off
	flat_load_b64 v[0:1], v[4:5]
	s_waitcnt vmcnt(0) lgkmcnt(0)
	v_mul_f64 v[0:1], v[0:1], s[6:7]
	v_cvt_f32_f64_e32 v0, v[0:1]
.LBB106_183:
	v_max_f32_e32 v1, v124, v124
	s_delay_alu instid0(VALU_DEP_2) | instskip(SKIP_2) | instid1(VALU_DEP_3)
	v_max_f32_e32 v0, v0, v0
	v_add_co_u32 v2, vcc_lo, v16, v14
	v_add_co_ci_u32_e32 v3, vcc_lo, v17, v15, vcc_lo
	v_min_f32_e32 v0, v0, v1
	s_delay_alu instid0(VALU_DEP_1)
	v_cvt_f64_f32_e32 v[0:1], v0
	global_store_b64 v[2:3], v[0:1], off
	s_endpgm
	.section	.rodata,"a",@progbits
	.p2align	6, 0x0
	.amdhsa_kernel _ZN12_GLOBAL__N_120geam_min_plus_kernelId15HIP_vector_typeIdLj2EEdLi32ELi8ELi256ELi64ELi4ELi64ELi4ELi4ELi64ELc78ELc78ELb1ELb0ELb1EdKPKdKPdEEviiiT16_PT17_ilSA_ilS8_SA_ilPT18_ili26rocblas_geam_ex_operation_
		.amdhsa_group_segment_fixed_size 20480
		.amdhsa_private_segment_fixed_size 400
		.amdhsa_kernarg_size 136
		.amdhsa_user_sgpr_count 14
		.amdhsa_user_sgpr_dispatch_ptr 0
		.amdhsa_user_sgpr_queue_ptr 0
		.amdhsa_user_sgpr_kernarg_segment_ptr 1
		.amdhsa_user_sgpr_dispatch_id 0
		.amdhsa_user_sgpr_private_segment_size 0
		.amdhsa_wavefront_size32 1
		.amdhsa_uses_dynamic_stack 0
		.amdhsa_enable_private_segment 1
		.amdhsa_system_sgpr_workgroup_id_x 1
		.amdhsa_system_sgpr_workgroup_id_y 0
		.amdhsa_system_sgpr_workgroup_id_z 1
		.amdhsa_system_sgpr_workgroup_info 0
		.amdhsa_system_vgpr_workitem_id 1
		.amdhsa_next_free_vgpr 256
		.amdhsa_next_free_sgpr 22
		.amdhsa_reserve_vcc 1
		.amdhsa_float_round_mode_32 0
		.amdhsa_float_round_mode_16_64 0
		.amdhsa_float_denorm_mode_32 3
		.amdhsa_float_denorm_mode_16_64 3
		.amdhsa_dx10_clamp 1
		.amdhsa_ieee_mode 1
		.amdhsa_fp16_overflow 0
		.amdhsa_workgroup_processor_mode 1
		.amdhsa_memory_ordered 1
		.amdhsa_forward_progress 0
		.amdhsa_shared_vgpr_count 0
		.amdhsa_exception_fp_ieee_invalid_op 0
		.amdhsa_exception_fp_denorm_src 0
		.amdhsa_exception_fp_ieee_div_zero 0
		.amdhsa_exception_fp_ieee_overflow 0
		.amdhsa_exception_fp_ieee_underflow 0
		.amdhsa_exception_fp_ieee_inexact 0
		.amdhsa_exception_int_div_zero 0
	.end_amdhsa_kernel
	.section	.text._ZN12_GLOBAL__N_120geam_min_plus_kernelId15HIP_vector_typeIdLj2EEdLi32ELi8ELi256ELi64ELi4ELi64ELi4ELi4ELi64ELc78ELc78ELb1ELb0ELb1EdKPKdKPdEEviiiT16_PT17_ilSA_ilS8_SA_ilPT18_ili26rocblas_geam_ex_operation_,"axG",@progbits,_ZN12_GLOBAL__N_120geam_min_plus_kernelId15HIP_vector_typeIdLj2EEdLi32ELi8ELi256ELi64ELi4ELi64ELi4ELi4ELi64ELc78ELc78ELb1ELb0ELb1EdKPKdKPdEEviiiT16_PT17_ilSA_ilS8_SA_ilPT18_ili26rocblas_geam_ex_operation_,comdat
.Lfunc_end106:
	.size	_ZN12_GLOBAL__N_120geam_min_plus_kernelId15HIP_vector_typeIdLj2EEdLi32ELi8ELi256ELi64ELi4ELi64ELi4ELi4ELi64ELc78ELc78ELb1ELb0ELb1EdKPKdKPdEEviiiT16_PT17_ilSA_ilS8_SA_ilPT18_ili26rocblas_geam_ex_operation_, .Lfunc_end106-_ZN12_GLOBAL__N_120geam_min_plus_kernelId15HIP_vector_typeIdLj2EEdLi32ELi8ELi256ELi64ELi4ELi64ELi4ELi4ELi64ELc78ELc78ELb1ELb0ELb1EdKPKdKPdEEviiiT16_PT17_ilSA_ilS8_SA_ilPT18_ili26rocblas_geam_ex_operation_
                                        ; -- End function
	.section	.AMDGPU.csdata,"",@progbits
; Kernel info:
; codeLenInByte = 23144
; NumSgprs: 24
; NumVgprs: 256
; ScratchSize: 400
; MemoryBound: 0
; FloatMode: 240
; IeeeMode: 1
; LDSByteSize: 20480 bytes/workgroup (compile time only)
; SGPRBlocks: 2
; VGPRBlocks: 31
; NumSGPRsForWavesPerEU: 24
; NumVGPRsForWavesPerEU: 256
; Occupancy: 5
; WaveLimiterHint : 1
; COMPUTE_PGM_RSRC2:SCRATCH_EN: 1
; COMPUTE_PGM_RSRC2:USER_SGPR: 14
; COMPUTE_PGM_RSRC2:TRAP_HANDLER: 0
; COMPUTE_PGM_RSRC2:TGID_X_EN: 1
; COMPUTE_PGM_RSRC2:TGID_Y_EN: 0
; COMPUTE_PGM_RSRC2:TGID_Z_EN: 1
; COMPUTE_PGM_RSRC2:TIDIG_COMP_CNT: 1
	.section	.text._ZN12_GLOBAL__N_120geam_min_plus_kernelId15HIP_vector_typeIdLj2EEdLi32ELi8ELi256ELi64ELi4ELi64ELi4ELi4ELi64ELc78ELc78ELb0ELb0ELb1EdKPKdKPdEEviiiT16_PT17_ilSA_ilS8_SA_ilPT18_ili26rocblas_geam_ex_operation_,"axG",@progbits,_ZN12_GLOBAL__N_120geam_min_plus_kernelId15HIP_vector_typeIdLj2EEdLi32ELi8ELi256ELi64ELi4ELi64ELi4ELi4ELi64ELc78ELc78ELb0ELb0ELb1EdKPKdKPdEEviiiT16_PT17_ilSA_ilS8_SA_ilPT18_ili26rocblas_geam_ex_operation_,comdat
	.globl	_ZN12_GLOBAL__N_120geam_min_plus_kernelId15HIP_vector_typeIdLj2EEdLi32ELi8ELi256ELi64ELi4ELi64ELi4ELi4ELi64ELc78ELc78ELb0ELb0ELb1EdKPKdKPdEEviiiT16_PT17_ilSA_ilS8_SA_ilPT18_ili26rocblas_geam_ex_operation_ ; -- Begin function _ZN12_GLOBAL__N_120geam_min_plus_kernelId15HIP_vector_typeIdLj2EEdLi32ELi8ELi256ELi64ELi4ELi64ELi4ELi4ELi64ELc78ELc78ELb0ELb0ELb1EdKPKdKPdEEviiiT16_PT17_ilSA_ilS8_SA_ilPT18_ili26rocblas_geam_ex_operation_
	.p2align	8
	.type	_ZN12_GLOBAL__N_120geam_min_plus_kernelId15HIP_vector_typeIdLj2EEdLi32ELi8ELi256ELi64ELi4ELi64ELi4ELi4ELi64ELc78ELc78ELb0ELb0ELb1EdKPKdKPdEEviiiT16_PT17_ilSA_ilS8_SA_ilPT18_ili26rocblas_geam_ex_operation_,@function
_ZN12_GLOBAL__N_120geam_min_plus_kernelId15HIP_vector_typeIdLj2EEdLi32ELi8ELi256ELi64ELi4ELi64ELi4ELi4ELi64ELc78ELc78ELb0ELb0ELb1EdKPKdKPdEEviiiT16_PT17_ilSA_ilS8_SA_ilPT18_ili26rocblas_geam_ex_operation_: ; @_ZN12_GLOBAL__N_120geam_min_plus_kernelId15HIP_vector_typeIdLj2EEdLi32ELi8ELi256ELi64ELi4ELi64ELi4ELi4ELi64ELc78ELc78ELb0ELb0ELb1EdKPKdKPdEEviiiT16_PT17_ilSA_ilS8_SA_ilPT18_ili26rocblas_geam_ex_operation_
; %bb.0:
	s_clause 0x1
	s_load_b128 s[8:11], s[0:1], 0x10
	s_load_b128 s[16:19], s[0:1], 0x28
	s_mov_b32 s22, s15
	s_mov_b64 s[12:13], 0
	s_waitcnt lgkmcnt(0)
	v_cmp_eq_f64_e64 s2, s[8:9], 0
	s_delay_alu instid0(VALU_DEP_1)
	s_and_b32 vcc_lo, exec_lo, s2
	s_cbranch_vccnz .LBB107_2
; %bb.1:
	s_mov_b32 s23, 0
	s_delay_alu instid0(SALU_CYCLE_1) | instskip(NEXT) | instid1(SALU_CYCLE_1)
	s_lshl_b64 s[4:5], s[22:23], 3
	s_add_u32 s4, s10, s4
	s_addc_u32 s5, s11, s5
	s_lshl_b64 s[6:7], s[16:17], 3
	s_load_b64 s[4:5], s[4:5], 0x0
	s_waitcnt lgkmcnt(0)
	s_add_u32 s12, s4, s6
	s_addc_u32 s13, s5, s7
.LBB107_2:
	s_clause 0x1
	s_load_b128 s[4:7], s[0:1], 0x40
	s_load_b64 s[10:11], s[0:1], 0x50
	s_and_not1_b32 vcc_lo, exec_lo, s2
	s_cbranch_vccnz .LBB107_4
; %bb.3:
	s_mov_b32 s23, 0
	s_mov_b64 s[20:21], 0
	s_cbranch_execz .LBB107_5
	s_branch .LBB107_6
.LBB107_4:
	s_mov_b32 s23, -1
                                        ; implicit-def: $sgpr20_sgpr21
.LBB107_5:
	s_mov_b32 s23, 0
	s_delay_alu instid0(SALU_CYCLE_1) | instskip(NEXT) | instid1(SALU_CYCLE_1)
	s_lshl_b64 s[2:3], s[22:23], 3
	s_add_u32 s2, s18, s2
	s_addc_u32 s3, s19, s3
	s_waitcnt lgkmcnt(0)
	s_lshl_b64 s[4:5], s[4:5], 3
	s_load_b64 s[2:3], s[2:3], 0x0
	s_waitcnt lgkmcnt(0)
	s_add_u32 s20, s2, s4
	s_addc_u32 s21, s3, s5
.LBB107_6:
	s_waitcnt lgkmcnt(0)
	v_cmp_eq_f64_e64 s2, s[6:7], 0
	v_cmp_neq_f64_e64 s15, s[8:9], 0
	s_load_b128 s[16:19], s[0:1], 0x60
	s_mov_b64 s[4:5], 0
	s_delay_alu instid0(VALU_DEP_2) | instskip(NEXT) | instid1(SALU_CYCLE_1)
	s_and_b32 s2, exec_lo, s2
	s_mov_b32 vcc_lo, s2
	s_cbranch_vccnz .LBB107_8
; %bb.7:
	s_lshl_b64 s[4:5], s[22:23], 3
	s_delay_alu instid0(SALU_CYCLE_1)
	s_add_u32 s4, s10, s4
	s_addc_u32 s5, s11, s5
	s_waitcnt lgkmcnt(0)
	s_lshl_b64 s[10:11], s[16:17], 3
	s_load_b64 s[4:5], s[4:5], 0x0
	s_waitcnt lgkmcnt(0)
	s_add_u32 s4, s4, s10
	s_addc_u32 s5, s5, s11
.LBB107_8:
	s_waitcnt lgkmcnt(0)
	s_clause 0x1
	s_load_b32 s16, s[0:1], 0x20
	s_load_b32 s3, s[0:1], 0x0
	s_lshl_b64 s[10:11], s[22:23], 3
	v_and_b32_e32 v91, 0x3ff, v0
	v_bfe_u32 v212, v0, 10, 10
	s_delay_alu instid0(VALU_DEP_1) | instskip(NEXT) | instid1(VALU_DEP_1)
	v_lshl_add_u32 v6, v212, 5, v91
	v_lshrrev_b32_e32 v2, 6, v6
	v_and_b32_e32 v77, 63, v6
	scratch_store_b32 off, v2, off offset:360 ; 4-byte Folded Spill
	s_waitcnt lgkmcnt(0)
	s_ashr_i32 s17, s16, 31
	s_add_u32 s10, s18, s10
	s_addc_u32 s11, s19, s11
	s_add_i32 s3, s3, -1
	s_load_b64 s[10:11], s[10:11], 0x0
	s_ashr_i32 s18, s3, 31
	s_delay_alu instid0(SALU_CYCLE_1) | instskip(NEXT) | instid1(SALU_CYCLE_1)
	s_lshr_b32 s18, s18, 24
	s_add_i32 s3, s3, s18
	s_delay_alu instid0(SALU_CYCLE_1) | instskip(NEXT) | instid1(SALU_CYCLE_1)
	s_ashr_i32 s3, s3, 8
	s_add_i32 s19, s3, 1
	s_not_b32 s3, s3
	v_cvt_f32_u32_e32 v1, s19
	s_delay_alu instid0(VALU_DEP_1) | instskip(SKIP_2) | instid1(VALU_DEP_1)
	v_rcp_iflag_f32_e32 v1, v1
	s_waitcnt_depctr 0xfff
	v_mul_f32_e32 v1, 0x4f7ffffe, v1
	v_cvt_u32_f32_e32 v1, v1
	s_delay_alu instid0(VALU_DEP_1) | instskip(SKIP_2) | instid1(VALU_DEP_3)
	v_readfirstlane_b32 s18, v1
	v_mad_i64_i32 v[0:1], null, s16, v2, 0
	v_cndmask_b32_e64 v2, 0, 1, s15
	s_mul_i32 s3, s3, s18
	s_delay_alu instid0(SALU_CYCLE_1) | instskip(NEXT) | instid1(SALU_CYCLE_1)
	s_mul_hi_u32 s3, s18, s3
	s_add_i32 s18, s18, s3
	s_delay_alu instid0(VALU_DEP_2) | instskip(SKIP_1) | instid1(SALU_CYCLE_1)
	v_lshlrev_b64 v[0:1], 3, v[0:1]
	s_mul_hi_u32 s3, s14, s18
	s_mul_i32 s18, s3, s19
	s_add_i32 s22, s3, 1
	s_sub_i32 s18, s14, s18
	s_delay_alu instid0(VALU_DEP_1)
	v_add_co_u32 v7, vcc_lo, s12, v0
	s_sub_i32 s23, s18, s19
	s_cmp_ge_u32 s18, s19
	v_add_co_ci_u32_e32 v8, vcc_lo, s13, v1, vcc_lo
	s_cselect_b32 s3, s22, s3
	s_cselect_b32 s18, s23, s18
	s_add_i32 s22, s3, 1
	s_cmp_ge_u32 s18, s19
	s_cselect_b32 s18, s22, s3
	s_and_not1_b32 vcc_lo, exec_lo, s15
	s_mul_i32 s3, s18, s19
	s_delay_alu instid0(SALU_CYCLE_1) | instskip(NEXT) | instid1(SALU_CYCLE_1)
	s_sub_i32 s3, s14, s3
	s_lshl_b32 s14, s3, 8
	v_cmp_ne_u32_e64 s3, 1, v2
	v_or_b32_e32 v216, s14, v77
	s_delay_alu instid0(VALU_DEP_1)
	v_ashrrev_i32_e32 v217, 31, v216
	s_cbranch_vccnz .LBB107_11
; %bb.9:
	s_delay_alu instid0(VALU_DEP_1) | instskip(NEXT) | instid1(VALU_DEP_1)
	v_lshlrev_b64 v[0:1], 3, v[216:217]
	v_add_co_u32 v0, vcc_lo, v7, v0
	s_delay_alu instid0(VALU_DEP_2)
	v_add_co_ci_u32_e32 v1, vcc_lo, v8, v1, vcc_lo
	s_clause 0x1
	flat_load_b64 v[2:3], v[0:1]
	flat_load_b64 v[9:10], v[0:1] offset:512
	s_waitcnt vmcnt(1) lgkmcnt(0)
	v_mul_f64 v[0:1], v[2:3], s[8:9]
	s_waitcnt vmcnt(0)
	v_mul_f64 v[2:3], v[9:10], s[8:9]
	s_and_b32 vcc_lo, exec_lo, s3
	s_cbranch_vccnz .LBB107_12
.LBB107_10:
	v_lshlrev_b64 v[9:10], 3, v[216:217]
	s_delay_alu instid0(VALU_DEP_1) | instskip(NEXT) | instid1(VALU_DEP_2)
	v_add_co_u32 v7, vcc_lo, v7, v9
	v_add_co_ci_u32_e32 v8, vcc_lo, v8, v10, vcc_lo
	s_clause 0x1
	flat_load_b64 v[9:10], v[7:8] offset:1024
	flat_load_b64 v[7:8], v[7:8] offset:1536
	s_waitcnt vmcnt(1) lgkmcnt(0)
	v_mul_f64 v[16:17], v[9:10], s[8:9]
	s_waitcnt vmcnt(0)
	v_mul_f64 v[18:19], v[7:8], s[8:9]
	s_branch .LBB107_13
.LBB107_11:
	v_mov_b32_e32 v0, 0
	v_dual_mov_b32 v1, 0 :: v_dual_mov_b32 v2, 0
	v_mov_b32_e32 v3, 0
	s_and_b32 vcc_lo, exec_lo, s3
	s_cbranch_vccz .LBB107_10
.LBB107_12:
	v_mov_b32_e32 v16, 0
	v_dual_mov_b32 v17, 0 :: v_dual_mov_b32 v18, 0
	v_mov_b32_e32 v19, 0
.LBB107_13:
	s_load_b32 s19, s[0:1], 0x38
	v_lshrrev_b32_e32 v24, 2, v6
	v_and_b32_e32 v4, 3, v91
	s_lshl_b32 s15, s18, 6
	s_and_b32 vcc_lo, exec_lo, s3
	s_delay_alu instid0(VALU_DEP_2) | instskip(NEXT) | instid1(VALU_DEP_2)
	v_add_nc_u32_e32 v218, s15, v24
	v_lshlrev_b32_e32 v25, 3, v4
	scratch_store_b32 off, v4, off offset:356 ; 4-byte Folded Spill
	s_cbranch_vccnz .LBB107_15
; %bb.14:
	s_waitcnt lgkmcnt(0)
	v_mad_i64_i32 v[6:7], null, v218, s19, 0
	s_delay_alu instid0(VALU_DEP_1) | instskip(NEXT) | instid1(VALU_DEP_1)
	v_lshlrev_b64 v[6:7], 3, v[6:7]
	v_add_co_u32 v4, vcc_lo, s20, v6
	s_delay_alu instid0(VALU_DEP_2) | instskip(NEXT) | instid1(VALU_DEP_2)
	v_add_co_ci_u32_e32 v5, vcc_lo, s21, v7, vcc_lo
	v_add_co_u32 v6, vcc_lo, v4, v25
	s_delay_alu instid0(VALU_DEP_2)
	v_add_co_ci_u32_e32 v7, vcc_lo, 0, v5, vcc_lo
	flat_load_b64 v[6:7], v[6:7]
	s_waitcnt vmcnt(0) lgkmcnt(0)
	v_mul_f64 v[20:21], v[6:7], s[8:9]
	s_branch .LBB107_16
.LBB107_15:
	v_mov_b32_e32 v20, 0
	v_mov_b32_e32 v21, 0
.LBB107_16:
	scratch_load_b32 v4, off, off offset:360 ; 4-byte Folded Reload
	s_waitcnt vmcnt(0)
	v_add_nc_u32_e32 v4, 4, v4
	s_delay_alu instid0(VALU_DEP_1) | instskip(SKIP_2) | instid1(VALU_DEP_1)
	v_mad_i64_i32 v[6:7], null, s16, v4, 0
	scratch_store_b32 off, v4, off offset:364 ; 4-byte Folded Spill
	v_lshlrev_b64 v[6:7], 3, v[6:7]
	v_add_co_u32 v10, vcc_lo, s12, v6
	s_delay_alu instid0(VALU_DEP_2)
	v_add_co_ci_u32_e32 v11, vcc_lo, s13, v7, vcc_lo
	s_and_b32 vcc_lo, exec_lo, s3
	s_cbranch_vccnz .LBB107_20
; %bb.17:
	v_lshlrev_b64 v[6:7], 3, v[216:217]
	s_delay_alu instid0(VALU_DEP_1) | instskip(NEXT) | instid1(VALU_DEP_2)
	v_add_co_u32 v6, vcc_lo, v10, v6
	v_add_co_ci_u32_e32 v7, vcc_lo, v11, v7, vcc_lo
	s_clause 0x1
	flat_load_b64 v[8:9], v[6:7]
	flat_load_b64 v[12:13], v[6:7] offset:512
	s_waitcnt vmcnt(1) lgkmcnt(0)
	v_mul_f64 v[219:220], v[8:9], s[8:9]
	s_waitcnt vmcnt(0)
	v_mul_f64 v[4:5], v[12:13], s[8:9]
	s_and_b32 vcc_lo, exec_lo, s3
	scratch_store_b64 off, v[4:5], off offset:324 ; 8-byte Folded Spill
	s_cbranch_vccnz .LBB107_21
.LBB107_18:
	v_lshlrev_b64 v[12:13], 3, v[216:217]
	s_delay_alu instid0(VALU_DEP_1) | instskip(NEXT) | instid1(VALU_DEP_2)
	v_add_co_u32 v10, vcc_lo, v10, v12
	v_add_co_ci_u32_e32 v11, vcc_lo, v11, v13, vcc_lo
	s_clause 0x1
	flat_load_b64 v[12:13], v[10:11] offset:1024
	flat_load_b64 v[14:15], v[10:11] offset:1536
	s_waitcnt vmcnt(1) lgkmcnt(0)
	v_mul_f64 v[4:5], v[12:13], s[8:9]
	scratch_store_b64 off, v[4:5], off offset:332 ; 8-byte Folded Spill
	s_waitcnt vmcnt(0)
	v_mul_f64 v[4:5], v[14:15], s[8:9]
	s_and_b32 vcc_lo, exec_lo, s3
	scratch_store_b64 off, v[4:5], off offset:340 ; 8-byte Folded Spill
	s_cbranch_vccnz .LBB107_22
.LBB107_19:
	s_waitcnt lgkmcnt(0)
	v_mad_i64_i32 v[14:15], null, v218, s19, 0
	s_delay_alu instid0(VALU_DEP_1) | instskip(NEXT) | instid1(VALU_DEP_1)
	v_lshlrev_b64 v[14:15], 3, v[14:15]
	v_add_co_u32 v4, vcc_lo, s20, v14
	s_delay_alu instid0(VALU_DEP_2) | instskip(NEXT) | instid1(VALU_DEP_2)
	v_add_co_ci_u32_e32 v5, vcc_lo, s21, v15, vcc_lo
	v_add_co_u32 v14, vcc_lo, v4, v25
	s_delay_alu instid0(VALU_DEP_2)
	v_add_co_ci_u32_e32 v15, vcc_lo, 0, v5, vcc_lo
	flat_load_b64 v[14:15], v[14:15] offset:32
	s_waitcnt vmcnt(0) lgkmcnt(0)
	v_mul_f64 v[4:5], v[14:15], s[8:9]
	s_branch .LBB107_23
.LBB107_20:
	v_dual_mov_b32 v219, 0 :: v_dual_mov_b32 v4, 0
	v_dual_mov_b32 v220, 0 :: v_dual_mov_b32 v5, 0
	s_and_b32 vcc_lo, exec_lo, s3
	scratch_store_b64 off, v[4:5], off offset:324 ; 8-byte Folded Spill
	s_cbranch_vccz .LBB107_18
.LBB107_21:
	v_mov_b32_e32 v4, 0
	v_mov_b32_e32 v5, 0
	scratch_store_b64 off, v[4:5], off offset:332 ; 8-byte Folded Spill
	v_mov_b32_e32 v4, 0
	v_mov_b32_e32 v5, 0
	s_and_b32 vcc_lo, exec_lo, s3
	scratch_store_b64 off, v[4:5], off offset:340 ; 8-byte Folded Spill
	s_cbranch_vccz .LBB107_19
.LBB107_22:
	v_mov_b32_e32 v4, 0
	v_mov_b32_e32 v5, 0
.LBB107_23:
	scratch_store_b64 off, v[4:5], off offset:348 ; 8-byte Folded Spill
	scratch_load_b32 v4, off, off offset:360 ; 4-byte Folded Reload
	v_lshl_or_b32 v22, v24, 5, v25
	v_dual_mov_b32 v120, 0x7f800000 :: v_dual_mov_b32 v125, 0x7f800000
	v_dual_mov_b32 v122, 0x7f800000 :: v_dual_mov_b32 v127, 0x7f800000
	;; [unrolled: 1-line block ×27, first 2 shown]
	v_mov_b32_e32 v142, 0x7f800000
	s_mov_b32 s22, 0
	s_mov_b32 s18, -1
	v_mov_b32_e32 v5, 0x7f800000
	v_mov_b32_e32 v131, 0x7f800000
	;; [unrolled: 1-line block ×5, first 2 shown]
	scratch_store_b32 off, v5, off          ; 4-byte Folded Spill
	v_add_nc_u32_e32 v5, 0x4000, v22
	scratch_store_b32 off, v5, off offset:372 ; 4-byte Folded Spill
	s_waitcnt vmcnt(0)
	v_lshlrev_b32_e32 v4, 3, v4
	s_delay_alu instid0(VALU_DEP_1)
	v_lshl_add_u32 v4, v77, 5, v4
	ds_store_b64 v22, v[20:21] offset:16384
	ds_store_2addr_stride64_b64 v4, v[0:1], v[2:3] offset1:4
	v_mov_b32_e32 v0, 0x7f800000
	scratch_store_b32 off, v4, off offset:368 ; 4-byte Folded Spill
	ds_store_2addr_stride64_b64 v4, v[16:17], v[18:19] offset0:8 offset1:12
	s_waitcnt lgkmcnt(0)
	s_waitcnt_vscnt null, 0x0
	scratch_store_b32 off, v0, off offset:4 ; 4-byte Folded Spill
	v_mov_b32_e32 v0, 0x7f800000
	scratch_store_b32 off, v0, off offset:12 ; 4-byte Folded Spill
	v_mov_b32_e32 v0, 0x7f800000
	;; [unrolled: 2-line block ×3, first 2 shown]
	scratch_store_b32 off, v0, off offset:16 ; 4-byte Folded Spill
	s_waitcnt_vscnt null, 0x0
	s_barrier
	buffer_gl0_inv
	scratch_store_b32 off, v91, off offset:296 ; 4-byte Folded Spill
.LBB107_24:                             ; =>This Inner Loop Header: Depth=1
	s_lshl_b32 s22, s22, 3
	v_mov_b32_e32 v210, v95
	v_lshl_add_u32 v4, v212, 5, s22
	v_lshl_add_u32 v5, v91, 5, s22
	s_mov_b32 s22, 2
	s_and_not1_b32 vcc_lo, exec_lo, s18
	s_mov_b32 s18, 0
	ds_load_b128 v[16:19], v4 offset:16384
	ds_load_b128 v[0:3], v5
	ds_load_b128 v[108:111], v5 offset:1024
	ds_load_b128 v[29:32], v4 offset:16640
	s_waitcnt lgkmcnt(2)
	v_add_f64 v[6:7], v[2:3], v[18:19]
	scratch_store_b64 off, v[6:7], off offset:56 ; 8-byte Folded Spill
	v_add_f64 v[6:7], v[0:1], v[16:17]
	scratch_store_b64 off, v[6:7], off offset:120 ; 8-byte Folded Spill
	s_waitcnt lgkmcnt(1)
	v_add_f64 v[6:7], v[110:111], v[18:19]
	scratch_store_b64 off, v[6:7], off offset:24 ; 8-byte Folded Spill
	v_add_f64 v[6:7], v[108:109], v[16:17]
	scratch_store_b64 off, v[6:7], off offset:88 ; 8-byte Folded Spill
	ds_load_b128 v[33:36], v5 offset:2048
	ds_load_b128 v[37:40], v5 offset:3072
	s_waitcnt lgkmcnt(1)
	v_add_f64 v[6:7], v[35:36], v[18:19]
	scratch_store_b64 off, v[6:7], off offset:64 ; 8-byte Folded Spill
	v_add_f64 v[6:7], v[33:34], v[16:17]
	scratch_store_b64 off, v[6:7], off offset:128 ; 8-byte Folded Spill
	s_waitcnt lgkmcnt(0)
	v_add_f64 v[6:7], v[39:40], v[18:19]
	scratch_store_b64 off, v[6:7], off offset:32 ; 8-byte Folded Spill
	v_add_f64 v[6:7], v[37:38], v[16:17]
	scratch_store_b64 off, v[6:7], off offset:96 ; 8-byte Folded Spill
	;; [unrolled: 12-line block ×4, first 2 shown]
	v_add_f64 v[5:6], v[2:3], v[31:32]
	scratch_store_b64 off, v[5:6], off offset:152 ; 8-byte Folded Spill
	v_add_f64 v[5:6], v[0:1], v[29:30]
	scratch_store_b64 off, v[5:6], off offset:160 ; 8-byte Folded Spill
	;; [unrolled: 2-line block ×16, first 2 shown]
	ds_load_b128 v[16:19], v4 offset:16896
	ds_load_b128 v[29:32], v4 offset:17152
	s_waitcnt lgkmcnt(1)
	v_add_f64 v[5:6], v[43:44], v[18:19]
	v_add_f64 v[102:103], v[2:3], v[18:19]
	;; [unrolled: 1-line block ×12, first 2 shown]
	s_waitcnt lgkmcnt(0)
	v_add_f64 v[178:179], v[2:3], v[31:32]
	v_add_f64 v[225:226], v[0:1], v[29:30]
	;; [unrolled: 1-line block ×16, first 2 shown]
	scratch_store_b64 off, v[5:6], off offset:316 ; 8-byte Folded Spill
	v_add_f64 v[5:6], v[47:48], v[18:19]
	scratch_store_b64 off, v[5:6], off offset:300 ; 8-byte Folded Spill
	v_add_f64 v[5:6], v[51:52], v[18:19]
	;; [unrolled: 2-line block ×4, first 2 shown]
	scratch_store_b64 off, v[5:6], off offset:308 ; 8-byte Folded Spill
	ds_load_b128 v[16:19], v4 offset:17408
	ds_load_b128 v[29:32], v4 offset:17664
	s_waitcnt lgkmcnt(1)
	v_add_f64 v[78:79], v[2:3], v[18:19]
	v_add_f64 v[6:7], v[0:1], v[16:17]
	;; [unrolled: 1-line block ×16, first 2 shown]
	s_waitcnt lgkmcnt(0)
	v_add_f64 v[172:173], v[2:3], v[31:32]
	v_add_f64 v[168:169], v[0:1], v[29:30]
	v_add_f64 v[170:171], v[110:111], v[31:32]
	v_add_f64 v[164:165], v[108:109], v[29:30]
	v_add_f64 v[166:167], v[35:36], v[31:32]
	v_add_f64 v[160:161], v[33:34], v[29:30]
	v_add_f64 v[162:163], v[39:40], v[31:32]
	v_add_f64 v[156:157], v[37:38], v[29:30]
	v_add_f64 v[158:159], v[43:44], v[31:32]
	v_add_f64 v[152:153], v[41:42], v[29:30]
	v_add_f64 v[154:155], v[47:48], v[31:32]
	v_add_f64 v[148:149], v[45:46], v[29:30]
	v_add_f64 v[150:151], v[51:52], v[31:32]
	v_add_f64 v[73:74], v[49:50], v[29:30]
	v_add_f64 v[136:137], v[55:56], v[31:32]
	v_add_f64 v[71:72], v[53:54], v[29:30]
	ds_load_b128 v[16:19], v4 offset:17920
	ds_load_b128 v[29:32], v4 offset:18176
	scratch_load_b32 v207, off, off offset:16 ; 4-byte Folded Reload
	v_cvt_f32_f64_e32 v6, v[6:7]
	v_cvt_f32_f64_e32 v7, v[78:79]
	s_waitcnt lgkmcnt(1)
	v_add_f64 v[65:66], v[0:1], v[16:17]
	v_add_f64 v[88:89], v[108:109], v[16:17]
	v_add_f64 v[221:222], v[33:34], v[16:17]
	v_add_f64 v[25:26], v[37:38], v[16:17]
	v_add_f64 v[75:76], v[41:42], v[16:17]
	v_add_f64 v[82:83], v[45:46], v[16:17]
	v_add_f64 v[86:87], v[49:50], v[16:17]
	v_add_f64 v[16:17], v[53:54], v[16:17]
	s_waitcnt lgkmcnt(0)
	v_add_f64 v[0:1], v[0:1], v[29:30]
	v_add_f64 v[108:109], v[108:109], v[29:30]
	;; [unrolled: 1-line block ×8, first 2 shown]
	scratch_load_b64 v[53:54], off, off offset:120 ; 8-byte Folded Reload
	v_add_f64 v[4:5], v[2:3], v[18:19]
	v_add_f64 v[84:85], v[110:111], v[18:19]
	;; [unrolled: 1-line block ×10, first 2 shown]
	v_min3_f32 v129, v6, v7, v129
	v_cvt_f32_f64_e32 v6, v[10:11]
	v_cvt_f32_f64_e32 v7, v[8:9]
	v_add_f64 v[106:107], v[47:48], v[18:19]
	v_add_f64 v[47:48], v[47:48], v[31:32]
	;; [unrolled: 1-line block ×6, first 2 shown]
	v_cvt_f32_f64_e32 v0, v[0:1]
	v_cvt_f32_f64_e32 v4, v[4:5]
	;; [unrolled: 1-line block ×4, first 2 shown]
	v_min3_f32 v61, v6, v7, v61
	v_cvt_f32_f64_e32 v6, v[14:15]
	v_cvt_f32_f64_e32 v7, v[23:24]
	s_delay_alu instid0(VALU_DEP_4) | instskip(SKIP_2) | instid1(VALU_DEP_4)
	v_min3_f32 v126, v0, v1, v126
	v_cvt_f32_f64_e32 v0, v[108:109]
	v_cvt_f32_f64_e32 v1, v[110:111]
	v_min3_f32 v246, v6, v7, v246
	v_cvt_f32_f64_e32 v6, v[12:13]
	v_cvt_f32_f64_e32 v7, v[144:145]
	s_delay_alu instid0(VALU_DEP_4) | instskip(SKIP_2) | instid1(VALU_DEP_4)
	v_min3_f32 v125, v0, v1, v125
	v_cvt_f32_f64_e32 v0, v[33:34]
	v_cvt_f32_f64_e32 v1, v[35:36]
	;; [unrolled: 7-line block ×3, first 2 shown]
	v_min3_f32 v224, v6, v7, v224
	v_cvt_f32_f64_e32 v6, v[80:81]
	v_cvt_f32_f64_e32 v7, v[63:64]
	s_delay_alu instid0(VALU_DEP_1) | instskip(SKIP_2) | instid1(VALU_DEP_1)
	v_min3_f32 v223, v6, v7, v223
	v_cvt_f32_f64_e32 v6, v[57:58]
	v_cvt_f32_f64_e32 v7, v[67:68]
	v_min3_f32 v190, v6, v7, v190
	v_cvt_f32_f64_e32 v6, v[59:60]
	v_cvt_f32_f64_e32 v7, v[69:70]
	s_delay_alu instid0(VALU_DEP_1)
	v_min3_f32 v128, v6, v7, v128
	v_cvt_f32_f64_e32 v6, v[168:169]
	v_cvt_f32_f64_e32 v7, v[172:173]
	s_waitcnt vmcnt(0)
	v_cvt_f32_f64_e32 v27, v[53:54]
	scratch_load_b64 v[53:54], off, off offset:56 ; 8-byte Folded Reload
	v_min3_f32 v240, v6, v7, v240
	v_cvt_f32_f64_e32 v6, v[164:165]
	v_cvt_f32_f64_e32 v7, v[170:171]
	s_delay_alu instid0(VALU_DEP_1) | instskip(SKIP_2) | instid1(VALU_DEP_1)
	v_min3_f32 v236, v6, v7, v236
	v_cvt_f32_f64_e32 v6, v[160:161]
	v_cvt_f32_f64_e32 v7, v[166:167]
	v_min3_f32 v215, v6, v7, v215
	v_cvt_f32_f64_e32 v6, v[156:157]
	v_cvt_f32_f64_e32 v7, v[162:163]
	s_delay_alu instid0(VALU_DEP_1) | instskip(SKIP_2) | instid1(VALU_DEP_1)
	v_min3_f32 v214, v6, v7, v214
	v_cvt_f32_f64_e32 v6, v[152:153]
	v_cvt_f32_f64_e32 v7, v[158:159]
	;; [unrolled: 7-line block ×3, first 2 shown]
	v_min3_f32 v204, v6, v7, v204
	v_cvt_f32_f64_e32 v6, v[71:72]
	v_cvt_f32_f64_e32 v7, v[136:137]
	s_delay_alu instid0(VALU_DEP_1) | instskip(SKIP_3) | instid1(VALU_DEP_2)
	v_min3_f32 v203, v6, v7, v203
	v_cvt_f32_f64_e32 v6, v[65:66]
	s_waitcnt vmcnt(0)
	v_cvt_f32_f64_e32 v53, v[53:54]
	v_min3_f32 v200, v6, v4, v200
	scratch_load_b32 v6, off, off offset:8  ; 4-byte Folded Reload
	v_cvt_f32_f64_e32 v4, v[88:89]
	v_min3_f32 v143, v27, v53, v143
	scratch_load_b64 v[53:54], off, off offset:88 ; 8-byte Folded Reload
	v_min3_f32 v199, v4, v5, v199
	v_cvt_f32_f64_e32 v4, v[221:222]
	v_cvt_f32_f64_e32 v5, v[92:93]
	s_delay_alu instid0(VALU_DEP_1) | instskip(SKIP_2) | instid1(VALU_DEP_1)
	v_min3_f32 v131, v4, v5, v131
	v_cvt_f32_f64_e32 v4, v[25:26]
	v_cvt_f32_f64_e32 v5, v[96:97]
	v_min3_f32 v195, v4, v5, v195
	v_cvt_f32_f64_e32 v4, v[75:76]
	v_cvt_f32_f64_e32 v5, v[100:101]
	s_waitcnt vmcnt(1)
	s_delay_alu instid0(VALU_DEP_1)
	v_min3_f32 v6, v4, v5, v6
	v_cvt_f32_f64_e32 v4, v[82:83]
	v_cvt_f32_f64_e32 v5, v[106:107]
	scratch_store_b32 off, v6, off offset:8 ; 4-byte Folded Spill
	s_waitcnt vmcnt(0)
	v_cvt_f32_f64_e32 v27, v[53:54]
	scratch_load_b64 v[53:54], off, off offset:24 ; 8-byte Folded Reload
	v_min3_f32 v130, v4, v5, v130
	v_cvt_f32_f64_e32 v4, v[86:87]
	v_cvt_f32_f64_e32 v5, v[104:105]
	s_waitcnt vmcnt(0)
	v_cvt_f32_f64_e32 v53, v[53:54]
	s_delay_alu instid0(VALU_DEP_1)
	v_min3_f32 v142, v27, v53, v142
	scratch_load_b64 v[53:54], off, off offset:128 ; 8-byte Folded Reload
	s_waitcnt vmcnt(0)
	v_cvt_f32_f64_e32 v27, v[53:54]
	scratch_load_b64 v[53:54], off, off offset:64 ; 8-byte Folded Reload
	s_waitcnt vmcnt(0)
	v_cvt_f32_f64_e32 v53, v[53:54]
	s_delay_alu instid0(VALU_DEP_1)
	v_min3_f32 v141, v27, v53, v141
	scratch_load_b64 v[53:54], off, off offset:96 ; 8-byte Folded Reload
	s_waitcnt vmcnt(0)
	v_cvt_f32_f64_e32 v27, v[53:54]
	scratch_load_b64 v[53:54], off, off offset:32 ; 8-byte Folded Reload
	;; [unrolled: 8-line block ×14, first 2 shown]
	s_waitcnt vmcnt(0)
	v_cvt_f32_f64_e32 v53, v[53:54]
	s_delay_alu instid0(VALU_DEP_1) | instskip(SKIP_2) | instid1(VALU_DEP_1)
	v_min3_f32 v132, v27, v53, v132
	v_cvt_f32_f64_e32 v27, v[98:99]
	v_cvt_f32_f64_e32 v53, v[102:103]
	v_min3_f32 v211, v27, v53, v211
	v_cvt_f32_f64_e32 v27, v[94:95]
	v_cvt_f32_f64_e32 v53, v[174:175]
	v_mov_b32_e32 v95, v210
	s_delay_alu instid0(VALU_DEP_1) | instskip(SKIP_2) | instid1(VALU_DEP_1)
	v_min3_f32 v95, v27, v53, v95
	v_cvt_f32_f64_e32 v27, v[90:91]
	v_cvt_f32_f64_e32 v53, v[182:183]
	v_min3_f32 v209, v27, v53, v209
	v_cvt_f32_f64_e32 v27, v[176:177]
	v_cvt_f32_f64_e32 v53, v[186:187]
	s_delay_alu instid0(VALU_DEP_1) | instskip(SKIP_4) | instid1(VALU_DEP_1)
	v_min3_f32 v208, v27, v53, v208
	scratch_load_b64 v[53:54], off, off offset:316 ; 8-byte Folded Reload
	v_cvt_f32_f64_e32 v27, v[180:181]
	s_waitcnt vmcnt(0)
	v_cvt_f32_f64_e32 v53, v[53:54]
	v_min3_f32 v207, v27, v53, v207
	scratch_load_b64 v[53:54], off, off offset:300 ; 8-byte Folded Reload
	v_cvt_f32_f64_e32 v27, v[184:185]
	scratch_store_b32 off, v207, off offset:16 ; 4-byte Folded Spill
	s_waitcnt vmcnt(0)
	v_cvt_f32_f64_e32 v53, v[53:54]
	s_delay_alu instid0(VALU_DEP_1) | instskip(SKIP_4) | instid1(VALU_DEP_1)
	v_min3_f32 v206, v27, v53, v206
	scratch_load_b64 v[53:54], off, off offset:288 ; 8-byte Folded Reload
	v_cvt_f32_f64_e32 v27, v[188:189]
	s_waitcnt vmcnt(0)
	v_cvt_f32_f64_e32 v53, v[53:54]
	v_min3_f32 v205, v27, v53, v205
	scratch_load_b64 v[53:54], off, off offset:308 ; 8-byte Folded Reload
	s_waitcnt vmcnt(0)
	v_cvt_f32_f64_e32 v27, v[53:54]
	s_clause 0x3
	scratch_load_b64 v[53:54], off, off offset:280
	scratch_load_b32 v91, off, off offset:296
	scratch_load_b32 v6, off, off offset:12
	;; [unrolled: 1-line block ×3, first 2 shown]
	s_waitcnt vmcnt(3)
	v_cvt_f32_f64_e32 v53, v[53:54]
	s_waitcnt vmcnt(1)
	v_min3_f32 v6, v4, v5, v6
	s_waitcnt vmcnt(0)
	v_min3_f32 v2, v0, v1, v2
	v_cvt_f32_f64_e32 v0, v[41:42]
	v_cvt_f32_f64_e32 v1, v[43:44]
	;; [unrolled: 1-line block ×4, first 2 shown]
	scratch_store_b32 off, v2, off offset:4 ; 4-byte Folded Spill
	scratch_load_b32 v2, off, off           ; 4-byte Folded Reload
	v_min3_f32 v202, v27, v53, v202
	v_cvt_f32_f64_e32 v27, v[225:226]
	v_cvt_f32_f64_e32 v53, v[178:179]
	v_min3_f32 v244, v0, v1, v244
	v_cvt_f32_f64_e32 v0, v[45:46]
	v_cvt_f32_f64_e32 v1, v[47:48]
	v_min3_f32 v127, v4, v5, v127
	v_min3_f32 v239, v27, v53, v239
	v_cvt_f32_f64_e32 v27, v[229:230]
	v_cvt_f32_f64_e32 v53, v[227:228]
	v_min3_f32 v122, v0, v1, v122
	v_cvt_f32_f64_e32 v0, v[49:50]
	v_cvt_f32_f64_e32 v1, v[51:52]
	s_delay_alu instid0(VALU_DEP_4) | instskip(SKIP_2) | instid1(VALU_DEP_4)
	v_min3_f32 v201, v27, v53, v201
	v_cvt_f32_f64_e32 v27, v[233:234]
	v_cvt_f32_f64_e32 v53, v[231:232]
	v_min3_f32 v120, v0, v1, v120
	v_cvt_f32_f64_e32 v0, v[29:30]
	v_cvt_f32_f64_e32 v1, v[31:32]
	s_delay_alu instid0(VALU_DEP_4) | instskip(SKIP_2) | instid1(VALU_DEP_1)
	v_min3_f32 v198, v27, v53, v198
	v_cvt_f32_f64_e32 v27, v[237:238]
	v_cvt_f32_f64_e32 v53, v[116:117]
	v_min3_f32 v197, v27, v53, v197
	v_cvt_f32_f64_e32 v27, v[241:242]
	v_cvt_f32_f64_e32 v53, v[20:21]
	s_delay_alu instid0(VALU_DEP_1) | instskip(SKIP_2) | instid1(VALU_DEP_1)
	v_min3_f32 v194, v27, v53, v194
	v_cvt_f32_f64_e32 v27, v[118:119]
	v_cvt_f32_f64_e32 v53, v[114:115]
	v_min3_f32 v193, v27, v53, v193
	v_cvt_f32_f64_e32 v27, v[249:250]
	v_cvt_f32_f64_e32 v53, v[247:248]
	s_delay_alu instid0(VALU_DEP_1)
	v_min3_f32 v192, v27, v53, v192
	v_cvt_f32_f64_e32 v27, v[253:254]
	v_cvt_f32_f64_e32 v53, v[251:252]
	s_waitcnt vmcnt(0)
	v_min3_f32 v2, v0, v1, v2
	s_clause 0x1
	scratch_store_b32 off, v6, off offset:12
	scratch_store_b32 off, v2, off
	v_min3_f32 v191, v27, v53, v191
	s_cbranch_vccz .LBB107_24
; %bb.25:
	scratch_load_b32 v1, off, off offset:360 ; 4-byte Folded Reload
	v_lshlrev_b32_e32 v0, 5, v77
	s_load_b32 s22, s[0:1], 0x8
	v_dual_mov_b32 v90, v202 :: v_dual_mov_b32 v45, v211
	v_dual_mov_b32 v42, v215 :: v_dual_mov_b32 v103, v205
	;; [unrolled: 1-line block ×7, first 2 shown]
	v_mov_b32_e32 v74, v192
	v_mov_b32_e32 v72, v129
	s_mov_b32 s18, 8
	s_waitcnt lgkmcnt(0)
	s_cmp_gt_i32 s22, 8
	s_waitcnt vmcnt(0)
	v_lshl_add_u32 v0, v1, 3, v0
	scratch_load_b64 v[1:2], off, off offset:324 ; 8-byte Folded Reload
	s_waitcnt vmcnt(0)
	ds_store_2addr_stride64_b64 v0, v[219:220], v[1:2] offset0:16 offset1:20
	s_clause 0x1
	scratch_load_b64 v[1:2], off, off offset:332
	scratch_load_b64 v[3:4], off, off offset:340
	s_waitcnt vmcnt(0)
	ds_store_2addr_stride64_b64 v0, v[1:2], v[3:4] offset0:24 offset1:28
	scratch_load_b64 v[1:2], off, off offset:348 ; 8-byte Folded Reload
	s_waitcnt vmcnt(0)
	ds_store_b64 v22, v[1:2] offset:18432
	s_waitcnt lgkmcnt(0)
	s_waitcnt_vscnt null, 0x0
	s_barrier
	buffer_gl0_inv
	scratch_store_b32 off, v212, off offset:24 ; 4-byte Folded Spill
	s_cbranch_scc0 .LBB107_51
; %bb.26:
	v_mad_i64_i32 v[1:2], null, v218, s19, 0
	v_add_nc_u32_e32 v0, 0x2000, v0
	v_mov_b32_e32 v70, v72
	s_add_i32 s19, s22, -8
	v_mov_b32_e32 v41, v214
	scratch_store_b32 off, v0, off offset:376 ; 4-byte Folded Spill
	v_lshlrev_b64 v[1:2], 3, v[1:2]
	v_add_nc_u32_e32 v0, 0x4800, v22
	scratch_store_b32 off, v0, off offset:380 ; 4-byte Folded Spill
	v_add_co_u32 v0, vcc_lo, s20, v1
	v_add_co_ci_u32_e32 v1, vcc_lo, s21, v2, vcc_lo
	v_lshlrev_b64 v[2:3], 3, v[216:217]
	s_mov_b32 s20, 0
	s_clause 0x1
	scratch_store_b64 off, v[2:3], off offset:300
	scratch_store_b32 off, v0, off offset:384
	v_add_co_u32 v0, vcc_lo, v0, 32
	s_clause 0x1
	scratch_store_b32 off, v0, off offset:392
	scratch_store_b32 off, v1, off offset:388
	v_add_co_ci_u32_e32 v0, vcc_lo, 0, v1, vcc_lo
	v_mov_b32_e32 v1, 0
	s_clause 0x1
	scratch_store_b32 off, v0, off offset:396
	scratch_store_b64 off, v[0:1], off offset:308
.LBB107_27:                             ; =>This Loop Header: Depth=1
                                        ;     Child Loop BB107_37 Depth 2
                                        ;     Child Loop BB107_48 Depth 2
	scratch_load_b32 v0, off, off offset:360 ; 4-byte Folded Reload
	v_dual_mov_b32 v72, v74 :: v_dual_mov_b32 v65, v103
	s_waitcnt vmcnt(0)
	v_dual_mov_b32 v51, v94 :: v_dual_add_nc_u32 v4, s18, v0
	s_delay_alu instid0(VALU_DEP_1) | instskip(NEXT) | instid1(VALU_DEP_1)
	v_mad_u64_u32 v[0:1], null, v4, s16, 0
	v_mad_u64_u32 v[2:3], null, v4, s17, v[1:2]
	s_delay_alu instid0(VALU_DEP_1) | instskip(NEXT) | instid1(VALU_DEP_1)
	v_mov_b32_e32 v1, v2
	v_lshlrev_b64 v[0:1], 3, v[0:1]
	s_delay_alu instid0(VALU_DEP_1) | instskip(NEXT) | instid1(VALU_DEP_2)
	v_add_co_u32 v0, vcc_lo, s12, v0
	v_add_co_ci_u32_e32 v1, vcc_lo, s13, v1, vcc_lo
	s_and_b32 vcc_lo, exec_lo, s3
	s_cbranch_vccnz .LBB107_29
; %bb.28:                               ;   in Loop: Header=BB107_27 Depth=1
	scratch_load_b64 v[2:3], off, off offset:300 ; 8-byte Folded Reload
	s_waitcnt vmcnt(0)
	v_add_co_u32 v2, vcc_lo, v0, v2
	v_add_co_ci_u32_e32 v3, vcc_lo, v1, v3, vcc_lo
	s_clause 0x1
	flat_load_b64 v[8:9], v[2:3]
	flat_load_b64 v[2:3], v[2:3] offset:512
	s_waitcnt vmcnt(1) lgkmcnt(1)
	v_mul_f64 v[6:7], v[8:9], s[8:9]
	s_waitcnt vmcnt(0) lgkmcnt(0)
	v_mul_f64 v[2:3], v[2:3], s[8:9]
	scratch_store_b64 off, v[6:7], off offset:288 ; 8-byte Folded Spill
	s_branch .LBB107_30
.LBB107_29:                             ;   in Loop: Header=BB107_27 Depth=1
	v_mov_b32_e32 v2, 0
	v_mov_b32_e32 v3, 0
	scratch_store_b64 off, v[2:3], off offset:288 ; 8-byte Folded Spill
	v_mov_b32_e32 v2, 0
	v_mov_b32_e32 v3, 0
.LBB107_30:                             ;   in Loop: Header=BB107_27 Depth=1
	v_mov_b32_e32 v74, v68
	v_mov_b32_e32 v68, v106
	s_and_b32 vcc_lo, exec_lo, s3
	scratch_store_b64 off, v[2:3], off offset:316 ; 8-byte Folded Spill
	s_cbranch_vccnz .LBB107_32
; %bb.31:                               ;   in Loop: Header=BB107_27 Depth=1
	scratch_load_b64 v[2:3], off, off offset:300 ; 8-byte Folded Reload
	s_waitcnt vmcnt(0)
	v_add_co_u32 v0, vcc_lo, v0, v2
	v_add_co_ci_u32_e32 v1, vcc_lo, v1, v3, vcc_lo
	s_clause 0x1
	flat_load_b64 v[2:3], v[0:1] offset:1024
	flat_load_b64 v[0:1], v[0:1] offset:1536
	s_waitcnt vmcnt(1) lgkmcnt(1)
	v_mul_f64 v[2:3], v[2:3], s[8:9]
	s_waitcnt vmcnt(0) lgkmcnt(0)
	v_mul_f64 v[0:1], v[0:1], s[8:9]
	scratch_store_b64 off, v[2:3], off offset:324 ; 8-byte Folded Spill
	s_branch .LBB107_33
.LBB107_32:                             ;   in Loop: Header=BB107_27 Depth=1
	v_mov_b32_e32 v0, 0
	v_mov_b32_e32 v1, 0
	scratch_store_b64 off, v[0:1], off offset:324 ; 8-byte Folded Spill
	v_mov_b32_e32 v0, 0
	v_mov_b32_e32 v1, 0
.LBB107_33:                             ;   in Loop: Header=BB107_27 Depth=1
	v_mov_b32_e32 v40, v213
	v_mov_b32_e32 v44, v95
	s_and_b32 vcc_lo, exec_lo, s3
	scratch_store_b64 off, v[0:1], off offset:332 ; 8-byte Folded Spill
	s_cbranch_vccnz .LBB107_35
; %bb.34:                               ;   in Loop: Header=BB107_27 Depth=1
	s_clause 0x2
	scratch_load_b32 v99, off, off offset:16
	scratch_load_b32 v0, off, off offset:356
	scratch_load_b64 v[1:2], off, off offset:308
	v_mov_b32_e32 v55, v239
	v_mov_b32_e32 v239, v107
	v_mov_b32_e32 v59, v128
	s_waitcnt vmcnt(0)
	v_mov_b32_e32 v3, v2
	v_or_b32_e32 v2, s18, v0
	s_delay_alu instid0(VALU_DEP_2)
	v_mov_b32_e32 v1, v3
	scratch_store_b64 off, v[0:1], off offset:308 ; 8-byte Folded Spill
	v_lshlrev_b64 v[0:1], 3, v[2:3]
	scratch_load_b32 v2, off, off offset:384 ; 4-byte Folded Reload
	s_waitcnt vmcnt(0)
	v_add_co_u32 v0, vcc_lo, v2, v0
	scratch_load_b32 v2, off, off offset:388 ; 4-byte Folded Reload
	s_waitcnt vmcnt(0)
	v_add_co_ci_u32_e32 v1, vcc_lo, v2, v1, vcc_lo
	flat_load_b64 v[0:1], v[0:1]
	s_waitcnt vmcnt(0) lgkmcnt(0)
	v_mul_f64 v[0:1], v[0:1], s[8:9]
	s_branch .LBB107_36
.LBB107_35:                             ;   in Loop: Header=BB107_27 Depth=1
	scratch_load_b32 v99, off, off offset:16 ; 4-byte Folded Reload
	v_dual_mov_b32 v55, v239 :: v_dual_mov_b32 v0, 0
	v_mov_b32_e32 v239, v107
	v_mov_b32_e32 v59, v128
	;; [unrolled: 1-line block ×3, first 2 shown]
.LBB107_36:                             ;   in Loop: Header=BB107_27 Depth=1
	s_delay_alu instid0(VALU_DEP_2)
	v_mov_b32_e32 v152, v59
	s_waitcnt vmcnt(0)
	v_dual_mov_b32 v64, v90 :: v_dual_mov_b32 v53, v99
	s_mov_b32 s22, 0
	s_mov_b32 s21, -1
	scratch_store_b64 off, v[0:1], off offset:340 ; 8-byte Folded Spill
.LBB107_37:                             ;   Parent Loop BB107_27 Depth=1
                                        ; =>  This Inner Loop Header: Depth=2
	s_lshl_b32 s22, s22, 3
	v_dual_mov_b32 v54, v235 :: v_dual_mov_b32 v235, v190
	v_lshl_add_u32 v29, v212, 5, s22
	v_lshl_add_u32 v4, v91, 5, s22
	s_mov_b32 s22, 2
	s_and_not1_b32 vcc_lo, exec_lo, s21
	ds_load_b128 v[46:49], v29 offset:18432
	ds_load_b128 v[0:3], v4 offset:8192
	;; [unrolled: 1-line block ×4, first 2 shown]
	s_mov_b32 s21, 0
	s_waitcnt lgkmcnt(2)
	v_add_f64 v[66:67], v[2:3], v[48:49]
	s_waitcnt lgkmcnt(1)
	v_add_f64 v[5:6], v[157:158], v[48:49]
	v_add_f64 v[144:145], v[0:1], v[46:47]
	s_delay_alu instid0(VALU_DEP_3)
	v_cvt_f32_f64_e32 v66, v[66:67]
	scratch_store_b64 off, v[5:6], off offset:16 ; 8-byte Folded Spill
	v_add_f64 v[5:6], v[155:156], v[46:47]
	scratch_store_b64 off, v[5:6], off offset:80 ; 8-byte Folded Spill
	ds_load_b128 v[163:166], v4 offset:10240
	ds_load_b128 v[167:170], v4 offset:11264
	s_waitcnt lgkmcnt(1)
	v_add_f64 v[5:6], v[165:166], v[48:49]
	scratch_store_b64 off, v[5:6], off offset:56 ; 8-byte Folded Spill
	v_add_f64 v[5:6], v[163:164], v[46:47]
	scratch_store_b64 off, v[5:6], off offset:112 ; 8-byte Folded Spill
	s_waitcnt lgkmcnt(0)
	v_add_f64 v[5:6], v[169:170], v[48:49]
	scratch_store_b64 off, v[5:6], off offset:32 ; 8-byte Folded Spill
	v_add_f64 v[5:6], v[167:168], v[46:47]
	scratch_store_b64 off, v[5:6], off offset:88 ; 8-byte Folded Spill
	ds_load_b128 v[171:174], v4 offset:12288
	ds_load_b128 v[175:178], v4 offset:13312
	s_waitcnt lgkmcnt(1)
	v_add_f64 v[5:6], v[173:174], v[48:49]
	v_add_f64 v[26:27], v[171:172], v[159:160]
	scratch_store_b64 off, v[5:6], off offset:64 ; 8-byte Folded Spill
	v_add_f64 v[5:6], v[171:172], v[46:47]
	v_cvt_f32_f64_e32 v26, v[26:27]
	scratch_store_b64 off, v[5:6], off offset:120 ; 8-byte Folded Spill
	s_waitcnt lgkmcnt(0)
	v_add_f64 v[5:6], v[177:178], v[48:49]
	scratch_store_b64 off, v[5:6], off offset:40 ; 8-byte Folded Spill
	v_add_f64 v[5:6], v[175:176], v[46:47]
	scratch_store_b64 off, v[5:6], off offset:96 ; 8-byte Folded Spill
	ds_load_b128 v[179:182], v4 offset:14336
	ds_load_b128 v[183:186], v4 offset:15360
	;; [unrolled: 1-line block ×3, first 2 shown]
	s_waitcnt lgkmcnt(2)
	v_add_f64 v[4:5], v[181:182], v[48:49]
	s_waitcnt lgkmcnt(0)
	v_add_f64 v[221:222], v[2:3], v[189:190]
	v_add_f64 v[225:226], v[0:1], v[187:188]
	;; [unrolled: 1-line block ×16, first 2 shown]
	scratch_store_b64 off, v[4:5], off offset:72 ; 8-byte Folded Spill
	v_add_f64 v[4:5], v[179:180], v[46:47]
	scratch_store_b64 off, v[4:5], off offset:128 ; 8-byte Folded Spill
	v_add_f64 v[4:5], v[185:186], v[48:49]
	;; [unrolled: 2-line block ×18, first 2 shown]
	ds_load_b128 v[159:162], v29 offset:18944
	s_waitcnt lgkmcnt(0)
	v_add_f64 v[146:147], v[2:3], v[161:162]
	v_add_f64 v[108:109], v[0:1], v[159:160]
	;; [unrolled: 1-line block ×12, first 2 shown]
	scratch_store_b64 off, v[4:5], off offset:248 ; 8-byte Folded Spill
	v_add_f64 v[4:5], v[177:178], v[161:162]
	scratch_store_b64 off, v[4:5], off offset:272 ; 8-byte Folded Spill
	v_add_f64 v[4:5], v[181:182], v[161:162]
	;; [unrolled: 2-line block ×4, first 2 shown]
	scratch_store_b64 off, v[4:5], off offset:280 ; 8-byte Folded Spill
	ds_load_b128 v[159:162], v29 offset:19456
	ds_load_b128 v[187:190], v29 offset:19712
	s_waitcnt lgkmcnt(1)
	v_add_f64 v[153:154], v[2:3], v[161:162]
	v_add_f64 v[150:151], v[0:1], v[159:160]
	;; [unrolled: 1-line block ×16, first 2 shown]
	s_waitcnt lgkmcnt(0)
	v_add_f64 v[82:83], v[2:3], v[189:190]
	v_add_f64 v[24:25], v[0:1], v[187:188]
	;; [unrolled: 1-line block ×16, first 2 shown]
	ds_load_b128 v[159:162], v29 offset:19968
	ds_load_b128 v[187:190], v29 offset:20224
	v_cvt_f32_f64_e32 v29, v[144:145]
	v_cvt_f32_f64_e32 v4, v[4:5]
	;; [unrolled: 1-line block ×3, first 2 shown]
	s_waitcnt lgkmcnt(1)
	v_add_f64 v[102:103], v[2:3], v[161:162]
	v_add_f64 v[104:105], v[157:158], v[161:162]
	;; [unrolled: 1-line block ×8, first 2 shown]
	s_waitcnt lgkmcnt(0)
	v_add_f64 v[2:3], v[2:3], v[189:190]
	v_add_f64 v[157:158], v[157:158], v[189:190]
	;; [unrolled: 1-line block ×8, first 2 shown]
	v_dual_mov_b32 v190, v235 :: v_dual_mov_b32 v235, v54
	v_add_f64 v[217:218], v[0:1], v[159:160]
	v_add_f64 v[0:1], v[0:1], v[187:188]
	v_min3_f32 v143, v29, v66, v143
	scratch_load_b64 v[66:67], off, off offset:80 ; 8-byte Folded Reload
	v_add_f64 v[213:214], v[155:156], v[159:160]
	v_add_f64 v[155:156], v[155:156], v[187:188]
	;; [unrolled: 1-line block ×7, first 2 shown]
	v_min3_f32 v71, v4, v5, v71
	v_cvt_f32_f64_e32 v4, v[8:9]
	v_cvt_f32_f64_e32 v5, v[6:7]
	v_add_f64 v[171:172], v[171:172], v[187:188]
	v_add_f64 v[197:198], v[175:176], v[159:160]
	v_add_f64 v[175:176], v[175:176], v[187:188]
	v_add_f64 v[193:194], v[179:180], v[159:160]
	v_add_f64 v[179:180], v[179:180], v[187:188]
	v_add_f64 v[159:160], v[183:184], v[159:160]
	v_add_f64 v[183:184], v[183:184], v[187:188]
	scratch_load_b32 v6, off, off offset:8  ; 4-byte Folded Reload
	v_cvt_f32_f64_e32 v0, v[0:1]
	v_cvt_f32_f64_e32 v1, v[2:3]
	v_min3_f32 v246, v4, v5, v246
	v_cvt_f32_f64_e32 v4, v[12:13]
	v_cvt_f32_f64_e32 v5, v[10:11]
	s_delay_alu instid0(VALU_DEP_4) | instskip(SKIP_2) | instid1(VALU_DEP_4)
	v_min3_f32 v126, v0, v1, v126
	v_cvt_f32_f64_e32 v0, v[155:156]
	v_cvt_f32_f64_e32 v1, v[157:158]
	v_min3_f32 v245, v4, v5, v245
	v_cvt_f32_f64_e32 v4, v[16:17]
	v_cvt_f32_f64_e32 v5, v[14:15]
	s_delay_alu instid0(VALU_DEP_4) | instskip(SKIP_2) | instid1(VALU_DEP_4)
	v_min3_f32 v125, v0, v1, v125
	;; [unrolled: 7-line block ×3, first 2 shown]
	v_cvt_f32_f64_e32 v0, v[167:168]
	v_cvt_f32_f64_e32 v1, v[169:170]
	v_min3_f32 v223, v4, v5, v223
	v_cvt_f32_f64_e32 v4, v[80:81]
	v_cvt_f32_f64_e32 v5, v[20:21]
	s_delay_alu instid0(VALU_DEP_1) | instskip(SKIP_2) | instid1(VALU_DEP_1)
	v_min3_f32 v190, v4, v5, v190
	v_cvt_f32_f64_e32 v4, v[22:23]
	v_cvt_f32_f64_e32 v5, v[116:117]
	v_min3_f32 v152, v4, v5, v152
	v_cvt_f32_f64_e32 v4, v[24:25]
	v_cvt_f32_f64_e32 v5, v[82:83]
	s_delay_alu instid0(VALU_DEP_1)
	v_min3_f32 v240, v4, v5, v240
	v_cvt_f32_f64_e32 v4, v[86:87]
	v_cvt_f32_f64_e32 v5, v[84:85]
	s_waitcnt vmcnt(1)
	v_cvt_f32_f64_e32 v29, v[66:67]
	scratch_load_b64 v[66:67], off, off offset:16 ; 8-byte Folded Reload
	v_min3_f32 v236, v4, v5, v236
	v_cvt_f32_f64_e32 v4, v[88:89]
	v_cvt_f32_f64_e32 v5, v[56:57]
	s_delay_alu instid0(VALU_DEP_1) | instskip(SKIP_2) | instid1(VALU_DEP_1)
	v_min3_f32 v42, v4, v5, v42
	v_cvt_f32_f64_e32 v4, v[60:61]
	v_cvt_f32_f64_e32 v5, v[58:59]
	v_min3_f32 v41, v4, v5, v41
	v_cvt_f32_f64_e32 v4, v[90:91]
	s_clause 0x1
	scratch_load_b32 v91, off, off offset:296
	scratch_load_b32 v2, off, off offset:4
	v_cvt_f32_f64_e32 v5, v[62:63]
	s_delay_alu instid0(VALU_DEP_1) | instskip(SKIP_2) | instid1(VALU_DEP_1)
	v_min3_f32 v235, v4, v5, v235
	v_cvt_f32_f64_e32 v4, v[92:93]
	v_cvt_f32_f64_e32 v5, v[76:77]
	v_min3_f32 v40, v4, v5, v40
	v_cvt_f32_f64_e32 v4, v[96:97]
	v_cvt_f32_f64_e32 v5, v[94:95]
	s_delay_alu instid0(VALU_DEP_1) | instskip(SKIP_2) | instid1(VALU_DEP_1)
	v_min3_f32 v204, v4, v5, v204
	v_cvt_f32_f64_e32 v4, v[100:101]
	v_cvt_f32_f64_e32 v5, v[98:99]
	v_min3_f32 v203, v4, v5, v203
	v_cvt_f32_f64_e32 v4, v[217:218]
	v_cvt_f32_f64_e32 v5, v[102:103]
	s_delay_alu instid0(VALU_DEP_1) | instskip(SKIP_4) | instid1(VALU_DEP_2)
	v_min3_f32 v200, v4, v5, v200
	v_cvt_f32_f64_e32 v4, v[213:214]
	v_cvt_f32_f64_e32 v5, v[104:105]
	s_waitcnt vmcnt(2)
	v_cvt_f32_f64_e32 v66, v[66:67]
	v_min3_f32 v199, v4, v5, v199
	v_cvt_f32_f64_e32 v4, v[209:210]
	v_cvt_f32_f64_e32 v5, v[106:107]
	s_delay_alu instid0(VALU_DEP_4) | instskip(SKIP_4) | instid1(VALU_DEP_1)
	v_min3_f32 v142, v29, v66, v142
	scratch_load_b64 v[66:67], off, off offset:112 ; 8-byte Folded Reload
	v_min3_f32 v131, v4, v5, v131
	v_cvt_f32_f64_e32 v4, v[205:206]
	v_cvt_f32_f64_e32 v5, v[219:220]
	v_min3_f32 v195, v4, v5, v195
	v_cvt_f32_f64_e32 v4, v[201:202]
	v_cvt_f32_f64_e32 v5, v[215:216]
	s_waitcnt vmcnt(1)
	v_min3_f32 v2, v0, v1, v2
	v_cvt_f32_f64_e32 v0, v[171:172]
	v_cvt_f32_f64_e32 v1, v[173:174]
	scratch_store_b32 off, v2, off offset:4 ; 4-byte Folded Spill
	scratch_load_b32 v2, off, off           ; 4-byte Folded Reload
	v_min3_f32 v6, v4, v5, v6
	v_cvt_f32_f64_e32 v5, v[211:212]
	v_cvt_f32_f64_e32 v4, v[197:198]
	v_min3_f32 v244, v0, v1, v244
	v_cvt_f32_f64_e32 v0, v[175:176]
	v_cvt_f32_f64_e32 v1, v[177:178]
	scratch_load_b32 v212, off, off offset:24 ; 4-byte Folded Reload
	v_min3_f32 v130, v4, v5, v130
	v_cvt_f32_f64_e32 v4, v[193:194]
	v_cvt_f32_f64_e32 v5, v[207:208]
	v_min3_f32 v122, v0, v1, v122
	v_cvt_f32_f64_e32 v0, v[179:180]
	v_cvt_f32_f64_e32 v1, v[181:182]
	s_delay_alu instid0(VALU_DEP_1)
	v_min3_f32 v120, v0, v1, v120
	v_cvt_f32_f64_e32 v0, v[183:184]
	v_cvt_f32_f64_e32 v1, v[185:186]
	s_waitcnt vmcnt(2)
	v_cvt_f32_f64_e32 v29, v[66:67]
	scratch_load_b64 v[66:67], off, off offset:56 ; 8-byte Folded Reload
	s_waitcnt vmcnt(2)
	v_min3_f32 v2, v0, v1, v2
	scratch_store_b32 off, v6, off offset:8 ; 4-byte Folded Spill
	scratch_load_b32 v6, off, off offset:12 ; 4-byte Folded Reload
	scratch_store_b32 off, v2, off          ; 4-byte Folded Spill
	s_waitcnt vmcnt(1)
	v_cvt_f32_f64_e32 v66, v[66:67]
	s_delay_alu instid0(VALU_DEP_1)
	v_min3_f32 v141, v29, v66, v141
	scratch_load_b64 v[66:67], off, off offset:88 ; 8-byte Folded Reload
	s_waitcnt vmcnt(1)
	v_min3_f32 v6, v4, v5, v6
	v_cvt_f32_f64_e32 v4, v[159:160]
	v_cvt_f32_f64_e32 v5, v[161:162]
	scratch_store_b32 off, v6, off offset:12 ; 4-byte Folded Spill
	v_min3_f32 v127, v4, v5, v127
	s_waitcnt vmcnt(0)
	v_cvt_f32_f64_e32 v29, v[66:67]
	scratch_load_b64 v[66:67], off, off offset:32 ; 8-byte Folded Reload
	s_waitcnt vmcnt(0)
	v_cvt_f32_f64_e32 v66, v[66:67]
	s_delay_alu instid0(VALU_DEP_1)
	v_min3_f32 v140, v29, v66, v140
	scratch_load_b64 v[66:67], off, off offset:120 ; 8-byte Folded Reload
	s_waitcnt vmcnt(0)
	v_cvt_f32_f64_e32 v29, v[66:67]
	scratch_load_b64 v[66:67], off, off offset:64 ; 8-byte Folded Reload
	s_waitcnt vmcnt(0)
	v_cvt_f32_f64_e32 v66, v[66:67]
	s_delay_alu instid0(VALU_DEP_1)
	v_min3_f32 v139, v29, v66, v139
	scratch_load_b64 v[66:67], off, off offset:96 ; 8-byte Folded Reload
	;; [unrolled: 8-line block ×8, first 2 shown]
	s_waitcnt vmcnt(0)
	v_cvt_f32_f64_e32 v29, v[66:67]
	scratch_load_b64 v[66:67], off, off offset:184 ; 8-byte Folded Reload
	s_waitcnt vmcnt(0)
	v_cvt_f32_f64_e32 v54, v[66:67]
	scratch_load_b64 v[66:67], off, off offset:200 ; 8-byte Folded Reload
	v_min3_f32 v243, v29, v54, v243
	s_waitcnt vmcnt(0)
	v_cvt_f32_f64_e32 v27, v[66:67]
	scratch_load_b64 v[66:67], off, off offset:208 ; 8-byte Folded Reload
	v_min3_f32 v255, v26, v27, v255
	scratch_load_b64 v[26:27], off, off offset:216 ; 8-byte Folded Reload
	s_waitcnt vmcnt(0)
	v_cvt_f32_f64_e32 v26, v[26:27]
	v_cvt_f32_f64_e32 v27, v[66:67]
	scratch_load_b64 v[66:67], off, off offset:224 ; 8-byte Folded Reload
	v_min3_f32 v123, v26, v27, v123
	scratch_load_b64 v[26:27], off, off offset:232 ; 8-byte Folded Reload
	s_waitcnt vmcnt(0)
	v_cvt_f32_f64_e32 v26, v[26:27]
	;; [unrolled: 6-line block ×3, first 2 shown]
	v_cvt_f32_f64_e32 v27, v[66:67]
	s_delay_alu instid0(VALU_DEP_1) | instskip(SKIP_2) | instid1(VALU_DEP_1)
	v_min3_f32 v132, v26, v27, v132
	v_cvt_f32_f64_e32 v26, v[108:109]
	v_cvt_f32_f64_e32 v27, v[146:147]
	v_min3_f32 v45, v26, v27, v45
	v_cvt_f32_f64_e32 v26, v[110:111]
	v_cvt_f32_f64_e32 v27, v[191:192]
	s_delay_alu instid0(VALU_DEP_1) | instskip(SKIP_2) | instid1(VALU_DEP_1)
	v_min3_f32 v44, v26, v27, v44
	v_cvt_f32_f64_e32 v26, v[112:113]
	v_cvt_f32_f64_e32 v27, v[34:35]
	v_min3_f32 v51, v26, v27, v51
	v_cvt_f32_f64_e32 v26, v[114:115]
	v_cvt_f32_f64_e32 v27, v[38:39]
	s_delay_alu instid0(VALU_DEP_1) | instskip(SKIP_3) | instid1(VALU_DEP_1)
	v_min3_f32 v50, v26, v27, v50
	v_cvt_f32_f64_e32 v26, v[32:33]
	scratch_load_b64 v[32:33], off, off offset:272 ; 8-byte Folded Reload
	v_cvt_f32_f64_e32 v27, v[48:49]
	v_min3_f32 v53, v26, v27, v53
	v_cvt_f32_f64_e32 v26, v[36:37]
	s_waitcnt vmcnt(0)
	v_cvt_f32_f64_e32 v27, v[32:33]
	scratch_load_b64 v[32:33], off, off offset:264 ; 8-byte Folded Reload
	v_min3_f32 v52, v26, v27, v52
	v_cvt_f32_f64_e32 v26, v[46:47]
	s_waitcnt vmcnt(0)
	v_cvt_f32_f64_e32 v27, v[32:33]
	scratch_load_b64 v[32:33], off, off offset:256 ; 8-byte Folded Reload
	v_min3_f32 v65, v26, v27, v65
	scratch_load_b64 v[26:27], off, off offset:280 ; 8-byte Folded Reload
	s_waitcnt vmcnt(0)
	v_cvt_f32_f64_e32 v26, v[26:27]
	v_cvt_f32_f64_e32 v27, v[32:33]
	s_delay_alu instid0(VALU_DEP_1) | instskip(SKIP_2) | instid1(VALU_DEP_1)
	v_min3_f32 v64, v26, v27, v64
	v_cvt_f32_f64_e32 v26, v[225:226]
	v_cvt_f32_f64_e32 v27, v[221:222]
	v_min3_f32 v55, v26, v27, v55
	v_cvt_f32_f64_e32 v26, v[229:230]
	v_cvt_f32_f64_e32 v27, v[227:228]
	s_delay_alu instid0(VALU_DEP_1) | instskip(SKIP_2) | instid1(VALU_DEP_1)
	v_min3_f32 v239, v26, v27, v239
	v_cvt_f32_f64_e32 v26, v[233:234]
	v_cvt_f32_f64_e32 v27, v[231:232]
	v_min3_f32 v68, v26, v27, v68
	;; [unrolled: 7-line block ×5, first 2 shown]
	s_cbranch_vccz .LBB107_37
; %bb.38:                               ;   in Loop: Header=BB107_27 Depth=1
	scratch_load_b32 v0, off, off offset:364 ; 4-byte Folded Reload
	v_dual_mov_b32 v99, v53 :: v_dual_mov_b32 v90, v64
	v_dual_mov_b32 v102, v55 :: v_dual_mov_b32 v105, v152
	s_waitcnt vmcnt(0)
	v_add_nc_u32_e32 v4, s18, v0
	s_delay_alu instid0(VALU_DEP_1) | instskip(NEXT) | instid1(VALU_DEP_1)
	v_mad_u64_u32 v[0:1], null, v4, s16, 0
	v_mad_u64_u32 v[2:3], null, v4, s17, v[1:2]
	v_mov_b32_e32 v106, v68
	v_mov_b32_e32 v68, v74
	s_delay_alu instid0(VALU_DEP_3)
	v_mov_b32_e32 v1, v2
	s_clause 0x2
	scratch_load_b32 v2, off, off offset:368
	scratch_load_b64 v[3:4], off, off offset:288
	scratch_load_b64 v[6:7], off, off offset:316
	v_lshlrev_b64 v[0:1], 3, v[0:1]
	s_delay_alu instid0(VALU_DEP_1) | instskip(NEXT) | instid1(VALU_DEP_2)
	v_add_co_u32 v0, vcc_lo, s12, v0
	v_add_co_ci_u32_e32 v1, vcc_lo, s13, v1, vcc_lo
	s_and_b32 vcc_lo, exec_lo, s3
	s_waitcnt vmcnt(0)
	ds_store_2addr_stride64_b64 v2, v[3:4], v[6:7] offset1:4
	s_clause 0x1
	scratch_load_b64 v[3:4], off, off offset:324
	scratch_load_b64 v[6:7], off, off offset:332
	s_waitcnt vmcnt(0)
	ds_store_2addr_stride64_b64 v2, v[3:4], v[6:7] offset0:8 offset1:12
	s_clause 0x1
	scratch_load_b32 v2, off, off offset:372
	scratch_load_b64 v[3:4], off, off offset:340
	s_waitcnt vmcnt(0)
	ds_store_b64 v2, v[3:4]
	s_waitcnt lgkmcnt(0)
	s_waitcnt_vscnt null, 0x0
	s_barrier
	buffer_gl0_inv
	s_cbranch_vccnz .LBB107_40
; %bb.39:                               ;   in Loop: Header=BB107_27 Depth=1
	scratch_load_b64 v[2:3], off, off offset:300 ; 8-byte Folded Reload
	s_waitcnt vmcnt(0)
	v_add_co_u32 v2, vcc_lo, v0, v2
	v_add_co_ci_u32_e32 v3, vcc_lo, v1, v3, vcc_lo
	s_clause 0x1
	flat_load_b64 v[8:9], v[2:3]
	flat_load_b64 v[2:3], v[2:3] offset:512
	s_waitcnt vmcnt(1) lgkmcnt(1)
	v_mul_f64 v[6:7], v[8:9], s[8:9]
	s_waitcnt vmcnt(0) lgkmcnt(0)
	v_mul_f64 v[2:3], v[2:3], s[8:9]
	scratch_store_b64 off, v[6:7], off offset:316 ; 8-byte Folded Spill
	s_branch .LBB107_41
.LBB107_40:                             ;   in Loop: Header=BB107_27 Depth=1
	v_mov_b32_e32 v2, 0
	v_mov_b32_e32 v3, 0
	scratch_store_b64 off, v[2:3], off offset:316 ; 8-byte Folded Spill
	v_mov_b32_e32 v2, 0
	v_mov_b32_e32 v3, 0
.LBB107_41:                             ;   in Loop: Header=BB107_27 Depth=1
	v_dual_mov_b32 v107, v239 :: v_dual_mov_b32 v74, v72
	v_dual_mov_b32 v95, v44 :: v_dual_mov_b32 v72, v70
	s_and_b32 vcc_lo, exec_lo, s3
	s_clause 0x1
	scratch_store_b64 off, v[2:3], off offset:324
	scratch_store_b32 off, v99, off offset:16
	s_cbranch_vccnz .LBB107_43
; %bb.42:                               ;   in Loop: Header=BB107_27 Depth=1
	scratch_load_b64 v[2:3], off, off offset:300 ; 8-byte Folded Reload
	s_waitcnt vmcnt(0)
	v_add_co_u32 v0, vcc_lo, v0, v2
	v_add_co_ci_u32_e32 v1, vcc_lo, v1, v3, vcc_lo
	s_clause 0x1
	flat_load_b64 v[2:3], v[0:1] offset:1024
	flat_load_b64 v[0:1], v[0:1] offset:1536
	s_waitcnt vmcnt(1) lgkmcnt(1)
	v_mul_f64 v[2:3], v[2:3], s[8:9]
	s_waitcnt vmcnt(0) lgkmcnt(0)
	v_mul_f64 v[0:1], v[0:1], s[8:9]
	scratch_store_b64 off, v[2:3], off offset:332 ; 8-byte Folded Spill
	s_branch .LBB107_44
.LBB107_43:                             ;   in Loop: Header=BB107_27 Depth=1
	v_mov_b32_e32 v0, 0
	v_mov_b32_e32 v1, 0
	scratch_store_b64 off, v[0:1], off offset:332 ; 8-byte Folded Spill
	v_mov_b32_e32 v0, 0
	v_mov_b32_e32 v1, 0
.LBB107_44:                             ;   in Loop: Header=BB107_27 Depth=1
	v_dual_mov_b32 v70, v246 :: v_dual_mov_b32 v61, v245
	v_mov_b32_e32 v104, v45
	v_dual_mov_b32 v94, v51 :: v_dual_mov_b32 v103, v65
	v_dual_mov_b32 v58, v240 :: v_dual_mov_b32 v245, v41
	v_mov_b32_e32 v54, v235
	s_and_b32 vcc_lo, exec_lo, s3
	scratch_store_b64 off, v[0:1], off offset:340 ; 8-byte Folded Spill
	s_cbranch_vccnz .LBB107_46
; %bb.45:                               ;   in Loop: Header=BB107_27 Depth=1
	s_clause 0x1
	scratch_load_b32 v0, off, off offset:356
	scratch_load_b64 v[1:2], off, off offset:308
	s_waitcnt vmcnt(0)
	v_mov_b32_e32 v3, v2
	v_or_b32_e32 v2, s18, v0
	s_delay_alu instid0(VALU_DEP_2)
	v_mov_b32_e32 v1, v3
	scratch_store_b64 off, v[0:1], off offset:308 ; 8-byte Folded Spill
	v_lshlrev_b64 v[0:1], 3, v[2:3]
	scratch_load_b32 v2, off, off offset:392 ; 4-byte Folded Reload
	s_waitcnt vmcnt(0)
	v_add_co_u32 v0, vcc_lo, v2, v0
	scratch_load_b32 v2, off, off offset:396 ; 4-byte Folded Reload
	s_waitcnt vmcnt(0)
	v_add_co_ci_u32_e32 v1, vcc_lo, v2, v1, vcc_lo
	flat_load_b64 v[0:1], v[0:1]
	s_waitcnt vmcnt(0) lgkmcnt(0)
	v_mul_f64 v[0:1], v[0:1], s[8:9]
	s_branch .LBB107_47
.LBB107_46:                             ;   in Loop: Header=BB107_27 Depth=1
	v_mov_b32_e32 v0, 0
	v_mov_b32_e32 v1, 0
.LBB107_47:                             ;   in Loop: Header=BB107_27 Depth=1
	v_dual_mov_b32 v152, v40 :: v_dual_mov_b32 v55, v245
	v_dual_mov_b32 v56, v42 :: v_dual_mov_b32 v57, v236
	;; [unrolled: 1-line block ×3, first 2 shown]
	s_mov_b32 s22, 0
	s_mov_b32 s21, -1
	scratch_store_b64 off, v[0:1], off offset:348 ; 8-byte Folded Spill
.LBB107_48:                             ;   Parent Loop BB107_27 Depth=1
                                        ; =>  This Inner Loop Header: Depth=2
	s_lshl_b32 s22, s22, 3
	v_mov_b32_e32 v10, v190
	v_lshl_add_u32 v26, v212, 5, s22
	v_lshl_add_u32 v4, v91, 5, s22
	s_mov_b32 s22, 2
	s_and_not1_b32 vcc_lo, exec_lo, s21
	s_mov_b32 s21, 0
	ds_load_b128 v[46:49], v26 offset:16384
	ds_load_b128 v[0:3], v4
	ds_load_b128 v[155:158], v4 offset:1024
	ds_load_b128 v[159:162], v26 offset:16640
	s_waitcnt lgkmcnt(2)
	v_add_f64 v[62:63], v[2:3], v[48:49]
	s_waitcnt lgkmcnt(1)
	v_add_f64 v[5:6], v[157:158], v[48:49]
	v_add_f64 v[41:42], v[0:1], v[46:47]
	s_delay_alu instid0(VALU_DEP_3)
	v_cvt_f32_f64_e32 v62, v[62:63]
	scratch_store_b64 off, v[5:6], off offset:32 ; 8-byte Folded Spill
	v_add_f64 v[5:6], v[155:156], v[46:47]
	v_cvt_f32_f64_e32 v41, v[41:42]
	scratch_store_b64 off, v[5:6], off offset:88 ; 8-byte Folded Spill
	ds_load_b128 v[163:166], v4 offset:2048
	ds_load_b128 v[167:170], v4 offset:3072
	v_min3_f32 v143, v41, v62, v143
	s_waitcnt lgkmcnt(1)
	v_add_f64 v[5:6], v[165:166], v[48:49]
	v_add_f64 v[37:38], v[163:164], v[159:160]
	scratch_store_b64 off, v[5:6], off offset:64 ; 8-byte Folded Spill
	v_add_f64 v[5:6], v[163:164], v[46:47]
	v_cvt_f32_f64_e32 v37, v[37:38]
	scratch_store_b64 off, v[5:6], off offset:120 ; 8-byte Folded Spill
	s_waitcnt lgkmcnt(0)
	v_add_f64 v[5:6], v[169:170], v[48:49]
	scratch_store_b64 off, v[5:6], off offset:40 ; 8-byte Folded Spill
	v_add_f64 v[5:6], v[167:168], v[46:47]
	scratch_store_b64 off, v[5:6], off offset:96 ; 8-byte Folded Spill
	ds_load_b128 v[171:174], v4 offset:4096
	ds_load_b128 v[175:178], v4 offset:5120
	s_waitcnt lgkmcnt(1)
	v_add_f64 v[5:6], v[173:174], v[48:49]
	v_add_f64 v[35:36], v[171:172], v[159:160]
	s_waitcnt lgkmcnt(0)
	v_add_f64 v[33:34], v[175:176], v[159:160]
	scratch_store_b64 off, v[5:6], off offset:72 ; 8-byte Folded Spill
	v_add_f64 v[5:6], v[171:172], v[46:47]
	v_cvt_f32_f64_e32 v35, v[35:36]
	scratch_store_b64 off, v[5:6], off offset:128 ; 8-byte Folded Spill
	v_add_f64 v[5:6], v[177:178], v[48:49]
	scratch_store_b64 off, v[5:6], off offset:48 ; 8-byte Folded Spill
	v_add_f64 v[5:6], v[175:176], v[46:47]
	scratch_store_b64 off, v[5:6], off offset:104 ; 8-byte Folded Spill
	ds_load_b128 v[179:182], v4 offset:6144
	ds_load_b128 v[183:186], v4 offset:7168
	;; [unrolled: 1-line block ×3, first 2 shown]
	s_waitcnt lgkmcnt(2)
	v_add_f64 v[4:5], v[181:182], v[48:49]
	s_waitcnt lgkmcnt(0)
	v_add_f64 v[144:145], v[2:3], v[189:190]
	v_add_f64 v[146:147], v[0:1], v[187:188]
	;; [unrolled: 1-line block ×16, first 2 shown]
	scratch_store_b64 off, v[4:5], off offset:80 ; 8-byte Folded Spill
	v_add_f64 v[4:5], v[179:180], v[46:47]
	v_cvt_f32_f64_e32 v24, v[24:25]
	v_cvt_f32_f64_e32 v25, v[153:154]
	;; [unrolled: 1-line block ×4, first 2 shown]
	scratch_store_b64 off, v[4:5], off offset:136 ; 8-byte Folded Spill
	v_add_f64 v[4:5], v[185:186], v[48:49]
	v_min3_f32 v106, v24, v25, v106
	v_min3_f32 v69, v22, v23, v69
	v_cvt_f32_f64_e32 v22, v[59:60]
	v_cvt_f32_f64_e32 v23, v[197:198]
	scratch_store_b64 off, v[4:5], off offset:56 ; 8-byte Folded Spill
	v_add_f64 v[4:5], v[183:184], v[46:47]
	v_min3_f32 v68, v22, v23, v68
	v_cvt_f32_f64_e32 v22, v[205:206]
	v_cvt_f32_f64_e32 v23, v[201:202]
	scratch_store_b64 off, v[4:5], off offset:112 ; 8-byte Folded Spill
	v_add_f64 v[4:5], v[2:3], v[161:162]
	;; [unrolled: 5-line block ×4, first 2 shown]
	v_min3_f32 v73, v22, v23, v73
	scratch_store_b64 off, v[4:5], off offset:160 ; 8-byte Folded Spill
	v_add_f64 v[4:5], v[155:156], v[159:160]
	scratch_store_b64 off, v[4:5], off offset:168 ; 8-byte Folded Spill
	v_add_f64 v[4:5], v[165:166], v[161:162]
	;; [unrolled: 2-line block ×10, first 2 shown]
	ds_load_b128 v[159:162], v26 offset:16896
	s_waitcnt lgkmcnt(0)
	v_add_f64 v[78:79], v[2:3], v[161:162]
	v_add_f64 v[80:81], v[0:1], v[159:160]
	;; [unrolled: 1-line block ×10, first 2 shown]
	scratch_store_b64 off, v[4:5], off offset:240 ; 8-byte Folded Spill
	v_add_f64 v[4:5], v[173:174], v[161:162]
	scratch_store_b64 off, v[4:5], off offset:280 ; 8-byte Folded Spill
	v_add_f64 v[4:5], v[177:178], v[161:162]
	;; [unrolled: 2-line block ×6, first 2 shown]
	scratch_store_b64 off, v[4:5], off offset:272 ; 8-byte Folded Spill
	ds_load_b128 v[159:162], v26 offset:17408
	ds_load_b128 v[187:190], v26 offset:17664
	s_waitcnt lgkmcnt(1)
	v_add_f64 v[215:216], v[2:3], v[161:162]
	v_add_f64 v[217:218], v[0:1], v[159:160]
	;; [unrolled: 1-line block ×16, first 2 shown]
	s_waitcnt lgkmcnt(0)
	v_add_f64 v[247:248], v[2:3], v[189:190]
	v_add_f64 v[249:250], v[0:1], v[187:188]
	;; [unrolled: 1-line block ×16, first 2 shown]
	ds_load_b128 v[159:162], v26 offset:17920
	ds_load_b128 v[187:190], v26 offset:18176
	s_clause 0x2
	scratch_load_b64 v[41:42], off, off offset:88
	scratch_load_b32 v212, off, off offset:24
	scratch_load_b64 v[62:63], off, off offset:32
	v_cvt_f32_f64_e32 v23, v[215:216]
	v_cvt_f32_f64_e32 v22, v[217:218]
	s_waitcnt lgkmcnt(1)
	v_add_f64 v[112:113], v[2:3], v[161:162]
	v_add_f64 v[6:7], v[0:1], v[159:160]
	s_waitcnt lgkmcnt(0)
	v_add_f64 v[2:3], v[2:3], v[189:190]
	v_add_f64 v[0:1], v[0:1], v[187:188]
	;; [unrolled: 1-line block ×16, first 2 shown]
	v_mov_b32_e32 v190, v10
	scratch_load_b32 v10, off, off offset:16 ; 4-byte Folded Reload
	v_add_f64 v[26:27], v[155:156], v[159:160]
	v_add_f64 v[155:156], v[155:156], v[187:188]
	v_cvt_f32_f64_e32 v4, v[4:5]
	v_cvt_f32_f64_e32 v5, v[16:17]
	v_add_f64 v[66:67], v[163:164], v[159:160]
	v_add_f64 v[163:164], v[163:164], v[187:188]
	;; [unrolled: 1-line block ×12, first 2 shown]
	v_min3_f32 v72, v22, v23, v72
	v_cvt_f32_f64_e32 v22, v[221:222]
	v_cvt_f32_f64_e32 v23, v[219:220]
	;; [unrolled: 1-line block ×4, first 2 shown]
	scratch_load_b32 v2, off, off offset:4  ; 4-byte Folded Reload
	v_min3_f32 v54, v4, v5, v54
	v_cvt_f32_f64_e32 v4, v[11:12]
	v_cvt_f32_f64_e32 v5, v[14:15]
	v_min3_f32 v71, v22, v23, v71
	v_cvt_f32_f64_e32 v22, v[225:226]
	v_cvt_f32_f64_e32 v23, v[18:19]
	v_cvt_f32_f64_e32 v18, v[50:51]
	v_min3_f32 v126, v0, v1, v126
	v_cvt_f32_f64_e32 v0, v[155:156]
	;; [unrolled: 4-line block ×3, first 2 shown]
	v_cvt_f32_f64_e32 v5, v[108:109]
	v_min3_f32 v70, v22, v23, v70
	v_cvt_f32_f64_e32 v22, v[229:230]
	v_cvt_f32_f64_e32 v23, v[227:228]
	v_min3_f32 v125, v0, v1, v125
	v_cvt_f32_f64_e32 v0, v[163:164]
	v_cvt_f32_f64_e32 v1, v[165:166]
	v_min3_f32 v204, v4, v5, v204
	v_cvt_f32_f64_e32 v4, v[245:246]
	v_cvt_f32_f64_e32 v5, v[110:111]
	v_min3_f32 v61, v22, v23, v61
	v_cvt_f32_f64_e32 v22, v[233:234]
	v_cvt_f32_f64_e32 v23, v[231:232]
	v_min3_f32 v124, v0, v1, v124
	v_cvt_f32_f64_e32 v0, v[167:168]
	v_cvt_f32_f64_e32 v1, v[169:170]
	v_min3_f32 v203, v4, v5, v203
	v_cvt_f32_f64_e32 v4, v[6:7]
	scratch_load_b32 v6, off, off offset:8  ; 4-byte Folded Reload
	v_cvt_f32_f64_e32 v5, v[112:113]
	v_min3_f32 v224, v22, v23, v224
	v_cvt_f32_f64_e32 v22, v[237:238]
	v_cvt_f32_f64_e32 v23, v[46:47]
	s_delay_alu instid0(VALU_DEP_4) | instskip(SKIP_2) | instid1(VALU_DEP_4)
	v_min3_f32 v200, v4, v5, v200
	v_cvt_f32_f64_e32 v4, v[26:27]
	v_cvt_f32_f64_e32 v5, v[114:115]
	v_min3_f32 v223, v22, v23, v223
	v_cvt_f32_f64_e32 v22, v[241:242]
	v_cvt_f32_f64_e32 v23, v[48:49]
	s_delay_alu instid0(VALU_DEP_4) | instskip(SKIP_2) | instid1(VALU_DEP_4)
	v_min3_f32 v199, v4, v5, v199
	v_cvt_f32_f64_e32 v4, v[66:67]
	v_cvt_f32_f64_e32 v5, v[64:65]
	v_min3_f32 v190, v22, v23, v190
	v_cvt_f32_f64_e32 v22, v[43:44]
	s_delay_alu instid0(VALU_DEP_3)
	v_min3_f32 v131, v4, v5, v131
	v_cvt_f32_f64_e32 v4, v[118:119]
	v_cvt_f32_f64_e32 v5, v[116:117]
	s_waitcnt vmcnt(5)
	v_cvt_f32_f64_e32 v41, v[41:42]
	v_min3_f32 v105, v22, v18, v105
	v_cvt_f32_f64_e32 v18, v[249:250]
	s_delay_alu instid0(VALU_DEP_4) | instskip(SKIP_2) | instid1(VALU_DEP_4)
	v_min3_f32 v195, v4, v5, v195
	v_cvt_f32_f64_e32 v4, v[235:236]
	v_cvt_f32_f64_e32 v5, v[20:21]
	v_min3_f32 v58, v18, v19, v58
	v_cvt_f32_f64_e32 v18, v[253:254]
	v_cvt_f32_f64_e32 v19, v[251:252]
	s_waitcnt vmcnt(1)
	v_min3_f32 v2, v0, v1, v2
	v_cvt_f32_f64_e32 v0, v[171:172]
	v_cvt_f32_f64_e32 v1, v[173:174]
	scratch_store_b32 off, v2, off offset:4 ; 4-byte Folded Spill
	scratch_load_b32 v2, off, off           ; 4-byte Folded Reload
	v_min3_f32 v57, v18, v19, v57
	v_min3_f32 v244, v0, v1, v244
	v_cvt_f32_f64_e32 v0, v[175:176]
	v_cvt_f32_f64_e32 v1, v[177:178]
	s_delay_alu instid0(VALU_DEP_1) | instskip(SKIP_2) | instid1(VALU_DEP_1)
	v_min3_f32 v122, v0, v1, v122
	v_cvt_f32_f64_e32 v0, v[179:180]
	v_cvt_f32_f64_e32 v1, v[181:182]
	v_min3_f32 v120, v0, v1, v120
	v_cvt_f32_f64_e32 v0, v[183:184]
	v_cvt_f32_f64_e32 v1, v[185:186]
	s_waitcnt vmcnt(1)
	v_min3_f32 v6, v4, v5, v6
	v_cvt_f32_f64_e32 v4, v[239:240]
	v_cvt_f32_f64_e32 v5, v[76:77]
	s_delay_alu instid0(VALU_DEP_1)
	v_min3_f32 v130, v4, v5, v130
	v_cvt_f32_f64_e32 v4, v[128:129]
	v_cvt_f32_f64_e32 v5, v[136:137]
	s_waitcnt vmcnt(0)
	v_min3_f32 v2, v0, v1, v2
	scratch_store_b32 off, v6, off offset:8 ; 4-byte Folded Spill
	scratch_load_b32 v6, off, off offset:12 ; 4-byte Folded Reload
	v_cvt_f32_f64_e32 v62, v[62:63]
	scratch_store_b32 off, v2, off          ; 4-byte Folded Spill
	v_min3_f32 v142, v41, v62, v142
	s_clause 0x1
	scratch_load_b64 v[41:42], off, off offset:120
	scratch_load_b64 v[62:63], off, off offset:64
	s_waitcnt vmcnt(2)
	v_min3_f32 v6, v4, v5, v6
	v_cvt_f32_f64_e32 v4, v[159:160]
	v_cvt_f32_f64_e32 v5, v[161:162]
	scratch_store_b32 off, v6, off offset:12 ; 4-byte Folded Spill
	s_waitcnt vmcnt(1)
	v_cvt_f32_f64_e32 v41, v[41:42]
	s_waitcnt vmcnt(0)
	v_cvt_f32_f64_e32 v62, v[62:63]
	v_min3_f32 v127, v4, v5, v127
	s_delay_alu instid0(VALU_DEP_2)
	v_min3_f32 v141, v41, v62, v141
	s_clause 0x1
	scratch_load_b64 v[41:42], off, off offset:96
	scratch_load_b64 v[62:63], off, off offset:40
	s_waitcnt vmcnt(1)
	v_cvt_f32_f64_e32 v41, v[41:42]
	s_waitcnt vmcnt(0)
	v_cvt_f32_f64_e32 v62, v[62:63]
	s_delay_alu instid0(VALU_DEP_1)
	v_min3_f32 v140, v41, v62, v140
	s_clause 0x1
	scratch_load_b64 v[41:42], off, off offset:128
	scratch_load_b64 v[62:63], off, off offset:72
	s_waitcnt vmcnt(1)
	v_cvt_f32_f64_e32 v41, v[41:42]
	s_waitcnt vmcnt(0)
	v_cvt_f32_f64_e32 v42, v[62:63]
	scratch_load_b64 v[62:63], off, off offset:48 ; 8-byte Folded Reload
	v_min3_f32 v139, v41, v42, v139
	scratch_load_b64 v[41:42], off, off offset:104 ; 8-byte Folded Reload
	s_waitcnt vmcnt(0)
	v_cvt_f32_f64_e32 v41, v[41:42]
	v_cvt_f32_f64_e32 v42, v[62:63]
	scratch_load_b64 v[62:63], off, off offset:80 ; 8-byte Folded Reload
	v_min3_f32 v138, v41, v42, v138
	scratch_load_b64 v[41:42], off, off offset:136 ; 8-byte Folded Reload
	s_waitcnt vmcnt(0)
	v_cvt_f32_f64_e32 v41, v[41:42]
	;; [unrolled: 6-line block ×5, first 2 shown]
	v_cvt_f32_f64_e32 v42, v[62:63]
	s_delay_alu instid0(VALU_DEP_1)
	v_min3_f32 v28, v41, v42, v28
	scratch_load_b64 v[41:42], off, off offset:176 ; 8-byte Folded Reload
	s_waitcnt vmcnt(0)
	v_cvt_f32_f64_e32 v38, v[41:42]
	scratch_load_b64 v[41:42], off, off offset:184 ; 8-byte Folded Reload
	v_min3_f32 v196, v37, v38, v196
	scratch_load_b64 v[37:38], off, off offset:192 ; 8-byte Folded Reload
	s_waitcnt vmcnt(0)
	v_cvt_f32_f64_e32 v37, v[37:38]
	v_cvt_f32_f64_e32 v38, v[41:42]
	s_delay_alu instid0(VALU_DEP_1) | instskip(SKIP_3) | instid1(VALU_DEP_1)
	v_min3_f32 v243, v37, v38, v243
	scratch_load_b64 v[36:37], off, off offset:200 ; 8-byte Folded Reload
	s_waitcnt vmcnt(0)
	v_cvt_f32_f64_e32 v36, v[36:37]
	v_min3_f32 v255, v35, v36, v255
	v_cvt_f32_f64_e32 v35, v[33:34]
	scratch_load_b64 v[33:34], off, off offset:208 ; 8-byte Folded Reload
	s_waitcnt vmcnt(0)
	v_cvt_f32_f64_e32 v33, v[33:34]
	s_delay_alu instid0(VALU_DEP_1)
	v_min3_f32 v123, v35, v33, v123
	scratch_load_b64 v[33:34], off, off offset:224 ; 8-byte Folded Reload
	s_waitcnt vmcnt(0)
	v_cvt_f32_f64_e32 v33, v[33:34]
	scratch_load_b64 v[34:35], off, off offset:216 ; 8-byte Folded Reload
	s_waitcnt vmcnt(0)
	v_cvt_f32_f64_e32 v34, v[34:35]
	s_delay_alu instid0(VALU_DEP_1)
	v_min3_f32 v121, v33, v34, v121
	scratch_load_b64 v[33:34], off, off offset:240 ; 8-byte Folded Reload
	s_waitcnt vmcnt(0)
	v_cvt_f32_f64_e32 v33, v[33:34]
	scratch_load_b64 v[34:35], off, off offset:232 ; 8-byte Folded Reload
	s_waitcnt vmcnt(0)
	v_cvt_f32_f64_e32 v34, v[34:35]
	s_delay_alu instid0(VALU_DEP_1) | instskip(SKIP_2) | instid1(VALU_DEP_1)
	v_min3_f32 v132, v33, v34, v132
	v_cvt_f32_f64_e32 v33, v[80:81]
	v_cvt_f32_f64_e32 v34, v[78:79]
	v_min3_f32 v104, v33, v34, v104
	v_cvt_f32_f64_e32 v33, v[84:85]
	v_cvt_f32_f64_e32 v34, v[82:83]
	s_delay_alu instid0(VALU_DEP_1) | instskip(SKIP_2) | instid1(VALU_DEP_1)
	v_min3_f32 v95, v33, v34, v95
	v_cvt_f32_f64_e32 v33, v[88:89]
	v_cvt_f32_f64_e32 v34, v[86:87]
	v_min3_f32 v94, v33, v34, v94
	v_cvt_f32_f64_e32 v34, v[31:32]
	scratch_load_b64 v[31:32], off, off offset:280 ; 8-byte Folded Reload
	v_cvt_f32_f64_e32 v33, v[92:93]
	s_delay_alu instid0(VALU_DEP_1)
	v_min3_f32 v99, v33, v34, v99
	v_cvt_f32_f64_e32 v33, v[96:97]
	s_waitcnt vmcnt(0)
	v_cvt_f32_f64_e32 v34, v[31:32]
	scratch_load_b64 v[31:32], off, off offset:264 ; 8-byte Folded Reload
	v_min3_f32 v10, v33, v34, v10
	v_cvt_f32_f64_e32 v33, v[100:101]
	scratch_store_b32 off, v10, off offset:16 ; 4-byte Folded Spill
	v_cvt_f32_f64_e32 v10, v[8:9]
	v_cvt_f32_f64_e32 v8, v[39:40]
	;; [unrolled: 1-line block ×3, first 2 shown]
	s_delay_alu instid0(VALU_DEP_2) | instskip(SKIP_1) | instid1(VALU_DEP_1)
	v_min3_f32 v56, v10, v8, v56
	v_cvt_f32_f64_e32 v8, v[29:30]
	v_min3_f32 v55, v8, v9, v55
	s_waitcnt vmcnt(0)
	v_cvt_f32_f64_e32 v34, v[31:32]
	scratch_load_b64 v[31:32], off, off offset:288 ; 8-byte Folded Reload
	v_min3_f32 v98, v33, v34, v98
	s_waitcnt vmcnt(0)
	v_cvt_f32_f64_e32 v33, v[31:32]
	scratch_load_b64 v[31:32], off, off offset:256 ; 8-byte Folded Reload
	s_waitcnt vmcnt(0)
	v_cvt_f32_f64_e32 v34, v[31:32]
	scratch_load_b64 v[31:32], off, off offset:272 ; 8-byte Folded Reload
	v_min3_f32 v103, v33, v34, v103
	s_waitcnt vmcnt(0)
	v_cvt_f32_f64_e32 v31, v[31:32]
	scratch_load_b64 v[32:33], off, off offset:248 ; 8-byte Folded Reload
	s_waitcnt vmcnt(0)
	v_cvt_f32_f64_e32 v32, v[32:33]
	s_delay_alu instid0(VALU_DEP_1) | instskip(SKIP_2) | instid1(VALU_DEP_1)
	v_min3_f32 v90, v31, v32, v90
	v_cvt_f32_f64_e32 v31, v[146:147]
	v_cvt_f32_f64_e32 v32, v[144:145]
	v_min3_f32 v102, v31, v32, v102
	v_cvt_f32_f64_e32 v31, v[150:151]
	v_cvt_f32_f64_e32 v32, v[148:149]
	s_delay_alu instid0(VALU_DEP_1)
	v_min3_f32 v107, v31, v32, v107
	s_cbranch_vccz .LBB107_48
; %bb.49:                               ;   in Loop: Header=BB107_27 Depth=1
	s_clause 0x2
	scratch_load_b32 v0, off, off offset:376
	scratch_load_b64 v[1:2], off, off offset:316
	scratch_load_b64 v[3:4], off, off offset:324
	v_dual_mov_b32 v45, v104 :: v_dual_mov_b32 v50, v99
	v_dual_mov_b32 v52, v98 :: v_dual_mov_b32 v245, v61
	;; [unrolled: 1-line block ×3, first 2 shown]
	v_mov_b32_e32 v213, v152
	s_add_i32 s20, s20, 8
	s_add_i32 s18, s18, 8
	s_cmp_ge_i32 s20, s19
	s_waitcnt vmcnt(0)
	ds_store_2addr_stride64_b64 v0, v[1:2], v[3:4] offset1:4
	s_clause 0x1
	scratch_load_b64 v[1:2], off, off offset:332
	scratch_load_b64 v[3:4], off, off offset:340
	s_waitcnt vmcnt(0)
	ds_store_2addr_stride64_b64 v0, v[1:2], v[3:4] offset0:8 offset1:12
	s_clause 0x1
	scratch_load_b32 v0, off, off offset:380
	scratch_load_b64 v[1:2], off, off offset:348
	s_waitcnt vmcnt(0)
	ds_store_b64 v0, v[1:2]
	s_waitcnt lgkmcnt(0)
	s_waitcnt_vscnt null, 0x0
	s_barrier
	buffer_gl0_inv
	s_cbranch_scc1 .LBB107_52
; %bb.50:                               ;   in Loop: Header=BB107_27 Depth=1
	v_dual_mov_b32 v41, v55 :: v_dual_mov_b32 v236, v57
	v_mov_b32_e32 v240, v58
	v_mov_b32_e32 v246, v70
	v_dual_mov_b32 v70, v72 :: v_dual_mov_b32 v239, v102
	v_mov_b32_e32 v128, v105
	s_branch .LBB107_27
.LBB107_51:
	v_mov_b32_e32 v238, v214
	s_branch .LBB107_53
.LBB107_52:
	v_dual_mov_b32 v238, v55 :: v_dual_mov_b32 v239, v102
	v_mov_b32_e32 v236, v57
	v_mov_b32_e32 v240, v58
	;; [unrolled: 1-line block ×4, first 2 shown]
.LBB107_53:
	s_delay_alu instid0(VALU_DEP_4) | instskip(NEXT) | instid1(VALU_DEP_3)
	v_dual_mov_b32 v110, v95 :: v_dual_mov_b32 v65, v236
	v_dual_mov_b32 v56, v246 :: v_dual_mov_b32 v77, v224
	;; [unrolled: 1-line block ×9, first 2 shown]
	v_mov_b32_e32 v114, v52
	v_mov_b32_e32 v104, v50
	;; [unrolled: 1-line block ×3, first 2 shown]
	s_mov_b32 s8, 0
	s_mov_b32 s3, -1
.LBB107_54:                             ; =>This Inner Loop Header: Depth=1
	scratch_load_b32 v0, off, off offset:296 ; 4-byte Folded Reload
	s_lshl_b32 s8, s8, 3
	v_dual_mov_b32 v109, v107 :: v_dual_mov_b32 v242, v124
	v_lshl_add_u32 v4, v212, 5, s8
	v_mov_b32_e32 v63, v128
	v_dual_mov_b32 v191, v235 :: v_dual_mov_b32 v202, v204
	v_mov_b32_e32 v235, v125
	v_mov_b32_e32 v197, v131
	;; [unrolled: 1-line block ×3, first 2 shown]
	s_and_not1_b32 vcc_lo, exec_lo, s3
	s_mov_b32 s3, 0
	v_dual_mov_b32 v234, v200 :: v_dual_mov_b32 v247, v195
	s_waitcnt vmcnt(0)
	v_lshl_add_u32 v5, v0, 5, s8
	ds_load_b128 v[32:35], v4 offset:18432
	ds_load_b128 v[0:3], v5 offset:8192
	ds_load_b128 v[78:81], v5 offset:9216
	ds_load_b128 v[68:71], v4 offset:18688
	s_mov_b32 s8, 2
	s_waitcnt lgkmcnt(2)
	v_add_f64 v[82:83], v[0:1], v[32:33]
	s_waitcnt lgkmcnt(1)
	v_add_f64 v[6:7], v[80:81], v[34:35]
	v_add_f64 v[66:67], v[2:3], v[34:35]
	scratch_store_b64 off, v[6:7], off offset:32 ; 8-byte Folded Spill
	v_add_f64 v[6:7], v[78:79], v[32:33]
	v_cvt_f32_f64_e32 v66, v[66:67]
	scratch_store_b64 off, v[6:7], off offset:88 ; 8-byte Folded Spill
	ds_load_b128 v[72:75], v5 offset:10240
	ds_load_b128 v[144:147], v5 offset:11264
	s_waitcnt lgkmcnt(1)
	v_add_f64 v[6:7], v[74:75], v[34:35]
	scratch_store_b64 off, v[6:7], off offset:64 ; 8-byte Folded Spill
	v_add_f64 v[6:7], v[72:73], v[32:33]
	scratch_store_b64 off, v[6:7], off offset:120 ; 8-byte Folded Spill
	s_waitcnt lgkmcnt(0)
	v_add_f64 v[6:7], v[146:147], v[34:35]
	scratch_store_b64 off, v[6:7], off offset:40 ; 8-byte Folded Spill
	v_add_f64 v[6:7], v[144:145], v[32:33]
	scratch_store_b64 off, v[6:7], off offset:96 ; 8-byte Folded Spill
	ds_load_b128 v[148:151], v5 offset:12288
	ds_load_b128 v[152:155], v5 offset:13312
	s_waitcnt lgkmcnt(1)
	v_add_f64 v[6:7], v[150:151], v[34:35]
	scratch_store_b64 off, v[6:7], off offset:72 ; 8-byte Folded Spill
	v_add_f64 v[6:7], v[148:149], v[32:33]
	scratch_store_b64 off, v[6:7], off offset:128 ; 8-byte Folded Spill
	s_waitcnt lgkmcnt(0)
	v_add_f64 v[6:7], v[154:155], v[34:35]
	scratch_store_b64 off, v[6:7], off offset:48 ; 8-byte Folded Spill
	v_add_f64 v[6:7], v[152:153], v[32:33]
	;; [unrolled: 12-line block ×3, first 2 shown]
	v_add_f64 v[31:32], v[156:157], v[68:69]
	v_cvt_f32_f64_e32 v33, v[82:83]
	scratch_store_b64 off, v[5:6], off offset:112 ; 8-byte Folded Spill
	v_add_f64 v[5:6], v[2:3], v[70:71]
	v_min3_f32 v143, v33, v66, v143
	scratch_store_b64 off, v[5:6], off offset:144 ; 8-byte Folded Spill
	v_add_f64 v[5:6], v[0:1], v[68:69]
	scratch_store_b64 off, v[5:6], off offset:152 ; 8-byte Folded Spill
	v_add_f64 v[5:6], v[80:81], v[70:71]
	;; [unrolled: 2-line block ×14, first 2 shown]
	scratch_store_b64 off, v[5:6], off offset:256 ; 8-byte Folded Spill
	ds_load_b128 v[68:71], v4 offset:18944
	ds_load_b128 v[164:167], v4 offset:19200
	scratch_load_b32 v115, off, off offset:16 ; 4-byte Folded Reload
	s_waitcnt lgkmcnt(1)
	v_add_f64 v[5:6], v[150:151], v[70:71]
	v_add_f64 v[84:85], v[2:3], v[70:71]
	;; [unrolled: 1-line block ×11, first 2 shown]
	s_waitcnt lgkmcnt(0)
	v_add_f64 v[116:117], v[2:3], v[166:167]
	v_add_f64 v[118:119], v[0:1], v[164:165]
	;; [unrolled: 1-line block ×16, first 2 shown]
	scratch_store_b64 off, v[5:6], off offset:300 ; 8-byte Folded Spill
	v_add_f64 v[5:6], v[154:155], v[70:71]
	scratch_store_b64 off, v[5:6], off offset:280 ; 8-byte Folded Spill
	v_add_f64 v[5:6], v[158:159], v[70:71]
	;; [unrolled: 2-line block ×5, first 2 shown]
	scratch_store_b64 off, v[5:6], off offset:288 ; 8-byte Folded Spill
	ds_load_b128 v[68:71], v4 offset:19456
	ds_load_b128 v[164:167], v4 offset:19712
	v_mov_b32_e32 v5, v213
	s_waitcnt lgkmcnt(1)
	v_add_f64 v[184:185], v[2:3], v[70:71]
	v_add_f64 v[186:187], v[0:1], v[68:69]
	;; [unrolled: 1-line block ×16, first 2 shown]
	s_waitcnt lgkmcnt(0)
	v_add_f64 v[216:217], v[2:3], v[166:167]
	v_add_f64 v[218:219], v[0:1], v[164:165]
	v_add_f64 v[220:221], v[80:81], v[166:167]
	v_add_f64 v[222:223], v[78:79], v[164:165]
	v_add_f64 v[48:49], v[74:75], v[166:167]
	v_add_f64 v[226:227], v[72:73], v[164:165]
	v_add_f64 v[228:229], v[146:147], v[166:167]
	v_add_f64 v[230:231], v[144:145], v[164:165]
	v_add_f64 v[232:233], v[150:151], v[166:167]
	v_add_f64 v[42:43], v[148:149], v[164:165]
	v_add_f64 v[236:237], v[154:155], v[166:167]
	v_add_f64 v[40:41], v[152:153], v[164:165]
	v_add_f64 v[240:241], v[158:159], v[166:167]
	v_add_f64 v[20:21], v[156:157], v[164:165]
	v_add_f64 v[38:39], v[162:163], v[166:167]
	v_add_f64 v[248:249], v[160:161], v[164:165]
	ds_load_b128 v[68:71], v4 offset:19968
	ds_load_b128 v[164:167], v4 offset:20224
	s_clause 0x1
	scratch_load_b64 v[33:34], off, off offset:88
	scratch_load_b64 v[66:67], off, off offset:32
	s_waitcnt lgkmcnt(1)
	v_add_f64 v[250:251], v[2:3], v[70:71]
	v_add_f64 v[252:253], v[0:1], v[68:69]
	s_waitcnt lgkmcnt(0)
	v_add_f64 v[2:3], v[2:3], v[166:167]
	v_add_f64 v[0:1], v[0:1], v[164:165]
	;; [unrolled: 1-line block ×30, first 2 shown]
	v_cvt_f32_f64_e32 v0, v[0:1]
	v_cvt_f32_f64_e32 v1, v[2:3]
	v_cvt_f32_f64_e32 v4, v[6:7]
	s_delay_alu instid0(VALU_DEP_2)
	v_min3_f32 v126, v0, v1, v126
	v_cvt_f32_f64_e32 v0, v[78:79]
	v_cvt_f32_f64_e32 v1, v[80:81]
	s_waitcnt vmcnt(1)
	v_cvt_f32_f64_e32 v33, v[33:34]
	s_waitcnt vmcnt(0)
	v_cvt_f32_f64_e32 v66, v[66:67]
	s_delay_alu instid0(VALU_DEP_1)
	v_min3_f32 v142, v33, v66, v142
	s_clause 0x1
	scratch_load_b64 v[33:34], off, off offset:120
	scratch_load_b64 v[66:67], off, off offset:64
	s_waitcnt vmcnt(1)
	v_cvt_f32_f64_e32 v33, v[33:34]
	s_waitcnt vmcnt(0)
	v_cvt_f32_f64_e32 v66, v[66:67]
	s_delay_alu instid0(VALU_DEP_1)
	v_min3_f32 v141, v33, v66, v141
	s_clause 0x1
	scratch_load_b64 v[33:34], off, off offset:96
	scratch_load_b64 v[66:67], off, off offset:40
	s_waitcnt vmcnt(1)
	v_cvt_f32_f64_e32 v33, v[33:34]
	s_waitcnt vmcnt(0)
	v_cvt_f32_f64_e32 v66, v[66:67]
	s_delay_alu instid0(VALU_DEP_1)
	v_min3_f32 v140, v33, v66, v140
	s_clause 0x1
	scratch_load_b64 v[33:34], off, off offset:128
	scratch_load_b64 v[66:67], off, off offset:72
	s_waitcnt vmcnt(1)
	v_cvt_f32_f64_e32 v33, v[33:34]
	s_waitcnt vmcnt(0)
	v_cvt_f32_f64_e32 v66, v[66:67]
	s_delay_alu instid0(VALU_DEP_1)
	v_min3_f32 v139, v33, v66, v139
	s_clause 0x1
	scratch_load_b64 v[33:34], off, off offset:104
	scratch_load_b64 v[66:67], off, off offset:48
	s_waitcnt vmcnt(1)
	v_cvt_f32_f64_e32 v33, v[33:34]
	s_waitcnt vmcnt(0)
	v_cvt_f32_f64_e32 v66, v[66:67]
	s_delay_alu instid0(VALU_DEP_1)
	v_min3_f32 v138, v33, v66, v138
	s_clause 0x1
	scratch_load_b64 v[33:34], off, off offset:136
	scratch_load_b64 v[66:67], off, off offset:80
	s_waitcnt vmcnt(1)
	v_cvt_f32_f64_e32 v33, v[33:34]
	s_waitcnt vmcnt(0)
	v_cvt_f32_f64_e32 v64, v[66:67]
	scratch_load_b64 v[66:67], off, off offset:56 ; 8-byte Folded Reload
	v_min3_f32 v135, v33, v64, v135
	scratch_load_b64 v[33:34], off, off offset:112 ; 8-byte Folded Reload
	s_waitcnt vmcnt(1)
	v_cvt_f32_f64_e32 v64, v[66:67]
	scratch_load_b64 v[66:67], off, off offset:144 ; 8-byte Folded Reload
	s_waitcnt vmcnt(1)
	v_cvt_f32_f64_e32 v33, v[33:34]
	s_delay_alu instid0(VALU_DEP_1)
	v_min3_f32 v134, v33, v64, v134
	scratch_load_b64 v[33:34], off, off offset:152 ; 8-byte Folded Reload
	s_waitcnt vmcnt(0)
	v_cvt_f32_f64_e32 v33, v[33:34]
	v_cvt_f32_f64_e32 v34, v[66:67]
	scratch_load_b64 v[66:67], off, off offset:160 ; 8-byte Folded Reload
	v_min3_f32 v133, v33, v34, v133
	scratch_load_b64 v[33:34], off, off offset:168 ; 8-byte Folded Reload
	s_waitcnt vmcnt(0)
	v_cvt_f32_f64_e32 v33, v[33:34]
	v_cvt_f32_f64_e32 v34, v[66:67]
	scratch_load_b64 v[66:67], off, off offset:176 ; 8-byte Folded Reload
	;; [unrolled: 6-line block ×5, first 2 shown]
	v_min3_f32 v255, v33, v34, v255
	scratch_load_b64 v[33:34], off, off offset:232 ; 8-byte Folded Reload
	s_waitcnt vmcnt(0)
	v_cvt_f32_f64_e32 v33, v[33:34]
	v_cvt_f32_f64_e32 v34, v[66:67]
	s_delay_alu instid0(VALU_DEP_1)
	v_min3_f32 v123, v33, v34, v123
	v_cvt_f32_f64_e32 v33, v[31:32]
	s_clause 0x1
	scratch_load_b64 v[31:32], off, off offset:240
	scratch_load_b32 v34, off, off offset:12
	s_waitcnt vmcnt(1)
	v_cvt_f32_f64_e32 v31, v[31:32]
	s_delay_alu instid0(VALU_DEP_1)
	v_min3_f32 v121, v33, v31, v121
	scratch_load_b64 v[31:32], off, off offset:256 ; 8-byte Folded Reload
	s_waitcnt vmcnt(0)
	v_cvt_f32_f64_e32 v31, v[31:32]
	scratch_load_b64 v[32:33], off, off offset:248 ; 8-byte Folded Reload
	s_waitcnt vmcnt(0)
	v_cvt_f32_f64_e32 v32, v[32:33]
	s_delay_alu instid0(VALU_DEP_1) | instskip(SKIP_2) | instid1(VALU_DEP_1)
	v_min3_f32 v132, v31, v32, v132
	v_cvt_f32_f64_e32 v31, v[86:87]
	v_cvt_f32_f64_e32 v32, v[84:85]
	v_min3_f32 v111, v31, v32, v111
	v_cvt_f32_f64_e32 v31, v[90:91]
	v_cvt_f32_f64_e32 v32, v[88:89]
	s_delay_alu instid0(VALU_DEP_1) | instskip(SKIP_2) | instid1(VALU_DEP_1)
	v_min3_f32 v110, v31, v32, v110
	v_cvt_f32_f64_e32 v31, v[94:95]
	v_cvt_f32_f64_e32 v32, v[92:93]
	v_min3_f32 v105, v31, v32, v105
	v_cvt_f32_f64_e32 v31, v[98:99]
	v_cvt_f32_f64_e32 v32, v[100:101]
	s_delay_alu instid0(VALU_DEP_1) | instskip(SKIP_4) | instid1(VALU_DEP_1)
	v_min3_f32 v104, v31, v32, v104
	scratch_load_b64 v[32:33], off, off offset:300 ; 8-byte Folded Reload
	v_cvt_f32_f64_e32 v31, v[96:97]
	s_waitcnt vmcnt(0)
	v_cvt_f32_f64_e32 v32, v[32:33]
	v_min3_f32 v115, v31, v32, v115
	scratch_load_b64 v[32:33], off, off offset:280 ; 8-byte Folded Reload
	v_cvt_f32_f64_e32 v31, v[106:107]
	v_mov_b32_e32 v107, v109
	s_waitcnt vmcnt(0)
	v_cvt_f32_f64_e32 v32, v[32:33]
	s_delay_alu instid0(VALU_DEP_1)
	v_min3_f32 v114, v31, v32, v114
	scratch_load_b64 v[31:32], off, off offset:308 ; 8-byte Folded Reload
	s_waitcnt vmcnt(0)
	v_cvt_f32_f64_e32 v31, v[31:32]
	scratch_load_b64 v[32:33], off, off offset:272 ; 8-byte Folded Reload
	s_waitcnt vmcnt(0)
	v_cvt_f32_f64_e32 v32, v[32:33]
	s_delay_alu instid0(VALU_DEP_1)
	v_min3_f32 v102, v31, v32, v102
	scratch_load_b64 v[31:32], off, off offset:288 ; 8-byte Folded Reload
	s_waitcnt vmcnt(0)
	v_cvt_f32_f64_e32 v31, v[31:32]
	scratch_load_b64 v[32:33], off, off offset:264 ; 8-byte Folded Reload
	s_waitcnt vmcnt(0)
	v_cvt_f32_f64_e32 v32, v[32:33]
	scratch_load_b32 v33, off, off offset:8 ; 4-byte Folded Reload
	v_min3_f32 v103, v31, v32, v103
	v_cvt_f32_f64_e32 v31, v[118:119]
	v_cvt_f32_f64_e32 v32, v[116:117]
	s_delay_alu instid0(VALU_DEP_1) | instskip(SKIP_2) | instid1(VALU_DEP_1)
	v_min3_f32 v239, v31, v32, v239
	v_cvt_f32_f64_e32 v31, v[52:53]
	v_cvt_f32_f64_e32 v32, v[54:55]
	v_min3_f32 v107, v31, v32, v107
	v_cvt_f32_f64_e32 v31, v[50:51]
	v_cvt_f32_f64_e32 v32, v[124:125]
	v_mov_b32_e32 v124, v242
	s_delay_alu instid0(VALU_DEP_2)
	v_min3_f32 v108, v31, v32, v108
	v_cvt_f32_f64_e32 v31, v[136:137]
	v_cvt_f32_f64_e32 v32, v[128:129]
	v_mov_b32_e32 v128, v63
	v_mov_b32_e32 v125, v235
	;; [unrolled: 1-line block ×3, first 2 shown]
	s_delay_alu instid0(VALU_DEP_2)
	v_min3_f32 v125, v0, v1, v125
	v_cvt_f32_f64_e32 v0, v[72:73]
	v_cvt_f32_f64_e32 v1, v[74:75]
	v_min3_f32 v113, v31, v32, v113
	v_cvt_f32_f64_e32 v31, v[170:171]
	v_cvt_f32_f64_e32 v32, v[168:169]
	s_delay_alu instid0(VALU_DEP_4) | instskip(SKIP_2) | instid1(VALU_DEP_4)
	v_min3_f32 v124, v0, v1, v124
	v_cvt_f32_f64_e32 v0, v[144:145]
	v_cvt_f32_f64_e32 v1, v[146:147]
	v_min3_f32 v112, v31, v32, v112
	v_cvt_f32_f64_e32 v31, v[174:175]
	v_cvt_f32_f64_e32 v32, v[172:173]
	s_delay_alu instid0(VALU_DEP_1) | instskip(SKIP_2) | instid1(VALU_DEP_1)
	v_min3_f32 v61, v31, v32, v61
	v_cvt_f32_f64_e32 v31, v[178:179]
	v_cvt_f32_f64_e32 v32, v[176:177]
	v_min3_f32 v60, v31, v32, v60
	v_cvt_f32_f64_e32 v31, v[182:183]
	v_cvt_f32_f64_e32 v32, v[180:181]
	s_delay_alu instid0(VALU_DEP_1) | instskip(SKIP_2) | instid1(VALU_DEP_1)
	;; [unrolled: 7-line block ×3, first 2 shown]
	v_min3_f32 v57, v31, v32, v57
	v_cvt_f32_f64_e32 v31, v[194:195]
	v_cvt_f32_f64_e32 v32, v[192:193]
	v_min3_f32 v56, v31, v32, v56
	v_cvt_f32_f64_e32 v31, v[198:199]
	v_cvt_f32_f64_e32 v32, v[224:225]
	v_mov_b32_e32 v199, v131
	s_delay_alu instid0(VALU_DEP_2) | instskip(SKIP_3) | instid1(VALU_DEP_2)
	v_min3_f32 v245, v31, v32, v245
	v_cvt_f32_f64_e32 v31, v[46:47]
	v_cvt_f32_f64_e32 v32, v[200:201]
	v_dual_mov_b32 v200, v234 :: v_dual_mov_b32 v195, v247
	v_min3_f32 v77, v31, v32, v77
	v_cvt_f32_f64_e32 v31, v[206:207]
	v_cvt_f32_f64_e32 v32, v[204:205]
	v_dual_mov_b32 v204, v202 :: v_dual_mov_b32 v131, v197
	s_delay_alu instid0(VALU_DEP_2) | instskip(SKIP_2) | instid1(VALU_DEP_1)
	v_min3_f32 v76, v31, v32, v76
	v_cvt_f32_f64_e32 v31, v[210:211]
	v_cvt_f32_f64_e32 v32, v[208:209]
	v_min3_f32 v190, v31, v32, v190
	v_cvt_f32_f64_e32 v31, v[214:215]
	v_cvt_f32_f64_e32 v32, v[212:213]
	v_mov_b32_e32 v213, v5
	scratch_load_b32 v212, off, off offset:24 ; 4-byte Folded Reload
	v_cvt_f32_f64_e32 v5, v[12:13]
	v_min3_f32 v128, v31, v32, v128
	v_cvt_f32_f64_e32 v31, v[218:219]
	v_cvt_f32_f64_e32 v32, v[216:217]
	s_delay_alu instid0(VALU_DEP_4) | instskip(SKIP_2) | instid1(VALU_DEP_4)
	v_min3_f32 v199, v4, v5, v199
	v_cvt_f32_f64_e32 v4, v[8:9]
	v_cvt_f32_f64_e32 v5, v[16:17]
	v_min3_f32 v62, v31, v32, v62
	v_cvt_f32_f64_e32 v31, v[222:223]
	v_cvt_f32_f64_e32 v32, v[220:221]
	s_delay_alu instid0(VALU_DEP_4) | instskip(SKIP_2) | instid1(VALU_DEP_4)
	v_min3_f32 v131, v4, v5, v131
	v_cvt_f32_f64_e32 v4, v[10:11]
	;; [unrolled: 7-line block ×3, first 2 shown]
	v_cvt_f32_f64_e32 v5, v[26:27]
	v_min3_f32 v246, v31, v32, v246
	v_cvt_f32_f64_e32 v31, v[230:231]
	v_cvt_f32_f64_e32 v32, v[228:229]
	s_waitcnt vmcnt(1)
	s_delay_alu instid0(VALU_DEP_4) | instskip(SKIP_2) | instid1(VALU_DEP_4)
	v_min3_f32 v33, v4, v5, v33
	v_cvt_f32_f64_e32 v4, v[18:19]
	v_cvt_f32_f64_e32 v5, v[29:30]
	v_min3_f32 v238, v31, v32, v238
	v_cvt_f32_f64_e32 v31, v[42:43]
	v_cvt_f32_f64_e32 v32, v[232:233]
	s_delay_alu instid0(VALU_DEP_4) | instskip(SKIP_2) | instid1(VALU_DEP_4)
	v_min3_f32 v130, v4, v5, v130
	v_cvt_f32_f64_e32 v4, v[24:25]
	v_cvt_f32_f64_e32 v5, v[35:36]
	v_min3_f32 v235, v31, v32, v235
	v_cvt_f32_f64_e32 v31, v[40:41]
	v_cvt_f32_f64_e32 v32, v[236:237]
	s_delay_alu instid0(VALU_DEP_4)
	v_min3_f32 v34, v4, v5, v34
	v_cvt_f32_f64_e32 v4, v[68:69]
	v_cvt_f32_f64_e32 v5, v[70:71]
	scratch_store_b32 off, v34, off offset:12 ; 4-byte Folded Spill
	v_min3_f32 v213, v31, v32, v213
	v_cvt_f32_f64_e32 v31, v[20:21]
	s_clause 0x1
	scratch_load_b32 v20, off, off
	scratch_load_b32 v21, off, off offset:4
	v_cvt_f32_f64_e32 v32, v[240:241]
	v_min3_f32 v127, v4, v5, v127
	s_delay_alu instid0(VALU_DEP_2) | instskip(SKIP_2) | instid1(VALU_DEP_1)
	v_min3_f32 v204, v31, v32, v204
	v_cvt_f32_f64_e32 v31, v[248:249]
	v_cvt_f32_f64_e32 v32, v[38:39]
	v_min3_f32 v203, v31, v32, v203
	v_cvt_f32_f64_e32 v31, v[252:253]
	v_cvt_f32_f64_e32 v32, v[250:251]
	s_delay_alu instid0(VALU_DEP_1) | instskip(SKIP_4) | instid1(VALU_DEP_1)
	v_min3_f32 v200, v31, v32, v200
	s_waitcnt vmcnt(0)
	v_min3_f32 v21, v0, v1, v21
	v_cvt_f32_f64_e32 v0, v[148:149]
	v_cvt_f32_f64_e32 v1, v[150:151]
	v_min3_f32 v244, v0, v1, v244
	v_cvt_f32_f64_e32 v0, v[152:153]
	v_cvt_f32_f64_e32 v1, v[154:155]
	s_delay_alu instid0(VALU_DEP_1) | instskip(SKIP_2) | instid1(VALU_DEP_1)
	v_min3_f32 v122, v0, v1, v122
	v_cvt_f32_f64_e32 v0, v[156:157]
	v_cvt_f32_f64_e32 v1, v[158:159]
	v_min3_f32 v120, v0, v1, v120
	v_cvt_f32_f64_e32 v0, v[160:161]
	v_cvt_f32_f64_e32 v1, v[162:163]
	s_delay_alu instid0(VALU_DEP_1)
	v_min3_f32 v20, v0, v1, v20
	s_clause 0x3
	scratch_store_b32 off, v33, off offset:8
	scratch_store_b32 off, v115, off offset:16
	;; [unrolled: 1-line block ×3, first 2 shown]
	scratch_store_b32 off, v20, off
	s_cbranch_vccz .LBB107_54
; %bb.55:
	s_clause 0x2
	s_load_b32 s8, s[0:1], 0x70
	s_load_b32 s3, s[0:1], 0x58
	s_load_b64 s[0:1], s[0:1], 0x78
	scratch_load_b32 v0, off, off offset:296 ; 4-byte Folded Reload
	v_dual_mov_b32 v51, v105 :: v_dual_add_nc_u32 v18, s15, v212
	v_mov_b32_e32 v48, v102
	v_mov_b32_e32 v46, v113
	;; [unrolled: 1-line block ×6, first 2 shown]
	s_waitcnt lgkmcnt(0)
	v_mad_i64_i32 v[4:5], null, v18, s3, 0
	s_lshl_b64 s[0:1], s[0:1], 3
	s_delay_alu instid0(SALU_CYCLE_1) | instskip(SKIP_1) | instid1(VALU_DEP_1)
	s_add_u32 s9, s10, s0
	s_addc_u32 s10, s11, s1
	v_lshlrev_b64 v[4:5], 3, v[4:5]
	s_waitcnt vmcnt(0)
	v_add_nc_u32_e32 v12, s14, v0
	v_mad_i64_i32 v[0:1], null, v18, s8, 0
	s_delay_alu instid0(VALU_DEP_2) | instskip(SKIP_1) | instid1(VALU_DEP_3)
	v_ashrrev_i32_e32 v13, 31, v12
	v_add_nc_u32_e32 v2, 32, v12
	v_lshlrev_b64 v[6:7], 3, v[0:1]
	s_delay_alu instid0(VALU_DEP_3) | instskip(NEXT) | instid1(VALU_DEP_3)
	v_lshlrev_b64 v[0:1], 3, v[12:13]
	v_ashrrev_i32_e32 v3, 31, v2
	s_delay_alu instid0(VALU_DEP_3) | instskip(NEXT) | instid1(VALU_DEP_4)
	v_add_co_u32 v19, vcc_lo, s9, v6
	v_add_co_ci_u32_e32 v22, vcc_lo, s10, v7, vcc_lo
	v_add_co_u32 v16, vcc_lo, s4, v4
	v_add_co_ci_u32_e32 v17, vcc_lo, s5, v5, vcc_lo
	v_max_f32_e32 v4, v143, v143
	s_mov_b32 vcc_lo, s2
	s_cbranch_vccz .LBB107_58
; %bb.56:
	s_delay_alu instid0(VALU_DEP_1) | instskip(SKIP_2) | instid1(VALU_DEP_3)
	v_min_f32_e32 v5, 0, v4
	v_add_co_u32 v7, vcc_lo, v19, v0
	v_add_co_ci_u32_e32 v8, vcc_lo, v22, v1, vcc_lo
	v_cvt_f64_f32_e32 v[5:6], v5
	s_mov_b64 s[0:1], 0
	global_store_b64 v[7:8], v[5:6], off
	v_lshlrev_b64 v[2:3], 3, v[2:3]
	s_cbranch_execz .LBB107_59
; %bb.57:
	v_dual_mov_b32 v5, s1 :: v_dual_mov_b32 v4, s0
	s_branch .LBB107_60
.LBB107_58:
                                        ; implicit-def: $sgpr0_sgpr1
	v_lshlrev_b64 v[2:3], 3, v[2:3]
.LBB107_59:
	v_add_co_u32 v5, vcc_lo, v16, v0
	v_add_co_ci_u32_e32 v6, vcc_lo, v17, v1, vcc_lo
	flat_load_b64 v[5:6], v[5:6]
	s_waitcnt vmcnt(0) lgkmcnt(0)
	v_mul_f64 v[5:6], v[5:6], s[6:7]
	s_delay_alu instid0(VALU_DEP_1)
	v_cvt_f32_f64_e32 v5, v[5:6]
	v_add_co_u32 v6, vcc_lo, v19, v0
	v_add_co_ci_u32_e32 v7, vcc_lo, v22, v1, vcc_lo
	v_add_co_u32 v8, vcc_lo, v16, v2
	v_add_co_ci_u32_e32 v9, vcc_lo, v17, v3, vcc_lo
	v_min_f32_e32 v4, v5, v4
	s_delay_alu instid0(VALU_DEP_1)
	v_cvt_f64_f32_e32 v[4:5], v4
	global_store_b64 v[6:7], v[4:5], off
	flat_load_b64 v[4:5], v[8:9]
	s_waitcnt vmcnt(0) lgkmcnt(0)
	v_mul_f64 v[4:5], v[4:5], s[6:7]
.LBB107_60:
	s_delay_alu instid0(VALU_DEP_1) | instskip(SKIP_4) | instid1(VALU_DEP_4)
	v_cvt_f32_f64_e32 v4, v[4:5]
	v_dual_max_f32 v5, v142, v142 :: v_dual_add_nc_u32 v6, 0x60, v12
	v_add_co_u32 v13, vcc_lo, v19, v2
	v_add_co_ci_u32_e32 v14, vcc_lo, v22, v3, vcc_lo
	v_max_f32_e32 v8, v141, v141
	v_ashrrev_i32_e32 v7, 31, v6
	s_mov_b32 vcc_lo, s2
	v_min_f32_e32 v4, v4, v5
	s_delay_alu instid0(VALU_DEP_1) | instskip(SKIP_1) | instid1(VALU_DEP_1)
	v_cvt_f64_f32_e32 v[9:10], v4
	v_add_nc_u32_e32 v4, 64, v12
	v_ashrrev_i32_e32 v5, 31, v4
	s_delay_alu instid0(VALU_DEP_1)
	v_lshlrev_b64 v[4:5], 3, v[4:5]
	global_store_b64 v[13:14], v[9:10], off
	s_cbranch_vccz .LBB107_63
; %bb.61:
	v_min_f32_e32 v9, 0, v8
	v_add_co_u32 v13, vcc_lo, v19, v4
	v_add_co_ci_u32_e32 v14, vcc_lo, v22, v5, vcc_lo
	s_delay_alu instid0(VALU_DEP_3)
	v_cvt_f64_f32_e32 v[9:10], v9
	s_mov_b64 s[0:1], 0
	global_store_b64 v[13:14], v[9:10], off
	v_lshlrev_b64 v[6:7], 3, v[6:7]
	s_cbranch_execz .LBB107_64
; %bb.62:
	v_dual_mov_b32 v9, s1 :: v_dual_mov_b32 v8, s0
	s_branch .LBB107_65
.LBB107_63:
                                        ; implicit-def: $sgpr0_sgpr1
	v_lshlrev_b64 v[6:7], 3, v[6:7]
.LBB107_64:
	v_add_co_u32 v9, vcc_lo, v16, v4
	v_add_co_ci_u32_e32 v10, vcc_lo, v17, v5, vcc_lo
	flat_load_b64 v[9:10], v[9:10]
	s_waitcnt vmcnt(0) lgkmcnt(0)
	v_mul_f64 v[9:10], v[9:10], s[6:7]
	s_delay_alu instid0(VALU_DEP_1)
	v_cvt_f32_f64_e32 v9, v[9:10]
	v_add_co_u32 v10, vcc_lo, v19, v4
	v_add_co_ci_u32_e32 v11, vcc_lo, v22, v5, vcc_lo
	v_add_co_u32 v13, vcc_lo, v16, v6
	v_add_co_ci_u32_e32 v14, vcc_lo, v17, v7, vcc_lo
	v_min_f32_e32 v8, v9, v8
	s_delay_alu instid0(VALU_DEP_1)
	v_cvt_f64_f32_e32 v[8:9], v8
	global_store_b64 v[10:11], v[8:9], off
	flat_load_b64 v[8:9], v[13:14]
	s_waitcnt vmcnt(0) lgkmcnt(0)
	v_mul_f64 v[8:9], v[8:9], s[6:7]
.LBB107_65:
	s_delay_alu instid0(VALU_DEP_1) | instskip(SKIP_4) | instid1(VALU_DEP_3)
	v_cvt_f32_f64_e32 v8, v[8:9]
	v_max_f32_e32 v9, v140, v140
	v_add_nc_u32_e32 v10, 0xa0, v12
	v_add_co_u32 v23, vcc_lo, v19, v6
	v_add_co_ci_u32_e32 v24, vcc_lo, v22, v7, vcc_lo
	v_ashrrev_i32_e32 v11, 31, v10
	s_mov_b32 vcc_lo, s2
	v_dual_max_f32 v13, v139, v139 :: v_dual_min_f32 v8, v8, v9
	s_delay_alu instid0(VALU_DEP_1) | instskip(SKIP_1) | instid1(VALU_DEP_1)
	v_cvt_f64_f32_e32 v[14:15], v8
	v_add_nc_u32_e32 v8, 0x80, v12
	v_ashrrev_i32_e32 v9, 31, v8
	s_delay_alu instid0(VALU_DEP_1)
	v_lshlrev_b64 v[8:9], 3, v[8:9]
	global_store_b64 v[23:24], v[14:15], off
	s_cbranch_vccz .LBB107_68
; %bb.66:
	v_min_f32_e32 v14, 0, v13
	v_add_co_u32 v23, vcc_lo, v19, v8
	v_add_co_ci_u32_e32 v24, vcc_lo, v22, v9, vcc_lo
	s_delay_alu instid0(VALU_DEP_3)
	v_cvt_f64_f32_e32 v[14:15], v14
	s_mov_b64 s[0:1], 0
	global_store_b64 v[23:24], v[14:15], off
	v_lshlrev_b64 v[10:11], 3, v[10:11]
	s_cbranch_execz .LBB107_69
; %bb.67:
	v_dual_mov_b32 v14, s1 :: v_dual_mov_b32 v13, s0
	s_branch .LBB107_70
.LBB107_68:
                                        ; implicit-def: $sgpr0_sgpr1
	v_lshlrev_b64 v[10:11], 3, v[10:11]
.LBB107_69:
	v_add_co_u32 v14, vcc_lo, v16, v8
	v_add_co_ci_u32_e32 v15, vcc_lo, v17, v9, vcc_lo
	v_add_co_u32 v23, vcc_lo, v19, v8
	v_add_co_ci_u32_e32 v24, vcc_lo, v22, v9, vcc_lo
	flat_load_b64 v[14:15], v[14:15]
	v_add_co_u32 v25, vcc_lo, v16, v10
	v_add_co_ci_u32_e32 v26, vcc_lo, v17, v11, vcc_lo
	s_waitcnt vmcnt(0) lgkmcnt(0)
	v_mul_f64 v[14:15], v[14:15], s[6:7]
	s_delay_alu instid0(VALU_DEP_1) | instskip(NEXT) | instid1(VALU_DEP_1)
	v_cvt_f32_f64_e32 v14, v[14:15]
	v_min_f32_e32 v13, v14, v13
	s_delay_alu instid0(VALU_DEP_1)
	v_cvt_f64_f32_e32 v[13:14], v13
	global_store_b64 v[23:24], v[13:14], off
	flat_load_b64 v[13:14], v[25:26]
	s_waitcnt vmcnt(0) lgkmcnt(0)
	v_mul_f64 v[13:14], v[13:14], s[6:7]
.LBB107_70:
	s_delay_alu instid0(VALU_DEP_1)
	v_cvt_f32_f64_e32 v13, v[13:14]
	v_dual_max_f32 v14, v138, v138 :: v_dual_max_f32 v23, v135, v135
	v_add_co_u32 v29, vcc_lo, v19, v10
	v_add_co_ci_u32_e32 v30, vcc_lo, v22, v11, vcc_lo
	s_mov_b32 vcc_lo, s2
	v_add_nc_u32_e32 v26, 0xc0, v12
	s_delay_alu instid0(VALU_DEP_1) | instskip(SKIP_1) | instid1(VALU_DEP_1)
	v_ashrrev_i32_e32 v27, 31, v26
	v_dual_min_f32 v13, v13, v14 :: v_dual_add_nc_u32 v14, 0xe0, v12
	v_cvt_f64_f32_e32 v[24:25], v13
	s_delay_alu instid0(VALU_DEP_2) | instskip(NEXT) | instid1(VALU_DEP_4)
	v_ashrrev_i32_e32 v15, 31, v14
	v_lshlrev_b64 v[12:13], 3, v[26:27]
	global_store_b64 v[29:30], v[24:25], off
	s_cbranch_vccz .LBB107_73
; %bb.71:
	v_min_f32_e32 v24, 0, v23
	v_add_co_u32 v26, vcc_lo, v19, v12
	v_add_co_ci_u32_e32 v27, vcc_lo, v22, v13, vcc_lo
	s_delay_alu instid0(VALU_DEP_3)
	v_cvt_f64_f32_e32 v[24:25], v24
	s_mov_b64 s[0:1], 0
	global_store_b64 v[26:27], v[24:25], off
	v_lshlrev_b64 v[14:15], 3, v[14:15]
	s_cbranch_execz .LBB107_74
; %bb.72:
	v_dual_mov_b32 v17, s1 :: v_dual_mov_b32 v16, s0
	s_branch .LBB107_75
.LBB107_73:
                                        ; implicit-def: $sgpr0_sgpr1
	v_lshlrev_b64 v[14:15], 3, v[14:15]
.LBB107_74:
	v_add_co_u32 v24, vcc_lo, v16, v12
	v_add_co_ci_u32_e32 v25, vcc_lo, v17, v13, vcc_lo
	flat_load_b64 v[24:25], v[24:25]
	s_waitcnt vmcnt(0) lgkmcnt(0)
	v_mul_f64 v[24:25], v[24:25], s[6:7]
	s_delay_alu instid0(VALU_DEP_1)
	v_cvt_f32_f64_e32 v24, v[24:25]
	v_add_co_u32 v25, vcc_lo, v19, v12
	v_add_co_ci_u32_e32 v26, vcc_lo, v22, v13, vcc_lo
	v_add_co_u32 v16, vcc_lo, v16, v14
	v_add_co_ci_u32_e32 v17, vcc_lo, v17, v15, vcc_lo
	v_min_f32_e32 v23, v24, v23
	s_delay_alu instid0(VALU_DEP_1)
	v_cvt_f64_f32_e32 v[23:24], v23
	global_store_b64 v[25:26], v[23:24], off
	flat_load_b64 v[16:17], v[16:17]
	s_waitcnt vmcnt(0) lgkmcnt(0)
	v_mul_f64 v[16:17], v[16:17], s[6:7]
.LBB107_75:
	s_delay_alu instid0(VALU_DEP_1) | instskip(SKIP_4) | instid1(VALU_DEP_1)
	v_cvt_f32_f64_e32 v16, v[16:17]
	v_max_f32_e32 v17, v134, v134
	v_add_co_u32 v31, vcc_lo, v19, v14
	v_add_co_ci_u32_e32 v32, vcc_lo, v22, v15, vcc_lo
	v_add_nc_u32_e32 v27, 8, v18
	v_mad_i64_i32 v[23:24], null, v27, s3, 0
	s_delay_alu instid0(VALU_DEP_1) | instskip(SKIP_1) | instid1(VALU_DEP_1)
	v_lshlrev_b64 v[33:34], 3, v[23:24]
	v_min_f32_e32 v16, v16, v17
	v_cvt_f64_f32_e32 v[25:26], v16
	v_mad_i64_i32 v[16:17], null, v27, s8, 0
	s_delay_alu instid0(VALU_DEP_1) | instskip(SKIP_1) | instid1(VALU_DEP_2)
	v_lshlrev_b64 v[29:30], 3, v[16:17]
	v_max_f32_e32 v16, v133, v133
	v_add_co_u32 v19, vcc_lo, s9, v29
	s_delay_alu instid0(VALU_DEP_3)
	v_add_co_ci_u32_e32 v22, vcc_lo, s10, v30, vcc_lo
	v_add_co_u32 v24, vcc_lo, s4, v33
	v_add_co_ci_u32_e32 v23, vcc_lo, s5, v34, vcc_lo
	s_mov_b32 vcc_lo, s2
	global_store_b64 v[31:32], v[25:26], off
	s_cbranch_vccz .LBB107_78
; %bb.76:
	v_min_f32_e32 v17, 0, v16
	v_add_co_u32 v29, vcc_lo, v19, v0
	v_add_co_ci_u32_e32 v30, vcc_lo, v22, v1, vcc_lo
	s_delay_alu instid0(VALU_DEP_3)
	v_cvt_f64_f32_e32 v[25:26], v17
	s_mov_b64 s[0:1], 0
	global_store_b64 v[29:30], v[25:26], off
	s_cbranch_execz .LBB107_79
; %bb.77:
	v_dual_mov_b32 v17, s1 :: v_dual_mov_b32 v16, s0
	s_branch .LBB107_80
.LBB107_78:
                                        ; implicit-def: $sgpr0_sgpr1
.LBB107_79:
	v_add_co_u32 v25, vcc_lo, v24, v0
	v_add_co_ci_u32_e32 v26, vcc_lo, v23, v1, vcc_lo
	flat_load_b64 v[25:26], v[25:26]
	s_waitcnt vmcnt(0) lgkmcnt(0)
	v_mul_f64 v[25:26], v[25:26], s[6:7]
	s_delay_alu instid0(VALU_DEP_1)
	v_cvt_f32_f64_e32 v17, v[25:26]
	v_add_co_u32 v25, vcc_lo, v19, v0
	v_add_co_ci_u32_e32 v26, vcc_lo, v22, v1, vcc_lo
	v_add_co_u32 v29, vcc_lo, v24, v2
	v_add_co_ci_u32_e32 v30, vcc_lo, v23, v3, vcc_lo
	v_min_f32_e32 v16, v17, v16
	s_delay_alu instid0(VALU_DEP_1)
	v_cvt_f64_f32_e32 v[16:17], v16
	global_store_b64 v[25:26], v[16:17], off
	flat_load_b64 v[16:17], v[29:30]
	s_waitcnt vmcnt(0) lgkmcnt(0)
	v_mul_f64 v[16:17], v[16:17], s[6:7]
.LBB107_80:
	s_delay_alu instid0(VALU_DEP_1) | instskip(SKIP_4) | instid1(VALU_DEP_3)
	v_cvt_f32_f64_e32 v16, v[16:17]
	v_max_f32_e32 v17, v28, v28
	v_add_co_u32 v29, vcc_lo, v19, v2
	v_add_co_ci_u32_e32 v30, vcc_lo, v22, v3, vcc_lo
	s_mov_b32 vcc_lo, s2
	v_min_f32_e32 v16, v16, v17
	s_delay_alu instid0(VALU_DEP_1)
	v_cvt_f64_f32_e32 v[25:26], v16
	v_max_f32_e32 v16, v196, v196
	global_store_b64 v[29:30], v[25:26], off
	s_cbranch_vccz .LBB107_83
; %bb.81:
	v_min_f32_e32 v17, 0, v16
	v_add_co_u32 v29, vcc_lo, v19, v4
	v_add_co_ci_u32_e32 v30, vcc_lo, v22, v5, vcc_lo
	s_delay_alu instid0(VALU_DEP_3)
	v_cvt_f64_f32_e32 v[25:26], v17
	s_mov_b64 s[0:1], 0
	global_store_b64 v[29:30], v[25:26], off
	s_cbranch_execz .LBB107_84
; %bb.82:
	v_dual_mov_b32 v17, s1 :: v_dual_mov_b32 v16, s0
	s_branch .LBB107_85
.LBB107_83:
                                        ; implicit-def: $sgpr0_sgpr1
.LBB107_84:
	v_add_co_u32 v25, vcc_lo, v24, v4
	v_add_co_ci_u32_e32 v26, vcc_lo, v23, v5, vcc_lo
	flat_load_b64 v[25:26], v[25:26]
	s_waitcnt vmcnt(0) lgkmcnt(0)
	v_mul_f64 v[25:26], v[25:26], s[6:7]
	s_delay_alu instid0(VALU_DEP_1)
	v_cvt_f32_f64_e32 v17, v[25:26]
	v_add_co_u32 v25, vcc_lo, v19, v4
	v_add_co_ci_u32_e32 v26, vcc_lo, v22, v5, vcc_lo
	v_add_co_u32 v29, vcc_lo, v24, v6
	v_add_co_ci_u32_e32 v30, vcc_lo, v23, v7, vcc_lo
	v_min_f32_e32 v16, v17, v16
	s_delay_alu instid0(VALU_DEP_1)
	v_cvt_f64_f32_e32 v[16:17], v16
	global_store_b64 v[25:26], v[16:17], off
	flat_load_b64 v[16:17], v[29:30]
	s_waitcnt vmcnt(0) lgkmcnt(0)
	v_mul_f64 v[16:17], v[16:17], s[6:7]
.LBB107_85:
	s_delay_alu instid0(VALU_DEP_1) | instskip(SKIP_4) | instid1(VALU_DEP_3)
	v_cvt_f32_f64_e32 v16, v[16:17]
	v_max_f32_e32 v17, v243, v243
	v_add_co_u32 v29, vcc_lo, v19, v6
	v_add_co_ci_u32_e32 v30, vcc_lo, v22, v7, vcc_lo
	s_mov_b32 vcc_lo, s2
	v_min_f32_e32 v16, v16, v17
	s_delay_alu instid0(VALU_DEP_1)
	v_cvt_f64_f32_e32 v[25:26], v16
	v_max_f32_e32 v16, v255, v255
	;; [unrolled: 46-line block ×3, first 2 shown]
	global_store_b64 v[29:30], v[25:26], off
	s_cbranch_vccz .LBB107_93
; %bb.91:
	v_min_f32_e32 v17, 0, v16
	v_add_co_u32 v25, vcc_lo, v19, v12
	v_add_co_ci_u32_e32 v26, vcc_lo, v22, v13, vcc_lo
	s_delay_alu instid0(VALU_DEP_3)
	v_cvt_f64_f32_e32 v[20:21], v17
	s_mov_b64 s[0:1], 0
	global_store_b64 v[25:26], v[20:21], off
	s_cbranch_execz .LBB107_94
; %bb.92:
	v_dual_mov_b32 v17, s1 :: v_dual_mov_b32 v16, s0
	s_branch .LBB107_95
.LBB107_93:
                                        ; implicit-def: $sgpr0_sgpr1
.LBB107_94:
	v_add_co_u32 v20, vcc_lo, v24, v12
	v_add_co_ci_u32_e32 v21, vcc_lo, v23, v13, vcc_lo
	flat_load_b64 v[20:21], v[20:21]
	s_waitcnt vmcnt(0) lgkmcnt(0)
	v_mul_f64 v[20:21], v[20:21], s[6:7]
	s_delay_alu instid0(VALU_DEP_1)
	v_cvt_f32_f64_e32 v17, v[20:21]
	v_add_co_u32 v20, vcc_lo, v19, v12
	v_add_co_ci_u32_e32 v21, vcc_lo, v22, v13, vcc_lo
	v_add_co_u32 v24, vcc_lo, v24, v14
	v_add_co_ci_u32_e32 v25, vcc_lo, v23, v15, vcc_lo
	v_min_f32_e32 v16, v17, v16
	s_delay_alu instid0(VALU_DEP_1)
	v_cvt_f64_f32_e32 v[16:17], v16
	global_store_b64 v[20:21], v[16:17], off
	flat_load_b64 v[16:17], v[24:25]
	s_waitcnt vmcnt(0) lgkmcnt(0)
	v_mul_f64 v[16:17], v[16:17], s[6:7]
.LBB107_95:
	s_delay_alu instid0(VALU_DEP_1) | instskip(SKIP_4) | instid1(VALU_DEP_1)
	v_cvt_f32_f64_e32 v16, v[16:17]
	v_max_f32_e32 v17, v132, v132
	v_add_co_u32 v28, vcc_lo, v19, v14
	v_add_co_ci_u32_e32 v29, vcc_lo, v22, v15, vcc_lo
	v_add_nc_u32_e32 v23, 16, v18
	v_mad_i64_i32 v[20:21], null, v23, s3, 0
	s_delay_alu instid0(VALU_DEP_1) | instskip(SKIP_1) | instid1(VALU_DEP_1)
	v_lshlrev_b64 v[21:22], 3, v[20:21]
	v_min_f32_e32 v16, v16, v17
	v_cvt_f64_f32_e32 v[24:25], v16
	v_mad_i64_i32 v[16:17], null, v23, s8, 0
	s_delay_alu instid0(VALU_DEP_1) | instskip(SKIP_1) | instid1(VALU_DEP_2)
	v_lshlrev_b64 v[26:27], 3, v[16:17]
	v_max_f32_e32 v16, v111, v111
	v_add_co_u32 v19, vcc_lo, s9, v26
	s_delay_alu instid0(VALU_DEP_3)
	v_add_co_ci_u32_e32 v20, vcc_lo, s10, v27, vcc_lo
	v_add_co_u32 v21, vcc_lo, s4, v21
	v_add_co_ci_u32_e32 v23, vcc_lo, s5, v22, vcc_lo
	s_mov_b32 vcc_lo, s2
	global_store_b64 v[28:29], v[24:25], off
	s_cbranch_vccz .LBB107_98
; %bb.96:
	v_min_f32_e32 v17, 0, v16
	v_add_co_u32 v26, vcc_lo, v19, v0
	v_add_co_ci_u32_e32 v27, vcc_lo, v20, v1, vcc_lo
	s_delay_alu instid0(VALU_DEP_3)
	v_cvt_f64_f32_e32 v[24:25], v17
	s_mov_b64 s[0:1], 0
	global_store_b64 v[26:27], v[24:25], off
	s_cbranch_execz .LBB107_99
; %bb.97:
	v_dual_mov_b32 v17, s1 :: v_dual_mov_b32 v16, s0
	s_branch .LBB107_100
.LBB107_98:
                                        ; implicit-def: $sgpr0_sgpr1
.LBB107_99:
	v_add_co_u32 v24, vcc_lo, v21, v0
	v_add_co_ci_u32_e32 v25, vcc_lo, v23, v1, vcc_lo
	flat_load_b64 v[24:25], v[24:25]
	s_waitcnt vmcnt(0) lgkmcnt(0)
	v_mul_f64 v[24:25], v[24:25], s[6:7]
	s_delay_alu instid0(VALU_DEP_1)
	v_cvt_f32_f64_e32 v17, v[24:25]
	v_add_co_u32 v24, vcc_lo, v19, v0
	v_add_co_ci_u32_e32 v25, vcc_lo, v20, v1, vcc_lo
	v_add_co_u32 v26, vcc_lo, v21, v2
	v_add_co_ci_u32_e32 v27, vcc_lo, v23, v3, vcc_lo
	v_min_f32_e32 v16, v17, v16
	s_delay_alu instid0(VALU_DEP_1)
	v_cvt_f64_f32_e32 v[16:17], v16
	global_store_b64 v[24:25], v[16:17], off
	flat_load_b64 v[16:17], v[26:27]
	s_waitcnt vmcnt(0) lgkmcnt(0)
	v_mul_f64 v[16:17], v[16:17], s[6:7]
.LBB107_100:
	s_delay_alu instid0(VALU_DEP_1) | instskip(SKIP_4) | instid1(VALU_DEP_3)
	v_cvt_f32_f64_e32 v16, v[16:17]
	v_max_f32_e32 v17, v110, v110
	v_add_co_u32 v26, vcc_lo, v19, v2
	v_add_co_ci_u32_e32 v27, vcc_lo, v20, v3, vcc_lo
	s_mov_b32 vcc_lo, s2
	v_min_f32_e32 v16, v16, v17
	s_delay_alu instid0(VALU_DEP_1)
	v_cvt_f64_f32_e32 v[24:25], v16
	v_max_f32_e32 v16, v51, v51
	global_store_b64 v[26:27], v[24:25], off
	s_cbranch_vccz .LBB107_103
; %bb.101:
	v_min_f32_e32 v17, 0, v16
	v_add_co_u32 v26, vcc_lo, v19, v4
	v_add_co_ci_u32_e32 v27, vcc_lo, v20, v5, vcc_lo
	s_delay_alu instid0(VALU_DEP_3)
	v_cvt_f64_f32_e32 v[24:25], v17
	s_mov_b64 s[0:1], 0
	global_store_b64 v[26:27], v[24:25], off
	s_cbranch_execz .LBB107_104
; %bb.102:
	v_dual_mov_b32 v17, s1 :: v_dual_mov_b32 v16, s0
	s_branch .LBB107_105
.LBB107_103:
                                        ; implicit-def: $sgpr0_sgpr1
.LBB107_104:
	v_add_co_u32 v24, vcc_lo, v21, v4
	v_add_co_ci_u32_e32 v25, vcc_lo, v23, v5, vcc_lo
	flat_load_b64 v[24:25], v[24:25]
	s_waitcnt vmcnt(0) lgkmcnt(0)
	v_mul_f64 v[24:25], v[24:25], s[6:7]
	s_delay_alu instid0(VALU_DEP_1)
	v_cvt_f32_f64_e32 v17, v[24:25]
	v_add_co_u32 v24, vcc_lo, v19, v4
	v_add_co_ci_u32_e32 v25, vcc_lo, v20, v5, vcc_lo
	v_add_co_u32 v26, vcc_lo, v21, v6
	v_add_co_ci_u32_e32 v27, vcc_lo, v23, v7, vcc_lo
	v_min_f32_e32 v16, v17, v16
	s_delay_alu instid0(VALU_DEP_1)
	v_cvt_f64_f32_e32 v[16:17], v16
	global_store_b64 v[24:25], v[16:17], off
	flat_load_b64 v[16:17], v[26:27]
	s_waitcnt vmcnt(0) lgkmcnt(0)
	v_mul_f64 v[16:17], v[16:17], s[6:7]
.LBB107_105:
	s_delay_alu instid0(VALU_DEP_1) | instskip(SKIP_4) | instid1(VALU_DEP_3)
	v_cvt_f32_f64_e32 v16, v[16:17]
	v_max_f32_e32 v17, v104, v104
	v_add_co_u32 v26, vcc_lo, v19, v6
	v_add_co_ci_u32_e32 v27, vcc_lo, v20, v7, vcc_lo
	s_mov_b32 vcc_lo, s2
	v_min_f32_e32 v16, v16, v17
	s_delay_alu instid0(VALU_DEP_1)
	v_cvt_f64_f32_e32 v[24:25], v16
	scratch_load_b32 v16, off, off offset:16 ; 4-byte Folded Reload
	global_store_b64 v[26:27], v[24:25], off
	s_waitcnt vmcnt(0)
	v_max_f32_e32 v16, v16, v16
	s_cbranch_vccz .LBB107_108
; %bb.106:
	s_delay_alu instid0(VALU_DEP_1) | instskip(SKIP_2) | instid1(VALU_DEP_3)
	v_min_f32_e32 v17, 0, v16
	v_add_co_u32 v26, vcc_lo, v19, v8
	v_add_co_ci_u32_e32 v27, vcc_lo, v20, v9, vcc_lo
	v_cvt_f64_f32_e32 v[24:25], v17
	s_mov_b64 s[0:1], 0
	global_store_b64 v[26:27], v[24:25], off
	s_cbranch_execz .LBB107_109
; %bb.107:
	v_dual_mov_b32 v17, s1 :: v_dual_mov_b32 v16, s0
	s_branch .LBB107_110
.LBB107_108:
                                        ; implicit-def: $sgpr0_sgpr1
.LBB107_109:
	v_add_co_u32 v24, vcc_lo, v21, v8
	v_add_co_ci_u32_e32 v25, vcc_lo, v23, v9, vcc_lo
	flat_load_b64 v[24:25], v[24:25]
	s_waitcnt vmcnt(0) lgkmcnt(0)
	v_mul_f64 v[24:25], v[24:25], s[6:7]
	s_delay_alu instid0(VALU_DEP_1)
	v_cvt_f32_f64_e32 v17, v[24:25]
	v_add_co_u32 v24, vcc_lo, v19, v8
	v_add_co_ci_u32_e32 v25, vcc_lo, v20, v9, vcc_lo
	v_add_co_u32 v26, vcc_lo, v21, v10
	v_add_co_ci_u32_e32 v27, vcc_lo, v23, v11, vcc_lo
	v_min_f32_e32 v16, v17, v16
	s_delay_alu instid0(VALU_DEP_1)
	v_cvt_f64_f32_e32 v[16:17], v16
	global_store_b64 v[24:25], v[16:17], off
	flat_load_b64 v[16:17], v[26:27]
	s_waitcnt vmcnt(0) lgkmcnt(0)
	v_mul_f64 v[16:17], v[16:17], s[6:7]
.LBB107_110:
	s_delay_alu instid0(VALU_DEP_1) | instskip(SKIP_4) | instid1(VALU_DEP_3)
	v_cvt_f32_f64_e32 v16, v[16:17]
	v_max_f32_e32 v17, v114, v114
	v_add_co_u32 v26, vcc_lo, v19, v10
	v_add_co_ci_u32_e32 v27, vcc_lo, v20, v11, vcc_lo
	s_mov_b32 vcc_lo, s2
	v_min_f32_e32 v16, v16, v17
	s_delay_alu instid0(VALU_DEP_1)
	v_cvt_f64_f32_e32 v[24:25], v16
	v_max_f32_e32 v16, v48, v48
	global_store_b64 v[26:27], v[24:25], off
	s_cbranch_vccz .LBB107_113
; %bb.111:
	v_min_f32_e32 v17, 0, v16
	v_add_co_u32 v26, vcc_lo, v19, v12
	v_add_co_ci_u32_e32 v27, vcc_lo, v20, v13, vcc_lo
	s_delay_alu instid0(VALU_DEP_3)
	v_cvt_f64_f32_e32 v[24:25], v17
	s_mov_b64 s[0:1], 0
	global_store_b64 v[26:27], v[24:25], off
	s_cbranch_execz .LBB107_114
; %bb.112:
	v_dual_mov_b32 v17, s1 :: v_dual_mov_b32 v16, s0
	s_branch .LBB107_115
.LBB107_113:
                                        ; implicit-def: $sgpr0_sgpr1
.LBB107_114:
	v_add_co_u32 v24, vcc_lo, v21, v12
	v_add_co_ci_u32_e32 v25, vcc_lo, v23, v13, vcc_lo
	flat_load_b64 v[24:25], v[24:25]
	s_waitcnt vmcnt(0) lgkmcnt(0)
	v_mul_f64 v[24:25], v[24:25], s[6:7]
	s_delay_alu instid0(VALU_DEP_1)
	v_cvt_f32_f64_e32 v17, v[24:25]
	v_add_co_u32 v24, vcc_lo, v19, v12
	v_add_co_ci_u32_e32 v25, vcc_lo, v20, v13, vcc_lo
	v_add_co_u32 v21, vcc_lo, v21, v14
	v_add_co_ci_u32_e32 v22, vcc_lo, v23, v15, vcc_lo
	v_min_f32_e32 v16, v17, v16
	s_delay_alu instid0(VALU_DEP_1)
	v_cvt_f64_f32_e32 v[16:17], v16
	global_store_b64 v[24:25], v[16:17], off
	flat_load_b64 v[16:17], v[21:22]
	s_waitcnt vmcnt(0) lgkmcnt(0)
	v_mul_f64 v[16:17], v[16:17], s[6:7]
.LBB107_115:
	s_delay_alu instid0(VALU_DEP_1) | instskip(SKIP_4) | instid1(VALU_DEP_1)
	v_cvt_f32_f64_e32 v16, v[16:17]
	v_max_f32_e32 v17, v103, v103
	v_add_co_u32 v28, vcc_lo, v19, v14
	v_add_co_ci_u32_e32 v29, vcc_lo, v20, v15, vcc_lo
	v_add_nc_u32_e32 v23, 24, v18
	v_mad_i64_i32 v[21:22], null, v23, s3, 0
	s_delay_alu instid0(VALU_DEP_1) | instskip(SKIP_1) | instid1(VALU_DEP_1)
	v_lshlrev_b64 v[21:22], 3, v[21:22]
	v_min_f32_e32 v16, v16, v17
	v_cvt_f64_f32_e32 v[24:25], v16
	v_mad_i64_i32 v[16:17], null, v23, s8, 0
	s_delay_alu instid0(VALU_DEP_1) | instskip(SKIP_1) | instid1(VALU_DEP_2)
	v_lshlrev_b64 v[26:27], 3, v[16:17]
	v_max_f32_e32 v16, v239, v239
	v_add_co_u32 v19, vcc_lo, s9, v26
	s_delay_alu instid0(VALU_DEP_3)
	v_add_co_ci_u32_e32 v20, vcc_lo, s10, v27, vcc_lo
	v_add_co_u32 v21, vcc_lo, s4, v21
	v_add_co_ci_u32_e32 v23, vcc_lo, s5, v22, vcc_lo
	s_mov_b32 vcc_lo, s2
	global_store_b64 v[28:29], v[24:25], off
	s_cbranch_vccz .LBB107_118
; %bb.116:
	v_min_f32_e32 v17, 0, v16
	v_add_co_u32 v26, vcc_lo, v19, v0
	v_add_co_ci_u32_e32 v27, vcc_lo, v20, v1, vcc_lo
	s_delay_alu instid0(VALU_DEP_3)
	v_cvt_f64_f32_e32 v[24:25], v17
	s_mov_b64 s[0:1], 0
	global_store_b64 v[26:27], v[24:25], off
	s_cbranch_execz .LBB107_119
; %bb.117:
	v_dual_mov_b32 v17, s1 :: v_dual_mov_b32 v16, s0
	s_branch .LBB107_120
.LBB107_118:
                                        ; implicit-def: $sgpr0_sgpr1
.LBB107_119:
	v_add_co_u32 v24, vcc_lo, v21, v0
	v_add_co_ci_u32_e32 v25, vcc_lo, v23, v1, vcc_lo
	flat_load_b64 v[24:25], v[24:25]
	s_waitcnt vmcnt(0) lgkmcnt(0)
	v_mul_f64 v[24:25], v[24:25], s[6:7]
	s_delay_alu instid0(VALU_DEP_1)
	v_cvt_f32_f64_e32 v17, v[24:25]
	v_add_co_u32 v24, vcc_lo, v19, v0
	v_add_co_ci_u32_e32 v25, vcc_lo, v20, v1, vcc_lo
	v_add_co_u32 v26, vcc_lo, v21, v2
	v_add_co_ci_u32_e32 v27, vcc_lo, v23, v3, vcc_lo
	v_min_f32_e32 v16, v17, v16
	s_delay_alu instid0(VALU_DEP_1)
	v_cvt_f64_f32_e32 v[16:17], v16
	global_store_b64 v[24:25], v[16:17], off
	flat_load_b64 v[16:17], v[26:27]
	s_waitcnt vmcnt(0) lgkmcnt(0)
	v_mul_f64 v[16:17], v[16:17], s[6:7]
.LBB107_120:
	s_delay_alu instid0(VALU_DEP_1) | instskip(SKIP_4) | instid1(VALU_DEP_3)
	v_cvt_f32_f64_e32 v16, v[16:17]
	v_max_f32_e32 v17, v107, v107
	v_add_co_u32 v26, vcc_lo, v19, v2
	v_add_co_ci_u32_e32 v27, vcc_lo, v20, v3, vcc_lo
	s_mov_b32 vcc_lo, s2
	v_min_f32_e32 v16, v16, v17
	s_delay_alu instid0(VALU_DEP_1)
	v_cvt_f64_f32_e32 v[24:25], v16
	v_max_f32_e32 v16, v108, v108
	global_store_b64 v[26:27], v[24:25], off
	s_cbranch_vccz .LBB107_123
; %bb.121:
	v_min_f32_e32 v17, 0, v16
	v_add_co_u32 v26, vcc_lo, v19, v4
	v_add_co_ci_u32_e32 v27, vcc_lo, v20, v5, vcc_lo
	s_delay_alu instid0(VALU_DEP_3)
	v_cvt_f64_f32_e32 v[24:25], v17
	s_mov_b64 s[0:1], 0
	global_store_b64 v[26:27], v[24:25], off
	s_cbranch_execz .LBB107_124
; %bb.122:
	v_dual_mov_b32 v17, s1 :: v_dual_mov_b32 v16, s0
	s_branch .LBB107_125
.LBB107_123:
                                        ; implicit-def: $sgpr0_sgpr1
.LBB107_124:
	v_add_co_u32 v24, vcc_lo, v21, v4
	v_add_co_ci_u32_e32 v25, vcc_lo, v23, v5, vcc_lo
	flat_load_b64 v[24:25], v[24:25]
	s_waitcnt vmcnt(0) lgkmcnt(0)
	v_mul_f64 v[24:25], v[24:25], s[6:7]
	s_delay_alu instid0(VALU_DEP_1)
	v_cvt_f32_f64_e32 v17, v[24:25]
	v_add_co_u32 v24, vcc_lo, v19, v4
	v_add_co_ci_u32_e32 v25, vcc_lo, v20, v5, vcc_lo
	v_add_co_u32 v26, vcc_lo, v21, v6
	v_add_co_ci_u32_e32 v27, vcc_lo, v23, v7, vcc_lo
	v_min_f32_e32 v16, v17, v16
	s_delay_alu instid0(VALU_DEP_1)
	v_cvt_f64_f32_e32 v[16:17], v16
	global_store_b64 v[24:25], v[16:17], off
	flat_load_b64 v[16:17], v[26:27]
	s_waitcnt vmcnt(0) lgkmcnt(0)
	v_mul_f64 v[16:17], v[16:17], s[6:7]
.LBB107_125:
	s_delay_alu instid0(VALU_DEP_1) | instskip(SKIP_4) | instid1(VALU_DEP_3)
	v_cvt_f32_f64_e32 v16, v[16:17]
	v_max_f32_e32 v17, v46, v46
	v_add_co_u32 v26, vcc_lo, v19, v6
	v_add_co_ci_u32_e32 v27, vcc_lo, v20, v7, vcc_lo
	s_mov_b32 vcc_lo, s2
	v_min_f32_e32 v16, v16, v17
	s_delay_alu instid0(VALU_DEP_1)
	v_cvt_f64_f32_e32 v[24:25], v16
	v_max_f32_e32 v16, v112, v112
	;; [unrolled: 46-line block ×3, first 2 shown]
	global_store_b64 v[26:27], v[24:25], off
	s_cbranch_vccz .LBB107_133
; %bb.131:
	v_min_f32_e32 v17, 0, v16
	v_add_co_u32 v26, vcc_lo, v19, v12
	v_add_co_ci_u32_e32 v27, vcc_lo, v20, v13, vcc_lo
	s_delay_alu instid0(VALU_DEP_3)
	v_cvt_f64_f32_e32 v[24:25], v17
	s_mov_b64 s[0:1], 0
	global_store_b64 v[26:27], v[24:25], off
	s_cbranch_execz .LBB107_134
; %bb.132:
	v_dual_mov_b32 v17, s1 :: v_dual_mov_b32 v16, s0
	s_branch .LBB107_135
.LBB107_133:
                                        ; implicit-def: $sgpr0_sgpr1
.LBB107_134:
	v_add_co_u32 v24, vcc_lo, v21, v12
	v_add_co_ci_u32_e32 v25, vcc_lo, v23, v13, vcc_lo
	flat_load_b64 v[24:25], v[24:25]
	s_waitcnt vmcnt(0) lgkmcnt(0)
	v_mul_f64 v[24:25], v[24:25], s[6:7]
	s_delay_alu instid0(VALU_DEP_1)
	v_cvt_f32_f64_e32 v17, v[24:25]
	v_add_co_u32 v24, vcc_lo, v19, v12
	v_add_co_ci_u32_e32 v25, vcc_lo, v20, v13, vcc_lo
	v_add_co_u32 v21, vcc_lo, v21, v14
	v_add_co_ci_u32_e32 v22, vcc_lo, v23, v15, vcc_lo
	v_min_f32_e32 v16, v17, v16
	s_delay_alu instid0(VALU_DEP_1)
	v_cvt_f64_f32_e32 v[16:17], v16
	global_store_b64 v[24:25], v[16:17], off
	flat_load_b64 v[16:17], v[21:22]
	s_waitcnt vmcnt(0) lgkmcnt(0)
	v_mul_f64 v[16:17], v[16:17], s[6:7]
.LBB107_135:
	s_delay_alu instid0(VALU_DEP_1) | instskip(SKIP_4) | instid1(VALU_DEP_1)
	v_cvt_f32_f64_e32 v16, v[16:17]
	v_max_f32_e32 v17, v42, v42
	v_add_co_u32 v28, vcc_lo, v19, v14
	v_add_co_ci_u32_e32 v29, vcc_lo, v20, v15, vcc_lo
	v_add_nc_u32_e32 v23, 32, v18
	v_mad_i64_i32 v[21:22], null, v23, s3, 0
	s_delay_alu instid0(VALU_DEP_1) | instskip(SKIP_1) | instid1(VALU_DEP_1)
	v_lshlrev_b64 v[21:22], 3, v[21:22]
	v_min_f32_e32 v16, v16, v17
	v_cvt_f64_f32_e32 v[24:25], v16
	v_mad_i64_i32 v[16:17], null, v23, s8, 0
	s_delay_alu instid0(VALU_DEP_1) | instskip(SKIP_1) | instid1(VALU_DEP_2)
	v_lshlrev_b64 v[26:27], 3, v[16:17]
	v_max_f32_e32 v16, v58, v58
	v_add_co_u32 v19, vcc_lo, s9, v26
	s_delay_alu instid0(VALU_DEP_3)
	v_add_co_ci_u32_e32 v20, vcc_lo, s10, v27, vcc_lo
	v_add_co_u32 v21, vcc_lo, s4, v21
	v_add_co_ci_u32_e32 v23, vcc_lo, s5, v22, vcc_lo
	s_mov_b32 vcc_lo, s2
	global_store_b64 v[28:29], v[24:25], off
	s_cbranch_vccz .LBB107_138
; %bb.136:
	v_min_f32_e32 v17, 0, v16
	v_add_co_u32 v26, vcc_lo, v19, v0
	v_add_co_ci_u32_e32 v27, vcc_lo, v20, v1, vcc_lo
	s_delay_alu instid0(VALU_DEP_3)
	v_cvt_f64_f32_e32 v[24:25], v17
	s_mov_b64 s[0:1], 0
	global_store_b64 v[26:27], v[24:25], off
	s_cbranch_execz .LBB107_139
; %bb.137:
	v_dual_mov_b32 v17, s1 :: v_dual_mov_b32 v16, s0
	s_branch .LBB107_140
.LBB107_138:
                                        ; implicit-def: $sgpr0_sgpr1
.LBB107_139:
	v_add_co_u32 v24, vcc_lo, v21, v0
	v_add_co_ci_u32_e32 v25, vcc_lo, v23, v1, vcc_lo
	flat_load_b64 v[24:25], v[24:25]
	s_waitcnt vmcnt(0) lgkmcnt(0)
	v_mul_f64 v[24:25], v[24:25], s[6:7]
	s_delay_alu instid0(VALU_DEP_1)
	v_cvt_f32_f64_e32 v17, v[24:25]
	v_add_co_u32 v24, vcc_lo, v19, v0
	v_add_co_ci_u32_e32 v25, vcc_lo, v20, v1, vcc_lo
	v_add_co_u32 v26, vcc_lo, v21, v2
	v_add_co_ci_u32_e32 v27, vcc_lo, v23, v3, vcc_lo
	v_min_f32_e32 v16, v17, v16
	s_delay_alu instid0(VALU_DEP_1)
	v_cvt_f64_f32_e32 v[16:17], v16
	global_store_b64 v[24:25], v[16:17], off
	flat_load_b64 v[16:17], v[26:27]
	s_waitcnt vmcnt(0) lgkmcnt(0)
	v_mul_f64 v[16:17], v[16:17], s[6:7]
.LBB107_140:
	s_delay_alu instid0(VALU_DEP_1) | instskip(SKIP_4) | instid1(VALU_DEP_3)
	v_cvt_f32_f64_e32 v16, v[16:17]
	v_max_f32_e32 v17, v40, v40
	v_add_co_u32 v26, vcc_lo, v19, v2
	v_add_co_ci_u32_e32 v27, vcc_lo, v20, v3, vcc_lo
	s_mov_b32 vcc_lo, s2
	v_min_f32_e32 v16, v16, v17
	s_delay_alu instid0(VALU_DEP_1)
	v_cvt_f64_f32_e32 v[24:25], v16
	v_max_f32_e32 v16, v56, v56
	global_store_b64 v[26:27], v[24:25], off
	s_cbranch_vccz .LBB107_143
; %bb.141:
	v_min_f32_e32 v17, 0, v16
	v_add_co_u32 v26, vcc_lo, v19, v4
	v_add_co_ci_u32_e32 v27, vcc_lo, v20, v5, vcc_lo
	s_delay_alu instid0(VALU_DEP_3)
	v_cvt_f64_f32_e32 v[24:25], v17
	s_mov_b64 s[0:1], 0
	global_store_b64 v[26:27], v[24:25], off
	s_cbranch_execz .LBB107_144
; %bb.142:
	v_dual_mov_b32 v17, s1 :: v_dual_mov_b32 v16, s0
	s_branch .LBB107_145
.LBB107_143:
                                        ; implicit-def: $sgpr0_sgpr1
.LBB107_144:
	v_add_co_u32 v24, vcc_lo, v21, v4
	v_add_co_ci_u32_e32 v25, vcc_lo, v23, v5, vcc_lo
	flat_load_b64 v[24:25], v[24:25]
	s_waitcnt vmcnt(0) lgkmcnt(0)
	v_mul_f64 v[24:25], v[24:25], s[6:7]
	s_delay_alu instid0(VALU_DEP_1)
	v_cvt_f32_f64_e32 v17, v[24:25]
	v_add_co_u32 v24, vcc_lo, v19, v4
	v_add_co_ci_u32_e32 v25, vcc_lo, v20, v5, vcc_lo
	v_add_co_u32 v26, vcc_lo, v21, v6
	v_add_co_ci_u32_e32 v27, vcc_lo, v23, v7, vcc_lo
	v_min_f32_e32 v16, v17, v16
	s_delay_alu instid0(VALU_DEP_1)
	v_cvt_f64_f32_e32 v[16:17], v16
	global_store_b64 v[24:25], v[16:17], off
	flat_load_b64 v[16:17], v[26:27]
	s_waitcnt vmcnt(0) lgkmcnt(0)
	v_mul_f64 v[16:17], v[16:17], s[6:7]
.LBB107_145:
	s_delay_alu instid0(VALU_DEP_1) | instskip(SKIP_4) | instid1(VALU_DEP_3)
	v_cvt_f32_f64_e32 v16, v[16:17]
	v_max_f32_e32 v17, v245, v245
	v_add_co_u32 v26, vcc_lo, v19, v6
	v_add_co_ci_u32_e32 v27, vcc_lo, v20, v7, vcc_lo
	s_mov_b32 vcc_lo, s2
	v_min_f32_e32 v16, v16, v17
	s_delay_alu instid0(VALU_DEP_1)
	v_cvt_f64_f32_e32 v[24:25], v16
	v_max_f32_e32 v16, v38, v38
	;; [unrolled: 46-line block ×3, first 2 shown]
	global_store_b64 v[26:27], v[24:25], off
	s_cbranch_vccz .LBB107_153
; %bb.151:
	v_min_f32_e32 v17, 0, v16
	v_add_co_u32 v26, vcc_lo, v19, v12
	v_add_co_ci_u32_e32 v27, vcc_lo, v20, v13, vcc_lo
	s_delay_alu instid0(VALU_DEP_3)
	v_cvt_f64_f32_e32 v[24:25], v17
	s_mov_b64 s[0:1], 0
	global_store_b64 v[26:27], v[24:25], off
	s_cbranch_execz .LBB107_154
; %bb.152:
	v_dual_mov_b32 v17, s1 :: v_dual_mov_b32 v16, s0
	s_branch .LBB107_155
.LBB107_153:
                                        ; implicit-def: $sgpr0_sgpr1
.LBB107_154:
	v_add_co_u32 v24, vcc_lo, v21, v12
	v_add_co_ci_u32_e32 v25, vcc_lo, v23, v13, vcc_lo
	flat_load_b64 v[24:25], v[24:25]
	s_waitcnt vmcnt(0) lgkmcnt(0)
	v_mul_f64 v[24:25], v[24:25], s[6:7]
	s_delay_alu instid0(VALU_DEP_1)
	v_cvt_f32_f64_e32 v17, v[24:25]
	v_add_co_u32 v24, vcc_lo, v19, v12
	v_add_co_ci_u32_e32 v25, vcc_lo, v20, v13, vcc_lo
	v_add_co_u32 v21, vcc_lo, v21, v14
	v_add_co_ci_u32_e32 v22, vcc_lo, v23, v15, vcc_lo
	v_min_f32_e32 v16, v17, v16
	s_delay_alu instid0(VALU_DEP_1)
	v_cvt_f64_f32_e32 v[16:17], v16
	global_store_b64 v[24:25], v[16:17], off
	flat_load_b64 v[16:17], v[21:22]
	s_waitcnt vmcnt(0) lgkmcnt(0)
	v_mul_f64 v[16:17], v[16:17], s[6:7]
.LBB107_155:
	s_delay_alu instid0(VALU_DEP_1) | instskip(SKIP_4) | instid1(VALU_DEP_1)
	v_cvt_f32_f64_e32 v16, v[16:17]
	v_max_f32_e32 v17, v128, v128
	v_add_co_u32 v28, vcc_lo, v19, v14
	v_add_co_ci_u32_e32 v29, vcc_lo, v20, v15, vcc_lo
	v_add_nc_u32_e32 v23, 40, v18
	v_mad_i64_i32 v[21:22], null, v23, s3, 0
	s_delay_alu instid0(VALU_DEP_1) | instskip(SKIP_1) | instid1(VALU_DEP_1)
	v_lshlrev_b64 v[21:22], 3, v[21:22]
	v_min_f32_e32 v16, v16, v17
	v_cvt_f64_f32_e32 v[24:25], v16
	v_mad_i64_i32 v[16:17], null, v23, s8, 0
	s_delay_alu instid0(VALU_DEP_1) | instskip(SKIP_1) | instid1(VALU_DEP_2)
	v_lshlrev_b64 v[26:27], 3, v[16:17]
	v_max_f32_e32 v16, v62, v62
	v_add_co_u32 v19, vcc_lo, s9, v26
	s_delay_alu instid0(VALU_DEP_3)
	v_add_co_ci_u32_e32 v20, vcc_lo, s10, v27, vcc_lo
	v_add_co_u32 v21, vcc_lo, s4, v21
	v_add_co_ci_u32_e32 v23, vcc_lo, s5, v22, vcc_lo
	s_mov_b32 vcc_lo, s2
	global_store_b64 v[28:29], v[24:25], off
	s_cbranch_vccz .LBB107_158
; %bb.156:
	v_min_f32_e32 v17, 0, v16
	v_add_co_u32 v26, vcc_lo, v19, v0
	v_add_co_ci_u32_e32 v27, vcc_lo, v20, v1, vcc_lo
	s_delay_alu instid0(VALU_DEP_3)
	v_cvt_f64_f32_e32 v[24:25], v17
	s_mov_b64 s[0:1], 0
	global_store_b64 v[26:27], v[24:25], off
	s_cbranch_execz .LBB107_159
; %bb.157:
	v_dual_mov_b32 v17, s1 :: v_dual_mov_b32 v16, s0
	s_branch .LBB107_160
.LBB107_158:
                                        ; implicit-def: $sgpr0_sgpr1
.LBB107_159:
	v_add_co_u32 v24, vcc_lo, v21, v0
	v_add_co_ci_u32_e32 v25, vcc_lo, v23, v1, vcc_lo
	flat_load_b64 v[24:25], v[24:25]
	s_waitcnt vmcnt(0) lgkmcnt(0)
	v_mul_f64 v[24:25], v[24:25], s[6:7]
	s_delay_alu instid0(VALU_DEP_1)
	v_cvt_f32_f64_e32 v17, v[24:25]
	v_add_co_u32 v24, vcc_lo, v19, v0
	v_add_co_ci_u32_e32 v25, vcc_lo, v20, v1, vcc_lo
	v_add_co_u32 v26, vcc_lo, v21, v2
	v_add_co_ci_u32_e32 v27, vcc_lo, v23, v3, vcc_lo
	v_min_f32_e32 v16, v17, v16
	s_delay_alu instid0(VALU_DEP_1)
	v_cvt_f64_f32_e32 v[16:17], v16
	global_store_b64 v[24:25], v[16:17], off
	flat_load_b64 v[16:17], v[26:27]
	s_waitcnt vmcnt(0) lgkmcnt(0)
	v_mul_f64 v[16:17], v[16:17], s[6:7]
.LBB107_160:
	s_delay_alu instid0(VALU_DEP_1) | instskip(SKIP_4) | instid1(VALU_DEP_3)
	v_cvt_f32_f64_e32 v16, v[16:17]
	v_max_f32_e32 v17, v65, v65
	v_add_co_u32 v26, vcc_lo, v19, v2
	v_add_co_ci_u32_e32 v27, vcc_lo, v20, v3, vcc_lo
	s_mov_b32 vcc_lo, s2
	v_min_f32_e32 v16, v16, v17
	s_delay_alu instid0(VALU_DEP_1)
	v_cvt_f64_f32_e32 v[24:25], v16
	v_max_f32_e32 v16, v246, v246
	global_store_b64 v[26:27], v[24:25], off
	s_cbranch_vccz .LBB107_163
; %bb.161:
	v_min_f32_e32 v17, 0, v16
	v_add_co_u32 v26, vcc_lo, v19, v4
	v_add_co_ci_u32_e32 v27, vcc_lo, v20, v5, vcc_lo
	s_delay_alu instid0(VALU_DEP_3)
	v_cvt_f64_f32_e32 v[24:25], v17
	s_mov_b32 s0, 0
	global_store_b64 v[26:27], v[24:25], off
	s_cbranch_execz .LBB107_164
; %bb.162:
	v_mov_b32_e32 v16, s0
	s_branch .LBB107_165
.LBB107_163:
	s_mov_b32 s0, -1
.LBB107_164:
	v_add_co_u32 v24, vcc_lo, v21, v4
	v_add_co_ci_u32_e32 v25, vcc_lo, v23, v5, vcc_lo
	flat_load_b64 v[24:25], v[24:25]
	s_waitcnt vmcnt(0) lgkmcnt(0)
	v_mul_f64 v[24:25], v[24:25], s[6:7]
	s_delay_alu instid0(VALU_DEP_1)
	v_cvt_f32_f64_e32 v17, v[24:25]
	v_add_co_u32 v24, vcc_lo, v19, v4
	v_add_co_ci_u32_e32 v25, vcc_lo, v20, v5, vcc_lo
	v_add_co_u32 v26, vcc_lo, v21, v6
	v_add_co_ci_u32_e32 v27, vcc_lo, v23, v7, vcc_lo
	v_min_f32_e32 v16, v17, v16
	s_delay_alu instid0(VALU_DEP_1) | instskip(SKIP_4) | instid1(VALU_DEP_1)
	v_cvt_f64_f32_e32 v[16:17], v16
	global_store_b64 v[24:25], v[16:17], off
	flat_load_b64 v[16:17], v[26:27]
	s_waitcnt vmcnt(0) lgkmcnt(0)
	v_mul_f64 v[16:17], v[16:17], s[6:7]
	v_cvt_f32_f64_e32 v16, v[16:17]
.LBB107_165:
	s_delay_alu instid0(VALU_DEP_1) | instskip(SKIP_2) | instid1(VALU_DEP_3)
	v_dual_max_f32 v17, v238, v238 :: v_dual_max_f32 v16, v16, v16
	v_add_co_u32 v26, vcc_lo, v19, v6
	v_add_co_ci_u32_e32 v27, vcc_lo, v20, v7, vcc_lo
	v_min_f32_e32 v16, v16, v17
	s_mov_b32 vcc_lo, s2
	s_delay_alu instid0(VALU_DEP_1)
	v_cvt_f64_f32_e32 v[24:25], v16
	v_max_f32_e32 v16, v235, v235
	global_store_b64 v[26:27], v[24:25], off
	s_cbranch_vccz .LBB107_168
; %bb.166:
	v_min_f32_e32 v17, 0, v16
	v_add_co_u32 v26, vcc_lo, v19, v8
	v_add_co_ci_u32_e32 v27, vcc_lo, v20, v9, vcc_lo
	s_delay_alu instid0(VALU_DEP_3)
	v_cvt_f64_f32_e32 v[24:25], v17
	s_mov_b32 s0, 0
	global_store_b64 v[26:27], v[24:25], off
	s_cbranch_execz .LBB107_169
; %bb.167:
	v_mov_b32_e32 v16, s0
	s_branch .LBB107_170
.LBB107_168:
	s_mov_b32 s0, -1
.LBB107_169:
	v_add_co_u32 v24, vcc_lo, v21, v8
	v_add_co_ci_u32_e32 v25, vcc_lo, v23, v9, vcc_lo
	flat_load_b64 v[24:25], v[24:25]
	s_waitcnt vmcnt(0) lgkmcnt(0)
	v_mul_f64 v[24:25], v[24:25], s[6:7]
	s_delay_alu instid0(VALU_DEP_1)
	v_cvt_f32_f64_e32 v17, v[24:25]
	v_add_co_u32 v24, vcc_lo, v19, v8
	v_add_co_ci_u32_e32 v25, vcc_lo, v20, v9, vcc_lo
	v_add_co_u32 v26, vcc_lo, v21, v10
	v_add_co_ci_u32_e32 v27, vcc_lo, v23, v11, vcc_lo
	v_min_f32_e32 v16, v17, v16
	s_delay_alu instid0(VALU_DEP_1) | instskip(SKIP_4) | instid1(VALU_DEP_1)
	v_cvt_f64_f32_e32 v[16:17], v16
	global_store_b64 v[24:25], v[16:17], off
	flat_load_b64 v[16:17], v[26:27]
	s_waitcnt vmcnt(0) lgkmcnt(0)
	v_mul_f64 v[16:17], v[16:17], s[6:7]
	v_cvt_f32_f64_e32 v16, v[16:17]
.LBB107_170:
	s_delay_alu instid0(VALU_DEP_1) | instskip(SKIP_2) | instid1(VALU_DEP_3)
	v_dual_max_f32 v17, v213, v213 :: v_dual_max_f32 v16, v16, v16
	v_add_co_u32 v26, vcc_lo, v19, v10
	v_add_co_ci_u32_e32 v27, vcc_lo, v20, v11, vcc_lo
	v_min_f32_e32 v16, v16, v17
	s_mov_b32 vcc_lo, s2
	s_delay_alu instid0(VALU_DEP_1)
	v_cvt_f64_f32_e32 v[24:25], v16
	v_max_f32_e32 v16, v204, v204
	global_store_b64 v[26:27], v[24:25], off
	s_cbranch_vccz .LBB107_173
; %bb.171:
	v_min_f32_e32 v17, 0, v16
	v_add_co_u32 v26, vcc_lo, v19, v12
	v_add_co_ci_u32_e32 v27, vcc_lo, v20, v13, vcc_lo
	s_delay_alu instid0(VALU_DEP_3)
	v_cvt_f64_f32_e32 v[24:25], v17
	s_mov_b32 s0, 0
	global_store_b64 v[26:27], v[24:25], off
	s_cbranch_execz .LBB107_174
; %bb.172:
	v_mov_b32_e32 v16, s0
	s_branch .LBB107_175
.LBB107_173:
	s_mov_b32 s0, -1
.LBB107_174:
	v_add_co_u32 v24, vcc_lo, v21, v12
	v_add_co_ci_u32_e32 v25, vcc_lo, v23, v13, vcc_lo
	flat_load_b64 v[24:25], v[24:25]
	s_waitcnt vmcnt(0) lgkmcnt(0)
	v_mul_f64 v[24:25], v[24:25], s[6:7]
	s_delay_alu instid0(VALU_DEP_1)
	v_cvt_f32_f64_e32 v17, v[24:25]
	v_add_co_u32 v24, vcc_lo, v19, v12
	v_add_co_ci_u32_e32 v25, vcc_lo, v20, v13, vcc_lo
	v_add_co_u32 v21, vcc_lo, v21, v14
	v_add_co_ci_u32_e32 v22, vcc_lo, v23, v15, vcc_lo
	v_min_f32_e32 v16, v17, v16
	s_delay_alu instid0(VALU_DEP_1) | instskip(SKIP_4) | instid1(VALU_DEP_1)
	v_cvt_f64_f32_e32 v[16:17], v16
	global_store_b64 v[24:25], v[16:17], off
	flat_load_b64 v[16:17], v[21:22]
	s_waitcnt vmcnt(0) lgkmcnt(0)
	v_mul_f64 v[16:17], v[16:17], s[6:7]
	v_cvt_f32_f64_e32 v16, v[16:17]
.LBB107_175:
	s_delay_alu instid0(VALU_DEP_1) | instskip(SKIP_2) | instid1(VALU_DEP_3)
	v_dual_max_f32 v17, v203, v203 :: v_dual_max_f32 v16, v16, v16
	v_add_co_u32 v26, vcc_lo, v19, v14
	v_add_co_ci_u32_e32 v27, vcc_lo, v20, v15, vcc_lo
	v_dual_min_f32 v16, v16, v17 :: v_dual_add_nc_u32 v21, 48, v18
	s_delay_alu instid0(VALU_DEP_1) | instskip(NEXT) | instid1(VALU_DEP_2)
	v_cvt_f64_f32_e32 v[22:23], v16
	v_mad_i64_i32 v[16:17], null, v21, s8, 0
	v_mad_i64_i32 v[24:25], null, v21, s3, 0
	v_max_f32_e32 v21, v200, v200
	s_delay_alu instid0(VALU_DEP_3) | instskip(NEXT) | instid1(VALU_DEP_3)
	v_lshlrev_b64 v[16:17], 3, v[16:17]
	v_lshlrev_b64 v[19:20], 3, v[24:25]
	s_delay_alu instid0(VALU_DEP_2) | instskip(NEXT) | instid1(VALU_DEP_3)
	v_add_co_u32 v16, vcc_lo, s9, v16
	v_add_co_ci_u32_e32 v17, vcc_lo, s10, v17, vcc_lo
	s_delay_alu instid0(VALU_DEP_3) | instskip(NEXT) | instid1(VALU_DEP_4)
	v_add_co_u32 v19, vcc_lo, s4, v19
	v_add_co_ci_u32_e32 v20, vcc_lo, s5, v20, vcc_lo
	s_mov_b32 vcc_lo, s2
	global_store_b64 v[26:27], v[22:23], off
	s_cbranch_vccz .LBB107_178
; %bb.176:
	v_min_f32_e32 v22, 0, v21
	v_add_co_u32 v24, vcc_lo, v16, v0
	v_add_co_ci_u32_e32 v25, vcc_lo, v17, v1, vcc_lo
	s_delay_alu instid0(VALU_DEP_3)
	v_cvt_f64_f32_e32 v[22:23], v22
	s_mov_b32 s0, 0
	global_store_b64 v[24:25], v[22:23], off
	s_cbranch_execz .LBB107_179
; %bb.177:
	v_mov_b32_e32 v21, s0
	s_branch .LBB107_180
.LBB107_178:
	s_mov_b32 s0, -1
.LBB107_179:
	v_add_co_u32 v22, vcc_lo, v19, v0
	v_add_co_ci_u32_e32 v23, vcc_lo, v20, v1, vcc_lo
	flat_load_b64 v[22:23], v[22:23]
	s_waitcnt vmcnt(0) lgkmcnt(0)
	v_mul_f64 v[22:23], v[22:23], s[6:7]
	s_delay_alu instid0(VALU_DEP_1)
	v_cvt_f32_f64_e32 v22, v[22:23]
	v_add_co_u32 v23, vcc_lo, v16, v0
	v_add_co_ci_u32_e32 v24, vcc_lo, v17, v1, vcc_lo
	v_add_co_u32 v25, vcc_lo, v19, v2
	v_add_co_ci_u32_e32 v26, vcc_lo, v20, v3, vcc_lo
	v_min_f32_e32 v21, v22, v21
	s_delay_alu instid0(VALU_DEP_1) | instskip(SKIP_4) | instid1(VALU_DEP_1)
	v_cvt_f64_f32_e32 v[21:22], v21
	global_store_b64 v[23:24], v[21:22], off
	flat_load_b64 v[21:22], v[25:26]
	s_waitcnt vmcnt(0) lgkmcnt(0)
	v_mul_f64 v[21:22], v[21:22], s[6:7]
	v_cvt_f32_f64_e32 v21, v[21:22]
.LBB107_180:
	s_delay_alu instid0(VALU_DEP_1) | instskip(SKIP_2) | instid1(VALU_DEP_3)
	v_dual_max_f32 v22, v199, v199 :: v_dual_max_f32 v21, v21, v21
	v_add_co_u32 v24, vcc_lo, v16, v2
	v_add_co_ci_u32_e32 v25, vcc_lo, v17, v3, vcc_lo
	v_min_f32_e32 v21, v21, v22
	s_mov_b32 vcc_lo, s2
	s_delay_alu instid0(VALU_DEP_1)
	v_cvt_f64_f32_e32 v[22:23], v21
	v_max_f32_e32 v21, v131, v131
	global_store_b64 v[24:25], v[22:23], off
	s_cbranch_vccz .LBB107_183
; %bb.181:
	v_min_f32_e32 v22, 0, v21
	v_add_co_u32 v24, vcc_lo, v16, v4
	v_add_co_ci_u32_e32 v25, vcc_lo, v17, v5, vcc_lo
	s_delay_alu instid0(VALU_DEP_3)
	v_cvt_f64_f32_e32 v[22:23], v22
	s_mov_b32 s0, 0
	global_store_b64 v[24:25], v[22:23], off
	s_cbranch_execz .LBB107_184
; %bb.182:
	v_mov_b32_e32 v21, s0
	s_branch .LBB107_185
.LBB107_183:
	s_mov_b32 s0, -1
.LBB107_184:
	v_add_co_u32 v22, vcc_lo, v19, v4
	v_add_co_ci_u32_e32 v23, vcc_lo, v20, v5, vcc_lo
	flat_load_b64 v[22:23], v[22:23]
	s_waitcnt vmcnt(0) lgkmcnt(0)
	v_mul_f64 v[22:23], v[22:23], s[6:7]
	s_delay_alu instid0(VALU_DEP_1)
	v_cvt_f32_f64_e32 v22, v[22:23]
	v_add_co_u32 v23, vcc_lo, v16, v4
	v_add_co_ci_u32_e32 v24, vcc_lo, v17, v5, vcc_lo
	v_add_co_u32 v25, vcc_lo, v19, v6
	v_add_co_ci_u32_e32 v26, vcc_lo, v20, v7, vcc_lo
	v_min_f32_e32 v21, v22, v21
	s_delay_alu instid0(VALU_DEP_1) | instskip(SKIP_4) | instid1(VALU_DEP_1)
	v_cvt_f64_f32_e32 v[21:22], v21
	global_store_b64 v[23:24], v[21:22], off
	flat_load_b64 v[21:22], v[25:26]
	s_waitcnt vmcnt(0) lgkmcnt(0)
	v_mul_f64 v[21:22], v[21:22], s[6:7]
	v_cvt_f32_f64_e32 v21, v[21:22]
.LBB107_185:
	s_delay_alu instid0(VALU_DEP_1) | instskip(SKIP_2) | instid1(VALU_DEP_3)
	v_dual_max_f32 v22, v195, v195 :: v_dual_max_f32 v21, v21, v21
	v_add_co_u32 v24, vcc_lo, v16, v6
	v_add_co_ci_u32_e32 v25, vcc_lo, v17, v7, vcc_lo
	v_min_f32_e32 v21, v21, v22
	s_mov_b32 vcc_lo, s2
	s_delay_alu instid0(VALU_DEP_1)
	v_cvt_f64_f32_e32 v[22:23], v21
	scratch_load_b32 v21, off, off offset:8 ; 4-byte Folded Reload
	global_store_b64 v[24:25], v[22:23], off
	s_waitcnt vmcnt(0)
	v_max_f32_e32 v21, v21, v21
	s_cbranch_vccz .LBB107_188
; %bb.186:
	s_delay_alu instid0(VALU_DEP_1) | instskip(SKIP_2) | instid1(VALU_DEP_3)
	v_min_f32_e32 v22, 0, v21
	v_add_co_u32 v24, vcc_lo, v16, v8
	v_add_co_ci_u32_e32 v25, vcc_lo, v17, v9, vcc_lo
	v_cvt_f64_f32_e32 v[22:23], v22
	s_mov_b32 s0, 0
	global_store_b64 v[24:25], v[22:23], off
	s_cbranch_execz .LBB107_189
; %bb.187:
	v_mov_b32_e32 v21, s0
	s_branch .LBB107_190
.LBB107_188:
	s_mov_b32 s0, -1
.LBB107_189:
	v_add_co_u32 v22, vcc_lo, v19, v8
	v_add_co_ci_u32_e32 v23, vcc_lo, v20, v9, vcc_lo
	flat_load_b64 v[22:23], v[22:23]
	s_waitcnt vmcnt(0) lgkmcnt(0)
	v_mul_f64 v[22:23], v[22:23], s[6:7]
	s_delay_alu instid0(VALU_DEP_1)
	v_cvt_f32_f64_e32 v22, v[22:23]
	v_add_co_u32 v23, vcc_lo, v16, v8
	v_add_co_ci_u32_e32 v24, vcc_lo, v17, v9, vcc_lo
	v_add_co_u32 v25, vcc_lo, v19, v10
	v_add_co_ci_u32_e32 v26, vcc_lo, v20, v11, vcc_lo
	v_min_f32_e32 v21, v22, v21
	s_delay_alu instid0(VALU_DEP_1) | instskip(SKIP_4) | instid1(VALU_DEP_1)
	v_cvt_f64_f32_e32 v[21:22], v21
	global_store_b64 v[23:24], v[21:22], off
	flat_load_b64 v[21:22], v[25:26]
	s_waitcnt vmcnt(0) lgkmcnt(0)
	v_mul_f64 v[21:22], v[21:22], s[6:7]
	v_cvt_f32_f64_e32 v21, v[21:22]
.LBB107_190:
	s_delay_alu instid0(VALU_DEP_1) | instskip(SKIP_2) | instid1(VALU_DEP_3)
	v_dual_max_f32 v22, v130, v130 :: v_dual_max_f32 v21, v21, v21
	v_add_co_u32 v24, vcc_lo, v16, v10
	v_add_co_ci_u32_e32 v25, vcc_lo, v17, v11, vcc_lo
	v_min_f32_e32 v21, v21, v22
	s_mov_b32 vcc_lo, s2
	s_delay_alu instid0(VALU_DEP_1)
	v_cvt_f64_f32_e32 v[22:23], v21
	scratch_load_b32 v21, off, off offset:12 ; 4-byte Folded Reload
	global_store_b64 v[24:25], v[22:23], off
	s_waitcnt vmcnt(0)
	v_max_f32_e32 v21, v21, v21
	s_cbranch_vccz .LBB107_193
; %bb.191:
	s_delay_alu instid0(VALU_DEP_1) | instskip(SKIP_2) | instid1(VALU_DEP_3)
	v_min_f32_e32 v22, 0, v21
	v_add_co_u32 v24, vcc_lo, v16, v12
	v_add_co_ci_u32_e32 v25, vcc_lo, v17, v13, vcc_lo
	v_cvt_f64_f32_e32 v[22:23], v22
	s_mov_b32 s0, 0
	global_store_b64 v[24:25], v[22:23], off
	s_cbranch_execz .LBB107_194
; %bb.192:
	v_mov_b32_e32 v19, s0
	s_branch .LBB107_195
.LBB107_193:
	s_mov_b32 s0, -1
.LBB107_194:
	v_add_co_u32 v22, vcc_lo, v19, v12
	v_add_co_ci_u32_e32 v23, vcc_lo, v20, v13, vcc_lo
	flat_load_b64 v[22:23], v[22:23]
	s_waitcnt vmcnt(0) lgkmcnt(0)
	v_mul_f64 v[22:23], v[22:23], s[6:7]
	s_delay_alu instid0(VALU_DEP_1)
	v_cvt_f32_f64_e32 v22, v[22:23]
	v_add_co_u32 v23, vcc_lo, v16, v12
	v_add_co_ci_u32_e32 v24, vcc_lo, v17, v13, vcc_lo
	v_add_co_u32 v19, vcc_lo, v19, v14
	v_add_co_ci_u32_e32 v20, vcc_lo, v20, v15, vcc_lo
	v_min_f32_e32 v21, v22, v21
	s_delay_alu instid0(VALU_DEP_1) | instskip(SKIP_4) | instid1(VALU_DEP_1)
	v_cvt_f64_f32_e32 v[21:22], v21
	global_store_b64 v[23:24], v[21:22], off
	flat_load_b64 v[19:20], v[19:20]
	s_waitcnt vmcnt(0) lgkmcnt(0)
	v_mul_f64 v[19:20], v[19:20], s[6:7]
	v_cvt_f32_f64_e32 v19, v[19:20]
.LBB107_195:
	v_max_f32_e32 v20, v127, v127
	s_delay_alu instid0(VALU_DEP_2) | instskip(SKIP_2) | instid1(VALU_DEP_3)
	v_max_f32_e32 v19, v19, v19
	v_add_co_u32 v25, vcc_lo, v16, v14
	v_add_co_ci_u32_e32 v26, vcc_lo, v17, v15, vcc_lo
	v_dual_min_f32 v19, v19, v20 :: v_dual_add_nc_u32 v20, 56, v18
	s_delay_alu instid0(VALU_DEP_1) | instskip(NEXT) | instid1(VALU_DEP_2)
	v_cvt_f64_f32_e32 v[21:22], v19
	v_mad_i64_i32 v[18:19], null, v20, s8, 0
	v_mad_i64_i32 v[23:24], null, v20, s3, 0
	v_max_f32_e32 v20, v126, v126
	s_delay_alu instid0(VALU_DEP_3) | instskip(NEXT) | instid1(VALU_DEP_3)
	v_lshlrev_b64 v[18:19], 3, v[18:19]
	v_lshlrev_b64 v[23:24], 3, v[23:24]
	s_delay_alu instid0(VALU_DEP_2) | instskip(NEXT) | instid1(VALU_DEP_3)
	v_add_co_u32 v16, vcc_lo, s9, v18
	v_add_co_ci_u32_e32 v17, vcc_lo, s10, v19, vcc_lo
	s_delay_alu instid0(VALU_DEP_3) | instskip(NEXT) | instid1(VALU_DEP_4)
	v_add_co_u32 v18, vcc_lo, s4, v23
	v_add_co_ci_u32_e32 v19, vcc_lo, s5, v24, vcc_lo
	s_mov_b32 vcc_lo, s2
	global_store_b64 v[25:26], v[21:22], off
	s_cbranch_vccz .LBB107_198
; %bb.196:
	v_min_f32_e32 v21, 0, v20
	v_add_co_u32 v23, vcc_lo, v16, v0
	v_add_co_ci_u32_e32 v24, vcc_lo, v17, v1, vcc_lo
	s_delay_alu instid0(VALU_DEP_3)
	v_cvt_f64_f32_e32 v[21:22], v21
	s_mov_b32 s0, 0
	global_store_b64 v[23:24], v[21:22], off
	s_cbranch_execz .LBB107_199
; %bb.197:
	v_mov_b32_e32 v0, s0
	s_branch .LBB107_200
.LBB107_198:
	s_mov_b32 s0, -1
.LBB107_199:
	v_add_co_u32 v21, vcc_lo, v18, v0
	v_add_co_ci_u32_e32 v22, vcc_lo, v19, v1, vcc_lo
	v_add_co_u32 v0, vcc_lo, v16, v0
	v_add_co_ci_u32_e32 v1, vcc_lo, v17, v1, vcc_lo
	flat_load_b64 v[21:22], v[21:22]
	s_waitcnt vmcnt(0) lgkmcnt(0)
	v_mul_f64 v[21:22], v[21:22], s[6:7]
	s_delay_alu instid0(VALU_DEP_1) | instskip(SKIP_2) | instid1(VALU_DEP_3)
	v_cvt_f32_f64_e32 v21, v[21:22]
	v_add_co_u32 v22, vcc_lo, v18, v2
	v_add_co_ci_u32_e32 v23, vcc_lo, v19, v3, vcc_lo
	v_min_f32_e32 v20, v21, v20
	s_delay_alu instid0(VALU_DEP_1) | instskip(SKIP_4) | instid1(VALU_DEP_1)
	v_cvt_f64_f32_e32 v[20:21], v20
	global_store_b64 v[0:1], v[20:21], off
	flat_load_b64 v[0:1], v[22:23]
	s_waitcnt vmcnt(0) lgkmcnt(0)
	v_mul_f64 v[0:1], v[0:1], s[6:7]
	v_cvt_f32_f64_e32 v0, v[0:1]
.LBB107_200:
	s_delay_alu instid0(VALU_DEP_1) | instskip(NEXT) | instid1(VALU_DEP_1)
	v_dual_max_f32 v1, v125, v125 :: v_dual_max_f32 v0, v0, v0
	v_min_f32_e32 v0, v0, v1
	v_add_co_u32 v1, vcc_lo, v16, v2
	v_add_co_ci_u32_e32 v2, vcc_lo, v17, v3, vcc_lo
	s_delay_alu instid0(VALU_DEP_3)
	v_cvt_f64_f32_e32 v[20:21], v0
	v_max_f32_e32 v0, v124, v124
	s_mov_b32 vcc_lo, s2
	global_store_b64 v[1:2], v[20:21], off
	s_cbranch_vccz .LBB107_203
; %bb.201:
	v_min_f32_e32 v1, 0, v0
	v_add_co_u32 v20, vcc_lo, v16, v4
	v_add_co_ci_u32_e32 v21, vcc_lo, v17, v5, vcc_lo
	s_delay_alu instid0(VALU_DEP_3)
	v_cvt_f64_f32_e32 v[1:2], v1
	s_mov_b32 s0, 0
	global_store_b64 v[20:21], v[1:2], off
	s_cbranch_execz .LBB107_204
; %bb.202:
	v_mov_b32_e32 v0, s0
	s_branch .LBB107_205
.LBB107_203:
	s_mov_b32 s0, -1
.LBB107_204:
	v_add_co_u32 v1, vcc_lo, v18, v4
	v_add_co_ci_u32_e32 v2, vcc_lo, v19, v5, vcc_lo
	flat_load_b64 v[1:2], v[1:2]
	s_waitcnt vmcnt(0) lgkmcnt(0)
	v_mul_f64 v[1:2], v[1:2], s[6:7]
	s_delay_alu instid0(VALU_DEP_1)
	v_cvt_f32_f64_e32 v1, v[1:2]
	v_add_co_u32 v2, vcc_lo, v16, v4
	v_add_co_ci_u32_e32 v3, vcc_lo, v17, v5, vcc_lo
	v_add_co_u32 v4, vcc_lo, v18, v6
	v_add_co_ci_u32_e32 v5, vcc_lo, v19, v7, vcc_lo
	v_min_f32_e32 v0, v1, v0
	s_delay_alu instid0(VALU_DEP_1) | instskip(SKIP_4) | instid1(VALU_DEP_1)
	v_cvt_f64_f32_e32 v[0:1], v0
	global_store_b64 v[2:3], v[0:1], off
	flat_load_b64 v[0:1], v[4:5]
	s_waitcnt vmcnt(0) lgkmcnt(0)
	v_mul_f64 v[0:1], v[0:1], s[6:7]
	v_cvt_f32_f64_e32 v0, v[0:1]
.LBB107_205:
	scratch_load_b32 v1, off, off offset:4  ; 4-byte Folded Reload
	v_add_co_u32 v3, vcc_lo, v16, v6
	v_add_co_ci_u32_e32 v4, vcc_lo, v17, v7, vcc_lo
	s_mov_b32 vcc_lo, s2
	s_waitcnt vmcnt(0)
	v_dual_max_f32 v0, v0, v0 :: v_dual_max_f32 v1, v1, v1
	s_delay_alu instid0(VALU_DEP_1) | instskip(NEXT) | instid1(VALU_DEP_1)
	v_min_f32_e32 v0, v0, v1
	v_cvt_f64_f32_e32 v[1:2], v0
	v_max_f32_e32 v0, v244, v244
	global_store_b64 v[3:4], v[1:2], off
	s_cbranch_vccz .LBB107_208
; %bb.206:
	v_min_f32_e32 v1, 0, v0
	v_add_co_u32 v3, vcc_lo, v16, v8
	v_add_co_ci_u32_e32 v4, vcc_lo, v17, v9, vcc_lo
	s_delay_alu instid0(VALU_DEP_3)
	v_cvt_f64_f32_e32 v[1:2], v1
	s_mov_b32 s0, 0
	global_store_b64 v[3:4], v[1:2], off
	s_cbranch_execz .LBB107_209
; %bb.207:
	v_mov_b32_e32 v0, s0
	s_branch .LBB107_210
.LBB107_208:
	s_mov_b32 s0, -1
.LBB107_209:
	v_add_co_u32 v1, vcc_lo, v18, v8
	v_add_co_ci_u32_e32 v2, vcc_lo, v19, v9, vcc_lo
	flat_load_b64 v[1:2], v[1:2]
	s_waitcnt vmcnt(0) lgkmcnt(0)
	v_mul_f64 v[1:2], v[1:2], s[6:7]
	s_delay_alu instid0(VALU_DEP_1)
	v_cvt_f32_f64_e32 v1, v[1:2]
	v_add_co_u32 v2, vcc_lo, v16, v8
	v_add_co_ci_u32_e32 v3, vcc_lo, v17, v9, vcc_lo
	v_add_co_u32 v4, vcc_lo, v18, v10
	v_add_co_ci_u32_e32 v5, vcc_lo, v19, v11, vcc_lo
	v_min_f32_e32 v0, v1, v0
	s_delay_alu instid0(VALU_DEP_1) | instskip(SKIP_4) | instid1(VALU_DEP_1)
	v_cvt_f64_f32_e32 v[0:1], v0
	global_store_b64 v[2:3], v[0:1], off
	flat_load_b64 v[0:1], v[4:5]
	s_waitcnt vmcnt(0) lgkmcnt(0)
	v_mul_f64 v[0:1], v[0:1], s[6:7]
	v_cvt_f32_f64_e32 v0, v[0:1]
.LBB107_210:
	s_delay_alu instid0(VALU_DEP_1) | instskip(SKIP_2) | instid1(VALU_DEP_3)
	v_dual_max_f32 v1, v122, v122 :: v_dual_max_f32 v0, v0, v0
	v_add_co_u32 v3, vcc_lo, v16, v10
	v_add_co_ci_u32_e32 v4, vcc_lo, v17, v11, vcc_lo
	v_min_f32_e32 v0, v0, v1
	s_mov_b32 vcc_lo, s2
	s_delay_alu instid0(VALU_DEP_1)
	v_cvt_f64_f32_e32 v[1:2], v0
	v_max_f32_e32 v0, v120, v120
	global_store_b64 v[3:4], v[1:2], off
	s_cbranch_vccz .LBB107_213
; %bb.211:
	v_min_f32_e32 v1, 0, v0
	v_add_co_u32 v3, vcc_lo, v16, v12
	v_add_co_ci_u32_e32 v4, vcc_lo, v17, v13, vcc_lo
	s_delay_alu instid0(VALU_DEP_3)
	v_cvt_f64_f32_e32 v[1:2], v1
	s_mov_b32 s0, 0
	global_store_b64 v[3:4], v[1:2], off
	s_cbranch_execz .LBB107_214
; %bb.212:
	v_mov_b32_e32 v0, s0
	s_branch .LBB107_215
.LBB107_213:
	s_mov_b32 s0, -1
.LBB107_214:
	v_add_co_u32 v1, vcc_lo, v18, v12
	v_add_co_ci_u32_e32 v2, vcc_lo, v19, v13, vcc_lo
	flat_load_b64 v[1:2], v[1:2]
	s_waitcnt vmcnt(0) lgkmcnt(0)
	v_mul_f64 v[1:2], v[1:2], s[6:7]
	s_delay_alu instid0(VALU_DEP_1)
	v_cvt_f32_f64_e32 v1, v[1:2]
	v_add_co_u32 v2, vcc_lo, v16, v12
	v_add_co_ci_u32_e32 v3, vcc_lo, v17, v13, vcc_lo
	v_add_co_u32 v4, vcc_lo, v18, v14
	v_add_co_ci_u32_e32 v5, vcc_lo, v19, v15, vcc_lo
	v_min_f32_e32 v0, v1, v0
	s_delay_alu instid0(VALU_DEP_1) | instskip(SKIP_4) | instid1(VALU_DEP_1)
	v_cvt_f64_f32_e32 v[0:1], v0
	global_store_b64 v[2:3], v[0:1], off
	flat_load_b64 v[0:1], v[4:5]
	s_waitcnt vmcnt(0) lgkmcnt(0)
	v_mul_f64 v[0:1], v[0:1], s[6:7]
	v_cvt_f32_f64_e32 v0, v[0:1]
.LBB107_215:
	scratch_load_b32 v1, off, off           ; 4-byte Folded Reload
	v_add_co_u32 v2, vcc_lo, v16, v14
	v_add_co_ci_u32_e32 v3, vcc_lo, v17, v15, vcc_lo
	s_waitcnt vmcnt(0)
	v_dual_max_f32 v0, v0, v0 :: v_dual_max_f32 v1, v1, v1
	s_delay_alu instid0(VALU_DEP_1) | instskip(NEXT) | instid1(VALU_DEP_1)
	v_min_f32_e32 v0, v0, v1
	v_cvt_f64_f32_e32 v[0:1], v0
	global_store_b64 v[2:3], v[0:1], off
	s_endpgm
	.section	.rodata,"a",@progbits
	.p2align	6, 0x0
	.amdhsa_kernel _ZN12_GLOBAL__N_120geam_min_plus_kernelId15HIP_vector_typeIdLj2EEdLi32ELi8ELi256ELi64ELi4ELi64ELi4ELi4ELi64ELc78ELc78ELb0ELb0ELb1EdKPKdKPdEEviiiT16_PT17_ilSA_ilS8_SA_ilPT18_ili26rocblas_geam_ex_operation_
		.amdhsa_group_segment_fixed_size 20480
		.amdhsa_private_segment_fixed_size 404
		.amdhsa_kernarg_size 136
		.amdhsa_user_sgpr_count 14
		.amdhsa_user_sgpr_dispatch_ptr 0
		.amdhsa_user_sgpr_queue_ptr 0
		.amdhsa_user_sgpr_kernarg_segment_ptr 1
		.amdhsa_user_sgpr_dispatch_id 0
		.amdhsa_user_sgpr_private_segment_size 0
		.amdhsa_wavefront_size32 1
		.amdhsa_uses_dynamic_stack 0
		.amdhsa_enable_private_segment 1
		.amdhsa_system_sgpr_workgroup_id_x 1
		.amdhsa_system_sgpr_workgroup_id_y 0
		.amdhsa_system_sgpr_workgroup_id_z 1
		.amdhsa_system_sgpr_workgroup_info 0
		.amdhsa_system_vgpr_workitem_id 1
		.amdhsa_next_free_vgpr 256
		.amdhsa_next_free_sgpr 24
		.amdhsa_reserve_vcc 1
		.amdhsa_float_round_mode_32 0
		.amdhsa_float_round_mode_16_64 0
		.amdhsa_float_denorm_mode_32 3
		.amdhsa_float_denorm_mode_16_64 3
		.amdhsa_dx10_clamp 1
		.amdhsa_ieee_mode 1
		.amdhsa_fp16_overflow 0
		.amdhsa_workgroup_processor_mode 1
		.amdhsa_memory_ordered 1
		.amdhsa_forward_progress 0
		.amdhsa_shared_vgpr_count 0
		.amdhsa_exception_fp_ieee_invalid_op 0
		.amdhsa_exception_fp_denorm_src 0
		.amdhsa_exception_fp_ieee_div_zero 0
		.amdhsa_exception_fp_ieee_overflow 0
		.amdhsa_exception_fp_ieee_underflow 0
		.amdhsa_exception_fp_ieee_inexact 0
		.amdhsa_exception_int_div_zero 0
	.end_amdhsa_kernel
	.section	.text._ZN12_GLOBAL__N_120geam_min_plus_kernelId15HIP_vector_typeIdLj2EEdLi32ELi8ELi256ELi64ELi4ELi64ELi4ELi4ELi64ELc78ELc78ELb0ELb0ELb1EdKPKdKPdEEviiiT16_PT17_ilSA_ilS8_SA_ilPT18_ili26rocblas_geam_ex_operation_,"axG",@progbits,_ZN12_GLOBAL__N_120geam_min_plus_kernelId15HIP_vector_typeIdLj2EEdLi32ELi8ELi256ELi64ELi4ELi64ELi4ELi4ELi64ELc78ELc78ELb0ELb0ELb1EdKPKdKPdEEviiiT16_PT17_ilSA_ilS8_SA_ilPT18_ili26rocblas_geam_ex_operation_,comdat
.Lfunc_end107:
	.size	_ZN12_GLOBAL__N_120geam_min_plus_kernelId15HIP_vector_typeIdLj2EEdLi32ELi8ELi256ELi64ELi4ELi64ELi4ELi4ELi64ELc78ELc78ELb0ELb0ELb1EdKPKdKPdEEviiiT16_PT17_ilSA_ilS8_SA_ilPT18_ili26rocblas_geam_ex_operation_, .Lfunc_end107-_ZN12_GLOBAL__N_120geam_min_plus_kernelId15HIP_vector_typeIdLj2EEdLi32ELi8ELi256ELi64ELi4ELi64ELi4ELi4ELi64ELc78ELc78ELb0ELb0ELb1EdKPKdKPdEEviiiT16_PT17_ilSA_ilS8_SA_ilPT18_ili26rocblas_geam_ex_operation_
                                        ; -- End function
	.section	.AMDGPU.csdata,"",@progbits
; Kernel info:
; codeLenInByte = 24364
; NumSgprs: 26
; NumVgprs: 256
; ScratchSize: 404
; MemoryBound: 1
; FloatMode: 240
; IeeeMode: 1
; LDSByteSize: 20480 bytes/workgroup (compile time only)
; SGPRBlocks: 3
; VGPRBlocks: 31
; NumSGPRsForWavesPerEU: 26
; NumVGPRsForWavesPerEU: 256
; Occupancy: 5
; WaveLimiterHint : 1
; COMPUTE_PGM_RSRC2:SCRATCH_EN: 1
; COMPUTE_PGM_RSRC2:USER_SGPR: 14
; COMPUTE_PGM_RSRC2:TRAP_HANDLER: 0
; COMPUTE_PGM_RSRC2:TGID_X_EN: 1
; COMPUTE_PGM_RSRC2:TGID_Y_EN: 0
; COMPUTE_PGM_RSRC2:TGID_Z_EN: 1
; COMPUTE_PGM_RSRC2:TIDIG_COMP_CNT: 1
	.section	.text._ZN12_GLOBAL__N_120geam_min_plus_kernelId15HIP_vector_typeIdLj2EEdLi32ELi8ELi256ELi64ELi4ELi64ELi4ELi4ELi64ELc78ELc78ELb0ELb1ELb1EPKdKS4_KPdEEviiiT16_PT17_ilSA_ilS8_SA_ilPT18_ili26rocblas_geam_ex_operation_,"axG",@progbits,_ZN12_GLOBAL__N_120geam_min_plus_kernelId15HIP_vector_typeIdLj2EEdLi32ELi8ELi256ELi64ELi4ELi64ELi4ELi4ELi64ELc78ELc78ELb0ELb1ELb1EPKdKS4_KPdEEviiiT16_PT17_ilSA_ilS8_SA_ilPT18_ili26rocblas_geam_ex_operation_,comdat
	.globl	_ZN12_GLOBAL__N_120geam_min_plus_kernelId15HIP_vector_typeIdLj2EEdLi32ELi8ELi256ELi64ELi4ELi64ELi4ELi4ELi64ELc78ELc78ELb0ELb1ELb1EPKdKS4_KPdEEviiiT16_PT17_ilSA_ilS8_SA_ilPT18_ili26rocblas_geam_ex_operation_ ; -- Begin function _ZN12_GLOBAL__N_120geam_min_plus_kernelId15HIP_vector_typeIdLj2EEdLi32ELi8ELi256ELi64ELi4ELi64ELi4ELi4ELi64ELc78ELc78ELb0ELb1ELb1EPKdKS4_KPdEEviiiT16_PT17_ilSA_ilS8_SA_ilPT18_ili26rocblas_geam_ex_operation_
	.p2align	8
	.type	_ZN12_GLOBAL__N_120geam_min_plus_kernelId15HIP_vector_typeIdLj2EEdLi32ELi8ELi256ELi64ELi4ELi64ELi4ELi4ELi64ELc78ELc78ELb0ELb1ELb1EPKdKS4_KPdEEviiiT16_PT17_ilSA_ilS8_SA_ilPT18_ili26rocblas_geam_ex_operation_,@function
_ZN12_GLOBAL__N_120geam_min_plus_kernelId15HIP_vector_typeIdLj2EEdLi32ELi8ELi256ELi64ELi4ELi64ELi4ELi4ELi64ELc78ELc78ELb0ELb1ELb1EPKdKS4_KPdEEviiiT16_PT17_ilSA_ilS8_SA_ilPT18_ili26rocblas_geam_ex_operation_: ; @_ZN12_GLOBAL__N_120geam_min_plus_kernelId15HIP_vector_typeIdLj2EEdLi32ELi8ELi256ELi64ELi4ELi64ELi4ELi4ELi64ELc78ELc78ELb0ELb1ELb1EPKdKS4_KPdEEviiiT16_PT17_ilSA_ilS8_SA_ilPT18_ili26rocblas_geam_ex_operation_
; %bb.0:
	s_clause 0x1
	s_load_b128 s[16:19], s[0:1], 0x10
	s_load_b128 s[4:7], s[0:1], 0x28
	s_mov_b32 s2, s15
	s_mov_b32 s3, 0
	s_mov_b64 s[24:25], 0
	s_lshl_b64 s[2:3], s[2:3], 3
	s_mov_b64 s[22:23], 0
	s_waitcnt lgkmcnt(0)
	s_add_u32 s8, s16, s2
	s_addc_u32 s9, s17, s3
	s_load_b64 s[20:21], s[8:9], 0x0
	s_clause 0x1
	s_load_b128 s[8:11], s[0:1], 0x40
	s_load_b64 s[16:17], s[0:1], 0x50
	s_waitcnt lgkmcnt(0)
	s_add_u32 s10, s10, s2
	v_cmp_eq_f64_e64 s13, s[20:21], 0
	v_cmp_neq_f64_e64 s12, s[20:21], 0
	s_addc_u32 s11, s11, s3
	s_delay_alu instid0(VALU_DEP_2)
	s_and_b32 vcc_lo, exec_lo, s13
	s_cbranch_vccnz .LBB108_2
; %bb.1:
	s_add_u32 s18, s18, s2
	s_addc_u32 s19, s19, s3
	s_lshl_b64 s[4:5], s[4:5], 3
	s_load_b64 s[18:19], s[18:19], 0x0
	s_waitcnt lgkmcnt(0)
	s_add_u32 s22, s18, s4
	s_addc_u32 s23, s19, s5
.LBB108_2:
	s_load_b64 s[10:11], s[10:11], 0x0
	s_delay_alu instid0(VALU_DEP_1)
	s_and_not1_b32 vcc_lo, exec_lo, s12
	s_cbranch_vccnz .LBB108_4
; %bb.3:
	s_add_u32 s4, s6, s2
	s_addc_u32 s5, s7, s3
	s_lshl_b64 s[6:7], s[8:9], 3
	s_load_b64 s[4:5], s[4:5], 0x0
	s_waitcnt lgkmcnt(0)
	s_add_u32 s24, s4, s6
	s_addc_u32 s25, s5, s7
.LBB108_4:
	s_waitcnt lgkmcnt(0)
	v_cmp_eq_f64_e64 s8, s[10:11], 0
	v_cmp_neq_f64_e64 s9, s[10:11], 0
	s_load_b128 s[4:7], s[0:1], 0x60
	s_mov_b64 s[12:13], 0
	s_delay_alu instid0(VALU_DEP_2)
	s_and_b32 vcc_lo, exec_lo, s8
	s_cbranch_vccnz .LBB108_6
; %bb.5:
	s_add_u32 s12, s16, s2
	s_addc_u32 s13, s17, s3
	s_waitcnt lgkmcnt(0)
	s_lshl_b64 s[4:5], s[4:5], 3
	s_load_b64 s[12:13], s[12:13], 0x0
	s_waitcnt lgkmcnt(0)
	s_add_u32 s12, s12, s4
	s_addc_u32 s13, s13, s5
.LBB108_6:
	s_clause 0x1
	s_load_b128 s[16:19], s[0:1], 0x0
	s_load_b32 s26, s[0:1], 0x20
	s_waitcnt lgkmcnt(0)
	s_add_u32 s2, s6, s2
	s_addc_u32 s3, s7, s3
	v_cmp_eq_f64_e64 s27, s[20:21], 0
	v_and_b32_e32 v221, 0x3ff, v0
	v_bfe_u32 v22, v0, 10, 10
	s_delay_alu instid0(VALU_DEP_1) | instskip(NEXT) | instid1(VALU_DEP_1)
	v_lshl_add_u32 v6, v22, 5, v221
	v_lshrrev_b32_e32 v23, 6, v6
	v_and_b32_e32 v233, 63, v6
	s_add_i32 s4, s16, -1
	s_delay_alu instid0(VALU_DEP_2) | instskip(SKIP_1) | instid1(SALU_CYCLE_1)
	v_cmp_le_i32_e32 vcc_lo, s18, v23
	s_ashr_i32 s5, s4, 31
	s_lshr_b32 s5, s5, 24
	s_delay_alu instid0(SALU_CYCLE_1) | instskip(NEXT) | instid1(SALU_CYCLE_1)
	s_add_i32 s4, s4, s5
	s_ashr_i32 s4, s4, 8
	s_delay_alu instid0(SALU_CYCLE_1) | instskip(SKIP_2) | instid1(VALU_DEP_1)
	s_add_i32 s5, s4, 1
	s_not_b32 s4, s4
	v_cvt_f32_u32_e32 v1, s5
	v_rcp_iflag_f32_e32 v1, v1
	s_waitcnt_depctr 0xfff
	v_mul_f32_e32 v1, 0x4f7ffffe, v1
	s_delay_alu instid0(VALU_DEP_1) | instskip(NEXT) | instid1(VALU_DEP_1)
	v_cvt_u32_f32_e32 v1, v1
	v_readfirstlane_b32 s6, v1
	s_delay_alu instid0(VALU_DEP_1) | instskip(NEXT) | instid1(SALU_CYCLE_1)
	s_mul_i32 s4, s4, s6
	s_mul_hi_u32 s4, s6, s4
	s_delay_alu instid0(SALU_CYCLE_1) | instskip(NEXT) | instid1(SALU_CYCLE_1)
	s_add_i32 s6, s6, s4
	s_mul_hi_u32 s4, s14, s6
	s_delay_alu instid0(SALU_CYCLE_1) | instskip(SKIP_2) | instid1(SALU_CYCLE_1)
	s_mul_i32 s6, s4, s5
	s_add_i32 s7, s4, 1
	s_sub_i32 s6, s14, s6
	s_sub_i32 s8, s6, s5
	s_cmp_ge_u32 s6, s5
	s_cselect_b32 s4, s7, s4
	s_cselect_b32 s6, s8, s6
	s_add_i32 s7, s4, 1
	s_cmp_ge_u32 s6, s5
	s_cselect_b32 s6, s7, s4
	s_add_i32 s28, s18, -1
	s_mul_i32 s4, s6, s5
	v_min_i32_e32 v2, s28, v23
	s_sub_i32 s4, s14, s4
	s_load_b64 s[14:15], s[2:3], 0x0
	s_lshl_b32 s8, s4, 8
	s_delay_alu instid0(VALU_DEP_1) | instskip(SKIP_1) | instid1(VALU_DEP_1)
	v_mad_i64_i32 v[0:1], null, s26, v2, 0
	v_or_b32_e32 v25, s8, v233
	v_cmp_le_i32_e64 s2, s16, v25
	s_delay_alu instid0(VALU_DEP_3) | instskip(SKIP_1) | instid1(VALU_DEP_3)
	v_lshlrev_b64 v[2:3], 3, v[0:1]
	v_ashrrev_i32_e32 v26, 31, v25
	s_or_b32 s4, s2, vcc_lo
	s_delay_alu instid0(VALU_DEP_2) | instskip(SKIP_4) | instid1(SALU_CYCLE_1)
	v_add_co_u32 v7, s3, s22, v2
	v_cndmask_b32_e64 v1, 0, 0x7fefffff, s4
	v_cndmask_b32_e64 v0, 0, -1, s4
	v_add_co_ci_u32_e64 v8, s3, s23, v3, s3
	s_or_b32 s3, s27, s4
	s_xor_b32 s3, s3, -1
	s_delay_alu instid0(SALU_CYCLE_1)
	s_and_saveexec_b32 s4, s3
	s_cbranch_execz .LBB108_8
; %bb.7:
	v_lshlrev_b64 v[0:1], 3, v[25:26]
	s_delay_alu instid0(VALU_DEP_1) | instskip(NEXT) | instid1(VALU_DEP_1)
	v_add_co_u32 v0, s3, v7, v0
	v_add_co_ci_u32_e64 v1, s3, v8, v1, s3
	flat_load_b64 v[0:1], v[0:1]
	s_waitcnt vmcnt(0) lgkmcnt(0)
	v_mul_f64 v[0:1], s[20:21], v[0:1]
.LBB108_8:
	s_or_b32 exec_lo, exec_lo, s4
	v_or_b32_e32 v2, 64, v25
	s_delay_alu instid0(VALU_DEP_1) | instskip(NEXT) | instid1(VALU_DEP_1)
	v_cmp_le_i32_e64 s3, s16, v2
	s_or_b32 s4, s3, vcc_lo
	s_delay_alu instid0(SALU_CYCLE_1) | instskip(SKIP_2) | instid1(SALU_CYCLE_1)
	v_cndmask_b32_e64 v3, 0, 0x7fefffff, s4
	v_cndmask_b32_e64 v2, 0, -1, s4
	s_or_b32 s4, s27, s4
	s_xor_b32 s4, s4, -1
	s_delay_alu instid0(SALU_CYCLE_1)
	s_and_saveexec_b32 s5, s4
	s_cbranch_execz .LBB108_10
; %bb.9:
	v_lshlrev_b64 v[2:3], 3, v[25:26]
	s_delay_alu instid0(VALU_DEP_1) | instskip(NEXT) | instid1(VALU_DEP_1)
	v_add_co_u32 v2, s4, v7, v2
	v_add_co_ci_u32_e64 v3, s4, v8, v3, s4
	flat_load_b64 v[2:3], v[2:3] offset:512
	s_waitcnt vmcnt(0) lgkmcnt(0)
	v_mul_f64 v[2:3], s[20:21], v[2:3]
.LBB108_10:
	s_or_b32 exec_lo, exec_lo, s5
	v_or_b32_e32 v4, 0x80, v25
	s_delay_alu instid0(VALU_DEP_1) | instskip(NEXT) | instid1(VALU_DEP_1)
	v_cmp_le_i32_e64 s4, s16, v4
	s_or_b32 s5, s4, vcc_lo
	s_delay_alu instid0(SALU_CYCLE_1) | instskip(SKIP_2) | instid1(SALU_CYCLE_1)
	v_cndmask_b32_e64 v17, 0, 0x7fefffff, s5
	v_cndmask_b32_e64 v16, 0, -1, s5
	s_or_b32 s5, s27, s5
	s_xor_b32 s5, s5, -1
	s_delay_alu instid0(SALU_CYCLE_1)
	s_and_saveexec_b32 s7, s5
	s_cbranch_execz .LBB108_12
; %bb.11:
	v_lshlrev_b64 v[9:10], 3, v[25:26]
	s_delay_alu instid0(VALU_DEP_1) | instskip(NEXT) | instid1(VALU_DEP_1)
	v_add_co_u32 v9, s5, v7, v9
	v_add_co_ci_u32_e64 v10, s5, v8, v10, s5
	flat_load_b64 v[9:10], v[9:10] offset:1024
	s_waitcnt vmcnt(0) lgkmcnt(0)
	v_mul_f64 v[16:17], s[20:21], v[9:10]
.LBB108_12:
	s_or_b32 exec_lo, exec_lo, s7
	v_or_b32_e32 v4, 0xc0, v25
	s_delay_alu instid0(VALU_DEP_1) | instskip(NEXT) | instid1(VALU_DEP_1)
	v_cmp_le_i32_e64 s5, s16, v4
	s_or_b32 s7, s5, vcc_lo
	s_delay_alu instid0(SALU_CYCLE_1) | instskip(SKIP_2) | instid1(SALU_CYCLE_1)
	v_cndmask_b32_e64 v19, 0, 0x7fefffff, s7
	v_cndmask_b32_e64 v18, 0, -1, s7
	s_or_b32 s7, s27, s7
	s_xor_b32 s19, s7, -1
	s_delay_alu instid0(SALU_CYCLE_1)
	s_and_saveexec_b32 s7, s19
	s_cbranch_execz .LBB108_14
; %bb.13:
	v_lshlrev_b64 v[9:10], 3, v[25:26]
	s_delay_alu instid0(VALU_DEP_1) | instskip(NEXT) | instid1(VALU_DEP_2)
	v_add_co_u32 v7, vcc_lo, v7, v9
	v_add_co_ci_u32_e32 v8, vcc_lo, v8, v10, vcc_lo
	flat_load_b64 v[7:8], v[7:8] offset:1536
	s_waitcnt vmcnt(0) lgkmcnt(0)
	v_mul_f64 v[18:19], s[20:21], v[7:8]
.LBB108_14:
	s_or_b32 exec_lo, exec_lo, s7
	v_lshrrev_b32_e32 v24, 2, v6
	s_load_b32 s30, s[0:1], 0x38
	s_lshl_b32 s19, s6, 6
	v_and_b32_e32 v4, 3, v221
	s_delay_alu instid0(VALU_DEP_2) | instskip(NEXT) | instid1(VALU_DEP_2)
	v_add_nc_u32_e32 v27, s19, v24
	v_cmp_le_i32_e32 vcc_lo, s18, v4
	scratch_store_b32 off, v4, off offset:372 ; 4-byte Folded Spill
	v_cmp_le_i32_e64 s6, s17, v27
	s_delay_alu instid0(VALU_DEP_1) | instskip(NEXT) | instid1(SALU_CYCLE_1)
	s_or_b32 s7, vcc_lo, s6
	v_cndmask_b32_e64 v21, 0, 0x7fefffff, s7
	v_cndmask_b32_e64 v20, 0, -1, s7
	s_or_b32 s7, s27, s7
	s_delay_alu instid0(SALU_CYCLE_1) | instskip(NEXT) | instid1(SALU_CYCLE_1)
	s_xor_b32 s29, s7, -1
	s_and_saveexec_b32 s7, s29
	s_cbranch_execz .LBB108_16
; %bb.15:
	s_waitcnt lgkmcnt(0)
	v_mad_i64_i32 v[6:7], null, v27, s30, 0
	v_and_b32_e32 v4, 3, v221
	s_delay_alu instid0(VALU_DEP_1) | instskip(NEXT) | instid1(VALU_DEP_3)
	v_min_u32_e32 v4, s28, v4
	v_lshlrev_b64 v[6:7], 3, v[6:7]
	s_delay_alu instid0(VALU_DEP_2) | instskip(NEXT) | instid1(VALU_DEP_2)
	v_lshlrev_b32_e32 v4, 3, v4
	v_add_co_u32 v5, vcc_lo, s24, v6
	s_delay_alu instid0(VALU_DEP_3) | instskip(NEXT) | instid1(VALU_DEP_2)
	v_add_co_ci_u32_e32 v7, vcc_lo, s25, v7, vcc_lo
	v_add_co_u32 v6, vcc_lo, v5, v4
	s_delay_alu instid0(VALU_DEP_2)
	v_add_co_ci_u32_e32 v7, vcc_lo, 0, v7, vcc_lo
	flat_load_b64 v[6:7], v[6:7]
	s_waitcnt vmcnt(0) lgkmcnt(0)
	v_mul_f64 v[20:21], s[20:21], v[6:7]
.LBB108_16:
	s_or_b32 exec_lo, exec_lo, s7
	v_add_nc_u32_e32 v4, 4, v23
	s_delay_alu instid0(VALU_DEP_1) | instskip(SKIP_1) | instid1(VALU_DEP_2)
	v_min_i32_e32 v5, s28, v4
	v_cmp_le_i32_e32 vcc_lo, s18, v4
	v_mad_i64_i32 v[6:7], null, s26, v5, 0
	s_or_b32 s29, s2, vcc_lo
	s_delay_alu instid0(SALU_CYCLE_1) | instskip(SKIP_1) | instid1(VALU_DEP_3)
	v_cndmask_b32_e64 v5, 0, 0x7fefffff, s29
	v_cndmask_b32_e64 v4, 0, -1, s29
	v_lshlrev_b64 v[8:9], 3, v[6:7]
	s_delay_alu instid0(VALU_DEP_1) | instskip(NEXT) | instid1(VALU_DEP_1)
	v_add_co_u32 v14, s7, s22, v8
	v_add_co_ci_u32_e64 v15, s7, s23, v9, s7
	s_or_b32 s7, s27, s29
	s_delay_alu instid0(SALU_CYCLE_1) | instskip(NEXT) | instid1(SALU_CYCLE_1)
	s_xor_b32 s7, s7, -1
	s_and_saveexec_b32 s29, s7
	s_cbranch_execz .LBB108_18
; %bb.17:
	v_lshlrev_b64 v[6:7], 3, v[25:26]
	s_delay_alu instid0(VALU_DEP_1) | instskip(NEXT) | instid1(VALU_DEP_1)
	v_add_co_u32 v6, s7, v14, v6
	v_add_co_ci_u32_e64 v7, s7, v15, v7, s7
	flat_load_b64 v[6:7], v[6:7]
	s_waitcnt vmcnt(0) lgkmcnt(0)
	v_mul_f64 v[4:5], s[20:21], v[6:7]
.LBB108_18:
	s_or_b32 exec_lo, exec_lo, s29
	s_or_b32 s7, s3, vcc_lo
	s_delay_alu instid0(SALU_CYCLE_1) | instskip(SKIP_2) | instid1(SALU_CYCLE_1)
	v_cndmask_b32_e64 v7, 0, 0x7fefffff, s7
	v_cndmask_b32_e64 v6, 0, -1, s7
	s_or_b32 s7, s27, s7
	s_xor_b32 s7, s7, -1
	s_delay_alu instid0(SALU_CYCLE_1)
	s_and_saveexec_b32 s29, s7
	s_cbranch_execz .LBB108_20
; %bb.19:
	v_lshlrev_b64 v[8:9], 3, v[25:26]
	s_delay_alu instid0(VALU_DEP_1) | instskip(NEXT) | instid1(VALU_DEP_1)
	v_add_co_u32 v8, s7, v14, v8
	v_add_co_ci_u32_e64 v9, s7, v15, v9, s7
	flat_load_b64 v[8:9], v[8:9] offset:512
	s_waitcnt vmcnt(0) lgkmcnt(0)
	v_mul_f64 v[6:7], s[20:21], v[8:9]
.LBB108_20:
	s_or_b32 exec_lo, exec_lo, s29
	s_or_b32 s7, s4, vcc_lo
	s_delay_alu instid0(SALU_CYCLE_1) | instskip(SKIP_2) | instid1(SALU_CYCLE_1)
	v_cndmask_b32_e64 v9, 0, 0x7fefffff, s7
	v_cndmask_b32_e64 v8, 0, -1, s7
	s_or_b32 s7, s27, s7
	s_xor_b32 s7, s7, -1
	s_delay_alu instid0(SALU_CYCLE_1)
	s_and_saveexec_b32 s29, s7
	s_cbranch_execz .LBB108_22
; %bb.21:
	v_lshlrev_b64 v[10:11], 3, v[25:26]
	s_delay_alu instid0(VALU_DEP_1) | instskip(NEXT) | instid1(VALU_DEP_1)
	v_add_co_u32 v10, s7, v14, v10
	v_add_co_ci_u32_e64 v11, s7, v15, v11, s7
	flat_load_b64 v[10:11], v[10:11] offset:1024
	s_waitcnt vmcnt(0) lgkmcnt(0)
	v_mul_f64 v[8:9], s[20:21], v[10:11]
.LBB108_22:
	s_or_b32 exec_lo, exec_lo, s29
	s_or_b32 s7, s5, vcc_lo
	s_clause 0x1
	scratch_store_b64 off, v[6:7], off offset:304
	scratch_store_b64 off, v[4:5], off offset:296
	v_cndmask_b32_e64 v5, 0, 0x7fefffff, s7
	v_cndmask_b32_e64 v4, 0, -1, s7
	s_or_b32 s7, s27, s7
	s_delay_alu instid0(SALU_CYCLE_1) | instskip(NEXT) | instid1(SALU_CYCLE_1)
	s_xor_b32 s29, s7, -1
	s_and_saveexec_b32 s7, s29
	s_cbranch_execz .LBB108_24
; %bb.23:
	v_lshlrev_b64 v[12:13], 3, v[25:26]
	s_delay_alu instid0(VALU_DEP_1) | instskip(NEXT) | instid1(VALU_DEP_2)
	v_add_co_u32 v12, vcc_lo, v14, v12
	v_add_co_ci_u32_e32 v13, vcc_lo, v15, v13, vcc_lo
	flat_load_b64 v[12:13], v[12:13] offset:1536
	s_waitcnt vmcnt(0) lgkmcnt(0)
	v_mul_f64 v[4:5], s[20:21], v[12:13]
.LBB108_24:
	s_or_b32 exec_lo, exec_lo, s7
	s_clause 0x2
	scratch_store_b64 off, v[4:5], off offset:320
	scratch_store_b64 off, v[8:9], off offset:312
	;; [unrolled: 1-line block ×3, first 2 shown]
	v_and_b32_e32 v4, 3, v221
	s_delay_alu instid0(VALU_DEP_1) | instskip(NEXT) | instid1(VALU_DEP_1)
	v_or_b32_e32 v25, 4, v4
	v_cmp_le_i32_e32 vcc_lo, s18, v25
	s_or_b32 s7, vcc_lo, s6
	s_delay_alu instid0(SALU_CYCLE_1) | instskip(SKIP_4) | instid1(SALU_CYCLE_1)
	v_cndmask_b32_e64 v5, 0, 0x7fefffff, s7
	v_cndmask_b32_e64 v4, 0, -1, s7
	s_or_b32 s29, s27, s7
	s_mov_b32 s7, -1
	s_xor_b32 s31, s29, -1
	s_and_saveexec_b32 s29, s31
	s_cbranch_execz .LBB108_26
; %bb.25:
	s_waitcnt lgkmcnt(0)
	v_mad_i64_i32 v[14:15], null, v27, s30, 0
	v_min_u32_e32 v4, s28, v25
	s_delay_alu instid0(VALU_DEP_1) | instskip(NEXT) | instid1(VALU_DEP_3)
	v_lshlrev_b32_e32 v4, 3, v4
	v_lshlrev_b64 v[14:15], 3, v[14:15]
	s_delay_alu instid0(VALU_DEP_1) | instskip(NEXT) | instid1(VALU_DEP_2)
	v_add_co_u32 v5, vcc_lo, s24, v14
	v_add_co_ci_u32_e32 v6, vcc_lo, s25, v15, vcc_lo
	s_delay_alu instid0(VALU_DEP_2) | instskip(NEXT) | instid1(VALU_DEP_2)
	v_add_co_u32 v14, vcc_lo, v5, v4
	v_add_co_ci_u32_e32 v15, vcc_lo, 0, v6, vcc_lo
	flat_load_b64 v[14:15], v[14:15]
	s_waitcnt vmcnt(0) lgkmcnt(0)
	v_mul_f64 v[4:5], s[20:21], v[14:15]
.LBB108_26:
	s_or_b32 exec_lo, exec_lo, s29
	s_clause 0x2
	scratch_store_b32 off, v27, off offset:352
	scratch_store_b64 off, v[4:5], off offset:328
	scratch_store_b32 off, v23, off offset:368
	v_dual_mov_b32 v66, 0x7f800000 :: v_dual_and_b32 v5, 3, v221
	v_dual_mov_b32 v67, 0x7f800000 :: v_dual_lshlrev_b32 v4, 3, v23
	s_delay_alu instid0(VALU_DEP_2) | instskip(SKIP_1) | instid1(VALU_DEP_3)
	v_dual_mov_b32 v126, 0x7f800000 :: v_dual_lshlrev_b32 v5, 3, v5
	v_dual_mov_b32 v123, 0x7f800000 :: v_dual_mov_b32 v122, 0x7f800000
	v_lshl_add_u32 v4, v233, 5, v4
	v_dual_mov_b32 v127, 0x7f800000 :: v_dual_mov_b32 v128, 0x7f800000
	s_delay_alu instid0(VALU_DEP_4)
	v_lshl_or_b32 v5, v24, 5, v5
	v_dual_mov_b32 v129, 0x7f800000 :: v_dual_mov_b32 v134, 0x7f800000
	ds_store_2addr_stride64_b64 v4, v[0:1], v[2:3] offset1:4
	scratch_store_b32 off, v4, off offset:376 ; 4-byte Folded Spill
	v_add_nc_u32_e32 v0, 0x4000, v5
	ds_store_2addr_stride64_b64 v4, v[16:17], v[18:19] offset0:8 offset1:12
	v_dual_mov_b32 v132, 0x7f800000 :: v_dual_mov_b32 v133, 0x7f800000
	s_clause 0x1
	scratch_store_b32 off, v0, off offset:380
	scratch_store_b32 off, v5, off offset:336
	v_dual_mov_b32 v200, 0x7f800000 :: v_dual_mov_b32 v219, 0x7f800000
	v_dual_mov_b32 v0, 0x7f800000 :: v_dual_mov_b32 v55, 0x7f800000
	;; [unrolled: 1-line block ×26, first 2 shown]
	v_mov_b32_e32 v142, 0x7f800000
	s_mov_b32 s29, 0
	ds_store_b64 v5, v[20:21] offset:16384
	scratch_store_b32 off, v0, off          ; 4-byte Folded Spill
	s_waitcnt lgkmcnt(0)
	s_waitcnt_vscnt null, 0x0
	s_barrier
	buffer_gl0_inv
	scratch_store_b32 off, v22, off offset:4 ; 4-byte Folded Spill
.LBB108_27:                             ; =>This Inner Loop Header: Depth=1
	s_lshl_b32 s29, s29, 3
	v_dual_mov_b32 v27, v55 :: v_dual_mov_b32 v130, v54
	v_lshl_add_u32 v20, v22, 5, s29
	v_lshl_add_u32 v4, v221, 5, s29
	v_mov_b32_e32 v125, v53
	s_mov_b32 s29, 2
	ds_load_b128 v[16:19], v20 offset:16384
	ds_load_b128 v[0:3], v4
	ds_load_b128 v[105:108], v4 offset:1024
	ds_load_b128 v[29:32], v20 offset:16640
	s_and_not1_b32 vcc_lo, exec_lo, s7
	s_mov_b32 s7, 0
	s_waitcnt lgkmcnt(2)
	v_add_f64 v[5:6], v[2:3], v[18:19]
	scratch_store_b64 off, v[5:6], off offset:104 ; 8-byte Folded Spill
	v_add_f64 v[5:6], v[0:1], v[16:17]
	scratch_store_b64 off, v[5:6], off offset:96 ; 8-byte Folded Spill
	s_waitcnt lgkmcnt(1)
	v_add_f64 v[5:6], v[107:108], v[18:19]
	scratch_store_b64 off, v[5:6], off offset:8 ; 8-byte Folded Spill
	v_add_f64 v[5:6], v[105:106], v[16:17]
	scratch_store_b64 off, v[5:6], off offset:64 ; 8-byte Folded Spill
	ds_load_b128 v[33:36], v4 offset:2048
	ds_load_b128 v[37:40], v4 offset:3072
	s_waitcnt lgkmcnt(1)
	v_add_f64 v[5:6], v[35:36], v[18:19]
	scratch_store_b64 off, v[5:6], off offset:40 ; 8-byte Folded Spill
	v_add_f64 v[5:6], v[33:34], v[16:17]
	scratch_store_b64 off, v[5:6], off offset:112 ; 8-byte Folded Spill
	s_waitcnt lgkmcnt(0)
	v_add_f64 v[5:6], v[39:40], v[18:19]
	scratch_store_b64 off, v[5:6], off offset:16 ; 8-byte Folded Spill
	v_add_f64 v[5:6], v[37:38], v[16:17]
	scratch_store_b64 off, v[5:6], off offset:72 ; 8-byte Folded Spill
	ds_load_b128 v[41:44], v4 offset:4096
	ds_load_b128 v[45:48], v4 offset:5120
	;; [unrolled: 1-line block ×4, first 2 shown]
	s_waitcnt lgkmcnt(3)
	v_add_f64 v[5:6], v[43:44], v[18:19]
	scratch_store_b64 off, v[5:6], off offset:48 ; 8-byte Folded Spill
	v_add_f64 v[5:6], v[41:42], v[16:17]
	scratch_store_b64 off, v[5:6], off offset:120 ; 8-byte Folded Spill
	s_waitcnt lgkmcnt(2)
	v_add_f64 v[5:6], v[47:48], v[18:19]
	scratch_store_b64 off, v[5:6], off offset:24 ; 8-byte Folded Spill
	v_add_f64 v[5:6], v[45:46], v[16:17]
	scratch_store_b64 off, v[5:6], off offset:80 ; 8-byte Folded Spill
	;; [unrolled: 5-line block ×4, first 2 shown]
	v_add_f64 v[4:5], v[2:3], v[31:32]
	scratch_store_b64 off, v[4:5], off offset:136 ; 8-byte Folded Spill
	v_add_f64 v[4:5], v[0:1], v[29:30]
	scratch_store_b64 off, v[4:5], off offset:144 ; 8-byte Folded Spill
	;; [unrolled: 2-line block ×16, first 2 shown]
	ds_load_b128 v[16:19], v20 offset:16896
	ds_load_b128 v[29:32], v20 offset:17152
	s_waitcnt lgkmcnt(1)
	v_add_f64 v[4:5], v[47:48], v[18:19]
	v_add_f64 v[168:169], v[2:3], v[18:19]
	;; [unrolled: 1-line block ×13, first 2 shown]
	s_waitcnt lgkmcnt(0)
	v_add_f64 v[174:175], v[2:3], v[31:32]
	v_add_f64 v[224:225], v[0:1], v[29:30]
	;; [unrolled: 1-line block ×16, first 2 shown]
	scratch_store_b64 off, v[4:5], off offset:280 ; 8-byte Folded Spill
	v_add_f64 v[4:5], v[51:52], v[18:19]
	scratch_store_b64 off, v[4:5], off offset:272 ; 8-byte Folded Spill
	v_add_f64 v[4:5], v[55:56], v[18:19]
	;; [unrolled: 2-line block ×3, first 2 shown]
	scratch_store_b64 off, v[4:5], off offset:288 ; 8-byte Folded Spill
	ds_load_b128 v[16:19], v20 offset:17408
	ds_load_b128 v[29:32], v20 offset:17664
	s_waitcnt lgkmcnt(1)
	v_add_f64 v[254:255], v[2:3], v[18:19]
	v_add_f64 v[23:24], v[0:1], v[16:17]
	;; [unrolled: 1-line block ×16, first 2 shown]
	s_waitcnt lgkmcnt(0)
	v_add_f64 v[162:163], v[2:3], v[31:32]
	v_add_f64 v[160:161], v[0:1], v[29:30]
	;; [unrolled: 1-line block ×16, first 2 shown]
	ds_load_b128 v[16:19], v20 offset:17920
	ds_load_b128 v[29:32], v20 offset:18176
	scratch_load_b64 v[77:78], off, off offset:96 ; 8-byte Folded Reload
	v_cvt_f32_f64_e32 v6, v[6:7]
	v_cvt_f32_f64_e32 v8, v[8:9]
	;; [unrolled: 1-line block ×5, first 2 shown]
	s_waitcnt lgkmcnt(1)
	v_add_f64 v[115:116], v[2:3], v[18:19]
	v_add_f64 v[87:88], v[107:108], v[18:19]
	;; [unrolled: 1-line block ×8, first 2 shown]
	s_waitcnt lgkmcnt(0)
	v_add_f64 v[2:3], v[2:3], v[31:32]
	v_add_f64 v[107:108], v[107:108], v[31:32]
	v_add_f64 v[35:36], v[35:36], v[31:32]
	v_add_f64 v[39:40], v[39:40], v[31:32]
	v_add_f64 v[43:44], v[43:44], v[31:32]
	v_add_f64 v[47:48], v[47:48], v[31:32]
	v_add_f64 v[51:52], v[51:52], v[31:32]
	v_add_f64 v[31:32], v[55:56], v[31:32]
	v_mov_b32_e32 v55, v27
	v_add_f64 v[117:118], v[0:1], v[16:17]
	v_add_f64 v[89:90], v[105:106], v[16:17]
	;; [unrolled: 1-line block ×16, first 2 shown]
	v_dual_mov_b32 v54, v130 :: v_dual_mov_b32 v53, v125
	v_min3_f32 v131, v4, v5, v131
	v_cvt_f32_f64_e32 v5, v[21:22]
	v_cvt_f32_f64_e32 v4, v[113:114]
	v_min3_f32 v137, v8, v6, v137
	v_cvt_f32_f64_e32 v6, v[12:13]
	scratch_load_b32 v22, off, off offset:4 ; 4-byte Folded Reload
	v_cvt_f32_f64_e32 v0, v[0:1]
	v_cvt_f32_f64_e32 v1, v[2:3]
	v_min3_f32 v54, v4, v5, v54
	v_cvt_f32_f64_e32 v4, v[109:110]
	v_cvt_f32_f64_e32 v5, v[83:84]
	v_min3_f32 v136, v6, v7, v136
	;; [unrolled: 3-line block ×5, first 2 shown]
	scratch_load_b32 v6, off, off           ; 4-byte Folded Reload
	v_min3_f32 v129, v0, v1, v129
	v_cvt_f32_f64_e32 v0, v[33:34]
	v_cvt_f32_f64_e32 v1, v[35:36]
	v_min3_f32 v124, v4, v5, v124
	v_cvt_f32_f64_e32 v4, v[160:161]
	v_cvt_f32_f64_e32 v5, v[162:163]
	s_delay_alu instid0(VALU_DEP_4) | instskip(SKIP_2) | instid1(VALU_DEP_4)
	v_min3_f32 v127, v0, v1, v127
	v_cvt_f32_f64_e32 v0, v[37:38]
	v_cvt_f32_f64_e32 v1, v[39:40]
	v_min3_f32 v121, v4, v5, v121
	v_cvt_f32_f64_e32 v4, v[156:157]
	v_cvt_f32_f64_e32 v5, v[158:159]
	s_delay_alu instid0(VALU_DEP_4) | instskip(SKIP_2) | instid1(VALU_DEP_4)
	;; [unrolled: 7-line block ×3, first 2 shown]
	v_min3_f32 v126, v0, v1, v126
	v_cvt_f32_f64_e32 v0, v[45:46]
	v_cvt_f32_f64_e32 v1, v[47:48]
	v_min3_f32 v85, v4, v5, v85
	v_cvt_f32_f64_e32 v4, v[148:149]
	v_cvt_f32_f64_e32 v5, v[150:151]
	s_waitcnt vmcnt(2)
	v_cvt_f32_f64_e32 v20, v[77:78]
	scratch_load_b64 v[77:78], off, off offset:104 ; 8-byte Folded Reload
	v_min3_f32 v123, v0, v1, v123
	v_cvt_f32_f64_e32 v0, v[49:50]
	v_cvt_f32_f64_e32 v1, v[51:52]
	v_min3_f32 v55, v4, v5, v55
	v_cvt_f32_f64_e32 v4, v[73:74]
	v_cvt_f32_f64_e32 v5, v[61:62]
	s_delay_alu instid0(VALU_DEP_4) | instskip(SKIP_2) | instid1(VALU_DEP_4)
	v_min3_f32 v66, v0, v1, v66
	v_cvt_f32_f64_e32 v0, v[29:30]
	v_cvt_f32_f64_e32 v1, v[31:32]
	v_min3_f32 v192, v4, v5, v192
	v_cvt_f32_f64_e32 v4, v[69:70]
	v_cvt_f32_f64_e32 v5, v[71:72]
	s_delay_alu instid0(VALU_DEP_4) | instskip(NEXT) | instid1(VALU_DEP_2)
	v_min3_f32 v67, v0, v1, v67
	v_min3_f32 v68, v4, v5, v68
	v_cvt_f32_f64_e32 v4, v[111:112]
	v_cvt_f32_f64_e32 v5, v[63:64]
	s_delay_alu instid0(VALU_DEP_1) | instskip(SKIP_2) | instid1(VALU_DEP_1)
	v_min3_f32 v86, v4, v5, v86
	v_cvt_f32_f64_e32 v4, v[57:58]
	v_cvt_f32_f64_e32 v5, v[59:60]
	v_min3_f32 v210, v4, v5, v210
	v_cvt_f32_f64_e32 v4, v[117:118]
	v_cvt_f32_f64_e32 v5, v[115:116]
	s_delay_alu instid0(VALU_DEP_1) | instskip(SKIP_2) | instid1(VALU_DEP_1)
	v_min3_f32 v219, v4, v5, v219
	v_cvt_f32_f64_e32 v4, v[89:90]
	v_cvt_f32_f64_e32 v5, v[87:88]
	v_min3_f32 v190, v4, v5, v190
	v_cvt_f32_f64_e32 v4, v[93:94]
	v_cvt_f32_f64_e32 v5, v[91:92]
	s_delay_alu instid0(VALU_DEP_1)
	v_min3_f32 v236, v4, v5, v236
	v_cvt_f32_f64_e32 v4, v[208:209]
	v_cvt_f32_f64_e32 v5, v[95:96]
	s_waitcnt vmcnt(0)
	v_cvt_f32_f64_e32 v27, v[77:78]
	scratch_load_b64 v[77:78], off, off offset:64 ; 8-byte Folded Reload
	v_min3_f32 v133, v4, v5, v133
	v_cvt_f32_f64_e32 v4, v[25:26]
	v_cvt_f32_f64_e32 v5, v[99:100]
	v_min3_f32 v143, v20, v27, v143
	s_delay_alu instid0(VALU_DEP_2)
	v_min3_f32 v6, v4, v5, v6
	v_cvt_f32_f64_e32 v4, v[97:98]
	v_cvt_f32_f64_e32 v5, v[222:223]
	scratch_store_b32 off, v6, off          ; 4-byte Folded Spill
	v_min3_f32 v200, v4, v5, v200
	v_cvt_f32_f64_e32 v4, v[101:102]
	v_cvt_f32_f64_e32 v5, v[103:104]
	s_delay_alu instid0(VALU_DEP_1) | instskip(SKIP_2) | instid1(VALU_DEP_1)
	v_min3_f32 v132, v4, v5, v132
	v_cvt_f32_f64_e32 v4, v[16:17]
	v_cvt_f32_f64_e32 v5, v[18:19]
	v_min3_f32 v134, v4, v5, v134
	s_waitcnt vmcnt(0)
	v_cvt_f32_f64_e32 v20, v[77:78]
	scratch_load_b64 v[77:78], off, off offset:8 ; 8-byte Folded Reload
	s_waitcnt vmcnt(0)
	v_cvt_f32_f64_e32 v27, v[77:78]
	scratch_load_b64 v[77:78], off, off offset:112 ; 8-byte Folded Reload
	v_min3_f32 v142, v20, v27, v142
	s_waitcnt vmcnt(0)
	v_cvt_f32_f64_e32 v20, v[77:78]
	scratch_load_b64 v[77:78], off, off offset:40 ; 8-byte Folded Reload
	s_waitcnt vmcnt(0)
	v_cvt_f32_f64_e32 v27, v[77:78]
	scratch_load_b64 v[77:78], off, off offset:72 ; 8-byte Folded Reload
	v_min3_f32 v141, v20, v27, v141
	s_waitcnt vmcnt(0)
	v_cvt_f32_f64_e32 v20, v[77:78]
	scratch_load_b64 v[77:78], off, off offset:16 ; 8-byte Folded Reload
	s_waitcnt vmcnt(0)
	v_cvt_f32_f64_e32 v27, v[77:78]
	scratch_load_b64 v[77:78], off, off offset:120 ; 8-byte Folded Reload
	v_min3_f32 v140, v20, v27, v140
	s_waitcnt vmcnt(0)
	v_cvt_f32_f64_e32 v20, v[77:78]
	scratch_load_b64 v[77:78], off, off offset:48 ; 8-byte Folded Reload
	s_waitcnt vmcnt(0)
	v_cvt_f32_f64_e32 v27, v[77:78]
	scratch_load_b64 v[77:78], off, off offset:80 ; 8-byte Folded Reload
	v_min3_f32 v139, v20, v27, v139
	s_waitcnt vmcnt(0)
	v_cvt_f32_f64_e32 v20, v[77:78]
	scratch_load_b64 v[77:78], off, off offset:24 ; 8-byte Folded Reload
	s_waitcnt vmcnt(0)
	v_cvt_f32_f64_e32 v27, v[77:78]
	scratch_load_b64 v[77:78], off, off offset:128 ; 8-byte Folded Reload
	v_min3_f32 v191, v20, v27, v191
	s_waitcnt vmcnt(0)
	v_cvt_f32_f64_e32 v20, v[77:78]
	scratch_load_b64 v[77:78], off, off offset:56 ; 8-byte Folded Reload
	s_waitcnt vmcnt(0)
	v_cvt_f32_f64_e32 v27, v[77:78]
	scratch_load_b64 v[77:78], off, off offset:88 ; 8-byte Folded Reload
	v_min3_f32 v237, v20, v27, v237
	s_waitcnt vmcnt(0)
	v_cvt_f32_f64_e32 v20, v[77:78]
	scratch_load_b64 v[77:78], off, off offset:32 ; 8-byte Folded Reload
	s_waitcnt vmcnt(0)
	v_cvt_f32_f64_e32 v27, v[77:78]
	scratch_load_b64 v[77:78], off, off offset:144 ; 8-byte Folded Reload
	v_min3_f32 v232, v20, v27, v232
	s_waitcnt vmcnt(0)
	v_cvt_f32_f64_e32 v20, v[77:78]
	scratch_load_b64 v[77:78], off, off offset:136 ; 8-byte Folded Reload
	s_waitcnt vmcnt(0)
	v_cvt_f32_f64_e32 v27, v[77:78]
	scratch_load_b64 v[77:78], off, off offset:160 ; 8-byte Folded Reload
	v_min3_f32 v28, v20, v27, v28
	s_waitcnt vmcnt(0)
	v_cvt_f32_f64_e32 v20, v[77:78]
	scratch_load_b64 v[77:78], off, off offset:152 ; 8-byte Folded Reload
	s_waitcnt vmcnt(0)
	v_cvt_f32_f64_e32 v27, v[77:78]
	scratch_load_b64 v[77:78], off, off offset:176 ; 8-byte Folded Reload
	v_min3_f32 v201, v20, v27, v201
	s_waitcnt vmcnt(0)
	v_cvt_f32_f64_e32 v20, v[77:78]
	scratch_load_b64 v[77:78], off, off offset:168 ; 8-byte Folded Reload
	s_waitcnt vmcnt(0)
	v_cvt_f32_f64_e32 v27, v[77:78]
	scratch_load_b64 v[77:78], off, off offset:192 ; 8-byte Folded Reload
	v_min3_f32 v220, v20, v27, v220
	s_waitcnt vmcnt(0)
	v_cvt_f32_f64_e32 v20, v[77:78]
	scratch_load_b64 v[77:78], off, off offset:184 ; 8-byte Folded Reload
	s_waitcnt vmcnt(0)
	v_cvt_f32_f64_e32 v27, v[77:78]
	scratch_load_b64 v[77:78], off, off offset:208 ; 8-byte Folded Reload
	v_min3_f32 v218, v20, v27, v218
	s_waitcnt vmcnt(0)
	v_cvt_f32_f64_e32 v20, v[77:78]
	scratch_load_b64 v[77:78], off, off offset:200 ; 8-byte Folded Reload
	s_waitcnt vmcnt(0)
	v_cvt_f32_f64_e32 v27, v[77:78]
	scratch_load_b64 v[77:78], off, off offset:224 ; 8-byte Folded Reload
	v_min3_f32 v217, v20, v27, v217
	s_waitcnt vmcnt(0)
	v_cvt_f32_f64_e32 v20, v[77:78]
	scratch_load_b64 v[77:78], off, off offset:216 ; 8-byte Folded Reload
	s_waitcnt vmcnt(0)
	v_cvt_f32_f64_e32 v27, v[77:78]
	scratch_load_b64 v[77:78], off, off offset:240 ; 8-byte Folded Reload
	v_min3_f32 v216, v20, v27, v216
	s_waitcnt vmcnt(0)
	v_cvt_f32_f64_e32 v20, v[77:78]
	scratch_load_b64 v[77:78], off, off offset:232 ; 8-byte Folded Reload
	s_waitcnt vmcnt(0)
	v_cvt_f32_f64_e32 v27, v[77:78]
	scratch_load_b64 v[77:78], off, off offset:256 ; 8-byte Folded Reload
	v_min3_f32 v215, v20, v27, v215
	s_waitcnt vmcnt(0)
	v_cvt_f32_f64_e32 v20, v[77:78]
	scratch_load_b64 v[77:78], off, off offset:248 ; 8-byte Folded Reload
	s_waitcnt vmcnt(0)
	v_cvt_f32_f64_e32 v27, v[77:78]
	scratch_load_b64 v[77:78], off, off offset:280 ; 8-byte Folded Reload
	v_min3_f32 v214, v20, v27, v214
	v_cvt_f32_f64_e32 v20, v[164:165]
	v_cvt_f32_f64_e32 v27, v[168:169]
	s_delay_alu instid0(VALU_DEP_1) | instskip(SKIP_2) | instid1(VALU_DEP_1)
	v_min3_f32 v213, v20, v27, v213
	v_cvt_f32_f64_e32 v20, v[166:167]
	v_cvt_f32_f64_e32 v27, v[176:177]
	v_min3_f32 v212, v20, v27, v212
	v_cvt_f32_f64_e32 v20, v[170:171]
	v_cvt_f32_f64_e32 v27, v[180:181]
	s_delay_alu instid0(VALU_DEP_1) | instskip(SKIP_2) | instid1(VALU_DEP_1)
	v_min3_f32 v211, v20, v27, v211
	v_cvt_f32_f64_e32 v20, v[172:173]
	v_cvt_f32_f64_e32 v27, v[184:185]
	v_min3_f32 v207, v20, v27, v207
	v_cvt_f32_f64_e32 v20, v[178:179]
	v_cvt_f32_f64_e32 v27, v[188:189]
	s_delay_alu instid0(VALU_DEP_1)
	v_min3_f32 v206, v20, v27, v206
	v_cvt_f32_f64_e32 v20, v[182:183]
	s_waitcnt vmcnt(0)
	v_cvt_f32_f64_e32 v27, v[77:78]
	scratch_load_b64 v[77:78], off, off offset:272 ; 8-byte Folded Reload
	v_min3_f32 v205, v20, v27, v205
	v_cvt_f32_f64_e32 v20, v[186:187]
	s_waitcnt vmcnt(0)
	v_cvt_f32_f64_e32 v27, v[77:78]
	scratch_load_b64 v[77:78], off, off offset:288 ; 8-byte Folded Reload
	v_min3_f32 v204, v20, v27, v204
	s_waitcnt vmcnt(0)
	v_cvt_f32_f64_e32 v20, v[77:78]
	scratch_load_b64 v[77:78], off, off offset:264 ; 8-byte Folded Reload
	s_waitcnt vmcnt(0)
	v_cvt_f32_f64_e32 v27, v[77:78]
	s_delay_alu instid0(VALU_DEP_1) | instskip(SKIP_2) | instid1(VALU_DEP_1)
	v_min3_f32 v203, v20, v27, v203
	v_cvt_f32_f64_e32 v20, v[224:225]
	v_cvt_f32_f64_e32 v27, v[174:175]
	v_min3_f32 v202, v20, v27, v202
	v_cvt_f32_f64_e32 v20, v[228:229]
	v_cvt_f32_f64_e32 v27, v[226:227]
	s_delay_alu instid0(VALU_DEP_1) | instskip(SKIP_2) | instid1(VALU_DEP_1)
	v_min3_f32 v199, v20, v27, v199
	v_cvt_f32_f64_e32 v20, v[79:80]
	v_cvt_f32_f64_e32 v27, v[230:231]
	v_min3_f32 v198, v20, v27, v198
	v_cvt_f32_f64_e32 v20, v[119:120]
	;; [unrolled: 7-line block ×4, first 2 shown]
	v_cvt_f32_f64_e32 v27, v[250:251]
	s_delay_alu instid0(VALU_DEP_1) | instskip(SKIP_2) | instid1(VALU_DEP_1)
	v_min3_f32 v194, v20, v27, v194
	v_cvt_f32_f64_e32 v20, v[23:24]
	v_cvt_f32_f64_e32 v23, v[254:255]
	v_min3_f32 v138, v20, v23, v138
	s_cbranch_vccz .LBB108_27
; %bb.28:
	v_mov_b32_e32 v71, v197
	s_clause 0x2
	scratch_load_b32 v197, off, off offset:368
	scratch_load_b64 v[1:2], off, off offset:328
	scratch_load_b32 v5, off, off offset:336
	v_dual_mov_b32 v99, v214 :: v_dual_lshlrev_b32 v0, 5, v233
	v_dual_mov_b32 v95, v220 :: v_dual_mov_b32 v98, v213
	v_dual_mov_b32 v39, v217 :: v_dual_mov_b32 v60, v204
	;; [unrolled: 1-line block ×3, first 2 shown]
	v_mov_b32_e32 v103, v212
	v_mov_b32_e32 v107, v207
	;; [unrolled: 1-line block ×10, first 2 shown]
	s_mov_b32 s29, 8
	s_cmp_gt_i32 s18, 8
	s_waitcnt vmcnt(2)
	v_lshl_add_u32 v0, v197, 3, v0
	s_waitcnt vmcnt(0)
	ds_store_b64 v5, v[1:2] offset:18432
	s_clause 0x1
	scratch_load_b64 v[1:2], off, off offset:296
	scratch_load_b64 v[3:4], off, off offset:304
	s_waitcnt vmcnt(0)
	ds_store_2addr_stride64_b64 v0, v[1:2], v[3:4] offset0:16 offset1:20
	s_clause 0x1
	scratch_load_b64 v[1:2], off, off offset:312
	scratch_load_b64 v[3:4], off, off offset:320
	s_waitcnt vmcnt(0)
	ds_store_2addr_stride64_b64 v0, v[1:2], v[3:4] offset0:24 offset1:28
	s_waitcnt lgkmcnt(0)
	s_waitcnt_vscnt null, 0x0
	s_barrier
	buffer_gl0_inv
	scratch_store_b32 off, v221, off offset:8 ; 4-byte Folded Spill
	s_cbranch_scc0 .LBB108_56
; %bb.29:
	scratch_load_b32 v3, off, off offset:352 ; 4-byte Folded Reload
	v_dual_mov_b32 v121, v219 :: v_dual_add_nc_u32 v0, 0x2000, v0
	v_mov_b32_e32 v6, 0
	v_mov_b32_e32 v74, v60
	scratch_store_b32 off, v0, off offset:384 ; 4-byte Folded Spill
	v_add_nc_u32_e32 v0, 0x4800, v5
	scratch_store_b32 off, v0, off offset:388 ; 4-byte Folded Spill
	s_waitcnt vmcnt(0)
	v_mad_i64_i32 v[1:2], null, v3, s30, 0
	s_delay_alu instid0(VALU_DEP_1) | instskip(NEXT) | instid1(VALU_DEP_1)
	v_lshlrev_b64 v[1:2], 3, v[1:2]
	v_add_co_u32 v0, vcc_lo, s24, v1
	s_delay_alu instid0(VALU_DEP_2)
	v_add_co_ci_u32_e32 v1, vcc_lo, s25, v2, vcc_lo
	scratch_load_b64 v[2:3], off, off offset:344 ; 8-byte Folded Reload
	scratch_store_b32 off, v0, off offset:392 ; 4-byte Folded Spill
	v_add_co_u32 v0, vcc_lo, v0, 32
	s_add_i32 s24, s18, -8
	s_mov_b32 s25, 0
	s_clause 0x1
	scratch_store_b32 off, v0, off offset:400
	scratch_store_b32 off, v1, off offset:396
	v_add_co_ci_u32_e32 v0, vcc_lo, 0, v1, vcc_lo
	s_waitcnt vmcnt(0)
	v_lshlrev_b64 v[4:5], 3, v[2:3]
	s_clause 0x1
	scratch_store_b32 off, v0, off offset:404
	scratch_store_b64 off, v[4:5], off offset:320
.LBB108_30:                             ; =>This Loop Header: Depth=1
                                        ;     Child Loop BB108_41 Depth 2
                                        ;     Child Loop BB108_53 Depth 2
	v_add_nc_u32_e32 v2, s29, v197
	s_delay_alu instid0(VALU_DEP_1) | instskip(SKIP_1) | instid1(VALU_DEP_2)
	v_min_i32_e32 v3, s28, v2
	v_cmp_le_i32_e32 vcc_lo, s18, v2
	v_mad_i64_i32 v[0:1], null, v3, s26, 0
	s_or_b32 s30, s2, vcc_lo
	s_delay_alu instid0(SALU_CYCLE_1) | instskip(SKIP_1) | instid1(VALU_DEP_3)
	v_cndmask_b32_e64 v8, 0, 0x7fefffff, s30
	v_cndmask_b32_e64 v7, 0, -1, s30
	v_lshlrev_b64 v[0:1], 3, v[0:1]
	s_delay_alu instid0(VALU_DEP_1) | instskip(NEXT) | instid1(VALU_DEP_1)
	v_add_co_u32 v0, s7, s22, v0
	v_add_co_ci_u32_e64 v1, s7, s23, v1, s7
	s_or_b32 s7, s27, s30
	s_delay_alu instid0(SALU_CYCLE_1) | instskip(SKIP_3) | instid1(SALU_CYCLE_1)
	s_xor_b32 s7, s7, -1
	s_mov_b32 s30, exec_lo
	v_mov_b32_e32 v41, v98
	s_and_b32 s7, s30, s7
	s_mov_b32 exec_lo, s7
	s_cbranch_execz .LBB108_32
; %bb.31:                               ;   in Loop: Header=BB108_30 Depth=1
	v_add_co_u32 v2, s7, v0, v4
	s_delay_alu instid0(VALU_DEP_1)
	v_add_co_ci_u32_e64 v3, s7, v1, v5, s7
	flat_load_b64 v[2:3], v[2:3]
	s_waitcnt vmcnt(0) lgkmcnt(0)
	v_mul_f64 v[7:8], s[20:21], v[2:3]
.LBB108_32:                             ;   in Loop: Header=BB108_30 Depth=1
	s_or_b32 exec_lo, exec_lo, s30
	s_or_b32 s7, s3, vcc_lo
	s_delay_alu instid0(SALU_CYCLE_1) | instskip(SKIP_2) | instid1(SALU_CYCLE_1)
	v_cndmask_b32_e64 v10, 0, 0x7fefffff, s7
	v_cndmask_b32_e64 v9, 0, -1, s7
	s_or_b32 s7, s27, s7
	s_xor_b32 s7, s7, -1
	s_mov_b32 s30, exec_lo
	v_mov_b32_e32 v64, v63
	v_mov_b32_e32 v135, v59
	s_and_b32 s7, s30, s7
	s_delay_alu instid0(SALU_CYCLE_1)
	s_mov_b32 exec_lo, s7
	s_cbranch_execz .LBB108_34
; %bb.33:                               ;   in Loop: Header=BB108_30 Depth=1
	v_add_co_u32 v2, s7, v0, v4
	s_delay_alu instid0(VALU_DEP_1)
	v_add_co_ci_u32_e64 v3, s7, v1, v5, s7
	flat_load_b64 v[2:3], v[2:3] offset:512
	s_waitcnt vmcnt(0) lgkmcnt(0)
	v_mul_f64 v[9:10], s[20:21], v[2:3]
.LBB108_34:                             ;   in Loop: Header=BB108_30 Depth=1
	s_or_b32 exec_lo, exec_lo, s30
	s_or_b32 s7, s4, vcc_lo
	s_delay_alu instid0(SALU_CYCLE_1) | instskip(SKIP_2) | instid1(SALU_CYCLE_1)
	v_cndmask_b32_e64 v3, 0, 0x7fefffff, s7
	v_cndmask_b32_e64 v2, 0, -1, s7
	s_or_b32 s7, s27, s7
	s_xor_b32 s7, s7, -1
	s_delay_alu instid0(SALU_CYCLE_1)
	s_and_saveexec_b32 s30, s7
	s_cbranch_execz .LBB108_36
; %bb.35:                               ;   in Loop: Header=BB108_30 Depth=1
	v_add_co_u32 v2, s7, v0, v4
	s_delay_alu instid0(VALU_DEP_1)
	v_add_co_ci_u32_e64 v3, s7, v1, v5, s7
	flat_load_b64 v[2:3], v[2:3] offset:1024
	s_waitcnt vmcnt(0) lgkmcnt(0)
	v_mul_f64 v[2:3], s[20:21], v[2:3]
.LBB108_36:                             ;   in Loop: Header=BB108_30 Depth=1
	s_or_b32 exec_lo, exec_lo, s30
	s_or_b32 s7, s5, vcc_lo
	s_clause 0x1
	scratch_store_b64 off, v[9:10], off offset:336
	scratch_store_b64 off, v[7:8], off offset:328
	v_cndmask_b32_e64 v8, 0, 0x7fefffff, s7
	v_cndmask_b32_e64 v7, 0, -1, s7
	s_or_b32 s7, s27, s7
	s_delay_alu instid0(SALU_CYCLE_1) | instskip(NEXT) | instid1(SALU_CYCLE_1)
	s_xor_b32 s30, s7, -1
	s_and_saveexec_b32 s7, s30
	s_cbranch_execz .LBB108_38
; %bb.37:                               ;   in Loop: Header=BB108_30 Depth=1
	v_add_co_u32 v0, vcc_lo, v0, v4
	v_add_co_ci_u32_e32 v1, vcc_lo, v1, v5, vcc_lo
	flat_load_b64 v[0:1], v[0:1] offset:1536
	s_waitcnt vmcnt(0) lgkmcnt(0)
	v_mul_f64 v[7:8], s[20:21], v[0:1]
.LBB108_38:                             ;   in Loop: Header=BB108_30 Depth=1
	s_or_b32 exec_lo, exec_lo, s7
	scratch_load_b32 v0, off, off offset:372 ; 4-byte Folded Reload
	v_dual_mov_b32 v196, v95 :: v_dual_mov_b32 v199, v206
	v_dual_mov_b32 v120, v218 :: v_dual_mov_b32 v43, v107
	;; [unrolled: 1-line block ×3, first 2 shown]
	v_mov_b32_e32 v36, v99
	v_mov_b32_e32 v40, v103
	;; [unrolled: 1-line block ×3, first 2 shown]
	scratch_store_b64 off, v[2:3], off offset:344 ; 8-byte Folded Spill
	s_waitcnt vmcnt(0)
	v_or_b32_e32 v5, s29, v0
	s_delay_alu instid0(VALU_DEP_1) | instskip(SKIP_1) | instid1(SALU_CYCLE_1)
	v_cmp_le_i32_e32 vcc_lo, s18, v5
	s_or_b32 s7, vcc_lo, s6
	v_cndmask_b32_e64 v1, 0, 0x7fefffff, s7
	v_cndmask_b32_e64 v0, 0, -1, s7
	s_or_b32 s7, s27, s7
	s_delay_alu instid0(SALU_CYCLE_1) | instskip(NEXT) | instid1(SALU_CYCLE_1)
	s_xor_b32 s30, s7, -1
	s_and_saveexec_b32 s7, s30
	s_cbranch_execz .LBB108_40
; %bb.39:                               ;   in Loop: Header=BB108_30 Depth=1
	scratch_load_b32 v2, off, off offset:392 ; 4-byte Folded Reload
	v_lshlrev_b64 v[0:1], 3, v[5:6]
	s_waitcnt vmcnt(0)
	s_delay_alu instid0(VALU_DEP_1)
	v_add_co_u32 v0, vcc_lo, v2, v0
	scratch_load_b32 v2, off, off offset:396 ; 4-byte Folded Reload
	s_waitcnt vmcnt(0)
	v_add_co_ci_u32_e32 v1, vcc_lo, v2, v1, vcc_lo
	flat_load_b64 v[0:1], v[0:1]
	s_waitcnt vmcnt(0) lgkmcnt(0)
	v_mul_f64 v[0:1], s[20:21], v[0:1]
.LBB108_40:                             ;   in Loop: Header=BB108_30 Depth=1
	s_or_b32 exec_lo, exec_lo, s7
	v_dual_mov_b32 v51, v57 :: v_dual_mov_b32 v68, v70
	v_dual_mov_b32 v72, v202 :: v_dual_mov_b32 v205, v211
	v_mov_b32_e32 v204, v210
	s_mov_b32 s30, 0
	s_mov_b32 s7, -1
	s_clause 0x2
	scratch_store_b64 off, v[0:1], off offset:360
	scratch_store_b64 off, v[7:8], off offset:352
	;; [unrolled: 1-line block ×3, first 2 shown]
.LBB108_41:                             ;   Parent Loop BB108_30 Depth=1
                                        ; =>  This Inner Loop Header: Depth=2
	s_lshl_b32 s30, s30, 3
	v_dual_mov_b32 v52, v124 :: v_dual_mov_b32 v233, v190
	v_lshl_add_u32 v29, v22, 5, s30
	v_lshl_add_u32 v4, v221, 5, s30
	v_mov_b32_e32 v190, v138
	v_dual_mov_b32 v148, v86 :: v_dual_mov_b32 v151, v87
	ds_load_b128 v[46:49], v29 offset:18432
	ds_load_b128 v[0:3], v4 offset:8192
	;; [unrolled: 1-line block ×4, first 2 shown]
	s_mov_b32 s30, 2
	s_and_not1_b32 vcc_lo, exec_lo, s7
	s_mov_b32 s7, 0
	s_waitcnt lgkmcnt(2)
	v_add_f64 v[124:125], v[2:3], v[48:49]
	s_waitcnt lgkmcnt(1)
	v_add_f64 v[5:6], v[156:157], v[48:49]
	v_add_f64 v[144:145], v[0:1], v[46:47]
	scratch_store_b64 off, v[5:6], off offset:16 ; 8-byte Folded Spill
	v_add_f64 v[5:6], v[154:155], v[46:47]
	scratch_store_b64 off, v[5:6], off offset:72 ; 8-byte Folded Spill
	ds_load_b128 v[162:165], v4 offset:10240
	ds_load_b128 v[166:169], v4 offset:11264
	s_waitcnt lgkmcnt(1)
	v_add_f64 v[5:6], v[164:165], v[48:49]
	scratch_store_b64 off, v[5:6], off offset:48 ; 8-byte Folded Spill
	v_add_f64 v[5:6], v[162:163], v[46:47]
	scratch_store_b64 off, v[5:6], off offset:104 ; 8-byte Folded Spill
	s_waitcnt lgkmcnt(0)
	v_add_f64 v[5:6], v[168:169], v[48:49]
	scratch_store_b64 off, v[5:6], off offset:24 ; 8-byte Folded Spill
	v_add_f64 v[5:6], v[166:167], v[46:47]
	scratch_store_b64 off, v[5:6], off offset:80 ; 8-byte Folded Spill
	ds_load_b128 v[170:173], v4 offset:12288
	ds_load_b128 v[174:177], v4 offset:13312
	s_waitcnt lgkmcnt(1)
	v_add_f64 v[5:6], v[172:173], v[48:49]
	scratch_store_b64 off, v[5:6], off offset:56 ; 8-byte Folded Spill
	v_add_f64 v[5:6], v[170:171], v[46:47]
	scratch_store_b64 off, v[5:6], off offset:112 ; 8-byte Folded Spill
	s_waitcnt lgkmcnt(0)
	;; [unrolled: 12-line block ×3, first 2 shown]
	v_add_f64 v[4:5], v[184:185], v[48:49]
	v_mov_b32_e32 v49, v85
	scratch_store_b64 off, v[4:5], off offset:40 ; 8-byte Folded Spill
	v_add_f64 v[4:5], v[182:183], v[46:47]
	scratch_store_b64 off, v[4:5], off offset:96 ; 8-byte Folded Spill
	v_add_f64 v[4:5], v[2:3], v[160:161]
	;; [unrolled: 2-line block ×17, first 2 shown]
	scratch_store_b64 off, v[4:5], off offset:248 ; 8-byte Folded Spill
	ds_load_b128 v[158:161], v29 offset:18944
	ds_load_b128 v[186:189], v29 offset:19200
	s_waitcnt lgkmcnt(1)
	v_add_f64 v[4:5], v[172:173], v[160:161]
	v_add_f64 v[146:147], v[2:3], v[160:161]
	;; [unrolled: 1-line block ×10, first 2 shown]
	s_waitcnt lgkmcnt(0)
	v_add_f64 v[222:223], v[2:3], v[188:189]
	v_add_f64 v[224:225], v[0:1], v[186:187]
	;; [unrolled: 1-line block ×16, first 2 shown]
	scratch_store_b64 off, v[4:5], off offset:288 ; 8-byte Folded Spill
	v_add_f64 v[4:5], v[176:177], v[160:161]
	scratch_store_b64 off, v[4:5], off offset:280 ; 8-byte Folded Spill
	v_add_f64 v[4:5], v[174:175], v[158:159]
	;; [unrolled: 2-line block ×6, first 2 shown]
	scratch_store_b64 off, v[4:5], off offset:264 ; 8-byte Folded Spill
	ds_load_b128 v[158:161], v29 offset:19456
	ds_load_b128 v[186:189], v29 offset:19712
	s_waitcnt lgkmcnt(1)
	v_add_f64 v[254:255], v[2:3], v[160:161]
	v_add_f64 v[152:153], v[0:1], v[158:159]
	;; [unrolled: 1-line block ×16, first 2 shown]
	s_waitcnt lgkmcnt(0)
	v_add_f64 v[88:89], v[2:3], v[188:189]
	v_add_f64 v[90:91], v[0:1], v[186:187]
	v_add_f64 v[92:93], v[156:157], v[188:189]
	v_add_f64 v[24:25], v[154:155], v[186:187]
	v_add_f64 v[94:95], v[164:165], v[188:189]
	v_add_f64 v[22:23], v[162:163], v[186:187]
	v_add_f64 v[96:97], v[168:169], v[188:189]
	v_add_f64 v[98:99], v[166:167], v[186:187]
	v_add_f64 v[56:57], v[172:173], v[188:189]
	v_add_f64 v[58:59], v[170:171], v[186:187]
	v_add_f64 v[60:61], v[176:177], v[188:189]
	v_add_f64 v[62:63], v[174:175], v[186:187]
	v_add_f64 v[100:101], v[180:181], v[188:189]
	v_add_f64 v[76:77], v[178:179], v[186:187]
	v_add_f64 v[102:103], v[184:185], v[188:189]
	v_add_f64 v[20:21], v[182:183], v[186:187]
	ds_load_b128 v[158:161], v29 offset:19968
	ds_load_b128 v[186:189], v29 offset:20224
	v_cvt_f32_f64_e32 v29, v[144:145]
	v_dual_mov_b32 v144, v133 :: v_dual_mov_b32 v133, v128
	v_mov_b32_e32 v128, v126
	v_mov_b32_e32 v126, v122
	;; [unrolled: 1-line block ×3, first 2 shown]
	v_cvt_f32_f64_e32 v66, v[124:125]
	v_mov_b32_e32 v124, v52
	v_cvt_f32_f64_e32 v4, v[4:5]
	v_cvt_f32_f64_e32 v5, v[149:150]
	s_waitcnt lgkmcnt(1)
	v_add_f64 v[106:107], v[0:1], v[158:159]
	v_add_f64 v[110:111], v[154:155], v[158:159]
	;; [unrolled: 1-line block ×8, first 2 shown]
	s_waitcnt lgkmcnt(0)
	v_add_f64 v[0:1], v[0:1], v[186:187]
	v_add_f64 v[154:155], v[154:155], v[186:187]
	;; [unrolled: 1-line block ×8, first 2 shown]
	scratch_load_b64 v[186:187], off, off offset:72 ; 8-byte Folded Reload
	v_add_f64 v[104:105], v[2:3], v[160:161]
	v_add_f64 v[108:109], v[156:157], v[160:161]
	;; [unrolled: 1-line block ×9, first 2 shown]
	v_min3_f32 v143, v29, v66, v143
	v_add_f64 v[172:173], v[172:173], v[188:189]
	v_add_f64 v[216:217], v[176:177], v[160:161]
	v_min3_f32 v135, v4, v5, v135
	v_cvt_f32_f64_e32 v4, v[8:9]
	v_cvt_f32_f64_e32 v5, v[6:7]
	v_add_f64 v[176:177], v[176:177], v[188:189]
	v_add_f64 v[212:213], v[180:181], v[160:161]
	;; [unrolled: 1-line block ×5, first 2 shown]
	v_cvt_f32_f64_e32 v0, v[0:1]
	v_cvt_f32_f64_e32 v1, v[2:3]
	v_min3_f32 v136, v4, v5, v136
	v_cvt_f32_f64_e32 v4, v[12:13]
	v_cvt_f32_f64_e32 v5, v[10:11]
	s_delay_alu instid0(VALU_DEP_1) | instskip(SKIP_2) | instid1(VALU_DEP_1)
	v_min3_f32 v51, v4, v5, v51
	v_cvt_f32_f64_e32 v4, v[16:17]
	v_cvt_f32_f64_e32 v5, v[14:15]
	v_min3_f32 v193, v4, v5, v193
	v_cvt_f32_f64_e32 v4, v[78:79]
	v_cvt_f32_f64_e32 v5, v[26:27]
	s_delay_alu instid0(VALU_DEP_1) | instskip(SKIP_3) | instid1(VALU_DEP_2)
	v_min3_f32 v54, v4, v5, v54
	v_cvt_f32_f64_e32 v4, v[82:83]
	v_cvt_f32_f64_e32 v5, v[84:85]
	v_mov_b32_e32 v85, v49
	v_min3_f32 v53, v4, v5, v53
	v_cvt_f32_f64_e32 v4, v[86:87]
	v_mov_b32_e32 v87, v151
	v_cvt_f32_f64_e32 v5, v[130:131]
	v_mov_b32_e32 v86, v148
	s_delay_alu instid0(VALU_DEP_2) | instskip(SKIP_2) | instid1(VALU_DEP_1)
	v_min3_f32 v124, v4, v5, v124
	v_cvt_f32_f64_e32 v4, v[90:91]
	v_cvt_f32_f64_e32 v5, v[88:89]
	v_min3_f32 v64, v4, v5, v64
	v_cvt_f32_f64_e32 v4, v[24:25]
	v_cvt_f32_f64_e32 v5, v[92:93]
	s_waitcnt vmcnt(0)
	v_cvt_f32_f64_e32 v29, v[186:187]
	scratch_load_b64 v[186:187], off, off offset:16 ; 8-byte Folded Reload
	v_min3_f32 v65, v4, v5, v65
	v_cvt_f32_f64_e32 v4, v[22:23]
	scratch_load_b32 v22, off, off offset:4 ; 4-byte Folded Reload
	v_cvt_f32_f64_e32 v5, v[94:95]
	s_delay_alu instid0(VALU_DEP_1) | instskip(SKIP_2) | instid1(VALU_DEP_1)
	v_min3_f32 v85, v4, v5, v85
	v_cvt_f32_f64_e32 v4, v[98:99]
	v_cvt_f32_f64_e32 v5, v[96:97]
	v_min3_f32 v55, v4, v5, v55
	v_cvt_f32_f64_e32 v4, v[58:59]
	v_cvt_f32_f64_e32 v5, v[56:57]
	s_delay_alu instid0(VALU_DEP_1) | instskip(SKIP_2) | instid1(VALU_DEP_1)
	v_min3_f32 v192, v4, v5, v192
	v_cvt_f32_f64_e32 v4, v[62:63]
	v_cvt_f32_f64_e32 v5, v[60:61]
	v_min3_f32 v87, v4, v5, v87
	v_cvt_f32_f64_e32 v4, v[76:77]
	;; [unrolled: 7-line block ×3, first 2 shown]
	v_cvt_f32_f64_e32 v5, v[104:105]
	s_delay_alu instid0(VALU_DEP_1)
	v_min3_f32 v121, v4, v5, v121
	v_cvt_f32_f64_e32 v4, v[110:111]
	v_cvt_f32_f64_e32 v5, v[108:109]
	s_waitcnt vmcnt(1)
	v_cvt_f32_f64_e32 v66, v[186:187]
	scratch_load_b64 v[186:187], off, off offset:104 ; 8-byte Folded Reload
	v_min3_f32 v142, v29, v66, v142
	s_waitcnt vmcnt(0)
	v_cvt_f32_f64_e32 v29, v[186:187]
	scratch_load_b64 v[186:187], off, off offset:48 ; 8-byte Folded Reload
	s_waitcnt vmcnt(0)
	v_cvt_f32_f64_e32 v66, v[186:187]
	scratch_load_b64 v[186:187], off, off offset:80 ; 8-byte Folded Reload
	v_min3_f32 v141, v29, v66, v141
	s_waitcnt vmcnt(0)
	v_cvt_f32_f64_e32 v29, v[186:187]
	scratch_load_b64 v[186:187], off, off offset:24 ; 8-byte Folded Reload
	;; [unrolled: 7-line block ×7, first 2 shown]
	s_waitcnt vmcnt(0)
	v_cvt_f32_f64_e32 v66, v[186:187]
	s_delay_alu instid0(VALU_DEP_1)
	v_min3_f32 v28, v29, v66, v28
	v_mov_b32_e32 v66, v122
	v_mov_b32_e32 v122, v126
	;; [unrolled: 1-line block ×3, first 2 shown]
	v_dual_mov_b32 v128, v133 :: v_dual_mov_b32 v133, v144
	scratch_load_b64 v[144:145], off, off offset:152 ; 8-byte Folded Reload
	v_min3_f32 v128, v0, v1, v128
	v_cvt_f32_f64_e32 v0, v[154:155]
	v_cvt_f32_f64_e32 v1, v[156:157]
	s_delay_alu instid0(VALU_DEP_1) | instskip(SKIP_2) | instid1(VALU_DEP_1)
	v_min3_f32 v129, v0, v1, v129
	v_cvt_f32_f64_e32 v0, v[162:163]
	v_cvt_f32_f64_e32 v1, v[164:165]
	v_min3_f32 v127, v0, v1, v127
	v_cvt_f32_f64_e32 v0, v[166:167]
	v_cvt_f32_f64_e32 v1, v[168:169]
	s_delay_alu instid0(VALU_DEP_1) | instskip(SKIP_2) | instid1(VALU_DEP_1)
	v_min3_f32 v122, v0, v1, v122
	v_cvt_f32_f64_e32 v0, v[170:171]
	v_cvt_f32_f64_e32 v1, v[172:173]
	;; [unrolled: 7-line block ×3, first 2 shown]
	v_min3_f32 v66, v0, v1, v66
	v_cvt_f32_f64_e32 v0, v[182:183]
	v_cvt_f32_f64_e32 v1, v[184:185]
	s_delay_alu instid0(VALU_DEP_1)
	v_min3_f32 v67, v0, v1, v67
	s_waitcnt vmcnt(0)
	v_cvt_f32_f64_e32 v29, v[144:145]
	scratch_load_b64 v[144:145], off, off offset:144 ; 8-byte Folded Reload
	s_waitcnt vmcnt(0)
	v_cvt_f32_f64_e32 v52, v[144:145]
	scratch_load_b64 v[144:145], off, off offset:168 ; 8-byte Folded Reload
	v_min3_f32 v201, v29, v52, v201
	s_waitcnt vmcnt(0)
	v_cvt_f32_f64_e32 v29, v[144:145]
	scratch_load_b64 v[144:145], off, off offset:160 ; 8-byte Folded Reload
	s_waitcnt vmcnt(0)
	v_cvt_f32_f64_e32 v50, v[144:145]
	scratch_load_b64 v[144:145], off, off offset:184 ; 8-byte Folded Reload
	;; [unrolled: 7-line block ×6, first 2 shown]
	v_min3_f32 v37, v29, v44, v37
	s_waitcnt vmcnt(0)
	v_cvt_f32_f64_e32 v29, v[144:145]
	scratch_load_b64 v[144:145], off, off offset:240 ; 8-byte Folded Reload
	s_waitcnt vmcnt(0)
	v_cvt_f32_f64_e32 v42, v[144:145]
	s_delay_alu instid0(VALU_DEP_1) | instskip(SKIP_2) | instid1(VALU_DEP_1)
	v_min3_f32 v36, v29, v42, v36
	v_cvt_f32_f64_e32 v29, v[116:117]
	v_cvt_f32_f64_e32 v42, v[146:147]
	v_min3_f32 v41, v29, v42, v41
	v_cvt_f32_f64_e32 v29, v[137:138]
	v_cvt_f32_f64_e32 v42, v[118:119]
	v_mov_b32_e32 v138, v190
	v_mov_b32_e32 v190, v233
	s_delay_alu instid0(VALU_DEP_1)
	v_min3_f32 v190, v4, v5, v190
	v_cvt_f32_f64_e32 v4, v[218:219]
	v_cvt_f32_f64_e32 v5, v[112:113]
	v_min3_f32 v40, v29, v42, v40
	v_cvt_f32_f64_e32 v29, v[18:19]
	v_cvt_f32_f64_e32 v18, v[34:35]
	;; [unrolled: 1-line block ×3, first 2 shown]
	v_min3_f32 v236, v4, v5, v236
	v_cvt_f32_f64_e32 v4, v[210:211]
	v_cvt_f32_f64_e32 v5, v[214:215]
	v_min3_f32 v205, v29, v18, v205
	v_cvt_f32_f64_e32 v18, v[32:33]
	scratch_load_b64 v[32:33], off, off offset:288 ; 8-byte Folded Reload
	v_min3_f32 v133, v4, v5, v133
	v_cvt_f32_f64_e32 v5, v[220:221]
	v_cvt_f32_f64_e32 v4, v[206:207]
	v_min3_f32 v43, v18, v19, v43
	v_cvt_f32_f64_e32 v18, v[208:209]
	s_waitcnt vmcnt(0)
	v_cvt_f32_f64_e32 v19, v[32:33]
	scratch_load_b64 v[32:33], off, off offset:280 ; 8-byte Folded Reload
	v_min3_f32 v199, v18, v19, v199
	scratch_load_b64 v[18:19], off, off offset:304 ; 8-byte Folded Reload
	s_waitcnt vmcnt(0)
	v_cvt_f32_f64_e32 v18, v[18:19]
	v_cvt_f32_f64_e32 v19, v[32:33]
	scratch_load_b64 v[32:33], off, off offset:272 ; 8-byte Folded Reload
	v_min3_f32 v45, v18, v19, v45
	scratch_load_b64 v[18:19], off, off offset:296 ; 8-byte Folded Reload
	s_waitcnt vmcnt(0)
	v_cvt_f32_f64_e32 v18, v[18:19]
	v_cvt_f32_f64_e32 v19, v[32:33]
	scratch_load_b64 v[32:33], off, off offset:256 ; 8-byte Folded Reload
	v_min3_f32 v74, v18, v19, v74
	s_clause 0x2
	scratch_load_b64 v[18:19], off, off offset:264
	scratch_load_b32 v221, off, off offset:8
	scratch_load_b32 v6, off, off
	s_waitcnt vmcnt(2)
	v_cvt_f32_f64_e32 v18, v[18:19]
	v_cvt_f32_f64_e32 v19, v[32:33]
	s_waitcnt vmcnt(0)
	v_min3_f32 v6, v4, v5, v6
	v_cvt_f32_f64_e32 v4, v[202:203]
	v_cvt_f32_f64_e32 v5, v[216:217]
	scratch_store_b32 off, v6, off          ; 4-byte Folded Spill
	v_min3_f32 v75, v18, v19, v75
	v_cvt_f32_f64_e32 v18, v[224:225]
	v_cvt_f32_f64_e32 v19, v[222:223]
	v_min3_f32 v200, v4, v5, v200
	v_cvt_f32_f64_e32 v4, v[114:115]
	v_cvt_f32_f64_e32 v5, v[212:213]
	s_delay_alu instid0(VALU_DEP_4) | instskip(SKIP_2) | instid1(VALU_DEP_4)
	v_min3_f32 v72, v18, v19, v72
	v_cvt_f32_f64_e32 v18, v[228:229]
	v_cvt_f32_f64_e32 v19, v[226:227]
	v_min3_f32 v132, v4, v5, v132
	v_cvt_f32_f64_e32 v4, v[158:159]
	v_cvt_f32_f64_e32 v5, v[160:161]
	s_delay_alu instid0(VALU_DEP_4) | instskip(SKIP_2) | instid1(VALU_DEP_4)
	v_min3_f32 v73, v18, v19, v73
	v_cvt_f32_f64_e32 v18, v[80:81]
	v_cvt_f32_f64_e32 v19, v[230:231]
	v_min3_f32 v134, v4, v5, v134
	s_delay_alu instid0(VALU_DEP_2) | instskip(SKIP_2) | instid1(VALU_DEP_1)
	v_min3_f32 v198, v18, v19, v198
	v_cvt_f32_f64_e32 v18, v[30:31]
	v_cvt_f32_f64_e32 v19, v[234:235]
	v_min3_f32 v71, v18, v19, v71
	v_cvt_f32_f64_e32 v18, v[240:241]
	v_cvt_f32_f64_e32 v19, v[238:239]
	s_delay_alu instid0(VALU_DEP_1) | instskip(SKIP_2) | instid1(VALU_DEP_1)
	v_min3_f32 v68, v18, v19, v68
	v_cvt_f32_f64_e32 v18, v[244:245]
	v_cvt_f32_f64_e32 v19, v[242:243]
	v_min3_f32 v69, v18, v19, v69
	v_cvt_f32_f64_e32 v18, v[248:249]
	v_cvt_f32_f64_e32 v19, v[246:247]
	s_delay_alu instid0(VALU_DEP_1) | instskip(SKIP_2) | instid1(VALU_DEP_1)
	v_min3_f32 v195, v18, v19, v195
	v_cvt_f32_f64_e32 v18, v[252:253]
	v_cvt_f32_f64_e32 v19, v[250:251]
	v_min3_f32 v194, v18, v19, v194
	v_cvt_f32_f64_e32 v18, v[152:153]
	v_cvt_f32_f64_e32 v19, v[254:255]
	s_delay_alu instid0(VALU_DEP_1)
	v_min3_f32 v138, v18, v19, v138
	s_cbranch_vccz .LBB108_41
; %bb.42:                               ;   in Loop: Header=BB108_30 Depth=1
	v_add3_u32 v2, v197, s29, 4
	v_dual_mov_b32 v102, v205 :: v_dual_mov_b32 v57, v51
	v_mov_b32_e32 v60, v74
	v_mov_b32_e32 v74, v72
	s_delay_alu instid0(VALU_DEP_4) | instskip(SKIP_2) | instid1(VALU_DEP_3)
	v_min_i32_e32 v3, s28, v2
	v_cmp_le_i32_e32 vcc_lo, s18, v2
	v_mov_b32_e32 v70, v68
	v_mad_i64_i32 v[0:1], null, v3, s26, 0
	s_clause 0x2
	scratch_load_b32 v3, off, off offset:376
	scratch_load_b64 v[4:5], off, off offset:328
	scratch_load_b64 v[6:7], off, off offset:336
	s_or_b32 s30, s2, vcc_lo
	v_lshlrev_b64 v[0:1], 3, v[0:1]
	s_delay_alu instid0(VALU_DEP_1) | instskip(NEXT) | instid1(VALU_DEP_1)
	v_add_co_u32 v0, s7, s22, v0
	v_add_co_ci_u32_e64 v1, s7, s23, v1, s7
	s_or_b32 s7, s27, s30
	s_delay_alu instid0(SALU_CYCLE_1)
	s_xor_b32 s7, s7, -1
	s_waitcnt vmcnt(0)
	ds_store_2addr_stride64_b64 v3, v[4:5], v[6:7] offset1:4
	s_clause 0x1
	scratch_load_b64 v[4:5], off, off offset:344
	scratch_load_b64 v[6:7], off, off offset:352
	s_waitcnt vmcnt(0)
	ds_store_2addr_stride64_b64 v3, v[4:5], v[6:7] offset0:8 offset1:12
	s_clause 0x1
	scratch_load_b32 v2, off, off offset:380
	scratch_load_b64 v[3:4], off, off offset:360
	s_waitcnt vmcnt(0)
	ds_store_b64 v2, v[3:4]
	v_cndmask_b32_e64 v3, 0, 0x7fefffff, s30
	v_cndmask_b32_e64 v2, 0, -1, s30
	s_waitcnt lgkmcnt(0)
	s_waitcnt_vscnt null, 0x0
	s_barrier
	buffer_gl0_inv
	s_mov_b32 s30, exec_lo
	scratch_load_b64 v[4:5], off, off offset:320 ; 8-byte Folded Reload
	s_and_b32 s7, s30, s7
	s_delay_alu instid0(SALU_CYCLE_1)
	s_mov_b32 exec_lo, s7
	s_cbranch_execz .LBB108_44
; %bb.43:                               ;   in Loop: Header=BB108_30 Depth=1
	s_waitcnt vmcnt(0)
	v_add_co_u32 v2, s7, v0, v4
	s_delay_alu instid0(VALU_DEP_1)
	v_add_co_ci_u32_e64 v3, s7, v1, v5, s7
	flat_load_b64 v[2:3], v[2:3]
	s_waitcnt vmcnt(0) lgkmcnt(0)
	v_mul_f64 v[2:3], s[20:21], v[2:3]
.LBB108_44:                             ;   in Loop: Header=BB108_30 Depth=1
	s_or_b32 exec_lo, exec_lo, s30
	s_or_b32 s7, s3, vcc_lo
	scratch_store_b64 off, v[2:3], off offset:288 ; 8-byte Folded Spill
	v_cndmask_b32_e64 v9, 0, 0x7fefffff, s7
	v_cndmask_b32_e64 v8, 0, -1, s7
	s_or_b32 s7, s27, s7
	s_delay_alu instid0(SALU_CYCLE_1)
	s_xor_b32 s7, s7, -1
	s_mov_b32 s30, exec_lo
	v_mov_b32_e32 v61, v45
	v_mov_b32_e32 v107, v43
	;; [unrolled: 1-line block ×5, first 2 shown]
	s_and_b32 s7, s30, s7
	s_delay_alu instid0(SALU_CYCLE_1)
	s_mov_b32 exec_lo, s7
	s_cbranch_execz .LBB108_46
; %bb.45:                               ;   in Loop: Header=BB108_30 Depth=1
	s_waitcnt vmcnt(0)
	v_add_co_u32 v2, s7, v0, v4
	s_delay_alu instid0(VALU_DEP_1)
	v_add_co_ci_u32_e64 v3, s7, v1, v5, s7
	flat_load_b64 v[2:3], v[2:3] offset:512
	s_waitcnt vmcnt(0) lgkmcnt(0)
	v_mul_f64 v[8:9], s[20:21], v[2:3]
.LBB108_46:                             ;   in Loop: Header=BB108_30 Depth=1
	s_or_b32 exec_lo, exec_lo, s30
	s_or_b32 s7, s4, vcc_lo
	s_delay_alu instid0(SALU_CYCLE_1) | instskip(SKIP_2) | instid1(SALU_CYCLE_1)
	v_cndmask_b32_e64 v3, 0, 0x7fefffff, s7
	v_cndmask_b32_e64 v2, 0, -1, s7
	s_or_b32 s7, s27, s7
	s_xor_b32 s7, s7, -1
	s_mov_b32 s30, exec_lo
	scratch_load_b64 v[6:7], off, off offset:312 ; 8-byte Folded Reload
	s_and_b32 s7, s30, s7
	s_delay_alu instid0(SALU_CYCLE_1)
	s_mov_b32 exec_lo, s7
	s_cbranch_execz .LBB108_48
; %bb.47:                               ;   in Loop: Header=BB108_30 Depth=1
	s_waitcnt vmcnt(1)
	v_add_co_u32 v2, s7, v0, v4
	s_delay_alu instid0(VALU_DEP_1)
	v_add_co_ci_u32_e64 v3, s7, v1, v5, s7
	flat_load_b64 v[2:3], v[2:3] offset:1024
	s_waitcnt vmcnt(0) lgkmcnt(0)
	v_mul_f64 v[2:3], s[20:21], v[2:3]
.LBB108_48:                             ;   in Loop: Header=BB108_30 Depth=1
	s_or_b32 exec_lo, exec_lo, s30
	s_or_b32 s7, s5, vcc_lo
	scratch_store_b64 off, v[8:9], off offset:296 ; 8-byte Folded Spill
	v_cndmask_b32_e64 v9, 0, 0x7fefffff, s7
	v_cndmask_b32_e64 v8, 0, -1, s7
	s_or_b32 s7, s27, s7
	s_delay_alu instid0(SALU_CYCLE_1) | instskip(NEXT) | instid1(SALU_CYCLE_1)
	s_xor_b32 s30, s7, -1
	s_and_saveexec_b32 s7, s30
	s_cbranch_execz .LBB108_50
; %bb.49:                               ;   in Loop: Header=BB108_30 Depth=1
	s_waitcnt vmcnt(1)
	v_add_co_u32 v0, vcc_lo, v0, v4
	v_add_co_ci_u32_e32 v1, vcc_lo, v1, v5, vcc_lo
	flat_load_b64 v[0:1], v[0:1] offset:1536
	s_waitcnt vmcnt(0) lgkmcnt(0)
	v_mul_f64 v[8:9], s[20:21], v[0:1]
.LBB108_50:                             ;   in Loop: Header=BB108_30 Depth=1
	s_or_b32 exec_lo, exec_lo, s7
	s_waitcnt vmcnt(0)
	v_or_b32_e32 v0, 4, v6
	v_mov_b32_e32 v98, v41
	v_dual_mov_b32 v72, v198 :: v_dual_mov_b32 v233, v85
	v_dual_mov_b32 v68, v195 :: v_dual_mov_b32 v151, v121
	s_delay_alu instid0(VALU_DEP_4)
	v_cmp_le_i32_e32 vcc_lo, s18, v0
	v_mov_b32_e32 v50, v138
	s_clause 0x1
	scratch_store_b64 off, v[8:9], off offset:328
	scratch_store_b64 off, v[2:3], off offset:304
	s_or_b32 s7, vcc_lo, s6
	s_delay_alu instid0(SALU_CYCLE_1) | instskip(SKIP_2) | instid1(SALU_CYCLE_1)
	v_cndmask_b32_e64 v1, 0, 0x7fefffff, s7
	v_cndmask_b32_e64 v0, 0, -1, s7
	s_or_b32 s7, s27, s7
	s_xor_b32 s30, s7, -1
	s_delay_alu instid0(SALU_CYCLE_1)
	s_and_saveexec_b32 s7, s30
	s_cbranch_execz .LBB108_52
; %bb.51:                               ;   in Loop: Header=BB108_30 Depth=1
	scratch_load_b32 v2, off, off offset:400 ; 4-byte Folded Reload
	v_lshlrev_b64 v[0:1], 3, v[6:7]
	s_waitcnt vmcnt(0)
	s_delay_alu instid0(VALU_DEP_1)
	v_add_co_u32 v0, vcc_lo, v2, v0
	scratch_load_b32 v2, off, off offset:404 ; 4-byte Folded Reload
	s_waitcnt vmcnt(0)
	v_add_co_ci_u32_e32 v1, vcc_lo, v2, v1, vcc_lo
	flat_load_b64 v[0:1], v[0:1]
	s_waitcnt vmcnt(0) lgkmcnt(0)
	v_mul_f64 v[0:1], s[20:21], v[0:1]
.LBB108_52:                             ;   in Loop: Header=BB108_30 Depth=1
	s_or_b32 exec_lo, exec_lo, s7
	v_dual_mov_b32 v148, v204 :: v_dual_mov_b32 v59, v135
	v_dual_mov_b32 v62, v65 :: v_dual_mov_b32 v63, v64
	;; [unrolled: 1-line block ×4, first 2 shown]
	v_mov_b32_e32 v58, v136
	v_mov_b32_e32 v106, v199
	;; [unrolled: 1-line block ×4, first 2 shown]
	s_mov_b32 s30, 0
	s_mov_b32 s7, -1
	scratch_store_b64 off, v[0:1], off offset:336 ; 8-byte Folded Spill
.LBB108_53:                             ;   Parent Loop BB108_30 Depth=1
                                        ; =>  This Inner Loop Header: Depth=2
	s_lshl_b32 s30, s30, 3
	s_delay_alu instid0(VALU_DEP_1)
	v_mov_b32_e32 v193, v55
	s_waitcnt vmcnt(0)
	v_lshl_add_u32 v26, v22, 5, s30
	v_lshl_add_u32 v4, v221, 5, s30
	v_mov_b32_e32 v55, v37
	s_mov_b32 s30, 2
	s_and_not1_b32 vcc_lo, exec_lo, s7
	ds_load_b128 v[46:49], v26 offset:16384
	ds_load_b128 v[0:3], v4
	ds_load_b128 v[154:157], v4 offset:1024
	ds_load_b128 v[158:161], v26 offset:16640
	s_mov_b32 s7, 0
	s_waitcnt lgkmcnt(2)
	v_add_f64 v[20:21], v[2:3], v[48:49]
	s_waitcnt lgkmcnt(1)
	v_add_f64 v[5:6], v[156:157], v[48:49]
	v_add_f64 v[76:77], v[0:1], v[46:47]
	s_delay_alu instid0(VALU_DEP_3)
	v_cvt_f32_f64_e32 v20, v[20:21]
	scratch_store_b64 off, v[5:6], off offset:16 ; 8-byte Folded Spill
	v_add_f64 v[5:6], v[154:155], v[46:47]
	v_cvt_f32_f64_e32 v37, v[76:77]
	scratch_store_b64 off, v[5:6], off offset:72 ; 8-byte Folded Spill
	ds_load_b128 v[162:165], v4 offset:2048
	ds_load_b128 v[166:169], v4 offset:3072
	v_min3_f32 v143, v37, v20, v143
	v_mov_b32_e32 v37, v55
	v_mov_b32_e32 v55, v193
	s_waitcnt lgkmcnt(1)
	v_add_f64 v[5:6], v[164:165], v[48:49]
	scratch_store_b64 off, v[5:6], off offset:48 ; 8-byte Folded Spill
	v_add_f64 v[5:6], v[162:163], v[46:47]
	scratch_store_b64 off, v[5:6], off offset:104 ; 8-byte Folded Spill
	s_waitcnt lgkmcnt(0)
	v_add_f64 v[5:6], v[168:169], v[48:49]
	scratch_store_b64 off, v[5:6], off offset:24 ; 8-byte Folded Spill
	v_add_f64 v[5:6], v[166:167], v[46:47]
	scratch_store_b64 off, v[5:6], off offset:80 ; 8-byte Folded Spill
	ds_load_b128 v[170:173], v4 offset:4096
	ds_load_b128 v[174:177], v4 offset:5120
	s_waitcnt lgkmcnt(1)
	v_add_f64 v[5:6], v[172:173], v[48:49]
	scratch_store_b64 off, v[5:6], off offset:56 ; 8-byte Folded Spill
	v_add_f64 v[5:6], v[170:171], v[46:47]
	scratch_store_b64 off, v[5:6], off offset:112 ; 8-byte Folded Spill
	s_waitcnt lgkmcnt(0)
	v_add_f64 v[5:6], v[176:177], v[48:49]
	scratch_store_b64 off, v[5:6], off offset:32 ; 8-byte Folded Spill
	v_add_f64 v[5:6], v[174:175], v[46:47]
	scratch_store_b64 off, v[5:6], off offset:88 ; 8-byte Folded Spill
	ds_load_b128 v[178:181], v4 offset:6144
	ds_load_b128 v[182:185], v4 offset:7168
	s_waitcnt lgkmcnt(1)
	v_add_f64 v[4:5], v[180:181], v[48:49]
	scratch_store_b64 off, v[4:5], off offset:64 ; 8-byte Folded Spill
	v_add_f64 v[4:5], v[178:179], v[46:47]
	scratch_store_b64 off, v[4:5], off offset:120 ; 8-byte Folded Spill
	s_waitcnt lgkmcnt(0)
	v_add_f64 v[4:5], v[184:185], v[48:49]
	scratch_store_b64 off, v[4:5], off offset:40 ; 8-byte Folded Spill
	v_add_f64 v[4:5], v[182:183], v[46:47]
	scratch_store_b64 off, v[4:5], off offset:96 ; 8-byte Folded Spill
	;; [unrolled: 2-line block ×18, first 2 shown]
	ds_load_b128 v[158:161], v26 offset:16896
	ds_load_b128 v[186:189], v26 offset:17152
	s_waitcnt lgkmcnt(1)
	v_add_f64 v[4:5], v[176:177], v[160:161]
	v_add_f64 v[78:79], v[2:3], v[160:161]
	;; [unrolled: 1-line block ×13, first 2 shown]
	s_waitcnt lgkmcnt(0)
	v_add_f64 v[110:111], v[2:3], v[188:189]
	v_add_f64 v[112:113], v[0:1], v[186:187]
	;; [unrolled: 1-line block ×16, first 2 shown]
	scratch_store_b64 off, v[4:5], off offset:272 ; 8-byte Folded Spill
	v_add_f64 v[4:5], v[180:181], v[160:161]
	v_cvt_f32_f64_e32 v18, v[18:19]
	scratch_store_b64 off, v[4:5], off offset:264 ; 8-byte Folded Spill
	v_add_f64 v[4:5], v[184:185], v[160:161]
	scratch_store_b64 off, v[4:5], off offset:256 ; 8-byte Folded Spill
	v_add_f64 v[4:5], v[182:183], v[158:159]
	scratch_store_b64 off, v[4:5], off offset:280 ; 8-byte Folded Spill
	ds_load_b128 v[158:161], v26 offset:17408
	ds_load_b128 v[186:189], v26 offset:17664
	s_waitcnt lgkmcnt(1)
	v_add_f64 v[208:209], v[2:3], v[160:161]
	v_add_f64 v[210:211], v[0:1], v[158:159]
	;; [unrolled: 1-line block ×16, first 2 shown]
	s_waitcnt lgkmcnt(0)
	v_add_f64 v[240:241], v[2:3], v[188:189]
	v_add_f64 v[242:243], v[0:1], v[186:187]
	;; [unrolled: 1-line block ×16, first 2 shown]
	ds_load_b128 v[158:161], v26 offset:17920
	ds_load_b128 v[186:189], v26 offset:18176
	s_clause 0x1
	scratch_load_b64 v[20:21], off, off offset:72
	scratch_load_b64 v[76:77], off, off offset:16
	v_cvt_f32_f64_e32 v19, v[208:209]
	s_waitcnt lgkmcnt(1)
	v_add_f64 v[116:117], v[2:3], v[160:161]
	v_add_f64 v[118:119], v[0:1], v[158:159]
	s_waitcnt lgkmcnt(0)
	v_add_f64 v[2:3], v[2:3], v[188:189]
	v_add_f64 v[0:1], v[0:1], v[186:187]
	;; [unrolled: 1-line block ×14, first 2 shown]
	v_cvt_f32_f64_e32 v4, v[4:5]
	v_cvt_f32_f64_e32 v5, v[16:17]
	v_add_f64 v[204:205], v[172:173], v[160:161]
	v_add_f64 v[64:65], v[170:171], v[158:159]
	;; [unrolled: 1-line block ×16, first 2 shown]
	v_cvt_f32_f64_e32 v10, v[10:11]
	v_cvt_f32_f64_e32 v8, v[8:9]
	;; [unrolled: 1-line block ×5, first 2 shown]
	v_min3_f32 v86, v4, v5, v86
	v_cvt_f32_f64_e32 v5, v[6:7]
	v_cvt_f32_f64_e32 v4, v[198:199]
	scratch_load_b32 v6, off, off           ; 4-byte Folded Reload
	v_min3_f32 v192, v10, v8, v192
	v_cvt_f32_f64_e32 v8, v[14:15]
	v_min3_f32 v128, v0, v1, v128
	v_cvt_f32_f64_e32 v0, v[154:155]
	v_cvt_f32_f64_e32 v1, v[156:157]
	v_min3_f32 v148, v4, v5, v148
	v_cvt_f32_f64_e32 v4, v[118:119]
	v_cvt_f32_f64_e32 v5, v[116:117]
	v_min3_f32 v87, v8, v9, v87
	v_min3_f32 v129, v0, v1, v129
	v_cvt_f32_f64_e32 v0, v[162:163]
	v_cvt_f32_f64_e32 v1, v[164:165]
	v_min3_f32 v151, v4, v5, v151
	v_cvt_f32_f64_e32 v4, v[194:195]
	v_cvt_f32_f64_e32 v5, v[137:138]
	s_delay_alu instid0(VALU_DEP_4) | instskip(SKIP_2) | instid1(VALU_DEP_4)
	v_min3_f32 v127, v0, v1, v127
	v_cvt_f32_f64_e32 v0, v[166:167]
	v_cvt_f32_f64_e32 v1, v[168:169]
	v_min3_f32 v190, v4, v5, v190
	v_cvt_f32_f64_e32 v4, v[80:81]
	v_cvt_f32_f64_e32 v5, v[196:197]
	s_delay_alu instid0(VALU_DEP_4) | instskip(SKIP_2) | instid1(VALU_DEP_4)
	;; [unrolled: 7-line block ×3, first 2 shown]
	v_min3_f32 v126, v0, v1, v126
	v_cvt_f32_f64_e32 v0, v[174:175]
	v_cvt_f32_f64_e32 v1, v[176:177]
	v_min3_f32 v133, v4, v5, v133
	v_cvt_f32_f64_e32 v4, v[64:65]
	v_cvt_f32_f64_e32 v5, v[204:205]
	s_delay_alu instid0(VALU_DEP_4)
	v_min3_f32 v123, v0, v1, v123
	v_cvt_f32_f64_e32 v0, v[178:179]
	v_cvt_f32_f64_e32 v1, v[180:181]
	s_waitcnt vmcnt(2)
	v_cvt_f32_f64_e32 v20, v[20:21]
	s_waitcnt vmcnt(1)
	v_cvt_f32_f64_e32 v21, v[76:77]
	scratch_load_b64 v[76:77], off, off offset:48 ; 8-byte Folded Reload
	v_min3_f32 v66, v0, v1, v66
	v_cvt_f32_f64_e32 v0, v[182:183]
	v_cvt_f32_f64_e32 v1, v[184:185]
	v_min3_f32 v142, v20, v21, v142
	scratch_load_b64 v[20:21], off, off offset:104 ; 8-byte Folded Reload
	v_min3_f32 v67, v0, v1, v67
	s_waitcnt vmcnt(2)
	v_min3_f32 v6, v4, v5, v6
	v_cvt_f32_f64_e32 v4, v[130:131]
	v_cvt_f32_f64_e32 v5, v[135:136]
	scratch_store_b32 off, v6, off          ; 4-byte Folded Spill
	v_min3_f32 v200, v4, v5, v200
	v_cvt_f32_f64_e32 v4, v[84:85]
	v_cvt_f32_f64_e32 v5, v[124:125]
	s_delay_alu instid0(VALU_DEP_1) | instskip(SKIP_2) | instid1(VALU_DEP_1)
	v_min3_f32 v132, v4, v5, v132
	v_cvt_f32_f64_e32 v4, v[158:159]
	v_cvt_f32_f64_e32 v5, v[160:161]
	v_min3_f32 v134, v4, v5, v134
	s_waitcnt vmcnt(0)
	v_cvt_f32_f64_e32 v20, v[20:21]
	v_cvt_f32_f64_e32 v21, v[76:77]
	scratch_load_b64 v[76:77], off, off offset:24 ; 8-byte Folded Reload
	v_min3_f32 v141, v20, v21, v141
	scratch_load_b64 v[20:21], off, off offset:80 ; 8-byte Folded Reload
	s_waitcnt vmcnt(0)
	v_cvt_f32_f64_e32 v20, v[20:21]
	v_cvt_f32_f64_e32 v21, v[76:77]
	scratch_load_b64 v[76:77], off, off offset:56 ; 8-byte Folded Reload
	v_min3_f32 v140, v20, v21, v140
	scratch_load_b64 v[20:21], off, off offset:112 ; 8-byte Folded Reload
	s_waitcnt vmcnt(0)
	v_cvt_f32_f64_e32 v20, v[20:21]
	v_cvt_f32_f64_e32 v21, v[76:77]
	scratch_load_b64 v[76:77], off, off offset:32 ; 8-byte Folded Reload
	v_min3_f32 v139, v20, v21, v139
	scratch_load_b64 v[20:21], off, off offset:88 ; 8-byte Folded Reload
	s_waitcnt vmcnt(0)
	v_cvt_f32_f64_e32 v20, v[20:21]
	v_cvt_f32_f64_e32 v21, v[76:77]
	scratch_load_b64 v[76:77], off, off offset:64 ; 8-byte Folded Reload
	v_min3_f32 v191, v20, v21, v191
	scratch_load_b64 v[20:21], off, off offset:120 ; 8-byte Folded Reload
	s_waitcnt vmcnt(0)
	v_cvt_f32_f64_e32 v20, v[20:21]
	v_cvt_f32_f64_e32 v21, v[76:77]
	scratch_load_b64 v[76:77], off, off offset:40 ; 8-byte Folded Reload
	v_min3_f32 v237, v20, v21, v237
	scratch_load_b64 v[20:21], off, off offset:96 ; 8-byte Folded Reload
	s_waitcnt vmcnt(0)
	v_cvt_f32_f64_e32 v20, v[20:21]
	v_cvt_f32_f64_e32 v21, v[76:77]
	scratch_load_b64 v[76:77], off, off offset:128 ; 8-byte Folded Reload
	v_min3_f32 v232, v20, v21, v232
	scratch_load_b64 v[20:21], off, off offset:136 ; 8-byte Folded Reload
	s_waitcnt vmcnt(0)
	v_cvt_f32_f64_e32 v20, v[20:21]
	v_cvt_f32_f64_e32 v21, v[76:77]
	scratch_load_b64 v[76:77], off, off offset:144 ; 8-byte Folded Reload
	v_min3_f32 v28, v20, v21, v28
	scratch_load_b64 v[20:21], off, off offset:152 ; 8-byte Folded Reload
	s_waitcnt vmcnt(0)
	v_cvt_f32_f64_e32 v20, v[20:21]
	v_cvt_f32_f64_e32 v21, v[76:77]
	scratch_load_b64 v[76:77], off, off offset:160 ; 8-byte Folded Reload
	v_min3_f32 v201, v20, v21, v201
	scratch_load_b64 v[20:21], off, off offset:168 ; 8-byte Folded Reload
	s_waitcnt vmcnt(0)
	v_cvt_f32_f64_e32 v20, v[20:21]
	v_cvt_f32_f64_e32 v21, v[76:77]
	scratch_load_b64 v[76:77], off, off offset:176 ; 8-byte Folded Reload
	v_min3_f32 v95, v20, v21, v95
	scratch_load_b64 v[20:21], off, off offset:184 ; 8-byte Folded Reload
	s_waitcnt vmcnt(0)
	v_cvt_f32_f64_e32 v20, v[20:21]
	v_cvt_f32_f64_e32 v21, v[76:77]
	scratch_load_b64 v[76:77], off, off offset:192 ; 8-byte Folded Reload
	v_min3_f32 v94, v20, v21, v94
	scratch_load_b64 v[20:21], off, off offset:200 ; 8-byte Folded Reload
	s_waitcnt vmcnt(0)
	v_cvt_f32_f64_e32 v20, v[20:21]
	v_cvt_f32_f64_e32 v21, v[76:77]
	scratch_load_b64 v[76:77], off, off offset:208 ; 8-byte Folded Reload
	v_min3_f32 v109, v20, v21, v109
	scratch_load_b64 v[20:21], off, off offset:216 ; 8-byte Folded Reload
	s_waitcnt vmcnt(0)
	v_cvt_f32_f64_e32 v20, v[20:21]
	v_cvt_f32_f64_e32 v21, v[76:77]
	scratch_load_b64 v[76:77], off, off offset:224 ; 8-byte Folded Reload
	v_min3_f32 v108, v20, v21, v108
	scratch_load_b64 v[20:21], off, off offset:232 ; 8-byte Folded Reload
	s_waitcnt vmcnt(0)
	v_cvt_f32_f64_e32 v20, v[20:21]
	v_cvt_f32_f64_e32 v21, v[76:77]
	scratch_load_b64 v[76:77], off, off offset:240 ; 8-byte Folded Reload
	v_min3_f32 v37, v20, v21, v37
	scratch_load_b64 v[20:21], off, off offset:248 ; 8-byte Folded Reload
	s_waitcnt vmcnt(0)
	v_cvt_f32_f64_e32 v20, v[20:21]
	v_cvt_f32_f64_e32 v21, v[76:77]
	s_delay_alu instid0(VALU_DEP_1) | instskip(SKIP_3) | instid1(VALU_DEP_1)
	v_min3_f32 v99, v20, v21, v99
	v_cvt_f32_f64_e32 v20, v[42:43]
	scratch_load_b64 v[42:43], off, off offset:272 ; 8-byte Folded Reload
	v_cvt_f32_f64_e32 v21, v[78:79]
	v_min3_f32 v98, v20, v21, v98
	v_cvt_f32_f64_e32 v20, v[44:45]
	v_cvt_f32_f64_e32 v21, v[82:83]
	s_delay_alu instid0(VALU_DEP_1) | instskip(SKIP_2) | instid1(VALU_DEP_1)
	v_min3_f32 v103, v20, v21, v103
	v_cvt_f32_f64_e32 v20, v[88:89]
	v_cvt_f32_f64_e32 v21, v[46:47]
	v_min3_f32 v102, v20, v21, v102
	v_cvt_f32_f64_e32 v20, v[92:93]
	v_cvt_f32_f64_e32 v21, v[90:91]
	s_delay_alu instid0(VALU_DEP_1) | instskip(SKIP_2) | instid1(VALU_DEP_1)
	v_min3_f32 v107, v20, v21, v107
	v_cvt_f32_f64_e32 v20, v[96:97]
	v_cvt_f32_f64_e32 v21, v[48:49]
	v_min3_f32 v106, v20, v21, v106
	v_cvt_f32_f64_e32 v20, v[100:101]
	s_waitcnt vmcnt(0)
	v_cvt_f32_f64_e32 v21, v[42:43]
	scratch_load_b64 v[42:43], off, off offset:264 ; 8-byte Folded Reload
	v_min3_f32 v61, v20, v21, v61
	v_cvt_f32_f64_e32 v20, v[104:105]
	s_waitcnt vmcnt(0)
	v_cvt_f32_f64_e32 v21, v[42:43]
	scratch_load_b64 v[42:43], off, off offset:256 ; 8-byte Folded Reload
	v_min3_f32 v60, v20, v21, v60
	scratch_load_b64 v[20:21], off, off offset:280 ; 8-byte Folded Reload
	s_waitcnt vmcnt(0)
	v_cvt_f32_f64_e32 v20, v[20:21]
	v_cvt_f32_f64_e32 v21, v[42:43]
	s_delay_alu instid0(VALU_DEP_1) | instskip(SKIP_2) | instid1(VALU_DEP_1)
	v_min3_f32 v75, v20, v21, v75
	v_cvt_f32_f64_e32 v20, v[112:113]
	v_cvt_f32_f64_e32 v21, v[110:111]
	v_min3_f32 v74, v20, v21, v74
	v_cvt_f32_f64_e32 v20, v[40:41]
	v_cvt_f32_f64_e32 v21, v[114:115]
	s_delay_alu instid0(VALU_DEP_1) | instskip(SKIP_2) | instid1(VALU_DEP_1)
	v_min3_f32 v73, v20, v21, v73
	v_cvt_f32_f64_e32 v20, v[146:147]
	v_cvt_f32_f64_e32 v21, v[144:145]
	v_min3_f32 v72, v20, v21, v72
	;; [unrolled: 7-line block ×4, first 2 shown]
	v_cvt_f32_f64_e32 v20, v[206:207]
	s_delay_alu instid0(VALU_DEP_1) | instskip(SKIP_1) | instid1(VALU_DEP_1)
	v_min3_f32 v51, v20, v18, v51
	v_cvt_f32_f64_e32 v18, v[210:211]
	v_min3_f32 v50, v18, v19, v50
	v_cvt_f32_f64_e32 v18, v[214:215]
	v_cvt_f32_f64_e32 v19, v[212:213]
	s_delay_alu instid0(VALU_DEP_1) | instskip(SKIP_2) | instid1(VALU_DEP_1)
	v_min3_f32 v59, v18, v19, v59
	v_cvt_f32_f64_e32 v18, v[218:219]
	v_cvt_f32_f64_e32 v19, v[216:217]
	v_min3_f32 v58, v18, v19, v58
	v_cvt_f32_f64_e32 v18, v[222:223]
	v_cvt_f32_f64_e32 v19, v[220:221]
	scratch_load_b32 v221, off, off offset:8 ; 4-byte Folded Reload
	v_min3_f32 v57, v18, v19, v57
	v_cvt_f32_f64_e32 v18, v[226:227]
	v_cvt_f32_f64_e32 v19, v[224:225]
	s_delay_alu instid0(VALU_DEP_1) | instskip(SKIP_2) | instid1(VALU_DEP_1)
	v_min3_f32 v56, v18, v19, v56
	v_cvt_f32_f64_e32 v18, v[230:231]
	v_cvt_f32_f64_e32 v19, v[228:229]
	v_min3_f32 v54, v18, v19, v54
	v_cvt_f32_f64_e32 v19, v[22:23]
	scratch_load_b32 v22, off, off offset:4 ; 4-byte Folded Reload
	v_cvt_f32_f64_e32 v18, v[234:235]
	s_delay_alu instid0(VALU_DEP_1) | instskip(SKIP_2) | instid1(VALU_DEP_1)
	v_min3_f32 v53, v18, v19, v53
	v_cvt_f32_f64_e32 v18, v[238:239]
	v_cvt_f32_f64_e32 v19, v[24:25]
	v_min3_f32 v52, v18, v19, v52
	v_cvt_f32_f64_e32 v18, v[242:243]
	v_cvt_f32_f64_e32 v19, v[240:241]
	s_delay_alu instid0(VALU_DEP_1) | instskip(SKIP_2) | instid1(VALU_DEP_1)
	v_min3_f32 v63, v18, v19, v63
	v_cvt_f32_f64_e32 v18, v[246:247]
	v_cvt_f32_f64_e32 v19, v[244:245]
	v_min3_f32 v62, v18, v19, v62
	v_cvt_f32_f64_e32 v18, v[250:251]
	v_cvt_f32_f64_e32 v19, v[248:249]
	s_delay_alu instid0(VALU_DEP_1) | instskip(SKIP_2) | instid1(VALU_DEP_1)
	v_min3_f32 v233, v18, v19, v233
	v_cvt_f32_f64_e32 v18, v[254:255]
	v_cvt_f32_f64_e32 v19, v[252:253]
	v_min3_f32 v55, v18, v19, v55
	s_cbranch_vccz .LBB108_53
; %bb.54:                               ;   in Loop: Header=BB108_30 Depth=1
	s_clause 0x2
	scratch_load_b32 v0, off, off offset:384
	scratch_load_b64 v[1:2], off, off offset:288
	scratch_load_b64 v[3:4], off, off offset:296
	v_dual_mov_b32 v39, v109 :: v_dual_mov_b32 v216, v108
	v_dual_mov_b32 v194, v51 :: v_dual_mov_b32 v65, v62
	v_mov_b32_e32 v136, v58
	v_mov_b32_e32 v124, v52
	v_mov_b32_e32 v210, v148
	s_add_i32 s25, s25, 8
	s_add_i32 s29, s29, 8
	s_cmp_ge_i32 s25, s24
	s_waitcnt vmcnt(0)
	ds_store_2addr_stride64_b64 v0, v[1:2], v[3:4] offset1:4
	s_clause 0x1
	scratch_load_b64 v[1:2], off, off offset:304
	scratch_load_b64 v[3:4], off, off offset:328
	s_waitcnt vmcnt(0)
	ds_store_2addr_stride64_b64 v0, v[1:2], v[3:4] offset0:8 offset1:12
	s_clause 0x1
	scratch_load_b32 v0, off, off offset:388
	scratch_load_b64 v[1:2], off, off offset:336
	s_waitcnt vmcnt(0)
	ds_store_b64 v0, v[1:2]
	s_waitcnt lgkmcnt(0)
	s_waitcnt_vscnt null, 0x0
	s_barrier
	buffer_gl0_inv
	s_cbranch_scc1 .LBB108_57
; %bb.55:                               ;   in Loop: Header=BB108_30 Depth=1
	s_clause 0x2
	scratch_load_b32 v197, off, off offset:368
	scratch_load_b64 v[4:5], off, off offset:320
	scratch_load_b64 v[0:1], off, off offset:312
	v_dual_mov_b32 v121, v151 :: v_dual_mov_b32 v138, v50
	v_dual_mov_b32 v85, v233 :: v_dual_mov_b32 v198, v72
	;; [unrolled: 1-line block ×5, first 2 shown]
	v_mov_b32_e32 v218, v94
	s_waitcnt vmcnt(0)
	v_mov_b32_e32 v6, v1
	s_branch .LBB108_30
.LBB108_56:
	v_mov_b32_e32 v94, v218
	v_mov_b32_e32 v204, v219
	s_branch .LBB108_58
.LBB108_57:
	v_dual_mov_b32 v204, v151 :: v_dual_mov_b32 v85, v233
	v_dual_mov_b32 v131, v56 :: v_dual_mov_b32 v138, v50
	;; [unrolled: 1-line block ×4, first 2 shown]
	v_mov_b32_e32 v206, v106
.LBB108_58:
	v_dual_mov_b32 v114, v99 :: v_dual_mov_b32 v31, v69
	v_dual_mov_b32 v108, v103 :: v_dual_mov_b32 v79, v73
	s_delay_alu instid0(VALU_DEP_3)
	v_dual_mov_b32 v112, v206 :: v_dual_mov_b32 v135, v59
	v_dual_mov_b32 v36, v202 :: v_dual_mov_b32 v77, v195
	;; [unrolled: 1-line block ×7, first 2 shown]
	v_mov_b32_e32 v56, v71
	v_dual_mov_b32 v84, v60 :: v_dual_mov_b32 v111, v95
	v_mov_b32_e32 v104, v216
	v_mov_b32_e32 v110, v94
	s_mov_b32 s3, 0
	s_mov_b32 s2, -1
.LBB108_59:                             ; =>This Inner Loop Header: Depth=1
	s_lshl_b32 s3, s3, 3
	v_mov_b32_e32 v29, v61
	v_lshl_add_u32 v4, v22, 5, s3
	s_waitcnt vmcnt(0)
	v_lshl_add_u32 v5, v221, 5, s3
	v_mov_b32_e32 v193, v131
	s_mov_b32 s3, 2
	s_and_not1_b32 vcc_lo, exec_lo, s2
	ds_load_b128 v[32:35], v4 offset:18432
	ds_load_b128 v[0:3], v5 offset:8192
	;; [unrolled: 1-line block ×4, first 2 shown]
	s_mov_b32 s2, 0
	s_waitcnt lgkmcnt(1)
	v_add_f64 v[6:7], v[62:63], v[34:35]
	v_add_f64 v[44:45], v[2:3], v[34:35]
	v_add_f64 v[26:27], v[0:1], v[32:33]
	scratch_store_b64 off, v[6:7], off offset:16 ; 8-byte Folded Spill
	v_add_f64 v[6:7], v[60:61], v[32:33]
	scratch_store_b64 off, v[6:7], off offset:72 ; 8-byte Folded Spill
	ds_load_b128 v[72:75], v5 offset:10240
	ds_load_b128 v[144:147], v5 offset:11264
	s_waitcnt lgkmcnt(1)
	v_add_f64 v[6:7], v[74:75], v[34:35]
	scratch_store_b64 off, v[6:7], off offset:48 ; 8-byte Folded Spill
	v_add_f64 v[6:7], v[72:73], v[32:33]
	scratch_store_b64 off, v[6:7], off offset:104 ; 8-byte Folded Spill
	s_waitcnt lgkmcnt(0)
	v_add_f64 v[6:7], v[146:147], v[34:35]
	scratch_store_b64 off, v[6:7], off offset:24 ; 8-byte Folded Spill
	v_add_f64 v[6:7], v[144:145], v[32:33]
	scratch_store_b64 off, v[6:7], off offset:80 ; 8-byte Folded Spill
	ds_load_b128 v[148:151], v5 offset:12288
	ds_load_b128 v[152:155], v5 offset:13312
	s_waitcnt lgkmcnt(1)
	v_add_f64 v[6:7], v[150:151], v[34:35]
	scratch_store_b64 off, v[6:7], off offset:56 ; 8-byte Folded Spill
	v_add_f64 v[6:7], v[148:149], v[32:33]
	scratch_store_b64 off, v[6:7], off offset:112 ; 8-byte Folded Spill
	s_waitcnt lgkmcnt(0)
	v_add_f64 v[6:7], v[154:155], v[34:35]
	scratch_store_b64 off, v[6:7], off offset:32 ; 8-byte Folded Spill
	v_add_f64 v[6:7], v[152:153], v[32:33]
	scratch_store_b64 off, v[6:7], off offset:88 ; 8-byte Folded Spill
	ds_load_b128 v[156:159], v5 offset:14336
	ds_load_b128 v[160:163], v5 offset:15360
	s_waitcnt lgkmcnt(1)
	v_add_f64 v[5:6], v[158:159], v[34:35]
	scratch_store_b64 off, v[5:6], off offset:64 ; 8-byte Folded Spill
	v_add_f64 v[5:6], v[156:157], v[32:33]
	scratch_store_b64 off, v[5:6], off offset:120 ; 8-byte Folded Spill
	s_waitcnt lgkmcnt(0)
	v_add_f64 v[5:6], v[162:163], v[34:35]
	scratch_store_b64 off, v[5:6], off offset:40 ; 8-byte Folded Spill
	v_add_f64 v[5:6], v[160:161], v[32:33]
	scratch_store_b64 off, v[5:6], off offset:96 ; 8-byte Folded Spill
	v_add_f64 v[5:6], v[2:3], v[70:71]
	;; [unrolled: 2-line block ×17, first 2 shown]
	scratch_store_b64 off, v[5:6], off offset:248 ; 8-byte Folded Spill
	ds_load_b128 v[68:71], v4 offset:18944
	ds_load_b128 v[164:167], v4 offset:19200
	s_waitcnt lgkmcnt(1)
	v_add_f64 v[5:6], v[150:151], v[70:71]
	v_add_f64 v[88:89], v[2:3], v[70:71]
	;; [unrolled: 1-line block ×11, first 2 shown]
	s_waitcnt lgkmcnt(0)
	v_add_f64 v[116:117], v[2:3], v[166:167]
	v_add_f64 v[118:119], v[0:1], v[164:165]
	;; [unrolled: 1-line block ×16, first 2 shown]
	scratch_store_b64 off, v[5:6], off offset:288 ; 8-byte Folded Spill
	v_add_f64 v[5:6], v[154:155], v[70:71]
	scratch_store_b64 off, v[5:6], off offset:272 ; 8-byte Folded Spill
	v_add_f64 v[5:6], v[158:159], v[70:71]
	;; [unrolled: 2-line block ×5, first 2 shown]
	scratch_store_b64 off, v[5:6], off offset:280 ; 8-byte Folded Spill
	ds_load_b128 v[68:71], v4 offset:19456
	ds_load_b128 v[164:167], v4 offset:19712
	s_waitcnt lgkmcnt(1)
	v_add_f64 v[186:187], v[2:3], v[70:71]
	v_add_f64 v[188:189], v[0:1], v[68:69]
	v_add_f64 v[137:138], v[62:63], v[70:71]
	v_add_f64 v[37:38], v[60:61], v[68:69]
	v_add_f64 v[194:195], v[74:75], v[70:71]
	v_add_f64 v[196:197], v[72:73], v[68:69]
	v_add_f64 v[198:199], v[146:147], v[70:71]
	v_add_f64 v[80:81], v[144:145], v[68:69]
	v_add_f64 v[202:203], v[150:151], v[70:71]
	v_add_f64 v[39:40], v[148:149], v[68:69]
	v_add_f64 v[206:207], v[154:155], v[70:71]
	v_add_f64 v[208:209], v[152:153], v[68:69]
	v_add_f64 v[41:42], v[158:159], v[70:71]
	v_add_f64 v[212:213], v[156:157], v[68:69]
	v_add_f64 v[214:215], v[162:163], v[70:71]
	v_add_f64 v[216:217], v[160:161], v[68:69]
	s_waitcnt lgkmcnt(0)
	v_add_f64 v[218:219], v[2:3], v[166:167]
	v_add_f64 v[220:221], v[0:1], v[164:165]
	;; [unrolled: 1-line block ×16, first 2 shown]
	ds_load_b128 v[68:71], v4 offset:19968
	ds_load_b128 v[164:167], v4 offset:20224
	s_waitcnt lgkmcnt(1)
	v_add_f64 v[4:5], v[60:61], v[68:69]
	s_waitcnt lgkmcnt(0)
	v_add_f64 v[82:83], v[60:61], v[164:165]
	v_mov_b32_e32 v61, v29
	v_cvt_f32_f64_e32 v29, v[26:27]
	v_cvt_f32_f64_e32 v26, v[44:45]
	scratch_load_b64 v[44:45], off, off offset:16 ; 8-byte Folded Reload
	v_add_f64 v[254:255], v[62:63], v[70:71]
	v_add_f64 v[6:7], v[72:73], v[68:69]
	v_add_f64 v[10:11], v[74:75], v[70:71]
	v_add_f64 v[14:15], v[146:147], v[70:71]
	v_add_f64 v[8:9], v[144:145], v[68:69]
	v_add_f64 v[18:19], v[150:151], v[70:71]
	v_add_f64 v[12:13], v[148:149], v[68:69]
	v_add_f64 v[22:23], v[154:155], v[70:71]
	v_add_f64 v[250:251], v[2:3], v[70:71]
	v_add_f64 v[252:253], v[0:1], v[68:69]
	v_add_f64 v[2:3], v[2:3], v[166:167]
	v_add_f64 v[0:1], v[0:1], v[164:165]
	v_add_f64 v[62:63], v[62:63], v[166:167]
	v_add_f64 v[74:75], v[74:75], v[166:167]
	v_add_f64 v[72:73], v[72:73], v[164:165]
	v_add_f64 v[146:147], v[146:147], v[166:167]
	v_add_f64 v[144:145], v[144:145], v[164:165]
	v_add_f64 v[150:151], v[150:151], v[166:167]
	v_add_f64 v[148:149], v[148:149], v[164:165]
	v_add_f64 v[16:17], v[152:153], v[68:69]
	v_add_f64 v[154:155], v[154:155], v[166:167]
	v_add_f64 v[152:153], v[152:153], v[164:165]
	v_add_f64 v[24:25], v[158:159], v[70:71]
	v_add_f64 v[20:21], v[156:157], v[68:69]
	v_add_f64 v[158:159], v[158:159], v[166:167]
	v_add_f64 v[156:157], v[156:157], v[164:165]
	v_add_f64 v[70:71], v[162:163], v[70:71]
	v_add_f64 v[68:69], v[160:161], v[68:69]
	v_add_f64 v[162:163], v[162:163], v[166:167]
	v_add_f64 v[160:161], v[160:161], v[164:165]
	v_cvt_f32_f64_e32 v4, v[4:5]
	v_min3_f32 v143, v29, v26, v143
	scratch_load_b64 v[26:27], off, off offset:72 ; 8-byte Folded Reload
	v_cvt_f32_f64_e32 v5, v[254:255]
	v_cvt_f32_f64_e32 v0, v[0:1]
	;; [unrolled: 1-line block ×3, first 2 shown]
	s_delay_alu instid0(VALU_DEP_3)
	v_min3_f32 v190, v4, v5, v190
	v_cvt_f32_f64_e32 v4, v[6:7]
	v_cvt_f32_f64_e32 v5, v[10:11]
	scratch_load_b32 v6, off, off           ; 4-byte Folded Reload
	v_min3_f32 v128, v0, v1, v128
	v_cvt_f32_f64_e32 v0, v[82:83]
	v_cvt_f32_f64_e32 v1, v[62:63]
	v_min3_f32 v236, v4, v5, v236
	v_cvt_f32_f64_e32 v4, v[8:9]
	v_cvt_f32_f64_e32 v5, v[14:15]
	s_delay_alu instid0(VALU_DEP_4) | instskip(SKIP_2) | instid1(VALU_DEP_4)
	v_min3_f32 v129, v0, v1, v129
	v_cvt_f32_f64_e32 v0, v[72:73]
	v_cvt_f32_f64_e32 v1, v[74:75]
	v_min3_f32 v133, v4, v5, v133
	v_cvt_f32_f64_e32 v4, v[12:13]
	v_cvt_f32_f64_e32 v5, v[18:19]
	s_delay_alu instid0(VALU_DEP_4) | instskip(SKIP_2) | instid1(VALU_DEP_1)
	v_min3_f32 v127, v0, v1, v127
	v_cvt_f32_f64_e32 v0, v[144:145]
	v_cvt_f32_f64_e32 v1, v[146:147]
	v_min3_f32 v122, v0, v1, v122
	v_cvt_f32_f64_e32 v0, v[148:149]
	v_cvt_f32_f64_e32 v1, v[150:151]
	s_delay_alu instid0(VALU_DEP_1) | instskip(SKIP_2) | instid1(VALU_DEP_1)
	v_min3_f32 v126, v0, v1, v126
	v_cvt_f32_f64_e32 v0, v[152:153]
	v_cvt_f32_f64_e32 v1, v[154:155]
	v_min3_f32 v123, v0, v1, v123
	v_cvt_f32_f64_e32 v0, v[156:157]
	v_cvt_f32_f64_e32 v1, v[158:159]
	s_delay_alu instid0(VALU_DEP_1)
	v_min3_f32 v66, v0, v1, v66
	v_cvt_f32_f64_e32 v0, v[160:161]
	v_cvt_f32_f64_e32 v1, v[162:163]
	s_waitcnt vmcnt(1)
	v_cvt_f32_f64_e32 v26, v[26:27]
	v_cvt_f32_f64_e32 v27, v[44:45]
	scratch_load_b64 v[44:45], off, off offset:48 ; 8-byte Folded Reload
	v_min3_f32 v67, v0, v1, v67
	v_min3_f32 v142, v26, v27, v142
	scratch_load_b64 v[26:27], off, off offset:104 ; 8-byte Folded Reload
	s_waitcnt vmcnt(2)
	v_min3_f32 v6, v4, v5, v6
	v_cvt_f32_f64_e32 v5, v[22:23]
	scratch_load_b32 v22, off, off offset:4 ; 4-byte Folded Reload
	v_cvt_f32_f64_e32 v4, v[16:17]
	scratch_store_b32 off, v6, off          ; 4-byte Folded Spill
	v_min3_f32 v200, v4, v5, v200
	v_cvt_f32_f64_e32 v4, v[20:21]
	v_cvt_f32_f64_e32 v5, v[24:25]
	s_delay_alu instid0(VALU_DEP_1) | instskip(SKIP_2) | instid1(VALU_DEP_1)
	v_min3_f32 v132, v4, v5, v132
	v_cvt_f32_f64_e32 v4, v[68:69]
	v_cvt_f32_f64_e32 v5, v[70:71]
	v_min3_f32 v134, v4, v5, v134
	s_waitcnt vmcnt(1)
	v_cvt_f32_f64_e32 v26, v[26:27]
	v_cvt_f32_f64_e32 v27, v[44:45]
	scratch_load_b64 v[44:45], off, off offset:24 ; 8-byte Folded Reload
	v_min3_f32 v141, v26, v27, v141
	scratch_load_b64 v[26:27], off, off offset:80 ; 8-byte Folded Reload
	s_waitcnt vmcnt(0)
	v_cvt_f32_f64_e32 v26, v[26:27]
	v_cvt_f32_f64_e32 v27, v[44:45]
	scratch_load_b64 v[44:45], off, off offset:56 ; 8-byte Folded Reload
	v_min3_f32 v140, v26, v27, v140
	scratch_load_b64 v[26:27], off, off offset:112 ; 8-byte Folded Reload
	;; [unrolled: 6-line block ×13, first 2 shown]
	s_waitcnt vmcnt(0)
	v_cvt_f32_f64_e32 v26, v[26:27]
	v_cvt_f32_f64_e32 v27, v[44:45]
	scratch_load_b64 v[44:45], off, off offset:288 ; 8-byte Folded Reload
	v_min3_f32 v114, v26, v27, v114
	v_cvt_f32_f64_e32 v26, v[58:59]
	v_cvt_f32_f64_e32 v27, v[88:89]
	s_delay_alu instid0(VALU_DEP_1) | instskip(SKIP_2) | instid1(VALU_DEP_1)
	v_min3_f32 v109, v26, v27, v109
	v_cvt_f32_f64_e32 v26, v[90:91]
	v_cvt_f32_f64_e32 v27, v[92:93]
	v_min3_f32 v108, v26, v27, v108
	v_cvt_f32_f64_e32 v26, v[94:95]
	v_cvt_f32_f64_e32 v27, v[96:97]
	s_delay_alu instid0(VALU_DEP_1) | instskip(SKIP_2) | instid1(VALU_DEP_1)
	v_min3_f32 v211, v26, v27, v211
	v_cvt_f32_f64_e32 v26, v[98:99]
	v_cvt_f32_f64_e32 v27, v[100:101]
	v_min3_f32 v113, v26, v27, v113
	v_cvt_f32_f64_e32 v26, v[102:103]
	s_waitcnt vmcnt(0)
	v_cvt_f32_f64_e32 v27, v[44:45]
	scratch_load_b64 v[44:45], off, off offset:272 ; 8-byte Folded Reload
	v_min3_f32 v112, v26, v27, v112
	v_cvt_f32_f64_e32 v26, v[106:107]
	s_waitcnt vmcnt(0)
	v_cvt_f32_f64_e32 v27, v[44:45]
	scratch_load_b64 v[44:45], off, off offset:264 ; 8-byte Folded Reload
	v_min3_f32 v61, v26, v27, v61
	scratch_load_b64 v[26:27], off, off offset:296 ; 8-byte Folded Reload
	s_waitcnt vmcnt(0)
	v_cvt_f32_f64_e32 v26, v[26:27]
	v_cvt_f32_f64_e32 v27, v[44:45]
	scratch_load_b64 v[44:45], off, off offset:256 ; 8-byte Folded Reload
	v_min3_f32 v84, v26, v27, v84
	scratch_load_b64 v[26:27], off, off offset:280 ; 8-byte Folded Reload
	s_waitcnt vmcnt(0)
	v_cvt_f32_f64_e32 v26, v[26:27]
	v_cvt_f32_f64_e32 v27, v[44:45]
	s_delay_alu instid0(VALU_DEP_1) | instskip(SKIP_2) | instid1(VALU_DEP_1)
	v_min3_f32 v43, v26, v27, v43
	v_cvt_f32_f64_e32 v26, v[118:119]
	v_cvt_f32_f64_e32 v27, v[116:117]
	v_min3_f32 v36, v26, v27, v36
	v_cvt_f32_f64_e32 v26, v[130:131]
	v_cvt_f32_f64_e32 v27, v[120:121]
	v_mov_b32_e32 v131, v193
	s_delay_alu instid0(VALU_DEP_2) | instskip(SKIP_2) | instid1(VALU_DEP_1)
	v_min3_f32 v79, v26, v27, v79
	v_cvt_f32_f64_e32 v26, v[46:47]
	v_cvt_f32_f64_e32 v27, v[50:51]
	v_min3_f32 v78, v26, v27, v78
	v_cvt_f32_f64_e32 v26, v[168:169]
	v_cvt_f32_f64_e32 v27, v[48:49]
	s_delay_alu instid0(VALU_DEP_1) | instskip(SKIP_2) | instid1(VALU_DEP_1)
	v_min3_f32 v56, v26, v27, v56
	v_cvt_f32_f64_e32 v26, v[172:173]
	v_cvt_f32_f64_e32 v27, v[170:171]
	v_min3_f32 v30, v26, v27, v30
	v_cvt_f32_f64_e32 v26, v[176:177]
	v_cvt_f32_f64_e32 v27, v[174:175]
	s_delay_alu instid0(VALU_DEP_1) | instskip(SKIP_2) | instid1(VALU_DEP_1)
	;; [unrolled: 7-line block ×6, first 2 shown]
	v_min3_f32 v54, v26, v27, v54
	v_cvt_f32_f64_e32 v26, v[212:213]
	v_cvt_f32_f64_e32 v27, v[41:42]
	v_min3_f32 v53, v26, v27, v53
	v_cvt_f32_f64_e32 v26, v[216:217]
	v_cvt_f32_f64_e32 v27, v[214:215]
	s_delay_alu instid0(VALU_DEP_1) | instskip(SKIP_3) | instid1(VALU_DEP_1)
	v_min3_f32 v124, v26, v27, v124
	v_cvt_f32_f64_e32 v26, v[220:221]
	scratch_load_b32 v221, off, off offset:8 ; 4-byte Folded Reload
	v_cvt_f32_f64_e32 v27, v[218:219]
	v_min3_f32 v64, v26, v27, v64
	v_cvt_f32_f64_e32 v26, v[224:225]
	v_cvt_f32_f64_e32 v27, v[222:223]
	s_delay_alu instid0(VALU_DEP_1) | instskip(SKIP_2) | instid1(VALU_DEP_1)
	v_min3_f32 v65, v26, v27, v65
	v_cvt_f32_f64_e32 v26, v[228:229]
	v_cvt_f32_f64_e32 v27, v[226:227]
	v_min3_f32 v85, v26, v27, v85
	v_cvt_f32_f64_e32 v26, v[34:35]
	v_cvt_f32_f64_e32 v27, v[230:231]
	s_delay_alu instid0(VALU_DEP_1) | instskip(SKIP_2) | instid1(VALU_DEP_1)
	v_min3_f32 v55, v26, v27, v55
	v_cvt_f32_f64_e32 v26, v[32:33]
	;; [unrolled: 7-line block ×4, first 2 shown]
	v_cvt_f32_f64_e32 v27, v[250:251]
	v_min3_f32 v204, v26, v27, v204
	s_cbranch_vccz .LBB108_59
; %bb.60:
	s_clause 0x2
	s_load_b32 s20, s[0:1], 0x58
	s_load_b32 s18, s[0:1], 0x70
	s_load_b64 s[2:3], s[0:1], 0x78
	v_dual_mov_b32 v32, v30 :: v_dual_add_nc_u32 v19, s19, v22
	s_waitcnt vmcnt(0)
	v_add_nc_u32_e32 v0, s8, v221
	v_cndmask_b32_e64 v18, 0, 1, s9
	s_delay_alu instid0(VALU_DEP_3) | instskip(NEXT) | instid1(VALU_DEP_3)
	v_cmp_gt_i32_e64 s8, s17, v19
	v_cmp_gt_i32_e64 s0, s16, v0
	v_ashrrev_i32_e32 v1, 31, v0
	s_waitcnt lgkmcnt(0)
	v_mad_i64_i32 v[2:3], null, v19, s20, 0
	v_mad_i64_i32 v[4:5], null, v19, s18, 0
	s_lshl_b64 s[2:3], s[2:3], 3
	s_delay_alu instid0(SALU_CYCLE_1) | instskip(SKIP_1) | instid1(VALU_DEP_2)
	s_add_u32 s14, s14, s2
	s_addc_u32 s15, s15, s3
	v_lshlrev_b64 v[2:3], 3, v[2:3]
	s_and_b32 s2, s0, s8
	s_delay_alu instid0(VALU_DEP_2) | instskip(NEXT) | instid1(VALU_DEP_2)
	v_lshlrev_b64 v[4:5], 3, v[4:5]
	v_add_co_u32 v16, vcc_lo, s12, v2
	s_delay_alu instid0(VALU_DEP_3) | instskip(NEXT) | instid1(VALU_DEP_3)
	v_add_co_ci_u32_e32 v17, vcc_lo, s13, v3, vcc_lo
	v_add_co_u32 v22, vcc_lo, s14, v4
	s_delay_alu instid0(VALU_DEP_4) | instskip(SKIP_3) | instid1(SALU_CYCLE_1)
	v_add_co_ci_u32_e32 v21, vcc_lo, s15, v5, vcc_lo
	s_mov_b32 s1, exec_lo
	v_dual_mov_b32 v30, v77 :: v_dual_mov_b32 v35, v79
	s_and_b32 s2, s1, s2
	s_mov_b32 exec_lo, s2
	s_cbranch_execz .LBB108_65
; %bb.61:
	s_and_not1_b32 vcc_lo, exec_lo, s9
	s_cbranch_vccnz .LBB108_63
; %bb.62:
	v_lshlrev_b64 v[2:3], 3, v[0:1]
	s_delay_alu instid0(VALU_DEP_1) | instskip(NEXT) | instid1(VALU_DEP_2)
	v_add_co_u32 v2, vcc_lo, v16, v2
	v_add_co_ci_u32_e32 v3, vcc_lo, v17, v3, vcc_lo
	flat_load_b64 v[2:3], v[2:3]
	s_waitcnt vmcnt(0) lgkmcnt(0)
	v_mul_f64 v[2:3], s[10:11], v[2:3]
	s_branch .LBB108_64
.LBB108_63:
	v_mov_b32_e32 v2, 0
	v_mov_b32_e32 v3, 0
.LBB108_64:
	s_delay_alu instid0(VALU_DEP_1) | instskip(SKIP_2) | instid1(VALU_DEP_1)
	v_cvt_f32_f64_e32 v2, v[2:3]
	v_max_f32_e32 v3, v143, v143
	v_lshlrev_b64 v[4:5], 3, v[0:1]
	v_add_co_u32 v4, vcc_lo, v22, v4
	s_delay_alu instid0(VALU_DEP_2) | instskip(NEXT) | instid1(VALU_DEP_4)
	v_add_co_ci_u32_e32 v5, vcc_lo, v21, v5, vcc_lo
	v_min_f32_e32 v2, v2, v3
	s_delay_alu instid0(VALU_DEP_1)
	v_cvt_f64_f32_e32 v[2:3], v2
	global_store_b64 v[4:5], v[2:3], off
.LBB108_65:
	s_or_b32 exec_lo, exec_lo, s1
	v_add_nc_u32_e32 v2, 32, v0
	s_delay_alu instid0(VALU_DEP_1) | instskip(SKIP_1) | instid1(VALU_DEP_2)
	v_cmp_gt_i32_e64 s1, s16, v2
	v_ashrrev_i32_e32 v3, 31, v2
	s_and_b32 s3, s1, s8
	s_delay_alu instid0(SALU_CYCLE_1)
	s_and_saveexec_b32 s2, s3
	s_cbranch_execz .LBB108_70
; %bb.66:
	v_cmp_ne_u32_e32 vcc_lo, 1, v18
	s_cbranch_vccnz .LBB108_68
; %bb.67:
	v_lshlrev_b64 v[4:5], 3, v[2:3]
	s_delay_alu instid0(VALU_DEP_1) | instskip(NEXT) | instid1(VALU_DEP_2)
	v_add_co_u32 v4, vcc_lo, v16, v4
	v_add_co_ci_u32_e32 v5, vcc_lo, v17, v5, vcc_lo
	flat_load_b64 v[4:5], v[4:5]
	s_waitcnt vmcnt(0) lgkmcnt(0)
	v_mul_f64 v[4:5], s[10:11], v[4:5]
	s_branch .LBB108_69
.LBB108_68:
	v_mov_b32_e32 v4, 0
	v_mov_b32_e32 v5, 0
.LBB108_69:
	s_delay_alu instid0(VALU_DEP_1) | instskip(SKIP_2) | instid1(VALU_DEP_1)
	v_cvt_f32_f64_e32 v4, v[4:5]
	v_max_f32_e32 v5, v142, v142
	v_lshlrev_b64 v[6:7], 3, v[2:3]
	v_add_co_u32 v6, vcc_lo, v22, v6
	s_delay_alu instid0(VALU_DEP_2) | instskip(NEXT) | instid1(VALU_DEP_4)
	v_add_co_ci_u32_e32 v7, vcc_lo, v21, v7, vcc_lo
	v_min_f32_e32 v4, v4, v5
	s_delay_alu instid0(VALU_DEP_1)
	v_cvt_f64_f32_e32 v[4:5], v4
	global_store_b64 v[6:7], v[4:5], off
.LBB108_70:
	s_or_b32 exec_lo, exec_lo, s2
	v_add_nc_u32_e32 v4, 64, v0
	s_delay_alu instid0(VALU_DEP_1) | instskip(SKIP_1) | instid1(VALU_DEP_2)
	v_cmp_gt_i32_e64 s2, s16, v4
	v_ashrrev_i32_e32 v5, 31, v4
	s_and_b32 s4, s2, s8
	s_delay_alu instid0(SALU_CYCLE_1)
	s_and_saveexec_b32 s3, s4
	s_cbranch_execz .LBB108_75
; %bb.71:
	v_cmp_ne_u32_e32 vcc_lo, 1, v18
	s_cbranch_vccnz .LBB108_73
; %bb.72:
	v_lshlrev_b64 v[6:7], 3, v[4:5]
	s_delay_alu instid0(VALU_DEP_1) | instskip(NEXT) | instid1(VALU_DEP_2)
	v_add_co_u32 v6, vcc_lo, v16, v6
	v_add_co_ci_u32_e32 v7, vcc_lo, v17, v7, vcc_lo
	flat_load_b64 v[6:7], v[6:7]
	s_waitcnt vmcnt(0) lgkmcnt(0)
	v_mul_f64 v[6:7], s[10:11], v[6:7]
	s_branch .LBB108_74
.LBB108_73:
	v_mov_b32_e32 v6, 0
	v_mov_b32_e32 v7, 0
.LBB108_74:
	s_delay_alu instid0(VALU_DEP_1) | instskip(SKIP_2) | instid1(VALU_DEP_1)
	v_cvt_f32_f64_e32 v6, v[6:7]
	v_max_f32_e32 v7, v141, v141
	v_lshlrev_b64 v[8:9], 3, v[4:5]
	v_add_co_u32 v8, vcc_lo, v22, v8
	s_delay_alu instid0(VALU_DEP_2) | instskip(NEXT) | instid1(VALU_DEP_4)
	v_add_co_ci_u32_e32 v9, vcc_lo, v21, v9, vcc_lo
	v_min_f32_e32 v6, v6, v7
	s_delay_alu instid0(VALU_DEP_1)
	v_cvt_f64_f32_e32 v[6:7], v6
	global_store_b64 v[8:9], v[6:7], off
.LBB108_75:
	;; [unrolled: 37-line block ×7, first 2 shown]
	s_or_b32 exec_lo, exec_lo, s8
	v_add_nc_u32_e32 v22, 8, v19
	s_delay_alu instid0(VALU_DEP_1) | instskip(SKIP_2) | instid1(VALU_DEP_3)
	v_mad_i64_i32 v[16:17], null, v22, s20, 0
	v_mad_i64_i32 v[20:21], null, v22, s18, 0
	v_cmp_gt_i32_e64 s8, s17, v22
	v_lshlrev_b64 v[16:17], 3, v[16:17]
	s_delay_alu instid0(VALU_DEP_2) | instskip(NEXT) | instid1(VALU_DEP_3)
	s_and_b32 s16, s0, s8
	v_lshlrev_b64 v[20:21], 3, v[20:21]
	s_delay_alu instid0(VALU_DEP_2) | instskip(NEXT) | instid1(VALU_DEP_3)
	v_add_co_u32 v24, vcc_lo, s12, v16
	v_add_co_ci_u32_e32 v23, vcc_lo, s13, v17, vcc_lo
	s_delay_alu instid0(VALU_DEP_3) | instskip(NEXT) | instid1(VALU_DEP_4)
	v_add_co_u32 v22, vcc_lo, s14, v20
	v_add_co_ci_u32_e32 v21, vcc_lo, s15, v21, vcc_lo
	s_and_saveexec_b32 s9, s16
	s_cbranch_execnz .LBB108_108
; %bb.101:
	s_or_b32 exec_lo, exec_lo, s9
	s_and_b32 s16, s1, s8
	s_delay_alu instid0(SALU_CYCLE_1)
	s_and_saveexec_b32 s9, s16
	s_cbranch_execnz .LBB108_112
.LBB108_102:
	s_or_b32 exec_lo, exec_lo, s9
	s_and_b32 s16, s2, s8
	s_delay_alu instid0(SALU_CYCLE_1)
	s_and_saveexec_b32 s9, s16
	s_cbranch_execnz .LBB108_116
.LBB108_103:
	s_or_b32 exec_lo, exec_lo, s9
	s_and_b32 s16, s3, s8
	s_delay_alu instid0(SALU_CYCLE_1)
	s_and_saveexec_b32 s9, s16
	s_cbranch_execnz .LBB108_120
.LBB108_104:
	s_or_b32 exec_lo, exec_lo, s9
	s_and_b32 s16, s4, s8
	s_delay_alu instid0(SALU_CYCLE_1)
	s_and_saveexec_b32 s9, s16
	s_cbranch_execnz .LBB108_124
.LBB108_105:
	s_or_b32 exec_lo, exec_lo, s9
	s_and_b32 s16, s5, s8
	s_delay_alu instid0(SALU_CYCLE_1)
	s_and_saveexec_b32 s9, s16
	s_cbranch_execnz .LBB108_128
.LBB108_106:
	s_or_b32 exec_lo, exec_lo, s9
	s_and_b32 s16, s6, s8
	s_delay_alu instid0(SALU_CYCLE_1)
	s_and_saveexec_b32 s9, s16
	s_cbranch_execnz .LBB108_132
.LBB108_107:
	s_or_b32 exec_lo, exec_lo, s9
	s_and_b32 s9, s7, s8
	s_delay_alu instid0(SALU_CYCLE_1)
	s_and_saveexec_b32 s8, s9
	s_cbranch_execnz .LBB108_136
	s_branch .LBB108_140
.LBB108_108:
	v_cmp_ne_u32_e32 vcc_lo, 1, v18
	s_cbranch_vccnz .LBB108_110
; %bb.109:
	v_lshlrev_b64 v[16:17], 3, v[0:1]
	s_delay_alu instid0(VALU_DEP_1) | instskip(NEXT) | instid1(VALU_DEP_2)
	v_add_co_u32 v16, vcc_lo, v24, v16
	v_add_co_ci_u32_e32 v17, vcc_lo, v23, v17, vcc_lo
	flat_load_b64 v[16:17], v[16:17]
	s_waitcnt vmcnt(0) lgkmcnt(0)
	v_mul_f64 v[16:17], s[10:11], v[16:17]
	s_branch .LBB108_111
.LBB108_110:
	v_mov_b32_e32 v16, 0
	v_mov_b32_e32 v17, 0
.LBB108_111:
	s_delay_alu instid0(VALU_DEP_1) | instskip(SKIP_2) | instid1(VALU_DEP_1)
	v_cvt_f32_f64_e32 v16, v[16:17]
	v_max_f32_e32 v17, v28, v28
	v_lshlrev_b64 v[25:26], 3, v[0:1]
	v_add_co_u32 v25, vcc_lo, v22, v25
	s_delay_alu instid0(VALU_DEP_2) | instskip(NEXT) | instid1(VALU_DEP_4)
	v_add_co_ci_u32_e32 v26, vcc_lo, v21, v26, vcc_lo
	v_min_f32_e32 v16, v16, v17
	s_delay_alu instid0(VALU_DEP_1) | instskip(SKIP_3) | instid1(SALU_CYCLE_1)
	v_cvt_f64_f32_e32 v[16:17], v16
	global_store_b64 v[25:26], v[16:17], off
	s_or_b32 exec_lo, exec_lo, s9
	s_and_b32 s16, s1, s8
	s_and_saveexec_b32 s9, s16
	s_cbranch_execz .LBB108_102
.LBB108_112:
	v_cmp_ne_u32_e32 vcc_lo, 1, v18
	s_cbranch_vccnz .LBB108_114
; %bb.113:
	v_lshlrev_b64 v[16:17], 3, v[2:3]
	s_delay_alu instid0(VALU_DEP_1) | instskip(NEXT) | instid1(VALU_DEP_2)
	v_add_co_u32 v16, vcc_lo, v24, v16
	v_add_co_ci_u32_e32 v17, vcc_lo, v23, v17, vcc_lo
	flat_load_b64 v[16:17], v[16:17]
	s_waitcnt vmcnt(0) lgkmcnt(0)
	v_mul_f64 v[16:17], s[10:11], v[16:17]
	s_branch .LBB108_115
.LBB108_114:
	v_mov_b32_e32 v16, 0
	v_mov_b32_e32 v17, 0
.LBB108_115:
	s_delay_alu instid0(VALU_DEP_1) | instskip(SKIP_2) | instid1(VALU_DEP_1)
	v_cvt_f32_f64_e32 v16, v[16:17]
	v_max_f32_e32 v17, v201, v201
	v_lshlrev_b64 v[25:26], 3, v[2:3]
	v_add_co_u32 v25, vcc_lo, v22, v25
	s_delay_alu instid0(VALU_DEP_2) | instskip(NEXT) | instid1(VALU_DEP_4)
	v_add_co_ci_u32_e32 v26, vcc_lo, v21, v26, vcc_lo
	v_min_f32_e32 v16, v16, v17
	s_delay_alu instid0(VALU_DEP_1) | instskip(SKIP_3) | instid1(SALU_CYCLE_1)
	v_cvt_f64_f32_e32 v[16:17], v16
	global_store_b64 v[25:26], v[16:17], off
	s_or_b32 exec_lo, exec_lo, s9
	s_and_b32 s16, s2, s8
	s_and_saveexec_b32 s9, s16
	s_cbranch_execz .LBB108_103
.LBB108_116:
	v_cmp_ne_u32_e32 vcc_lo, 1, v18
	s_cbranch_vccnz .LBB108_118
; %bb.117:
	v_lshlrev_b64 v[16:17], 3, v[4:5]
	s_delay_alu instid0(VALU_DEP_1) | instskip(NEXT) | instid1(VALU_DEP_2)
	v_add_co_u32 v16, vcc_lo, v24, v16
	v_add_co_ci_u32_e32 v17, vcc_lo, v23, v17, vcc_lo
	flat_load_b64 v[16:17], v[16:17]
	s_waitcnt vmcnt(0) lgkmcnt(0)
	v_mul_f64 v[16:17], s[10:11], v[16:17]
	s_branch .LBB108_119
.LBB108_118:
	v_mov_b32_e32 v16, 0
	v_mov_b32_e32 v17, 0
.LBB108_119:
	s_delay_alu instid0(VALU_DEP_1) | instskip(SKIP_2) | instid1(VALU_DEP_1)
	v_cvt_f32_f64_e32 v16, v[16:17]
	v_max_f32_e32 v17, v111, v111
	v_lshlrev_b64 v[25:26], 3, v[4:5]
	v_add_co_u32 v25, vcc_lo, v22, v25
	s_delay_alu instid0(VALU_DEP_2) | instskip(NEXT) | instid1(VALU_DEP_4)
	v_add_co_ci_u32_e32 v26, vcc_lo, v21, v26, vcc_lo
	v_min_f32_e32 v16, v16, v17
	s_delay_alu instid0(VALU_DEP_1) | instskip(SKIP_3) | instid1(SALU_CYCLE_1)
	v_cvt_f64_f32_e32 v[16:17], v16
	global_store_b64 v[25:26], v[16:17], off
	s_or_b32 exec_lo, exec_lo, s9
	s_and_b32 s16, s3, s8
	s_and_saveexec_b32 s9, s16
	s_cbranch_execz .LBB108_104
.LBB108_120:
	v_cmp_ne_u32_e32 vcc_lo, 1, v18
	s_cbranch_vccnz .LBB108_122
; %bb.121:
	v_lshlrev_b64 v[16:17], 3, v[6:7]
	s_delay_alu instid0(VALU_DEP_1) | instskip(NEXT) | instid1(VALU_DEP_2)
	v_add_co_u32 v16, vcc_lo, v24, v16
	v_add_co_ci_u32_e32 v17, vcc_lo, v23, v17, vcc_lo
	flat_load_b64 v[16:17], v[16:17]
	s_waitcnt vmcnt(0) lgkmcnt(0)
	v_mul_f64 v[16:17], s[10:11], v[16:17]
	s_branch .LBB108_123
.LBB108_122:
	v_mov_b32_e32 v16, 0
	v_mov_b32_e32 v17, 0
.LBB108_123:
	s_delay_alu instid0(VALU_DEP_1) | instskip(SKIP_2) | instid1(VALU_DEP_1)
	v_cvt_f32_f64_e32 v16, v[16:17]
	v_max_f32_e32 v17, v110, v110
	v_lshlrev_b64 v[25:26], 3, v[6:7]
	v_add_co_u32 v25, vcc_lo, v22, v25
	s_delay_alu instid0(VALU_DEP_2) | instskip(NEXT) | instid1(VALU_DEP_4)
	v_add_co_ci_u32_e32 v26, vcc_lo, v21, v26, vcc_lo
	v_min_f32_e32 v16, v16, v17
	s_delay_alu instid0(VALU_DEP_1) | instskip(SKIP_3) | instid1(SALU_CYCLE_1)
	v_cvt_f64_f32_e32 v[16:17], v16
	global_store_b64 v[25:26], v[16:17], off
	s_or_b32 exec_lo, exec_lo, s9
	s_and_b32 s16, s4, s8
	s_and_saveexec_b32 s9, s16
	s_cbranch_execz .LBB108_105
.LBB108_124:
	v_cmp_ne_u32_e32 vcc_lo, 1, v18
	s_cbranch_vccnz .LBB108_126
; %bb.125:
	v_lshlrev_b64 v[16:17], 3, v[8:9]
	s_delay_alu instid0(VALU_DEP_1) | instskip(NEXT) | instid1(VALU_DEP_2)
	v_add_co_u32 v16, vcc_lo, v24, v16
	v_add_co_ci_u32_e32 v17, vcc_lo, v23, v17, vcc_lo
	flat_load_b64 v[16:17], v[16:17]
	s_waitcnt vmcnt(0) lgkmcnt(0)
	v_mul_f64 v[16:17], s[10:11], v[16:17]
	s_branch .LBB108_127
.LBB108_126:
	v_mov_b32_e32 v16, 0
	v_mov_b32_e32 v17, 0
.LBB108_127:
	s_delay_alu instid0(VALU_DEP_1) | instskip(SKIP_2) | instid1(VALU_DEP_1)
	v_cvt_f32_f64_e32 v16, v[16:17]
	v_max_f32_e32 v17, v105, v105
	v_lshlrev_b64 v[25:26], 3, v[8:9]
	v_add_co_u32 v25, vcc_lo, v22, v25
	s_delay_alu instid0(VALU_DEP_2) | instskip(NEXT) | instid1(VALU_DEP_4)
	v_add_co_ci_u32_e32 v26, vcc_lo, v21, v26, vcc_lo
	v_min_f32_e32 v16, v16, v17
	s_delay_alu instid0(VALU_DEP_1) | instskip(SKIP_3) | instid1(SALU_CYCLE_1)
	v_cvt_f64_f32_e32 v[16:17], v16
	global_store_b64 v[25:26], v[16:17], off
	s_or_b32 exec_lo, exec_lo, s9
	s_and_b32 s16, s5, s8
	s_and_saveexec_b32 s9, s16
	s_cbranch_execz .LBB108_106
.LBB108_128:
	v_cmp_ne_u32_e32 vcc_lo, 1, v18
	s_cbranch_vccnz .LBB108_130
; %bb.129:
	v_lshlrev_b64 v[16:17], 3, v[10:11]
	s_delay_alu instid0(VALU_DEP_1) | instskip(NEXT) | instid1(VALU_DEP_2)
	v_add_co_u32 v16, vcc_lo, v24, v16
	v_add_co_ci_u32_e32 v17, vcc_lo, v23, v17, vcc_lo
	flat_load_b64 v[16:17], v[16:17]
	s_waitcnt vmcnt(0) lgkmcnt(0)
	v_mul_f64 v[16:17], s[10:11], v[16:17]
	s_branch .LBB108_131
.LBB108_130:
	v_mov_b32_e32 v16, 0
	v_mov_b32_e32 v17, 0
.LBB108_131:
	s_delay_alu instid0(VALU_DEP_1) | instskip(SKIP_2) | instid1(VALU_DEP_1)
	v_cvt_f32_f64_e32 v16, v[16:17]
	v_max_f32_e32 v17, v104, v104
	v_lshlrev_b64 v[25:26], 3, v[10:11]
	v_add_co_u32 v25, vcc_lo, v22, v25
	s_delay_alu instid0(VALU_DEP_2) | instskip(NEXT) | instid1(VALU_DEP_4)
	v_add_co_ci_u32_e32 v26, vcc_lo, v21, v26, vcc_lo
	v_min_f32_e32 v16, v16, v17
	s_delay_alu instid0(VALU_DEP_1) | instskip(SKIP_3) | instid1(SALU_CYCLE_1)
	v_cvt_f64_f32_e32 v[16:17], v16
	global_store_b64 v[25:26], v[16:17], off
	s_or_b32 exec_lo, exec_lo, s9
	s_and_b32 s16, s6, s8
	s_and_saveexec_b32 s9, s16
	s_cbranch_execz .LBB108_107
.LBB108_132:
	v_cmp_ne_u32_e32 vcc_lo, 1, v18
	s_cbranch_vccnz .LBB108_134
; %bb.133:
	v_lshlrev_b64 v[16:17], 3, v[12:13]
	s_delay_alu instid0(VALU_DEP_1) | instskip(NEXT) | instid1(VALU_DEP_2)
	v_add_co_u32 v16, vcc_lo, v24, v16
	v_add_co_ci_u32_e32 v17, vcc_lo, v23, v17, vcc_lo
	flat_load_b64 v[16:17], v[16:17]
	s_waitcnt vmcnt(0) lgkmcnt(0)
	v_mul_f64 v[16:17], s[10:11], v[16:17]
	s_branch .LBB108_135
.LBB108_134:
	v_mov_b32_e32 v16, 0
	v_mov_b32_e32 v17, 0
.LBB108_135:
	s_delay_alu instid0(VALU_DEP_1) | instskip(SKIP_2) | instid1(VALU_DEP_1)
	v_cvt_f32_f64_e32 v16, v[16:17]
	v_max_f32_e32 v17, v115, v115
	v_lshlrev_b64 v[25:26], 3, v[12:13]
	v_add_co_u32 v25, vcc_lo, v22, v25
	s_delay_alu instid0(VALU_DEP_2) | instskip(NEXT) | instid1(VALU_DEP_4)
	v_add_co_ci_u32_e32 v26, vcc_lo, v21, v26, vcc_lo
	v_min_f32_e32 v16, v16, v17
	s_delay_alu instid0(VALU_DEP_1) | instskip(SKIP_3) | instid1(SALU_CYCLE_1)
	v_cvt_f64_f32_e32 v[16:17], v16
	global_store_b64 v[25:26], v[16:17], off
	s_or_b32 exec_lo, exec_lo, s9
	s_and_b32 s9, s7, s8
	s_and_saveexec_b32 s8, s9
	s_cbranch_execz .LBB108_140
.LBB108_136:
	v_cmp_ne_u32_e32 vcc_lo, 1, v18
	s_cbranch_vccnz .LBB108_138
; %bb.137:
	v_lshlrev_b64 v[16:17], 3, v[14:15]
	s_delay_alu instid0(VALU_DEP_1) | instskip(NEXT) | instid1(VALU_DEP_2)
	v_add_co_u32 v16, vcc_lo, v24, v16
	v_add_co_ci_u32_e32 v17, vcc_lo, v23, v17, vcc_lo
	flat_load_b64 v[16:17], v[16:17]
	s_waitcnt vmcnt(0) lgkmcnt(0)
	v_mul_f64 v[16:17], s[10:11], v[16:17]
	s_branch .LBB108_139
.LBB108_138:
	v_mov_b32_e32 v16, 0
	v_mov_b32_e32 v17, 0
.LBB108_139:
	s_delay_alu instid0(VALU_DEP_1) | instskip(SKIP_2) | instid1(VALU_DEP_1)
	v_cvt_f32_f64_e32 v16, v[16:17]
	v_max_f32_e32 v17, v114, v114
	v_lshlrev_b64 v[23:24], 3, v[14:15]
	v_add_co_u32 v20, vcc_lo, v22, v23
	s_delay_alu instid0(VALU_DEP_2) | instskip(NEXT) | instid1(VALU_DEP_4)
	v_add_co_ci_u32_e32 v21, vcc_lo, v21, v24, vcc_lo
	v_min_f32_e32 v16, v16, v17
	s_delay_alu instid0(VALU_DEP_1)
	v_cvt_f64_f32_e32 v[16:17], v16
	global_store_b64 v[20:21], v[16:17], off
.LBB108_140:
	s_or_b32 exec_lo, exec_lo, s8
	v_add_nc_u32_e32 v22, 16, v19
	s_delay_alu instid0(VALU_DEP_1) | instskip(SKIP_2) | instid1(VALU_DEP_3)
	v_mad_i64_i32 v[16:17], null, v22, s20, 0
	v_mad_i64_i32 v[20:21], null, v22, s18, 0
	v_cmp_gt_i32_e64 s8, s17, v22
	v_lshlrev_b64 v[16:17], 3, v[16:17]
	s_delay_alu instid0(VALU_DEP_2) | instskip(NEXT) | instid1(VALU_DEP_3)
	s_and_b32 s16, s0, s8
	v_lshlrev_b64 v[20:21], 3, v[20:21]
	s_delay_alu instid0(VALU_DEP_2) | instskip(NEXT) | instid1(VALU_DEP_3)
	v_add_co_u32 v24, vcc_lo, s12, v16
	v_add_co_ci_u32_e32 v23, vcc_lo, s13, v17, vcc_lo
	s_delay_alu instid0(VALU_DEP_3) | instskip(NEXT) | instid1(VALU_DEP_4)
	v_add_co_u32 v22, vcc_lo, s14, v20
	v_add_co_ci_u32_e32 v21, vcc_lo, s15, v21, vcc_lo
	s_and_saveexec_b32 s9, s16
	s_cbranch_execnz .LBB108_148
; %bb.141:
	s_or_b32 exec_lo, exec_lo, s9
	s_and_b32 s16, s1, s8
	s_delay_alu instid0(SALU_CYCLE_1)
	s_and_saveexec_b32 s9, s16
	s_cbranch_execnz .LBB108_152
.LBB108_142:
	s_or_b32 exec_lo, exec_lo, s9
	s_and_b32 s16, s2, s8
	s_delay_alu instid0(SALU_CYCLE_1)
	s_and_saveexec_b32 s9, s16
	s_cbranch_execnz .LBB108_156
.LBB108_143:
	s_or_b32 exec_lo, exec_lo, s9
	s_and_b32 s16, s3, s8
	s_delay_alu instid0(SALU_CYCLE_1)
	s_and_saveexec_b32 s9, s16
	s_cbranch_execnz .LBB108_160
.LBB108_144:
	s_or_b32 exec_lo, exec_lo, s9
	s_and_b32 s16, s4, s8
	s_delay_alu instid0(SALU_CYCLE_1)
	s_and_saveexec_b32 s9, s16
	s_cbranch_execnz .LBB108_164
.LBB108_145:
	s_or_b32 exec_lo, exec_lo, s9
	s_and_b32 s16, s5, s8
	s_delay_alu instid0(SALU_CYCLE_1)
	s_and_saveexec_b32 s9, s16
	s_cbranch_execnz .LBB108_168
.LBB108_146:
	s_or_b32 exec_lo, exec_lo, s9
	s_and_b32 s16, s6, s8
	s_delay_alu instid0(SALU_CYCLE_1)
	s_and_saveexec_b32 s9, s16
	s_cbranch_execnz .LBB108_172
.LBB108_147:
	s_or_b32 exec_lo, exec_lo, s9
	s_and_b32 s9, s7, s8
	s_delay_alu instid0(SALU_CYCLE_1)
	s_and_saveexec_b32 s8, s9
	s_cbranch_execnz .LBB108_176
	s_branch .LBB108_180
.LBB108_148:
	v_cmp_ne_u32_e32 vcc_lo, 1, v18
	s_cbranch_vccnz .LBB108_150
; %bb.149:
	v_lshlrev_b64 v[16:17], 3, v[0:1]
	s_delay_alu instid0(VALU_DEP_1) | instskip(NEXT) | instid1(VALU_DEP_2)
	v_add_co_u32 v16, vcc_lo, v24, v16
	v_add_co_ci_u32_e32 v17, vcc_lo, v23, v17, vcc_lo
	flat_load_b64 v[16:17], v[16:17]
	s_waitcnt vmcnt(0) lgkmcnt(0)
	v_mul_f64 v[16:17], s[10:11], v[16:17]
	s_branch .LBB108_151
.LBB108_150:
	v_mov_b32_e32 v16, 0
	v_mov_b32_e32 v17, 0
.LBB108_151:
	s_delay_alu instid0(VALU_DEP_1) | instskip(SKIP_2) | instid1(VALU_DEP_1)
	v_cvt_f32_f64_e32 v16, v[16:17]
	v_max_f32_e32 v17, v109, v109
	v_lshlrev_b64 v[25:26], 3, v[0:1]
	v_add_co_u32 v25, vcc_lo, v22, v25
	s_delay_alu instid0(VALU_DEP_2) | instskip(NEXT) | instid1(VALU_DEP_4)
	v_add_co_ci_u32_e32 v26, vcc_lo, v21, v26, vcc_lo
	v_min_f32_e32 v16, v16, v17
	s_delay_alu instid0(VALU_DEP_1) | instskip(SKIP_3) | instid1(SALU_CYCLE_1)
	v_cvt_f64_f32_e32 v[16:17], v16
	global_store_b64 v[25:26], v[16:17], off
	s_or_b32 exec_lo, exec_lo, s9
	s_and_b32 s16, s1, s8
	s_and_saveexec_b32 s9, s16
	s_cbranch_execz .LBB108_142
.LBB108_152:
	v_cmp_ne_u32_e32 vcc_lo, 1, v18
	s_cbranch_vccnz .LBB108_154
; %bb.153:
	v_lshlrev_b64 v[16:17], 3, v[2:3]
	s_delay_alu instid0(VALU_DEP_1) | instskip(NEXT) | instid1(VALU_DEP_2)
	v_add_co_u32 v16, vcc_lo, v24, v16
	v_add_co_ci_u32_e32 v17, vcc_lo, v23, v17, vcc_lo
	flat_load_b64 v[16:17], v[16:17]
	s_waitcnt vmcnt(0) lgkmcnt(0)
	v_mul_f64 v[16:17], s[10:11], v[16:17]
	s_branch .LBB108_155
.LBB108_154:
	v_mov_b32_e32 v16, 0
	v_mov_b32_e32 v17, 0
.LBB108_155:
	s_delay_alu instid0(VALU_DEP_1) | instskip(SKIP_2) | instid1(VALU_DEP_1)
	v_cvt_f32_f64_e32 v16, v[16:17]
	v_max_f32_e32 v17, v108, v108
	v_lshlrev_b64 v[25:26], 3, v[2:3]
	v_add_co_u32 v25, vcc_lo, v22, v25
	s_delay_alu instid0(VALU_DEP_2) | instskip(NEXT) | instid1(VALU_DEP_4)
	v_add_co_ci_u32_e32 v26, vcc_lo, v21, v26, vcc_lo
	v_min_f32_e32 v16, v16, v17
	s_delay_alu instid0(VALU_DEP_1) | instskip(SKIP_3) | instid1(SALU_CYCLE_1)
	v_cvt_f64_f32_e32 v[16:17], v16
	global_store_b64 v[25:26], v[16:17], off
	s_or_b32 exec_lo, exec_lo, s9
	s_and_b32 s16, s2, s8
	s_and_saveexec_b32 s9, s16
	s_cbranch_execz .LBB108_143
.LBB108_156:
	v_cmp_ne_u32_e32 vcc_lo, 1, v18
	s_cbranch_vccnz .LBB108_158
; %bb.157:
	v_lshlrev_b64 v[16:17], 3, v[4:5]
	s_delay_alu instid0(VALU_DEP_1) | instskip(NEXT) | instid1(VALU_DEP_2)
	v_add_co_u32 v16, vcc_lo, v24, v16
	v_add_co_ci_u32_e32 v17, vcc_lo, v23, v17, vcc_lo
	flat_load_b64 v[16:17], v[16:17]
	s_waitcnt vmcnt(0) lgkmcnt(0)
	v_mul_f64 v[16:17], s[10:11], v[16:17]
	s_branch .LBB108_159
.LBB108_158:
	v_mov_b32_e32 v16, 0
	v_mov_b32_e32 v17, 0
.LBB108_159:
	s_delay_alu instid0(VALU_DEP_1) | instskip(SKIP_2) | instid1(VALU_DEP_1)
	v_cvt_f32_f64_e32 v16, v[16:17]
	v_max_f32_e32 v17, v211, v211
	v_lshlrev_b64 v[25:26], 3, v[4:5]
	v_add_co_u32 v25, vcc_lo, v22, v25
	s_delay_alu instid0(VALU_DEP_2) | instskip(NEXT) | instid1(VALU_DEP_4)
	v_add_co_ci_u32_e32 v26, vcc_lo, v21, v26, vcc_lo
	v_min_f32_e32 v16, v16, v17
	s_delay_alu instid0(VALU_DEP_1) | instskip(SKIP_3) | instid1(SALU_CYCLE_1)
	v_cvt_f64_f32_e32 v[16:17], v16
	global_store_b64 v[25:26], v[16:17], off
	s_or_b32 exec_lo, exec_lo, s9
	s_and_b32 s16, s3, s8
	s_and_saveexec_b32 s9, s16
	s_cbranch_execz .LBB108_144
.LBB108_160:
	v_cmp_ne_u32_e32 vcc_lo, 1, v18
	s_cbranch_vccnz .LBB108_162
; %bb.161:
	v_lshlrev_b64 v[16:17], 3, v[6:7]
	s_delay_alu instid0(VALU_DEP_1) | instskip(NEXT) | instid1(VALU_DEP_2)
	v_add_co_u32 v16, vcc_lo, v24, v16
	v_add_co_ci_u32_e32 v17, vcc_lo, v23, v17, vcc_lo
	flat_load_b64 v[16:17], v[16:17]
	s_waitcnt vmcnt(0) lgkmcnt(0)
	v_mul_f64 v[16:17], s[10:11], v[16:17]
	s_branch .LBB108_163
.LBB108_162:
	v_mov_b32_e32 v16, 0
	v_mov_b32_e32 v17, 0
.LBB108_163:
	s_delay_alu instid0(VALU_DEP_1) | instskip(SKIP_2) | instid1(VALU_DEP_1)
	v_cvt_f32_f64_e32 v16, v[16:17]
	v_max_f32_e32 v17, v113, v113
	v_lshlrev_b64 v[25:26], 3, v[6:7]
	v_add_co_u32 v25, vcc_lo, v22, v25
	s_delay_alu instid0(VALU_DEP_2) | instskip(NEXT) | instid1(VALU_DEP_4)
	v_add_co_ci_u32_e32 v26, vcc_lo, v21, v26, vcc_lo
	v_min_f32_e32 v16, v16, v17
	s_delay_alu instid0(VALU_DEP_1) | instskip(SKIP_3) | instid1(SALU_CYCLE_1)
	v_cvt_f64_f32_e32 v[16:17], v16
	global_store_b64 v[25:26], v[16:17], off
	s_or_b32 exec_lo, exec_lo, s9
	s_and_b32 s16, s4, s8
	s_and_saveexec_b32 s9, s16
	s_cbranch_execz .LBB108_145
.LBB108_164:
	v_cmp_ne_u32_e32 vcc_lo, 1, v18
	s_cbranch_vccnz .LBB108_166
; %bb.165:
	v_lshlrev_b64 v[16:17], 3, v[8:9]
	s_delay_alu instid0(VALU_DEP_1) | instskip(NEXT) | instid1(VALU_DEP_2)
	v_add_co_u32 v16, vcc_lo, v24, v16
	v_add_co_ci_u32_e32 v17, vcc_lo, v23, v17, vcc_lo
	flat_load_b64 v[16:17], v[16:17]
	s_waitcnt vmcnt(0) lgkmcnt(0)
	v_mul_f64 v[16:17], s[10:11], v[16:17]
	s_branch .LBB108_167
.LBB108_166:
	v_mov_b32_e32 v16, 0
	v_mov_b32_e32 v17, 0
.LBB108_167:
	s_delay_alu instid0(VALU_DEP_1) | instskip(SKIP_2) | instid1(VALU_DEP_1)
	v_cvt_f32_f64_e32 v16, v[16:17]
	v_max_f32_e32 v17, v112, v112
	v_lshlrev_b64 v[25:26], 3, v[8:9]
	v_add_co_u32 v25, vcc_lo, v22, v25
	s_delay_alu instid0(VALU_DEP_2) | instskip(NEXT) | instid1(VALU_DEP_4)
	v_add_co_ci_u32_e32 v26, vcc_lo, v21, v26, vcc_lo
	v_min_f32_e32 v16, v16, v17
	s_delay_alu instid0(VALU_DEP_1) | instskip(SKIP_3) | instid1(SALU_CYCLE_1)
	v_cvt_f64_f32_e32 v[16:17], v16
	global_store_b64 v[25:26], v[16:17], off
	s_or_b32 exec_lo, exec_lo, s9
	s_and_b32 s16, s5, s8
	s_and_saveexec_b32 s9, s16
	s_cbranch_execz .LBB108_146
.LBB108_168:
	v_cmp_ne_u32_e32 vcc_lo, 1, v18
	s_cbranch_vccnz .LBB108_170
; %bb.169:
	v_lshlrev_b64 v[16:17], 3, v[10:11]
	s_delay_alu instid0(VALU_DEP_1) | instskip(NEXT) | instid1(VALU_DEP_2)
	v_add_co_u32 v16, vcc_lo, v24, v16
	v_add_co_ci_u32_e32 v17, vcc_lo, v23, v17, vcc_lo
	flat_load_b64 v[16:17], v[16:17]
	s_waitcnt vmcnt(0) lgkmcnt(0)
	v_mul_f64 v[16:17], s[10:11], v[16:17]
	s_branch .LBB108_171
.LBB108_170:
	v_mov_b32_e32 v16, 0
	v_mov_b32_e32 v17, 0
.LBB108_171:
	s_delay_alu instid0(VALU_DEP_1) | instskip(SKIP_2) | instid1(VALU_DEP_1)
	v_cvt_f32_f64_e32 v16, v[16:17]
	v_max_f32_e32 v17, v61, v61
	v_lshlrev_b64 v[25:26], 3, v[10:11]
	v_add_co_u32 v25, vcc_lo, v22, v25
	s_delay_alu instid0(VALU_DEP_2) | instskip(NEXT) | instid1(VALU_DEP_4)
	v_add_co_ci_u32_e32 v26, vcc_lo, v21, v26, vcc_lo
	v_min_f32_e32 v16, v16, v17
	s_delay_alu instid0(VALU_DEP_1) | instskip(SKIP_3) | instid1(SALU_CYCLE_1)
	v_cvt_f64_f32_e32 v[16:17], v16
	global_store_b64 v[25:26], v[16:17], off
	s_or_b32 exec_lo, exec_lo, s9
	s_and_b32 s16, s6, s8
	s_and_saveexec_b32 s9, s16
	s_cbranch_execz .LBB108_147
.LBB108_172:
	v_cmp_ne_u32_e32 vcc_lo, 1, v18
	s_cbranch_vccnz .LBB108_174
; %bb.173:
	v_lshlrev_b64 v[16:17], 3, v[12:13]
	s_delay_alu instid0(VALU_DEP_1) | instskip(NEXT) | instid1(VALU_DEP_2)
	v_add_co_u32 v16, vcc_lo, v24, v16
	v_add_co_ci_u32_e32 v17, vcc_lo, v23, v17, vcc_lo
	flat_load_b64 v[16:17], v[16:17]
	s_waitcnt vmcnt(0) lgkmcnt(0)
	v_mul_f64 v[16:17], s[10:11], v[16:17]
	s_branch .LBB108_175
.LBB108_174:
	v_mov_b32_e32 v16, 0
	v_mov_b32_e32 v17, 0
.LBB108_175:
	s_delay_alu instid0(VALU_DEP_1) | instskip(SKIP_2) | instid1(VALU_DEP_1)
	v_cvt_f32_f64_e32 v16, v[16:17]
	v_max_f32_e32 v17, v84, v84
	v_lshlrev_b64 v[25:26], 3, v[12:13]
	v_add_co_u32 v25, vcc_lo, v22, v25
	s_delay_alu instid0(VALU_DEP_2) | instskip(NEXT) | instid1(VALU_DEP_4)
	v_add_co_ci_u32_e32 v26, vcc_lo, v21, v26, vcc_lo
	v_min_f32_e32 v16, v16, v17
	s_delay_alu instid0(VALU_DEP_1) | instskip(SKIP_3) | instid1(SALU_CYCLE_1)
	v_cvt_f64_f32_e32 v[16:17], v16
	global_store_b64 v[25:26], v[16:17], off
	s_or_b32 exec_lo, exec_lo, s9
	s_and_b32 s9, s7, s8
	s_and_saveexec_b32 s8, s9
	s_cbranch_execz .LBB108_180
.LBB108_176:
	v_cmp_ne_u32_e32 vcc_lo, 1, v18
	s_cbranch_vccnz .LBB108_178
; %bb.177:
	v_lshlrev_b64 v[16:17], 3, v[14:15]
	s_delay_alu instid0(VALU_DEP_1) | instskip(NEXT) | instid1(VALU_DEP_2)
	v_add_co_u32 v16, vcc_lo, v24, v16
	v_add_co_ci_u32_e32 v17, vcc_lo, v23, v17, vcc_lo
	flat_load_b64 v[16:17], v[16:17]
	s_waitcnt vmcnt(0) lgkmcnt(0)
	v_mul_f64 v[16:17], s[10:11], v[16:17]
	s_branch .LBB108_179
.LBB108_178:
	v_mov_b32_e32 v16, 0
	v_mov_b32_e32 v17, 0
.LBB108_179:
	s_delay_alu instid0(VALU_DEP_1) | instskip(SKIP_2) | instid1(VALU_DEP_1)
	v_cvt_f32_f64_e32 v16, v[16:17]
	v_max_f32_e32 v17, v43, v43
	v_lshlrev_b64 v[23:24], 3, v[14:15]
	v_add_co_u32 v20, vcc_lo, v22, v23
	s_delay_alu instid0(VALU_DEP_2) | instskip(NEXT) | instid1(VALU_DEP_4)
	v_add_co_ci_u32_e32 v21, vcc_lo, v21, v24, vcc_lo
	v_min_f32_e32 v16, v16, v17
	s_delay_alu instid0(VALU_DEP_1)
	v_cvt_f64_f32_e32 v[16:17], v16
	global_store_b64 v[20:21], v[16:17], off
.LBB108_180:
	s_or_b32 exec_lo, exec_lo, s8
	v_add_nc_u32_e32 v22, 24, v19
	s_delay_alu instid0(VALU_DEP_1) | instskip(SKIP_2) | instid1(VALU_DEP_3)
	v_mad_i64_i32 v[16:17], null, v22, s20, 0
	v_mad_i64_i32 v[20:21], null, v22, s18, 0
	v_cmp_gt_i32_e64 s8, s17, v22
	v_lshlrev_b64 v[16:17], 3, v[16:17]
	s_delay_alu instid0(VALU_DEP_2) | instskip(NEXT) | instid1(VALU_DEP_3)
	s_and_b32 s16, s0, s8
	v_lshlrev_b64 v[20:21], 3, v[20:21]
	s_delay_alu instid0(VALU_DEP_2) | instskip(NEXT) | instid1(VALU_DEP_3)
	v_add_co_u32 v24, vcc_lo, s12, v16
	v_add_co_ci_u32_e32 v23, vcc_lo, s13, v17, vcc_lo
	s_delay_alu instid0(VALU_DEP_3) | instskip(NEXT) | instid1(VALU_DEP_4)
	v_add_co_u32 v22, vcc_lo, s14, v20
	v_add_co_ci_u32_e32 v21, vcc_lo, s15, v21, vcc_lo
	s_and_saveexec_b32 s9, s16
	s_cbranch_execnz .LBB108_188
; %bb.181:
	s_or_b32 exec_lo, exec_lo, s9
	s_and_b32 s16, s1, s8
	s_delay_alu instid0(SALU_CYCLE_1)
	s_and_saveexec_b32 s9, s16
	s_cbranch_execnz .LBB108_192
.LBB108_182:
	s_or_b32 exec_lo, exec_lo, s9
	s_and_b32 s16, s2, s8
	s_delay_alu instid0(SALU_CYCLE_1)
	s_and_saveexec_b32 s9, s16
	s_cbranch_execnz .LBB108_196
.LBB108_183:
	s_or_b32 exec_lo, exec_lo, s9
	s_and_b32 s16, s3, s8
	s_delay_alu instid0(SALU_CYCLE_1)
	s_and_saveexec_b32 s9, s16
	s_cbranch_execnz .LBB108_200
.LBB108_184:
	s_or_b32 exec_lo, exec_lo, s9
	s_and_b32 s16, s4, s8
	s_delay_alu instid0(SALU_CYCLE_1)
	s_and_saveexec_b32 s9, s16
	s_cbranch_execnz .LBB108_204
.LBB108_185:
	s_or_b32 exec_lo, exec_lo, s9
	s_and_b32 s16, s5, s8
	s_delay_alu instid0(SALU_CYCLE_1)
	s_and_saveexec_b32 s9, s16
	s_cbranch_execnz .LBB108_208
.LBB108_186:
	s_or_b32 exec_lo, exec_lo, s9
	s_and_b32 s16, s6, s8
	s_delay_alu instid0(SALU_CYCLE_1)
	s_and_saveexec_b32 s9, s16
	s_cbranch_execnz .LBB108_212
.LBB108_187:
	s_or_b32 exec_lo, exec_lo, s9
	s_and_b32 s9, s7, s8
	s_delay_alu instid0(SALU_CYCLE_1)
	s_and_saveexec_b32 s8, s9
	s_cbranch_execnz .LBB108_216
	s_branch .LBB108_220
.LBB108_188:
	v_cmp_ne_u32_e32 vcc_lo, 1, v18
	s_cbranch_vccnz .LBB108_190
; %bb.189:
	v_lshlrev_b64 v[16:17], 3, v[0:1]
	s_delay_alu instid0(VALU_DEP_1) | instskip(NEXT) | instid1(VALU_DEP_2)
	v_add_co_u32 v16, vcc_lo, v24, v16
	v_add_co_ci_u32_e32 v17, vcc_lo, v23, v17, vcc_lo
	flat_load_b64 v[16:17], v[16:17]
	s_waitcnt vmcnt(0) lgkmcnt(0)
	v_mul_f64 v[16:17], s[10:11], v[16:17]
	s_branch .LBB108_191
.LBB108_190:
	v_mov_b32_e32 v16, 0
	v_mov_b32_e32 v17, 0
.LBB108_191:
	s_delay_alu instid0(VALU_DEP_1) | instskip(SKIP_2) | instid1(VALU_DEP_1)
	v_cvt_f32_f64_e32 v16, v[16:17]
	v_max_f32_e32 v17, v36, v36
	v_lshlrev_b64 v[25:26], 3, v[0:1]
	v_add_co_u32 v25, vcc_lo, v22, v25
	s_delay_alu instid0(VALU_DEP_2) | instskip(NEXT) | instid1(VALU_DEP_4)
	v_add_co_ci_u32_e32 v26, vcc_lo, v21, v26, vcc_lo
	v_min_f32_e32 v16, v16, v17
	s_delay_alu instid0(VALU_DEP_1) | instskip(SKIP_3) | instid1(SALU_CYCLE_1)
	v_cvt_f64_f32_e32 v[16:17], v16
	global_store_b64 v[25:26], v[16:17], off
	s_or_b32 exec_lo, exec_lo, s9
	s_and_b32 s16, s1, s8
	s_and_saveexec_b32 s9, s16
	s_cbranch_execz .LBB108_182
.LBB108_192:
	v_cmp_ne_u32_e32 vcc_lo, 1, v18
	s_cbranch_vccnz .LBB108_194
; %bb.193:
	v_lshlrev_b64 v[16:17], 3, v[2:3]
	s_delay_alu instid0(VALU_DEP_1) | instskip(NEXT) | instid1(VALU_DEP_2)
	v_add_co_u32 v16, vcc_lo, v24, v16
	v_add_co_ci_u32_e32 v17, vcc_lo, v23, v17, vcc_lo
	flat_load_b64 v[16:17], v[16:17]
	s_waitcnt vmcnt(0) lgkmcnt(0)
	v_mul_f64 v[16:17], s[10:11], v[16:17]
	s_branch .LBB108_195
.LBB108_194:
	v_mov_b32_e32 v16, 0
	v_mov_b32_e32 v17, 0
.LBB108_195:
	s_delay_alu instid0(VALU_DEP_1) | instskip(SKIP_2) | instid1(VALU_DEP_1)
	v_cvt_f32_f64_e32 v16, v[16:17]
	v_max_f32_e32 v17, v35, v35
	v_lshlrev_b64 v[25:26], 3, v[2:3]
	v_add_co_u32 v25, vcc_lo, v22, v25
	s_delay_alu instid0(VALU_DEP_2) | instskip(NEXT) | instid1(VALU_DEP_4)
	v_add_co_ci_u32_e32 v26, vcc_lo, v21, v26, vcc_lo
	v_min_f32_e32 v16, v16, v17
	s_delay_alu instid0(VALU_DEP_1) | instskip(SKIP_3) | instid1(SALU_CYCLE_1)
	v_cvt_f64_f32_e32 v[16:17], v16
	global_store_b64 v[25:26], v[16:17], off
	s_or_b32 exec_lo, exec_lo, s9
	s_and_b32 s16, s2, s8
	s_and_saveexec_b32 s9, s16
	s_cbranch_execz .LBB108_183
.LBB108_196:
	v_cmp_ne_u32_e32 vcc_lo, 1, v18
	s_cbranch_vccnz .LBB108_198
; %bb.197:
	v_lshlrev_b64 v[16:17], 3, v[4:5]
	s_delay_alu instid0(VALU_DEP_1) | instskip(NEXT) | instid1(VALU_DEP_2)
	v_add_co_u32 v16, vcc_lo, v24, v16
	v_add_co_ci_u32_e32 v17, vcc_lo, v23, v17, vcc_lo
	flat_load_b64 v[16:17], v[16:17]
	s_waitcnt vmcnt(0) lgkmcnt(0)
	v_mul_f64 v[16:17], s[10:11], v[16:17]
	s_branch .LBB108_199
.LBB108_198:
	v_mov_b32_e32 v16, 0
	v_mov_b32_e32 v17, 0
.LBB108_199:
	s_delay_alu instid0(VALU_DEP_1) | instskip(SKIP_2) | instid1(VALU_DEP_1)
	v_cvt_f32_f64_e32 v16, v[16:17]
	v_max_f32_e32 v17, v78, v78
	v_lshlrev_b64 v[25:26], 3, v[4:5]
	v_add_co_u32 v25, vcc_lo, v22, v25
	s_delay_alu instid0(VALU_DEP_2) | instskip(NEXT) | instid1(VALU_DEP_4)
	v_add_co_ci_u32_e32 v26, vcc_lo, v21, v26, vcc_lo
	v_min_f32_e32 v16, v16, v17
	s_delay_alu instid0(VALU_DEP_1) | instskip(SKIP_3) | instid1(SALU_CYCLE_1)
	v_cvt_f64_f32_e32 v[16:17], v16
	global_store_b64 v[25:26], v[16:17], off
	s_or_b32 exec_lo, exec_lo, s9
	s_and_b32 s16, s3, s8
	s_and_saveexec_b32 s9, s16
	s_cbranch_execz .LBB108_184
.LBB108_200:
	v_cmp_ne_u32_e32 vcc_lo, 1, v18
	s_cbranch_vccnz .LBB108_202
; %bb.201:
	v_lshlrev_b64 v[16:17], 3, v[6:7]
	s_delay_alu instid0(VALU_DEP_1) | instskip(NEXT) | instid1(VALU_DEP_2)
	v_add_co_u32 v16, vcc_lo, v24, v16
	v_add_co_ci_u32_e32 v17, vcc_lo, v23, v17, vcc_lo
	flat_load_b64 v[16:17], v[16:17]
	s_waitcnt vmcnt(0) lgkmcnt(0)
	v_mul_f64 v[16:17], s[10:11], v[16:17]
	s_branch .LBB108_203
.LBB108_202:
	v_mov_b32_e32 v16, 0
	v_mov_b32_e32 v17, 0
.LBB108_203:
	s_delay_alu instid0(VALU_DEP_1) | instskip(SKIP_2) | instid1(VALU_DEP_1)
	v_cvt_f32_f64_e32 v16, v[16:17]
	v_max_f32_e32 v17, v56, v56
	v_lshlrev_b64 v[25:26], 3, v[6:7]
	v_add_co_u32 v25, vcc_lo, v22, v25
	s_delay_alu instid0(VALU_DEP_2) | instskip(NEXT) | instid1(VALU_DEP_4)
	v_add_co_ci_u32_e32 v26, vcc_lo, v21, v26, vcc_lo
	v_min_f32_e32 v16, v16, v17
	s_delay_alu instid0(VALU_DEP_1) | instskip(SKIP_3) | instid1(SALU_CYCLE_1)
	v_cvt_f64_f32_e32 v[16:17], v16
	global_store_b64 v[25:26], v[16:17], off
	s_or_b32 exec_lo, exec_lo, s9
	s_and_b32 s16, s4, s8
	s_and_saveexec_b32 s9, s16
	s_cbranch_execz .LBB108_185
.LBB108_204:
	v_cmp_ne_u32_e32 vcc_lo, 1, v18
	s_cbranch_vccnz .LBB108_206
; %bb.205:
	v_lshlrev_b64 v[16:17], 3, v[8:9]
	s_delay_alu instid0(VALU_DEP_1) | instskip(NEXT) | instid1(VALU_DEP_2)
	v_add_co_u32 v16, vcc_lo, v24, v16
	v_add_co_ci_u32_e32 v17, vcc_lo, v23, v17, vcc_lo
	flat_load_b64 v[16:17], v[16:17]
	s_waitcnt vmcnt(0) lgkmcnt(0)
	v_mul_f64 v[16:17], s[10:11], v[16:17]
	s_branch .LBB108_207
.LBB108_206:
	v_mov_b32_e32 v16, 0
	v_mov_b32_e32 v17, 0
.LBB108_207:
	s_delay_alu instid0(VALU_DEP_1) | instskip(SKIP_2) | instid1(VALU_DEP_1)
	v_cvt_f32_f64_e32 v16, v[16:17]
	v_max_f32_e32 v17, v32, v32
	v_lshlrev_b64 v[25:26], 3, v[8:9]
	v_add_co_u32 v25, vcc_lo, v22, v25
	s_delay_alu instid0(VALU_DEP_2) | instskip(NEXT) | instid1(VALU_DEP_4)
	v_add_co_ci_u32_e32 v26, vcc_lo, v21, v26, vcc_lo
	v_min_f32_e32 v16, v16, v17
	s_delay_alu instid0(VALU_DEP_1) | instskip(SKIP_3) | instid1(SALU_CYCLE_1)
	v_cvt_f64_f32_e32 v[16:17], v16
	global_store_b64 v[25:26], v[16:17], off
	s_or_b32 exec_lo, exec_lo, s9
	s_and_b32 s16, s5, s8
	s_and_saveexec_b32 s9, s16
	s_cbranch_execz .LBB108_186
.LBB108_208:
	v_cmp_ne_u32_e32 vcc_lo, 1, v18
	s_cbranch_vccnz .LBB108_210
; %bb.209:
	v_lshlrev_b64 v[16:17], 3, v[10:11]
	s_delay_alu instid0(VALU_DEP_1) | instskip(NEXT) | instid1(VALU_DEP_2)
	v_add_co_u32 v16, vcc_lo, v24, v16
	v_add_co_ci_u32_e32 v17, vcc_lo, v23, v17, vcc_lo
	flat_load_b64 v[16:17], v[16:17]
	s_waitcnt vmcnt(0) lgkmcnt(0)
	v_mul_f64 v[16:17], s[10:11], v[16:17]
	s_branch .LBB108_211
.LBB108_210:
	v_mov_b32_e32 v16, 0
	v_mov_b32_e32 v17, 0
.LBB108_211:
	s_delay_alu instid0(VALU_DEP_1) | instskip(SKIP_2) | instid1(VALU_DEP_1)
	v_cvt_f32_f64_e32 v16, v[16:17]
	v_max_f32_e32 v17, v31, v31
	v_lshlrev_b64 v[25:26], 3, v[10:11]
	v_add_co_u32 v25, vcc_lo, v22, v25
	s_delay_alu instid0(VALU_DEP_2) | instskip(NEXT) | instid1(VALU_DEP_4)
	v_add_co_ci_u32_e32 v26, vcc_lo, v21, v26, vcc_lo
	v_min_f32_e32 v16, v16, v17
	s_delay_alu instid0(VALU_DEP_1) | instskip(SKIP_3) | instid1(SALU_CYCLE_1)
	v_cvt_f64_f32_e32 v[16:17], v16
	global_store_b64 v[25:26], v[16:17], off
	s_or_b32 exec_lo, exec_lo, s9
	s_and_b32 s16, s6, s8
	s_and_saveexec_b32 s9, s16
	s_cbranch_execz .LBB108_187
.LBB108_212:
	v_cmp_ne_u32_e32 vcc_lo, 1, v18
	s_cbranch_vccnz .LBB108_214
; %bb.213:
	v_lshlrev_b64 v[16:17], 3, v[12:13]
	s_delay_alu instid0(VALU_DEP_1) | instskip(NEXT) | instid1(VALU_DEP_2)
	v_add_co_u32 v16, vcc_lo, v24, v16
	v_add_co_ci_u32_e32 v17, vcc_lo, v23, v17, vcc_lo
	flat_load_b64 v[16:17], v[16:17]
	s_waitcnt vmcnt(0) lgkmcnt(0)
	v_mul_f64 v[16:17], s[10:11], v[16:17]
	s_branch .LBB108_215
.LBB108_214:
	v_mov_b32_e32 v16, 0
	v_mov_b32_e32 v17, 0
.LBB108_215:
	s_delay_alu instid0(VALU_DEP_1) | instskip(SKIP_2) | instid1(VALU_DEP_1)
	v_cvt_f32_f64_e32 v16, v[16:17]
	v_max_f32_e32 v17, v30, v30
	v_lshlrev_b64 v[25:26], 3, v[12:13]
	v_add_co_u32 v25, vcc_lo, v22, v25
	s_delay_alu instid0(VALU_DEP_2) | instskip(NEXT) | instid1(VALU_DEP_4)
	v_add_co_ci_u32_e32 v26, vcc_lo, v21, v26, vcc_lo
	v_min_f32_e32 v16, v16, v17
	s_delay_alu instid0(VALU_DEP_1) | instskip(SKIP_3) | instid1(SALU_CYCLE_1)
	v_cvt_f64_f32_e32 v[16:17], v16
	global_store_b64 v[25:26], v[16:17], off
	s_or_b32 exec_lo, exec_lo, s9
	s_and_b32 s9, s7, s8
	s_and_saveexec_b32 s8, s9
	s_cbranch_execz .LBB108_220
.LBB108_216:
	v_cmp_ne_u32_e32 vcc_lo, 1, v18
	s_cbranch_vccnz .LBB108_218
; %bb.217:
	v_lshlrev_b64 v[16:17], 3, v[14:15]
	s_delay_alu instid0(VALU_DEP_1) | instskip(NEXT) | instid1(VALU_DEP_2)
	v_add_co_u32 v16, vcc_lo, v24, v16
	v_add_co_ci_u32_e32 v17, vcc_lo, v23, v17, vcc_lo
	flat_load_b64 v[16:17], v[16:17]
	s_waitcnt vmcnt(0) lgkmcnt(0)
	v_mul_f64 v[16:17], s[10:11], v[16:17]
	s_branch .LBB108_219
.LBB108_218:
	v_mov_b32_e32 v16, 0
	v_mov_b32_e32 v17, 0
.LBB108_219:
	s_delay_alu instid0(VALU_DEP_1) | instskip(SKIP_2) | instid1(VALU_DEP_1)
	v_cvt_f32_f64_e32 v16, v[16:17]
	v_max_f32_e32 v17, v76, v76
	v_lshlrev_b64 v[23:24], 3, v[14:15]
	v_add_co_u32 v20, vcc_lo, v22, v23
	s_delay_alu instid0(VALU_DEP_2) | instskip(NEXT) | instid1(VALU_DEP_4)
	v_add_co_ci_u32_e32 v21, vcc_lo, v21, v24, vcc_lo
	v_min_f32_e32 v16, v16, v17
	s_delay_alu instid0(VALU_DEP_1)
	v_cvt_f64_f32_e32 v[16:17], v16
	global_store_b64 v[20:21], v[16:17], off
.LBB108_220:
	s_or_b32 exec_lo, exec_lo, s8
	v_add_nc_u32_e32 v22, 32, v19
	s_delay_alu instid0(VALU_DEP_1) | instskip(SKIP_2) | instid1(VALU_DEP_3)
	v_mad_i64_i32 v[16:17], null, v22, s20, 0
	v_mad_i64_i32 v[20:21], null, v22, s18, 0
	v_cmp_gt_i32_e64 s8, s17, v22
	v_lshlrev_b64 v[16:17], 3, v[16:17]
	s_delay_alu instid0(VALU_DEP_2) | instskip(NEXT) | instid1(VALU_DEP_3)
	s_and_b32 s16, s0, s8
	v_lshlrev_b64 v[20:21], 3, v[20:21]
	s_delay_alu instid0(VALU_DEP_2) | instskip(NEXT) | instid1(VALU_DEP_3)
	v_add_co_u32 v24, vcc_lo, s12, v16
	v_add_co_ci_u32_e32 v23, vcc_lo, s13, v17, vcc_lo
	s_delay_alu instid0(VALU_DEP_3) | instskip(NEXT) | instid1(VALU_DEP_4)
	v_add_co_u32 v22, vcc_lo, s14, v20
	v_add_co_ci_u32_e32 v21, vcc_lo, s15, v21, vcc_lo
	s_and_saveexec_b32 s9, s16
	s_cbranch_execnz .LBB108_228
; %bb.221:
	s_or_b32 exec_lo, exec_lo, s9
	s_and_b32 s16, s1, s8
	s_delay_alu instid0(SALU_CYCLE_1)
	s_and_saveexec_b32 s9, s16
	s_cbranch_execnz .LBB108_232
.LBB108_222:
	s_or_b32 exec_lo, exec_lo, s9
	s_and_b32 s16, s2, s8
	s_delay_alu instid0(SALU_CYCLE_1)
	s_and_saveexec_b32 s9, s16
	s_cbranch_execnz .LBB108_236
.LBB108_223:
	s_or_b32 exec_lo, exec_lo, s9
	s_and_b32 s16, s3, s8
	s_delay_alu instid0(SALU_CYCLE_1)
	s_and_saveexec_b32 s9, s16
	s_cbranch_execnz .LBB108_240
.LBB108_224:
	s_or_b32 exec_lo, exec_lo, s9
	s_and_b32 s16, s4, s8
	s_delay_alu instid0(SALU_CYCLE_1)
	s_and_saveexec_b32 s9, s16
	s_cbranch_execnz .LBB108_244
.LBB108_225:
	s_or_b32 exec_lo, exec_lo, s9
	s_and_b32 s16, s5, s8
	s_delay_alu instid0(SALU_CYCLE_1)
	s_and_saveexec_b32 s9, s16
	s_cbranch_execnz .LBB108_248
.LBB108_226:
	s_or_b32 exec_lo, exec_lo, s9
	s_and_b32 s16, s6, s8
	s_delay_alu instid0(SALU_CYCLE_1)
	s_and_saveexec_b32 s9, s16
	s_cbranch_execnz .LBB108_252
.LBB108_227:
	s_or_b32 exec_lo, exec_lo, s9
	s_and_b32 s9, s7, s8
	s_delay_alu instid0(SALU_CYCLE_1)
	s_and_saveexec_b32 s8, s9
	s_cbranch_execnz .LBB108_256
	s_branch .LBB108_260
.LBB108_228:
	v_cmp_ne_u32_e32 vcc_lo, 1, v18
	s_cbranch_vccnz .LBB108_230
; %bb.229:
	v_lshlrev_b64 v[16:17], 3, v[0:1]
	s_delay_alu instid0(VALU_DEP_1) | instskip(NEXT) | instid1(VALU_DEP_2)
	v_add_co_u32 v16, vcc_lo, v24, v16
	v_add_co_ci_u32_e32 v17, vcc_lo, v23, v17, vcc_lo
	flat_load_b64 v[16:17], v[16:17]
	s_waitcnt vmcnt(0) lgkmcnt(0)
	v_mul_f64 v[16:17], s[10:11], v[16:17]
	s_branch .LBB108_231
.LBB108_230:
	v_mov_b32_e32 v16, 0
	v_mov_b32_e32 v17, 0
.LBB108_231:
	s_delay_alu instid0(VALU_DEP_1) | instskip(SKIP_2) | instid1(VALU_DEP_1)
	v_cvt_f32_f64_e32 v16, v[16:17]
	v_max_f32_e32 v17, v52, v52
	v_lshlrev_b64 v[25:26], 3, v[0:1]
	v_add_co_u32 v25, vcc_lo, v22, v25
	s_delay_alu instid0(VALU_DEP_2) | instskip(NEXT) | instid1(VALU_DEP_4)
	v_add_co_ci_u32_e32 v26, vcc_lo, v21, v26, vcc_lo
	v_min_f32_e32 v16, v16, v17
	s_delay_alu instid0(VALU_DEP_1) | instskip(SKIP_3) | instid1(SALU_CYCLE_1)
	v_cvt_f64_f32_e32 v[16:17], v16
	global_store_b64 v[25:26], v[16:17], off
	s_or_b32 exec_lo, exec_lo, s9
	s_and_b32 s16, s1, s8
	s_and_saveexec_b32 s9, s16
	s_cbranch_execz .LBB108_222
.LBB108_232:
	v_cmp_ne_u32_e32 vcc_lo, 1, v18
	s_cbranch_vccnz .LBB108_234
; %bb.233:
	v_lshlrev_b64 v[16:17], 3, v[2:3]
	s_delay_alu instid0(VALU_DEP_1) | instskip(NEXT) | instid1(VALU_DEP_2)
	v_add_co_u32 v16, vcc_lo, v24, v16
	v_add_co_ci_u32_e32 v17, vcc_lo, v23, v17, vcc_lo
	flat_load_b64 v[16:17], v[16:17]
	s_waitcnt vmcnt(0) lgkmcnt(0)
	v_mul_f64 v[16:17], s[10:11], v[16:17]
	s_branch .LBB108_235
.LBB108_234:
	v_mov_b32_e32 v16, 0
	v_mov_b32_e32 v17, 0
.LBB108_235:
	s_delay_alu instid0(VALU_DEP_1) | instskip(SKIP_2) | instid1(VALU_DEP_1)
	v_cvt_f32_f64_e32 v16, v[16:17]
	v_max_f32_e32 v17, v135, v135
	v_lshlrev_b64 v[25:26], 3, v[2:3]
	v_add_co_u32 v25, vcc_lo, v22, v25
	s_delay_alu instid0(VALU_DEP_2) | instskip(NEXT) | instid1(VALU_DEP_4)
	v_add_co_ci_u32_e32 v26, vcc_lo, v21, v26, vcc_lo
	v_min_f32_e32 v16, v16, v17
	s_delay_alu instid0(VALU_DEP_1) | instskip(SKIP_3) | instid1(SALU_CYCLE_1)
	v_cvt_f64_f32_e32 v[16:17], v16
	global_store_b64 v[25:26], v[16:17], off
	s_or_b32 exec_lo, exec_lo, s9
	s_and_b32 s16, s2, s8
	s_and_saveexec_b32 s9, s16
	s_cbranch_execz .LBB108_223
.LBB108_236:
	v_cmp_ne_u32_e32 vcc_lo, 1, v18
	s_cbranch_vccnz .LBB108_238
; %bb.237:
	v_lshlrev_b64 v[16:17], 3, v[4:5]
	s_delay_alu instid0(VALU_DEP_1) | instskip(NEXT) | instid1(VALU_DEP_2)
	v_add_co_u32 v16, vcc_lo, v24, v16
	v_add_co_ci_u32_e32 v17, vcc_lo, v23, v17, vcc_lo
	flat_load_b64 v[16:17], v[16:17]
	s_waitcnt vmcnt(0) lgkmcnt(0)
	v_mul_f64 v[16:17], s[10:11], v[16:17]
	s_branch .LBB108_239
.LBB108_238:
	v_mov_b32_e32 v16, 0
	v_mov_b32_e32 v17, 0
.LBB108_239:
	s_delay_alu instid0(VALU_DEP_1) | instskip(SKIP_2) | instid1(VALU_DEP_1)
	v_cvt_f32_f64_e32 v16, v[16:17]
	v_max_f32_e32 v17, v136, v136
	v_lshlrev_b64 v[25:26], 3, v[4:5]
	v_add_co_u32 v25, vcc_lo, v22, v25
	s_delay_alu instid0(VALU_DEP_2) | instskip(NEXT) | instid1(VALU_DEP_4)
	v_add_co_ci_u32_e32 v26, vcc_lo, v21, v26, vcc_lo
	v_min_f32_e32 v16, v16, v17
	s_delay_alu instid0(VALU_DEP_1) | instskip(SKIP_3) | instid1(SALU_CYCLE_1)
	v_cvt_f64_f32_e32 v[16:17], v16
	global_store_b64 v[25:26], v[16:17], off
	s_or_b32 exec_lo, exec_lo, s9
	s_and_b32 s16, s3, s8
	s_and_saveexec_b32 s9, s16
	s_cbranch_execz .LBB108_224
.LBB108_240:
	v_cmp_ne_u32_e32 vcc_lo, 1, v18
	s_cbranch_vccnz .LBB108_242
; %bb.241:
	v_lshlrev_b64 v[16:17], 3, v[6:7]
	s_delay_alu instid0(VALU_DEP_1) | instskip(NEXT) | instid1(VALU_DEP_2)
	v_add_co_u32 v16, vcc_lo, v24, v16
	v_add_co_ci_u32_e32 v17, vcc_lo, v23, v17, vcc_lo
	flat_load_b64 v[16:17], v[16:17]
	s_waitcnt vmcnt(0) lgkmcnt(0)
	v_mul_f64 v[16:17], s[10:11], v[16:17]
	s_branch .LBB108_243
.LBB108_242:
	v_mov_b32_e32 v16, 0
	v_mov_b32_e32 v17, 0
.LBB108_243:
	s_delay_alu instid0(VALU_DEP_1) | instskip(SKIP_2) | instid1(VALU_DEP_1)
	v_cvt_f32_f64_e32 v16, v[16:17]
	v_max_f32_e32 v17, v57, v57
	v_lshlrev_b64 v[25:26], 3, v[6:7]
	v_add_co_u32 v25, vcc_lo, v22, v25
	s_delay_alu instid0(VALU_DEP_2) | instskip(NEXT) | instid1(VALU_DEP_4)
	v_add_co_ci_u32_e32 v26, vcc_lo, v21, v26, vcc_lo
	v_min_f32_e32 v16, v16, v17
	s_delay_alu instid0(VALU_DEP_1) | instskip(SKIP_3) | instid1(SALU_CYCLE_1)
	v_cvt_f64_f32_e32 v[16:17], v16
	global_store_b64 v[25:26], v[16:17], off
	s_or_b32 exec_lo, exec_lo, s9
	s_and_b32 s16, s4, s8
	s_and_saveexec_b32 s9, s16
	s_cbranch_execz .LBB108_225
.LBB108_244:
	v_cmp_ne_u32_e32 vcc_lo, 1, v18
	s_cbranch_vccnz .LBB108_246
; %bb.245:
	v_lshlrev_b64 v[16:17], 3, v[8:9]
	s_delay_alu instid0(VALU_DEP_1) | instskip(NEXT) | instid1(VALU_DEP_2)
	v_add_co_u32 v16, vcc_lo, v24, v16
	v_add_co_ci_u32_e32 v17, vcc_lo, v23, v17, vcc_lo
	flat_load_b64 v[16:17], v[16:17]
	s_waitcnt vmcnt(0) lgkmcnt(0)
	v_mul_f64 v[16:17], s[10:11], v[16:17]
	s_branch .LBB108_247
.LBB108_246:
	v_mov_b32_e32 v16, 0
	v_mov_b32_e32 v17, 0
.LBB108_247:
	s_delay_alu instid0(VALU_DEP_1) | instskip(SKIP_2) | instid1(VALU_DEP_1)
	v_cvt_f32_f64_e32 v16, v[16:17]
	v_max_f32_e32 v17, v131, v131
	v_lshlrev_b64 v[25:26], 3, v[8:9]
	v_add_co_u32 v25, vcc_lo, v22, v25
	s_delay_alu instid0(VALU_DEP_2) | instskip(NEXT) | instid1(VALU_DEP_4)
	v_add_co_ci_u32_e32 v26, vcc_lo, v21, v26, vcc_lo
	v_min_f32_e32 v16, v16, v17
	s_delay_alu instid0(VALU_DEP_1) | instskip(SKIP_3) | instid1(SALU_CYCLE_1)
	v_cvt_f64_f32_e32 v[16:17], v16
	global_store_b64 v[25:26], v[16:17], off
	s_or_b32 exec_lo, exec_lo, s9
	s_and_b32 s16, s5, s8
	s_and_saveexec_b32 s9, s16
	s_cbranch_execz .LBB108_226
.LBB108_248:
	v_cmp_ne_u32_e32 vcc_lo, 1, v18
	s_cbranch_vccnz .LBB108_250
; %bb.249:
	v_lshlrev_b64 v[16:17], 3, v[10:11]
	s_delay_alu instid0(VALU_DEP_1) | instskip(NEXT) | instid1(VALU_DEP_2)
	v_add_co_u32 v16, vcc_lo, v24, v16
	v_add_co_ci_u32_e32 v17, vcc_lo, v23, v17, vcc_lo
	flat_load_b64 v[16:17], v[16:17]
	s_waitcnt vmcnt(0) lgkmcnt(0)
	v_mul_f64 v[16:17], s[10:11], v[16:17]
	s_branch .LBB108_251
.LBB108_250:
	v_mov_b32_e32 v16, 0
	v_mov_b32_e32 v17, 0
.LBB108_251:
	s_delay_alu instid0(VALU_DEP_1) | instskip(SKIP_2) | instid1(VALU_DEP_1)
	v_cvt_f32_f64_e32 v16, v[16:17]
	v_max_f32_e32 v17, v54, v54
	v_lshlrev_b64 v[25:26], 3, v[10:11]
	v_add_co_u32 v25, vcc_lo, v22, v25
	s_delay_alu instid0(VALU_DEP_2) | instskip(NEXT) | instid1(VALU_DEP_4)
	v_add_co_ci_u32_e32 v26, vcc_lo, v21, v26, vcc_lo
	v_min_f32_e32 v16, v16, v17
	s_delay_alu instid0(VALU_DEP_1) | instskip(SKIP_3) | instid1(SALU_CYCLE_1)
	v_cvt_f64_f32_e32 v[16:17], v16
	global_store_b64 v[25:26], v[16:17], off
	s_or_b32 exec_lo, exec_lo, s9
	s_and_b32 s16, s6, s8
	s_and_saveexec_b32 s9, s16
	s_cbranch_execz .LBB108_227
.LBB108_252:
	v_cmp_ne_u32_e32 vcc_lo, 1, v18
	s_cbranch_vccnz .LBB108_254
; %bb.253:
	v_lshlrev_b64 v[16:17], 3, v[12:13]
	s_delay_alu instid0(VALU_DEP_1) | instskip(NEXT) | instid1(VALU_DEP_2)
	v_add_co_u32 v16, vcc_lo, v24, v16
	v_add_co_ci_u32_e32 v17, vcc_lo, v23, v17, vcc_lo
	flat_load_b64 v[16:17], v[16:17]
	s_waitcnt vmcnt(0) lgkmcnt(0)
	v_mul_f64 v[16:17], s[10:11], v[16:17]
	s_branch .LBB108_255
.LBB108_254:
	v_mov_b32_e32 v16, 0
	v_mov_b32_e32 v17, 0
.LBB108_255:
	s_delay_alu instid0(VALU_DEP_1) | instskip(SKIP_2) | instid1(VALU_DEP_1)
	v_cvt_f32_f64_e32 v16, v[16:17]
	v_max_f32_e32 v17, v53, v53
	v_lshlrev_b64 v[25:26], 3, v[12:13]
	v_add_co_u32 v25, vcc_lo, v22, v25
	s_delay_alu instid0(VALU_DEP_2) | instskip(NEXT) | instid1(VALU_DEP_4)
	v_add_co_ci_u32_e32 v26, vcc_lo, v21, v26, vcc_lo
	v_min_f32_e32 v16, v16, v17
	s_delay_alu instid0(VALU_DEP_1) | instskip(SKIP_3) | instid1(SALU_CYCLE_1)
	v_cvt_f64_f32_e32 v[16:17], v16
	global_store_b64 v[25:26], v[16:17], off
	s_or_b32 exec_lo, exec_lo, s9
	s_and_b32 s9, s7, s8
	s_and_saveexec_b32 s8, s9
	s_cbranch_execz .LBB108_260
.LBB108_256:
	v_cmp_ne_u32_e32 vcc_lo, 1, v18
	s_cbranch_vccnz .LBB108_258
; %bb.257:
	v_lshlrev_b64 v[16:17], 3, v[14:15]
	s_delay_alu instid0(VALU_DEP_1) | instskip(NEXT) | instid1(VALU_DEP_2)
	v_add_co_u32 v16, vcc_lo, v24, v16
	v_add_co_ci_u32_e32 v17, vcc_lo, v23, v17, vcc_lo
	flat_load_b64 v[16:17], v[16:17]
	s_waitcnt vmcnt(0) lgkmcnt(0)
	v_mul_f64 v[16:17], s[10:11], v[16:17]
	s_branch .LBB108_259
.LBB108_258:
	v_mov_b32_e32 v16, 0
	v_mov_b32_e32 v17, 0
.LBB108_259:
	s_delay_alu instid0(VALU_DEP_1) | instskip(SKIP_2) | instid1(VALU_DEP_1)
	v_cvt_f32_f64_e32 v16, v[16:17]
	v_max_f32_e32 v17, v124, v124
	v_lshlrev_b64 v[23:24], 3, v[14:15]
	v_add_co_u32 v20, vcc_lo, v22, v23
	s_delay_alu instid0(VALU_DEP_2) | instskip(NEXT) | instid1(VALU_DEP_4)
	v_add_co_ci_u32_e32 v21, vcc_lo, v21, v24, vcc_lo
	v_min_f32_e32 v16, v16, v17
	s_delay_alu instid0(VALU_DEP_1)
	v_cvt_f64_f32_e32 v[16:17], v16
	global_store_b64 v[20:21], v[16:17], off
.LBB108_260:
	s_or_b32 exec_lo, exec_lo, s8
	v_add_nc_u32_e32 v22, 40, v19
	s_delay_alu instid0(VALU_DEP_1) | instskip(SKIP_2) | instid1(VALU_DEP_3)
	v_mad_i64_i32 v[16:17], null, v22, s20, 0
	v_mad_i64_i32 v[20:21], null, v22, s18, 0
	v_cmp_gt_i32_e64 s8, s17, v22
	v_lshlrev_b64 v[16:17], 3, v[16:17]
	s_delay_alu instid0(VALU_DEP_2) | instskip(NEXT) | instid1(VALU_DEP_3)
	s_and_b32 s16, s0, s8
	v_lshlrev_b64 v[20:21], 3, v[20:21]
	s_delay_alu instid0(VALU_DEP_2) | instskip(NEXT) | instid1(VALU_DEP_3)
	v_add_co_u32 v24, vcc_lo, s12, v16
	v_add_co_ci_u32_e32 v23, vcc_lo, s13, v17, vcc_lo
	s_delay_alu instid0(VALU_DEP_3) | instskip(NEXT) | instid1(VALU_DEP_4)
	v_add_co_u32 v20, vcc_lo, s14, v20
	v_add_co_ci_u32_e32 v21, vcc_lo, s15, v21, vcc_lo
	s_and_saveexec_b32 s9, s16
	s_cbranch_execnz .LBB108_268
; %bb.261:
	s_or_b32 exec_lo, exec_lo, s9
	s_and_b32 s16, s1, s8
	s_delay_alu instid0(SALU_CYCLE_1)
	s_and_saveexec_b32 s9, s16
	s_cbranch_execnz .LBB108_272
.LBB108_262:
	s_or_b32 exec_lo, exec_lo, s9
	s_and_b32 s16, s2, s8
	s_delay_alu instid0(SALU_CYCLE_1)
	s_and_saveexec_b32 s9, s16
	s_cbranch_execnz .LBB108_276
.LBB108_263:
	s_or_b32 exec_lo, exec_lo, s9
	s_and_b32 s16, s3, s8
	s_delay_alu instid0(SALU_CYCLE_1)
	s_and_saveexec_b32 s9, s16
	s_cbranch_execnz .LBB108_280
.LBB108_264:
	s_or_b32 exec_lo, exec_lo, s9
	s_and_b32 s16, s4, s8
	s_delay_alu instid0(SALU_CYCLE_1)
	s_and_saveexec_b32 s9, s16
	s_cbranch_execnz .LBB108_284
.LBB108_265:
	s_or_b32 exec_lo, exec_lo, s9
	s_and_b32 s16, s5, s8
	s_delay_alu instid0(SALU_CYCLE_1)
	s_and_saveexec_b32 s9, s16
	s_cbranch_execnz .LBB108_288
.LBB108_266:
	s_or_b32 exec_lo, exec_lo, s9
	s_and_b32 s16, s6, s8
	s_delay_alu instid0(SALU_CYCLE_1)
	s_and_saveexec_b32 s9, s16
	s_cbranch_execnz .LBB108_292
.LBB108_267:
	s_or_b32 exec_lo, exec_lo, s9
	s_and_b32 s9, s7, s8
	s_delay_alu instid0(SALU_CYCLE_1)
	s_and_saveexec_b32 s8, s9
	s_cbranch_execnz .LBB108_296
	s_branch .LBB108_300
.LBB108_268:
	v_cmp_ne_u32_e32 vcc_lo, 1, v18
	s_cbranch_vccnz .LBB108_270
; %bb.269:
	v_lshlrev_b64 v[16:17], 3, v[0:1]
	s_delay_alu instid0(VALU_DEP_1) | instskip(NEXT) | instid1(VALU_DEP_2)
	v_add_co_u32 v16, vcc_lo, v24, v16
	v_add_co_ci_u32_e32 v17, vcc_lo, v23, v17, vcc_lo
	flat_load_b64 v[16:17], v[16:17]
	s_waitcnt vmcnt(0) lgkmcnt(0)
	v_mul_f64 v[16:17], s[10:11], v[16:17]
	s_branch .LBB108_271
.LBB108_270:
	v_mov_b32_e32 v16, 0
	v_mov_b32_e32 v17, 0
.LBB108_271:
	s_delay_alu instid0(VALU_DEP_1) | instskip(SKIP_2) | instid1(VALU_DEP_1)
	v_cvt_f32_f64_e32 v16, v[16:17]
	v_max_f32_e32 v17, v64, v64
	v_lshlrev_b64 v[25:26], 3, v[0:1]
	v_add_co_u32 v25, vcc_lo, v20, v25
	s_delay_alu instid0(VALU_DEP_2) | instskip(NEXT) | instid1(VALU_DEP_4)
	v_add_co_ci_u32_e32 v26, vcc_lo, v21, v26, vcc_lo
	v_min_f32_e32 v16, v16, v17
	s_delay_alu instid0(VALU_DEP_1) | instskip(SKIP_3) | instid1(SALU_CYCLE_1)
	v_cvt_f64_f32_e32 v[16:17], v16
	global_store_b64 v[25:26], v[16:17], off
	s_or_b32 exec_lo, exec_lo, s9
	s_and_b32 s16, s1, s8
	s_and_saveexec_b32 s9, s16
	s_cbranch_execz .LBB108_262
.LBB108_272:
	v_cmp_ne_u32_e32 vcc_lo, 1, v18
	s_cbranch_vccnz .LBB108_274
; %bb.273:
	v_lshlrev_b64 v[16:17], 3, v[2:3]
	s_delay_alu instid0(VALU_DEP_1) | instskip(NEXT) | instid1(VALU_DEP_2)
	v_add_co_u32 v16, vcc_lo, v24, v16
	v_add_co_ci_u32_e32 v17, vcc_lo, v23, v17, vcc_lo
	flat_load_b64 v[16:17], v[16:17]
	s_waitcnt vmcnt(0) lgkmcnt(0)
	v_mul_f64 v[16:17], s[10:11], v[16:17]
	s_branch .LBB108_275
.LBB108_274:
	v_mov_b32_e32 v16, 0
	v_mov_b32_e32 v17, 0
.LBB108_275:
	s_delay_alu instid0(VALU_DEP_1) | instskip(SKIP_2) | instid1(VALU_DEP_1)
	v_cvt_f32_f64_e32 v16, v[16:17]
	v_max_f32_e32 v17, v65, v65
	v_lshlrev_b64 v[25:26], 3, v[2:3]
	v_add_co_u32 v25, vcc_lo, v20, v25
	s_delay_alu instid0(VALU_DEP_2) | instskip(NEXT) | instid1(VALU_DEP_4)
	v_add_co_ci_u32_e32 v26, vcc_lo, v21, v26, vcc_lo
	v_min_f32_e32 v16, v16, v17
	s_delay_alu instid0(VALU_DEP_1) | instskip(SKIP_3) | instid1(SALU_CYCLE_1)
	v_cvt_f64_f32_e32 v[16:17], v16
	global_store_b64 v[25:26], v[16:17], off
	s_or_b32 exec_lo, exec_lo, s9
	s_and_b32 s16, s2, s8
	s_and_saveexec_b32 s9, s16
	s_cbranch_execz .LBB108_263
.LBB108_276:
	v_cmp_ne_u32_e32 vcc_lo, 1, v18
	s_cbranch_vccnz .LBB108_278
; %bb.277:
	v_lshlrev_b64 v[16:17], 3, v[4:5]
	s_delay_alu instid0(VALU_DEP_1) | instskip(NEXT) | instid1(VALU_DEP_2)
	v_add_co_u32 v16, vcc_lo, v24, v16
	v_add_co_ci_u32_e32 v17, vcc_lo, v23, v17, vcc_lo
	flat_load_b64 v[16:17], v[16:17]
	s_waitcnt vmcnt(0) lgkmcnt(0)
	v_mul_f64 v[16:17], s[10:11], v[16:17]
	s_branch .LBB108_279
.LBB108_278:
	v_mov_b32_e32 v16, 0
	v_mov_b32_e32 v17, 0
.LBB108_279:
	s_delay_alu instid0(VALU_DEP_1) | instskip(SKIP_2) | instid1(VALU_DEP_1)
	v_cvt_f32_f64_e32 v16, v[16:17]
	v_max_f32_e32 v17, v85, v85
	v_lshlrev_b64 v[25:26], 3, v[4:5]
	v_add_co_u32 v25, vcc_lo, v20, v25
	s_delay_alu instid0(VALU_DEP_2) | instskip(NEXT) | instid1(VALU_DEP_4)
	v_add_co_ci_u32_e32 v26, vcc_lo, v21, v26, vcc_lo
	v_min_f32_e32 v16, v16, v17
	s_delay_alu instid0(VALU_DEP_1) | instskip(SKIP_3) | instid1(SALU_CYCLE_1)
	v_cvt_f64_f32_e32 v[16:17], v16
	global_store_b64 v[25:26], v[16:17], off
	s_or_b32 exec_lo, exec_lo, s9
	s_and_b32 s16, s3, s8
	s_and_saveexec_b32 s9, s16
	s_cbranch_execz .LBB108_264
.LBB108_280:
	v_cmp_ne_u32_e32 vcc_lo, 1, v18
	s_cbranch_vccnz .LBB108_282
; %bb.281:
	v_lshlrev_b64 v[16:17], 3, v[6:7]
	s_delay_alu instid0(VALU_DEP_1) | instskip(NEXT) | instid1(VALU_DEP_2)
	v_add_co_u32 v16, vcc_lo, v24, v16
	v_add_co_ci_u32_e32 v17, vcc_lo, v23, v17, vcc_lo
	flat_load_b64 v[16:17], v[16:17]
	s_waitcnt vmcnt(0) lgkmcnt(0)
	v_mul_f64 v[16:17], s[10:11], v[16:17]
	s_branch .LBB108_283
.LBB108_282:
	v_mov_b32_e32 v16, 0
	v_mov_b32_e32 v17, 0
.LBB108_283:
	s_delay_alu instid0(VALU_DEP_1) | instskip(SKIP_2) | instid1(VALU_DEP_1)
	v_cvt_f32_f64_e32 v16, v[16:17]
	v_max_f32_e32 v17, v55, v55
	v_lshlrev_b64 v[25:26], 3, v[6:7]
	v_add_co_u32 v25, vcc_lo, v20, v25
	s_delay_alu instid0(VALU_DEP_2) | instskip(NEXT) | instid1(VALU_DEP_4)
	v_add_co_ci_u32_e32 v26, vcc_lo, v21, v26, vcc_lo
	v_min_f32_e32 v16, v16, v17
	s_delay_alu instid0(VALU_DEP_1) | instskip(SKIP_3) | instid1(SALU_CYCLE_1)
	v_cvt_f64_f32_e32 v[16:17], v16
	global_store_b64 v[25:26], v[16:17], off
	s_or_b32 exec_lo, exec_lo, s9
	s_and_b32 s16, s4, s8
	s_and_saveexec_b32 s9, s16
	s_cbranch_execz .LBB108_265
.LBB108_284:
	v_cmp_ne_u32_e32 vcc_lo, 1, v18
	s_cbranch_vccnz .LBB108_286
; %bb.285:
	v_lshlrev_b64 v[16:17], 3, v[8:9]
	s_delay_alu instid0(VALU_DEP_1) | instskip(NEXT) | instid1(VALU_DEP_2)
	v_add_co_u32 v16, vcc_lo, v24, v16
	v_add_co_ci_u32_e32 v17, vcc_lo, v23, v17, vcc_lo
	flat_load_b64 v[16:17], v[16:17]
	s_waitcnt vmcnt(0) lgkmcnt(0)
	v_mul_f64 v[16:17], s[10:11], v[16:17]
	s_branch .LBB108_287
.LBB108_286:
	v_mov_b32_e32 v16, 0
	v_mov_b32_e32 v17, 0
.LBB108_287:
	s_delay_alu instid0(VALU_DEP_1) | instskip(SKIP_2) | instid1(VALU_DEP_1)
	v_cvt_f32_f64_e32 v16, v[16:17]
	v_max_f32_e32 v17, v192, v192
	v_lshlrev_b64 v[25:26], 3, v[8:9]
	v_add_co_u32 v25, vcc_lo, v20, v25
	s_delay_alu instid0(VALU_DEP_2) | instskip(NEXT) | instid1(VALU_DEP_4)
	v_add_co_ci_u32_e32 v26, vcc_lo, v21, v26, vcc_lo
	v_min_f32_e32 v16, v16, v17
	s_delay_alu instid0(VALU_DEP_1) | instskip(SKIP_3) | instid1(SALU_CYCLE_1)
	v_cvt_f64_f32_e32 v[16:17], v16
	global_store_b64 v[25:26], v[16:17], off
	s_or_b32 exec_lo, exec_lo, s9
	s_and_b32 s16, s5, s8
	s_and_saveexec_b32 s9, s16
	s_cbranch_execz .LBB108_266
.LBB108_288:
	v_cmp_ne_u32_e32 vcc_lo, 1, v18
	s_cbranch_vccnz .LBB108_290
; %bb.289:
	v_lshlrev_b64 v[16:17], 3, v[10:11]
	s_delay_alu instid0(VALU_DEP_1) | instskip(NEXT) | instid1(VALU_DEP_2)
	v_add_co_u32 v16, vcc_lo, v24, v16
	v_add_co_ci_u32_e32 v17, vcc_lo, v23, v17, vcc_lo
	flat_load_b64 v[16:17], v[16:17]
	s_waitcnt vmcnt(0) lgkmcnt(0)
	v_mul_f64 v[16:17], s[10:11], v[16:17]
	s_branch .LBB108_291
.LBB108_290:
	v_mov_b32_e32 v16, 0
	v_mov_b32_e32 v17, 0
.LBB108_291:
	s_delay_alu instid0(VALU_DEP_1) | instskip(SKIP_2) | instid1(VALU_DEP_1)
	v_cvt_f32_f64_e32 v16, v[16:17]
	v_max_f32_e32 v17, v87, v87
	v_lshlrev_b64 v[25:26], 3, v[10:11]
	v_add_co_u32 v25, vcc_lo, v20, v25
	s_delay_alu instid0(VALU_DEP_2) | instskip(NEXT) | instid1(VALU_DEP_4)
	v_add_co_ci_u32_e32 v26, vcc_lo, v21, v26, vcc_lo
	v_min_f32_e32 v16, v16, v17
	s_delay_alu instid0(VALU_DEP_1) | instskip(SKIP_3) | instid1(SALU_CYCLE_1)
	v_cvt_f64_f32_e32 v[16:17], v16
	global_store_b64 v[25:26], v[16:17], off
	s_or_b32 exec_lo, exec_lo, s9
	s_and_b32 s16, s6, s8
	s_and_saveexec_b32 s9, s16
	s_cbranch_execz .LBB108_267
.LBB108_292:
	v_cmp_ne_u32_e32 vcc_lo, 1, v18
	s_cbranch_vccnz .LBB108_294
; %bb.293:
	v_lshlrev_b64 v[16:17], 3, v[12:13]
	s_delay_alu instid0(VALU_DEP_1) | instskip(NEXT) | instid1(VALU_DEP_2)
	v_add_co_u32 v16, vcc_lo, v24, v16
	v_add_co_ci_u32_e32 v17, vcc_lo, v23, v17, vcc_lo
	flat_load_b64 v[16:17], v[16:17]
	s_waitcnt vmcnt(0) lgkmcnt(0)
	v_mul_f64 v[16:17], s[10:11], v[16:17]
	s_branch .LBB108_295
.LBB108_294:
	v_mov_b32_e32 v16, 0
	v_mov_b32_e32 v17, 0
.LBB108_295:
	s_delay_alu instid0(VALU_DEP_1) | instskip(SKIP_2) | instid1(VALU_DEP_1)
	v_cvt_f32_f64_e32 v16, v[16:17]
	v_max_f32_e32 v17, v86, v86
	v_lshlrev_b64 v[25:26], 3, v[12:13]
	v_add_co_u32 v25, vcc_lo, v20, v25
	s_delay_alu instid0(VALU_DEP_2) | instskip(NEXT) | instid1(VALU_DEP_4)
	v_add_co_ci_u32_e32 v26, vcc_lo, v21, v26, vcc_lo
	v_min_f32_e32 v16, v16, v17
	s_delay_alu instid0(VALU_DEP_1) | instskip(SKIP_3) | instid1(SALU_CYCLE_1)
	v_cvt_f64_f32_e32 v[16:17], v16
	global_store_b64 v[25:26], v[16:17], off
	s_or_b32 exec_lo, exec_lo, s9
	s_and_b32 s9, s7, s8
	s_and_saveexec_b32 s8, s9
	s_cbranch_execz .LBB108_300
.LBB108_296:
	v_cmp_ne_u32_e32 vcc_lo, 1, v18
	s_cbranch_vccnz .LBB108_298
; %bb.297:
	v_lshlrev_b64 v[16:17], 3, v[14:15]
	s_delay_alu instid0(VALU_DEP_1) | instskip(NEXT) | instid1(VALU_DEP_2)
	v_add_co_u32 v16, vcc_lo, v24, v16
	v_add_co_ci_u32_e32 v17, vcc_lo, v23, v17, vcc_lo
	flat_load_b64 v[16:17], v[16:17]
	s_waitcnt vmcnt(0) lgkmcnt(0)
	v_mul_f64 v[16:17], s[10:11], v[16:17]
	s_branch .LBB108_299
.LBB108_298:
	v_mov_b32_e32 v16, 0
	v_mov_b32_e32 v17, 0
.LBB108_299:
	s_delay_alu instid0(VALU_DEP_1) | instskip(SKIP_2) | instid1(VALU_DEP_1)
	v_cvt_f32_f64_e32 v16, v[16:17]
	v_max_f32_e32 v17, v210, v210
	v_lshlrev_b64 v[22:23], 3, v[14:15]
	v_add_co_u32 v20, vcc_lo, v20, v22
	s_delay_alu instid0(VALU_DEP_2) | instskip(NEXT) | instid1(VALU_DEP_4)
	v_add_co_ci_u32_e32 v21, vcc_lo, v21, v23, vcc_lo
	v_min_f32_e32 v16, v16, v17
	s_delay_alu instid0(VALU_DEP_1)
	v_cvt_f64_f32_e32 v[16:17], v16
	global_store_b64 v[20:21], v[16:17], off
.LBB108_300:
	s_or_b32 exec_lo, exec_lo, s8
	v_add_nc_u32_e32 v22, 48, v19
	s_delay_alu instid0(VALU_DEP_1) | instskip(SKIP_2) | instid1(VALU_DEP_3)
	v_mad_i64_i32 v[16:17], null, v22, s20, 0
	v_mad_i64_i32 v[20:21], null, v22, s18, 0
	v_cmp_gt_i32_e64 s8, s17, v22
	v_lshlrev_b64 v[16:17], 3, v[16:17]
	s_delay_alu instid0(VALU_DEP_2) | instskip(NEXT) | instid1(VALU_DEP_3)
	s_and_b32 s16, s0, s8
	v_lshlrev_b64 v[20:21], 3, v[20:21]
	s_delay_alu instid0(VALU_DEP_2) | instskip(NEXT) | instid1(VALU_DEP_3)
	v_add_co_u32 v22, vcc_lo, s12, v16
	v_add_co_ci_u32_e32 v23, vcc_lo, s13, v17, vcc_lo
	s_delay_alu instid0(VALU_DEP_3) | instskip(NEXT) | instid1(VALU_DEP_4)
	v_add_co_u32 v20, vcc_lo, s14, v20
	v_add_co_ci_u32_e32 v21, vcc_lo, s15, v21, vcc_lo
	s_and_saveexec_b32 s9, s16
	s_cbranch_execnz .LBB108_308
; %bb.301:
	s_or_b32 exec_lo, exec_lo, s9
	s_and_b32 s16, s1, s8
	s_delay_alu instid0(SALU_CYCLE_1)
	s_and_saveexec_b32 s9, s16
	s_cbranch_execnz .LBB108_312
.LBB108_302:
	s_or_b32 exec_lo, exec_lo, s9
	s_and_b32 s16, s2, s8
	s_delay_alu instid0(SALU_CYCLE_1)
	s_and_saveexec_b32 s9, s16
	s_cbranch_execnz .LBB108_316
.LBB108_303:
	s_or_b32 exec_lo, exec_lo, s9
	s_and_b32 s16, s3, s8
	s_delay_alu instid0(SALU_CYCLE_1)
	s_and_saveexec_b32 s9, s16
	s_cbranch_execnz .LBB108_320
.LBB108_304:
	s_or_b32 exec_lo, exec_lo, s9
	s_and_b32 s16, s4, s8
	s_delay_alu instid0(SALU_CYCLE_1)
	s_and_saveexec_b32 s9, s16
	s_cbranch_execnz .LBB108_324
.LBB108_305:
	s_or_b32 exec_lo, exec_lo, s9
	s_and_b32 s16, s5, s8
	s_delay_alu instid0(SALU_CYCLE_1)
	s_and_saveexec_b32 s9, s16
	s_cbranch_execnz .LBB108_328
.LBB108_306:
	s_or_b32 exec_lo, exec_lo, s9
	s_and_b32 s16, s6, s8
	s_delay_alu instid0(SALU_CYCLE_1)
	s_and_saveexec_b32 s9, s16
	s_cbranch_execnz .LBB108_332
.LBB108_307:
	s_or_b32 exec_lo, exec_lo, s9
	s_and_b32 s9, s7, s8
	s_delay_alu instid0(SALU_CYCLE_1)
	s_and_saveexec_b32 s8, s9
	s_cbranch_execnz .LBB108_336
	s_branch .LBB108_340
.LBB108_308:
	v_cmp_ne_u32_e32 vcc_lo, 1, v18
	s_cbranch_vccnz .LBB108_310
; %bb.309:
	v_lshlrev_b64 v[16:17], 3, v[0:1]
	s_delay_alu instid0(VALU_DEP_1) | instskip(NEXT) | instid1(VALU_DEP_2)
	v_add_co_u32 v16, vcc_lo, v22, v16
	v_add_co_ci_u32_e32 v17, vcc_lo, v23, v17, vcc_lo
	flat_load_b64 v[16:17], v[16:17]
	s_waitcnt vmcnt(0) lgkmcnt(0)
	v_mul_f64 v[16:17], s[10:11], v[16:17]
	s_branch .LBB108_311
.LBB108_310:
	v_mov_b32_e32 v16, 0
	v_mov_b32_e32 v17, 0
.LBB108_311:
	s_delay_alu instid0(VALU_DEP_1) | instskip(SKIP_2) | instid1(VALU_DEP_1)
	v_cvt_f32_f64_e32 v16, v[16:17]
	v_max_f32_e32 v17, v204, v204
	v_lshlrev_b64 v[24:25], 3, v[0:1]
	v_add_co_u32 v24, vcc_lo, v20, v24
	s_delay_alu instid0(VALU_DEP_2) | instskip(NEXT) | instid1(VALU_DEP_4)
	v_add_co_ci_u32_e32 v25, vcc_lo, v21, v25, vcc_lo
	v_min_f32_e32 v16, v16, v17
	s_delay_alu instid0(VALU_DEP_1) | instskip(SKIP_3) | instid1(SALU_CYCLE_1)
	v_cvt_f64_f32_e32 v[16:17], v16
	global_store_b64 v[24:25], v[16:17], off
	s_or_b32 exec_lo, exec_lo, s9
	s_and_b32 s16, s1, s8
	s_and_saveexec_b32 s9, s16
	s_cbranch_execz .LBB108_302
.LBB108_312:
	v_cmp_ne_u32_e32 vcc_lo, 1, v18
	s_cbranch_vccnz .LBB108_314
; %bb.313:
	v_lshlrev_b64 v[16:17], 3, v[2:3]
	s_delay_alu instid0(VALU_DEP_1) | instskip(NEXT) | instid1(VALU_DEP_2)
	v_add_co_u32 v16, vcc_lo, v22, v16
	v_add_co_ci_u32_e32 v17, vcc_lo, v23, v17, vcc_lo
	flat_load_b64 v[16:17], v[16:17]
	s_waitcnt vmcnt(0) lgkmcnt(0)
	v_mul_f64 v[16:17], s[10:11], v[16:17]
	s_branch .LBB108_315
.LBB108_314:
	v_mov_b32_e32 v16, 0
	v_mov_b32_e32 v17, 0
.LBB108_315:
	s_delay_alu instid0(VALU_DEP_1) | instskip(SKIP_2) | instid1(VALU_DEP_1)
	v_cvt_f32_f64_e32 v16, v[16:17]
	v_max_f32_e32 v17, v190, v190
	v_lshlrev_b64 v[24:25], 3, v[2:3]
	v_add_co_u32 v24, vcc_lo, v20, v24
	s_delay_alu instid0(VALU_DEP_2) | instskip(NEXT) | instid1(VALU_DEP_4)
	v_add_co_ci_u32_e32 v25, vcc_lo, v21, v25, vcc_lo
	v_min_f32_e32 v16, v16, v17
	s_delay_alu instid0(VALU_DEP_1) | instskip(SKIP_3) | instid1(SALU_CYCLE_1)
	v_cvt_f64_f32_e32 v[16:17], v16
	global_store_b64 v[24:25], v[16:17], off
	s_or_b32 exec_lo, exec_lo, s9
	s_and_b32 s16, s2, s8
	s_and_saveexec_b32 s9, s16
	s_cbranch_execz .LBB108_303
.LBB108_316:
	v_cmp_ne_u32_e32 vcc_lo, 1, v18
	s_cbranch_vccnz .LBB108_318
; %bb.317:
	v_lshlrev_b64 v[16:17], 3, v[4:5]
	s_delay_alu instid0(VALU_DEP_1) | instskip(NEXT) | instid1(VALU_DEP_2)
	v_add_co_u32 v16, vcc_lo, v22, v16
	v_add_co_ci_u32_e32 v17, vcc_lo, v23, v17, vcc_lo
	flat_load_b64 v[16:17], v[16:17]
	s_waitcnt vmcnt(0) lgkmcnt(0)
	v_mul_f64 v[16:17], s[10:11], v[16:17]
	s_branch .LBB108_319
.LBB108_318:
	v_mov_b32_e32 v16, 0
	v_mov_b32_e32 v17, 0
.LBB108_319:
	s_delay_alu instid0(VALU_DEP_1) | instskip(SKIP_2) | instid1(VALU_DEP_1)
	v_cvt_f32_f64_e32 v16, v[16:17]
	v_max_f32_e32 v17, v236, v236
	v_lshlrev_b64 v[24:25], 3, v[4:5]
	v_add_co_u32 v24, vcc_lo, v20, v24
	s_delay_alu instid0(VALU_DEP_2) | instskip(NEXT) | instid1(VALU_DEP_4)
	v_add_co_ci_u32_e32 v25, vcc_lo, v21, v25, vcc_lo
	v_min_f32_e32 v16, v16, v17
	s_delay_alu instid0(VALU_DEP_1) | instskip(SKIP_3) | instid1(SALU_CYCLE_1)
	v_cvt_f64_f32_e32 v[16:17], v16
	global_store_b64 v[24:25], v[16:17], off
	s_or_b32 exec_lo, exec_lo, s9
	s_and_b32 s16, s3, s8
	s_and_saveexec_b32 s9, s16
	s_cbranch_execz .LBB108_304
.LBB108_320:
	v_cmp_ne_u32_e32 vcc_lo, 1, v18
	s_cbranch_vccnz .LBB108_322
; %bb.321:
	v_lshlrev_b64 v[16:17], 3, v[6:7]
	s_delay_alu instid0(VALU_DEP_1) | instskip(NEXT) | instid1(VALU_DEP_2)
	v_add_co_u32 v16, vcc_lo, v22, v16
	v_add_co_ci_u32_e32 v17, vcc_lo, v23, v17, vcc_lo
	flat_load_b64 v[16:17], v[16:17]
	s_waitcnt vmcnt(0) lgkmcnt(0)
	v_mul_f64 v[16:17], s[10:11], v[16:17]
	s_branch .LBB108_323
.LBB108_322:
	v_mov_b32_e32 v16, 0
	v_mov_b32_e32 v17, 0
.LBB108_323:
	s_delay_alu instid0(VALU_DEP_1) | instskip(SKIP_2) | instid1(VALU_DEP_1)
	v_cvt_f32_f64_e32 v16, v[16:17]
	v_max_f32_e32 v17, v133, v133
	v_lshlrev_b64 v[24:25], 3, v[6:7]
	v_add_co_u32 v24, vcc_lo, v20, v24
	s_delay_alu instid0(VALU_DEP_2) | instskip(NEXT) | instid1(VALU_DEP_4)
	v_add_co_ci_u32_e32 v25, vcc_lo, v21, v25, vcc_lo
	v_min_f32_e32 v16, v16, v17
	s_delay_alu instid0(VALU_DEP_1) | instskip(SKIP_3) | instid1(SALU_CYCLE_1)
	v_cvt_f64_f32_e32 v[16:17], v16
	global_store_b64 v[24:25], v[16:17], off
	s_or_b32 exec_lo, exec_lo, s9
	s_and_b32 s16, s4, s8
	s_and_saveexec_b32 s9, s16
	s_cbranch_execz .LBB108_305
.LBB108_324:
	v_cmp_ne_u32_e32 vcc_lo, 1, v18
	s_cbranch_vccnz .LBB108_326
; %bb.325:
	v_lshlrev_b64 v[16:17], 3, v[8:9]
	s_delay_alu instid0(VALU_DEP_1) | instskip(NEXT) | instid1(VALU_DEP_2)
	v_add_co_u32 v16, vcc_lo, v22, v16
	v_add_co_ci_u32_e32 v17, vcc_lo, v23, v17, vcc_lo
	flat_load_b64 v[16:17], v[16:17]
	s_waitcnt vmcnt(0) lgkmcnt(0)
	v_mul_f64 v[16:17], s[10:11], v[16:17]
	s_branch .LBB108_327
.LBB108_326:
	v_mov_b32_e32 v16, 0
	v_mov_b32_e32 v17, 0
.LBB108_327:
	s_delay_alu instid0(VALU_DEP_1) | instskip(SKIP_2) | instid1(VALU_DEP_1)
	v_cvt_f32_f64_e32 v16, v[16:17]
	scratch_load_b32 v17, off, off          ; 4-byte Folded Reload
	v_lshlrev_b64 v[24:25], 3, v[8:9]
	v_add_co_u32 v24, vcc_lo, v20, v24
	s_delay_alu instid0(VALU_DEP_2) | instskip(SKIP_2) | instid1(VALU_DEP_1)
	v_add_co_ci_u32_e32 v25, vcc_lo, v21, v25, vcc_lo
	s_waitcnt vmcnt(0)
	v_max_f32_e32 v17, v17, v17
	v_min_f32_e32 v16, v16, v17
	s_delay_alu instid0(VALU_DEP_1) | instskip(SKIP_3) | instid1(SALU_CYCLE_1)
	v_cvt_f64_f32_e32 v[16:17], v16
	global_store_b64 v[24:25], v[16:17], off
	s_or_b32 exec_lo, exec_lo, s9
	s_and_b32 s16, s5, s8
	s_and_saveexec_b32 s9, s16
	s_cbranch_execz .LBB108_306
.LBB108_328:
	v_cmp_ne_u32_e32 vcc_lo, 1, v18
	s_cbranch_vccnz .LBB108_330
; %bb.329:
	v_lshlrev_b64 v[16:17], 3, v[10:11]
	s_delay_alu instid0(VALU_DEP_1) | instskip(NEXT) | instid1(VALU_DEP_2)
	v_add_co_u32 v16, vcc_lo, v22, v16
	v_add_co_ci_u32_e32 v17, vcc_lo, v23, v17, vcc_lo
	flat_load_b64 v[16:17], v[16:17]
	s_waitcnt vmcnt(0) lgkmcnt(0)
	v_mul_f64 v[16:17], s[10:11], v[16:17]
	s_branch .LBB108_331
.LBB108_330:
	v_mov_b32_e32 v16, 0
	v_mov_b32_e32 v17, 0
.LBB108_331:
	s_delay_alu instid0(VALU_DEP_1) | instskip(SKIP_2) | instid1(VALU_DEP_1)
	v_cvt_f32_f64_e32 v16, v[16:17]
	v_max_f32_e32 v17, v200, v200
	v_lshlrev_b64 v[24:25], 3, v[10:11]
	v_add_co_u32 v24, vcc_lo, v20, v24
	s_delay_alu instid0(VALU_DEP_2) | instskip(NEXT) | instid1(VALU_DEP_4)
	v_add_co_ci_u32_e32 v25, vcc_lo, v21, v25, vcc_lo
	v_min_f32_e32 v16, v16, v17
	s_delay_alu instid0(VALU_DEP_1) | instskip(SKIP_3) | instid1(SALU_CYCLE_1)
	v_cvt_f64_f32_e32 v[16:17], v16
	global_store_b64 v[24:25], v[16:17], off
	s_or_b32 exec_lo, exec_lo, s9
	s_and_b32 s16, s6, s8
	s_and_saveexec_b32 s9, s16
	s_cbranch_execz .LBB108_307
.LBB108_332:
	v_cmp_ne_u32_e32 vcc_lo, 1, v18
	s_cbranch_vccnz .LBB108_334
; %bb.333:
	v_lshlrev_b64 v[16:17], 3, v[12:13]
	s_delay_alu instid0(VALU_DEP_1) | instskip(NEXT) | instid1(VALU_DEP_2)
	v_add_co_u32 v16, vcc_lo, v22, v16
	v_add_co_ci_u32_e32 v17, vcc_lo, v23, v17, vcc_lo
	flat_load_b64 v[16:17], v[16:17]
	s_waitcnt vmcnt(0) lgkmcnt(0)
	v_mul_f64 v[16:17], s[10:11], v[16:17]
	s_branch .LBB108_335
.LBB108_334:
	v_mov_b32_e32 v16, 0
	v_mov_b32_e32 v17, 0
.LBB108_335:
	s_delay_alu instid0(VALU_DEP_1) | instskip(SKIP_2) | instid1(VALU_DEP_1)
	v_cvt_f32_f64_e32 v16, v[16:17]
	v_max_f32_e32 v17, v132, v132
	v_lshlrev_b64 v[24:25], 3, v[12:13]
	v_add_co_u32 v24, vcc_lo, v20, v24
	s_delay_alu instid0(VALU_DEP_2) | instskip(NEXT) | instid1(VALU_DEP_4)
	v_add_co_ci_u32_e32 v25, vcc_lo, v21, v25, vcc_lo
	v_min_f32_e32 v16, v16, v17
	s_delay_alu instid0(VALU_DEP_1) | instskip(SKIP_3) | instid1(SALU_CYCLE_1)
	v_cvt_f64_f32_e32 v[16:17], v16
	global_store_b64 v[24:25], v[16:17], off
	s_or_b32 exec_lo, exec_lo, s9
	s_and_b32 s9, s7, s8
	s_and_saveexec_b32 s8, s9
	s_cbranch_execz .LBB108_340
.LBB108_336:
	v_cmp_ne_u32_e32 vcc_lo, 1, v18
	s_cbranch_vccnz .LBB108_338
; %bb.337:
	v_lshlrev_b64 v[16:17], 3, v[14:15]
	s_delay_alu instid0(VALU_DEP_1) | instskip(NEXT) | instid1(VALU_DEP_2)
	v_add_co_u32 v16, vcc_lo, v22, v16
	v_add_co_ci_u32_e32 v17, vcc_lo, v23, v17, vcc_lo
	flat_load_b64 v[16:17], v[16:17]
	s_waitcnt vmcnt(0) lgkmcnt(0)
	v_mul_f64 v[16:17], s[10:11], v[16:17]
	s_branch .LBB108_339
.LBB108_338:
	v_mov_b32_e32 v16, 0
	v_mov_b32_e32 v17, 0
.LBB108_339:
	s_delay_alu instid0(VALU_DEP_1) | instskip(SKIP_2) | instid1(VALU_DEP_1)
	v_cvt_f32_f64_e32 v16, v[16:17]
	v_max_f32_e32 v17, v134, v134
	v_lshlrev_b64 v[22:23], 3, v[14:15]
	v_add_co_u32 v20, vcc_lo, v20, v22
	s_delay_alu instid0(VALU_DEP_2) | instskip(NEXT) | instid1(VALU_DEP_4)
	v_add_co_ci_u32_e32 v21, vcc_lo, v21, v23, vcc_lo
	v_min_f32_e32 v16, v16, v17
	s_delay_alu instid0(VALU_DEP_1)
	v_cvt_f64_f32_e32 v[16:17], v16
	global_store_b64 v[20:21], v[16:17], off
.LBB108_340:
	s_or_b32 exec_lo, exec_lo, s8
	v_add_nc_u32_e32 v21, 56, v19
	s_delay_alu instid0(VALU_DEP_1) | instskip(SKIP_2) | instid1(VALU_DEP_3)
	v_mad_i64_i32 v[16:17], null, v21, s20, 0
	v_mad_i64_i32 v[19:20], null, v21, s18, 0
	v_cmp_gt_i32_e64 s8, s17, v21
	v_lshlrev_b64 v[16:17], 3, v[16:17]
	s_delay_alu instid0(VALU_DEP_2) | instskip(NEXT) | instid1(VALU_DEP_3)
	s_and_b32 s9, s0, s8
	v_lshlrev_b64 v[21:22], 3, v[19:20]
	s_delay_alu instid0(VALU_DEP_2) | instskip(NEXT) | instid1(VALU_DEP_3)
	v_add_co_u32 v19, vcc_lo, s12, v16
	v_add_co_ci_u32_e32 v20, vcc_lo, s13, v17, vcc_lo
	s_delay_alu instid0(VALU_DEP_3) | instskip(NEXT) | instid1(VALU_DEP_4)
	v_add_co_u32 v16, vcc_lo, s14, v21
	v_add_co_ci_u32_e32 v17, vcc_lo, s15, v22, vcc_lo
	s_and_saveexec_b32 s0, s9
	s_cbranch_execnz .LBB108_349
; %bb.341:
	s_or_b32 exec_lo, exec_lo, s0
	s_and_b32 s1, s1, s8
	s_delay_alu instid0(SALU_CYCLE_1)
	s_and_saveexec_b32 s0, s1
	s_cbranch_execnz .LBB108_353
.LBB108_342:
	s_or_b32 exec_lo, exec_lo, s0
	s_and_b32 s1, s2, s8
	s_delay_alu instid0(SALU_CYCLE_1)
	s_and_saveexec_b32 s0, s1
	s_cbranch_execnz .LBB108_357
.LBB108_343:
	s_or_b32 exec_lo, exec_lo, s0
	s_and_b32 s1, s3, s8
	s_delay_alu instid0(SALU_CYCLE_1)
	s_and_saveexec_b32 s0, s1
	s_cbranch_execnz .LBB108_361
.LBB108_344:
	s_or_b32 exec_lo, exec_lo, s0
	s_and_b32 s1, s4, s8
	s_delay_alu instid0(SALU_CYCLE_1)
	s_and_saveexec_b32 s0, s1
	s_cbranch_execnz .LBB108_365
.LBB108_345:
	s_or_b32 exec_lo, exec_lo, s0
	s_and_b32 s1, s5, s8
	s_delay_alu instid0(SALU_CYCLE_1)
	s_and_saveexec_b32 s0, s1
	s_cbranch_execnz .LBB108_369
.LBB108_346:
	s_or_b32 exec_lo, exec_lo, s0
	s_and_b32 s1, s6, s8
	s_delay_alu instid0(SALU_CYCLE_1)
	s_and_saveexec_b32 s0, s1
	s_cbranch_execnz .LBB108_373
.LBB108_347:
	s_or_b32 exec_lo, exec_lo, s0
	s_and_b32 s0, s7, s8
	s_delay_alu instid0(SALU_CYCLE_1)
	s_and_saveexec_b32 s1, s0
	s_cbranch_execnz .LBB108_377
.LBB108_348:
	s_endpgm
.LBB108_349:
	v_cmp_ne_u32_e32 vcc_lo, 1, v18
	v_lshlrev_b64 v[0:1], 3, v[0:1]
	s_cbranch_vccnz .LBB108_351
; %bb.350:
	s_delay_alu instid0(VALU_DEP_1) | instskip(NEXT) | instid1(VALU_DEP_2)
	v_add_co_u32 v21, vcc_lo, v19, v0
	v_add_co_ci_u32_e32 v22, vcc_lo, v20, v1, vcc_lo
	flat_load_b64 v[21:22], v[21:22]
	s_waitcnt vmcnt(0) lgkmcnt(0)
	v_mul_f64 v[21:22], s[10:11], v[21:22]
	s_delay_alu instid0(VALU_DEP_1)
	v_cvt_f32_f64_e32 v21, v[21:22]
	s_branch .LBB108_352
.LBB108_351:
	v_mov_b32_e32 v21, 0
.LBB108_352:
	s_delay_alu instid0(VALU_DEP_1) | instskip(NEXT) | instid1(VALU_DEP_3)
	v_dual_max_f32 v22, v128, v128 :: v_dual_max_f32 v21, v21, v21
	v_add_co_u32 v0, vcc_lo, v16, v0
	s_delay_alu instid0(VALU_DEP_4) | instskip(NEXT) | instid1(VALU_DEP_3)
	v_add_co_ci_u32_e32 v1, vcc_lo, v17, v1, vcc_lo
	v_min_f32_e32 v21, v21, v22
	s_delay_alu instid0(VALU_DEP_1) | instskip(SKIP_3) | instid1(SALU_CYCLE_1)
	v_cvt_f64_f32_e32 v[21:22], v21
	global_store_b64 v[0:1], v[21:22], off
	s_or_b32 exec_lo, exec_lo, s0
	s_and_b32 s1, s1, s8
	s_and_saveexec_b32 s0, s1
	s_cbranch_execz .LBB108_342
.LBB108_353:
	v_cmp_ne_u32_e32 vcc_lo, 1, v18
	v_lshlrev_b64 v[0:1], 3, v[2:3]
	s_cbranch_vccnz .LBB108_355
; %bb.354:
	s_delay_alu instid0(VALU_DEP_1) | instskip(NEXT) | instid1(VALU_DEP_2)
	v_add_co_u32 v2, vcc_lo, v19, v0
	v_add_co_ci_u32_e32 v3, vcc_lo, v20, v1, vcc_lo
	flat_load_b64 v[2:3], v[2:3]
	s_waitcnt vmcnt(0) lgkmcnt(0)
	v_mul_f64 v[2:3], s[10:11], v[2:3]
	s_delay_alu instid0(VALU_DEP_1)
	v_cvt_f32_f64_e32 v2, v[2:3]
	s_branch .LBB108_356
.LBB108_355:
	v_mov_b32_e32 v2, 0
.LBB108_356:
	s_delay_alu instid0(VALU_DEP_1) | instskip(NEXT) | instid1(VALU_DEP_3)
	v_dual_max_f32 v3, v129, v129 :: v_dual_max_f32 v2, v2, v2
	v_add_co_u32 v0, vcc_lo, v16, v0
	s_delay_alu instid0(VALU_DEP_4) | instskip(NEXT) | instid1(VALU_DEP_3)
	v_add_co_ci_u32_e32 v1, vcc_lo, v17, v1, vcc_lo
	v_min_f32_e32 v2, v2, v3
	s_delay_alu instid0(VALU_DEP_1) | instskip(SKIP_3) | instid1(SALU_CYCLE_1)
	v_cvt_f64_f32_e32 v[2:3], v2
	global_store_b64 v[0:1], v[2:3], off
	s_or_b32 exec_lo, exec_lo, s0
	s_and_b32 s1, s2, s8
	s_and_saveexec_b32 s0, s1
	s_cbranch_execz .LBB108_343
.LBB108_357:
	v_cmp_ne_u32_e32 vcc_lo, 1, v18
	v_lshlrev_b64 v[0:1], 3, v[4:5]
	s_cbranch_vccnz .LBB108_359
; %bb.358:
	s_delay_alu instid0(VALU_DEP_1) | instskip(NEXT) | instid1(VALU_DEP_2)
	v_add_co_u32 v2, vcc_lo, v19, v0
	v_add_co_ci_u32_e32 v3, vcc_lo, v20, v1, vcc_lo
	flat_load_b64 v[2:3], v[2:3]
	s_waitcnt vmcnt(0) lgkmcnt(0)
	v_mul_f64 v[2:3], s[10:11], v[2:3]
	s_delay_alu instid0(VALU_DEP_1)
	v_cvt_f32_f64_e32 v2, v[2:3]
	s_branch .LBB108_360
.LBB108_359:
	v_mov_b32_e32 v2, 0
.LBB108_360:
	s_delay_alu instid0(VALU_DEP_1) | instskip(NEXT) | instid1(VALU_DEP_3)
	v_dual_max_f32 v3, v127, v127 :: v_dual_max_f32 v2, v2, v2
	v_add_co_u32 v0, vcc_lo, v16, v0
	s_delay_alu instid0(VALU_DEP_4) | instskip(NEXT) | instid1(VALU_DEP_3)
	v_add_co_ci_u32_e32 v1, vcc_lo, v17, v1, vcc_lo
	v_min_f32_e32 v2, v2, v3
	s_delay_alu instid0(VALU_DEP_1) | instskip(SKIP_3) | instid1(SALU_CYCLE_1)
	v_cvt_f64_f32_e32 v[2:3], v2
	global_store_b64 v[0:1], v[2:3], off
	s_or_b32 exec_lo, exec_lo, s0
	s_and_b32 s1, s3, s8
	s_and_saveexec_b32 s0, s1
	s_cbranch_execz .LBB108_344
.LBB108_361:
	v_cmp_ne_u32_e32 vcc_lo, 1, v18
	v_lshlrev_b64 v[0:1], 3, v[6:7]
	s_cbranch_vccnz .LBB108_363
; %bb.362:
	s_delay_alu instid0(VALU_DEP_1) | instskip(NEXT) | instid1(VALU_DEP_2)
	v_add_co_u32 v2, vcc_lo, v19, v0
	v_add_co_ci_u32_e32 v3, vcc_lo, v20, v1, vcc_lo
	flat_load_b64 v[2:3], v[2:3]
	s_waitcnt vmcnt(0) lgkmcnt(0)
	v_mul_f64 v[2:3], s[10:11], v[2:3]
	s_delay_alu instid0(VALU_DEP_1)
	v_cvt_f32_f64_e32 v2, v[2:3]
	s_branch .LBB108_364
.LBB108_363:
	v_mov_b32_e32 v2, 0
.LBB108_364:
	v_max_f32_e32 v3, v122, v122
	s_delay_alu instid0(VALU_DEP_2) | instskip(NEXT) | instid1(VALU_DEP_4)
	v_max_f32_e32 v2, v2, v2
	v_add_co_u32 v0, vcc_lo, v16, v0
	v_add_co_ci_u32_e32 v1, vcc_lo, v17, v1, vcc_lo
	s_delay_alu instid0(VALU_DEP_3) | instskip(NEXT) | instid1(VALU_DEP_1)
	v_min_f32_e32 v2, v2, v3
	v_cvt_f64_f32_e32 v[2:3], v2
	global_store_b64 v[0:1], v[2:3], off
	s_or_b32 exec_lo, exec_lo, s0
	s_and_b32 s1, s4, s8
	s_delay_alu instid0(SALU_CYCLE_1)
	s_and_saveexec_b32 s0, s1
	s_cbranch_execz .LBB108_345
.LBB108_365:
	v_cmp_ne_u32_e32 vcc_lo, 1, v18
	v_lshlrev_b64 v[0:1], 3, v[8:9]
	s_cbranch_vccnz .LBB108_367
; %bb.366:
	s_delay_alu instid0(VALU_DEP_1) | instskip(NEXT) | instid1(VALU_DEP_2)
	v_add_co_u32 v2, vcc_lo, v19, v0
	v_add_co_ci_u32_e32 v3, vcc_lo, v20, v1, vcc_lo
	flat_load_b64 v[2:3], v[2:3]
	s_waitcnt vmcnt(0) lgkmcnt(0)
	v_mul_f64 v[2:3], s[10:11], v[2:3]
	s_delay_alu instid0(VALU_DEP_1)
	v_cvt_f32_f64_e32 v2, v[2:3]
	s_branch .LBB108_368
.LBB108_367:
	v_mov_b32_e32 v2, 0
.LBB108_368:
	v_max_f32_e32 v3, v126, v126
	s_delay_alu instid0(VALU_DEP_2) | instskip(NEXT) | instid1(VALU_DEP_4)
	v_max_f32_e32 v2, v2, v2
	v_add_co_u32 v0, vcc_lo, v16, v0
	v_add_co_ci_u32_e32 v1, vcc_lo, v17, v1, vcc_lo
	s_delay_alu instid0(VALU_DEP_3) | instskip(NEXT) | instid1(VALU_DEP_1)
	v_min_f32_e32 v2, v2, v3
	v_cvt_f64_f32_e32 v[2:3], v2
	global_store_b64 v[0:1], v[2:3], off
	s_or_b32 exec_lo, exec_lo, s0
	s_and_b32 s1, s5, s8
	s_delay_alu instid0(SALU_CYCLE_1)
	s_and_saveexec_b32 s0, s1
	s_cbranch_execz .LBB108_346
.LBB108_369:
	v_cmp_ne_u32_e32 vcc_lo, 1, v18
	v_lshlrev_b64 v[0:1], 3, v[10:11]
	s_cbranch_vccnz .LBB108_371
; %bb.370:
	s_delay_alu instid0(VALU_DEP_1) | instskip(NEXT) | instid1(VALU_DEP_2)
	v_add_co_u32 v2, vcc_lo, v19, v0
	v_add_co_ci_u32_e32 v3, vcc_lo, v20, v1, vcc_lo
	flat_load_b64 v[2:3], v[2:3]
	s_waitcnt vmcnt(0) lgkmcnt(0)
	v_mul_f64 v[2:3], s[10:11], v[2:3]
	s_delay_alu instid0(VALU_DEP_1)
	v_cvt_f32_f64_e32 v2, v[2:3]
	s_branch .LBB108_372
.LBB108_371:
	v_mov_b32_e32 v2, 0
.LBB108_372:
	s_delay_alu instid0(VALU_DEP_1) | instskip(NEXT) | instid1(VALU_DEP_3)
	v_dual_max_f32 v3, v123, v123 :: v_dual_max_f32 v2, v2, v2
	v_add_co_u32 v0, vcc_lo, v16, v0
	s_delay_alu instid0(VALU_DEP_4) | instskip(NEXT) | instid1(VALU_DEP_3)
	v_add_co_ci_u32_e32 v1, vcc_lo, v17, v1, vcc_lo
	v_min_f32_e32 v2, v2, v3
	s_delay_alu instid0(VALU_DEP_1) | instskip(SKIP_3) | instid1(SALU_CYCLE_1)
	v_cvt_f64_f32_e32 v[2:3], v2
	global_store_b64 v[0:1], v[2:3], off
	s_or_b32 exec_lo, exec_lo, s0
	s_and_b32 s1, s6, s8
	s_and_saveexec_b32 s0, s1
	s_cbranch_execz .LBB108_347
.LBB108_373:
	v_cmp_ne_u32_e32 vcc_lo, 1, v18
	v_lshlrev_b64 v[0:1], 3, v[12:13]
	s_cbranch_vccnz .LBB108_375
; %bb.374:
	s_delay_alu instid0(VALU_DEP_1) | instskip(NEXT) | instid1(VALU_DEP_2)
	v_add_co_u32 v2, vcc_lo, v19, v0
	v_add_co_ci_u32_e32 v3, vcc_lo, v20, v1, vcc_lo
	flat_load_b64 v[2:3], v[2:3]
	s_waitcnt vmcnt(0) lgkmcnt(0)
	v_mul_f64 v[2:3], s[10:11], v[2:3]
	s_delay_alu instid0(VALU_DEP_1)
	v_cvt_f32_f64_e32 v2, v[2:3]
	s_branch .LBB108_376
.LBB108_375:
	v_mov_b32_e32 v2, 0
.LBB108_376:
	v_max_f32_e32 v3, v66, v66
	s_delay_alu instid0(VALU_DEP_2) | instskip(NEXT) | instid1(VALU_DEP_4)
	v_max_f32_e32 v2, v2, v2
	v_add_co_u32 v0, vcc_lo, v16, v0
	v_add_co_ci_u32_e32 v1, vcc_lo, v17, v1, vcc_lo
	s_delay_alu instid0(VALU_DEP_3) | instskip(NEXT) | instid1(VALU_DEP_1)
	v_min_f32_e32 v2, v2, v3
	v_cvt_f64_f32_e32 v[2:3], v2
	global_store_b64 v[0:1], v[2:3], off
	s_or_b32 exec_lo, exec_lo, s0
	s_and_b32 s0, s7, s8
	s_delay_alu instid0(SALU_CYCLE_1)
	s_and_saveexec_b32 s1, s0
	s_cbranch_execz .LBB108_348
.LBB108_377:
	v_cmp_ne_u32_e32 vcc_lo, 1, v18
	v_lshlrev_b64 v[0:1], 3, v[14:15]
	s_cbranch_vccnz .LBB108_379
; %bb.378:
	s_delay_alu instid0(VALU_DEP_1) | instskip(NEXT) | instid1(VALU_DEP_2)
	v_add_co_u32 v2, vcc_lo, v19, v0
	v_add_co_ci_u32_e32 v3, vcc_lo, v20, v1, vcc_lo
	flat_load_b64 v[2:3], v[2:3]
	s_waitcnt vmcnt(0) lgkmcnt(0)
	v_mul_f64 v[2:3], s[10:11], v[2:3]
	s_delay_alu instid0(VALU_DEP_1)
	v_cvt_f32_f64_e32 v2, v[2:3]
	s_branch .LBB108_380
.LBB108_379:
	v_mov_b32_e32 v2, 0
.LBB108_380:
	s_delay_alu instid0(VALU_DEP_1) | instskip(NEXT) | instid1(VALU_DEP_3)
	v_dual_max_f32 v3, v67, v67 :: v_dual_max_f32 v2, v2, v2
	v_add_co_u32 v0, vcc_lo, v16, v0
	s_delay_alu instid0(VALU_DEP_4) | instskip(NEXT) | instid1(VALU_DEP_3)
	v_add_co_ci_u32_e32 v1, vcc_lo, v17, v1, vcc_lo
	v_min_f32_e32 v2, v2, v3
	s_delay_alu instid0(VALU_DEP_1)
	v_cvt_f64_f32_e32 v[2:3], v2
	global_store_b64 v[0:1], v[2:3], off
	s_endpgm
	.section	.rodata,"a",@progbits
	.p2align	6, 0x0
	.amdhsa_kernel _ZN12_GLOBAL__N_120geam_min_plus_kernelId15HIP_vector_typeIdLj2EEdLi32ELi8ELi256ELi64ELi4ELi64ELi4ELi4ELi64ELc78ELc78ELb0ELb1ELb1EPKdKS4_KPdEEviiiT16_PT17_ilSA_ilS8_SA_ilPT18_ili26rocblas_geam_ex_operation_
		.amdhsa_group_segment_fixed_size 20480
		.amdhsa_private_segment_fixed_size 412
		.amdhsa_kernarg_size 136
		.amdhsa_user_sgpr_count 14
		.amdhsa_user_sgpr_dispatch_ptr 0
		.amdhsa_user_sgpr_queue_ptr 0
		.amdhsa_user_sgpr_kernarg_segment_ptr 1
		.amdhsa_user_sgpr_dispatch_id 0
		.amdhsa_user_sgpr_private_segment_size 0
		.amdhsa_wavefront_size32 1
		.amdhsa_uses_dynamic_stack 0
		.amdhsa_enable_private_segment 1
		.amdhsa_system_sgpr_workgroup_id_x 1
		.amdhsa_system_sgpr_workgroup_id_y 0
		.amdhsa_system_sgpr_workgroup_id_z 1
		.amdhsa_system_sgpr_workgroup_info 0
		.amdhsa_system_vgpr_workitem_id 1
		.amdhsa_next_free_vgpr 256
		.amdhsa_next_free_sgpr 32
		.amdhsa_reserve_vcc 1
		.amdhsa_float_round_mode_32 0
		.amdhsa_float_round_mode_16_64 0
		.amdhsa_float_denorm_mode_32 3
		.amdhsa_float_denorm_mode_16_64 3
		.amdhsa_dx10_clamp 1
		.amdhsa_ieee_mode 1
		.amdhsa_fp16_overflow 0
		.amdhsa_workgroup_processor_mode 1
		.amdhsa_memory_ordered 1
		.amdhsa_forward_progress 0
		.amdhsa_shared_vgpr_count 0
		.amdhsa_exception_fp_ieee_invalid_op 0
		.amdhsa_exception_fp_denorm_src 0
		.amdhsa_exception_fp_ieee_div_zero 0
		.amdhsa_exception_fp_ieee_overflow 0
		.amdhsa_exception_fp_ieee_underflow 0
		.amdhsa_exception_fp_ieee_inexact 0
		.amdhsa_exception_int_div_zero 0
	.end_amdhsa_kernel
	.section	.text._ZN12_GLOBAL__N_120geam_min_plus_kernelId15HIP_vector_typeIdLj2EEdLi32ELi8ELi256ELi64ELi4ELi64ELi4ELi4ELi64ELc78ELc78ELb0ELb1ELb1EPKdKS4_KPdEEviiiT16_PT17_ilSA_ilS8_SA_ilPT18_ili26rocblas_geam_ex_operation_,"axG",@progbits,_ZN12_GLOBAL__N_120geam_min_plus_kernelId15HIP_vector_typeIdLj2EEdLi32ELi8ELi256ELi64ELi4ELi64ELi4ELi4ELi64ELc78ELc78ELb0ELb1ELb1EPKdKS4_KPdEEviiiT16_PT17_ilSA_ilS8_SA_ilPT18_ili26rocblas_geam_ex_operation_,comdat
.Lfunc_end108:
	.size	_ZN12_GLOBAL__N_120geam_min_plus_kernelId15HIP_vector_typeIdLj2EEdLi32ELi8ELi256ELi64ELi4ELi64ELi4ELi4ELi64ELc78ELc78ELb0ELb1ELb1EPKdKS4_KPdEEviiiT16_PT17_ilSA_ilS8_SA_ilPT18_ili26rocblas_geam_ex_operation_, .Lfunc_end108-_ZN12_GLOBAL__N_120geam_min_plus_kernelId15HIP_vector_typeIdLj2EEdLi32ELi8ELi256ELi64ELi4ELi64ELi4ELi4ELi64ELc78ELc78ELb0ELb1ELb1EPKdKS4_KPdEEviiiT16_PT17_ilSA_ilS8_SA_ilPT18_ili26rocblas_geam_ex_operation_
                                        ; -- End function
	.section	.AMDGPU.csdata,"",@progbits
; Kernel info:
; codeLenInByte = 27880
; NumSgprs: 34
; NumVgprs: 256
; ScratchSize: 412
; MemoryBound: 0
; FloatMode: 240
; IeeeMode: 1
; LDSByteSize: 20480 bytes/workgroup (compile time only)
; SGPRBlocks: 4
; VGPRBlocks: 31
; NumSGPRsForWavesPerEU: 34
; NumVGPRsForWavesPerEU: 256
; Occupancy: 5
; WaveLimiterHint : 1
; COMPUTE_PGM_RSRC2:SCRATCH_EN: 1
; COMPUTE_PGM_RSRC2:USER_SGPR: 14
; COMPUTE_PGM_RSRC2:TRAP_HANDLER: 0
; COMPUTE_PGM_RSRC2:TGID_X_EN: 1
; COMPUTE_PGM_RSRC2:TGID_Y_EN: 0
; COMPUTE_PGM_RSRC2:TGID_Z_EN: 1
; COMPUTE_PGM_RSRC2:TIDIG_COMP_CNT: 1
	.section	.text._ZN12_GLOBAL__N_120geam_min_plus_kernelId15HIP_vector_typeIdLj2EEdLi32ELi8ELi256ELi64ELi4ELi64ELi4ELi4ELi64ELc78ELc78ELb1ELb1ELb1EdKPKdKPdEEviiiT16_PT17_ilSA_ilS8_SA_ilPT18_ili26rocblas_geam_ex_operation_,"axG",@progbits,_ZN12_GLOBAL__N_120geam_min_plus_kernelId15HIP_vector_typeIdLj2EEdLi32ELi8ELi256ELi64ELi4ELi64ELi4ELi4ELi64ELc78ELc78ELb1ELb1ELb1EdKPKdKPdEEviiiT16_PT17_ilSA_ilS8_SA_ilPT18_ili26rocblas_geam_ex_operation_,comdat
	.globl	_ZN12_GLOBAL__N_120geam_min_plus_kernelId15HIP_vector_typeIdLj2EEdLi32ELi8ELi256ELi64ELi4ELi64ELi4ELi4ELi64ELc78ELc78ELb1ELb1ELb1EdKPKdKPdEEviiiT16_PT17_ilSA_ilS8_SA_ilPT18_ili26rocblas_geam_ex_operation_ ; -- Begin function _ZN12_GLOBAL__N_120geam_min_plus_kernelId15HIP_vector_typeIdLj2EEdLi32ELi8ELi256ELi64ELi4ELi64ELi4ELi4ELi64ELc78ELc78ELb1ELb1ELb1EdKPKdKPdEEviiiT16_PT17_ilSA_ilS8_SA_ilPT18_ili26rocblas_geam_ex_operation_
	.p2align	8
	.type	_ZN12_GLOBAL__N_120geam_min_plus_kernelId15HIP_vector_typeIdLj2EEdLi32ELi8ELi256ELi64ELi4ELi64ELi4ELi4ELi64ELc78ELc78ELb1ELb1ELb1EdKPKdKPdEEviiiT16_PT17_ilSA_ilS8_SA_ilPT18_ili26rocblas_geam_ex_operation_,@function
_ZN12_GLOBAL__N_120geam_min_plus_kernelId15HIP_vector_typeIdLj2EEdLi32ELi8ELi256ELi64ELi4ELi64ELi4ELi4ELi64ELc78ELc78ELb1ELb1ELb1EdKPKdKPdEEviiiT16_PT17_ilSA_ilS8_SA_ilPT18_ili26rocblas_geam_ex_operation_: ; @_ZN12_GLOBAL__N_120geam_min_plus_kernelId15HIP_vector_typeIdLj2EEdLi32ELi8ELi256ELi64ELi4ELi64ELi4ELi4ELi64ELc78ELc78ELb1ELb1ELb1EdKPKdKPdEEviiiT16_PT17_ilSA_ilS8_SA_ilPT18_ili26rocblas_geam_ex_operation_
; %bb.0:
	s_clause 0x1
	s_load_b128 s[8:11], s[0:1], 0x10
	s_load_b128 s[4:7], s[0:1], 0x28
	s_mov_b32 s2, s15
	s_mov_b64 s[22:23], 0
	s_waitcnt lgkmcnt(0)
	v_cmp_eq_f64_e64 s12, s[8:9], 0
	s_delay_alu instid0(VALU_DEP_1)
	s_and_b32 vcc_lo, exec_lo, s12
	s_cbranch_vccnz .LBB109_2
; %bb.1:
	s_mov_b32 s3, 0
	s_delay_alu instid0(SALU_CYCLE_1) | instskip(NEXT) | instid1(SALU_CYCLE_1)
	s_lshl_b64 s[8:9], s[2:3], 3
	s_add_u32 s8, s10, s8
	s_addc_u32 s9, s11, s9
	s_lshl_b64 s[4:5], s[4:5], 3
	s_load_b64 s[8:9], s[8:9], 0x0
	s_waitcnt lgkmcnt(0)
	s_add_u32 s22, s8, s4
	s_addc_u32 s23, s9, s5
.LBB109_2:
	s_clause 0x1
	s_load_b128 s[8:11], s[0:1], 0x40
	s_load_b64 s[16:17], s[0:1], 0x50
	s_and_not1_b32 vcc_lo, exec_lo, s12
	s_cbranch_vccnz .LBB109_4
; %bb.3:
	s_mov_b32 s3, 0
	s_mov_b64 s[24:25], 0
	s_cbranch_execz .LBB109_5
	s_branch .LBB109_6
.LBB109_4:
	s_mov_b32 s3, -1
                                        ; implicit-def: $sgpr24_sgpr25
.LBB109_5:
	s_mov_b32 s3, 0
	s_delay_alu instid0(SALU_CYCLE_1) | instskip(NEXT) | instid1(SALU_CYCLE_1)
	s_lshl_b64 s[4:5], s[2:3], 3
	s_add_u32 s4, s6, s4
	s_addc_u32 s5, s7, s5
	s_waitcnt lgkmcnt(0)
	s_lshl_b64 s[6:7], s[8:9], 3
	s_load_b64 s[4:5], s[4:5], 0x0
	s_waitcnt lgkmcnt(0)
	s_add_u32 s24, s4, s6
	s_addc_u32 s25, s5, s7
.LBB109_6:
	s_waitcnt lgkmcnt(0)
	v_cmp_eq_f64_e64 s8, s[10:11], 0
	v_cmp_neq_f64_e64 s15, s[10:11], 0
	s_load_b128 s[4:7], s[0:1], 0x60
	s_mov_b64 s[12:13], 0
	s_delay_alu instid0(VALU_DEP_2)
	s_and_b32 vcc_lo, exec_lo, s8
	s_cbranch_vccnz .LBB109_8
; %bb.7:
	s_lshl_b64 s[8:9], s[2:3], 3
	s_delay_alu instid0(SALU_CYCLE_1)
	s_add_u32 s8, s16, s8
	s_addc_u32 s9, s17, s9
	s_waitcnt lgkmcnt(0)
	s_lshl_b64 s[4:5], s[4:5], 3
	s_load_b64 s[8:9], s[8:9], 0x0
	s_waitcnt lgkmcnt(0)
	s_add_u32 s12, s8, s4
	s_addc_u32 s13, s9, s5
.LBB109_8:
	s_clause 0x1
	s_load_b128 s[16:19], s[0:1], 0x0
	s_load_b32 s26, s[0:1], 0x20
	s_lshl_b64 s[2:3], s[2:3], 3
	v_and_b32_e32 v37, 0x3ff, v0
	s_waitcnt lgkmcnt(0)
	s_add_u32 s2, s6, s2
	s_addc_u32 s3, s7, s3
	v_bfe_u32 v220, v0, 10, 10
	s_load_b64 s[20:21], s[2:3], 0x0
	s_delay_alu instid0(VALU_DEP_1) | instskip(NEXT) | instid1(VALU_DEP_1)
	v_lshl_add_u32 v6, v220, 5, v37
	v_lshrrev_b32_e32 v2, 6, v6
	v_and_b32_e32 v22, 63, v6
	s_add_i32 s4, s16, -1
	s_delay_alu instid0(VALU_DEP_2) | instskip(SKIP_3) | instid1(SALU_CYCLE_1)
	v_cmp_le_i32_e32 vcc_lo, s18, v2
	s_ashr_i32 s5, s4, 31
	scratch_store_b32 off, v2, off offset:308 ; 4-byte Folded Spill
	s_lshr_b32 s5, s5, 24
	s_add_i32 s4, s4, s5
	s_delay_alu instid0(SALU_CYCLE_1) | instskip(NEXT) | instid1(SALU_CYCLE_1)
	s_ashr_i32 s4, s4, 8
	s_add_i32 s5, s4, 1
	s_not_b32 s4, s4
	v_cvt_f32_u32_e32 v1, s5
	s_delay_alu instid0(VALU_DEP_1) | instskip(SKIP_2) | instid1(VALU_DEP_1)
	v_rcp_iflag_f32_e32 v1, v1
	s_waitcnt_depctr 0xfff
	v_mul_f32_e32 v1, 0x4f7ffffe, v1
	v_cvt_u32_f32_e32 v1, v1
	s_delay_alu instid0(VALU_DEP_1) | instskip(SKIP_1) | instid1(VALU_DEP_2)
	v_readfirstlane_b32 s6, v1
	v_mad_i64_i32 v[0:1], null, s26, v2, 0
	s_mul_i32 s4, s4, s6
	s_delay_alu instid0(SALU_CYCLE_1) | instskip(NEXT) | instid1(VALU_DEP_1)
	s_mul_hi_u32 s4, s6, s4
	v_lshlrev_b64 v[0:1], 3, v[0:1]
	s_add_i32 s6, s6, s4
	s_delay_alu instid0(SALU_CYCLE_1) | instskip(NEXT) | instid1(SALU_CYCLE_1)
	s_mul_hi_u32 s4, s14, s6
	s_mul_i32 s6, s4, s5
	s_add_i32 s7, s4, 1
	s_sub_i32 s6, s14, s6
	v_add_co_u32 v7, s3, s22, v0
	s_sub_i32 s8, s6, s5
	s_cmp_ge_u32 s6, s5
	v_add_co_ci_u32_e64 v8, s3, s23, v1, s3
	s_cselect_b32 s4, s7, s4
	s_cselect_b32 s6, s8, s6
	s_add_i32 s7, s4, 1
	s_cmp_ge_u32 s6, s5
	s_cselect_b32 s8, s7, s4
	s_delay_alu instid0(SALU_CYCLE_1)
	s_mul_i32 s2, s8, s5
	s_mov_b32 s4, -1
	s_sub_i32 s2, s14, s2
	s_mov_b32 s5, 0x7fefffff
	s_lshl_b32 s14, s2, 8
	v_mov_b32_e32 v0, s4
	v_or_b32_e32 v26, s14, v22
	v_mov_b32_e32 v1, s5
	s_delay_alu instid0(VALU_DEP_2) | instskip(SKIP_1) | instid1(VALU_DEP_2)
	v_cmp_le_i32_e64 s2, s16, v26
	v_ashrrev_i32_e32 v27, 31, v26
	s_or_b32 s3, s2, vcc_lo
	s_delay_alu instid0(SALU_CYCLE_1) | instskip(NEXT) | instid1(SALU_CYCLE_1)
	s_xor_b32 s3, s3, -1
	s_and_saveexec_b32 s6, s3
	s_cbranch_execz .LBB109_10
; %bb.9:
	v_lshlrev_b64 v[0:1], 3, v[26:27]
	s_delay_alu instid0(VALU_DEP_1) | instskip(NEXT) | instid1(VALU_DEP_1)
	v_add_co_u32 v0, s3, v7, v0
	v_add_co_ci_u32_e64 v1, s3, v8, v1, s3
	flat_load_b64 v[0:1], v[0:1]
.LBB109_10:
	s_or_b32 exec_lo, exec_lo, s6
	v_or_b32_e32 v2, 64, v26
	s_delay_alu instid0(VALU_DEP_1) | instskip(SKIP_1) | instid1(VALU_DEP_2)
	v_cmp_le_i32_e64 s3, s16, v2
	v_dual_mov_b32 v2, s4 :: v_dual_mov_b32 v3, s5
	s_or_b32 s4, s3, vcc_lo
	s_delay_alu instid0(SALU_CYCLE_1) | instskip(NEXT) | instid1(SALU_CYCLE_1)
	s_xor_b32 s4, s4, -1
	s_and_saveexec_b32 s5, s4
	s_cbranch_execz .LBB109_12
; %bb.11:
	v_lshlrev_b64 v[2:3], 3, v[26:27]
	s_delay_alu instid0(VALU_DEP_1) | instskip(NEXT) | instid1(VALU_DEP_1)
	v_add_co_u32 v2, s4, v7, v2
	v_add_co_ci_u32_e64 v3, s4, v8, v3, s4
	flat_load_b64 v[2:3], v[2:3] offset:512
.LBB109_12:
	s_or_b32 exec_lo, exec_lo, s5
	v_or_b32_e32 v4, 0x80, v26
	s_mov_b32 s6, -1
	s_mov_b32 s7, 0x7fefffff
	s_ashr_i32 s27, s26, 31
	v_dual_mov_b32 v17, s7 :: v_dual_mov_b32 v16, s6
	v_cmp_le_i32_e64 s4, s16, v4
	s_delay_alu instid0(VALU_DEP_1) | instskip(NEXT) | instid1(SALU_CYCLE_1)
	s_or_b32 s5, s4, vcc_lo
	s_xor_b32 s5, s5, -1
	s_delay_alu instid0(SALU_CYCLE_1)
	s_and_saveexec_b32 s9, s5
	s_cbranch_execz .LBB109_14
; %bb.13:
	v_lshlrev_b64 v[9:10], 3, v[26:27]
	s_delay_alu instid0(VALU_DEP_1) | instskip(NEXT) | instid1(VALU_DEP_1)
	v_add_co_u32 v9, s5, v7, v9
	v_add_co_ci_u32_e64 v10, s5, v8, v10, s5
	flat_load_b64 v[16:17], v[9:10] offset:1024
.LBB109_14:
	s_or_b32 exec_lo, exec_lo, s9
	v_or_b32_e32 v4, 0xc0, v26
	v_dual_mov_b32 v19, s7 :: v_dual_mov_b32 v18, s6
	s_delay_alu instid0(VALU_DEP_2) | instskip(NEXT) | instid1(VALU_DEP_1)
	v_cmp_le_i32_e64 s5, s16, v4
	s_or_b32 s6, s5, vcc_lo
	s_delay_alu instid0(SALU_CYCLE_1) | instskip(NEXT) | instid1(SALU_CYCLE_1)
	s_xor_b32 s7, s6, -1
	s_and_saveexec_b32 s6, s7
	s_cbranch_execz .LBB109_16
; %bb.15:
	v_lshlrev_b64 v[9:10], 3, v[26:27]
	s_delay_alu instid0(VALU_DEP_1) | instskip(NEXT) | instid1(VALU_DEP_2)
	v_add_co_u32 v7, vcc_lo, v7, v9
	v_add_co_ci_u32_e32 v8, vcc_lo, v8, v10, vcc_lo
	flat_load_b64 v[18:19], v[7:8] offset:1536
.LBB109_16:
	s_or_b32 exec_lo, exec_lo, s6
	s_load_b32 s29, s[0:1], 0x38
	v_lshrrev_b32_e32 v24, 2, v6
	s_lshl_b32 s19, s8, 6
	s_mov_b32 s8, -1
	s_mov_b32 s9, 0x7fefffff
	s_delay_alu instid0(SALU_CYCLE_1) | instskip(SKIP_1) | instid1(VALU_DEP_2)
	v_dual_mov_b32 v21, s9 :: v_dual_and_b32 v4, 3, v37
	v_dual_mov_b32 v20, s8 :: v_dual_add_nc_u32 v221, s19, v24
	v_cmp_gt_i32_e64 s6, s18, v4
	v_lshlrev_b32_e32 v25, 3, v4
	s_delay_alu instid0(VALU_DEP_3) | instskip(SKIP_2) | instid1(SALU_CYCLE_1)
	v_cmp_le_i32_e32 vcc_lo, s17, v221
	scratch_store_b32 off, v4, off offset:360 ; 4-byte Folded Spill
	s_xor_b32 s28, vcc_lo, -1
	s_and_b32 s7, s6, s28
	s_delay_alu instid0(SALU_CYCLE_1)
	s_and_saveexec_b32 s6, s7
	s_cbranch_execz .LBB109_18
; %bb.17:
	s_waitcnt lgkmcnt(0)
	v_mad_i64_i32 v[6:7], null, v221, s29, 0
	s_delay_alu instid0(VALU_DEP_1) | instskip(NEXT) | instid1(VALU_DEP_1)
	v_lshlrev_b64 v[6:7], 3, v[6:7]
	v_add_co_u32 v4, vcc_lo, s24, v6
	s_delay_alu instid0(VALU_DEP_2) | instskip(NEXT) | instid1(VALU_DEP_2)
	v_add_co_ci_u32_e32 v5, vcc_lo, s25, v7, vcc_lo
	v_add_co_u32 v6, vcc_lo, v4, v25
	s_delay_alu instid0(VALU_DEP_2)
	v_add_co_ci_u32_e32 v7, vcc_lo, 0, v5, vcc_lo
	flat_load_b64 v[20:21], v[6:7]
.LBB109_18:
	s_or_b32 exec_lo, exec_lo, s6
	scratch_load_b32 v4, off, off offset:308 ; 4-byte Folded Reload
	s_waitcnt vmcnt(0)
	v_add_nc_u32_e32 v4, 4, v4
	s_delay_alu instid0(VALU_DEP_1) | instskip(SKIP_2) | instid1(VALU_DEP_3)
	v_mad_i64_i32 v[6:7], null, s26, v4, 0
	v_cmp_le_i32_e32 vcc_lo, s18, v4
	v_dual_mov_b32 v4, s8 :: v_dual_mov_b32 v5, s9
	v_lshlrev_b64 v[6:7], 3, v[6:7]
	s_delay_alu instid0(VALU_DEP_1) | instskip(NEXT) | instid1(VALU_DEP_1)
	v_add_co_u32 v14, s6, s22, v6
	v_add_co_ci_u32_e64 v15, s6, s23, v7, s6
	s_or_b32 s6, s2, vcc_lo
	s_delay_alu instid0(SALU_CYCLE_1) | instskip(NEXT) | instid1(SALU_CYCLE_1)
	s_xor_b32 s6, s6, -1
	s_and_saveexec_b32 s7, s6
	s_cbranch_execz .LBB109_20
; %bb.19:
	v_lshlrev_b64 v[6:7], 3, v[26:27]
	s_delay_alu instid0(VALU_DEP_1) | instskip(NEXT) | instid1(VALU_DEP_1)
	v_add_co_u32 v6, s6, v14, v6
	v_add_co_ci_u32_e64 v7, s6, v15, v7, s6
	flat_load_b64 v[4:5], v[6:7]
.LBB109_20:
	s_or_b32 exec_lo, exec_lo, s7
	v_dual_mov_b32 v6, s8 :: v_dual_mov_b32 v7, s9
	s_or_b32 s6, s3, vcc_lo
	s_delay_alu instid0(SALU_CYCLE_1) | instskip(NEXT) | instid1(SALU_CYCLE_1)
	s_xor_b32 s6, s6, -1
	s_and_saveexec_b32 s7, s6
	s_cbranch_execz .LBB109_22
; %bb.21:
	v_lshlrev_b64 v[8:9], 3, v[26:27]
	s_delay_alu instid0(VALU_DEP_1) | instskip(NEXT) | instid1(VALU_DEP_1)
	v_add_co_u32 v8, s6, v14, v8
	v_add_co_ci_u32_e64 v9, s6, v15, v9, s6
	flat_load_b64 v[6:7], v[8:9] offset:512
.LBB109_22:
	s_or_b32 exec_lo, exec_lo, s7
	v_dual_mov_b32 v8, s8 :: v_dual_mov_b32 v9, s9
	s_or_b32 s6, s4, vcc_lo
	s_delay_alu instid0(SALU_CYCLE_1) | instskip(NEXT) | instid1(SALU_CYCLE_1)
	s_xor_b32 s6, s6, -1
	s_and_saveexec_b32 s7, s6
	s_cbranch_execz .LBB109_24
; %bb.23:
	v_lshlrev_b64 v[10:11], 3, v[26:27]
	s_delay_alu instid0(VALU_DEP_1) | instskip(NEXT) | instid1(VALU_DEP_1)
	v_add_co_u32 v10, s6, v14, v10
	v_add_co_ci_u32_e64 v11, s6, v15, v11, s6
	flat_load_b64 v[8:9], v[10:11] offset:1024
.LBB109_24:
	s_or_b32 exec_lo, exec_lo, s7
	s_mov_b32 s6, -1
	s_mov_b32 s7, 0x7fefffff
	s_waitcnt vmcnt(0) lgkmcnt(0)
	s_clause 0x1
	scratch_store_b64 off, v[6:7], off offset:320
	scratch_store_b64 off, v[4:5], off offset:312
	v_dual_mov_b32 v4, s6 :: v_dual_mov_b32 v5, s7
	s_or_b32 s8, s5, vcc_lo
	s_delay_alu instid0(SALU_CYCLE_1) | instskip(NEXT) | instid1(SALU_CYCLE_1)
	s_xor_b32 s9, s8, -1
	s_and_saveexec_b32 s8, s9
	s_cbranch_execz .LBB109_26
; %bb.25:
	v_lshlrev_b64 v[12:13], 3, v[26:27]
	s_delay_alu instid0(VALU_DEP_1) | instskip(NEXT) | instid1(VALU_DEP_2)
	v_add_co_u32 v12, vcc_lo, v14, v12
	v_add_co_ci_u32_e32 v13, vcc_lo, v15, v13, vcc_lo
	flat_load_b64 v[4:5], v[12:13] offset:1536
.LBB109_26:
	s_or_b32 exec_lo, exec_lo, s8
	s_waitcnt vmcnt(0) lgkmcnt(0)
	s_clause 0x2
	scratch_store_b64 off, v[4:5], off offset:336
	scratch_store_b64 off, v[8:9], off offset:328
	;; [unrolled: 1-line block ×3, first 2 shown]
	v_and_b32_e32 v4, 3, v37
	s_delay_alu instid0(VALU_DEP_1) | instskip(NEXT) | instid1(VALU_DEP_1)
	v_or_b32_e32 v4, 4, v4
	v_cmp_gt_i32_e32 vcc_lo, s18, v4
	v_dual_mov_b32 v4, s6 :: v_dual_mov_b32 v5, s7
	s_and_b32 s7, vcc_lo, s28
	s_delay_alu instid0(SALU_CYCLE_1)
	s_and_saveexec_b32 s6, s7
	s_cbranch_execz .LBB109_28
; %bb.27:
	v_mad_i64_i32 v[14:15], null, v221, s29, 0
	s_delay_alu instid0(VALU_DEP_1) | instskip(NEXT) | instid1(VALU_DEP_1)
	v_lshlrev_b64 v[14:15], 3, v[14:15]
	v_add_co_u32 v4, vcc_lo, s24, v14
	s_delay_alu instid0(VALU_DEP_2) | instskip(NEXT) | instid1(VALU_DEP_2)
	v_add_co_ci_u32_e32 v5, vcc_lo, s25, v15, vcc_lo
	v_add_co_u32 v14, vcc_lo, v4, v25
	s_delay_alu instid0(VALU_DEP_2)
	v_add_co_ci_u32_e32 v15, vcc_lo, 0, v5, vcc_lo
	flat_load_b64 v[4:5], v[14:15] offset:32
.LBB109_28:
	s_or_b32 exec_lo, exec_lo, s6
	s_waitcnt vmcnt(0) lgkmcnt(0)
	scratch_store_b64 off, v[4:5], off offset:344 ; 8-byte Folded Spill
	scratch_load_b32 v4, off, off offset:308 ; 4-byte Folded Reload
	v_lshl_or_b32 v78, v24, 5, v25
	v_dual_mov_b32 v122, 0x7f800000 :: v_dual_mov_b32 v85, 0x7f800000
	v_dual_mov_b32 v120, 0x7f800000 :: v_dual_mov_b32 v193, 0x7f800000
	s_delay_alu instid0(VALU_DEP_3)
	v_add_nc_u32_e32 v5, 0x4000, v78
	v_dual_mov_b32 v124, 0x7f800000 :: v_dual_mov_b32 v235, 0x7f800000
	v_dual_mov_b32 v126, 0x7f800000 :: v_dual_mov_b32 v55, 0x7f800000
	scratch_store_b32 off, v5, off offset:368 ; 4-byte Folded Spill
	v_dual_mov_b32 v130, 0x7f800000 :: v_dual_mov_b32 v53, 0x7f800000
	v_dual_mov_b32 v128, 0x7f800000 :: v_dual_mov_b32 v133, 0x7f800000
	;; [unrolled: 1-line block ×23, first 2 shown]
	v_mov_b32_e32 v214, 0x7f800000
	v_mov_b32_e32 v216, 0x7f800000
	;; [unrolled: 1-line block ×5, first 2 shown]
	s_mov_b32 s7, 0
	s_mov_b32 s6, -1
	v_mov_b32_e32 v139, 0x7f800000
	v_mov_b32_e32 v191, 0x7f800000
	s_waitcnt vmcnt(0)
	v_dual_mov_b32 v201, 0x7f800000 :: v_dual_lshlrev_b32 v4, 3, v4
	s_delay_alu instid0(VALU_DEP_1)
	v_lshl_add_u32 v4, v22, 5, v4
	ds_store_b64 v78, v[20:21] offset:16384
	ds_store_2addr_stride64_b64 v4, v[0:1], v[2:3] offset1:4
	v_mov_b32_e32 v0, 0x7f800000
	scratch_store_b32 off, v4, off offset:364 ; 4-byte Folded Spill
	ds_store_2addr_stride64_b64 v4, v[16:17], v[18:19] offset0:8 offset1:12
	s_waitcnt lgkmcnt(0)
	s_waitcnt_vscnt null, 0x0
	scratch_store_b32 off, v0, off          ; 4-byte Folded Spill
	v_mov_b32_e32 v0, 0x7f800000
	scratch_store_b32 off, v0, off offset:4 ; 4-byte Folded Spill
	s_waitcnt_vscnt null, 0x0
	s_barrier
	buffer_gl0_inv
	scratch_store_b32 off, v37, off offset:296 ; 4-byte Folded Spill
.LBB109_29:                             ; =>This Inner Loop Header: Depth=1
	s_lshl_b32 s7, s7, 3
	v_dual_mov_b32 v27, v55 :: v_dual_mov_b32 v140, v53
	v_lshl_add_u32 v25, v220, 5, s7
	v_lshl_add_u32 v4, v37, 5, s7
	v_mov_b32_e32 v143, v56
	v_mov_b32_e32 v141, v54
	ds_load_b128 v[16:19], v25 offset:16384
	ds_load_b128 v[0:3], v4
	ds_load_b128 v[107:110], v4 offset:1024
	ds_load_b128 v[29:32], v25 offset:16640
	s_mov_b32 s7, 2
	s_and_not1_b32 vcc_lo, exec_lo, s6
	s_mov_b32 s6, 0
	s_waitcnt lgkmcnt(2)
	v_add_f64 v[5:6], v[2:3], v[18:19]
	scratch_store_b64 off, v[5:6], off offset:104 ; 8-byte Folded Spill
	v_add_f64 v[5:6], v[0:1], v[16:17]
	scratch_store_b64 off, v[5:6], off offset:96 ; 8-byte Folded Spill
	s_waitcnt lgkmcnt(1)
	v_add_f64 v[5:6], v[109:110], v[18:19]
	scratch_store_b64 off, v[5:6], off offset:8 ; 8-byte Folded Spill
	v_add_f64 v[5:6], v[107:108], v[16:17]
	scratch_store_b64 off, v[5:6], off offset:64 ; 8-byte Folded Spill
	ds_load_b128 v[33:36], v4 offset:2048
	ds_load_b128 v[37:40], v4 offset:3072
	s_waitcnt lgkmcnt(1)
	v_add_f64 v[5:6], v[35:36], v[18:19]
	scratch_store_b64 off, v[5:6], off offset:40 ; 8-byte Folded Spill
	v_add_f64 v[5:6], v[33:34], v[16:17]
	scratch_store_b64 off, v[5:6], off offset:112 ; 8-byte Folded Spill
	s_waitcnt lgkmcnt(0)
	v_add_f64 v[5:6], v[39:40], v[18:19]
	scratch_store_b64 off, v[5:6], off offset:16 ; 8-byte Folded Spill
	v_add_f64 v[5:6], v[37:38], v[16:17]
	scratch_store_b64 off, v[5:6], off offset:72 ; 8-byte Folded Spill
	ds_load_b128 v[41:44], v4 offset:4096
	ds_load_b128 v[45:48], v4 offset:5120
	;; [unrolled: 1-line block ×4, first 2 shown]
	s_waitcnt lgkmcnt(3)
	v_add_f64 v[5:6], v[43:44], v[18:19]
	scratch_store_b64 off, v[5:6], off offset:48 ; 8-byte Folded Spill
	v_add_f64 v[5:6], v[41:42], v[16:17]
	scratch_store_b64 off, v[5:6], off offset:120 ; 8-byte Folded Spill
	s_waitcnt lgkmcnt(2)
	v_add_f64 v[5:6], v[47:48], v[18:19]
	scratch_store_b64 off, v[5:6], off offset:24 ; 8-byte Folded Spill
	v_add_f64 v[5:6], v[45:46], v[16:17]
	scratch_store_b64 off, v[5:6], off offset:80 ; 8-byte Folded Spill
	;; [unrolled: 5-line block ×4, first 2 shown]
	v_add_f64 v[4:5], v[2:3], v[31:32]
	scratch_store_b64 off, v[4:5], off offset:136 ; 8-byte Folded Spill
	v_add_f64 v[4:5], v[0:1], v[29:30]
	scratch_store_b64 off, v[4:5], off offset:144 ; 8-byte Folded Spill
	;; [unrolled: 2-line block ×16, first 2 shown]
	ds_load_b128 v[16:19], v25 offset:16896
	ds_load_b128 v[29:32], v25 offset:17152
	s_waitcnt lgkmcnt(1)
	v_add_f64 v[4:5], v[47:48], v[18:19]
	v_add_f64 v[168:169], v[2:3], v[18:19]
	;; [unrolled: 1-line block ×12, first 2 shown]
	s_waitcnt lgkmcnt(0)
	v_add_f64 v[174:175], v[2:3], v[31:32]
	v_add_f64 v[224:225], v[0:1], v[29:30]
	;; [unrolled: 1-line block ×16, first 2 shown]
	scratch_store_b64 off, v[4:5], off offset:280 ; 8-byte Folded Spill
	v_add_f64 v[4:5], v[51:52], v[18:19]
	scratch_store_b64 off, v[4:5], off offset:272 ; 8-byte Folded Spill
	v_add_f64 v[4:5], v[49:50], v[16:17]
	;; [unrolled: 2-line block ×4, first 2 shown]
	scratch_store_b64 off, v[4:5], off offset:288 ; 8-byte Folded Spill
	ds_load_b128 v[16:19], v25 offset:17408
	ds_load_b128 v[29:32], v25 offset:17664
	s_waitcnt lgkmcnt(1)
	v_add_f64 v[254:255], v[2:3], v[18:19]
	v_add_f64 v[23:24], v[0:1], v[16:17]
	;; [unrolled: 1-line block ×16, first 2 shown]
	s_waitcnt lgkmcnt(0)
	v_add_f64 v[162:163], v[2:3], v[31:32]
	v_add_f64 v[160:161], v[0:1], v[29:30]
	;; [unrolled: 1-line block ×16, first 2 shown]
	ds_load_b128 v[16:19], v25 offset:17920
	ds_load_b128 v[29:32], v25 offset:18176
	scratch_load_b64 v[186:187], off, off offset:96 ; 8-byte Folded Reload
	v_cvt_f32_f64_e32 v23, v[23:24]
	v_cvt_f32_f64_e32 v6, v[6:7]
	;; [unrolled: 1-line block ×7, first 2 shown]
	s_waitcnt lgkmcnt(1)
	v_add_f64 v[113:114], v[2:3], v[18:19]
	v_add_f64 v[87:88], v[109:110], v[18:19]
	;; [unrolled: 1-line block ×8, first 2 shown]
	s_waitcnt lgkmcnt(0)
	v_add_f64 v[2:3], v[2:3], v[31:32]
	v_add_f64 v[109:110], v[109:110], v[31:32]
	;; [unrolled: 1-line block ×8, first 2 shown]
	v_mov_b32_e32 v55, v27
	v_add_f64 v[206:207], v[0:1], v[16:17]
	v_add_f64 v[89:90], v[107:108], v[16:17]
	;; [unrolled: 1-line block ×16, first 2 shown]
	v_min3_f32 v194, v8, v6, v194
	v_cvt_f32_f64_e32 v6, v[12:13]
	v_mov_b32_e32 v56, v143
	v_mov_b32_e32 v54, v141
	v_min3_f32 v195, v23, v24, v195
	s_delay_alu instid0(VALU_DEP_3)
	v_min3_f32 v56, v4, v5, v56
	v_cvt_f32_f64_e32 v4, v[65:66]
	v_cvt_f32_f64_e32 v5, v[75:76]
	v_cvt_f32_f64_e32 v0, v[0:1]
	v_cvt_f32_f64_e32 v1, v[2:3]
	v_min3_f32 v191, v6, v7, v191
	v_cvt_f32_f64_e32 v6, v[144:145]
	v_cvt_f32_f64_e32 v7, v[14:15]
	v_min3_f32 v133, v4, v5, v133
	v_cvt_f32_f64_e32 v4, v[20:21]
	v_cvt_f32_f64_e32 v5, v[115:116]
	;; [unrolled: 3-line block ×3, first 2 shown]
	v_min3_f32 v190, v6, v7, v190
	s_clause 0x1
	scratch_load_b32 v7, off, off offset:4
	scratch_load_b32 v6, off, off
	v_min3_f32 v142, v4, v5, v142
	v_cvt_f32_f64_e32 v4, v[81:82]
	v_cvt_f32_f64_e32 v5, v[57:58]
	s_delay_alu instid0(VALU_DEP_1)
	v_min3_f32 v54, v4, v5, v54
	v_cvt_f32_f64_e32 v4, v[160:161]
	v_cvt_f32_f64_e32 v5, v[162:163]
	s_waitcnt vmcnt(2)
	v_cvt_f32_f64_e32 v27, v[186:187]
	scratch_load_b64 v[186:187], off, off offset:104 ; 8-byte Folded Reload
	s_waitcnt vmcnt(1)
	v_min3_f32 v6, v0, v1, v6
	v_cvt_f32_f64_e32 v0, v[33:34]
	v_cvt_f32_f64_e32 v1, v[35:36]
	scratch_store_b32 off, v6, off          ; 4-byte Folded Spill
	v_min3_f32 v128, v0, v1, v128
	v_cvt_f32_f64_e32 v0, v[37:38]
	scratch_load_b32 v37, off, off offset:296 ; 4-byte Folded Reload
	v_cvt_f32_f64_e32 v1, v[39:40]
	s_delay_alu instid0(VALU_DEP_1) | instskip(SKIP_2) | instid1(VALU_DEP_1)
	v_min3_f32 v130, v0, v1, v130
	v_cvt_f32_f64_e32 v0, v[41:42]
	v_cvt_f32_f64_e32 v1, v[43:44]
	v_min3_f32 v126, v0, v1, v126
	v_cvt_f32_f64_e32 v0, v[45:46]
	v_cvt_f32_f64_e32 v1, v[47:48]
	s_delay_alu instid0(VALU_DEP_1)
	v_min3_f32 v124, v0, v1, v124
	v_cvt_f32_f64_e32 v0, v[49:50]
	v_cvt_f32_f64_e32 v1, v[51:52]
	s_waitcnt vmcnt(1)
	v_cvt_f32_f64_e32 v53, v[186:187]
	scratch_load_b64 v[186:187], off, off offset:64 ; 8-byte Folded Reload
	v_min3_f32 v120, v0, v1, v120
	v_cvt_f32_f64_e32 v0, v[29:30]
	v_cvt_f32_f64_e32 v1, v[31:32]
	v_min3_f32 v209, v27, v53, v209
	s_delay_alu instid0(VALU_DEP_2)
	v_min3_f32 v122, v0, v1, v122
	s_waitcnt vmcnt(0)
	v_cvt_f32_f64_e32 v27, v[186:187]
	scratch_load_b64 v[186:187], off, off offset:8 ; 8-byte Folded Reload
	s_waitcnt vmcnt(0)
	v_cvt_f32_f64_e32 v53, v[186:187]
	scratch_load_b64 v[186:187], off, off offset:112 ; 8-byte Folded Reload
	v_min3_f32 v119, v27, v53, v119
	s_waitcnt vmcnt(0)
	v_cvt_f32_f64_e32 v27, v[186:187]
	scratch_load_b64 v[186:187], off, off offset:40 ; 8-byte Folded Reload
	s_waitcnt vmcnt(0)
	v_cvt_f32_f64_e32 v53, v[186:187]
	scratch_load_b64 v[186:187], off, off offset:72 ; 8-byte Folded Reload
	;; [unrolled: 7-line block ×14, first 2 shown]
	v_min3_f32 v216, v27, v53, v216
	s_waitcnt vmcnt(0)
	v_cvt_f32_f64_e32 v27, v[186:187]
	scratch_load_b64 v[186:187], off, off offset:248 ; 8-byte Folded Reload
	s_waitcnt vmcnt(0)
	v_cvt_f32_f64_e32 v53, v[186:187]
	s_delay_alu instid0(VALU_DEP_1) | instskip(SKIP_3) | instid1(VALU_DEP_1)
	v_min3_f32 v215, v27, v53, v215
	v_cvt_f32_f64_e32 v27, v[164:165]
	scratch_load_b64 v[164:165], off, off offset:280 ; 8-byte Folded Reload
	v_cvt_f32_f64_e32 v53, v[168:169]
	v_min3_f32 v214, v27, v53, v214
	v_cvt_f32_f64_e32 v27, v[166:167]
	v_cvt_f32_f64_e32 v53, v[176:177]
	s_delay_alu instid0(VALU_DEP_1) | instskip(SKIP_2) | instid1(VALU_DEP_1)
	v_min3_f32 v213, v27, v53, v213
	v_cvt_f32_f64_e32 v27, v[170:171]
	v_cvt_f32_f64_e32 v53, v[180:181]
	v_min3_f32 v211, v27, v53, v211
	v_cvt_f32_f64_e32 v27, v[172:173]
	v_cvt_f32_f64_e32 v53, v[184:185]
	s_delay_alu instid0(VALU_DEP_1) | instskip(SKIP_2) | instid1(VALU_DEP_1)
	v_min3_f32 v210, v27, v53, v210
	v_cvt_f32_f64_e32 v27, v[178:179]
	v_cvt_f32_f64_e32 v53, v[188:189]
	v_min3_f32 v77, v27, v53, v77
	v_cvt_f32_f64_e32 v27, v[182:183]
	s_waitcnt vmcnt(0)
	v_cvt_f32_f64_e32 v53, v[164:165]
	scratch_load_b64 v[164:165], off, off offset:300 ; 8-byte Folded Reload
	v_min3_f32 v28, v27, v53, v28
	s_waitcnt vmcnt(0)
	v_cvt_f32_f64_e32 v27, v[164:165]
	scratch_load_b64 v[164:165], off, off offset:272 ; 8-byte Folded Reload
	s_waitcnt vmcnt(0)
	v_cvt_f32_f64_e32 v53, v[164:165]
	scratch_load_b64 v[164:165], off, off offset:288 ; 8-byte Folded Reload
	v_min3_f32 v123, v27, v53, v123
	s_waitcnt vmcnt(0)
	v_cvt_f32_f64_e32 v27, v[164:165]
	scratch_load_b64 v[164:165], off, off offset:264 ; 8-byte Folded Reload
	s_waitcnt vmcnt(0)
	v_cvt_f32_f64_e32 v53, v[164:165]
	s_delay_alu instid0(VALU_DEP_1) | instskip(SKIP_2) | instid1(VALU_DEP_1)
	v_min3_f32 v205, v27, v53, v205
	v_cvt_f32_f64_e32 v27, v[224:225]
	v_cvt_f32_f64_e32 v53, v[174:175]
	v_min3_f32 v203, v27, v53, v203
	v_cvt_f32_f64_e32 v27, v[228:229]
	v_cvt_f32_f64_e32 v53, v[226:227]
	s_delay_alu instid0(VALU_DEP_1) | instskip(SKIP_2) | instid1(VALU_DEP_1)
	v_min3_f32 v202, v27, v53, v202
	v_cvt_f32_f64_e32 v27, v[232:233]
	v_cvt_f32_f64_e32 v53, v[230:231]
	v_min3_f32 v201, v27, v53, v201
	v_cvt_f32_f64_e32 v27, v[236:237]
	;; [unrolled: 7-line block ×4, first 2 shown]
	v_cvt_f32_f64_e32 v53, v[250:251]
	s_delay_alu instid0(VALU_DEP_1) | instskip(SKIP_1) | instid1(VALU_DEP_1)
	v_min3_f32 v196, v27, v53, v196
	v_mov_b32_e32 v53, v140
	v_min3_f32 v53, v4, v5, v53
	v_cvt_f32_f64_e32 v4, v[156:157]
	v_cvt_f32_f64_e32 v5, v[158:159]
	s_delay_alu instid0(VALU_DEP_1) | instskip(SKIP_2) | instid1(VALU_DEP_1)
	v_min3_f32 v132, v4, v5, v132
	v_cvt_f32_f64_e32 v4, v[152:153]
	v_cvt_f32_f64_e32 v5, v[154:155]
	v_min3_f32 v55, v4, v5, v55
	v_cvt_f32_f64_e32 v4, v[148:149]
	v_cvt_f32_f64_e32 v5, v[150:151]
	s_delay_alu instid0(VALU_DEP_1) | instskip(SKIP_2) | instid1(VALU_DEP_1)
	v_min3_f32 v235, v4, v5, v235
	v_cvt_f32_f64_e32 v4, v[73:74]
	v_cvt_f32_f64_e32 v5, v[61:62]
	;; [unrolled: 7-line block ×6, first 2 shown]
	v_min3_f32 v7, v4, v5, v7
	v_cvt_f32_f64_e32 v4, v[99:100]
	v_cvt_f32_f64_e32 v5, v[222:223]
	scratch_store_b32 off, v7, off offset:4 ; 4-byte Folded Spill
	v_min3_f32 v139, v4, v5, v139
	v_cvt_f32_f64_e32 v4, v[103:104]
	v_cvt_f32_f64_e32 v5, v[105:106]
	s_delay_alu instid0(VALU_DEP_1) | instskip(SKIP_2) | instid1(VALU_DEP_1)
	v_min3_f32 v136, v4, v5, v136
	v_cvt_f32_f64_e32 v4, v[16:17]
	v_cvt_f32_f64_e32 v5, v[18:19]
	v_min3_f32 v138, v4, v5, v138
	s_cbranch_vccz .LBB109_29
; %bb.30:
	scratch_load_b32 v1, off, off offset:308 ; 4-byte Folded Reload
	v_dual_mov_b32 v87, v77 :: v_dual_lshlrev_b32 v0, 5, v22
	v_dual_mov_b32 v99, v219 :: v_dual_mov_b32 v64, v214
	v_dual_mov_b32 v103, v217 :: v_dual_mov_b32 v84, v210
	;; [unrolled: 1-line block ×5, first 2 shown]
	v_mov_b32_e32 v63, v203
	v_mov_b32_e32 v73, v202
	v_mov_b32_e32 v77, v199
	v_mov_b32_e32 v71, v198
	v_mov_b32_e32 v69, v196
	v_mov_b32_e32 v59, v190
	s_mov_b32 s7, 8
	s_cmp_gt_i32 s18, 8
	s_waitcnt vmcnt(0)
	v_lshl_add_u32 v0, v1, 3, v0
	scratch_load_b64 v[1:2], off, off offset:344 ; 8-byte Folded Reload
	s_waitcnt vmcnt(0)
	ds_store_b64 v78, v[1:2] offset:18432
	s_clause 0x1
	scratch_load_b64 v[1:2], off, off offset:312
	scratch_load_b64 v[3:4], off, off offset:320
	s_waitcnt vmcnt(0)
	ds_store_2addr_stride64_b64 v0, v[1:2], v[3:4] offset0:16 offset1:20
	s_clause 0x1
	scratch_load_b64 v[1:2], off, off offset:328
	scratch_load_b64 v[3:4], off, off offset:336
	s_waitcnt vmcnt(0)
	ds_store_2addr_stride64_b64 v0, v[1:2], v[3:4] offset0:24 offset1:28
	s_waitcnt lgkmcnt(0)
	s_waitcnt_vscnt null, 0x0
	s_barrier
	buffer_gl0_inv
	scratch_store_b32 off, v220, off offset:8 ; 4-byte Folded Spill
	s_cbranch_scc0 .LBB109_58
; %bb.31:
	v_mad_i64_i32 v[1:2], null, v221, s29, 0
	v_dual_mov_b32 v7, 0 :: v_dual_add_nc_u32 v0, 0x2000, v0
	s_mov_b32 s8, -1
	s_mov_b32 s9, 0x7fefffff
	scratch_store_b32 off, v0, off offset:372 ; 4-byte Folded Spill
	v_lshlrev_b64 v[1:2], 3, v[1:2]
	v_add_nc_u32_e32 v0, 0x4800, v78
	scratch_store_b32 off, v0, off offset:376 ; 4-byte Folded Spill
	v_add_co_u32 v0, vcc_lo, s24, v1
	v_add_co_ci_u32_e32 v1, vcc_lo, s25, v2, vcc_lo
	scratch_load_b64 v[2:3], off, off offset:352 ; 8-byte Folded Reload
	scratch_store_b32 off, v0, off offset:380 ; 4-byte Folded Spill
	v_add_co_u32 v0, vcc_lo, v0, 32
	s_add_i32 s24, s18, -8
	s_clause 0x1
	scratch_store_b32 off, v0, off offset:388
	scratch_store_b32 off, v1, off offset:384
	v_add_co_ci_u32_e32 v0, vcc_lo, 0, v1, vcc_lo
	s_mov_b32 s25, 0
	s_waitcnt vmcnt(0)
	v_lshlrev_b64 v[5:6], 3, v[2:3]
	s_clause 0x1
	scratch_store_b32 off, v0, off offset:392
	scratch_store_b64 off, v[5:6], off offset:312
.LBB109_32:                             ; =>This Loop Header: Depth=1
                                        ;     Child Loop BB109_43 Depth 2
                                        ;     Child Loop BB109_55 Depth 2
	scratch_load_b32 v0, off, off offset:308 ; 4-byte Folded Reload
	v_dual_mov_b32 v8, s8 :: v_dual_mov_b32 v9, s9
	s_waitcnt vmcnt(0)
	v_add_nc_u32_e32 v4, s7, v0
	s_delay_alu instid0(VALU_DEP_1) | instskip(NEXT) | instid1(VALU_DEP_1)
	v_mad_u64_u32 v[0:1], null, v4, s26, 0
	v_mad_u64_u32 v[2:3], null, v4, s27, v[1:2]
	s_delay_alu instid0(VALU_DEP_1) | instskip(SKIP_1) | instid1(VALU_DEP_2)
	v_mov_b32_e32 v1, v2
	v_cmp_le_i32_e32 vcc_lo, s18, v4
	v_lshlrev_b64 v[0:1], 3, v[0:1]
	s_delay_alu instid0(VALU_DEP_1) | instskip(NEXT) | instid1(VALU_DEP_1)
	v_add_co_u32 v0, s6, s22, v0
	v_add_co_ci_u32_e64 v1, s6, s23, v1, s6
	s_or_b32 s6, s2, vcc_lo
	s_delay_alu instid0(SALU_CYCLE_1) | instskip(SKIP_4) | instid1(SALU_CYCLE_1)
	s_xor_b32 s6, s6, -1
	s_mov_b32 s29, exec_lo
	v_mov_b32_e32 v41, v103
	v_mov_b32_e32 v43, v99
	s_and_b32 s6, s29, s6
	s_mov_b32 exec_lo, s6
	s_cbranch_execz .LBB109_34
; %bb.33:                               ;   in Loop: Header=BB109_32 Depth=1
	v_add_co_u32 v2, s6, v0, v5
	s_delay_alu instid0(VALU_DEP_1)
	v_add_co_ci_u32_e64 v3, s6, v1, v6, s6
	flat_load_b64 v[8:9], v[2:3]
.LBB109_34:                             ;   in Loop: Header=BB109_32 Depth=1
	s_or_b32 exec_lo, exec_lo, s29
	v_dual_mov_b32 v11, s9 :: v_dual_mov_b32 v10, s8
	s_or_b32 s6, s3, vcc_lo
	s_delay_alu instid0(SALU_CYCLE_1) | instskip(NEXT) | instid1(SALU_CYCLE_1)
	s_xor_b32 s6, s6, -1
	s_and_saveexec_b32 s29, s6
	s_cbranch_execz .LBB109_36
; %bb.35:                               ;   in Loop: Header=BB109_32 Depth=1
	v_add_co_u32 v2, s6, v0, v5
	s_delay_alu instid0(VALU_DEP_1)
	v_add_co_ci_u32_e64 v3, s6, v1, v6, s6
	flat_load_b64 v[10:11], v[2:3] offset:512
.LBB109_36:                             ;   in Loop: Header=BB109_32 Depth=1
	s_or_b32 exec_lo, exec_lo, s29
	v_dual_mov_b32 v2, s8 :: v_dual_mov_b32 v3, s9
	s_or_b32 s6, s4, vcc_lo
	s_delay_alu instid0(SALU_CYCLE_1) | instskip(NEXT) | instid1(SALU_CYCLE_1)
	s_xor_b32 s6, s6, -1
	s_and_saveexec_b32 s29, s6
	s_cbranch_execz .LBB109_38
; %bb.37:                               ;   in Loop: Header=BB109_32 Depth=1
	v_add_co_u32 v2, s6, v0, v5
	s_delay_alu instid0(VALU_DEP_1)
	v_add_co_ci_u32_e64 v3, s6, v1, v6, s6
	flat_load_b64 v[2:3], v[2:3] offset:1024
.LBB109_38:                             ;   in Loop: Header=BB109_32 Depth=1
	s_or_b32 exec_lo, exec_lo, s29
	s_waitcnt vmcnt(0) lgkmcnt(0)
	s_clause 0x1
	scratch_store_b64 off, v[10:11], off offset:328
	scratch_store_b64 off, v[8:9], off offset:320
	v_dual_mov_b32 v8, s8 :: v_dual_mov_b32 v9, s9
	s_or_b32 s6, s5, vcc_lo
	s_delay_alu instid0(SALU_CYCLE_1) | instskip(NEXT) | instid1(SALU_CYCLE_1)
	s_xor_b32 s29, s6, -1
	s_and_saveexec_b32 s6, s29
	s_cbranch_execz .LBB109_40
; %bb.39:                               ;   in Loop: Header=BB109_32 Depth=1
	v_add_co_u32 v0, vcc_lo, v0, v5
	v_add_co_ci_u32_e32 v1, vcc_lo, v1, v6, vcc_lo
	flat_load_b64 v[8:9], v[0:1] offset:1536
.LBB109_40:                             ;   in Loop: Header=BB109_32 Depth=1
	s_or_b32 exec_lo, exec_lo, s6
	scratch_load_b32 v0, off, off offset:360 ; 4-byte Folded Reload
	v_mov_b32_e32 v36, v238
	v_mov_b32_e32 v42, v218
	v_dual_mov_b32 v40, v216 :: v_dual_mov_b32 v133, v142
	v_mov_b32_e32 v74, v212
	v_mov_b32_e32 v200, v76
	scratch_store_b64 off, v[2:3], off offset:336 ; 8-byte Folded Spill
	s_waitcnt vmcnt(0)
	v_or_b32_e32 v6, s7, v0
	v_dual_mov_b32 v0, s8 :: v_dual_mov_b32 v1, s9
	s_delay_alu instid0(VALU_DEP_2) | instskip(SKIP_1) | instid1(SALU_CYCLE_1)
	v_cmp_gt_i32_e32 vcc_lo, s18, v6
	s_and_b32 s29, vcc_lo, s28
	s_and_saveexec_b32 s6, s29
	s_cbranch_execz .LBB109_42
; %bb.41:                               ;   in Loop: Header=BB109_32 Depth=1
	scratch_load_b32 v2, off, off offset:380 ; 4-byte Folded Reload
	v_lshlrev_b64 v[0:1], 3, v[6:7]
	s_waitcnt vmcnt(0)
	s_delay_alu instid0(VALU_DEP_1)
	v_add_co_u32 v0, vcc_lo, v2, v0
	scratch_load_b32 v2, off, off offset:384 ; 4-byte Folded Reload
	s_waitcnt vmcnt(0)
	v_add_co_ci_u32_e32 v1, vcc_lo, v2, v1, vcc_lo
	flat_load_b64 v[0:1], v[0:1]
.LBB109_42:                             ;   in Loop: Header=BB109_32 Depth=1
	s_or_b32 exec_lo, exec_lo, s6
	v_dual_mov_b32 v238, v44 :: v_dual_mov_b32 v51, v59
	v_dual_mov_b32 v239, v56 :: v_dual_mov_b32 v52, v50
	v_mov_b32_e32 v70, v77
	v_mov_b32_e32 v72, v63
	s_mov_b32 s29, 0
	s_mov_b32 s6, -1
	s_waitcnt vmcnt(0) lgkmcnt(0)
	s_clause 0x2
	scratch_store_b64 off, v[0:1], off offset:352
	scratch_store_b64 off, v[8:9], off offset:344
	;; [unrolled: 1-line block ×3, first 2 shown]
.LBB109_43:                             ;   Parent Loop BB109_32 Depth=1
                                        ; =>  This Inner Loop Header: Depth=2
	s_lshl_b32 s29, s29, 3
	v_dual_mov_b32 v148, v192 :: v_dual_mov_b32 v151, v193
	v_lshl_add_u32 v29, v220, 5, s29
	v_lshl_add_u32 v4, v37, 5, s29
	v_mov_b32_e32 v68, v197
	s_mov_b32 s29, 2
	ds_load_b128 v[46:49], v29 offset:18432
	ds_load_b128 v[0:3], v4 offset:8192
	;; [unrolled: 1-line block ×4, first 2 shown]
	s_and_not1_b32 vcc_lo, exec_lo, s6
	s_mov_b32 s6, 0
	s_waitcnt lgkmcnt(2)
	v_add_f64 v[66:67], v[2:3], v[48:49]
	s_waitcnt lgkmcnt(1)
	v_add_f64 v[5:6], v[156:157], v[48:49]
	v_add_f64 v[144:145], v[0:1], v[46:47]
	s_delay_alu instid0(VALU_DEP_3)
	v_cvt_f32_f64_e32 v66, v[66:67]
	scratch_store_b64 off, v[5:6], off offset:16 ; 8-byte Folded Spill
	v_add_f64 v[5:6], v[154:155], v[46:47]
	scratch_store_b64 off, v[5:6], off offset:72 ; 8-byte Folded Spill
	ds_load_b128 v[162:165], v4 offset:10240
	ds_load_b128 v[166:169], v4 offset:11264
	s_waitcnt lgkmcnt(1)
	v_add_f64 v[5:6], v[164:165], v[48:49]
	scratch_store_b64 off, v[5:6], off offset:48 ; 8-byte Folded Spill
	v_add_f64 v[5:6], v[162:163], v[46:47]
	scratch_store_b64 off, v[5:6], off offset:104 ; 8-byte Folded Spill
	s_waitcnt lgkmcnt(0)
	v_add_f64 v[5:6], v[168:169], v[48:49]
	scratch_store_b64 off, v[5:6], off offset:24 ; 8-byte Folded Spill
	v_add_f64 v[5:6], v[166:167], v[46:47]
	scratch_store_b64 off, v[5:6], off offset:80 ; 8-byte Folded Spill
	ds_load_b128 v[170:173], v4 offset:12288
	ds_load_b128 v[174:177], v4 offset:13312
	s_waitcnt lgkmcnt(1)
	v_add_f64 v[5:6], v[172:173], v[48:49]
	scratch_store_b64 off, v[5:6], off offset:56 ; 8-byte Folded Spill
	v_add_f64 v[5:6], v[170:171], v[46:47]
	scratch_store_b64 off, v[5:6], off offset:112 ; 8-byte Folded Spill
	s_waitcnt lgkmcnt(0)
	v_add_f64 v[5:6], v[176:177], v[48:49]
	;; [unrolled: 12-line block ×3, first 2 shown]
	v_add_f64 v[49:50], v[162:163], v[158:159]
	scratch_store_b64 off, v[4:5], off offset:40 ; 8-byte Folded Spill
	v_add_f64 v[4:5], v[182:183], v[46:47]
	scratch_store_b64 off, v[4:5], off offset:96 ; 8-byte Folded Spill
	;; [unrolled: 2-line block ×17, first 2 shown]
	ds_load_b128 v[158:161], v29 offset:18944
	ds_load_b128 v[186:189], v29 offset:19200
	s_waitcnt lgkmcnt(1)
	v_add_f64 v[4:5], v[172:173], v[160:161]
	v_add_f64 v[146:147], v[2:3], v[160:161]
	;; [unrolled: 1-line block ×11, first 2 shown]
	s_waitcnt lgkmcnt(0)
	v_add_f64 v[222:223], v[2:3], v[188:189]
	v_add_f64 v[224:225], v[0:1], v[186:187]
	v_add_f64 v[226:227], v[156:157], v[188:189]
	v_add_f64 v[228:229], v[154:155], v[186:187]
	v_add_f64 v[230:231], v[164:165], v[188:189]
	v_add_f64 v[232:233], v[162:163], v[186:187]
	v_add_f64 v[80:81], v[168:169], v[188:189]
	v_add_f64 v[236:237], v[166:167], v[186:187]
	v_add_f64 v[30:31], v[172:173], v[188:189]
	v_add_f64 v[240:241], v[170:171], v[186:187]
	v_add_f64 v[242:243], v[176:177], v[188:189]
	v_add_f64 v[244:245], v[174:175], v[186:187]
	v_add_f64 v[246:247], v[180:181], v[188:189]
	v_add_f64 v[248:249], v[178:179], v[186:187]
	v_add_f64 v[250:251], v[184:185], v[188:189]
	v_add_f64 v[252:253], v[182:183], v[186:187]
	scratch_store_b64 off, v[4:5], off offset:280 ; 8-byte Folded Spill
	v_add_f64 v[4:5], v[176:177], v[160:161]
	scratch_store_b64 off, v[4:5], off offset:264 ; 8-byte Folded Spill
	v_add_f64 v[4:5], v[180:181], v[160:161]
	;; [unrolled: 2-line block ×5, first 2 shown]
	scratch_store_b64 off, v[4:5], off offset:272 ; 8-byte Folded Spill
	ds_load_b128 v[158:161], v29 offset:19456
	ds_load_b128 v[186:189], v29 offset:19712
	s_waitcnt lgkmcnt(1)
	v_add_f64 v[254:255], v[2:3], v[160:161]
	v_add_f64 v[152:153], v[0:1], v[158:159]
	;; [unrolled: 1-line block ×16, first 2 shown]
	s_waitcnt lgkmcnt(0)
	v_add_f64 v[88:89], v[2:3], v[188:189]
	v_add_f64 v[90:91], v[0:1], v[186:187]
	;; [unrolled: 1-line block ×16, first 2 shown]
	ds_load_b128 v[158:161], v29 offset:19968
	ds_load_b128 v[186:189], v29 offset:20224
	v_cvt_f32_f64_e32 v29, v[144:145]
	v_cvt_f32_f64_e32 v4, v[4:5]
	;; [unrolled: 1-line block ×3, first 2 shown]
	s_waitcnt lgkmcnt(1)
	v_add_f64 v[104:105], v[2:3], v[160:161]
	v_add_f64 v[106:107], v[0:1], v[158:159]
	;; [unrolled: 1-line block ×9, first 2 shown]
	s_waitcnt lgkmcnt(0)
	v_add_f64 v[2:3], v[2:3], v[188:189]
	v_add_f64 v[0:1], v[0:1], v[186:187]
	v_add_f64 v[156:157], v[156:157], v[188:189]
	v_add_f64 v[154:155], v[154:155], v[186:187]
	v_add_f64 v[164:165], v[164:165], v[188:189]
	v_add_f64 v[162:163], v[162:163], v[186:187]
	v_add_f64 v[168:169], v[168:169], v[188:189]
	v_add_f64 v[166:167], v[166:167], v[186:187]
	v_add_f64 v[206:207], v[170:171], v[158:159]
	v_add_f64 v[172:173], v[172:173], v[188:189]
	v_add_f64 v[170:171], v[170:171], v[186:187]
	v_min3_f32 v209, v29, v66, v209
	scratch_load_b64 v[66:67], off, off offset:72 ; 8-byte Folded Reload
	v_add_f64 v[216:217], v[176:177], v[160:161]
	v_add_f64 v[202:203], v[174:175], v[158:159]
	;; [unrolled: 1-line block ×7, first 2 shown]
	v_min3_f32 v194, v4, v5, v194
	v_cvt_f32_f64_e32 v4, v[8:9]
	v_cvt_f32_f64_e32 v5, v[6:7]
	v_add_f64 v[178:179], v[178:179], v[186:187]
	v_add_f64 v[160:161], v[184:185], v[160:161]
	v_add_f64 v[158:159], v[182:183], v[158:159]
	v_add_f64 v[184:185], v[184:185], v[188:189]
	v_add_f64 v[182:183], v[182:183], v[186:187]
	v_cvt_f32_f64_e32 v0, v[0:1]
	v_cvt_f32_f64_e32 v1, v[2:3]
	v_min3_f32 v52, v4, v5, v52
	v_cvt_f32_f64_e32 v4, v[12:13]
	v_cvt_f32_f64_e32 v5, v[10:11]
	s_delay_alu instid0(VALU_DEP_4) | instskip(SKIP_2) | instid1(VALU_DEP_4)
	v_min3_f32 v134, v0, v1, v134
	v_cvt_f32_f64_e32 v0, v[154:155]
	v_cvt_f32_f64_e32 v1, v[156:157]
	v_min3_f32 v51, v4, v5, v51
	v_cvt_f32_f64_e32 v4, v[16:17]
	v_cvt_f32_f64_e32 v5, v[14:15]
	s_delay_alu instid0(VALU_DEP_1) | instskip(SKIP_3) | instid1(VALU_DEP_2)
	v_min3_f32 v239, v4, v5, v239
	v_cvt_f32_f64_e32 v4, v[78:79]
	v_cvt_f32_f64_e32 v5, v[192:193]
	v_dual_mov_b32 v193, v151 :: v_dual_mov_b32 v192, v148
	v_min3_f32 v238, v4, v5, v238
	v_cvt_f32_f64_e32 v4, v[82:83]
	v_cvt_f32_f64_e32 v5, v[140:141]
	s_delay_alu instid0(VALU_DEP_1) | instskip(SKIP_2) | instid1(VALU_DEP_1)
	v_min3_f32 v133, v4, v5, v133
	v_cvt_f32_f64_e32 v4, v[26:27]
	v_cvt_f32_f64_e32 v5, v[142:143]
	v_min3_f32 v54, v4, v5, v54
	v_cvt_f32_f64_e32 v4, v[90:91]
	v_cvt_f32_f64_e32 v5, v[88:89]
	s_delay_alu instid0(VALU_DEP_1)
	v_min3_f32 v53, v4, v5, v53
	v_cvt_f32_f64_e32 v4, v[24:25]
	v_cvt_f32_f64_e32 v5, v[92:93]
	s_waitcnt vmcnt(0)
	v_cvt_f32_f64_e32 v29, v[66:67]
	scratch_load_b64 v[66:67], off, off offset:16 ; 8-byte Folded Reload
	v_min3_f32 v132, v4, v5, v132
	v_cvt_f32_f64_e32 v4, v[22:23]
	v_cvt_f32_f64_e32 v5, v[94:95]
	s_delay_alu instid0(VALU_DEP_1) | instskip(SKIP_2) | instid1(VALU_DEP_1)
	v_min3_f32 v55, v4, v5, v55
	v_cvt_f32_f64_e32 v4, v[56:57]
	v_cvt_f32_f64_e32 v5, v[96:97]
	v_min3_f32 v235, v4, v5, v235
	v_cvt_f32_f64_e32 v4, v[60:61]
	v_cvt_f32_f64_e32 v5, v[58:59]
	s_delay_alu instid0(VALU_DEP_1) | instskip(SKIP_2) | instid1(VALU_DEP_1)
	v_min3_f32 v193, v4, v5, v193
	v_cvt_f32_f64_e32 v4, v[98:99]
	v_cvt_f32_f64_e32 v5, v[62:63]
	;; [unrolled: 7-line block ×3, first 2 shown]
	v_min3_f32 v36, v4, v5, v36
	v_cvt_f32_f64_e32 v4, v[106:107]
	v_cvt_f32_f64_e32 v5, v[104:105]
	s_delay_alu instid0(VALU_DEP_1) | instskip(SKIP_4) | instid1(VALU_DEP_2)
	v_min3_f32 v85, v4, v5, v85
	v_cvt_f32_f64_e32 v4, v[110:111]
	v_cvt_f32_f64_e32 v5, v[108:109]
	s_waitcnt vmcnt(0)
	v_cvt_f32_f64_e32 v66, v[66:67]
	v_min3_f32 v208, v4, v5, v208
	v_cvt_f32_f64_e32 v4, v[214:215]
	v_cvt_f32_f64_e32 v5, v[218:219]
	s_delay_alu instid0(VALU_DEP_4) | instskip(SKIP_4) | instid1(VALU_DEP_1)
	v_min3_f32 v119, v29, v66, v119
	scratch_load_b64 v[66:67], off, off offset:104 ; 8-byte Folded Reload
	v_min3_f32 v118, v4, v5, v118
	v_cvt_f32_f64_e32 v4, v[210:211]
	v_cvt_f32_f64_e32 v5, v[112:113]
	v_min3_f32 v204, v4, v5, v204
	v_cvt_f32_f64_e32 v5, v[220:221]
	v_cvt_f32_f64_e32 v4, v[206:207]
	s_waitcnt vmcnt(0)
	v_cvt_f32_f64_e32 v29, v[66:67]
	scratch_load_b64 v[66:67], off, off offset:48 ; 8-byte Folded Reload
	s_waitcnt vmcnt(0)
	v_cvt_f32_f64_e32 v66, v[66:67]
	s_delay_alu instid0(VALU_DEP_1)
	v_min3_f32 v234, v29, v66, v234
	scratch_load_b64 v[66:67], off, off offset:80 ; 8-byte Folded Reload
	s_waitcnt vmcnt(0)
	v_cvt_f32_f64_e32 v29, v[66:67]
	scratch_load_b64 v[66:67], off, off offset:24 ; 8-byte Folded Reload
	s_waitcnt vmcnt(0)
	v_cvt_f32_f64_e32 v66, v[66:67]
	s_delay_alu instid0(VALU_DEP_1)
	v_min3_f32 v135, v29, v66, v135
	scratch_load_b64 v[66:67], off, off offset:112 ; 8-byte Folded Reload
	;; [unrolled: 8-line block ×7, first 2 shown]
	s_waitcnt vmcnt(0)
	v_cvt_f32_f64_e32 v29, v[66:67]
	scratch_load_b64 v[66:67], off, off offset:144 ; 8-byte Folded Reload
	s_waitcnt vmcnt(0)
	v_cvt_f32_f64_e32 v66, v[66:67]
	s_delay_alu instid0(VALU_DEP_1) | instskip(SKIP_4) | instid1(VALU_DEP_1)
	v_min3_f32 v125, v29, v66, v125
	v_cvt_f32_f64_e32 v29, v[49:50]
	scratch_load_b64 v[49:50], off, off offset:160 ; 8-byte Folded Reload
	s_waitcnt vmcnt(0)
	v_cvt_f32_f64_e32 v50, v[49:50]
	v_min3_f32 v86, v29, v50, v86
	scratch_load_b64 v[49:50], off, off offset:176 ; 8-byte Folded Reload
	s_waitcnt vmcnt(0)
	v_cvt_f32_f64_e32 v29, v[49:50]
	scratch_load_b64 v[49:50], off, off offset:168 ; 8-byte Folded Reload
	s_waitcnt vmcnt(0)
	v_cvt_f32_f64_e32 v46, v[49:50]
	scratch_load_b64 v[49:50], off, off offset:192 ; 8-byte Folded Reload
	v_min3_f32 v43, v29, v46, v43
	s_waitcnt vmcnt(0)
	v_cvt_f32_f64_e32 v29, v[49:50]
	scratch_load_b64 v[49:50], off, off offset:184 ; 8-byte Folded Reload
	s_waitcnt vmcnt(0)
	v_cvt_f32_f64_e32 v46, v[49:50]
	scratch_load_b64 v[49:50], off, off offset:208 ; 8-byte Folded Reload
	v_min3_f32 v42, v29, v46, v42
	;; [unrolled: 7-line block ×4, first 2 shown]
	s_waitcnt vmcnt(0)
	v_cvt_f32_f64_e32 v29, v[49:50]
	scratch_load_b64 v[49:50], off, off offset:232 ; 8-byte Folded Reload
	s_waitcnt vmcnt(0)
	v_cvt_f32_f64_e32 v44, v[49:50]
	s_delay_alu instid0(VALU_DEP_1) | instskip(SKIP_2) | instid1(VALU_DEP_1)
	v_min3_f32 v65, v29, v44, v65
	v_cvt_f32_f64_e32 v29, v[114:115]
	v_cvt_f32_f64_e32 v44, v[146:147]
	v_min3_f32 v64, v29, v44, v64
	v_cvt_f32_f64_e32 v29, v[190:191]
	v_cvt_f32_f64_e32 v44, v[116:117]
	s_delay_alu instid0(VALU_DEP_1)
	v_min3_f32 v75, v29, v44, v75
	v_cvt_f32_f64_e32 v29, v[18:19]
	v_cvt_f32_f64_e32 v18, v[32:33]
	scratch_load_b64 v[32:33], off, off offset:280 ; 8-byte Folded Reload
	v_cvt_f32_f64_e32 v19, v[47:48]
	v_min3_f32 v45, v29, v18, v45
	v_cvt_f32_f64_e32 v18, v[196:197]
	v_mov_b32_e32 v197, v68
	s_delay_alu instid0(VALU_DEP_2)
	v_min3_f32 v84, v18, v19, v84
	v_cvt_f32_f64_e32 v18, v[34:35]
	s_waitcnt vmcnt(0)
	v_cvt_f32_f64_e32 v19, v[32:33]
	scratch_load_b64 v[32:33], off, off offset:264 ; 8-byte Folded Reload
	v_min3_f32 v87, v18, v19, v87
	v_cvt_f32_f64_e32 v18, v[38:39]
	s_waitcnt vmcnt(0)
	v_cvt_f32_f64_e32 v19, v[32:33]
	scratch_load_b64 v[32:33], off, off offset:256 ; 8-byte Folded Reload
	v_min3_f32 v28, v18, v19, v28
	scratch_load_b64 v[18:19], off, off offset:288 ; 8-byte Folded Reload
	s_waitcnt vmcnt(0)
	v_cvt_f32_f64_e32 v18, v[18:19]
	v_cvt_f32_f64_e32 v19, v[32:33]
	scratch_load_b64 v[32:33], off, off offset:248 ; 8-byte Folded Reload
	v_min3_f32 v123, v18, v19, v123
	s_clause 0x3
	scratch_load_b64 v[18:19], off, off offset:272
	scratch_load_b32 v220, off, off offset:8
	scratch_load_b32 v6, off, off offset:4
	scratch_load_b32 v2, off, off
	s_waitcnt vmcnt(3)
	v_cvt_f32_f64_e32 v18, v[18:19]
	v_cvt_f32_f64_e32 v19, v[32:33]
	s_waitcnt vmcnt(0)
	v_min3_f32 v2, v0, v1, v2
	v_cvt_f32_f64_e32 v0, v[162:163]
	v_cvt_f32_f64_e32 v1, v[164:165]
	v_min3_f32 v6, v4, v5, v6
	v_cvt_f32_f64_e32 v4, v[202:203]
	v_cvt_f32_f64_e32 v5, v[216:217]
	s_clause 0x1
	scratch_store_b32 off, v2, off
	scratch_store_b32 off, v6, off offset:4
	v_min3_f32 v205, v18, v19, v205
	v_cvt_f32_f64_e32 v18, v[224:225]
	v_cvt_f32_f64_e32 v19, v[222:223]
	v_min3_f32 v128, v0, v1, v128
	v_cvt_f32_f64_e32 v0, v[166:167]
	v_cvt_f32_f64_e32 v1, v[168:169]
	v_min3_f32 v139, v4, v5, v139
	v_cvt_f32_f64_e32 v4, v[198:199]
	v_cvt_f32_f64_e32 v5, v[212:213]
	v_min3_f32 v72, v18, v19, v72
	v_cvt_f32_f64_e32 v18, v[228:229]
	v_cvt_f32_f64_e32 v19, v[226:227]
	v_min3_f32 v130, v0, v1, v130
	v_cvt_f32_f64_e32 v0, v[170:171]
	v_cvt_f32_f64_e32 v1, v[172:173]
	v_min3_f32 v136, v4, v5, v136
	v_cvt_f32_f64_e32 v4, v[158:159]
	v_cvt_f32_f64_e32 v5, v[160:161]
	v_min3_f32 v73, v18, v19, v73
	v_cvt_f32_f64_e32 v18, v[232:233]
	v_cvt_f32_f64_e32 v19, v[230:231]
	v_min3_f32 v126, v0, v1, v126
	v_cvt_f32_f64_e32 v0, v[174:175]
	v_cvt_f32_f64_e32 v1, v[176:177]
	v_min3_f32 v138, v4, v5, v138
	v_min3_f32 v201, v18, v19, v201
	v_cvt_f32_f64_e32 v18, v[236:237]
	v_cvt_f32_f64_e32 v19, v[80:81]
	v_min3_f32 v124, v0, v1, v124
	v_cvt_f32_f64_e32 v0, v[178:179]
	v_cvt_f32_f64_e32 v1, v[180:181]
	s_delay_alu instid0(VALU_DEP_4) | instskip(SKIP_2) | instid1(VALU_DEP_4)
	v_min3_f32 v200, v18, v19, v200
	v_cvt_f32_f64_e32 v18, v[240:241]
	v_cvt_f32_f64_e32 v19, v[30:31]
	v_min3_f32 v120, v0, v1, v120
	v_cvt_f32_f64_e32 v0, v[182:183]
	v_cvt_f32_f64_e32 v1, v[184:185]
	s_delay_alu instid0(VALU_DEP_4) | instskip(SKIP_2) | instid1(VALU_DEP_4)
	v_min3_f32 v70, v18, v19, v70
	v_cvt_f32_f64_e32 v18, v[244:245]
	v_cvt_f32_f64_e32 v19, v[242:243]
	v_min3_f32 v122, v0, v1, v122
	s_delay_alu instid0(VALU_DEP_2) | instskip(SKIP_2) | instid1(VALU_DEP_1)
	v_min3_f32 v71, v18, v19, v71
	v_cvt_f32_f64_e32 v18, v[248:249]
	v_cvt_f32_f64_e32 v19, v[246:247]
	v_min3_f32 v197, v18, v19, v197
	v_cvt_f32_f64_e32 v18, v[252:253]
	v_cvt_f32_f64_e32 v19, v[250:251]
	s_delay_alu instid0(VALU_DEP_1) | instskip(SKIP_2) | instid1(VALU_DEP_1)
	v_min3_f32 v69, v18, v19, v69
	v_cvt_f32_f64_e32 v18, v[152:153]
	v_cvt_f32_f64_e32 v19, v[254:255]
	v_min3_f32 v195, v18, v19, v195
	s_cbranch_vccz .LBB109_43
; %bb.44:                               ;   in Loop: Header=BB109_32 Depth=1
	scratch_load_b32 v0, off, off offset:308 ; 4-byte Folded Reload
	v_dual_mov_b32 v63, v72 :: v_dual_mov_b32 v58, v239
	v_dual_mov_b32 v77, v70 :: v_dual_mov_b32 v50, v52
	;; [unrolled: 1-line block ×3, first 2 shown]
	s_waitcnt vmcnt(0)
	v_add3_u32 v4, v0, s7, 4
	s_delay_alu instid0(VALU_DEP_1) | instskip(SKIP_1) | instid1(VALU_DEP_2)
	v_mad_u64_u32 v[0:1], null, v4, s26, 0
	v_cmp_le_i32_e32 vcc_lo, s18, v4
	v_mad_u64_u32 v[2:3], null, v4, s27, v[1:2]
	s_delay_alu instid0(VALU_DEP_1)
	v_dual_mov_b32 v56, v133 :: v_dual_mov_b32 v1, v2
	s_clause 0x2
	scratch_load_b32 v2, off, off offset:364
	scratch_load_b64 v[5:6], off, off offset:320
	scratch_load_b64 v[7:8], off, off offset:328
	v_lshlrev_b64 v[0:1], 3, v[0:1]
	s_delay_alu instid0(VALU_DEP_1) | instskip(NEXT) | instid1(VALU_DEP_1)
	v_add_co_u32 v0, s6, s22, v0
	v_add_co_ci_u32_e64 v1, s6, s23, v1, s6
	s_or_b32 s6, s2, vcc_lo
	s_delay_alu instid0(SALU_CYCLE_1)
	s_xor_b32 s6, s6, -1
	s_waitcnt vmcnt(0)
	ds_store_2addr_stride64_b64 v2, v[5:6], v[7:8] offset1:4
	s_clause 0x1
	scratch_load_b64 v[5:6], off, off offset:336
	scratch_load_b64 v[7:8], off, off offset:344
	s_waitcnt vmcnt(0)
	ds_store_2addr_stride64_b64 v2, v[5:6], v[7:8] offset0:8 offset1:12
	s_clause 0x1
	scratch_load_b32 v2, off, off offset:368
	scratch_load_b64 v[5:6], off, off offset:352
	s_waitcnt vmcnt(0)
	ds_store_b64 v2, v[5:6]
	v_dual_mov_b32 v2, s8 :: v_dual_mov_b32 v3, s9
	s_waitcnt lgkmcnt(0)
	s_waitcnt_vscnt null, 0x0
	s_barrier
	buffer_gl0_inv
	s_mov_b32 s29, exec_lo
	scratch_load_b64 v[4:5], off, off offset:312 ; 8-byte Folded Reload
	s_and_b32 s6, s29, s6
	s_delay_alu instid0(SALU_CYCLE_1)
	s_mov_b32 exec_lo, s6
	s_cbranch_execz .LBB109_46
; %bb.45:                               ;   in Loop: Header=BB109_32 Depth=1
	s_waitcnt vmcnt(0)
	v_add_co_u32 v2, s6, v0, v4
	s_delay_alu instid0(VALU_DEP_1)
	v_add_co_ci_u32_e64 v3, s6, v1, v5, s6
	flat_load_b64 v[2:3], v[2:3]
.LBB109_46:                             ;   in Loop: Header=BB109_32 Depth=1
	s_or_b32 exec_lo, exec_lo, s29
	v_dual_mov_b32 v8, s8 :: v_dual_mov_b32 v9, s9
	s_or_b32 s6, s3, vcc_lo
	s_waitcnt vmcnt(0) lgkmcnt(0)
	scratch_store_b64 off, v[2:3], off offset:288 ; 8-byte Folded Spill
	s_xor_b32 s6, s6, -1
	s_mov_b32 s29, exec_lo
	v_mov_b32_e32 v76, v200
	s_and_b32 s6, s29, s6
	s_delay_alu instid0(SALU_CYCLE_1)
	s_mov_b32 exec_lo, s6
	s_cbranch_execz .LBB109_48
; %bb.47:                               ;   in Loop: Header=BB109_32 Depth=1
	v_add_co_u32 v2, s6, v0, v4
	s_delay_alu instid0(VALU_DEP_1)
	v_add_co_ci_u32_e64 v3, s6, v1, v5, s6
	flat_load_b64 v[8:9], v[2:3] offset:512
.LBB109_48:                             ;   in Loop: Header=BB109_32 Depth=1
	s_or_b32 exec_lo, exec_lo, s29
	v_dual_mov_b32 v2, s8 :: v_dual_mov_b32 v3, s9
	s_or_b32 s6, s4, vcc_lo
	s_delay_alu instid0(SALU_CYCLE_1) | instskip(SKIP_3) | instid1(SALU_CYCLE_1)
	s_xor_b32 s6, s6, -1
	s_mov_b32 s29, exec_lo
	scratch_load_b64 v[6:7], off, off offset:300 ; 8-byte Folded Reload
	s_and_b32 s6, s29, s6
	s_mov_b32 exec_lo, s6
	s_cbranch_execz .LBB109_50
; %bb.49:                               ;   in Loop: Header=BB109_32 Depth=1
	v_add_co_u32 v2, s6, v0, v4
	s_delay_alu instid0(VALU_DEP_1)
	v_add_co_ci_u32_e64 v3, s6, v1, v5, s6
	flat_load_b64 v[2:3], v[2:3] offset:1024
.LBB109_50:                             ;   in Loop: Header=BB109_32 Depth=1
	s_or_b32 exec_lo, exec_lo, s29
	s_waitcnt vmcnt(1) lgkmcnt(0)
	scratch_store_b64 off, v[8:9], off offset:320 ; 8-byte Folded Spill
	v_dual_mov_b32 v8, s8 :: v_dual_mov_b32 v9, s9
	s_or_b32 s6, s5, vcc_lo
	s_delay_alu instid0(SALU_CYCLE_1) | instskip(NEXT) | instid1(SALU_CYCLE_1)
	s_xor_b32 s29, s6, -1
	s_and_saveexec_b32 s6, s29
	s_cbranch_execz .LBB109_52
; %bb.51:                               ;   in Loop: Header=BB109_32 Depth=1
	v_add_co_u32 v0, vcc_lo, v0, v4
	v_add_co_ci_u32_e32 v1, vcc_lo, v1, v5, vcc_lo
	flat_load_b64 v[8:9], v[0:1] offset:1536
.LBB109_52:                             ;   in Loop: Header=BB109_32 Depth=1
	s_or_b32 exec_lo, exec_lo, s6
	s_waitcnt vmcnt(0)
	v_or_b32_e32 v0, 4, v6
	v_dual_mov_b32 v57, v84 :: v_dual_mov_b32 v72, v201
	v_mov_b32_e32 v70, v197
	v_mov_b32_e32 v68, v195
	s_delay_alu instid0(VALU_DEP_4)
	v_cmp_gt_i32_e32 vcc_lo, s18, v0
	v_dual_mov_b32 v0, s8 :: v_dual_mov_b32 v1, s9
	s_waitcnt lgkmcnt(0)
	s_clause 0x1
	scratch_store_b64 off, v[8:9], off offset:336
	scratch_store_b64 off, v[2:3], off offset:328
	s_and_b32 s29, vcc_lo, s28
	s_delay_alu instid0(SALU_CYCLE_1)
	s_and_saveexec_b32 s6, s29
	s_cbranch_execz .LBB109_54
; %bb.53:                               ;   in Loop: Header=BB109_32 Depth=1
	scratch_load_b32 v2, off, off offset:388 ; 4-byte Folded Reload
	v_lshlrev_b64 v[0:1], 3, v[6:7]
	s_waitcnt vmcnt(0)
	s_delay_alu instid0(VALU_DEP_1)
	v_add_co_u32 v0, vcc_lo, v2, v0
	scratch_load_b32 v2, off, off offset:392 ; 4-byte Folded Reload
	s_waitcnt vmcnt(0)
	v_add_co_ci_u32_e32 v1, vcc_lo, v2, v1, vcc_lo
	flat_load_b64 v[0:1], v[0:1]
.LBB109_54:                             ;   in Loop: Header=BB109_32 Depth=1
	s_or_b32 exec_lo, exec_lo, s6
	v_dual_mov_b32 v151, v36 :: v_dual_mov_b32 v148, v74
	v_dual_mov_b32 v62, v85 :: v_dual_mov_b32 v51, v194
	;; [unrolled: 1-line block ×5, first 2 shown]
	v_mov_b32_e32 v102, v40
	v_mov_b32_e32 v98, v42
	s_mov_b32 s29, 0
	s_mov_b32 s6, -1
	s_waitcnt vmcnt(0) lgkmcnt(0)
	scratch_store_b64 off, v[0:1], off offset:344 ; 8-byte Folded Spill
.LBB109_55:                             ;   Parent Loop BB109_32 Depth=1
                                        ; =>  This Inner Loop Header: Depth=2
	s_lshl_b32 s29, s29, 3
	v_dual_mov_b32 v61, v28 :: v_dual_mov_b32 v28, v123
	v_lshl_add_u32 v26, v220, 5, s29
	v_lshl_add_u32 v4, v37, 5, s29
	v_mov_b32_e32 v123, v205
	s_mov_b32 s29, 2
	ds_load_b128 v[46:49], v26 offset:16384
	ds_load_b128 v[0:3], v4
	ds_load_b128 v[154:157], v4 offset:1024
	ds_load_b128 v[158:161], v26 offset:16640
	s_and_not1_b32 vcc_lo, exec_lo, s6
	v_mov_b32_e32 v205, v123
	v_mov_b32_e32 v123, v28
	s_mov_b32 s6, 0
	v_mov_b32_e32 v28, v61
	s_waitcnt lgkmcnt(2)
	v_add_f64 v[20:21], v[2:3], v[48:49]
	s_waitcnt lgkmcnt(1)
	v_add_f64 v[8:9], v[156:157], v[48:49]
	v_add_f64 v[6:7], v[0:1], v[46:47]
	s_delay_alu instid0(VALU_DEP_3)
	v_cvt_f32_f64_e32 v20, v[20:21]
	scratch_store_b64 off, v[8:9], off offset:16 ; 8-byte Folded Spill
	v_add_f64 v[8:9], v[154:155], v[46:47]
	v_cvt_f32_f64_e32 v37, v[6:7]
	scratch_store_b64 off, v[8:9], off offset:72 ; 8-byte Folded Spill
	ds_load_b128 v[162:165], v4 offset:2048
	ds_load_b128 v[166:169], v4 offset:3072
	v_min3_f32 v209, v37, v20, v209
	s_waitcnt lgkmcnt(1)
	v_add_f64 v[8:9], v[164:165], v[48:49]
	scratch_store_b64 off, v[8:9], off offset:48 ; 8-byte Folded Spill
	v_add_f64 v[8:9], v[162:163], v[46:47]
	scratch_store_b64 off, v[8:9], off offset:104 ; 8-byte Folded Spill
	s_waitcnt lgkmcnt(0)
	v_add_f64 v[8:9], v[168:169], v[48:49]
	scratch_store_b64 off, v[8:9], off offset:24 ; 8-byte Folded Spill
	v_add_f64 v[8:9], v[166:167], v[46:47]
	scratch_store_b64 off, v[8:9], off offset:80 ; 8-byte Folded Spill
	ds_load_b128 v[170:173], v4 offset:4096
	ds_load_b128 v[174:177], v4 offset:5120
	s_waitcnt lgkmcnt(1)
	v_add_f64 v[8:9], v[172:173], v[48:49]
	scratch_store_b64 off, v[8:9], off offset:56 ; 8-byte Folded Spill
	v_add_f64 v[8:9], v[170:171], v[46:47]
	scratch_store_b64 off, v[8:9], off offset:112 ; 8-byte Folded Spill
	s_waitcnt lgkmcnt(0)
	v_add_f64 v[8:9], v[176:177], v[48:49]
	scratch_store_b64 off, v[8:9], off offset:32 ; 8-byte Folded Spill
	v_add_f64 v[8:9], v[174:175], v[46:47]
	scratch_store_b64 off, v[8:9], off offset:88 ; 8-byte Folded Spill
	ds_load_b128 v[178:181], v4 offset:6144
	ds_load_b128 v[182:185], v4 offset:7168
	s_waitcnt lgkmcnt(1)
	v_add_f64 v[4:5], v[180:181], v[48:49]
	scratch_store_b64 off, v[4:5], off offset:64 ; 8-byte Folded Spill
	v_add_f64 v[4:5], v[178:179], v[46:47]
	scratch_store_b64 off, v[4:5], off offset:120 ; 8-byte Folded Spill
	s_waitcnt lgkmcnt(0)
	v_add_f64 v[4:5], v[184:185], v[48:49]
	v_mov_b32_e32 v49, v59
	scratch_store_b64 off, v[4:5], off offset:40 ; 8-byte Folded Spill
	v_add_f64 v[4:5], v[182:183], v[46:47]
	scratch_store_b64 off, v[4:5], off offset:96 ; 8-byte Folded Spill
	v_add_f64 v[4:5], v[2:3], v[160:161]
	;; [unrolled: 2-line block ×17, first 2 shown]
	scratch_store_b64 off, v[4:5], off offset:248 ; 8-byte Folded Spill
	ds_load_b128 v[158:161], v26 offset:16896
	ds_load_b128 v[186:189], v26 offset:17152
	s_waitcnt lgkmcnt(1)
	v_add_f64 v[4:5], v[176:177], v[160:161]
	v_add_f64 v[78:79], v[2:3], v[160:161]
	v_add_f64 v[47:48], v[0:1], v[158:159]
	v_add_f64 v[82:83], v[156:157], v[160:161]
	v_add_f64 v[59:60], v[154:155], v[158:159]
	v_add_f64 v[90:91], v[164:165], v[160:161]
	v_add_f64 v[88:89], v[162:163], v[158:159]
	v_add_f64 v[94:95], v[168:169], v[160:161]
	v_add_f64 v[92:93], v[166:167], v[158:159]
	v_add_f64 v[108:109], v[172:173], v[160:161]
	v_add_f64 v[96:97], v[170:171], v[158:159]
	v_add_f64 v[100:101], v[174:175], v[158:159]
	v_add_f64 v[104:105], v[178:179], v[158:159]
	s_waitcnt lgkmcnt(0)
	v_add_f64 v[110:111], v[2:3], v[188:189]
	v_add_f64 v[112:113], v[0:1], v[186:187]
	;; [unrolled: 1-line block ×16, first 2 shown]
	scratch_store_b64 off, v[4:5], off offset:272 ; 8-byte Folded Spill
	v_add_f64 v[4:5], v[180:181], v[160:161]
	v_cvt_f32_f64_e32 v18, v[18:19]
	scratch_store_b64 off, v[4:5], off offset:264 ; 8-byte Folded Spill
	v_add_f64 v[4:5], v[184:185], v[160:161]
	scratch_store_b64 off, v[4:5], off offset:256 ; 8-byte Folded Spill
	v_add_f64 v[4:5], v[182:183], v[158:159]
	scratch_store_b64 off, v[4:5], off offset:280 ; 8-byte Folded Spill
	ds_load_b128 v[158:161], v26 offset:17408
	ds_load_b128 v[186:189], v26 offset:17664
	s_waitcnt lgkmcnt(1)
	v_add_f64 v[210:211], v[2:3], v[160:161]
	v_add_f64 v[212:213], v[0:1], v[158:159]
	;; [unrolled: 1-line block ×16, first 2 shown]
	s_waitcnt lgkmcnt(0)
	v_add_f64 v[242:243], v[2:3], v[188:189]
	v_add_f64 v[244:245], v[0:1], v[186:187]
	;; [unrolled: 1-line block ×16, first 2 shown]
	ds_load_b128 v[158:161], v26 offset:17920
	ds_load_b128 v[186:189], v26 offset:18176
	s_clause 0x1
	scratch_load_b32 v37, off, off offset:296
	scratch_load_b64 v[6:7], off, off offset:72
	s_waitcnt lgkmcnt(1)
	v_add_f64 v[190:191], v[2:3], v[160:161]
	v_add_f64 v[194:195], v[0:1], v[158:159]
	s_waitcnt lgkmcnt(0)
	v_add_f64 v[2:3], v[2:3], v[188:189]
	v_add_f64 v[0:1], v[0:1], v[186:187]
	;; [unrolled: 1-line block ×30, first 2 shown]
	v_cvt_f32_f64_e32 v0, v[0:1]
	v_cvt_f32_f64_e32 v1, v[2:3]
	scratch_load_b32 v2, off, off           ; 4-byte Folded Reload
	v_min3_f32 v134, v0, v1, v134
	v_cvt_f32_f64_e32 v0, v[154:155]
	v_cvt_f32_f64_e32 v1, v[156:157]
	s_waitcnt vmcnt(1)
	v_cvt_f32_f64_e32 v20, v[6:7]
	scratch_load_b64 v[6:7], off, off offset:16 ; 8-byte Folded Reload
	s_waitcnt vmcnt(1)
	v_min3_f32 v2, v0, v1, v2
	v_cvt_f32_f64_e32 v0, v[162:163]
	v_cvt_f32_f64_e32 v1, v[164:165]
	scratch_store_b32 off, v2, off          ; 4-byte Folded Spill
	v_min3_f32 v128, v0, v1, v128
	v_cvt_f32_f64_e32 v0, v[166:167]
	v_cvt_f32_f64_e32 v1, v[168:169]
	s_delay_alu instid0(VALU_DEP_1) | instskip(SKIP_2) | instid1(VALU_DEP_1)
	v_min3_f32 v130, v0, v1, v130
	v_cvt_f32_f64_e32 v0, v[170:171]
	v_cvt_f32_f64_e32 v1, v[172:173]
	v_min3_f32 v126, v0, v1, v126
	v_cvt_f32_f64_e32 v0, v[174:175]
	v_cvt_f32_f64_e32 v1, v[176:177]
	s_delay_alu instid0(VALU_DEP_1) | instskip(SKIP_2) | instid1(VALU_DEP_1)
	v_min3_f32 v124, v0, v1, v124
	v_cvt_f32_f64_e32 v0, v[178:179]
	v_cvt_f32_f64_e32 v1, v[180:181]
	v_min3_f32 v120, v0, v1, v120
	v_cvt_f32_f64_e32 v0, v[182:183]
	v_cvt_f32_f64_e32 v1, v[184:185]
	s_delay_alu instid0(VALU_DEP_1)
	v_min3_f32 v122, v0, v1, v122
	s_waitcnt vmcnt(0)
	v_cvt_f32_f64_e32 v21, v[6:7]
	scratch_load_b64 v[6:7], off, off offset:104 ; 8-byte Folded Reload
	v_min3_f32 v119, v20, v21, v119
	s_waitcnt vmcnt(0)
	v_cvt_f32_f64_e32 v20, v[6:7]
	scratch_load_b64 v[6:7], off, off offset:48 ; 8-byte Folded Reload
	s_waitcnt vmcnt(0)
	v_cvt_f32_f64_e32 v21, v[6:7]
	scratch_load_b64 v[6:7], off, off offset:80 ; 8-byte Folded Reload
	v_min3_f32 v234, v20, v21, v234
	s_waitcnt vmcnt(0)
	v_cvt_f32_f64_e32 v20, v[6:7]
	scratch_load_b64 v[6:7], off, off offset:24 ; 8-byte Folded Reload
	;; [unrolled: 7-line block ×14, first 2 shown]
	s_waitcnt vmcnt(0)
	v_cvt_f32_f64_e32 v21, v[6:7]
	scratch_load_b64 v[6:7], off, off offset:272 ; 8-byte Folded Reload
	v_min3_f32 v107, v20, v21, v107
	v_cvt_f32_f64_e32 v20, v[47:48]
	v_cvt_f32_f64_e32 v21, v[78:79]
	s_delay_alu instid0(VALU_DEP_1) | instskip(SKIP_3) | instid1(VALU_DEP_2)
	v_min3_f32 v106, v20, v21, v106
	v_cvt_f32_f64_e32 v20, v[59:60]
	v_cvt_f32_f64_e32 v21, v[82:83]
	v_mov_b32_e32 v59, v49
	v_min3_f32 v75, v20, v21, v75
	v_cvt_f32_f64_e32 v20, v[88:89]
	v_cvt_f32_f64_e32 v21, v[90:91]
	s_delay_alu instid0(VALU_DEP_1) | instskip(SKIP_2) | instid1(VALU_DEP_1)
	v_min3_f32 v74, v20, v21, v74
	v_cvt_f32_f64_e32 v20, v[92:93]
	v_cvt_f32_f64_e32 v21, v[94:95]
	v_min3_f32 v57, v20, v21, v57
	v_cvt_f32_f64_e32 v20, v[96:97]
	v_cvt_f32_f64_e32 v21, v[108:109]
	s_delay_alu instid0(VALU_DEP_1)
	v_min3_f32 v87, v20, v21, v87
	v_cvt_f32_f64_e32 v20, v[100:101]
	s_waitcnt vmcnt(0)
	v_cvt_f32_f64_e32 v21, v[6:7]
	scratch_load_b64 v[6:7], off, off offset:264 ; 8-byte Folded Reload
	v_min3_f32 v28, v20, v21, v28
	v_cvt_f32_f64_e32 v20, v[104:105]
	s_waitcnt vmcnt(0)
	v_cvt_f32_f64_e32 v21, v[6:7]
	scratch_load_b64 v[6:7], off, off offset:280 ; 8-byte Folded Reload
	v_min3_f32 v123, v20, v21, v123
	s_waitcnt vmcnt(0)
	v_cvt_f32_f64_e32 v20, v[6:7]
	scratch_load_b64 v[6:7], off, off offset:256 ; 8-byte Folded Reload
	s_waitcnt vmcnt(0)
	v_cvt_f32_f64_e32 v21, v[6:7]
	v_cvt_f32_f64_e32 v6, v[33:34]
	;; [unrolled: 1-line block ×3, first 2 shown]
	s_delay_alu instid0(VALU_DEP_3) | instskip(SKIP_2) | instid1(VALU_DEP_1)
	v_min3_f32 v205, v20, v21, v205
	v_cvt_f32_f64_e32 v20, v[112:113]
	v_cvt_f32_f64_e32 v21, v[110:111]
	v_min3_f32 v63, v20, v21, v63
	v_cvt_f32_f64_e32 v20, v[144:145]
	v_cvt_f32_f64_e32 v21, v[45:46]
	s_delay_alu instid0(VALU_DEP_1) | instskip(SKIP_2) | instid1(VALU_DEP_1)
	v_min3_f32 v73, v20, v21, v73
	v_cvt_f32_f64_e32 v20, v[149:150]
	v_cvt_f32_f64_e32 v21, v[146:147]
	v_min3_f32 v72, v20, v21, v72
	v_cvt_f32_f64_e32 v20, v[42:43]
	v_cvt_f32_f64_e32 v21, v[152:153]
	s_delay_alu instid0(VALU_DEP_1) | instskip(SKIP_2) | instid1(VALU_DEP_1)
	v_min3_f32 v76, v20, v21, v76
	v_cvt_f32_f64_e32 v20, v[38:39]
	v_cvt_f32_f64_e32 v21, v[40:41]
	v_min3_f32 v77, v20, v21, v77
	v_cvt_f32_f64_e32 v20, v[198:199]
	v_cvt_f32_f64_e32 v21, v[35:36]
	s_delay_alu instid0(VALU_DEP_1) | instskip(SKIP_1) | instid1(VALU_DEP_1)
	v_min3_f32 v71, v20, v21, v71
	v_cvt_f32_f64_e32 v20, v[202:203]
	v_min3_f32 v70, v20, v18, v70
	v_cvt_f32_f64_e32 v18, v[206:207]
	s_delay_alu instid0(VALU_DEP_1) | instskip(SKIP_1) | instid1(VALU_DEP_1)
	v_min3_f32 v69, v18, v6, v69
	v_cvt_f32_f64_e32 v6, v[212:213]
	v_min3_f32 v68, v6, v7, v68
	v_cvt_f32_f64_e32 v6, v[216:217]
	v_cvt_f32_f64_e32 v7, v[214:215]
	s_delay_alu instid0(VALU_DEP_1)
	v_min3_f32 v51, v6, v7, v51
	v_cvt_f32_f64_e32 v6, v[220:221]
	v_cvt_f32_f64_e32 v7, v[218:219]
	scratch_load_b32 v220, off, off offset:8 ; 4-byte Folded Reload
	v_min3_f32 v50, v6, v7, v50
	v_cvt_f32_f64_e32 v6, v[224:225]
	v_cvt_f32_f64_e32 v7, v[222:223]
	s_delay_alu instid0(VALU_DEP_1) | instskip(SKIP_2) | instid1(VALU_DEP_1)
	v_min3_f32 v59, v6, v7, v59
	v_cvt_f32_f64_e32 v6, v[228:229]
	v_cvt_f32_f64_e32 v7, v[226:227]
	v_min3_f32 v58, v6, v7, v58
	v_cvt_f32_f64_e32 v6, v[232:233]
	v_cvt_f32_f64_e32 v7, v[230:231]
	s_delay_alu instid0(VALU_DEP_1) | instskip(SKIP_2) | instid1(VALU_DEP_1)
	v_min3_f32 v44, v6, v7, v44
	v_cvt_f32_f64_e32 v6, v[236:237]
	v_cvt_f32_f64_e32 v7, v[29:30]
	;; [unrolled: 7-line block ×5, first 2 shown]
	v_min3_f32 v193, v6, v7, v193
	v_cvt_f32_f64_e32 v6, v[16:17]
	v_cvt_f32_f64_e32 v7, v[14:15]
	s_delay_alu instid0(VALU_DEP_1) | instskip(SKIP_3) | instid1(VALU_DEP_2)
	v_min3_f32 v192, v6, v7, v192
	v_cvt_f32_f64_e32 v6, v[4:5]
	v_cvt_f32_f64_e32 v4, v[10:11]
	;; [unrolled: 1-line block ×3, first 2 shown]
	v_min3_f32 v148, v6, v4, v148
	scratch_load_b32 v6, off, off offset:4  ; 4-byte Folded Reload
	v_cvt_f32_f64_e32 v4, v[116:117]
	s_delay_alu instid0(VALU_DEP_1) | instskip(SKIP_2) | instid1(VALU_DEP_1)
	v_min3_f32 v151, v4, v5, v151
	v_cvt_f32_f64_e32 v4, v[194:195]
	v_cvt_f32_f64_e32 v5, v[190:191]
	v_min3_f32 v62, v4, v5, v62
	v_cvt_f32_f64_e32 v4, v[142:143]
	v_cvt_f32_f64_e32 v5, v[196:197]
	s_delay_alu instid0(VALU_DEP_1) | instskip(SKIP_2) | instid1(VALU_DEP_1)
	v_min3_f32 v208, v4, v5, v208
	v_cvt_f32_f64_e32 v4, v[26:27]
	v_cvt_f32_f64_e32 v5, v[200:201]
	v_min3_f32 v118, v4, v5, v118
	v_cvt_f32_f64_e32 v4, v[64:65]
	v_cvt_f32_f64_e32 v5, v[80:81]
	s_delay_alu instid0(VALU_DEP_1) | instskip(SKIP_3) | instid1(VALU_DEP_1)
	v_min3_f32 v204, v4, v5, v204
	v_cvt_f32_f64_e32 v4, v[84:85]
	v_cvt_f32_f64_e32 v5, v[66:67]
	s_waitcnt vmcnt(0)
	v_min3_f32 v6, v4, v5, v6
	v_cvt_f32_f64_e32 v4, v[132:133]
	v_cvt_f32_f64_e32 v5, v[140:141]
	scratch_store_b32 off, v6, off offset:4 ; 4-byte Folded Spill
	v_min3_f32 v139, v4, v5, v139
	v_cvt_f32_f64_e32 v4, v[238:239]
	v_cvt_f32_f64_e32 v5, v[8:9]
	s_delay_alu instid0(VALU_DEP_1) | instskip(SKIP_2) | instid1(VALU_DEP_1)
	v_min3_f32 v136, v4, v5, v136
	v_cvt_f32_f64_e32 v4, v[158:159]
	v_cvt_f32_f64_e32 v5, v[160:161]
	v_min3_f32 v138, v4, v5, v138
	s_cbranch_vccz .LBB109_55
; %bb.56:                               ;   in Loop: Header=BB109_32 Depth=1
	s_clause 0x2
	scratch_load_b32 v0, off, off offset:372
	scratch_load_b64 v[1:2], off, off offset:288
	scratch_load_b64 v[3:4], off, off offset:320
	v_dual_mov_b32 v65, v107 :: v_dual_mov_b32 v64, v106
	v_dual_mov_b32 v45, v74 :: v_dual_mov_b32 v84, v57
	;; [unrolled: 1-line block ×3, first 2 shown]
	v_mov_b32_e32 v132, v52
	v_mov_b32_e32 v238, v151
	;; [unrolled: 1-line block ×5, first 2 shown]
	s_add_i32 s25, s25, 8
	s_add_i32 s7, s7, 8
	s_cmp_ge_i32 s25, s24
	s_waitcnt vmcnt(0)
	ds_store_2addr_stride64_b64 v0, v[1:2], v[3:4] offset1:4
	s_clause 0x1
	scratch_load_b64 v[1:2], off, off offset:328
	scratch_load_b64 v[3:4], off, off offset:336
	s_waitcnt vmcnt(0)
	ds_store_2addr_stride64_b64 v0, v[1:2], v[3:4] offset0:8 offset1:12
	s_clause 0x1
	scratch_load_b32 v0, off, off offset:376
	scratch_load_b64 v[1:2], off, off offset:344
	s_waitcnt vmcnt(0)
	ds_store_b64 v0, v[1:2]
	s_waitcnt lgkmcnt(0)
	s_waitcnt_vscnt null, 0x0
	s_barrier
	buffer_gl0_inv
	s_cbranch_scc1 .LBB109_59
; %bb.57:                               ;   in Loop: Header=BB109_32 Depth=1
	s_clause 0x1
	scratch_load_b64 v[5:6], off, off offset:312
	scratch_load_b64 v[0:1], off, off offset:300
	v_dual_mov_b32 v195, v68 :: v_dual_mov_b32 v216, v102
	v_mov_b32_e32 v197, v70
	v_dual_mov_b32 v201, v72 :: v_dual_mov_b32 v218, v98
	s_waitcnt vmcnt(0)
	v_mov_b32_e32 v7, v1
	s_branch .LBB109_32
.LBB109_58:
	v_mov_b32_e32 v98, v218
	v_mov_b32_e32 v102, v216
	;; [unrolled: 1-line block ×3, first 2 shown]
	s_branch .LBB109_60
.LBB109_59:
	v_dual_mov_b32 v58, v50 :: v_dual_mov_b32 v195, v68
	v_mov_b32_e32 v197, v70
	v_mov_b32_e32 v201, v72
.LBB109_60:
	v_dual_mov_b32 v57, v45 :: v_dual_mov_b32 v114, v75
	s_delay_alu instid0(VALU_DEP_3)
	v_dual_mov_b32 v78, v76 :: v_dual_mov_b32 v31, v197
	v_dual_mov_b32 v115, v64 :: v_dual_mov_b32 v140, v194
	;; [unrolled: 1-line block ×5, first 2 shown]
	v_mov_b32_e32 v112, v87
	v_dual_mov_b32 v108, v84 :: v_dual_mov_b32 v111, v99
	v_mov_b32_e32 v104, v102
	v_mov_b32_e32 v110, v98
	s_mov_b32 s3, 0
	s_mov_b32 s2, -1
.LBB109_61:                             ; =>This Inner Loop Header: Depth=1
	s_lshl_b32 s3, s3, 3
	v_dual_mov_b32 v239, v55 :: v_dual_mov_b32 v52, v54
	s_waitcnt vmcnt(0)
	v_lshl_add_u32 v4, v220, 5, s3
	v_lshl_add_u32 v5, v37, 5, s3
	v_mov_b32_e32 v113, v85
	v_mov_b32_e32 v133, v142
	ds_load_b128 v[32:35], v4 offset:18432
	ds_load_b128 v[0:3], v5 offset:8192
	;; [unrolled: 1-line block ×4, first 2 shown]
	v_mov_b32_e32 v87, v44
	v_mov_b32_e32 v109, v212
	s_mov_b32 s3, 2
	s_and_not1_b32 vcc_lo, exec_lo, s2
	s_mov_b32 s2, 0
	s_waitcnt lgkmcnt(2)
	v_add_f64 v[26:27], v[2:3], v[34:35]
	s_waitcnt lgkmcnt(1)
	v_add_f64 v[6:7], v[38:39], v[34:35]
	v_add_f64 v[66:67], v[0:1], v[32:33]
	s_delay_alu instid0(VALU_DEP_3)
	v_cvt_f32_f64_e32 v64, v[26:27]
	scratch_store_b64 off, v[6:7], off offset:16 ; 8-byte Folded Spill
	v_add_f64 v[6:7], v[36:37], v[32:33]
	v_cvt_f32_f64_e32 v29, v[66:67]
	scratch_store_b64 off, v[6:7], off offset:72 ; 8-byte Folded Spill
	ds_load_b128 v[72:75], v5 offset:10240
	ds_load_b128 v[144:147], v5 offset:11264
	v_min3_f32 v209, v29, v64, v209
	s_waitcnt lgkmcnt(1)
	v_add_f64 v[6:7], v[74:75], v[34:35]
	scratch_store_b64 off, v[6:7], off offset:48 ; 8-byte Folded Spill
	v_add_f64 v[6:7], v[72:73], v[32:33]
	scratch_store_b64 off, v[6:7], off offset:104 ; 8-byte Folded Spill
	s_waitcnt lgkmcnt(0)
	v_add_f64 v[6:7], v[146:147], v[34:35]
	scratch_store_b64 off, v[6:7], off offset:24 ; 8-byte Folded Spill
	v_add_f64 v[6:7], v[144:145], v[32:33]
	scratch_store_b64 off, v[6:7], off offset:80 ; 8-byte Folded Spill
	ds_load_b128 v[148:151], v5 offset:12288
	ds_load_b128 v[152:155], v5 offset:13312
	s_waitcnt lgkmcnt(1)
	v_add_f64 v[6:7], v[150:151], v[34:35]
	s_waitcnt lgkmcnt(0)
	v_add_f64 v[54:55], v[152:153], v[68:69]
	scratch_store_b64 off, v[6:7], off offset:56 ; 8-byte Folded Spill
	v_add_f64 v[6:7], v[148:149], v[32:33]
	scratch_store_b64 off, v[6:7], off offset:112 ; 8-byte Folded Spill
	;; [unrolled: 2-line block ×4, first 2 shown]
	ds_load_b128 v[156:159], v5 offset:14336
	ds_load_b128 v[160:163], v5 offset:15360
	s_waitcnt lgkmcnt(1)
	v_add_f64 v[5:6], v[158:159], v[34:35]
	scratch_store_b64 off, v[5:6], off offset:64 ; 8-byte Folded Spill
	v_add_f64 v[5:6], v[156:157], v[32:33]
	scratch_store_b64 off, v[5:6], off offset:120 ; 8-byte Folded Spill
	s_waitcnt lgkmcnt(0)
	v_add_f64 v[5:6], v[162:163], v[34:35]
	scratch_store_b64 off, v[5:6], off offset:40 ; 8-byte Folded Spill
	v_add_f64 v[5:6], v[160:161], v[32:33]
	scratch_store_b64 off, v[5:6], off offset:96 ; 8-byte Folded Spill
	;; [unrolled: 2-line block ×17, first 2 shown]
	ds_load_b128 v[68:71], v4 offset:18944
	ds_load_b128 v[164:167], v4 offset:19200
	s_waitcnt lgkmcnt(1)
	v_add_f64 v[5:6], v[150:151], v[70:71]
	v_add_f64 v[88:89], v[2:3], v[70:71]
	;; [unrolled: 1-line block ×11, first 2 shown]
	s_waitcnt lgkmcnt(0)
	v_add_f64 v[116:117], v[2:3], v[166:167]
	v_add_f64 v[50:51], v[0:1], v[164:165]
	;; [unrolled: 1-line block ×16, first 2 shown]
	scratch_store_b64 off, v[5:6], off offset:280 ; 8-byte Folded Spill
	v_add_f64 v[5:6], v[154:155], v[70:71]
	scratch_store_b64 off, v[5:6], off offset:264 ; 8-byte Folded Spill
	v_add_f64 v[5:6], v[158:159], v[70:71]
	;; [unrolled: 2-line block ×5, first 2 shown]
	scratch_store_b64 off, v[5:6], off offset:272 ; 8-byte Folded Spill
	ds_load_b128 v[68:71], v4 offset:19456
	ds_load_b128 v[164:167], v4 offset:19712
	s_waitcnt lgkmcnt(1)
	v_add_f64 v[186:187], v[2:3], v[70:71]
	v_add_f64 v[188:189], v[0:1], v[68:69]
	;; [unrolled: 1-line block ×16, first 2 shown]
	s_waitcnt lgkmcnt(0)
	v_add_f64 v[218:219], v[2:3], v[166:167]
	v_add_f64 v[220:221], v[0:1], v[164:165]
	;; [unrolled: 1-line block ×16, first 2 shown]
	ds_load_b128 v[68:71], v4 offset:19968
	ds_load_b128 v[164:167], v4 offset:20224
	scratch_load_b64 v[26:27], off, off offset:72 ; 8-byte Folded Reload
	s_waitcnt lgkmcnt(1)
	v_add_f64 v[254:255], v[38:39], v[70:71]
	s_waitcnt lgkmcnt(0)
	v_add_f64 v[82:83], v[38:39], v[166:167]
	v_add_f64 v[250:251], v[2:3], v[70:71]
	;; [unrolled: 1-line block ×31, first 2 shown]
	scratch_load_b64 v[38:39], off, off offset:56 ; 8-byte Folded Reload
	v_cvt_f32_f64_e32 v4, v[4:5]
	v_cvt_f32_f64_e32 v5, v[254:255]
	v_cvt_f32_f64_e32 v0, v[0:1]
	v_cvt_f32_f64_e32 v1, v[2:3]
	scratch_load_b32 v2, off, off           ; 4-byte Folded Reload
	v_min3_f32 v208, v4, v5, v208
	v_cvt_f32_f64_e32 v4, v[6:7]
	v_min3_f32 v134, v0, v1, v134
	v_cvt_f32_f64_e32 v0, v[36:37]
	s_clause 0x1
	scratch_load_b32 v37, off, off offset:296
	scratch_load_b32 v6, off, off offset:4
	v_cvt_f32_f64_e32 v1, v[82:83]
	v_cvt_f32_f64_e32 v5, v[10:11]
	s_delay_alu instid0(VALU_DEP_1) | instskip(SKIP_2) | instid1(VALU_DEP_1)
	v_min3_f32 v118, v4, v5, v118
	v_cvt_f32_f64_e32 v4, v[8:9]
	v_cvt_f32_f64_e32 v5, v[14:15]
	v_min3_f32 v204, v4, v5, v204
	v_cvt_f32_f64_e32 v4, v[12:13]
	v_cvt_f32_f64_e32 v5, v[18:19]
	s_waitcnt vmcnt(4)
	v_cvt_f32_f64_e32 v29, v[26:27]
	scratch_load_b64 v[26:27], off, off offset:16 ; 8-byte Folded Reload
	s_waitcnt vmcnt(3)
	v_min3_f32 v2, v0, v1, v2
	v_cvt_f32_f64_e32 v0, v[72:73]
	v_cvt_f32_f64_e32 v1, v[74:75]
	scratch_store_b32 off, v2, off          ; 4-byte Folded Spill
	s_waitcnt vmcnt(1)
	v_min3_f32 v6, v4, v5, v6
	v_cvt_f32_f64_e32 v4, v[16:17]
	v_cvt_f32_f64_e32 v5, v[22:23]
	v_min3_f32 v128, v0, v1, v128
	v_cvt_f32_f64_e32 v0, v[144:145]
	v_cvt_f32_f64_e32 v1, v[146:147]
	scratch_store_b32 off, v6, off offset:4 ; 4-byte Folded Spill
	v_min3_f32 v139, v4, v5, v139
	v_cvt_f32_f64_e32 v4, v[20:21]
	v_cvt_f32_f64_e32 v5, v[24:25]
	v_min3_f32 v130, v0, v1, v130
	v_cvt_f32_f64_e32 v0, v[148:149]
	v_cvt_f32_f64_e32 v1, v[150:151]
	s_delay_alu instid0(VALU_DEP_4) | instskip(SKIP_2) | instid1(VALU_DEP_4)
	v_min3_f32 v136, v4, v5, v136
	v_cvt_f32_f64_e32 v4, v[68:69]
	v_cvt_f32_f64_e32 v5, v[70:71]
	v_min3_f32 v126, v0, v1, v126
	v_cvt_f32_f64_e32 v0, v[152:153]
	v_cvt_f32_f64_e32 v1, v[154:155]
	s_delay_alu instid0(VALU_DEP_4) | instskip(NEXT) | instid1(VALU_DEP_2)
	v_min3_f32 v138, v4, v5, v138
	v_min3_f32 v124, v0, v1, v124
	v_cvt_f32_f64_e32 v0, v[156:157]
	v_cvt_f32_f64_e32 v1, v[158:159]
	s_delay_alu instid0(VALU_DEP_1) | instskip(SKIP_2) | instid1(VALU_DEP_1)
	v_min3_f32 v120, v0, v1, v120
	v_cvt_f32_f64_e32 v0, v[160:161]
	v_cvt_f32_f64_e32 v1, v[162:163]
	v_min3_f32 v122, v0, v1, v122
	s_waitcnt vmcnt(0)
	v_cvt_f32_f64_e32 v64, v[26:27]
	scratch_load_b64 v[26:27], off, off offset:104 ; 8-byte Folded Reload
	v_min3_f32 v119, v29, v64, v119
	s_waitcnt vmcnt(0)
	v_cvt_f32_f64_e32 v29, v[26:27]
	scratch_load_b64 v[26:27], off, off offset:48 ; 8-byte Folded Reload
	s_waitcnt vmcnt(0)
	v_cvt_f32_f64_e32 v64, v[26:27]
	scratch_load_b64 v[26:27], off, off offset:80 ; 8-byte Folded Reload
	v_min3_f32 v234, v29, v64, v234
	s_waitcnt vmcnt(0)
	v_cvt_f32_f64_e32 v29, v[26:27]
	scratch_load_b64 v[26:27], off, off offset:24 ; 8-byte Folded Reload
	s_waitcnt vmcnt(0)
	v_cvt_f32_f64_e32 v64, v[26:27]
	scratch_load_b64 v[26:27], off, off offset:112 ; 8-byte Folded Reload
	v_min3_f32 v135, v29, v64, v135
	s_waitcnt vmcnt(0)
	v_cvt_f32_f64_e32 v26, v[26:27]
	v_cvt_f32_f64_e32 v27, v[38:39]
	scratch_load_b64 v[38:39], off, off offset:32 ; 8-byte Folded Reload
	v_min3_f32 v137, v26, v27, v137
	scratch_load_b64 v[26:27], off, off offset:88 ; 8-byte Folded Reload
	s_waitcnt vmcnt(0)
	v_cvt_f32_f64_e32 v26, v[26:27]
	v_cvt_f32_f64_e32 v27, v[38:39]
	scratch_load_b64 v[38:39], off, off offset:64 ; 8-byte Folded Reload
	v_min3_f32 v131, v26, v27, v131
	scratch_load_b64 v[26:27], off, off offset:120 ; 8-byte Folded Reload
	;; [unrolled: 6-line block ×8, first 2 shown]
	s_waitcnt vmcnt(0)
	v_cvt_f32_f64_e32 v26, v[26:27]
	v_cvt_f32_f64_e32 v27, v[38:39]
	scratch_load_b64 v[38:39], off, off offset:208 ; 8-byte Folded Reload
	v_min3_f32 v110, v26, v27, v110
	v_cvt_f32_f64_e32 v26, v[54:55]
	v_dual_mov_b32 v54, v52 :: v_dual_mov_b32 v55, v239
	s_waitcnt vmcnt(0)
	v_cvt_f32_f64_e32 v27, v[38:39]
	scratch_load_b64 v[38:39], off, off offset:216 ; 8-byte Folded Reload
	v_min3_f32 v105, v26, v27, v105
	scratch_load_b64 v[26:27], off, off offset:224 ; 8-byte Folded Reload
	s_waitcnt vmcnt(0)
	v_cvt_f32_f64_e32 v26, v[26:27]
	v_cvt_f32_f64_e32 v27, v[38:39]
	scratch_load_b64 v[38:39], off, off offset:232 ; 8-byte Folded Reload
	v_min3_f32 v104, v26, v27, v104
	scratch_load_b64 v[26:27], off, off offset:240 ; 8-byte Folded Reload
	s_waitcnt vmcnt(0)
	v_cvt_f32_f64_e32 v26, v[26:27]
	v_cvt_f32_f64_e32 v27, v[38:39]
	scratch_load_b64 v[38:39], off, off offset:280 ; 8-byte Folded Reload
	v_min3_f32 v65, v26, v27, v65
	v_cvt_f32_f64_e32 v26, v[60:61]
	v_cvt_f32_f64_e32 v27, v[88:89]
	s_delay_alu instid0(VALU_DEP_1) | instskip(SKIP_2) | instid1(VALU_DEP_1)
	v_min3_f32 v115, v26, v27, v115
	v_cvt_f32_f64_e32 v26, v[90:91]
	v_cvt_f32_f64_e32 v27, v[92:93]
	v_min3_f32 v114, v26, v27, v114
	v_cvt_f32_f64_e32 v26, v[94:95]
	v_cvt_f32_f64_e32 v27, v[96:97]
	s_delay_alu instid0(VALU_DEP_1) | instskip(SKIP_2) | instid1(VALU_DEP_1)
	v_min3_f32 v57, v26, v27, v57
	v_cvt_f32_f64_e32 v26, v[98:99]
	v_cvt_f32_f64_e32 v27, v[100:101]
	v_min3_f32 v108, v26, v27, v108
	v_cvt_f32_f64_e32 v26, v[102:103]
	s_waitcnt vmcnt(0)
	v_cvt_f32_f64_e32 v27, v[38:39]
	scratch_load_b64 v[38:39], off, off offset:264 ; 8-byte Folded Reload
	v_min3_f32 v112, v26, v27, v112
	v_cvt_f32_f64_e32 v26, v[106:107]
	s_waitcnt vmcnt(0)
	v_cvt_f32_f64_e32 v27, v[38:39]
	scratch_load_b64 v[38:39], off, off offset:256 ; 8-byte Folded Reload
	v_min3_f32 v28, v26, v27, v28
	scratch_load_b64 v[26:27], off, off offset:288 ; 8-byte Folded Reload
	s_waitcnt vmcnt(0)
	v_cvt_f32_f64_e32 v26, v[26:27]
	v_cvt_f32_f64_e32 v27, v[38:39]
	scratch_load_b64 v[38:39], off, off offset:248 ; 8-byte Folded Reload
	v_min3_f32 v123, v26, v27, v123
	scratch_load_b64 v[26:27], off, off offset:272 ; 8-byte Folded Reload
	s_waitcnt vmcnt(0)
	v_cvt_f32_f64_e32 v26, v[26:27]
	v_cvt_f32_f64_e32 v27, v[38:39]
	s_delay_alu instid0(VALU_DEP_1) | instskip(SKIP_2) | instid1(VALU_DEP_1)
	v_min3_f32 v205, v26, v27, v205
	v_cvt_f32_f64_e32 v26, v[50:51]
	v_cvt_f32_f64_e32 v27, v[116:117]
	v_min3_f32 v63, v26, v27, v63
	v_cvt_f32_f64_e32 v26, v[48:49]
	v_cvt_f32_f64_e32 v27, v[84:85]
	v_mov_b32_e32 v85, v113
	s_delay_alu instid0(VALU_DEP_2) | instskip(SKIP_4) | instid1(VALU_DEP_3)
	v_min3_f32 v62, v26, v27, v62
	v_cvt_f32_f64_e32 v26, v[44:45]
	v_cvt_f32_f64_e32 v27, v[142:143]
	v_mov_b32_e32 v142, v133
	v_mov_b32_e32 v44, v87
	v_min3_f32 v79, v26, v27, v79
	v_cvt_f32_f64_e32 v26, v[168:169]
	v_cvt_f32_f64_e32 v27, v[46:47]
	s_delay_alu instid0(VALU_DEP_1) | instskip(SKIP_2) | instid1(VALU_DEP_1)
	v_min3_f32 v78, v26, v27, v78
	v_cvt_f32_f64_e32 v26, v[172:173]
	v_cvt_f32_f64_e32 v27, v[170:171]
	v_min3_f32 v77, v26, v27, v77
	v_cvt_f32_f64_e32 v26, v[176:177]
	v_cvt_f32_f64_e32 v27, v[174:175]
	s_delay_alu instid0(VALU_DEP_1) | instskip(SKIP_2) | instid1(VALU_DEP_1)
	v_min3_f32 v76, v26, v27, v76
	v_cvt_f32_f64_e32 v26, v[180:181]
	v_cvt_f32_f64_e32 v27, v[178:179]
	;; [unrolled: 7-line block ×5, first 2 shown]
	v_min3_f32 v56, v26, v27, v56
	v_cvt_f32_f64_e32 v26, v[42:43]
	v_cvt_f32_f64_e32 v27, v[206:207]
	s_delay_alu instid0(VALU_DEP_1) | instskip(SKIP_3) | instid1(VALU_DEP_2)
	v_min3_f32 v44, v26, v27, v44
	v_cvt_f32_f64_e32 v26, v[212:213]
	v_cvt_f32_f64_e32 v27, v[210:211]
	v_mov_b32_e32 v212, v109
	v_min3_f32 v142, v26, v27, v142
	v_cvt_f32_f64_e32 v26, v[216:217]
	v_cvt_f32_f64_e32 v27, v[214:215]
	s_delay_alu instid0(VALU_DEP_1) | instskip(SKIP_3) | instid1(VALU_DEP_1)
	v_min3_f32 v54, v26, v27, v54
	v_cvt_f32_f64_e32 v26, v[220:221]
	scratch_load_b32 v220, off, off offset:8 ; 4-byte Folded Reload
	v_cvt_f32_f64_e32 v27, v[218:219]
	v_min3_f32 v53, v26, v27, v53
	v_cvt_f32_f64_e32 v26, v[224:225]
	v_cvt_f32_f64_e32 v27, v[222:223]
	s_delay_alu instid0(VALU_DEP_1) | instskip(SKIP_2) | instid1(VALU_DEP_1)
	v_min3_f32 v132, v26, v27, v132
	v_cvt_f32_f64_e32 v26, v[228:229]
	v_cvt_f32_f64_e32 v27, v[226:227]
	v_min3_f32 v55, v26, v27, v55
	v_cvt_f32_f64_e32 v26, v[232:233]
	v_cvt_f32_f64_e32 v27, v[230:231]
	s_delay_alu instid0(VALU_DEP_1) | instskip(SKIP_2) | instid1(VALU_DEP_1)
	v_min3_f32 v235, v26, v27, v235
	v_cvt_f32_f64_e32 v26, v[236:237]
	;; [unrolled: 7-line block ×4, first 2 shown]
	v_cvt_f32_f64_e32 v27, v[250:251]
	v_min3_f32 v85, v26, v27, v85
	s_cbranch_vccz .LBB109_61
; %bb.62:
	s_clause 0x2
	s_load_b32 s18, s[0:1], 0x58
	s_load_b32 s9, s[0:1], 0x70
	s_load_b64 s[2:3], s[0:1], 0x78
	s_waitcnt vmcnt(0)
	v_add_nc_u32_e32 v19, s19, v220
	v_add_nc_u32_e32 v0, s14, v37
	v_cndmask_b32_e64 v18, 0, 1, s15
	s_delay_alu instid0(VALU_DEP_3) | instskip(NEXT) | instid1(VALU_DEP_3)
	v_cmp_gt_i32_e64 s8, s17, v19
	v_cmp_gt_i32_e64 s0, s16, v0
	v_ashrrev_i32_e32 v1, 31, v0
	s_waitcnt lgkmcnt(0)
	v_mad_i64_i32 v[2:3], null, v19, s18, 0
	v_mad_i64_i32 v[4:5], null, v19, s9, 0
	s_lshl_b64 s[2:3], s[2:3], 3
	s_delay_alu instid0(SALU_CYCLE_1) | instskip(SKIP_1) | instid1(VALU_DEP_2)
	s_add_u32 s14, s20, s2
	s_addc_u32 s19, s21, s3
	v_lshlrev_b64 v[2:3], 3, v[2:3]
	s_and_b32 s2, s0, s8
	s_delay_alu instid0(VALU_DEP_2) | instskip(NEXT) | instid1(VALU_DEP_2)
	v_lshlrev_b64 v[4:5], 3, v[4:5]
	v_add_co_u32 v16, vcc_lo, s12, v2
	s_delay_alu instid0(VALU_DEP_3) | instskip(NEXT) | instid1(VALU_DEP_3)
	v_add_co_ci_u32_e32 v17, vcc_lo, s13, v3, vcc_lo
	v_add_co_u32 v22, vcc_lo, s14, v4
	s_delay_alu instid0(VALU_DEP_4) | instskip(SKIP_3) | instid1(SALU_CYCLE_1)
	v_add_co_ci_u32_e32 v21, vcc_lo, s19, v5, vcc_lo
	s_mov_b32 s1, exec_lo
	v_dual_mov_b32 v29, v141 :: v_dual_mov_b32 v34, v79
	s_and_b32 s2, s1, s2
	s_mov_b32 exec_lo, s2
	s_cbranch_execz .LBB109_67
; %bb.63:
	s_and_not1_b32 vcc_lo, exec_lo, s15
	s_cbranch_vccnz .LBB109_65
; %bb.64:
	v_lshlrev_b64 v[2:3], 3, v[0:1]
	s_delay_alu instid0(VALU_DEP_1) | instskip(NEXT) | instid1(VALU_DEP_2)
	v_add_co_u32 v2, vcc_lo, v16, v2
	v_add_co_ci_u32_e32 v3, vcc_lo, v17, v3, vcc_lo
	flat_load_b64 v[2:3], v[2:3]
	s_waitcnt vmcnt(0) lgkmcnt(0)
	v_mul_f64 v[2:3], v[2:3], s[10:11]
	s_branch .LBB109_66
.LBB109_65:
	v_mov_b32_e32 v2, 0
	v_mov_b32_e32 v3, 0
.LBB109_66:
	s_delay_alu instid0(VALU_DEP_1) | instskip(SKIP_2) | instid1(VALU_DEP_1)
	v_cvt_f32_f64_e32 v2, v[2:3]
	v_max_f32_e32 v3, v209, v209
	v_lshlrev_b64 v[4:5], 3, v[0:1]
	v_add_co_u32 v4, vcc_lo, v22, v4
	s_delay_alu instid0(VALU_DEP_2) | instskip(NEXT) | instid1(VALU_DEP_4)
	v_add_co_ci_u32_e32 v5, vcc_lo, v21, v5, vcc_lo
	v_min_f32_e32 v2, v2, v3
	s_delay_alu instid0(VALU_DEP_1)
	v_cvt_f64_f32_e32 v[2:3], v2
	global_store_b64 v[4:5], v[2:3], off
.LBB109_67:
	s_or_b32 exec_lo, exec_lo, s1
	v_add_nc_u32_e32 v2, 32, v0
	s_delay_alu instid0(VALU_DEP_1) | instskip(SKIP_1) | instid1(VALU_DEP_2)
	v_cmp_gt_i32_e64 s1, s16, v2
	v_ashrrev_i32_e32 v3, 31, v2
	s_and_b32 s3, s1, s8
	s_delay_alu instid0(SALU_CYCLE_1)
	s_and_saveexec_b32 s2, s3
	s_cbranch_execz .LBB109_72
; %bb.68:
	v_cmp_ne_u32_e32 vcc_lo, 1, v18
	s_cbranch_vccnz .LBB109_70
; %bb.69:
	v_lshlrev_b64 v[4:5], 3, v[2:3]
	s_delay_alu instid0(VALU_DEP_1) | instskip(NEXT) | instid1(VALU_DEP_2)
	v_add_co_u32 v4, vcc_lo, v16, v4
	v_add_co_ci_u32_e32 v5, vcc_lo, v17, v5, vcc_lo
	flat_load_b64 v[4:5], v[4:5]
	s_waitcnt vmcnt(0) lgkmcnt(0)
	v_mul_f64 v[4:5], v[4:5], s[10:11]
	s_branch .LBB109_71
.LBB109_70:
	v_mov_b32_e32 v4, 0
	v_mov_b32_e32 v5, 0
.LBB109_71:
	s_delay_alu instid0(VALU_DEP_1) | instskip(SKIP_2) | instid1(VALU_DEP_1)
	v_cvt_f32_f64_e32 v4, v[4:5]
	v_max_f32_e32 v5, v119, v119
	v_lshlrev_b64 v[6:7], 3, v[2:3]
	v_add_co_u32 v6, vcc_lo, v22, v6
	s_delay_alu instid0(VALU_DEP_2) | instskip(NEXT) | instid1(VALU_DEP_4)
	v_add_co_ci_u32_e32 v7, vcc_lo, v21, v7, vcc_lo
	v_min_f32_e32 v4, v4, v5
	s_delay_alu instid0(VALU_DEP_1)
	v_cvt_f64_f32_e32 v[4:5], v4
	global_store_b64 v[6:7], v[4:5], off
.LBB109_72:
	s_or_b32 exec_lo, exec_lo, s2
	v_add_nc_u32_e32 v4, 64, v0
	s_delay_alu instid0(VALU_DEP_1) | instskip(SKIP_1) | instid1(VALU_DEP_2)
	v_cmp_gt_i32_e64 s2, s16, v4
	v_ashrrev_i32_e32 v5, 31, v4
	s_and_b32 s4, s2, s8
	s_delay_alu instid0(SALU_CYCLE_1)
	s_and_saveexec_b32 s3, s4
	s_cbranch_execz .LBB109_77
; %bb.73:
	v_cmp_ne_u32_e32 vcc_lo, 1, v18
	s_cbranch_vccnz .LBB109_75
; %bb.74:
	v_lshlrev_b64 v[6:7], 3, v[4:5]
	s_delay_alu instid0(VALU_DEP_1) | instskip(NEXT) | instid1(VALU_DEP_2)
	v_add_co_u32 v6, vcc_lo, v16, v6
	v_add_co_ci_u32_e32 v7, vcc_lo, v17, v7, vcc_lo
	flat_load_b64 v[6:7], v[6:7]
	s_waitcnt vmcnt(0) lgkmcnt(0)
	v_mul_f64 v[6:7], v[6:7], s[10:11]
	s_branch .LBB109_76
.LBB109_75:
	v_mov_b32_e32 v6, 0
	v_mov_b32_e32 v7, 0
.LBB109_76:
	s_delay_alu instid0(VALU_DEP_1) | instskip(SKIP_2) | instid1(VALU_DEP_1)
	v_cvt_f32_f64_e32 v6, v[6:7]
	v_max_f32_e32 v7, v234, v234
	v_lshlrev_b64 v[8:9], 3, v[4:5]
	v_add_co_u32 v8, vcc_lo, v22, v8
	s_delay_alu instid0(VALU_DEP_2) | instskip(NEXT) | instid1(VALU_DEP_4)
	v_add_co_ci_u32_e32 v9, vcc_lo, v21, v9, vcc_lo
	v_min_f32_e32 v6, v6, v7
	s_delay_alu instid0(VALU_DEP_1)
	v_cvt_f64_f32_e32 v[6:7], v6
	global_store_b64 v[8:9], v[6:7], off
.LBB109_77:
	;; [unrolled: 37-line block ×7, first 2 shown]
	s_or_b32 exec_lo, exec_lo, s8
	v_add_nc_u32_e32 v22, 8, v19
	s_delay_alu instid0(VALU_DEP_1) | instskip(SKIP_2) | instid1(VALU_DEP_3)
	v_mad_i64_i32 v[16:17], null, v22, s18, 0
	v_mad_i64_i32 v[20:21], null, v22, s9, 0
	v_cmp_gt_i32_e64 s8, s17, v22
	v_lshlrev_b64 v[16:17], 3, v[16:17]
	s_delay_alu instid0(VALU_DEP_2) | instskip(NEXT) | instid1(VALU_DEP_3)
	s_and_b32 s16, s0, s8
	v_lshlrev_b64 v[20:21], 3, v[20:21]
	s_delay_alu instid0(VALU_DEP_2) | instskip(NEXT) | instid1(VALU_DEP_3)
	v_add_co_u32 v24, vcc_lo, s12, v16
	v_add_co_ci_u32_e32 v23, vcc_lo, s13, v17, vcc_lo
	s_delay_alu instid0(VALU_DEP_3) | instskip(NEXT) | instid1(VALU_DEP_4)
	v_add_co_u32 v22, vcc_lo, s14, v20
	v_add_co_ci_u32_e32 v21, vcc_lo, s19, v21, vcc_lo
	s_and_saveexec_b32 s15, s16
	s_cbranch_execnz .LBB109_110
; %bb.103:
	s_or_b32 exec_lo, exec_lo, s15
	s_and_b32 s16, s1, s8
	s_delay_alu instid0(SALU_CYCLE_1)
	s_and_saveexec_b32 s15, s16
	s_cbranch_execnz .LBB109_114
.LBB109_104:
	s_or_b32 exec_lo, exec_lo, s15
	s_and_b32 s16, s2, s8
	s_delay_alu instid0(SALU_CYCLE_1)
	s_and_saveexec_b32 s15, s16
	s_cbranch_execnz .LBB109_118
.LBB109_105:
	s_or_b32 exec_lo, exec_lo, s15
	s_and_b32 s16, s3, s8
	s_delay_alu instid0(SALU_CYCLE_1)
	s_and_saveexec_b32 s15, s16
	s_cbranch_execnz .LBB109_122
.LBB109_106:
	s_or_b32 exec_lo, exec_lo, s15
	s_and_b32 s16, s4, s8
	s_delay_alu instid0(SALU_CYCLE_1)
	s_and_saveexec_b32 s15, s16
	s_cbranch_execnz .LBB109_126
.LBB109_107:
	s_or_b32 exec_lo, exec_lo, s15
	s_and_b32 s16, s5, s8
	s_delay_alu instid0(SALU_CYCLE_1)
	s_and_saveexec_b32 s15, s16
	s_cbranch_execnz .LBB109_130
.LBB109_108:
	s_or_b32 exec_lo, exec_lo, s15
	s_and_b32 s16, s6, s8
	s_delay_alu instid0(SALU_CYCLE_1)
	s_and_saveexec_b32 s15, s16
	s_cbranch_execnz .LBB109_134
.LBB109_109:
	s_or_b32 exec_lo, exec_lo, s15
	s_and_b32 s15, s7, s8
	s_delay_alu instid0(SALU_CYCLE_1)
	s_and_saveexec_b32 s8, s15
	s_cbranch_execnz .LBB109_138
	s_branch .LBB109_142
.LBB109_110:
	v_cmp_ne_u32_e32 vcc_lo, 1, v18
	s_cbranch_vccnz .LBB109_112
; %bb.111:
	v_lshlrev_b64 v[16:17], 3, v[0:1]
	s_delay_alu instid0(VALU_DEP_1) | instskip(NEXT) | instid1(VALU_DEP_2)
	v_add_co_u32 v16, vcc_lo, v24, v16
	v_add_co_ci_u32_e32 v17, vcc_lo, v23, v17, vcc_lo
	flat_load_b64 v[16:17], v[16:17]
	s_waitcnt vmcnt(0) lgkmcnt(0)
	v_mul_f64 v[16:17], v[16:17], s[10:11]
	s_branch .LBB109_113
.LBB109_112:
	v_mov_b32_e32 v16, 0
	v_mov_b32_e32 v17, 0
.LBB109_113:
	s_delay_alu instid0(VALU_DEP_1) | instskip(SKIP_2) | instid1(VALU_DEP_1)
	v_cvt_f32_f64_e32 v16, v[16:17]
	v_max_f32_e32 v17, v121, v121
	v_lshlrev_b64 v[25:26], 3, v[0:1]
	v_add_co_u32 v25, vcc_lo, v22, v25
	s_delay_alu instid0(VALU_DEP_2) | instskip(NEXT) | instid1(VALU_DEP_4)
	v_add_co_ci_u32_e32 v26, vcc_lo, v21, v26, vcc_lo
	v_min_f32_e32 v16, v16, v17
	s_delay_alu instid0(VALU_DEP_1) | instskip(SKIP_3) | instid1(SALU_CYCLE_1)
	v_cvt_f64_f32_e32 v[16:17], v16
	global_store_b64 v[25:26], v[16:17], off
	s_or_b32 exec_lo, exec_lo, s15
	s_and_b32 s16, s1, s8
	s_and_saveexec_b32 s15, s16
	s_cbranch_execz .LBB109_104
.LBB109_114:
	v_cmp_ne_u32_e32 vcc_lo, 1, v18
	s_cbranch_vccnz .LBB109_116
; %bb.115:
	v_lshlrev_b64 v[16:17], 3, v[2:3]
	s_delay_alu instid0(VALU_DEP_1) | instskip(NEXT) | instid1(VALU_DEP_2)
	v_add_co_u32 v16, vcc_lo, v24, v16
	v_add_co_ci_u32_e32 v17, vcc_lo, v23, v17, vcc_lo
	flat_load_b64 v[16:17], v[16:17]
	s_waitcnt vmcnt(0) lgkmcnt(0)
	v_mul_f64 v[16:17], v[16:17], s[10:11]
	s_branch .LBB109_117
.LBB109_116:
	v_mov_b32_e32 v16, 0
	v_mov_b32_e32 v17, 0
.LBB109_117:
	s_delay_alu instid0(VALU_DEP_1) | instskip(SKIP_2) | instid1(VALU_DEP_1)
	v_cvt_f32_f64_e32 v16, v[16:17]
	v_max_f32_e32 v17, v125, v125
	v_lshlrev_b64 v[25:26], 3, v[2:3]
	v_add_co_u32 v25, vcc_lo, v22, v25
	s_delay_alu instid0(VALU_DEP_2) | instskip(NEXT) | instid1(VALU_DEP_4)
	v_add_co_ci_u32_e32 v26, vcc_lo, v21, v26, vcc_lo
	v_min_f32_e32 v16, v16, v17
	s_delay_alu instid0(VALU_DEP_1) | instskip(SKIP_3) | instid1(SALU_CYCLE_1)
	v_cvt_f64_f32_e32 v[16:17], v16
	global_store_b64 v[25:26], v[16:17], off
	s_or_b32 exec_lo, exec_lo, s15
	s_and_b32 s16, s2, s8
	s_and_saveexec_b32 s15, s16
	s_cbranch_execz .LBB109_105
.LBB109_118:
	v_cmp_ne_u32_e32 vcc_lo, 1, v18
	s_cbranch_vccnz .LBB109_120
; %bb.119:
	v_lshlrev_b64 v[16:17], 3, v[4:5]
	s_delay_alu instid0(VALU_DEP_1) | instskip(NEXT) | instid1(VALU_DEP_2)
	v_add_co_u32 v16, vcc_lo, v24, v16
	v_add_co_ci_u32_e32 v17, vcc_lo, v23, v17, vcc_lo
	flat_load_b64 v[16:17], v[16:17]
	s_waitcnt vmcnt(0) lgkmcnt(0)
	v_mul_f64 v[16:17], v[16:17], s[10:11]
	s_branch .LBB109_121
.LBB109_120:
	v_mov_b32_e32 v16, 0
	v_mov_b32_e32 v17, 0
.LBB109_121:
	s_delay_alu instid0(VALU_DEP_1) | instskip(SKIP_2) | instid1(VALU_DEP_1)
	v_cvt_f32_f64_e32 v16, v[16:17]
	v_max_f32_e32 v17, v86, v86
	v_lshlrev_b64 v[25:26], 3, v[4:5]
	v_add_co_u32 v25, vcc_lo, v22, v25
	s_delay_alu instid0(VALU_DEP_2) | instskip(NEXT) | instid1(VALU_DEP_4)
	v_add_co_ci_u32_e32 v26, vcc_lo, v21, v26, vcc_lo
	v_min_f32_e32 v16, v16, v17
	s_delay_alu instid0(VALU_DEP_1) | instskip(SKIP_3) | instid1(SALU_CYCLE_1)
	v_cvt_f64_f32_e32 v[16:17], v16
	global_store_b64 v[25:26], v[16:17], off
	s_or_b32 exec_lo, exec_lo, s15
	s_and_b32 s16, s3, s8
	s_and_saveexec_b32 s15, s16
	s_cbranch_execz .LBB109_106
.LBB109_122:
	v_cmp_ne_u32_e32 vcc_lo, 1, v18
	s_cbranch_vccnz .LBB109_124
; %bb.123:
	v_lshlrev_b64 v[16:17], 3, v[6:7]
	s_delay_alu instid0(VALU_DEP_1) | instskip(NEXT) | instid1(VALU_DEP_2)
	v_add_co_u32 v16, vcc_lo, v24, v16
	v_add_co_ci_u32_e32 v17, vcc_lo, v23, v17, vcc_lo
	flat_load_b64 v[16:17], v[16:17]
	s_waitcnt vmcnt(0) lgkmcnt(0)
	v_mul_f64 v[16:17], v[16:17], s[10:11]
	s_branch .LBB109_125
.LBB109_124:
	v_mov_b32_e32 v16, 0
	v_mov_b32_e32 v17, 0
.LBB109_125:
	s_delay_alu instid0(VALU_DEP_1) | instskip(SKIP_2) | instid1(VALU_DEP_1)
	v_cvt_f32_f64_e32 v16, v[16:17]
	v_max_f32_e32 v17, v111, v111
	v_lshlrev_b64 v[25:26], 3, v[6:7]
	v_add_co_u32 v25, vcc_lo, v22, v25
	s_delay_alu instid0(VALU_DEP_2) | instskip(NEXT) | instid1(VALU_DEP_4)
	v_add_co_ci_u32_e32 v26, vcc_lo, v21, v26, vcc_lo
	v_min_f32_e32 v16, v16, v17
	s_delay_alu instid0(VALU_DEP_1) | instskip(SKIP_3) | instid1(SALU_CYCLE_1)
	v_cvt_f64_f32_e32 v[16:17], v16
	global_store_b64 v[25:26], v[16:17], off
	s_or_b32 exec_lo, exec_lo, s15
	s_and_b32 s16, s4, s8
	s_and_saveexec_b32 s15, s16
	s_cbranch_execz .LBB109_107
.LBB109_126:
	v_cmp_ne_u32_e32 vcc_lo, 1, v18
	s_cbranch_vccnz .LBB109_128
; %bb.127:
	v_lshlrev_b64 v[16:17], 3, v[8:9]
	s_delay_alu instid0(VALU_DEP_1) | instskip(NEXT) | instid1(VALU_DEP_2)
	v_add_co_u32 v16, vcc_lo, v24, v16
	v_add_co_ci_u32_e32 v17, vcc_lo, v23, v17, vcc_lo
	flat_load_b64 v[16:17], v[16:17]
	s_waitcnt vmcnt(0) lgkmcnt(0)
	v_mul_f64 v[16:17], v[16:17], s[10:11]
	s_branch .LBB109_129
.LBB109_128:
	v_mov_b32_e32 v16, 0
	v_mov_b32_e32 v17, 0
.LBB109_129:
	s_delay_alu instid0(VALU_DEP_1) | instskip(SKIP_2) | instid1(VALU_DEP_1)
	v_cvt_f32_f64_e32 v16, v[16:17]
	v_max_f32_e32 v17, v110, v110
	v_lshlrev_b64 v[25:26], 3, v[8:9]
	v_add_co_u32 v25, vcc_lo, v22, v25
	s_delay_alu instid0(VALU_DEP_2) | instskip(NEXT) | instid1(VALU_DEP_4)
	v_add_co_ci_u32_e32 v26, vcc_lo, v21, v26, vcc_lo
	v_min_f32_e32 v16, v16, v17
	s_delay_alu instid0(VALU_DEP_1) | instskip(SKIP_3) | instid1(SALU_CYCLE_1)
	v_cvt_f64_f32_e32 v[16:17], v16
	global_store_b64 v[25:26], v[16:17], off
	s_or_b32 exec_lo, exec_lo, s15
	s_and_b32 s16, s5, s8
	s_and_saveexec_b32 s15, s16
	s_cbranch_execz .LBB109_108
.LBB109_130:
	v_cmp_ne_u32_e32 vcc_lo, 1, v18
	s_cbranch_vccnz .LBB109_132
; %bb.131:
	v_lshlrev_b64 v[16:17], 3, v[10:11]
	s_delay_alu instid0(VALU_DEP_1) | instskip(NEXT) | instid1(VALU_DEP_2)
	v_add_co_u32 v16, vcc_lo, v24, v16
	v_add_co_ci_u32_e32 v17, vcc_lo, v23, v17, vcc_lo
	flat_load_b64 v[16:17], v[16:17]
	s_waitcnt vmcnt(0) lgkmcnt(0)
	v_mul_f64 v[16:17], v[16:17], s[10:11]
	s_branch .LBB109_133
.LBB109_132:
	v_mov_b32_e32 v16, 0
	v_mov_b32_e32 v17, 0
.LBB109_133:
	s_delay_alu instid0(VALU_DEP_1) | instskip(SKIP_2) | instid1(VALU_DEP_1)
	v_cvt_f32_f64_e32 v16, v[16:17]
	v_max_f32_e32 v17, v105, v105
	v_lshlrev_b64 v[25:26], 3, v[10:11]
	v_add_co_u32 v25, vcc_lo, v22, v25
	s_delay_alu instid0(VALU_DEP_2) | instskip(NEXT) | instid1(VALU_DEP_4)
	v_add_co_ci_u32_e32 v26, vcc_lo, v21, v26, vcc_lo
	v_min_f32_e32 v16, v16, v17
	s_delay_alu instid0(VALU_DEP_1) | instskip(SKIP_3) | instid1(SALU_CYCLE_1)
	v_cvt_f64_f32_e32 v[16:17], v16
	global_store_b64 v[25:26], v[16:17], off
	s_or_b32 exec_lo, exec_lo, s15
	s_and_b32 s16, s6, s8
	s_and_saveexec_b32 s15, s16
	s_cbranch_execz .LBB109_109
.LBB109_134:
	v_cmp_ne_u32_e32 vcc_lo, 1, v18
	s_cbranch_vccnz .LBB109_136
; %bb.135:
	v_lshlrev_b64 v[16:17], 3, v[12:13]
	s_delay_alu instid0(VALU_DEP_1) | instskip(NEXT) | instid1(VALU_DEP_2)
	v_add_co_u32 v16, vcc_lo, v24, v16
	v_add_co_ci_u32_e32 v17, vcc_lo, v23, v17, vcc_lo
	flat_load_b64 v[16:17], v[16:17]
	s_waitcnt vmcnt(0) lgkmcnt(0)
	v_mul_f64 v[16:17], v[16:17], s[10:11]
	s_branch .LBB109_137
.LBB109_136:
	v_mov_b32_e32 v16, 0
	v_mov_b32_e32 v17, 0
.LBB109_137:
	s_delay_alu instid0(VALU_DEP_1) | instskip(SKIP_2) | instid1(VALU_DEP_1)
	v_cvt_f32_f64_e32 v16, v[16:17]
	v_max_f32_e32 v17, v104, v104
	v_lshlrev_b64 v[25:26], 3, v[12:13]
	v_add_co_u32 v25, vcc_lo, v22, v25
	s_delay_alu instid0(VALU_DEP_2) | instskip(NEXT) | instid1(VALU_DEP_4)
	v_add_co_ci_u32_e32 v26, vcc_lo, v21, v26, vcc_lo
	v_min_f32_e32 v16, v16, v17
	s_delay_alu instid0(VALU_DEP_1) | instskip(SKIP_3) | instid1(SALU_CYCLE_1)
	v_cvt_f64_f32_e32 v[16:17], v16
	global_store_b64 v[25:26], v[16:17], off
	s_or_b32 exec_lo, exec_lo, s15
	s_and_b32 s15, s7, s8
	s_and_saveexec_b32 s8, s15
	s_cbranch_execz .LBB109_142
.LBB109_138:
	v_cmp_ne_u32_e32 vcc_lo, 1, v18
	s_cbranch_vccnz .LBB109_140
; %bb.139:
	v_lshlrev_b64 v[16:17], 3, v[14:15]
	s_delay_alu instid0(VALU_DEP_1) | instskip(NEXT) | instid1(VALU_DEP_2)
	v_add_co_u32 v16, vcc_lo, v24, v16
	v_add_co_ci_u32_e32 v17, vcc_lo, v23, v17, vcc_lo
	flat_load_b64 v[16:17], v[16:17]
	s_waitcnt vmcnt(0) lgkmcnt(0)
	v_mul_f64 v[16:17], v[16:17], s[10:11]
	s_branch .LBB109_141
.LBB109_140:
	v_mov_b32_e32 v16, 0
	v_mov_b32_e32 v17, 0
.LBB109_141:
	s_delay_alu instid0(VALU_DEP_1) | instskip(SKIP_2) | instid1(VALU_DEP_1)
	v_cvt_f32_f64_e32 v16, v[16:17]
	v_max_f32_e32 v17, v65, v65
	v_lshlrev_b64 v[23:24], 3, v[14:15]
	v_add_co_u32 v20, vcc_lo, v22, v23
	s_delay_alu instid0(VALU_DEP_2) | instskip(NEXT) | instid1(VALU_DEP_4)
	v_add_co_ci_u32_e32 v21, vcc_lo, v21, v24, vcc_lo
	v_min_f32_e32 v16, v16, v17
	s_delay_alu instid0(VALU_DEP_1)
	v_cvt_f64_f32_e32 v[16:17], v16
	global_store_b64 v[20:21], v[16:17], off
.LBB109_142:
	s_or_b32 exec_lo, exec_lo, s8
	v_add_nc_u32_e32 v22, 16, v19
	s_delay_alu instid0(VALU_DEP_1) | instskip(SKIP_2) | instid1(VALU_DEP_3)
	v_mad_i64_i32 v[16:17], null, v22, s18, 0
	v_mad_i64_i32 v[20:21], null, v22, s9, 0
	v_cmp_gt_i32_e64 s8, s17, v22
	v_lshlrev_b64 v[16:17], 3, v[16:17]
	s_delay_alu instid0(VALU_DEP_2) | instskip(NEXT) | instid1(VALU_DEP_3)
	s_and_b32 s16, s0, s8
	v_lshlrev_b64 v[20:21], 3, v[20:21]
	s_delay_alu instid0(VALU_DEP_2) | instskip(NEXT) | instid1(VALU_DEP_3)
	v_add_co_u32 v24, vcc_lo, s12, v16
	v_add_co_ci_u32_e32 v23, vcc_lo, s13, v17, vcc_lo
	s_delay_alu instid0(VALU_DEP_3) | instskip(NEXT) | instid1(VALU_DEP_4)
	v_add_co_u32 v22, vcc_lo, s14, v20
	v_add_co_ci_u32_e32 v21, vcc_lo, s19, v21, vcc_lo
	s_and_saveexec_b32 s15, s16
	s_cbranch_execnz .LBB109_150
; %bb.143:
	s_or_b32 exec_lo, exec_lo, s15
	s_and_b32 s16, s1, s8
	s_delay_alu instid0(SALU_CYCLE_1)
	s_and_saveexec_b32 s15, s16
	s_cbranch_execnz .LBB109_154
.LBB109_144:
	s_or_b32 exec_lo, exec_lo, s15
	s_and_b32 s16, s2, s8
	s_delay_alu instid0(SALU_CYCLE_1)
	s_and_saveexec_b32 s15, s16
	s_cbranch_execnz .LBB109_158
.LBB109_145:
	s_or_b32 exec_lo, exec_lo, s15
	s_and_b32 s16, s3, s8
	s_delay_alu instid0(SALU_CYCLE_1)
	s_and_saveexec_b32 s15, s16
	s_cbranch_execnz .LBB109_162
.LBB109_146:
	s_or_b32 exec_lo, exec_lo, s15
	s_and_b32 s16, s4, s8
	s_delay_alu instid0(SALU_CYCLE_1)
	s_and_saveexec_b32 s15, s16
	s_cbranch_execnz .LBB109_166
.LBB109_147:
	s_or_b32 exec_lo, exec_lo, s15
	s_and_b32 s16, s5, s8
	s_delay_alu instid0(SALU_CYCLE_1)
	s_and_saveexec_b32 s15, s16
	s_cbranch_execnz .LBB109_170
.LBB109_148:
	s_or_b32 exec_lo, exec_lo, s15
	s_and_b32 s16, s6, s8
	s_delay_alu instid0(SALU_CYCLE_1)
	s_and_saveexec_b32 s15, s16
	s_cbranch_execnz .LBB109_174
.LBB109_149:
	s_or_b32 exec_lo, exec_lo, s15
	s_and_b32 s15, s7, s8
	s_delay_alu instid0(SALU_CYCLE_1)
	s_and_saveexec_b32 s8, s15
	s_cbranch_execnz .LBB109_178
	s_branch .LBB109_182
.LBB109_150:
	v_cmp_ne_u32_e32 vcc_lo, 1, v18
	s_cbranch_vccnz .LBB109_152
; %bb.151:
	v_lshlrev_b64 v[16:17], 3, v[0:1]
	s_delay_alu instid0(VALU_DEP_1) | instskip(NEXT) | instid1(VALU_DEP_2)
	v_add_co_u32 v16, vcc_lo, v24, v16
	v_add_co_ci_u32_e32 v17, vcc_lo, v23, v17, vcc_lo
	flat_load_b64 v[16:17], v[16:17]
	s_waitcnt vmcnt(0) lgkmcnt(0)
	v_mul_f64 v[16:17], v[16:17], s[10:11]
	s_branch .LBB109_153
.LBB109_152:
	v_mov_b32_e32 v16, 0
	v_mov_b32_e32 v17, 0
.LBB109_153:
	s_delay_alu instid0(VALU_DEP_1) | instskip(SKIP_2) | instid1(VALU_DEP_1)
	v_cvt_f32_f64_e32 v16, v[16:17]
	v_max_f32_e32 v17, v115, v115
	v_lshlrev_b64 v[25:26], 3, v[0:1]
	v_add_co_u32 v25, vcc_lo, v22, v25
	s_delay_alu instid0(VALU_DEP_2) | instskip(NEXT) | instid1(VALU_DEP_4)
	v_add_co_ci_u32_e32 v26, vcc_lo, v21, v26, vcc_lo
	v_min_f32_e32 v16, v16, v17
	s_delay_alu instid0(VALU_DEP_1) | instskip(SKIP_3) | instid1(SALU_CYCLE_1)
	v_cvt_f64_f32_e32 v[16:17], v16
	global_store_b64 v[25:26], v[16:17], off
	s_or_b32 exec_lo, exec_lo, s15
	s_and_b32 s16, s1, s8
	s_and_saveexec_b32 s15, s16
	s_cbranch_execz .LBB109_144
.LBB109_154:
	v_cmp_ne_u32_e32 vcc_lo, 1, v18
	s_cbranch_vccnz .LBB109_156
; %bb.155:
	v_lshlrev_b64 v[16:17], 3, v[2:3]
	s_delay_alu instid0(VALU_DEP_1) | instskip(NEXT) | instid1(VALU_DEP_2)
	v_add_co_u32 v16, vcc_lo, v24, v16
	v_add_co_ci_u32_e32 v17, vcc_lo, v23, v17, vcc_lo
	flat_load_b64 v[16:17], v[16:17]
	s_waitcnt vmcnt(0) lgkmcnt(0)
	v_mul_f64 v[16:17], v[16:17], s[10:11]
	s_branch .LBB109_157
.LBB109_156:
	v_mov_b32_e32 v16, 0
	v_mov_b32_e32 v17, 0
.LBB109_157:
	s_delay_alu instid0(VALU_DEP_1) | instskip(SKIP_2) | instid1(VALU_DEP_1)
	v_cvt_f32_f64_e32 v16, v[16:17]
	v_max_f32_e32 v17, v114, v114
	v_lshlrev_b64 v[25:26], 3, v[2:3]
	v_add_co_u32 v25, vcc_lo, v22, v25
	s_delay_alu instid0(VALU_DEP_2) | instskip(NEXT) | instid1(VALU_DEP_4)
	v_add_co_ci_u32_e32 v26, vcc_lo, v21, v26, vcc_lo
	v_min_f32_e32 v16, v16, v17
	s_delay_alu instid0(VALU_DEP_1) | instskip(SKIP_3) | instid1(SALU_CYCLE_1)
	v_cvt_f64_f32_e32 v[16:17], v16
	global_store_b64 v[25:26], v[16:17], off
	s_or_b32 exec_lo, exec_lo, s15
	s_and_b32 s16, s2, s8
	s_and_saveexec_b32 s15, s16
	s_cbranch_execz .LBB109_145
.LBB109_158:
	v_cmp_ne_u32_e32 vcc_lo, 1, v18
	s_cbranch_vccnz .LBB109_160
; %bb.159:
	v_lshlrev_b64 v[16:17], 3, v[4:5]
	s_delay_alu instid0(VALU_DEP_1) | instskip(NEXT) | instid1(VALU_DEP_2)
	v_add_co_u32 v16, vcc_lo, v24, v16
	v_add_co_ci_u32_e32 v17, vcc_lo, v23, v17, vcc_lo
	flat_load_b64 v[16:17], v[16:17]
	s_waitcnt vmcnt(0) lgkmcnt(0)
	v_mul_f64 v[16:17], v[16:17], s[10:11]
	s_branch .LBB109_161
.LBB109_160:
	v_mov_b32_e32 v16, 0
	v_mov_b32_e32 v17, 0
.LBB109_161:
	s_delay_alu instid0(VALU_DEP_1) | instskip(SKIP_2) | instid1(VALU_DEP_1)
	v_cvt_f32_f64_e32 v16, v[16:17]
	v_max_f32_e32 v17, v57, v57
	v_lshlrev_b64 v[25:26], 3, v[4:5]
	v_add_co_u32 v25, vcc_lo, v22, v25
	s_delay_alu instid0(VALU_DEP_2) | instskip(NEXT) | instid1(VALU_DEP_4)
	v_add_co_ci_u32_e32 v26, vcc_lo, v21, v26, vcc_lo
	v_min_f32_e32 v16, v16, v17
	s_delay_alu instid0(VALU_DEP_1) | instskip(SKIP_3) | instid1(SALU_CYCLE_1)
	v_cvt_f64_f32_e32 v[16:17], v16
	global_store_b64 v[25:26], v[16:17], off
	s_or_b32 exec_lo, exec_lo, s15
	s_and_b32 s16, s3, s8
	s_and_saveexec_b32 s15, s16
	s_cbranch_execz .LBB109_146
.LBB109_162:
	v_cmp_ne_u32_e32 vcc_lo, 1, v18
	s_cbranch_vccnz .LBB109_164
; %bb.163:
	v_lshlrev_b64 v[16:17], 3, v[6:7]
	s_delay_alu instid0(VALU_DEP_1) | instskip(NEXT) | instid1(VALU_DEP_2)
	v_add_co_u32 v16, vcc_lo, v24, v16
	v_add_co_ci_u32_e32 v17, vcc_lo, v23, v17, vcc_lo
	flat_load_b64 v[16:17], v[16:17]
	s_waitcnt vmcnt(0) lgkmcnt(0)
	v_mul_f64 v[16:17], v[16:17], s[10:11]
	s_branch .LBB109_165
.LBB109_164:
	v_mov_b32_e32 v16, 0
	v_mov_b32_e32 v17, 0
.LBB109_165:
	s_delay_alu instid0(VALU_DEP_1) | instskip(SKIP_2) | instid1(VALU_DEP_1)
	v_cvt_f32_f64_e32 v16, v[16:17]
	v_max_f32_e32 v17, v108, v108
	v_lshlrev_b64 v[25:26], 3, v[6:7]
	v_add_co_u32 v25, vcc_lo, v22, v25
	s_delay_alu instid0(VALU_DEP_2) | instskip(NEXT) | instid1(VALU_DEP_4)
	v_add_co_ci_u32_e32 v26, vcc_lo, v21, v26, vcc_lo
	v_min_f32_e32 v16, v16, v17
	s_delay_alu instid0(VALU_DEP_1) | instskip(SKIP_3) | instid1(SALU_CYCLE_1)
	v_cvt_f64_f32_e32 v[16:17], v16
	global_store_b64 v[25:26], v[16:17], off
	s_or_b32 exec_lo, exec_lo, s15
	s_and_b32 s16, s4, s8
	s_and_saveexec_b32 s15, s16
	s_cbranch_execz .LBB109_147
.LBB109_166:
	v_cmp_ne_u32_e32 vcc_lo, 1, v18
	s_cbranch_vccnz .LBB109_168
; %bb.167:
	v_lshlrev_b64 v[16:17], 3, v[8:9]
	s_delay_alu instid0(VALU_DEP_1) | instskip(NEXT) | instid1(VALU_DEP_2)
	v_add_co_u32 v16, vcc_lo, v24, v16
	v_add_co_ci_u32_e32 v17, vcc_lo, v23, v17, vcc_lo
	flat_load_b64 v[16:17], v[16:17]
	s_waitcnt vmcnt(0) lgkmcnt(0)
	v_mul_f64 v[16:17], v[16:17], s[10:11]
	s_branch .LBB109_169
.LBB109_168:
	v_mov_b32_e32 v16, 0
	v_mov_b32_e32 v17, 0
.LBB109_169:
	s_delay_alu instid0(VALU_DEP_1) | instskip(SKIP_2) | instid1(VALU_DEP_1)
	v_cvt_f32_f64_e32 v16, v[16:17]
	v_max_f32_e32 v17, v112, v112
	v_lshlrev_b64 v[25:26], 3, v[8:9]
	v_add_co_u32 v25, vcc_lo, v22, v25
	s_delay_alu instid0(VALU_DEP_2) | instskip(NEXT) | instid1(VALU_DEP_4)
	v_add_co_ci_u32_e32 v26, vcc_lo, v21, v26, vcc_lo
	v_min_f32_e32 v16, v16, v17
	s_delay_alu instid0(VALU_DEP_1) | instskip(SKIP_3) | instid1(SALU_CYCLE_1)
	v_cvt_f64_f32_e32 v[16:17], v16
	global_store_b64 v[25:26], v[16:17], off
	s_or_b32 exec_lo, exec_lo, s15
	s_and_b32 s16, s5, s8
	s_and_saveexec_b32 s15, s16
	s_cbranch_execz .LBB109_148
.LBB109_170:
	v_cmp_ne_u32_e32 vcc_lo, 1, v18
	s_cbranch_vccnz .LBB109_172
; %bb.171:
	v_lshlrev_b64 v[16:17], 3, v[10:11]
	s_delay_alu instid0(VALU_DEP_1) | instskip(NEXT) | instid1(VALU_DEP_2)
	v_add_co_u32 v16, vcc_lo, v24, v16
	v_add_co_ci_u32_e32 v17, vcc_lo, v23, v17, vcc_lo
	flat_load_b64 v[16:17], v[16:17]
	s_waitcnt vmcnt(0) lgkmcnt(0)
	v_mul_f64 v[16:17], v[16:17], s[10:11]
	s_branch .LBB109_173
.LBB109_172:
	v_mov_b32_e32 v16, 0
	v_mov_b32_e32 v17, 0
.LBB109_173:
	s_delay_alu instid0(VALU_DEP_1) | instskip(SKIP_2) | instid1(VALU_DEP_1)
	v_cvt_f32_f64_e32 v16, v[16:17]
	v_max_f32_e32 v17, v28, v28
	v_lshlrev_b64 v[25:26], 3, v[10:11]
	v_add_co_u32 v25, vcc_lo, v22, v25
	s_delay_alu instid0(VALU_DEP_2) | instskip(NEXT) | instid1(VALU_DEP_4)
	v_add_co_ci_u32_e32 v26, vcc_lo, v21, v26, vcc_lo
	v_min_f32_e32 v16, v16, v17
	s_delay_alu instid0(VALU_DEP_1) | instskip(SKIP_3) | instid1(SALU_CYCLE_1)
	v_cvt_f64_f32_e32 v[16:17], v16
	global_store_b64 v[25:26], v[16:17], off
	s_or_b32 exec_lo, exec_lo, s15
	s_and_b32 s16, s6, s8
	s_and_saveexec_b32 s15, s16
	s_cbranch_execz .LBB109_149
.LBB109_174:
	v_cmp_ne_u32_e32 vcc_lo, 1, v18
	s_cbranch_vccnz .LBB109_176
; %bb.175:
	v_lshlrev_b64 v[16:17], 3, v[12:13]
	s_delay_alu instid0(VALU_DEP_1) | instskip(NEXT) | instid1(VALU_DEP_2)
	v_add_co_u32 v16, vcc_lo, v24, v16
	v_add_co_ci_u32_e32 v17, vcc_lo, v23, v17, vcc_lo
	flat_load_b64 v[16:17], v[16:17]
	s_waitcnt vmcnt(0) lgkmcnt(0)
	v_mul_f64 v[16:17], v[16:17], s[10:11]
	s_branch .LBB109_177
.LBB109_176:
	v_mov_b32_e32 v16, 0
	v_mov_b32_e32 v17, 0
.LBB109_177:
	s_delay_alu instid0(VALU_DEP_1) | instskip(SKIP_2) | instid1(VALU_DEP_1)
	v_cvt_f32_f64_e32 v16, v[16:17]
	v_max_f32_e32 v17, v123, v123
	v_lshlrev_b64 v[25:26], 3, v[12:13]
	v_add_co_u32 v25, vcc_lo, v22, v25
	s_delay_alu instid0(VALU_DEP_2) | instskip(NEXT) | instid1(VALU_DEP_4)
	v_add_co_ci_u32_e32 v26, vcc_lo, v21, v26, vcc_lo
	v_min_f32_e32 v16, v16, v17
	s_delay_alu instid0(VALU_DEP_1) | instskip(SKIP_3) | instid1(SALU_CYCLE_1)
	v_cvt_f64_f32_e32 v[16:17], v16
	global_store_b64 v[25:26], v[16:17], off
	s_or_b32 exec_lo, exec_lo, s15
	s_and_b32 s15, s7, s8
	s_and_saveexec_b32 s8, s15
	s_cbranch_execz .LBB109_182
.LBB109_178:
	v_cmp_ne_u32_e32 vcc_lo, 1, v18
	s_cbranch_vccnz .LBB109_180
; %bb.179:
	v_lshlrev_b64 v[16:17], 3, v[14:15]
	s_delay_alu instid0(VALU_DEP_1) | instskip(NEXT) | instid1(VALU_DEP_2)
	v_add_co_u32 v16, vcc_lo, v24, v16
	v_add_co_ci_u32_e32 v17, vcc_lo, v23, v17, vcc_lo
	flat_load_b64 v[16:17], v[16:17]
	s_waitcnt vmcnt(0) lgkmcnt(0)
	v_mul_f64 v[16:17], v[16:17], s[10:11]
	s_branch .LBB109_181
.LBB109_180:
	v_mov_b32_e32 v16, 0
	v_mov_b32_e32 v17, 0
.LBB109_181:
	s_delay_alu instid0(VALU_DEP_1) | instskip(SKIP_2) | instid1(VALU_DEP_1)
	v_cvt_f32_f64_e32 v16, v[16:17]
	v_max_f32_e32 v17, v205, v205
	v_lshlrev_b64 v[23:24], 3, v[14:15]
	v_add_co_u32 v20, vcc_lo, v22, v23
	s_delay_alu instid0(VALU_DEP_2) | instskip(NEXT) | instid1(VALU_DEP_4)
	v_add_co_ci_u32_e32 v21, vcc_lo, v21, v24, vcc_lo
	v_min_f32_e32 v16, v16, v17
	s_delay_alu instid0(VALU_DEP_1)
	v_cvt_f64_f32_e32 v[16:17], v16
	global_store_b64 v[20:21], v[16:17], off
.LBB109_182:
	s_or_b32 exec_lo, exec_lo, s8
	v_add_nc_u32_e32 v22, 24, v19
	s_delay_alu instid0(VALU_DEP_1) | instskip(SKIP_2) | instid1(VALU_DEP_3)
	v_mad_i64_i32 v[16:17], null, v22, s18, 0
	v_mad_i64_i32 v[20:21], null, v22, s9, 0
	v_cmp_gt_i32_e64 s8, s17, v22
	v_lshlrev_b64 v[16:17], 3, v[16:17]
	s_delay_alu instid0(VALU_DEP_2) | instskip(NEXT) | instid1(VALU_DEP_3)
	s_and_b32 s16, s0, s8
	v_lshlrev_b64 v[20:21], 3, v[20:21]
	s_delay_alu instid0(VALU_DEP_2) | instskip(NEXT) | instid1(VALU_DEP_3)
	v_add_co_u32 v24, vcc_lo, s12, v16
	v_add_co_ci_u32_e32 v23, vcc_lo, s13, v17, vcc_lo
	s_delay_alu instid0(VALU_DEP_3) | instskip(NEXT) | instid1(VALU_DEP_4)
	v_add_co_u32 v22, vcc_lo, s14, v20
	v_add_co_ci_u32_e32 v21, vcc_lo, s19, v21, vcc_lo
	s_and_saveexec_b32 s15, s16
	s_cbranch_execnz .LBB109_190
; %bb.183:
	s_or_b32 exec_lo, exec_lo, s15
	s_and_b32 s16, s1, s8
	s_delay_alu instid0(SALU_CYCLE_1)
	s_and_saveexec_b32 s15, s16
	s_cbranch_execnz .LBB109_194
.LBB109_184:
	s_or_b32 exec_lo, exec_lo, s15
	s_and_b32 s16, s2, s8
	s_delay_alu instid0(SALU_CYCLE_1)
	s_and_saveexec_b32 s15, s16
	s_cbranch_execnz .LBB109_198
.LBB109_185:
	s_or_b32 exec_lo, exec_lo, s15
	s_and_b32 s16, s3, s8
	s_delay_alu instid0(SALU_CYCLE_1)
	s_and_saveexec_b32 s15, s16
	s_cbranch_execnz .LBB109_202
.LBB109_186:
	s_or_b32 exec_lo, exec_lo, s15
	s_and_b32 s16, s4, s8
	s_delay_alu instid0(SALU_CYCLE_1)
	s_and_saveexec_b32 s15, s16
	s_cbranch_execnz .LBB109_206
.LBB109_187:
	s_or_b32 exec_lo, exec_lo, s15
	s_and_b32 s16, s5, s8
	s_delay_alu instid0(SALU_CYCLE_1)
	s_and_saveexec_b32 s15, s16
	s_cbranch_execnz .LBB109_210
.LBB109_188:
	s_or_b32 exec_lo, exec_lo, s15
	s_and_b32 s16, s6, s8
	s_delay_alu instid0(SALU_CYCLE_1)
	s_and_saveexec_b32 s15, s16
	s_cbranch_execnz .LBB109_214
.LBB109_189:
	s_or_b32 exec_lo, exec_lo, s15
	s_and_b32 s15, s7, s8
	s_delay_alu instid0(SALU_CYCLE_1)
	s_and_saveexec_b32 s8, s15
	s_cbranch_execnz .LBB109_218
	s_branch .LBB109_222
.LBB109_190:
	v_cmp_ne_u32_e32 vcc_lo, 1, v18
	s_cbranch_vccnz .LBB109_192
; %bb.191:
	v_lshlrev_b64 v[16:17], 3, v[0:1]
	s_delay_alu instid0(VALU_DEP_1) | instskip(NEXT) | instid1(VALU_DEP_2)
	v_add_co_u32 v16, vcc_lo, v24, v16
	v_add_co_ci_u32_e32 v17, vcc_lo, v23, v17, vcc_lo
	flat_load_b64 v[16:17], v[16:17]
	s_waitcnt vmcnt(0) lgkmcnt(0)
	v_mul_f64 v[16:17], v[16:17], s[10:11]
	s_branch .LBB109_193
.LBB109_192:
	v_mov_b32_e32 v16, 0
	v_mov_b32_e32 v17, 0
.LBB109_193:
	s_delay_alu instid0(VALU_DEP_1) | instskip(SKIP_2) | instid1(VALU_DEP_1)
	v_cvt_f32_f64_e32 v16, v[16:17]
	v_max_f32_e32 v17, v63, v63
	v_lshlrev_b64 v[25:26], 3, v[0:1]
	v_add_co_u32 v25, vcc_lo, v22, v25
	s_delay_alu instid0(VALU_DEP_2) | instskip(NEXT) | instid1(VALU_DEP_4)
	v_add_co_ci_u32_e32 v26, vcc_lo, v21, v26, vcc_lo
	v_min_f32_e32 v16, v16, v17
	s_delay_alu instid0(VALU_DEP_1) | instskip(SKIP_3) | instid1(SALU_CYCLE_1)
	v_cvt_f64_f32_e32 v[16:17], v16
	global_store_b64 v[25:26], v[16:17], off
	s_or_b32 exec_lo, exec_lo, s15
	s_and_b32 s16, s1, s8
	s_and_saveexec_b32 s15, s16
	s_cbranch_execz .LBB109_184
.LBB109_194:
	v_cmp_ne_u32_e32 vcc_lo, 1, v18
	s_cbranch_vccnz .LBB109_196
; %bb.195:
	v_lshlrev_b64 v[16:17], 3, v[2:3]
	s_delay_alu instid0(VALU_DEP_1) | instskip(NEXT) | instid1(VALU_DEP_2)
	v_add_co_u32 v16, vcc_lo, v24, v16
	v_add_co_ci_u32_e32 v17, vcc_lo, v23, v17, vcc_lo
	flat_load_b64 v[16:17], v[16:17]
	s_waitcnt vmcnt(0) lgkmcnt(0)
	v_mul_f64 v[16:17], v[16:17], s[10:11]
	s_branch .LBB109_197
.LBB109_196:
	v_mov_b32_e32 v16, 0
	v_mov_b32_e32 v17, 0
.LBB109_197:
	s_delay_alu instid0(VALU_DEP_1) | instskip(SKIP_2) | instid1(VALU_DEP_1)
	v_cvt_f32_f64_e32 v16, v[16:17]
	v_max_f32_e32 v17, v62, v62
	v_lshlrev_b64 v[25:26], 3, v[2:3]
	v_add_co_u32 v25, vcc_lo, v22, v25
	s_delay_alu instid0(VALU_DEP_2) | instskip(NEXT) | instid1(VALU_DEP_4)
	v_add_co_ci_u32_e32 v26, vcc_lo, v21, v26, vcc_lo
	v_min_f32_e32 v16, v16, v17
	s_delay_alu instid0(VALU_DEP_1) | instskip(SKIP_3) | instid1(SALU_CYCLE_1)
	v_cvt_f64_f32_e32 v[16:17], v16
	global_store_b64 v[25:26], v[16:17], off
	s_or_b32 exec_lo, exec_lo, s15
	s_and_b32 s16, s2, s8
	s_and_saveexec_b32 s15, s16
	s_cbranch_execz .LBB109_185
.LBB109_198:
	v_cmp_ne_u32_e32 vcc_lo, 1, v18
	s_cbranch_vccnz .LBB109_200
; %bb.199:
	v_lshlrev_b64 v[16:17], 3, v[4:5]
	s_delay_alu instid0(VALU_DEP_1) | instskip(NEXT) | instid1(VALU_DEP_2)
	v_add_co_u32 v16, vcc_lo, v24, v16
	v_add_co_ci_u32_e32 v17, vcc_lo, v23, v17, vcc_lo
	flat_load_b64 v[16:17], v[16:17]
	s_waitcnt vmcnt(0) lgkmcnt(0)
	v_mul_f64 v[16:17], v[16:17], s[10:11]
	s_branch .LBB109_201
.LBB109_200:
	v_mov_b32_e32 v16, 0
	v_mov_b32_e32 v17, 0
.LBB109_201:
	s_delay_alu instid0(VALU_DEP_1) | instskip(SKIP_2) | instid1(VALU_DEP_1)
	v_cvt_f32_f64_e32 v16, v[16:17]
	v_max_f32_e32 v17, v34, v34
	v_lshlrev_b64 v[25:26], 3, v[4:5]
	v_add_co_u32 v25, vcc_lo, v22, v25
	s_delay_alu instid0(VALU_DEP_2) | instskip(NEXT) | instid1(VALU_DEP_4)
	v_add_co_ci_u32_e32 v26, vcc_lo, v21, v26, vcc_lo
	v_min_f32_e32 v16, v16, v17
	s_delay_alu instid0(VALU_DEP_1) | instskip(SKIP_3) | instid1(SALU_CYCLE_1)
	v_cvt_f64_f32_e32 v[16:17], v16
	global_store_b64 v[25:26], v[16:17], off
	s_or_b32 exec_lo, exec_lo, s15
	s_and_b32 s16, s3, s8
	s_and_saveexec_b32 s15, s16
	s_cbranch_execz .LBB109_186
.LBB109_202:
	v_cmp_ne_u32_e32 vcc_lo, 1, v18
	s_cbranch_vccnz .LBB109_204
; %bb.203:
	v_lshlrev_b64 v[16:17], 3, v[6:7]
	s_delay_alu instid0(VALU_DEP_1) | instskip(NEXT) | instid1(VALU_DEP_2)
	v_add_co_u32 v16, vcc_lo, v24, v16
	v_add_co_ci_u32_e32 v17, vcc_lo, v23, v17, vcc_lo
	flat_load_b64 v[16:17], v[16:17]
	s_waitcnt vmcnt(0) lgkmcnt(0)
	v_mul_f64 v[16:17], v[16:17], s[10:11]
	s_branch .LBB109_205
.LBB109_204:
	v_mov_b32_e32 v16, 0
	v_mov_b32_e32 v17, 0
.LBB109_205:
	s_delay_alu instid0(VALU_DEP_1) | instskip(SKIP_2) | instid1(VALU_DEP_1)
	v_cvt_f32_f64_e32 v16, v[16:17]
	v_max_f32_e32 v17, v78, v78
	v_lshlrev_b64 v[25:26], 3, v[6:7]
	v_add_co_u32 v25, vcc_lo, v22, v25
	s_delay_alu instid0(VALU_DEP_2) | instskip(NEXT) | instid1(VALU_DEP_4)
	v_add_co_ci_u32_e32 v26, vcc_lo, v21, v26, vcc_lo
	v_min_f32_e32 v16, v16, v17
	s_delay_alu instid0(VALU_DEP_1) | instskip(SKIP_3) | instid1(SALU_CYCLE_1)
	v_cvt_f64_f32_e32 v[16:17], v16
	global_store_b64 v[25:26], v[16:17], off
	s_or_b32 exec_lo, exec_lo, s15
	s_and_b32 s16, s4, s8
	s_and_saveexec_b32 s15, s16
	s_cbranch_execz .LBB109_187
.LBB109_206:
	v_cmp_ne_u32_e32 vcc_lo, 1, v18
	s_cbranch_vccnz .LBB109_208
; %bb.207:
	v_lshlrev_b64 v[16:17], 3, v[8:9]
	s_delay_alu instid0(VALU_DEP_1) | instskip(NEXT) | instid1(VALU_DEP_2)
	v_add_co_u32 v16, vcc_lo, v24, v16
	v_add_co_ci_u32_e32 v17, vcc_lo, v23, v17, vcc_lo
	flat_load_b64 v[16:17], v[16:17]
	s_waitcnt vmcnt(0) lgkmcnt(0)
	v_mul_f64 v[16:17], v[16:17], s[10:11]
	s_branch .LBB109_209
.LBB109_208:
	v_mov_b32_e32 v16, 0
	v_mov_b32_e32 v17, 0
.LBB109_209:
	s_delay_alu instid0(VALU_DEP_1) | instskip(SKIP_2) | instid1(VALU_DEP_1)
	v_cvt_f32_f64_e32 v16, v[16:17]
	v_max_f32_e32 v17, v77, v77
	v_lshlrev_b64 v[25:26], 3, v[8:9]
	v_add_co_u32 v25, vcc_lo, v22, v25
	s_delay_alu instid0(VALU_DEP_2) | instskip(NEXT) | instid1(VALU_DEP_4)
	v_add_co_ci_u32_e32 v26, vcc_lo, v21, v26, vcc_lo
	v_min_f32_e32 v16, v16, v17
	s_delay_alu instid0(VALU_DEP_1) | instskip(SKIP_3) | instid1(SALU_CYCLE_1)
	v_cvt_f64_f32_e32 v[16:17], v16
	global_store_b64 v[25:26], v[16:17], off
	s_or_b32 exec_lo, exec_lo, s15
	s_and_b32 s16, s5, s8
	s_and_saveexec_b32 s15, s16
	s_cbranch_execz .LBB109_188
.LBB109_210:
	v_cmp_ne_u32_e32 vcc_lo, 1, v18
	s_cbranch_vccnz .LBB109_212
; %bb.211:
	v_lshlrev_b64 v[16:17], 3, v[10:11]
	s_delay_alu instid0(VALU_DEP_1) | instskip(NEXT) | instid1(VALU_DEP_2)
	v_add_co_u32 v16, vcc_lo, v24, v16
	v_add_co_ci_u32_e32 v17, vcc_lo, v23, v17, vcc_lo
	flat_load_b64 v[16:17], v[16:17]
	s_waitcnt vmcnt(0) lgkmcnt(0)
	v_mul_f64 v[16:17], v[16:17], s[10:11]
	s_branch .LBB109_213
.LBB109_212:
	v_mov_b32_e32 v16, 0
	v_mov_b32_e32 v17, 0
.LBB109_213:
	s_delay_alu instid0(VALU_DEP_1) | instskip(SKIP_2) | instid1(VALU_DEP_1)
	v_cvt_f32_f64_e32 v16, v[16:17]
	v_max_f32_e32 v17, v76, v76
	v_lshlrev_b64 v[25:26], 3, v[10:11]
	v_add_co_u32 v25, vcc_lo, v22, v25
	s_delay_alu instid0(VALU_DEP_2) | instskip(NEXT) | instid1(VALU_DEP_4)
	v_add_co_ci_u32_e32 v26, vcc_lo, v21, v26, vcc_lo
	v_min_f32_e32 v16, v16, v17
	s_delay_alu instid0(VALU_DEP_1) | instskip(SKIP_3) | instid1(SALU_CYCLE_1)
	v_cvt_f64_f32_e32 v[16:17], v16
	global_store_b64 v[25:26], v[16:17], off
	s_or_b32 exec_lo, exec_lo, s15
	s_and_b32 s16, s6, s8
	s_and_saveexec_b32 s15, s16
	s_cbranch_execz .LBB109_189
.LBB109_214:
	v_cmp_ne_u32_e32 vcc_lo, 1, v18
	s_cbranch_vccnz .LBB109_216
; %bb.215:
	v_lshlrev_b64 v[16:17], 3, v[12:13]
	s_delay_alu instid0(VALU_DEP_1) | instskip(NEXT) | instid1(VALU_DEP_2)
	v_add_co_u32 v16, vcc_lo, v24, v16
	v_add_co_ci_u32_e32 v17, vcc_lo, v23, v17, vcc_lo
	flat_load_b64 v[16:17], v[16:17]
	s_waitcnt vmcnt(0) lgkmcnt(0)
	v_mul_f64 v[16:17], v[16:17], s[10:11]
	s_branch .LBB109_217
.LBB109_216:
	v_mov_b32_e32 v16, 0
	v_mov_b32_e32 v17, 0
.LBB109_217:
	s_delay_alu instid0(VALU_DEP_1) | instskip(SKIP_2) | instid1(VALU_DEP_1)
	v_cvt_f32_f64_e32 v16, v[16:17]
	v_max_f32_e32 v17, v31, v31
	v_lshlrev_b64 v[25:26], 3, v[12:13]
	v_add_co_u32 v25, vcc_lo, v22, v25
	s_delay_alu instid0(VALU_DEP_2) | instskip(NEXT) | instid1(VALU_DEP_4)
	v_add_co_ci_u32_e32 v26, vcc_lo, v21, v26, vcc_lo
	v_min_f32_e32 v16, v16, v17
	s_delay_alu instid0(VALU_DEP_1) | instskip(SKIP_3) | instid1(SALU_CYCLE_1)
	v_cvt_f64_f32_e32 v[16:17], v16
	global_store_b64 v[25:26], v[16:17], off
	s_or_b32 exec_lo, exec_lo, s15
	s_and_b32 s15, s7, s8
	s_and_saveexec_b32 s8, s15
	s_cbranch_execz .LBB109_222
.LBB109_218:
	v_cmp_ne_u32_e32 vcc_lo, 1, v18
	s_cbranch_vccnz .LBB109_220
; %bb.219:
	v_lshlrev_b64 v[16:17], 3, v[14:15]
	s_delay_alu instid0(VALU_DEP_1) | instskip(NEXT) | instid1(VALU_DEP_2)
	v_add_co_u32 v16, vcc_lo, v24, v16
	v_add_co_ci_u32_e32 v17, vcc_lo, v23, v17, vcc_lo
	flat_load_b64 v[16:17], v[16:17]
	s_waitcnt vmcnt(0) lgkmcnt(0)
	v_mul_f64 v[16:17], v[16:17], s[10:11]
	s_branch .LBB109_221
.LBB109_220:
	v_mov_b32_e32 v16, 0
	v_mov_b32_e32 v17, 0
.LBB109_221:
	s_delay_alu instid0(VALU_DEP_1) | instskip(SKIP_2) | instid1(VALU_DEP_1)
	v_cvt_f32_f64_e32 v16, v[16:17]
	v_max_f32_e32 v17, v30, v30
	v_lshlrev_b64 v[23:24], 3, v[14:15]
	v_add_co_u32 v20, vcc_lo, v22, v23
	s_delay_alu instid0(VALU_DEP_2) | instskip(NEXT) | instid1(VALU_DEP_4)
	v_add_co_ci_u32_e32 v21, vcc_lo, v21, v24, vcc_lo
	v_min_f32_e32 v16, v16, v17
	s_delay_alu instid0(VALU_DEP_1)
	v_cvt_f64_f32_e32 v[16:17], v16
	global_store_b64 v[20:21], v[16:17], off
.LBB109_222:
	s_or_b32 exec_lo, exec_lo, s8
	v_add_nc_u32_e32 v22, 32, v19
	s_delay_alu instid0(VALU_DEP_1) | instskip(SKIP_2) | instid1(VALU_DEP_3)
	v_mad_i64_i32 v[16:17], null, v22, s18, 0
	v_mad_i64_i32 v[20:21], null, v22, s9, 0
	v_cmp_gt_i32_e64 s8, s17, v22
	v_lshlrev_b64 v[16:17], 3, v[16:17]
	s_delay_alu instid0(VALU_DEP_2) | instskip(NEXT) | instid1(VALU_DEP_3)
	s_and_b32 s16, s0, s8
	v_lshlrev_b64 v[20:21], 3, v[20:21]
	s_delay_alu instid0(VALU_DEP_2) | instskip(NEXT) | instid1(VALU_DEP_3)
	v_add_co_u32 v24, vcc_lo, s12, v16
	v_add_co_ci_u32_e32 v23, vcc_lo, s13, v17, vcc_lo
	s_delay_alu instid0(VALU_DEP_3) | instskip(NEXT) | instid1(VALU_DEP_4)
	v_add_co_u32 v22, vcc_lo, s14, v20
	v_add_co_ci_u32_e32 v21, vcc_lo, s19, v21, vcc_lo
	s_and_saveexec_b32 s15, s16
	s_cbranch_execnz .LBB109_230
; %bb.223:
	s_or_b32 exec_lo, exec_lo, s15
	s_and_b32 s16, s1, s8
	s_delay_alu instid0(SALU_CYCLE_1)
	s_and_saveexec_b32 s15, s16
	s_cbranch_execnz .LBB109_234
.LBB109_224:
	s_or_b32 exec_lo, exec_lo, s15
	s_and_b32 s16, s2, s8
	s_delay_alu instid0(SALU_CYCLE_1)
	s_and_saveexec_b32 s15, s16
	s_cbranch_execnz .LBB109_238
.LBB109_225:
	s_or_b32 exec_lo, exec_lo, s15
	s_and_b32 s16, s3, s8
	s_delay_alu instid0(SALU_CYCLE_1)
	s_and_saveexec_b32 s15, s16
	s_cbranch_execnz .LBB109_242
.LBB109_226:
	s_or_b32 exec_lo, exec_lo, s15
	s_and_b32 s16, s4, s8
	s_delay_alu instid0(SALU_CYCLE_1)
	s_and_saveexec_b32 s15, s16
	s_cbranch_execnz .LBB109_246
.LBB109_227:
	s_or_b32 exec_lo, exec_lo, s15
	s_and_b32 s16, s5, s8
	s_delay_alu instid0(SALU_CYCLE_1)
	s_and_saveexec_b32 s15, s16
	s_cbranch_execnz .LBB109_250
.LBB109_228:
	s_or_b32 exec_lo, exec_lo, s15
	s_and_b32 s16, s6, s8
	s_delay_alu instid0(SALU_CYCLE_1)
	s_and_saveexec_b32 s15, s16
	s_cbranch_execnz .LBB109_254
.LBB109_229:
	s_or_b32 exec_lo, exec_lo, s15
	s_and_b32 s15, s7, s8
	s_delay_alu instid0(SALU_CYCLE_1)
	s_and_saveexec_b32 s8, s15
	s_cbranch_execnz .LBB109_258
	s_branch .LBB109_262
.LBB109_230:
	v_cmp_ne_u32_e32 vcc_lo, 1, v18
	s_cbranch_vccnz .LBB109_232
; %bb.231:
	v_lshlrev_b64 v[16:17], 3, v[0:1]
	s_delay_alu instid0(VALU_DEP_1) | instskip(NEXT) | instid1(VALU_DEP_2)
	v_add_co_u32 v16, vcc_lo, v24, v16
	v_add_co_ci_u32_e32 v17, vcc_lo, v23, v17, vcc_lo
	flat_load_b64 v[16:17], v[16:17]
	s_waitcnt vmcnt(0) lgkmcnt(0)
	v_mul_f64 v[16:17], v[16:17], s[10:11]
	s_branch .LBB109_233
.LBB109_232:
	v_mov_b32_e32 v16, 0
	v_mov_b32_e32 v17, 0
.LBB109_233:
	s_delay_alu instid0(VALU_DEP_1) | instskip(SKIP_2) | instid1(VALU_DEP_1)
	v_cvt_f32_f64_e32 v16, v[16:17]
	v_max_f32_e32 v17, v29, v29
	v_lshlrev_b64 v[25:26], 3, v[0:1]
	v_add_co_u32 v25, vcc_lo, v22, v25
	s_delay_alu instid0(VALU_DEP_2) | instskip(NEXT) | instid1(VALU_DEP_4)
	v_add_co_ci_u32_e32 v26, vcc_lo, v21, v26, vcc_lo
	v_min_f32_e32 v16, v16, v17
	s_delay_alu instid0(VALU_DEP_1) | instskip(SKIP_3) | instid1(SALU_CYCLE_1)
	v_cvt_f64_f32_e32 v[16:17], v16
	global_store_b64 v[25:26], v[16:17], off
	s_or_b32 exec_lo, exec_lo, s15
	s_and_b32 s16, s1, s8
	s_and_saveexec_b32 s15, s16
	s_cbranch_execz .LBB109_224
.LBB109_234:
	v_cmp_ne_u32_e32 vcc_lo, 1, v18
	s_cbranch_vccnz .LBB109_236
; %bb.235:
	v_lshlrev_b64 v[16:17], 3, v[2:3]
	s_delay_alu instid0(VALU_DEP_1) | instskip(NEXT) | instid1(VALU_DEP_2)
	v_add_co_u32 v16, vcc_lo, v24, v16
	v_add_co_ci_u32_e32 v17, vcc_lo, v23, v17, vcc_lo
	flat_load_b64 v[16:17], v[16:17]
	s_waitcnt vmcnt(0) lgkmcnt(0)
	v_mul_f64 v[16:17], v[16:17], s[10:11]
	s_branch .LBB109_237
.LBB109_236:
	v_mov_b32_e32 v16, 0
	v_mov_b32_e32 v17, 0
.LBB109_237:
	s_delay_alu instid0(VALU_DEP_1) | instskip(SKIP_2) | instid1(VALU_DEP_1)
	v_cvt_f32_f64_e32 v16, v[16:17]
	v_max_f32_e32 v17, v140, v140
	v_lshlrev_b64 v[25:26], 3, v[2:3]
	v_add_co_u32 v25, vcc_lo, v22, v25
	s_delay_alu instid0(VALU_DEP_2) | instskip(NEXT) | instid1(VALU_DEP_4)
	v_add_co_ci_u32_e32 v26, vcc_lo, v21, v26, vcc_lo
	v_min_f32_e32 v16, v16, v17
	s_delay_alu instid0(VALU_DEP_1) | instskip(SKIP_3) | instid1(SALU_CYCLE_1)
	v_cvt_f64_f32_e32 v[16:17], v16
	global_store_b64 v[25:26], v[16:17], off
	s_or_b32 exec_lo, exec_lo, s15
	s_and_b32 s16, s2, s8
	s_and_saveexec_b32 s15, s16
	s_cbranch_execz .LBB109_225
.LBB109_238:
	v_cmp_ne_u32_e32 vcc_lo, 1, v18
	s_cbranch_vccnz .LBB109_240
; %bb.239:
	v_lshlrev_b64 v[16:17], 3, v[4:5]
	s_delay_alu instid0(VALU_DEP_1) | instskip(NEXT) | instid1(VALU_DEP_2)
	v_add_co_u32 v16, vcc_lo, v24, v16
	v_add_co_ci_u32_e32 v17, vcc_lo, v23, v17, vcc_lo
	flat_load_b64 v[16:17], v[16:17]
	s_waitcnt vmcnt(0) lgkmcnt(0)
	v_mul_f64 v[16:17], v[16:17], s[10:11]
	s_branch .LBB109_241
.LBB109_240:
	v_mov_b32_e32 v16, 0
	v_mov_b32_e32 v17, 0
.LBB109_241:
	s_delay_alu instid0(VALU_DEP_1) | instskip(SKIP_2) | instid1(VALU_DEP_1)
	v_cvt_f32_f64_e32 v16, v[16:17]
	v_max_f32_e32 v17, v58, v58
	v_lshlrev_b64 v[25:26], 3, v[4:5]
	v_add_co_u32 v25, vcc_lo, v22, v25
	s_delay_alu instid0(VALU_DEP_2) | instskip(NEXT) | instid1(VALU_DEP_4)
	v_add_co_ci_u32_e32 v26, vcc_lo, v21, v26, vcc_lo
	v_min_f32_e32 v16, v16, v17
	s_delay_alu instid0(VALU_DEP_1) | instskip(SKIP_3) | instid1(SALU_CYCLE_1)
	v_cvt_f64_f32_e32 v[16:17], v16
	global_store_b64 v[25:26], v[16:17], off
	s_or_b32 exec_lo, exec_lo, s15
	s_and_b32 s16, s3, s8
	s_and_saveexec_b32 s15, s16
	s_cbranch_execz .LBB109_226
.LBB109_242:
	v_cmp_ne_u32_e32 vcc_lo, 1, v18
	s_cbranch_vccnz .LBB109_244
; %bb.243:
	v_lshlrev_b64 v[16:17], 3, v[6:7]
	s_delay_alu instid0(VALU_DEP_1) | instskip(NEXT) | instid1(VALU_DEP_2)
	v_add_co_u32 v16, vcc_lo, v24, v16
	v_add_co_ci_u32_e32 v17, vcc_lo, v23, v17, vcc_lo
	flat_load_b64 v[16:17], v[16:17]
	s_waitcnt vmcnt(0) lgkmcnt(0)
	v_mul_f64 v[16:17], v[16:17], s[10:11]
	s_branch .LBB109_245
.LBB109_244:
	v_mov_b32_e32 v16, 0
	v_mov_b32_e32 v17, 0
.LBB109_245:
	s_delay_alu instid0(VALU_DEP_1) | instskip(SKIP_2) | instid1(VALU_DEP_1)
	v_cvt_f32_f64_e32 v16, v[16:17]
	v_max_f32_e32 v17, v59, v59
	v_lshlrev_b64 v[25:26], 3, v[6:7]
	v_add_co_u32 v25, vcc_lo, v22, v25
	s_delay_alu instid0(VALU_DEP_2) | instskip(NEXT) | instid1(VALU_DEP_4)
	v_add_co_ci_u32_e32 v26, vcc_lo, v21, v26, vcc_lo
	v_min_f32_e32 v16, v16, v17
	s_delay_alu instid0(VALU_DEP_1) | instskip(SKIP_3) | instid1(SALU_CYCLE_1)
	v_cvt_f64_f32_e32 v[16:17], v16
	global_store_b64 v[25:26], v[16:17], off
	s_or_b32 exec_lo, exec_lo, s15
	s_and_b32 s16, s4, s8
	s_and_saveexec_b32 s15, s16
	s_cbranch_execz .LBB109_227
.LBB109_246:
	v_cmp_ne_u32_e32 vcc_lo, 1, v18
	s_cbranch_vccnz .LBB109_248
; %bb.247:
	v_lshlrev_b64 v[16:17], 3, v[8:9]
	s_delay_alu instid0(VALU_DEP_1) | instskip(NEXT) | instid1(VALU_DEP_2)
	v_add_co_u32 v16, vcc_lo, v24, v16
	v_add_co_ci_u32_e32 v17, vcc_lo, v23, v17, vcc_lo
	flat_load_b64 v[16:17], v[16:17]
	s_waitcnt vmcnt(0) lgkmcnt(0)
	v_mul_f64 v[16:17], v[16:17], s[10:11]
	s_branch .LBB109_249
.LBB109_248:
	v_mov_b32_e32 v16, 0
	v_mov_b32_e32 v17, 0
.LBB109_249:
	s_delay_alu instid0(VALU_DEP_1) | instskip(SKIP_2) | instid1(VALU_DEP_1)
	v_cvt_f32_f64_e32 v16, v[16:17]
	v_max_f32_e32 v17, v56, v56
	v_lshlrev_b64 v[25:26], 3, v[8:9]
	v_add_co_u32 v25, vcc_lo, v22, v25
	s_delay_alu instid0(VALU_DEP_2) | instskip(NEXT) | instid1(VALU_DEP_4)
	v_add_co_ci_u32_e32 v26, vcc_lo, v21, v26, vcc_lo
	v_min_f32_e32 v16, v16, v17
	s_delay_alu instid0(VALU_DEP_1) | instskip(SKIP_3) | instid1(SALU_CYCLE_1)
	v_cvt_f64_f32_e32 v[16:17], v16
	global_store_b64 v[25:26], v[16:17], off
	s_or_b32 exec_lo, exec_lo, s15
	s_and_b32 s16, s5, s8
	s_and_saveexec_b32 s15, s16
	s_cbranch_execz .LBB109_228
.LBB109_250:
	v_cmp_ne_u32_e32 vcc_lo, 1, v18
	s_cbranch_vccnz .LBB109_252
; %bb.251:
	v_lshlrev_b64 v[16:17], 3, v[10:11]
	s_delay_alu instid0(VALU_DEP_1) | instskip(NEXT) | instid1(VALU_DEP_2)
	v_add_co_u32 v16, vcc_lo, v24, v16
	v_add_co_ci_u32_e32 v17, vcc_lo, v23, v17, vcc_lo
	flat_load_b64 v[16:17], v[16:17]
	s_waitcnt vmcnt(0) lgkmcnt(0)
	v_mul_f64 v[16:17], v[16:17], s[10:11]
	s_branch .LBB109_253
.LBB109_252:
	v_mov_b32_e32 v16, 0
	v_mov_b32_e32 v17, 0
.LBB109_253:
	s_delay_alu instid0(VALU_DEP_1) | instskip(SKIP_2) | instid1(VALU_DEP_1)
	v_cvt_f32_f64_e32 v16, v[16:17]
	v_max_f32_e32 v17, v44, v44
	v_lshlrev_b64 v[25:26], 3, v[10:11]
	v_add_co_u32 v25, vcc_lo, v22, v25
	s_delay_alu instid0(VALU_DEP_2) | instskip(NEXT) | instid1(VALU_DEP_4)
	v_add_co_ci_u32_e32 v26, vcc_lo, v21, v26, vcc_lo
	v_min_f32_e32 v16, v16, v17
	s_delay_alu instid0(VALU_DEP_1) | instskip(SKIP_3) | instid1(SALU_CYCLE_1)
	v_cvt_f64_f32_e32 v[16:17], v16
	global_store_b64 v[25:26], v[16:17], off
	s_or_b32 exec_lo, exec_lo, s15
	s_and_b32 s16, s6, s8
	s_and_saveexec_b32 s15, s16
	s_cbranch_execz .LBB109_229
.LBB109_254:
	v_cmp_ne_u32_e32 vcc_lo, 1, v18
	s_cbranch_vccnz .LBB109_256
; %bb.255:
	v_lshlrev_b64 v[16:17], 3, v[12:13]
	s_delay_alu instid0(VALU_DEP_1) | instskip(NEXT) | instid1(VALU_DEP_2)
	v_add_co_u32 v16, vcc_lo, v24, v16
	v_add_co_ci_u32_e32 v17, vcc_lo, v23, v17, vcc_lo
	flat_load_b64 v[16:17], v[16:17]
	s_waitcnt vmcnt(0) lgkmcnt(0)
	v_mul_f64 v[16:17], v[16:17], s[10:11]
	s_branch .LBB109_257
.LBB109_256:
	v_mov_b32_e32 v16, 0
	v_mov_b32_e32 v17, 0
.LBB109_257:
	s_delay_alu instid0(VALU_DEP_1) | instskip(SKIP_2) | instid1(VALU_DEP_1)
	v_cvt_f32_f64_e32 v16, v[16:17]
	v_max_f32_e32 v17, v142, v142
	v_lshlrev_b64 v[25:26], 3, v[12:13]
	v_add_co_u32 v25, vcc_lo, v22, v25
	s_delay_alu instid0(VALU_DEP_2) | instskip(NEXT) | instid1(VALU_DEP_4)
	v_add_co_ci_u32_e32 v26, vcc_lo, v21, v26, vcc_lo
	v_min_f32_e32 v16, v16, v17
	s_delay_alu instid0(VALU_DEP_1) | instskip(SKIP_3) | instid1(SALU_CYCLE_1)
	v_cvt_f64_f32_e32 v[16:17], v16
	global_store_b64 v[25:26], v[16:17], off
	s_or_b32 exec_lo, exec_lo, s15
	s_and_b32 s15, s7, s8
	s_and_saveexec_b32 s8, s15
	s_cbranch_execz .LBB109_262
.LBB109_258:
	v_cmp_ne_u32_e32 vcc_lo, 1, v18
	s_cbranch_vccnz .LBB109_260
; %bb.259:
	v_lshlrev_b64 v[16:17], 3, v[14:15]
	s_delay_alu instid0(VALU_DEP_1) | instskip(NEXT) | instid1(VALU_DEP_2)
	v_add_co_u32 v16, vcc_lo, v24, v16
	v_add_co_ci_u32_e32 v17, vcc_lo, v23, v17, vcc_lo
	flat_load_b64 v[16:17], v[16:17]
	s_waitcnt vmcnt(0) lgkmcnt(0)
	v_mul_f64 v[16:17], v[16:17], s[10:11]
	s_branch .LBB109_261
.LBB109_260:
	v_mov_b32_e32 v16, 0
	v_mov_b32_e32 v17, 0
.LBB109_261:
	s_delay_alu instid0(VALU_DEP_1) | instskip(SKIP_2) | instid1(VALU_DEP_1)
	v_cvt_f32_f64_e32 v16, v[16:17]
	v_max_f32_e32 v17, v54, v54
	v_lshlrev_b64 v[23:24], 3, v[14:15]
	v_add_co_u32 v20, vcc_lo, v22, v23
	s_delay_alu instid0(VALU_DEP_2) | instskip(NEXT) | instid1(VALU_DEP_4)
	v_add_co_ci_u32_e32 v21, vcc_lo, v21, v24, vcc_lo
	v_min_f32_e32 v16, v16, v17
	s_delay_alu instid0(VALU_DEP_1)
	v_cvt_f64_f32_e32 v[16:17], v16
	global_store_b64 v[20:21], v[16:17], off
.LBB109_262:
	s_or_b32 exec_lo, exec_lo, s8
	v_add_nc_u32_e32 v22, 40, v19
	s_delay_alu instid0(VALU_DEP_1) | instskip(SKIP_2) | instid1(VALU_DEP_3)
	v_mad_i64_i32 v[16:17], null, v22, s18, 0
	v_mad_i64_i32 v[20:21], null, v22, s9, 0
	v_cmp_gt_i32_e64 s8, s17, v22
	v_lshlrev_b64 v[16:17], 3, v[16:17]
	s_delay_alu instid0(VALU_DEP_2) | instskip(NEXT) | instid1(VALU_DEP_3)
	s_and_b32 s16, s0, s8
	v_lshlrev_b64 v[20:21], 3, v[20:21]
	s_delay_alu instid0(VALU_DEP_2) | instskip(NEXT) | instid1(VALU_DEP_3)
	v_add_co_u32 v24, vcc_lo, s12, v16
	v_add_co_ci_u32_e32 v23, vcc_lo, s13, v17, vcc_lo
	s_delay_alu instid0(VALU_DEP_3) | instskip(NEXT) | instid1(VALU_DEP_4)
	v_add_co_u32 v20, vcc_lo, s14, v20
	v_add_co_ci_u32_e32 v21, vcc_lo, s19, v21, vcc_lo
	s_and_saveexec_b32 s15, s16
	s_cbranch_execnz .LBB109_270
; %bb.263:
	s_or_b32 exec_lo, exec_lo, s15
	s_and_b32 s16, s1, s8
	s_delay_alu instid0(SALU_CYCLE_1)
	s_and_saveexec_b32 s15, s16
	s_cbranch_execnz .LBB109_274
.LBB109_264:
	s_or_b32 exec_lo, exec_lo, s15
	s_and_b32 s16, s2, s8
	s_delay_alu instid0(SALU_CYCLE_1)
	s_and_saveexec_b32 s15, s16
	s_cbranch_execnz .LBB109_278
.LBB109_265:
	s_or_b32 exec_lo, exec_lo, s15
	s_and_b32 s16, s3, s8
	s_delay_alu instid0(SALU_CYCLE_1)
	s_and_saveexec_b32 s15, s16
	s_cbranch_execnz .LBB109_282
.LBB109_266:
	s_or_b32 exec_lo, exec_lo, s15
	s_and_b32 s16, s4, s8
	s_delay_alu instid0(SALU_CYCLE_1)
	s_and_saveexec_b32 s15, s16
	s_cbranch_execnz .LBB109_286
.LBB109_267:
	s_or_b32 exec_lo, exec_lo, s15
	s_and_b32 s16, s5, s8
	s_delay_alu instid0(SALU_CYCLE_1)
	s_and_saveexec_b32 s15, s16
	s_cbranch_execnz .LBB109_290
.LBB109_268:
	s_or_b32 exec_lo, exec_lo, s15
	s_and_b32 s16, s6, s8
	s_delay_alu instid0(SALU_CYCLE_1)
	s_and_saveexec_b32 s15, s16
	s_cbranch_execnz .LBB109_294
.LBB109_269:
	s_or_b32 exec_lo, exec_lo, s15
	s_and_b32 s15, s7, s8
	s_delay_alu instid0(SALU_CYCLE_1)
	s_and_saveexec_b32 s8, s15
	s_cbranch_execnz .LBB109_298
	s_branch .LBB109_302
.LBB109_270:
	v_cmp_ne_u32_e32 vcc_lo, 1, v18
	s_cbranch_vccnz .LBB109_272
; %bb.271:
	v_lshlrev_b64 v[16:17], 3, v[0:1]
	s_delay_alu instid0(VALU_DEP_1) | instskip(NEXT) | instid1(VALU_DEP_2)
	v_add_co_u32 v16, vcc_lo, v24, v16
	v_add_co_ci_u32_e32 v17, vcc_lo, v23, v17, vcc_lo
	flat_load_b64 v[16:17], v[16:17]
	s_waitcnt vmcnt(0) lgkmcnt(0)
	v_mul_f64 v[16:17], v[16:17], s[10:11]
	s_branch .LBB109_273
.LBB109_272:
	v_mov_b32_e32 v16, 0
	v_mov_b32_e32 v17, 0
.LBB109_273:
	s_delay_alu instid0(VALU_DEP_1) | instskip(SKIP_2) | instid1(VALU_DEP_1)
	v_cvt_f32_f64_e32 v16, v[16:17]
	v_max_f32_e32 v17, v53, v53
	v_lshlrev_b64 v[25:26], 3, v[0:1]
	v_add_co_u32 v25, vcc_lo, v20, v25
	s_delay_alu instid0(VALU_DEP_2) | instskip(NEXT) | instid1(VALU_DEP_4)
	v_add_co_ci_u32_e32 v26, vcc_lo, v21, v26, vcc_lo
	v_min_f32_e32 v16, v16, v17
	s_delay_alu instid0(VALU_DEP_1) | instskip(SKIP_3) | instid1(SALU_CYCLE_1)
	v_cvt_f64_f32_e32 v[16:17], v16
	global_store_b64 v[25:26], v[16:17], off
	s_or_b32 exec_lo, exec_lo, s15
	s_and_b32 s16, s1, s8
	s_and_saveexec_b32 s15, s16
	s_cbranch_execz .LBB109_264
.LBB109_274:
	v_cmp_ne_u32_e32 vcc_lo, 1, v18
	s_cbranch_vccnz .LBB109_276
; %bb.275:
	v_lshlrev_b64 v[16:17], 3, v[2:3]
	s_delay_alu instid0(VALU_DEP_1) | instskip(NEXT) | instid1(VALU_DEP_2)
	v_add_co_u32 v16, vcc_lo, v24, v16
	v_add_co_ci_u32_e32 v17, vcc_lo, v23, v17, vcc_lo
	flat_load_b64 v[16:17], v[16:17]
	s_waitcnt vmcnt(0) lgkmcnt(0)
	v_mul_f64 v[16:17], v[16:17], s[10:11]
	s_branch .LBB109_277
.LBB109_276:
	v_mov_b32_e32 v16, 0
	v_mov_b32_e32 v17, 0
.LBB109_277:
	s_delay_alu instid0(VALU_DEP_1) | instskip(SKIP_2) | instid1(VALU_DEP_1)
	v_cvt_f32_f64_e32 v16, v[16:17]
	v_max_f32_e32 v17, v132, v132
	v_lshlrev_b64 v[25:26], 3, v[2:3]
	v_add_co_u32 v25, vcc_lo, v20, v25
	s_delay_alu instid0(VALU_DEP_2) | instskip(NEXT) | instid1(VALU_DEP_4)
	v_add_co_ci_u32_e32 v26, vcc_lo, v21, v26, vcc_lo
	v_min_f32_e32 v16, v16, v17
	s_delay_alu instid0(VALU_DEP_1) | instskip(SKIP_3) | instid1(SALU_CYCLE_1)
	v_cvt_f64_f32_e32 v[16:17], v16
	global_store_b64 v[25:26], v[16:17], off
	s_or_b32 exec_lo, exec_lo, s15
	s_and_b32 s16, s2, s8
	s_and_saveexec_b32 s15, s16
	s_cbranch_execz .LBB109_265
.LBB109_278:
	v_cmp_ne_u32_e32 vcc_lo, 1, v18
	s_cbranch_vccnz .LBB109_280
; %bb.279:
	v_lshlrev_b64 v[16:17], 3, v[4:5]
	s_delay_alu instid0(VALU_DEP_1) | instskip(NEXT) | instid1(VALU_DEP_2)
	v_add_co_u32 v16, vcc_lo, v24, v16
	v_add_co_ci_u32_e32 v17, vcc_lo, v23, v17, vcc_lo
	flat_load_b64 v[16:17], v[16:17]
	s_waitcnt vmcnt(0) lgkmcnt(0)
	v_mul_f64 v[16:17], v[16:17], s[10:11]
	s_branch .LBB109_281
.LBB109_280:
	v_mov_b32_e32 v16, 0
	v_mov_b32_e32 v17, 0
.LBB109_281:
	s_delay_alu instid0(VALU_DEP_1) | instskip(SKIP_2) | instid1(VALU_DEP_1)
	v_cvt_f32_f64_e32 v16, v[16:17]
	v_max_f32_e32 v17, v55, v55
	v_lshlrev_b64 v[25:26], 3, v[4:5]
	v_add_co_u32 v25, vcc_lo, v20, v25
	s_delay_alu instid0(VALU_DEP_2) | instskip(NEXT) | instid1(VALU_DEP_4)
	v_add_co_ci_u32_e32 v26, vcc_lo, v21, v26, vcc_lo
	v_min_f32_e32 v16, v16, v17
	s_delay_alu instid0(VALU_DEP_1) | instskip(SKIP_3) | instid1(SALU_CYCLE_1)
	v_cvt_f64_f32_e32 v[16:17], v16
	global_store_b64 v[25:26], v[16:17], off
	s_or_b32 exec_lo, exec_lo, s15
	s_and_b32 s16, s3, s8
	s_and_saveexec_b32 s15, s16
	s_cbranch_execz .LBB109_266
.LBB109_282:
	v_cmp_ne_u32_e32 vcc_lo, 1, v18
	s_cbranch_vccnz .LBB109_284
; %bb.283:
	v_lshlrev_b64 v[16:17], 3, v[6:7]
	s_delay_alu instid0(VALU_DEP_1) | instskip(NEXT) | instid1(VALU_DEP_2)
	v_add_co_u32 v16, vcc_lo, v24, v16
	v_add_co_ci_u32_e32 v17, vcc_lo, v23, v17, vcc_lo
	flat_load_b64 v[16:17], v[16:17]
	s_waitcnt vmcnt(0) lgkmcnt(0)
	v_mul_f64 v[16:17], v[16:17], s[10:11]
	s_branch .LBB109_285
.LBB109_284:
	v_mov_b32_e32 v16, 0
	v_mov_b32_e32 v17, 0
.LBB109_285:
	s_delay_alu instid0(VALU_DEP_1) | instskip(SKIP_2) | instid1(VALU_DEP_1)
	v_cvt_f32_f64_e32 v16, v[16:17]
	v_max_f32_e32 v17, v235, v235
	v_lshlrev_b64 v[25:26], 3, v[6:7]
	v_add_co_u32 v25, vcc_lo, v20, v25
	s_delay_alu instid0(VALU_DEP_2) | instskip(NEXT) | instid1(VALU_DEP_4)
	v_add_co_ci_u32_e32 v26, vcc_lo, v21, v26, vcc_lo
	v_min_f32_e32 v16, v16, v17
	s_delay_alu instid0(VALU_DEP_1) | instskip(SKIP_3) | instid1(SALU_CYCLE_1)
	v_cvt_f64_f32_e32 v[16:17], v16
	global_store_b64 v[25:26], v[16:17], off
	s_or_b32 exec_lo, exec_lo, s15
	s_and_b32 s16, s4, s8
	s_and_saveexec_b32 s15, s16
	s_cbranch_execz .LBB109_267
.LBB109_286:
	v_cmp_ne_u32_e32 vcc_lo, 1, v18
	s_cbranch_vccnz .LBB109_288
; %bb.287:
	v_lshlrev_b64 v[16:17], 3, v[8:9]
	s_delay_alu instid0(VALU_DEP_1) | instskip(NEXT) | instid1(VALU_DEP_2)
	v_add_co_u32 v16, vcc_lo, v24, v16
	v_add_co_ci_u32_e32 v17, vcc_lo, v23, v17, vcc_lo
	flat_load_b64 v[16:17], v[16:17]
	s_waitcnt vmcnt(0) lgkmcnt(0)
	v_mul_f64 v[16:17], v[16:17], s[10:11]
	s_branch .LBB109_289
.LBB109_288:
	v_mov_b32_e32 v16, 0
	v_mov_b32_e32 v17, 0
.LBB109_289:
	s_delay_alu instid0(VALU_DEP_1) | instskip(SKIP_2) | instid1(VALU_DEP_1)
	v_cvt_f32_f64_e32 v16, v[16:17]
	v_max_f32_e32 v17, v193, v193
	v_lshlrev_b64 v[25:26], 3, v[8:9]
	v_add_co_u32 v25, vcc_lo, v20, v25
	s_delay_alu instid0(VALU_DEP_2) | instskip(NEXT) | instid1(VALU_DEP_4)
	v_add_co_ci_u32_e32 v26, vcc_lo, v21, v26, vcc_lo
	v_min_f32_e32 v16, v16, v17
	s_delay_alu instid0(VALU_DEP_1) | instskip(SKIP_3) | instid1(SALU_CYCLE_1)
	v_cvt_f64_f32_e32 v[16:17], v16
	global_store_b64 v[25:26], v[16:17], off
	s_or_b32 exec_lo, exec_lo, s15
	s_and_b32 s16, s5, s8
	s_and_saveexec_b32 s15, s16
	s_cbranch_execz .LBB109_268
.LBB109_290:
	v_cmp_ne_u32_e32 vcc_lo, 1, v18
	s_cbranch_vccnz .LBB109_292
; %bb.291:
	v_lshlrev_b64 v[16:17], 3, v[10:11]
	s_delay_alu instid0(VALU_DEP_1) | instskip(NEXT) | instid1(VALU_DEP_2)
	v_add_co_u32 v16, vcc_lo, v24, v16
	v_add_co_ci_u32_e32 v17, vcc_lo, v23, v17, vcc_lo
	flat_load_b64 v[16:17], v[16:17]
	s_waitcnt vmcnt(0) lgkmcnt(0)
	v_mul_f64 v[16:17], v[16:17], s[10:11]
	s_branch .LBB109_293
.LBB109_292:
	v_mov_b32_e32 v16, 0
	v_mov_b32_e32 v17, 0
.LBB109_293:
	s_delay_alu instid0(VALU_DEP_1) | instskip(SKIP_2) | instid1(VALU_DEP_1)
	v_cvt_f32_f64_e32 v16, v[16:17]
	v_max_f32_e32 v17, v192, v192
	v_lshlrev_b64 v[25:26], 3, v[10:11]
	v_add_co_u32 v25, vcc_lo, v20, v25
	s_delay_alu instid0(VALU_DEP_2) | instskip(NEXT) | instid1(VALU_DEP_4)
	v_add_co_ci_u32_e32 v26, vcc_lo, v21, v26, vcc_lo
	v_min_f32_e32 v16, v16, v17
	s_delay_alu instid0(VALU_DEP_1) | instskip(SKIP_3) | instid1(SALU_CYCLE_1)
	v_cvt_f64_f32_e32 v[16:17], v16
	global_store_b64 v[25:26], v[16:17], off
	s_or_b32 exec_lo, exec_lo, s15
	s_and_b32 s16, s6, s8
	s_and_saveexec_b32 s15, s16
	s_cbranch_execz .LBB109_269
.LBB109_294:
	v_cmp_ne_u32_e32 vcc_lo, 1, v18
	s_cbranch_vccnz .LBB109_296
; %bb.295:
	v_lshlrev_b64 v[16:17], 3, v[12:13]
	s_delay_alu instid0(VALU_DEP_1) | instskip(NEXT) | instid1(VALU_DEP_2)
	v_add_co_u32 v16, vcc_lo, v24, v16
	v_add_co_ci_u32_e32 v17, vcc_lo, v23, v17, vcc_lo
	flat_load_b64 v[16:17], v[16:17]
	s_waitcnt vmcnt(0) lgkmcnt(0)
	v_mul_f64 v[16:17], v[16:17], s[10:11]
	s_branch .LBB109_297
.LBB109_296:
	v_mov_b32_e32 v16, 0
	v_mov_b32_e32 v17, 0
.LBB109_297:
	s_delay_alu instid0(VALU_DEP_1) | instskip(SKIP_2) | instid1(VALU_DEP_1)
	v_cvt_f32_f64_e32 v16, v[16:17]
	v_max_f32_e32 v17, v212, v212
	v_lshlrev_b64 v[25:26], 3, v[12:13]
	v_add_co_u32 v25, vcc_lo, v20, v25
	s_delay_alu instid0(VALU_DEP_2) | instskip(NEXT) | instid1(VALU_DEP_4)
	v_add_co_ci_u32_e32 v26, vcc_lo, v21, v26, vcc_lo
	v_min_f32_e32 v16, v16, v17
	s_delay_alu instid0(VALU_DEP_1) | instskip(SKIP_3) | instid1(SALU_CYCLE_1)
	v_cvt_f64_f32_e32 v[16:17], v16
	global_store_b64 v[25:26], v[16:17], off
	s_or_b32 exec_lo, exec_lo, s15
	s_and_b32 s15, s7, s8
	s_and_saveexec_b32 s8, s15
	s_cbranch_execz .LBB109_302
.LBB109_298:
	v_cmp_ne_u32_e32 vcc_lo, 1, v18
	s_cbranch_vccnz .LBB109_300
; %bb.299:
	v_lshlrev_b64 v[16:17], 3, v[14:15]
	s_delay_alu instid0(VALU_DEP_1) | instskip(NEXT) | instid1(VALU_DEP_2)
	v_add_co_u32 v16, vcc_lo, v24, v16
	v_add_co_ci_u32_e32 v17, vcc_lo, v23, v17, vcc_lo
	flat_load_b64 v[16:17], v[16:17]
	s_waitcnt vmcnt(0) lgkmcnt(0)
	v_mul_f64 v[16:17], v[16:17], s[10:11]
	s_branch .LBB109_301
.LBB109_300:
	v_mov_b32_e32 v16, 0
	v_mov_b32_e32 v17, 0
.LBB109_301:
	s_delay_alu instid0(VALU_DEP_1) | instskip(SKIP_2) | instid1(VALU_DEP_1)
	v_cvt_f32_f64_e32 v16, v[16:17]
	v_max_f32_e32 v17, v238, v238
	v_lshlrev_b64 v[22:23], 3, v[14:15]
	v_add_co_u32 v20, vcc_lo, v20, v22
	s_delay_alu instid0(VALU_DEP_2) | instskip(NEXT) | instid1(VALU_DEP_4)
	v_add_co_ci_u32_e32 v21, vcc_lo, v21, v23, vcc_lo
	v_min_f32_e32 v16, v16, v17
	s_delay_alu instid0(VALU_DEP_1)
	v_cvt_f64_f32_e32 v[16:17], v16
	global_store_b64 v[20:21], v[16:17], off
.LBB109_302:
	s_or_b32 exec_lo, exec_lo, s8
	v_add_nc_u32_e32 v22, 48, v19
	s_delay_alu instid0(VALU_DEP_1) | instskip(SKIP_2) | instid1(VALU_DEP_3)
	v_mad_i64_i32 v[16:17], null, v22, s18, 0
	v_mad_i64_i32 v[20:21], null, v22, s9, 0
	v_cmp_gt_i32_e64 s8, s17, v22
	v_lshlrev_b64 v[16:17], 3, v[16:17]
	s_delay_alu instid0(VALU_DEP_2) | instskip(NEXT) | instid1(VALU_DEP_3)
	s_and_b32 s16, s0, s8
	v_lshlrev_b64 v[20:21], 3, v[20:21]
	s_delay_alu instid0(VALU_DEP_2) | instskip(NEXT) | instid1(VALU_DEP_3)
	v_add_co_u32 v22, vcc_lo, s12, v16
	v_add_co_ci_u32_e32 v23, vcc_lo, s13, v17, vcc_lo
	s_delay_alu instid0(VALU_DEP_3) | instskip(NEXT) | instid1(VALU_DEP_4)
	v_add_co_u32 v20, vcc_lo, s14, v20
	v_add_co_ci_u32_e32 v21, vcc_lo, s19, v21, vcc_lo
	s_and_saveexec_b32 s15, s16
	s_cbranch_execnz .LBB109_310
; %bb.303:
	s_or_b32 exec_lo, exec_lo, s15
	s_and_b32 s16, s1, s8
	s_delay_alu instid0(SALU_CYCLE_1)
	s_and_saveexec_b32 s15, s16
	s_cbranch_execnz .LBB109_314
.LBB109_304:
	s_or_b32 exec_lo, exec_lo, s15
	s_and_b32 s16, s2, s8
	s_delay_alu instid0(SALU_CYCLE_1)
	s_and_saveexec_b32 s15, s16
	s_cbranch_execnz .LBB109_318
.LBB109_305:
	s_or_b32 exec_lo, exec_lo, s15
	s_and_b32 s16, s3, s8
	s_delay_alu instid0(SALU_CYCLE_1)
	s_and_saveexec_b32 s15, s16
	s_cbranch_execnz .LBB109_322
.LBB109_306:
	s_or_b32 exec_lo, exec_lo, s15
	s_and_b32 s16, s4, s8
	s_delay_alu instid0(SALU_CYCLE_1)
	s_and_saveexec_b32 s15, s16
	s_cbranch_execnz .LBB109_326
.LBB109_307:
	s_or_b32 exec_lo, exec_lo, s15
	s_and_b32 s16, s5, s8
	s_delay_alu instid0(SALU_CYCLE_1)
	s_and_saveexec_b32 s15, s16
	s_cbranch_execnz .LBB109_330
.LBB109_308:
	s_or_b32 exec_lo, exec_lo, s15
	s_and_b32 s16, s6, s8
	s_delay_alu instid0(SALU_CYCLE_1)
	s_and_saveexec_b32 s15, s16
	s_cbranch_execnz .LBB109_334
.LBB109_309:
	s_or_b32 exec_lo, exec_lo, s15
	s_and_b32 s15, s7, s8
	s_delay_alu instid0(SALU_CYCLE_1)
	s_and_saveexec_b32 s8, s15
	s_cbranch_execnz .LBB109_338
	s_branch .LBB109_342
.LBB109_310:
	v_cmp_ne_u32_e32 vcc_lo, 1, v18
	s_cbranch_vccnz .LBB109_312
; %bb.311:
	v_lshlrev_b64 v[16:17], 3, v[0:1]
	s_delay_alu instid0(VALU_DEP_1) | instskip(NEXT) | instid1(VALU_DEP_2)
	v_add_co_u32 v16, vcc_lo, v22, v16
	v_add_co_ci_u32_e32 v17, vcc_lo, v23, v17, vcc_lo
	flat_load_b64 v[16:17], v[16:17]
	s_waitcnt vmcnt(0) lgkmcnt(0)
	v_mul_f64 v[16:17], v[16:17], s[10:11]
	s_branch .LBB109_313
.LBB109_312:
	v_mov_b32_e32 v16, 0
	v_mov_b32_e32 v17, 0
.LBB109_313:
	s_delay_alu instid0(VALU_DEP_1) | instskip(SKIP_2) | instid1(VALU_DEP_1)
	v_cvt_f32_f64_e32 v16, v[16:17]
	v_max_f32_e32 v17, v85, v85
	v_lshlrev_b64 v[24:25], 3, v[0:1]
	v_add_co_u32 v24, vcc_lo, v20, v24
	s_delay_alu instid0(VALU_DEP_2) | instskip(NEXT) | instid1(VALU_DEP_4)
	v_add_co_ci_u32_e32 v25, vcc_lo, v21, v25, vcc_lo
	v_min_f32_e32 v16, v16, v17
	s_delay_alu instid0(VALU_DEP_1) | instskip(SKIP_3) | instid1(SALU_CYCLE_1)
	v_cvt_f64_f32_e32 v[16:17], v16
	global_store_b64 v[24:25], v[16:17], off
	s_or_b32 exec_lo, exec_lo, s15
	s_and_b32 s16, s1, s8
	s_and_saveexec_b32 s15, s16
	s_cbranch_execz .LBB109_304
.LBB109_314:
	v_cmp_ne_u32_e32 vcc_lo, 1, v18
	s_cbranch_vccnz .LBB109_316
; %bb.315:
	v_lshlrev_b64 v[16:17], 3, v[2:3]
	s_delay_alu instid0(VALU_DEP_1) | instskip(NEXT) | instid1(VALU_DEP_2)
	v_add_co_u32 v16, vcc_lo, v22, v16
	v_add_co_ci_u32_e32 v17, vcc_lo, v23, v17, vcc_lo
	flat_load_b64 v[16:17], v[16:17]
	s_waitcnt vmcnt(0) lgkmcnt(0)
	v_mul_f64 v[16:17], v[16:17], s[10:11]
	s_branch .LBB109_317
.LBB109_316:
	v_mov_b32_e32 v16, 0
	v_mov_b32_e32 v17, 0
.LBB109_317:
	s_delay_alu instid0(VALU_DEP_1) | instskip(SKIP_2) | instid1(VALU_DEP_1)
	v_cvt_f32_f64_e32 v16, v[16:17]
	v_max_f32_e32 v17, v208, v208
	v_lshlrev_b64 v[24:25], 3, v[2:3]
	v_add_co_u32 v24, vcc_lo, v20, v24
	s_delay_alu instid0(VALU_DEP_2) | instskip(NEXT) | instid1(VALU_DEP_4)
	v_add_co_ci_u32_e32 v25, vcc_lo, v21, v25, vcc_lo
	v_min_f32_e32 v16, v16, v17
	s_delay_alu instid0(VALU_DEP_1) | instskip(SKIP_3) | instid1(SALU_CYCLE_1)
	v_cvt_f64_f32_e32 v[16:17], v16
	global_store_b64 v[24:25], v[16:17], off
	s_or_b32 exec_lo, exec_lo, s15
	s_and_b32 s16, s2, s8
	s_and_saveexec_b32 s15, s16
	s_cbranch_execz .LBB109_305
.LBB109_318:
	v_cmp_ne_u32_e32 vcc_lo, 1, v18
	s_cbranch_vccnz .LBB109_320
; %bb.319:
	v_lshlrev_b64 v[16:17], 3, v[4:5]
	s_delay_alu instid0(VALU_DEP_1) | instskip(NEXT) | instid1(VALU_DEP_2)
	v_add_co_u32 v16, vcc_lo, v22, v16
	v_add_co_ci_u32_e32 v17, vcc_lo, v23, v17, vcc_lo
	flat_load_b64 v[16:17], v[16:17]
	s_waitcnt vmcnt(0) lgkmcnt(0)
	v_mul_f64 v[16:17], v[16:17], s[10:11]
	s_branch .LBB109_321
.LBB109_320:
	v_mov_b32_e32 v16, 0
	v_mov_b32_e32 v17, 0
.LBB109_321:
	s_delay_alu instid0(VALU_DEP_1) | instskip(SKIP_2) | instid1(VALU_DEP_1)
	v_cvt_f32_f64_e32 v16, v[16:17]
	v_max_f32_e32 v17, v118, v118
	v_lshlrev_b64 v[24:25], 3, v[4:5]
	v_add_co_u32 v24, vcc_lo, v20, v24
	s_delay_alu instid0(VALU_DEP_2) | instskip(NEXT) | instid1(VALU_DEP_4)
	v_add_co_ci_u32_e32 v25, vcc_lo, v21, v25, vcc_lo
	v_min_f32_e32 v16, v16, v17
	s_delay_alu instid0(VALU_DEP_1) | instskip(SKIP_3) | instid1(SALU_CYCLE_1)
	v_cvt_f64_f32_e32 v[16:17], v16
	global_store_b64 v[24:25], v[16:17], off
	s_or_b32 exec_lo, exec_lo, s15
	s_and_b32 s16, s3, s8
	s_and_saveexec_b32 s15, s16
	s_cbranch_execz .LBB109_306
.LBB109_322:
	v_cmp_ne_u32_e32 vcc_lo, 1, v18
	s_cbranch_vccnz .LBB109_324
; %bb.323:
	v_lshlrev_b64 v[16:17], 3, v[6:7]
	s_delay_alu instid0(VALU_DEP_1) | instskip(NEXT) | instid1(VALU_DEP_2)
	v_add_co_u32 v16, vcc_lo, v22, v16
	v_add_co_ci_u32_e32 v17, vcc_lo, v23, v17, vcc_lo
	flat_load_b64 v[16:17], v[16:17]
	s_waitcnt vmcnt(0) lgkmcnt(0)
	v_mul_f64 v[16:17], v[16:17], s[10:11]
	s_branch .LBB109_325
.LBB109_324:
	v_mov_b32_e32 v16, 0
	v_mov_b32_e32 v17, 0
.LBB109_325:
	s_delay_alu instid0(VALU_DEP_1) | instskip(SKIP_2) | instid1(VALU_DEP_1)
	v_cvt_f32_f64_e32 v16, v[16:17]
	v_max_f32_e32 v17, v204, v204
	v_lshlrev_b64 v[24:25], 3, v[6:7]
	v_add_co_u32 v24, vcc_lo, v20, v24
	s_delay_alu instid0(VALU_DEP_2) | instskip(NEXT) | instid1(VALU_DEP_4)
	v_add_co_ci_u32_e32 v25, vcc_lo, v21, v25, vcc_lo
	v_min_f32_e32 v16, v16, v17
	s_delay_alu instid0(VALU_DEP_1) | instskip(SKIP_3) | instid1(SALU_CYCLE_1)
	v_cvt_f64_f32_e32 v[16:17], v16
	global_store_b64 v[24:25], v[16:17], off
	s_or_b32 exec_lo, exec_lo, s15
	s_and_b32 s16, s4, s8
	s_and_saveexec_b32 s15, s16
	s_cbranch_execz .LBB109_307
.LBB109_326:
	v_cmp_ne_u32_e32 vcc_lo, 1, v18
	s_cbranch_vccnz .LBB109_328
; %bb.327:
	v_lshlrev_b64 v[16:17], 3, v[8:9]
	s_delay_alu instid0(VALU_DEP_1) | instskip(NEXT) | instid1(VALU_DEP_2)
	v_add_co_u32 v16, vcc_lo, v22, v16
	v_add_co_ci_u32_e32 v17, vcc_lo, v23, v17, vcc_lo
	flat_load_b64 v[16:17], v[16:17]
	s_waitcnt vmcnt(0) lgkmcnt(0)
	v_mul_f64 v[16:17], v[16:17], s[10:11]
	s_branch .LBB109_329
.LBB109_328:
	v_mov_b32_e32 v16, 0
	v_mov_b32_e32 v17, 0
.LBB109_329:
	s_delay_alu instid0(VALU_DEP_1) | instskip(SKIP_2) | instid1(VALU_DEP_1)
	v_cvt_f32_f64_e32 v16, v[16:17]
	scratch_load_b32 v17, off, off offset:4 ; 4-byte Folded Reload
	v_lshlrev_b64 v[24:25], 3, v[8:9]
	v_add_co_u32 v24, vcc_lo, v20, v24
	s_delay_alu instid0(VALU_DEP_2) | instskip(SKIP_2) | instid1(VALU_DEP_1)
	v_add_co_ci_u32_e32 v25, vcc_lo, v21, v25, vcc_lo
	s_waitcnt vmcnt(0)
	v_max_f32_e32 v17, v17, v17
	v_min_f32_e32 v16, v16, v17
	s_delay_alu instid0(VALU_DEP_1) | instskip(SKIP_3) | instid1(SALU_CYCLE_1)
	v_cvt_f64_f32_e32 v[16:17], v16
	global_store_b64 v[24:25], v[16:17], off
	s_or_b32 exec_lo, exec_lo, s15
	s_and_b32 s16, s5, s8
	s_and_saveexec_b32 s15, s16
	s_cbranch_execz .LBB109_308
.LBB109_330:
	v_cmp_ne_u32_e32 vcc_lo, 1, v18
	s_cbranch_vccnz .LBB109_332
; %bb.331:
	v_lshlrev_b64 v[16:17], 3, v[10:11]
	s_delay_alu instid0(VALU_DEP_1) | instskip(NEXT) | instid1(VALU_DEP_2)
	v_add_co_u32 v16, vcc_lo, v22, v16
	v_add_co_ci_u32_e32 v17, vcc_lo, v23, v17, vcc_lo
	flat_load_b64 v[16:17], v[16:17]
	s_waitcnt vmcnt(0) lgkmcnt(0)
	v_mul_f64 v[16:17], v[16:17], s[10:11]
	s_branch .LBB109_333
.LBB109_332:
	v_mov_b32_e32 v16, 0
	v_mov_b32_e32 v17, 0
.LBB109_333:
	s_delay_alu instid0(VALU_DEP_1) | instskip(SKIP_2) | instid1(VALU_DEP_1)
	v_cvt_f32_f64_e32 v16, v[16:17]
	v_max_f32_e32 v17, v139, v139
	v_lshlrev_b64 v[24:25], 3, v[10:11]
	v_add_co_u32 v24, vcc_lo, v20, v24
	s_delay_alu instid0(VALU_DEP_2) | instskip(NEXT) | instid1(VALU_DEP_4)
	v_add_co_ci_u32_e32 v25, vcc_lo, v21, v25, vcc_lo
	v_min_f32_e32 v16, v16, v17
	s_delay_alu instid0(VALU_DEP_1) | instskip(SKIP_3) | instid1(SALU_CYCLE_1)
	v_cvt_f64_f32_e32 v[16:17], v16
	global_store_b64 v[24:25], v[16:17], off
	s_or_b32 exec_lo, exec_lo, s15
	s_and_b32 s16, s6, s8
	s_and_saveexec_b32 s15, s16
	s_cbranch_execz .LBB109_309
.LBB109_334:
	v_cmp_ne_u32_e32 vcc_lo, 1, v18
	s_cbranch_vccnz .LBB109_336
; %bb.335:
	v_lshlrev_b64 v[16:17], 3, v[12:13]
	s_delay_alu instid0(VALU_DEP_1) | instskip(NEXT) | instid1(VALU_DEP_2)
	v_add_co_u32 v16, vcc_lo, v22, v16
	v_add_co_ci_u32_e32 v17, vcc_lo, v23, v17, vcc_lo
	flat_load_b64 v[16:17], v[16:17]
	s_waitcnt vmcnt(0) lgkmcnt(0)
	v_mul_f64 v[16:17], v[16:17], s[10:11]
	s_branch .LBB109_337
.LBB109_336:
	v_mov_b32_e32 v16, 0
	v_mov_b32_e32 v17, 0
.LBB109_337:
	s_delay_alu instid0(VALU_DEP_1) | instskip(SKIP_2) | instid1(VALU_DEP_1)
	v_cvt_f32_f64_e32 v16, v[16:17]
	v_max_f32_e32 v17, v136, v136
	v_lshlrev_b64 v[24:25], 3, v[12:13]
	v_add_co_u32 v24, vcc_lo, v20, v24
	s_delay_alu instid0(VALU_DEP_2) | instskip(NEXT) | instid1(VALU_DEP_4)
	v_add_co_ci_u32_e32 v25, vcc_lo, v21, v25, vcc_lo
	v_min_f32_e32 v16, v16, v17
	s_delay_alu instid0(VALU_DEP_1) | instskip(SKIP_3) | instid1(SALU_CYCLE_1)
	v_cvt_f64_f32_e32 v[16:17], v16
	global_store_b64 v[24:25], v[16:17], off
	s_or_b32 exec_lo, exec_lo, s15
	s_and_b32 s15, s7, s8
	s_and_saveexec_b32 s8, s15
	s_cbranch_execz .LBB109_342
.LBB109_338:
	v_cmp_ne_u32_e32 vcc_lo, 1, v18
	s_cbranch_vccnz .LBB109_340
; %bb.339:
	v_lshlrev_b64 v[16:17], 3, v[14:15]
	s_delay_alu instid0(VALU_DEP_1) | instskip(NEXT) | instid1(VALU_DEP_2)
	v_add_co_u32 v16, vcc_lo, v22, v16
	v_add_co_ci_u32_e32 v17, vcc_lo, v23, v17, vcc_lo
	flat_load_b64 v[16:17], v[16:17]
	s_waitcnt vmcnt(0) lgkmcnt(0)
	v_mul_f64 v[16:17], v[16:17], s[10:11]
	s_branch .LBB109_341
.LBB109_340:
	v_mov_b32_e32 v16, 0
	v_mov_b32_e32 v17, 0
.LBB109_341:
	s_delay_alu instid0(VALU_DEP_1) | instskip(SKIP_2) | instid1(VALU_DEP_1)
	v_cvt_f32_f64_e32 v16, v[16:17]
	v_max_f32_e32 v17, v138, v138
	v_lshlrev_b64 v[22:23], 3, v[14:15]
	v_add_co_u32 v20, vcc_lo, v20, v22
	s_delay_alu instid0(VALU_DEP_2) | instskip(NEXT) | instid1(VALU_DEP_4)
	v_add_co_ci_u32_e32 v21, vcc_lo, v21, v23, vcc_lo
	v_min_f32_e32 v16, v16, v17
	s_delay_alu instid0(VALU_DEP_1)
	v_cvt_f64_f32_e32 v[16:17], v16
	global_store_b64 v[20:21], v[16:17], off
.LBB109_342:
	s_or_b32 exec_lo, exec_lo, s8
	v_add_nc_u32_e32 v21, 56, v19
	s_delay_alu instid0(VALU_DEP_1) | instskip(SKIP_2) | instid1(VALU_DEP_3)
	v_mad_i64_i32 v[16:17], null, v21, s18, 0
	v_mad_i64_i32 v[19:20], null, v21, s9, 0
	v_cmp_gt_i32_e64 s8, s17, v21
	v_lshlrev_b64 v[16:17], 3, v[16:17]
	s_delay_alu instid0(VALU_DEP_2) | instskip(NEXT) | instid1(VALU_DEP_3)
	s_and_b32 s9, s0, s8
	v_lshlrev_b64 v[21:22], 3, v[19:20]
	s_delay_alu instid0(VALU_DEP_2) | instskip(NEXT) | instid1(VALU_DEP_3)
	v_add_co_u32 v19, vcc_lo, s12, v16
	v_add_co_ci_u32_e32 v20, vcc_lo, s13, v17, vcc_lo
	s_delay_alu instid0(VALU_DEP_3) | instskip(NEXT) | instid1(VALU_DEP_4)
	v_add_co_u32 v16, vcc_lo, s14, v21
	v_add_co_ci_u32_e32 v17, vcc_lo, s19, v22, vcc_lo
	s_and_saveexec_b32 s0, s9
	s_cbranch_execnz .LBB109_351
; %bb.343:
	s_or_b32 exec_lo, exec_lo, s0
	s_and_b32 s1, s1, s8
	s_delay_alu instid0(SALU_CYCLE_1)
	s_and_saveexec_b32 s0, s1
	s_cbranch_execnz .LBB109_355
.LBB109_344:
	s_or_b32 exec_lo, exec_lo, s0
	s_and_b32 s1, s2, s8
	s_delay_alu instid0(SALU_CYCLE_1)
	s_and_saveexec_b32 s0, s1
	s_cbranch_execnz .LBB109_359
.LBB109_345:
	s_or_b32 exec_lo, exec_lo, s0
	s_and_b32 s1, s3, s8
	s_delay_alu instid0(SALU_CYCLE_1)
	s_and_saveexec_b32 s0, s1
	s_cbranch_execnz .LBB109_363
.LBB109_346:
	s_or_b32 exec_lo, exec_lo, s0
	s_and_b32 s1, s4, s8
	s_delay_alu instid0(SALU_CYCLE_1)
	s_and_saveexec_b32 s0, s1
	s_cbranch_execnz .LBB109_367
.LBB109_347:
	s_or_b32 exec_lo, exec_lo, s0
	s_and_b32 s1, s5, s8
	s_delay_alu instid0(SALU_CYCLE_1)
	s_and_saveexec_b32 s0, s1
	s_cbranch_execnz .LBB109_371
.LBB109_348:
	s_or_b32 exec_lo, exec_lo, s0
	s_and_b32 s1, s6, s8
	s_delay_alu instid0(SALU_CYCLE_1)
	s_and_saveexec_b32 s0, s1
	s_cbranch_execnz .LBB109_375
.LBB109_349:
	s_or_b32 exec_lo, exec_lo, s0
	s_and_b32 s0, s7, s8
	s_delay_alu instid0(SALU_CYCLE_1)
	s_and_saveexec_b32 s1, s0
	s_cbranch_execnz .LBB109_379
.LBB109_350:
	s_endpgm
.LBB109_351:
	v_cmp_ne_u32_e32 vcc_lo, 1, v18
	v_lshlrev_b64 v[0:1], 3, v[0:1]
	s_cbranch_vccnz .LBB109_353
; %bb.352:
	s_delay_alu instid0(VALU_DEP_1) | instskip(NEXT) | instid1(VALU_DEP_2)
	v_add_co_u32 v21, vcc_lo, v19, v0
	v_add_co_ci_u32_e32 v22, vcc_lo, v20, v1, vcc_lo
	flat_load_b64 v[21:22], v[21:22]
	s_waitcnt vmcnt(0) lgkmcnt(0)
	v_mul_f64 v[21:22], v[21:22], s[10:11]
	s_delay_alu instid0(VALU_DEP_1)
	v_cvt_f32_f64_e32 v21, v[21:22]
	s_branch .LBB109_354
.LBB109_353:
	v_mov_b32_e32 v21, 0
.LBB109_354:
	s_delay_alu instid0(VALU_DEP_1) | instskip(NEXT) | instid1(VALU_DEP_3)
	v_dual_max_f32 v22, v134, v134 :: v_dual_max_f32 v21, v21, v21
	v_add_co_u32 v0, vcc_lo, v16, v0
	s_delay_alu instid0(VALU_DEP_4) | instskip(NEXT) | instid1(VALU_DEP_3)
	v_add_co_ci_u32_e32 v1, vcc_lo, v17, v1, vcc_lo
	v_min_f32_e32 v21, v21, v22
	s_delay_alu instid0(VALU_DEP_1) | instskip(SKIP_3) | instid1(SALU_CYCLE_1)
	v_cvt_f64_f32_e32 v[21:22], v21
	global_store_b64 v[0:1], v[21:22], off
	s_or_b32 exec_lo, exec_lo, s0
	s_and_b32 s1, s1, s8
	s_and_saveexec_b32 s0, s1
	s_cbranch_execz .LBB109_344
.LBB109_355:
	v_cmp_ne_u32_e32 vcc_lo, 1, v18
	v_lshlrev_b64 v[0:1], 3, v[2:3]
	s_cbranch_vccnz .LBB109_357
; %bb.356:
	s_delay_alu instid0(VALU_DEP_1) | instskip(NEXT) | instid1(VALU_DEP_2)
	v_add_co_u32 v2, vcc_lo, v19, v0
	v_add_co_ci_u32_e32 v3, vcc_lo, v20, v1, vcc_lo
	flat_load_b64 v[2:3], v[2:3]
	s_waitcnt vmcnt(0) lgkmcnt(0)
	v_mul_f64 v[2:3], v[2:3], s[10:11]
	s_delay_alu instid0(VALU_DEP_1)
	v_cvt_f32_f64_e32 v2, v[2:3]
	s_branch .LBB109_358
.LBB109_357:
	v_mov_b32_e32 v2, 0
.LBB109_358:
	scratch_load_b32 v3, off, off           ; 4-byte Folded Reload
	v_add_co_u32 v0, vcc_lo, v16, v0
	v_add_co_ci_u32_e32 v1, vcc_lo, v17, v1, vcc_lo
	s_waitcnt vmcnt(0)
	v_dual_max_f32 v2, v2, v2 :: v_dual_max_f32 v3, v3, v3
	s_delay_alu instid0(VALU_DEP_1) | instskip(NEXT) | instid1(VALU_DEP_1)
	v_min_f32_e32 v2, v2, v3
	v_cvt_f64_f32_e32 v[2:3], v2
	global_store_b64 v[0:1], v[2:3], off
	s_or_b32 exec_lo, exec_lo, s0
	s_and_b32 s1, s2, s8
	s_delay_alu instid0(SALU_CYCLE_1)
	s_and_saveexec_b32 s0, s1
	s_cbranch_execz .LBB109_345
.LBB109_359:
	v_cmp_ne_u32_e32 vcc_lo, 1, v18
	v_lshlrev_b64 v[0:1], 3, v[4:5]
	s_cbranch_vccnz .LBB109_361
; %bb.360:
	s_delay_alu instid0(VALU_DEP_1) | instskip(NEXT) | instid1(VALU_DEP_2)
	v_add_co_u32 v2, vcc_lo, v19, v0
	v_add_co_ci_u32_e32 v3, vcc_lo, v20, v1, vcc_lo
	flat_load_b64 v[2:3], v[2:3]
	s_waitcnt vmcnt(0) lgkmcnt(0)
	v_mul_f64 v[2:3], v[2:3], s[10:11]
	s_delay_alu instid0(VALU_DEP_1)
	v_cvt_f32_f64_e32 v2, v[2:3]
	s_branch .LBB109_362
.LBB109_361:
	v_mov_b32_e32 v2, 0
.LBB109_362:
	s_delay_alu instid0(VALU_DEP_1) | instskip(NEXT) | instid1(VALU_DEP_3)
	v_dual_max_f32 v3, v128, v128 :: v_dual_max_f32 v2, v2, v2
	v_add_co_u32 v0, vcc_lo, v16, v0
	s_delay_alu instid0(VALU_DEP_4) | instskip(NEXT) | instid1(VALU_DEP_3)
	v_add_co_ci_u32_e32 v1, vcc_lo, v17, v1, vcc_lo
	v_min_f32_e32 v2, v2, v3
	s_delay_alu instid0(VALU_DEP_1) | instskip(SKIP_3) | instid1(SALU_CYCLE_1)
	v_cvt_f64_f32_e32 v[2:3], v2
	global_store_b64 v[0:1], v[2:3], off
	s_or_b32 exec_lo, exec_lo, s0
	s_and_b32 s1, s3, s8
	s_and_saveexec_b32 s0, s1
	s_cbranch_execz .LBB109_346
.LBB109_363:
	v_cmp_ne_u32_e32 vcc_lo, 1, v18
	v_lshlrev_b64 v[0:1], 3, v[6:7]
	s_cbranch_vccnz .LBB109_365
; %bb.364:
	s_delay_alu instid0(VALU_DEP_1) | instskip(NEXT) | instid1(VALU_DEP_2)
	v_add_co_u32 v2, vcc_lo, v19, v0
	v_add_co_ci_u32_e32 v3, vcc_lo, v20, v1, vcc_lo
	flat_load_b64 v[2:3], v[2:3]
	s_waitcnt vmcnt(0) lgkmcnt(0)
	v_mul_f64 v[2:3], v[2:3], s[10:11]
	s_delay_alu instid0(VALU_DEP_1)
	v_cvt_f32_f64_e32 v2, v[2:3]
	s_branch .LBB109_366
.LBB109_365:
	v_mov_b32_e32 v2, 0
.LBB109_366:
	v_max_f32_e32 v3, v130, v130
	s_delay_alu instid0(VALU_DEP_2) | instskip(NEXT) | instid1(VALU_DEP_4)
	v_max_f32_e32 v2, v2, v2
	v_add_co_u32 v0, vcc_lo, v16, v0
	v_add_co_ci_u32_e32 v1, vcc_lo, v17, v1, vcc_lo
	s_delay_alu instid0(VALU_DEP_3) | instskip(NEXT) | instid1(VALU_DEP_1)
	v_min_f32_e32 v2, v2, v3
	v_cvt_f64_f32_e32 v[2:3], v2
	global_store_b64 v[0:1], v[2:3], off
	s_or_b32 exec_lo, exec_lo, s0
	s_and_b32 s1, s4, s8
	s_delay_alu instid0(SALU_CYCLE_1)
	s_and_saveexec_b32 s0, s1
	s_cbranch_execz .LBB109_347
.LBB109_367:
	v_cmp_ne_u32_e32 vcc_lo, 1, v18
	v_lshlrev_b64 v[0:1], 3, v[8:9]
	s_cbranch_vccnz .LBB109_369
; %bb.368:
	s_delay_alu instid0(VALU_DEP_1) | instskip(NEXT) | instid1(VALU_DEP_2)
	v_add_co_u32 v2, vcc_lo, v19, v0
	v_add_co_ci_u32_e32 v3, vcc_lo, v20, v1, vcc_lo
	flat_load_b64 v[2:3], v[2:3]
	s_waitcnt vmcnt(0) lgkmcnt(0)
	v_mul_f64 v[2:3], v[2:3], s[10:11]
	s_delay_alu instid0(VALU_DEP_1)
	v_cvt_f32_f64_e32 v2, v[2:3]
	s_branch .LBB109_370
.LBB109_369:
	v_mov_b32_e32 v2, 0
.LBB109_370:
	v_max_f32_e32 v3, v126, v126
	s_delay_alu instid0(VALU_DEP_2) | instskip(NEXT) | instid1(VALU_DEP_4)
	v_max_f32_e32 v2, v2, v2
	v_add_co_u32 v0, vcc_lo, v16, v0
	v_add_co_ci_u32_e32 v1, vcc_lo, v17, v1, vcc_lo
	s_delay_alu instid0(VALU_DEP_3) | instskip(NEXT) | instid1(VALU_DEP_1)
	v_min_f32_e32 v2, v2, v3
	v_cvt_f64_f32_e32 v[2:3], v2
	global_store_b64 v[0:1], v[2:3], off
	s_or_b32 exec_lo, exec_lo, s0
	s_and_b32 s1, s5, s8
	s_delay_alu instid0(SALU_CYCLE_1)
	s_and_saveexec_b32 s0, s1
	s_cbranch_execz .LBB109_348
.LBB109_371:
	v_cmp_ne_u32_e32 vcc_lo, 1, v18
	v_lshlrev_b64 v[0:1], 3, v[10:11]
	s_cbranch_vccnz .LBB109_373
; %bb.372:
	s_delay_alu instid0(VALU_DEP_1) | instskip(NEXT) | instid1(VALU_DEP_2)
	v_add_co_u32 v2, vcc_lo, v19, v0
	v_add_co_ci_u32_e32 v3, vcc_lo, v20, v1, vcc_lo
	flat_load_b64 v[2:3], v[2:3]
	s_waitcnt vmcnt(0) lgkmcnt(0)
	v_mul_f64 v[2:3], v[2:3], s[10:11]
	s_delay_alu instid0(VALU_DEP_1)
	v_cvt_f32_f64_e32 v2, v[2:3]
	s_branch .LBB109_374
.LBB109_373:
	v_mov_b32_e32 v2, 0
.LBB109_374:
	s_delay_alu instid0(VALU_DEP_1) | instskip(NEXT) | instid1(VALU_DEP_3)
	v_dual_max_f32 v3, v124, v124 :: v_dual_max_f32 v2, v2, v2
	v_add_co_u32 v0, vcc_lo, v16, v0
	s_delay_alu instid0(VALU_DEP_4) | instskip(NEXT) | instid1(VALU_DEP_3)
	v_add_co_ci_u32_e32 v1, vcc_lo, v17, v1, vcc_lo
	v_min_f32_e32 v2, v2, v3
	s_delay_alu instid0(VALU_DEP_1) | instskip(SKIP_3) | instid1(SALU_CYCLE_1)
	v_cvt_f64_f32_e32 v[2:3], v2
	global_store_b64 v[0:1], v[2:3], off
	s_or_b32 exec_lo, exec_lo, s0
	s_and_b32 s1, s6, s8
	s_and_saveexec_b32 s0, s1
	s_cbranch_execz .LBB109_349
.LBB109_375:
	v_cmp_ne_u32_e32 vcc_lo, 1, v18
	v_lshlrev_b64 v[0:1], 3, v[12:13]
	s_cbranch_vccnz .LBB109_377
; %bb.376:
	s_delay_alu instid0(VALU_DEP_1) | instskip(NEXT) | instid1(VALU_DEP_2)
	v_add_co_u32 v2, vcc_lo, v19, v0
	v_add_co_ci_u32_e32 v3, vcc_lo, v20, v1, vcc_lo
	flat_load_b64 v[2:3], v[2:3]
	s_waitcnt vmcnt(0) lgkmcnt(0)
	v_mul_f64 v[2:3], v[2:3], s[10:11]
	s_delay_alu instid0(VALU_DEP_1)
	v_cvt_f32_f64_e32 v2, v[2:3]
	s_branch .LBB109_378
.LBB109_377:
	v_mov_b32_e32 v2, 0
.LBB109_378:
	s_delay_alu instid0(VALU_DEP_1) | instskip(NEXT) | instid1(VALU_DEP_3)
	v_dual_max_f32 v3, v120, v120 :: v_dual_max_f32 v2, v2, v2
	v_add_co_u32 v0, vcc_lo, v16, v0
	s_delay_alu instid0(VALU_DEP_4) | instskip(NEXT) | instid1(VALU_DEP_3)
	v_add_co_ci_u32_e32 v1, vcc_lo, v17, v1, vcc_lo
	v_min_f32_e32 v2, v2, v3
	s_delay_alu instid0(VALU_DEP_1) | instskip(SKIP_3) | instid1(SALU_CYCLE_1)
	v_cvt_f64_f32_e32 v[2:3], v2
	global_store_b64 v[0:1], v[2:3], off
	s_or_b32 exec_lo, exec_lo, s0
	s_and_b32 s0, s7, s8
	s_and_saveexec_b32 s1, s0
	s_cbranch_execz .LBB109_350
.LBB109_379:
	v_cmp_ne_u32_e32 vcc_lo, 1, v18
	v_lshlrev_b64 v[0:1], 3, v[14:15]
	s_cbranch_vccnz .LBB109_381
; %bb.380:
	s_delay_alu instid0(VALU_DEP_1) | instskip(NEXT) | instid1(VALU_DEP_2)
	v_add_co_u32 v2, vcc_lo, v19, v0
	v_add_co_ci_u32_e32 v3, vcc_lo, v20, v1, vcc_lo
	flat_load_b64 v[2:3], v[2:3]
	s_waitcnt vmcnt(0) lgkmcnt(0)
	v_mul_f64 v[2:3], v[2:3], s[10:11]
	s_delay_alu instid0(VALU_DEP_1)
	v_cvt_f32_f64_e32 v2, v[2:3]
	s_branch .LBB109_382
.LBB109_381:
	v_mov_b32_e32 v2, 0
.LBB109_382:
	v_max_f32_e32 v3, v122, v122
	s_delay_alu instid0(VALU_DEP_2) | instskip(NEXT) | instid1(VALU_DEP_4)
	v_max_f32_e32 v2, v2, v2
	v_add_co_u32 v0, vcc_lo, v16, v0
	v_add_co_ci_u32_e32 v1, vcc_lo, v17, v1, vcc_lo
	s_delay_alu instid0(VALU_DEP_3) | instskip(NEXT) | instid1(VALU_DEP_1)
	v_min_f32_e32 v2, v2, v3
	v_cvt_f64_f32_e32 v[2:3], v2
	global_store_b64 v[0:1], v[2:3], off
	s_endpgm
	.section	.rodata,"a",@progbits
	.p2align	6, 0x0
	.amdhsa_kernel _ZN12_GLOBAL__N_120geam_min_plus_kernelId15HIP_vector_typeIdLj2EEdLi32ELi8ELi256ELi64ELi4ELi64ELi4ELi4ELi64ELc78ELc78ELb1ELb1ELb1EdKPKdKPdEEviiiT16_PT17_ilSA_ilS8_SA_ilPT18_ili26rocblas_geam_ex_operation_
		.amdhsa_group_segment_fixed_size 20480
		.amdhsa_private_segment_fixed_size 400
		.amdhsa_kernarg_size 136
		.amdhsa_user_sgpr_count 14
		.amdhsa_user_sgpr_dispatch_ptr 0
		.amdhsa_user_sgpr_queue_ptr 0
		.amdhsa_user_sgpr_kernarg_segment_ptr 1
		.amdhsa_user_sgpr_dispatch_id 0
		.amdhsa_user_sgpr_private_segment_size 0
		.amdhsa_wavefront_size32 1
		.amdhsa_uses_dynamic_stack 0
		.amdhsa_enable_private_segment 1
		.amdhsa_system_sgpr_workgroup_id_x 1
		.amdhsa_system_sgpr_workgroup_id_y 0
		.amdhsa_system_sgpr_workgroup_id_z 1
		.amdhsa_system_sgpr_workgroup_info 0
		.amdhsa_system_vgpr_workitem_id 1
		.amdhsa_next_free_vgpr 256
		.amdhsa_next_free_sgpr 30
		.amdhsa_reserve_vcc 1
		.amdhsa_float_round_mode_32 0
		.amdhsa_float_round_mode_16_64 0
		.amdhsa_float_denorm_mode_32 3
		.amdhsa_float_denorm_mode_16_64 3
		.amdhsa_dx10_clamp 1
		.amdhsa_ieee_mode 1
		.amdhsa_fp16_overflow 0
		.amdhsa_workgroup_processor_mode 1
		.amdhsa_memory_ordered 1
		.amdhsa_forward_progress 0
		.amdhsa_shared_vgpr_count 0
		.amdhsa_exception_fp_ieee_invalid_op 0
		.amdhsa_exception_fp_denorm_src 0
		.amdhsa_exception_fp_ieee_div_zero 0
		.amdhsa_exception_fp_ieee_overflow 0
		.amdhsa_exception_fp_ieee_underflow 0
		.amdhsa_exception_fp_ieee_inexact 0
		.amdhsa_exception_int_div_zero 0
	.end_amdhsa_kernel
	.section	.text._ZN12_GLOBAL__N_120geam_min_plus_kernelId15HIP_vector_typeIdLj2EEdLi32ELi8ELi256ELi64ELi4ELi64ELi4ELi4ELi64ELc78ELc78ELb1ELb1ELb1EdKPKdKPdEEviiiT16_PT17_ilSA_ilS8_SA_ilPT18_ili26rocblas_geam_ex_operation_,"axG",@progbits,_ZN12_GLOBAL__N_120geam_min_plus_kernelId15HIP_vector_typeIdLj2EEdLi32ELi8ELi256ELi64ELi4ELi64ELi4ELi4ELi64ELc78ELc78ELb1ELb1ELb1EdKPKdKPdEEviiiT16_PT17_ilSA_ilS8_SA_ilPT18_ili26rocblas_geam_ex_operation_,comdat
.Lfunc_end109:
	.size	_ZN12_GLOBAL__N_120geam_min_plus_kernelId15HIP_vector_typeIdLj2EEdLi32ELi8ELi256ELi64ELi4ELi64ELi4ELi4ELi64ELc78ELc78ELb1ELb1ELb1EdKPKdKPdEEviiiT16_PT17_ilSA_ilS8_SA_ilPT18_ili26rocblas_geam_ex_operation_, .Lfunc_end109-_ZN12_GLOBAL__N_120geam_min_plus_kernelId15HIP_vector_typeIdLj2EEdLi32ELi8ELi256ELi64ELi4ELi64ELi4ELi4ELi64ELc78ELc78ELb1ELb1ELb1EdKPKdKPdEEviiiT16_PT17_ilSA_ilS8_SA_ilPT18_ili26rocblas_geam_ex_operation_
                                        ; -- End function
	.section	.AMDGPU.csdata,"",@progbits
; Kernel info:
; codeLenInByte = 27368
; NumSgprs: 32
; NumVgprs: 256
; ScratchSize: 400
; MemoryBound: 0
; FloatMode: 240
; IeeeMode: 1
; LDSByteSize: 20480 bytes/workgroup (compile time only)
; SGPRBlocks: 3
; VGPRBlocks: 31
; NumSGPRsForWavesPerEU: 32
; NumVGPRsForWavesPerEU: 256
; Occupancy: 5
; WaveLimiterHint : 1
; COMPUTE_PGM_RSRC2:SCRATCH_EN: 1
; COMPUTE_PGM_RSRC2:USER_SGPR: 14
; COMPUTE_PGM_RSRC2:TRAP_HANDLER: 0
; COMPUTE_PGM_RSRC2:TGID_X_EN: 1
; COMPUTE_PGM_RSRC2:TGID_Y_EN: 0
; COMPUTE_PGM_RSRC2:TGID_Z_EN: 1
; COMPUTE_PGM_RSRC2:TIDIG_COMP_CNT: 1
	.section	.text._ZN12_GLOBAL__N_120geam_min_plus_kernelId15HIP_vector_typeIdLj2EEdLi32ELi8ELi256ELi64ELi4ELi64ELi4ELi4ELi64ELc78ELc78ELb0ELb1ELb1EdKPKdKPdEEviiiT16_PT17_ilSA_ilS8_SA_ilPT18_ili26rocblas_geam_ex_operation_,"axG",@progbits,_ZN12_GLOBAL__N_120geam_min_plus_kernelId15HIP_vector_typeIdLj2EEdLi32ELi8ELi256ELi64ELi4ELi64ELi4ELi4ELi64ELc78ELc78ELb0ELb1ELb1EdKPKdKPdEEviiiT16_PT17_ilSA_ilS8_SA_ilPT18_ili26rocblas_geam_ex_operation_,comdat
	.globl	_ZN12_GLOBAL__N_120geam_min_plus_kernelId15HIP_vector_typeIdLj2EEdLi32ELi8ELi256ELi64ELi4ELi64ELi4ELi4ELi64ELc78ELc78ELb0ELb1ELb1EdKPKdKPdEEviiiT16_PT17_ilSA_ilS8_SA_ilPT18_ili26rocblas_geam_ex_operation_ ; -- Begin function _ZN12_GLOBAL__N_120geam_min_plus_kernelId15HIP_vector_typeIdLj2EEdLi32ELi8ELi256ELi64ELi4ELi64ELi4ELi4ELi64ELc78ELc78ELb0ELb1ELb1EdKPKdKPdEEviiiT16_PT17_ilSA_ilS8_SA_ilPT18_ili26rocblas_geam_ex_operation_
	.p2align	8
	.type	_ZN12_GLOBAL__N_120geam_min_plus_kernelId15HIP_vector_typeIdLj2EEdLi32ELi8ELi256ELi64ELi4ELi64ELi4ELi4ELi64ELc78ELc78ELb0ELb1ELb1EdKPKdKPdEEviiiT16_PT17_ilSA_ilS8_SA_ilPT18_ili26rocblas_geam_ex_operation_,@function
_ZN12_GLOBAL__N_120geam_min_plus_kernelId15HIP_vector_typeIdLj2EEdLi32ELi8ELi256ELi64ELi4ELi64ELi4ELi4ELi64ELc78ELc78ELb0ELb1ELb1EdKPKdKPdEEviiiT16_PT17_ilSA_ilS8_SA_ilPT18_ili26rocblas_geam_ex_operation_: ; @_ZN12_GLOBAL__N_120geam_min_plus_kernelId15HIP_vector_typeIdLj2EEdLi32ELi8ELi256ELi64ELi4ELi64ELi4ELi4ELi64ELc78ELc78ELb0ELb1ELb1EdKPKdKPdEEviiiT16_PT17_ilSA_ilS8_SA_ilPT18_ili26rocblas_geam_ex_operation_
; %bb.0:
	s_clause 0x1
	s_load_b128 s[20:23], s[0:1], 0x10
	s_load_b128 s[4:7], s[0:1], 0x28
	s_mov_b32 s2, s15
	s_mov_b64 s[24:25], 0
	s_waitcnt lgkmcnt(0)
	v_cmp_eq_f64_e64 s12, s[20:21], 0
	s_delay_alu instid0(VALU_DEP_1)
	s_and_b32 vcc_lo, exec_lo, s12
	s_cbranch_vccnz .LBB110_2
; %bb.1:
	s_mov_b32 s3, 0
	s_delay_alu instid0(SALU_CYCLE_1) | instskip(NEXT) | instid1(SALU_CYCLE_1)
	s_lshl_b64 s[8:9], s[2:3], 3
	s_add_u32 s8, s22, s8
	s_addc_u32 s9, s23, s9
	s_lshl_b64 s[4:5], s[4:5], 3
	s_load_b64 s[8:9], s[8:9], 0x0
	s_waitcnt lgkmcnt(0)
	s_add_u32 s24, s8, s4
	s_addc_u32 s25, s9, s5
.LBB110_2:
	s_clause 0x1
	s_load_b128 s[8:11], s[0:1], 0x40
	s_load_b64 s[16:17], s[0:1], 0x50
	s_and_not1_b32 vcc_lo, exec_lo, s12
	s_cbranch_vccnz .LBB110_4
; %bb.3:
	s_mov_b32 s3, 0
	s_mov_b64 s[22:23], 0
	s_cbranch_execz .LBB110_5
	s_branch .LBB110_6
.LBB110_4:
	s_mov_b32 s3, -1
                                        ; implicit-def: $sgpr22_sgpr23
.LBB110_5:
	s_mov_b32 s3, 0
	s_delay_alu instid0(SALU_CYCLE_1) | instskip(NEXT) | instid1(SALU_CYCLE_1)
	s_lshl_b64 s[4:5], s[2:3], 3
	s_add_u32 s4, s6, s4
	s_addc_u32 s5, s7, s5
	s_waitcnt lgkmcnt(0)
	s_lshl_b64 s[6:7], s[8:9], 3
	s_load_b64 s[4:5], s[4:5], 0x0
	s_waitcnt lgkmcnt(0)
	s_add_u32 s22, s4, s6
	s_addc_u32 s23, s5, s7
.LBB110_6:
	s_waitcnt lgkmcnt(0)
	v_cmp_eq_f64_e64 s8, s[10:11], 0
	v_cmp_neq_f64_e64 s9, s[10:11], 0
	s_load_b128 s[4:7], s[0:1], 0x60
	s_mov_b64 s[12:13], 0
	s_delay_alu instid0(VALU_DEP_2)
	s_and_b32 vcc_lo, exec_lo, s8
	s_cbranch_vccnz .LBB110_8
; %bb.7:
	s_lshl_b64 s[12:13], s[2:3], 3
	s_delay_alu instid0(SALU_CYCLE_1)
	s_add_u32 s12, s16, s12
	s_addc_u32 s13, s17, s13
	s_waitcnt lgkmcnt(0)
	s_lshl_b64 s[4:5], s[4:5], 3
	s_load_b64 s[12:13], s[12:13], 0x0
	s_waitcnt lgkmcnt(0)
	s_add_u32 s12, s12, s4
	s_addc_u32 s13, s13, s5
.LBB110_8:
	s_clause 0x1
	s_load_b128 s[16:19], s[0:1], 0x0
	s_load_b32 s26, s[0:1], 0x20
	s_lshl_b64 s[2:3], s[2:3], 3
	v_cmp_eq_f64_e64 s27, s[20:21], 0
	s_waitcnt lgkmcnt(0)
	s_add_u32 s2, s6, s2
	s_addc_u32 s3, s7, s3
	v_and_b32_e32 v221, 0x3ff, v0
	v_bfe_u32 v22, v0, 10, 10
	s_delay_alu instid0(VALU_DEP_1) | instskip(NEXT) | instid1(VALU_DEP_1)
	v_lshl_add_u32 v6, v22, 5, v221
	v_lshrrev_b32_e32 v23, 6, v6
	v_and_b32_e32 v233, 63, v6
	s_add_i32 s4, s16, -1
	s_delay_alu instid0(VALU_DEP_2) | instskip(SKIP_1) | instid1(SALU_CYCLE_1)
	v_cmp_le_i32_e32 vcc_lo, s18, v23
	s_ashr_i32 s5, s4, 31
	s_lshr_b32 s5, s5, 24
	s_delay_alu instid0(SALU_CYCLE_1) | instskip(NEXT) | instid1(SALU_CYCLE_1)
	s_add_i32 s4, s4, s5
	s_ashr_i32 s4, s4, 8
	s_delay_alu instid0(SALU_CYCLE_1) | instskip(SKIP_2) | instid1(VALU_DEP_1)
	s_add_i32 s5, s4, 1
	s_not_b32 s4, s4
	v_cvt_f32_u32_e32 v1, s5
	v_rcp_iflag_f32_e32 v1, v1
	s_waitcnt_depctr 0xfff
	v_mul_f32_e32 v1, 0x4f7ffffe, v1
	s_delay_alu instid0(VALU_DEP_1) | instskip(NEXT) | instid1(VALU_DEP_1)
	v_cvt_u32_f32_e32 v1, v1
	v_readfirstlane_b32 s6, v1
	s_delay_alu instid0(VALU_DEP_1) | instskip(NEXT) | instid1(SALU_CYCLE_1)
	s_mul_i32 s4, s4, s6
	s_mul_hi_u32 s4, s6, s4
	s_delay_alu instid0(SALU_CYCLE_1) | instskip(NEXT) | instid1(SALU_CYCLE_1)
	s_add_i32 s6, s6, s4
	s_mul_hi_u32 s4, s14, s6
	s_delay_alu instid0(SALU_CYCLE_1) | instskip(SKIP_2) | instid1(SALU_CYCLE_1)
	s_mul_i32 s6, s4, s5
	s_add_i32 s7, s4, 1
	s_sub_i32 s6, s14, s6
	s_sub_i32 s8, s6, s5
	s_cmp_ge_u32 s6, s5
	s_cselect_b32 s4, s7, s4
	s_cselect_b32 s6, s8, s6
	s_add_i32 s7, s4, 1
	s_cmp_ge_u32 s6, s5
	s_cselect_b32 s6, s7, s4
	s_add_i32 s28, s18, -1
	s_mul_i32 s4, s6, s5
	v_min_i32_e32 v2, s28, v23
	s_sub_i32 s4, s14, s4
	s_load_b64 s[14:15], s[2:3], 0x0
	s_lshl_b32 s8, s4, 8
	s_delay_alu instid0(VALU_DEP_1) | instskip(SKIP_1) | instid1(VALU_DEP_1)
	v_mad_i64_i32 v[0:1], null, s26, v2, 0
	v_or_b32_e32 v25, s8, v233
	v_cmp_le_i32_e64 s2, s16, v25
	s_delay_alu instid0(VALU_DEP_3) | instskip(SKIP_1) | instid1(VALU_DEP_3)
	v_lshlrev_b64 v[2:3], 3, v[0:1]
	v_ashrrev_i32_e32 v26, 31, v25
	s_or_b32 s4, s2, vcc_lo
	s_delay_alu instid0(VALU_DEP_2) | instskip(SKIP_4) | instid1(SALU_CYCLE_1)
	v_add_co_u32 v7, s3, s24, v2
	v_cndmask_b32_e64 v1, 0, 0x7fefffff, s4
	v_cndmask_b32_e64 v0, 0, -1, s4
	v_add_co_ci_u32_e64 v8, s3, s25, v3, s3
	s_or_b32 s3, s27, s4
	s_xor_b32 s3, s3, -1
	s_delay_alu instid0(SALU_CYCLE_1)
	s_and_saveexec_b32 s4, s3
	s_cbranch_execz .LBB110_10
; %bb.9:
	v_lshlrev_b64 v[0:1], 3, v[25:26]
	s_delay_alu instid0(VALU_DEP_1) | instskip(NEXT) | instid1(VALU_DEP_1)
	v_add_co_u32 v0, s3, v7, v0
	v_add_co_ci_u32_e64 v1, s3, v8, v1, s3
	flat_load_b64 v[0:1], v[0:1]
	s_waitcnt vmcnt(0) lgkmcnt(0)
	v_mul_f64 v[0:1], v[0:1], s[20:21]
.LBB110_10:
	s_or_b32 exec_lo, exec_lo, s4
	v_or_b32_e32 v2, 64, v25
	s_delay_alu instid0(VALU_DEP_1) | instskip(NEXT) | instid1(VALU_DEP_1)
	v_cmp_le_i32_e64 s3, s16, v2
	s_or_b32 s4, s3, vcc_lo
	s_delay_alu instid0(SALU_CYCLE_1) | instskip(SKIP_2) | instid1(SALU_CYCLE_1)
	v_cndmask_b32_e64 v3, 0, 0x7fefffff, s4
	v_cndmask_b32_e64 v2, 0, -1, s4
	s_or_b32 s4, s27, s4
	s_xor_b32 s4, s4, -1
	s_delay_alu instid0(SALU_CYCLE_1)
	s_and_saveexec_b32 s5, s4
	s_cbranch_execz .LBB110_12
; %bb.11:
	v_lshlrev_b64 v[2:3], 3, v[25:26]
	s_delay_alu instid0(VALU_DEP_1) | instskip(NEXT) | instid1(VALU_DEP_1)
	v_add_co_u32 v2, s4, v7, v2
	v_add_co_ci_u32_e64 v3, s4, v8, v3, s4
	flat_load_b64 v[2:3], v[2:3] offset:512
	s_waitcnt vmcnt(0) lgkmcnt(0)
	v_mul_f64 v[2:3], v[2:3], s[20:21]
.LBB110_12:
	s_or_b32 exec_lo, exec_lo, s5
	v_or_b32_e32 v4, 0x80, v25
	s_delay_alu instid0(VALU_DEP_1) | instskip(NEXT) | instid1(VALU_DEP_1)
	v_cmp_le_i32_e64 s4, s16, v4
	s_or_b32 s5, s4, vcc_lo
	s_delay_alu instid0(SALU_CYCLE_1) | instskip(SKIP_2) | instid1(SALU_CYCLE_1)
	v_cndmask_b32_e64 v17, 0, 0x7fefffff, s5
	v_cndmask_b32_e64 v16, 0, -1, s5
	s_or_b32 s5, s27, s5
	s_xor_b32 s5, s5, -1
	s_delay_alu instid0(SALU_CYCLE_1)
	s_and_saveexec_b32 s7, s5
	s_cbranch_execz .LBB110_14
; %bb.13:
	v_lshlrev_b64 v[9:10], 3, v[25:26]
	s_delay_alu instid0(VALU_DEP_1) | instskip(NEXT) | instid1(VALU_DEP_1)
	v_add_co_u32 v9, s5, v7, v9
	v_add_co_ci_u32_e64 v10, s5, v8, v10, s5
	flat_load_b64 v[9:10], v[9:10] offset:1024
	s_waitcnt vmcnt(0) lgkmcnt(0)
	v_mul_f64 v[16:17], v[9:10], s[20:21]
.LBB110_14:
	s_or_b32 exec_lo, exec_lo, s7
	v_or_b32_e32 v4, 0xc0, v25
	s_delay_alu instid0(VALU_DEP_1) | instskip(NEXT) | instid1(VALU_DEP_1)
	v_cmp_le_i32_e64 s5, s16, v4
	s_or_b32 s7, s5, vcc_lo
	s_delay_alu instid0(SALU_CYCLE_1) | instskip(SKIP_2) | instid1(SALU_CYCLE_1)
	v_cndmask_b32_e64 v19, 0, 0x7fefffff, s7
	v_cndmask_b32_e64 v18, 0, -1, s7
	s_or_b32 s7, s27, s7
	s_xor_b32 s19, s7, -1
	s_delay_alu instid0(SALU_CYCLE_1)
	s_and_saveexec_b32 s7, s19
	s_cbranch_execz .LBB110_16
; %bb.15:
	v_lshlrev_b64 v[9:10], 3, v[25:26]
	s_delay_alu instid0(VALU_DEP_1) | instskip(NEXT) | instid1(VALU_DEP_2)
	v_add_co_u32 v7, vcc_lo, v7, v9
	v_add_co_ci_u32_e32 v8, vcc_lo, v8, v10, vcc_lo
	flat_load_b64 v[7:8], v[7:8] offset:1536
	s_waitcnt vmcnt(0) lgkmcnt(0)
	v_mul_f64 v[18:19], v[7:8], s[20:21]
.LBB110_16:
	s_or_b32 exec_lo, exec_lo, s7
	v_lshrrev_b32_e32 v24, 2, v6
	s_load_b32 s30, s[0:1], 0x38
	s_lshl_b32 s19, s6, 6
	v_and_b32_e32 v4, 3, v221
	s_delay_alu instid0(VALU_DEP_2) | instskip(NEXT) | instid1(VALU_DEP_2)
	v_add_nc_u32_e32 v27, s19, v24
	v_cmp_le_i32_e32 vcc_lo, s18, v4
	scratch_store_b32 off, v4, off offset:372 ; 4-byte Folded Spill
	v_cmp_le_i32_e64 s6, s17, v27
	s_delay_alu instid0(VALU_DEP_1) | instskip(NEXT) | instid1(SALU_CYCLE_1)
	s_or_b32 s7, vcc_lo, s6
	v_cndmask_b32_e64 v21, 0, 0x7fefffff, s7
	v_cndmask_b32_e64 v20, 0, -1, s7
	s_or_b32 s7, s27, s7
	s_delay_alu instid0(SALU_CYCLE_1) | instskip(NEXT) | instid1(SALU_CYCLE_1)
	s_xor_b32 s29, s7, -1
	s_and_saveexec_b32 s7, s29
	s_cbranch_execz .LBB110_18
; %bb.17:
	s_waitcnt lgkmcnt(0)
	v_mad_i64_i32 v[6:7], null, v27, s30, 0
	v_and_b32_e32 v4, 3, v221
	s_delay_alu instid0(VALU_DEP_1) | instskip(NEXT) | instid1(VALU_DEP_3)
	v_min_u32_e32 v4, s28, v4
	v_lshlrev_b64 v[6:7], 3, v[6:7]
	s_delay_alu instid0(VALU_DEP_2) | instskip(NEXT) | instid1(VALU_DEP_2)
	v_lshlrev_b32_e32 v4, 3, v4
	v_add_co_u32 v5, vcc_lo, s22, v6
	s_delay_alu instid0(VALU_DEP_3) | instskip(NEXT) | instid1(VALU_DEP_2)
	v_add_co_ci_u32_e32 v7, vcc_lo, s23, v7, vcc_lo
	v_add_co_u32 v6, vcc_lo, v5, v4
	s_delay_alu instid0(VALU_DEP_2)
	v_add_co_ci_u32_e32 v7, vcc_lo, 0, v7, vcc_lo
	flat_load_b64 v[6:7], v[6:7]
	s_waitcnt vmcnt(0) lgkmcnt(0)
	v_mul_f64 v[20:21], v[6:7], s[20:21]
.LBB110_18:
	s_or_b32 exec_lo, exec_lo, s7
	v_add_nc_u32_e32 v4, 4, v23
	s_delay_alu instid0(VALU_DEP_1) | instskip(SKIP_1) | instid1(VALU_DEP_2)
	v_min_i32_e32 v5, s28, v4
	v_cmp_le_i32_e32 vcc_lo, s18, v4
	v_mad_i64_i32 v[6:7], null, s26, v5, 0
	s_or_b32 s29, s2, vcc_lo
	s_delay_alu instid0(SALU_CYCLE_1) | instskip(SKIP_1) | instid1(VALU_DEP_3)
	v_cndmask_b32_e64 v5, 0, 0x7fefffff, s29
	v_cndmask_b32_e64 v4, 0, -1, s29
	v_lshlrev_b64 v[8:9], 3, v[6:7]
	s_delay_alu instid0(VALU_DEP_1) | instskip(NEXT) | instid1(VALU_DEP_1)
	v_add_co_u32 v14, s7, s24, v8
	v_add_co_ci_u32_e64 v15, s7, s25, v9, s7
	s_or_b32 s7, s27, s29
	s_delay_alu instid0(SALU_CYCLE_1) | instskip(NEXT) | instid1(SALU_CYCLE_1)
	s_xor_b32 s7, s7, -1
	s_and_saveexec_b32 s29, s7
	s_cbranch_execz .LBB110_20
; %bb.19:
	v_lshlrev_b64 v[6:7], 3, v[25:26]
	s_delay_alu instid0(VALU_DEP_1) | instskip(NEXT) | instid1(VALU_DEP_1)
	v_add_co_u32 v6, s7, v14, v6
	v_add_co_ci_u32_e64 v7, s7, v15, v7, s7
	flat_load_b64 v[6:7], v[6:7]
	s_waitcnt vmcnt(0) lgkmcnt(0)
	v_mul_f64 v[4:5], v[6:7], s[20:21]
.LBB110_20:
	s_or_b32 exec_lo, exec_lo, s29
	s_or_b32 s7, s3, vcc_lo
	s_delay_alu instid0(SALU_CYCLE_1) | instskip(SKIP_2) | instid1(SALU_CYCLE_1)
	v_cndmask_b32_e64 v7, 0, 0x7fefffff, s7
	v_cndmask_b32_e64 v6, 0, -1, s7
	s_or_b32 s7, s27, s7
	s_xor_b32 s7, s7, -1
	s_delay_alu instid0(SALU_CYCLE_1)
	s_and_saveexec_b32 s29, s7
	s_cbranch_execz .LBB110_22
; %bb.21:
	v_lshlrev_b64 v[8:9], 3, v[25:26]
	s_delay_alu instid0(VALU_DEP_1) | instskip(NEXT) | instid1(VALU_DEP_1)
	v_add_co_u32 v8, s7, v14, v8
	v_add_co_ci_u32_e64 v9, s7, v15, v9, s7
	flat_load_b64 v[8:9], v[8:9] offset:512
	s_waitcnt vmcnt(0) lgkmcnt(0)
	v_mul_f64 v[6:7], v[8:9], s[20:21]
.LBB110_22:
	s_or_b32 exec_lo, exec_lo, s29
	s_or_b32 s7, s4, vcc_lo
	s_delay_alu instid0(SALU_CYCLE_1) | instskip(SKIP_2) | instid1(SALU_CYCLE_1)
	v_cndmask_b32_e64 v9, 0, 0x7fefffff, s7
	v_cndmask_b32_e64 v8, 0, -1, s7
	s_or_b32 s7, s27, s7
	s_xor_b32 s7, s7, -1
	s_delay_alu instid0(SALU_CYCLE_1)
	s_and_saveexec_b32 s29, s7
	s_cbranch_execz .LBB110_24
; %bb.23:
	v_lshlrev_b64 v[10:11], 3, v[25:26]
	s_delay_alu instid0(VALU_DEP_1) | instskip(NEXT) | instid1(VALU_DEP_1)
	v_add_co_u32 v10, s7, v14, v10
	v_add_co_ci_u32_e64 v11, s7, v15, v11, s7
	flat_load_b64 v[10:11], v[10:11] offset:1024
	s_waitcnt vmcnt(0) lgkmcnt(0)
	v_mul_f64 v[8:9], v[10:11], s[20:21]
.LBB110_24:
	s_or_b32 exec_lo, exec_lo, s29
	s_or_b32 s7, s5, vcc_lo
	s_clause 0x1
	scratch_store_b64 off, v[6:7], off offset:304
	scratch_store_b64 off, v[4:5], off offset:296
	v_cndmask_b32_e64 v5, 0, 0x7fefffff, s7
	v_cndmask_b32_e64 v4, 0, -1, s7
	s_or_b32 s7, s27, s7
	s_delay_alu instid0(SALU_CYCLE_1) | instskip(NEXT) | instid1(SALU_CYCLE_1)
	s_xor_b32 s29, s7, -1
	s_and_saveexec_b32 s7, s29
	s_cbranch_execz .LBB110_26
; %bb.25:
	v_lshlrev_b64 v[12:13], 3, v[25:26]
	s_delay_alu instid0(VALU_DEP_1) | instskip(NEXT) | instid1(VALU_DEP_2)
	v_add_co_u32 v12, vcc_lo, v14, v12
	v_add_co_ci_u32_e32 v13, vcc_lo, v15, v13, vcc_lo
	flat_load_b64 v[12:13], v[12:13] offset:1536
	s_waitcnt vmcnt(0) lgkmcnt(0)
	v_mul_f64 v[4:5], v[12:13], s[20:21]
.LBB110_26:
	s_or_b32 exec_lo, exec_lo, s7
	s_clause 0x2
	scratch_store_b64 off, v[4:5], off offset:320
	scratch_store_b64 off, v[8:9], off offset:312
	;; [unrolled: 1-line block ×3, first 2 shown]
	v_and_b32_e32 v4, 3, v221
	s_delay_alu instid0(VALU_DEP_1) | instskip(NEXT) | instid1(VALU_DEP_1)
	v_or_b32_e32 v25, 4, v4
	v_cmp_le_i32_e32 vcc_lo, s18, v25
	s_or_b32 s7, vcc_lo, s6
	s_delay_alu instid0(SALU_CYCLE_1) | instskip(SKIP_4) | instid1(SALU_CYCLE_1)
	v_cndmask_b32_e64 v5, 0, 0x7fefffff, s7
	v_cndmask_b32_e64 v4, 0, -1, s7
	s_or_b32 s29, s27, s7
	s_mov_b32 s7, -1
	s_xor_b32 s31, s29, -1
	s_and_saveexec_b32 s29, s31
	s_cbranch_execz .LBB110_28
; %bb.27:
	s_waitcnt lgkmcnt(0)
	v_mad_i64_i32 v[14:15], null, v27, s30, 0
	v_min_u32_e32 v4, s28, v25
	s_delay_alu instid0(VALU_DEP_1) | instskip(NEXT) | instid1(VALU_DEP_3)
	v_lshlrev_b32_e32 v4, 3, v4
	v_lshlrev_b64 v[14:15], 3, v[14:15]
	s_delay_alu instid0(VALU_DEP_1) | instskip(NEXT) | instid1(VALU_DEP_2)
	v_add_co_u32 v5, vcc_lo, s22, v14
	v_add_co_ci_u32_e32 v6, vcc_lo, s23, v15, vcc_lo
	s_delay_alu instid0(VALU_DEP_2) | instskip(NEXT) | instid1(VALU_DEP_2)
	v_add_co_u32 v14, vcc_lo, v5, v4
	v_add_co_ci_u32_e32 v15, vcc_lo, 0, v6, vcc_lo
	flat_load_b64 v[14:15], v[14:15]
	s_waitcnt vmcnt(0) lgkmcnt(0)
	v_mul_f64 v[4:5], v[14:15], s[20:21]
.LBB110_28:
	s_or_b32 exec_lo, exec_lo, s29
	s_clause 0x2
	scratch_store_b32 off, v27, off offset:352
	scratch_store_b64 off, v[4:5], off offset:328
	scratch_store_b32 off, v23, off offset:368
	v_dual_mov_b32 v66, 0x7f800000 :: v_dual_and_b32 v5, 3, v221
	v_dual_mov_b32 v67, 0x7f800000 :: v_dual_lshlrev_b32 v4, 3, v23
	s_delay_alu instid0(VALU_DEP_2) | instskip(SKIP_1) | instid1(VALU_DEP_3)
	v_dual_mov_b32 v126, 0x7f800000 :: v_dual_lshlrev_b32 v5, 3, v5
	v_dual_mov_b32 v123, 0x7f800000 :: v_dual_mov_b32 v122, 0x7f800000
	v_lshl_add_u32 v4, v233, 5, v4
	v_dual_mov_b32 v127, 0x7f800000 :: v_dual_mov_b32 v128, 0x7f800000
	s_delay_alu instid0(VALU_DEP_4)
	v_lshl_or_b32 v5, v24, 5, v5
	v_dual_mov_b32 v129, 0x7f800000 :: v_dual_mov_b32 v134, 0x7f800000
	ds_store_2addr_stride64_b64 v4, v[0:1], v[2:3] offset1:4
	scratch_store_b32 off, v4, off offset:376 ; 4-byte Folded Spill
	v_add_nc_u32_e32 v0, 0x4000, v5
	ds_store_2addr_stride64_b64 v4, v[16:17], v[18:19] offset0:8 offset1:12
	v_dual_mov_b32 v132, 0x7f800000 :: v_dual_mov_b32 v133, 0x7f800000
	s_clause 0x1
	scratch_store_b32 off, v0, off offset:380
	scratch_store_b32 off, v5, off offset:336
	v_dual_mov_b32 v200, 0x7f800000 :: v_dual_mov_b32 v219, 0x7f800000
	v_dual_mov_b32 v0, 0x7f800000 :: v_dual_mov_b32 v55, 0x7f800000
	;; [unrolled: 1-line block ×26, first 2 shown]
	v_mov_b32_e32 v142, 0x7f800000
	s_mov_b32 s29, 0
	ds_store_b64 v5, v[20:21] offset:16384
	scratch_store_b32 off, v0, off          ; 4-byte Folded Spill
	s_waitcnt lgkmcnt(0)
	s_waitcnt_vscnt null, 0x0
	s_barrier
	buffer_gl0_inv
	scratch_store_b32 off, v22, off offset:4 ; 4-byte Folded Spill
.LBB110_29:                             ; =>This Inner Loop Header: Depth=1
	s_lshl_b32 s29, s29, 3
	v_dual_mov_b32 v27, v55 :: v_dual_mov_b32 v130, v54
	v_lshl_add_u32 v20, v22, 5, s29
	v_lshl_add_u32 v4, v221, 5, s29
	v_mov_b32_e32 v125, v53
	s_mov_b32 s29, 2
	ds_load_b128 v[16:19], v20 offset:16384
	ds_load_b128 v[0:3], v4
	ds_load_b128 v[105:108], v4 offset:1024
	ds_load_b128 v[29:32], v20 offset:16640
	s_and_not1_b32 vcc_lo, exec_lo, s7
	s_mov_b32 s7, 0
	s_waitcnt lgkmcnt(2)
	v_add_f64 v[5:6], v[2:3], v[18:19]
	scratch_store_b64 off, v[5:6], off offset:104 ; 8-byte Folded Spill
	v_add_f64 v[5:6], v[0:1], v[16:17]
	scratch_store_b64 off, v[5:6], off offset:96 ; 8-byte Folded Spill
	s_waitcnt lgkmcnt(1)
	v_add_f64 v[5:6], v[107:108], v[18:19]
	scratch_store_b64 off, v[5:6], off offset:8 ; 8-byte Folded Spill
	v_add_f64 v[5:6], v[105:106], v[16:17]
	scratch_store_b64 off, v[5:6], off offset:64 ; 8-byte Folded Spill
	ds_load_b128 v[33:36], v4 offset:2048
	ds_load_b128 v[37:40], v4 offset:3072
	s_waitcnt lgkmcnt(1)
	v_add_f64 v[5:6], v[35:36], v[18:19]
	scratch_store_b64 off, v[5:6], off offset:40 ; 8-byte Folded Spill
	v_add_f64 v[5:6], v[33:34], v[16:17]
	scratch_store_b64 off, v[5:6], off offset:112 ; 8-byte Folded Spill
	s_waitcnt lgkmcnt(0)
	v_add_f64 v[5:6], v[39:40], v[18:19]
	scratch_store_b64 off, v[5:6], off offset:16 ; 8-byte Folded Spill
	v_add_f64 v[5:6], v[37:38], v[16:17]
	scratch_store_b64 off, v[5:6], off offset:72 ; 8-byte Folded Spill
	ds_load_b128 v[41:44], v4 offset:4096
	ds_load_b128 v[45:48], v4 offset:5120
	;; [unrolled: 1-line block ×4, first 2 shown]
	s_waitcnt lgkmcnt(3)
	v_add_f64 v[5:6], v[43:44], v[18:19]
	scratch_store_b64 off, v[5:6], off offset:48 ; 8-byte Folded Spill
	v_add_f64 v[5:6], v[41:42], v[16:17]
	scratch_store_b64 off, v[5:6], off offset:120 ; 8-byte Folded Spill
	s_waitcnt lgkmcnt(2)
	v_add_f64 v[5:6], v[47:48], v[18:19]
	scratch_store_b64 off, v[5:6], off offset:24 ; 8-byte Folded Spill
	v_add_f64 v[5:6], v[45:46], v[16:17]
	scratch_store_b64 off, v[5:6], off offset:80 ; 8-byte Folded Spill
	;; [unrolled: 5-line block ×4, first 2 shown]
	v_add_f64 v[4:5], v[2:3], v[31:32]
	scratch_store_b64 off, v[4:5], off offset:136 ; 8-byte Folded Spill
	v_add_f64 v[4:5], v[0:1], v[29:30]
	scratch_store_b64 off, v[4:5], off offset:144 ; 8-byte Folded Spill
	;; [unrolled: 2-line block ×16, first 2 shown]
	ds_load_b128 v[16:19], v20 offset:16896
	ds_load_b128 v[29:32], v20 offset:17152
	s_waitcnt lgkmcnt(1)
	v_add_f64 v[4:5], v[47:48], v[18:19]
	v_add_f64 v[168:169], v[2:3], v[18:19]
	;; [unrolled: 1-line block ×13, first 2 shown]
	s_waitcnt lgkmcnt(0)
	v_add_f64 v[174:175], v[2:3], v[31:32]
	v_add_f64 v[224:225], v[0:1], v[29:30]
	;; [unrolled: 1-line block ×16, first 2 shown]
	scratch_store_b64 off, v[4:5], off offset:280 ; 8-byte Folded Spill
	v_add_f64 v[4:5], v[51:52], v[18:19]
	scratch_store_b64 off, v[4:5], off offset:272 ; 8-byte Folded Spill
	v_add_f64 v[4:5], v[55:56], v[18:19]
	;; [unrolled: 2-line block ×3, first 2 shown]
	scratch_store_b64 off, v[4:5], off offset:288 ; 8-byte Folded Spill
	ds_load_b128 v[16:19], v20 offset:17408
	ds_load_b128 v[29:32], v20 offset:17664
	s_waitcnt lgkmcnt(1)
	v_add_f64 v[254:255], v[2:3], v[18:19]
	v_add_f64 v[23:24], v[0:1], v[16:17]
	;; [unrolled: 1-line block ×16, first 2 shown]
	s_waitcnt lgkmcnt(0)
	v_add_f64 v[162:163], v[2:3], v[31:32]
	v_add_f64 v[160:161], v[0:1], v[29:30]
	;; [unrolled: 1-line block ×16, first 2 shown]
	ds_load_b128 v[16:19], v20 offset:17920
	ds_load_b128 v[29:32], v20 offset:18176
	scratch_load_b64 v[77:78], off, off offset:96 ; 8-byte Folded Reload
	v_cvt_f32_f64_e32 v6, v[6:7]
	v_cvt_f32_f64_e32 v8, v[8:9]
	;; [unrolled: 1-line block ×5, first 2 shown]
	s_waitcnt lgkmcnt(1)
	v_add_f64 v[115:116], v[2:3], v[18:19]
	v_add_f64 v[87:88], v[107:108], v[18:19]
	v_add_f64 v[91:92], v[35:36], v[18:19]
	v_add_f64 v[95:96], v[39:40], v[18:19]
	v_add_f64 v[99:100], v[43:44], v[18:19]
	v_add_f64 v[222:223], v[47:48], v[18:19]
	v_add_f64 v[103:104], v[51:52], v[18:19]
	v_add_f64 v[18:19], v[55:56], v[18:19]
	s_waitcnt lgkmcnt(0)
	v_add_f64 v[2:3], v[2:3], v[31:32]
	v_add_f64 v[107:108], v[107:108], v[31:32]
	;; [unrolled: 1-line block ×8, first 2 shown]
	v_mov_b32_e32 v55, v27
	v_add_f64 v[117:118], v[0:1], v[16:17]
	v_add_f64 v[89:90], v[105:106], v[16:17]
	;; [unrolled: 1-line block ×16, first 2 shown]
	v_dual_mov_b32 v54, v130 :: v_dual_mov_b32 v53, v125
	v_min3_f32 v131, v4, v5, v131
	v_cvt_f32_f64_e32 v5, v[21:22]
	v_cvt_f32_f64_e32 v4, v[113:114]
	v_min3_f32 v137, v8, v6, v137
	v_cvt_f32_f64_e32 v6, v[12:13]
	scratch_load_b32 v22, off, off offset:4 ; 4-byte Folded Reload
	v_cvt_f32_f64_e32 v0, v[0:1]
	v_cvt_f32_f64_e32 v1, v[2:3]
	v_min3_f32 v54, v4, v5, v54
	v_cvt_f32_f64_e32 v4, v[109:110]
	v_cvt_f32_f64_e32 v5, v[83:84]
	v_min3_f32 v136, v6, v7, v136
	;; [unrolled: 3-line block ×5, first 2 shown]
	scratch_load_b32 v6, off, off           ; 4-byte Folded Reload
	v_min3_f32 v129, v0, v1, v129
	v_cvt_f32_f64_e32 v0, v[33:34]
	v_cvt_f32_f64_e32 v1, v[35:36]
	v_min3_f32 v124, v4, v5, v124
	v_cvt_f32_f64_e32 v4, v[160:161]
	v_cvt_f32_f64_e32 v5, v[162:163]
	s_delay_alu instid0(VALU_DEP_4) | instskip(SKIP_2) | instid1(VALU_DEP_4)
	v_min3_f32 v127, v0, v1, v127
	v_cvt_f32_f64_e32 v0, v[37:38]
	v_cvt_f32_f64_e32 v1, v[39:40]
	v_min3_f32 v121, v4, v5, v121
	v_cvt_f32_f64_e32 v4, v[156:157]
	v_cvt_f32_f64_e32 v5, v[158:159]
	s_delay_alu instid0(VALU_DEP_4) | instskip(SKIP_2) | instid1(VALU_DEP_4)
	;; [unrolled: 7-line block ×3, first 2 shown]
	v_min3_f32 v126, v0, v1, v126
	v_cvt_f32_f64_e32 v0, v[45:46]
	v_cvt_f32_f64_e32 v1, v[47:48]
	v_min3_f32 v85, v4, v5, v85
	v_cvt_f32_f64_e32 v4, v[148:149]
	v_cvt_f32_f64_e32 v5, v[150:151]
	s_waitcnt vmcnt(2)
	v_cvt_f32_f64_e32 v20, v[77:78]
	scratch_load_b64 v[77:78], off, off offset:104 ; 8-byte Folded Reload
	v_min3_f32 v123, v0, v1, v123
	v_cvt_f32_f64_e32 v0, v[49:50]
	v_cvt_f32_f64_e32 v1, v[51:52]
	v_min3_f32 v55, v4, v5, v55
	v_cvt_f32_f64_e32 v4, v[73:74]
	v_cvt_f32_f64_e32 v5, v[61:62]
	s_delay_alu instid0(VALU_DEP_4) | instskip(SKIP_2) | instid1(VALU_DEP_4)
	v_min3_f32 v66, v0, v1, v66
	v_cvt_f32_f64_e32 v0, v[29:30]
	v_cvt_f32_f64_e32 v1, v[31:32]
	v_min3_f32 v192, v4, v5, v192
	v_cvt_f32_f64_e32 v4, v[69:70]
	v_cvt_f32_f64_e32 v5, v[71:72]
	s_delay_alu instid0(VALU_DEP_4) | instskip(NEXT) | instid1(VALU_DEP_2)
	v_min3_f32 v67, v0, v1, v67
	v_min3_f32 v68, v4, v5, v68
	v_cvt_f32_f64_e32 v4, v[111:112]
	v_cvt_f32_f64_e32 v5, v[63:64]
	s_delay_alu instid0(VALU_DEP_1) | instskip(SKIP_2) | instid1(VALU_DEP_1)
	v_min3_f32 v86, v4, v5, v86
	v_cvt_f32_f64_e32 v4, v[57:58]
	v_cvt_f32_f64_e32 v5, v[59:60]
	v_min3_f32 v210, v4, v5, v210
	v_cvt_f32_f64_e32 v4, v[117:118]
	v_cvt_f32_f64_e32 v5, v[115:116]
	s_delay_alu instid0(VALU_DEP_1) | instskip(SKIP_2) | instid1(VALU_DEP_1)
	v_min3_f32 v219, v4, v5, v219
	v_cvt_f32_f64_e32 v4, v[89:90]
	v_cvt_f32_f64_e32 v5, v[87:88]
	v_min3_f32 v190, v4, v5, v190
	v_cvt_f32_f64_e32 v4, v[93:94]
	v_cvt_f32_f64_e32 v5, v[91:92]
	s_delay_alu instid0(VALU_DEP_1)
	v_min3_f32 v236, v4, v5, v236
	v_cvt_f32_f64_e32 v4, v[208:209]
	v_cvt_f32_f64_e32 v5, v[95:96]
	s_waitcnt vmcnt(0)
	v_cvt_f32_f64_e32 v27, v[77:78]
	scratch_load_b64 v[77:78], off, off offset:64 ; 8-byte Folded Reload
	v_min3_f32 v133, v4, v5, v133
	v_cvt_f32_f64_e32 v4, v[25:26]
	v_cvt_f32_f64_e32 v5, v[99:100]
	v_min3_f32 v143, v20, v27, v143
	s_delay_alu instid0(VALU_DEP_2)
	v_min3_f32 v6, v4, v5, v6
	v_cvt_f32_f64_e32 v4, v[97:98]
	v_cvt_f32_f64_e32 v5, v[222:223]
	scratch_store_b32 off, v6, off          ; 4-byte Folded Spill
	v_min3_f32 v200, v4, v5, v200
	v_cvt_f32_f64_e32 v4, v[101:102]
	v_cvt_f32_f64_e32 v5, v[103:104]
	s_delay_alu instid0(VALU_DEP_1) | instskip(SKIP_2) | instid1(VALU_DEP_1)
	v_min3_f32 v132, v4, v5, v132
	v_cvt_f32_f64_e32 v4, v[16:17]
	v_cvt_f32_f64_e32 v5, v[18:19]
	v_min3_f32 v134, v4, v5, v134
	s_waitcnt vmcnt(0)
	v_cvt_f32_f64_e32 v20, v[77:78]
	scratch_load_b64 v[77:78], off, off offset:8 ; 8-byte Folded Reload
	s_waitcnt vmcnt(0)
	v_cvt_f32_f64_e32 v27, v[77:78]
	scratch_load_b64 v[77:78], off, off offset:112 ; 8-byte Folded Reload
	v_min3_f32 v142, v20, v27, v142
	s_waitcnt vmcnt(0)
	v_cvt_f32_f64_e32 v20, v[77:78]
	scratch_load_b64 v[77:78], off, off offset:40 ; 8-byte Folded Reload
	s_waitcnt vmcnt(0)
	v_cvt_f32_f64_e32 v27, v[77:78]
	scratch_load_b64 v[77:78], off, off offset:72 ; 8-byte Folded Reload
	;; [unrolled: 7-line block ×15, first 2 shown]
	v_min3_f32 v214, v20, v27, v214
	v_cvt_f32_f64_e32 v20, v[164:165]
	v_cvt_f32_f64_e32 v27, v[168:169]
	s_delay_alu instid0(VALU_DEP_1) | instskip(SKIP_2) | instid1(VALU_DEP_1)
	v_min3_f32 v213, v20, v27, v213
	v_cvt_f32_f64_e32 v20, v[166:167]
	v_cvt_f32_f64_e32 v27, v[176:177]
	v_min3_f32 v212, v20, v27, v212
	v_cvt_f32_f64_e32 v20, v[170:171]
	v_cvt_f32_f64_e32 v27, v[180:181]
	s_delay_alu instid0(VALU_DEP_1) | instskip(SKIP_2) | instid1(VALU_DEP_1)
	v_min3_f32 v211, v20, v27, v211
	v_cvt_f32_f64_e32 v20, v[172:173]
	v_cvt_f32_f64_e32 v27, v[184:185]
	v_min3_f32 v207, v20, v27, v207
	v_cvt_f32_f64_e32 v20, v[178:179]
	v_cvt_f32_f64_e32 v27, v[188:189]
	s_delay_alu instid0(VALU_DEP_1)
	v_min3_f32 v206, v20, v27, v206
	v_cvt_f32_f64_e32 v20, v[182:183]
	s_waitcnt vmcnt(0)
	v_cvt_f32_f64_e32 v27, v[77:78]
	scratch_load_b64 v[77:78], off, off offset:272 ; 8-byte Folded Reload
	v_min3_f32 v205, v20, v27, v205
	v_cvt_f32_f64_e32 v20, v[186:187]
	s_waitcnt vmcnt(0)
	v_cvt_f32_f64_e32 v27, v[77:78]
	scratch_load_b64 v[77:78], off, off offset:288 ; 8-byte Folded Reload
	v_min3_f32 v204, v20, v27, v204
	s_waitcnt vmcnt(0)
	v_cvt_f32_f64_e32 v20, v[77:78]
	scratch_load_b64 v[77:78], off, off offset:264 ; 8-byte Folded Reload
	s_waitcnt vmcnt(0)
	v_cvt_f32_f64_e32 v27, v[77:78]
	s_delay_alu instid0(VALU_DEP_1) | instskip(SKIP_2) | instid1(VALU_DEP_1)
	v_min3_f32 v203, v20, v27, v203
	v_cvt_f32_f64_e32 v20, v[224:225]
	v_cvt_f32_f64_e32 v27, v[174:175]
	v_min3_f32 v202, v20, v27, v202
	v_cvt_f32_f64_e32 v20, v[228:229]
	v_cvt_f32_f64_e32 v27, v[226:227]
	s_delay_alu instid0(VALU_DEP_1) | instskip(SKIP_2) | instid1(VALU_DEP_1)
	v_min3_f32 v199, v20, v27, v199
	v_cvt_f32_f64_e32 v20, v[79:80]
	v_cvt_f32_f64_e32 v27, v[230:231]
	v_min3_f32 v198, v20, v27, v198
	v_cvt_f32_f64_e32 v20, v[119:120]
	v_cvt_f32_f64_e32 v27, v[234:235]
	s_delay_alu instid0(VALU_DEP_1) | instskip(SKIP_2) | instid1(VALU_DEP_1)
	v_min3_f32 v197, v20, v27, v197
	v_cvt_f32_f64_e32 v20, v[240:241]
	v_cvt_f32_f64_e32 v27, v[238:239]
	v_min3_f32 v196, v20, v27, v196
	v_cvt_f32_f64_e32 v20, v[244:245]
	v_cvt_f32_f64_e32 v27, v[242:243]
	s_delay_alu instid0(VALU_DEP_1) | instskip(SKIP_2) | instid1(VALU_DEP_1)
	v_min3_f32 v193, v20, v27, v193
	v_cvt_f32_f64_e32 v20, v[248:249]
	v_cvt_f32_f64_e32 v27, v[246:247]
	v_min3_f32 v195, v20, v27, v195
	v_cvt_f32_f64_e32 v20, v[252:253]
	v_cvt_f32_f64_e32 v27, v[250:251]
	s_delay_alu instid0(VALU_DEP_1) | instskip(SKIP_2) | instid1(VALU_DEP_1)
	v_min3_f32 v194, v20, v27, v194
	v_cvt_f32_f64_e32 v20, v[23:24]
	v_cvt_f32_f64_e32 v23, v[254:255]
	v_min3_f32 v138, v20, v23, v138
	s_cbranch_vccz .LBB110_29
; %bb.30:
	v_mov_b32_e32 v71, v197
	s_clause 0x2
	scratch_load_b32 v197, off, off offset:368
	scratch_load_b64 v[1:2], off, off offset:328
	scratch_load_b32 v5, off, off offset:336
	v_dual_mov_b32 v99, v214 :: v_dual_lshlrev_b32 v0, 5, v233
	v_dual_mov_b32 v95, v220 :: v_dual_mov_b32 v98, v213
	v_dual_mov_b32 v39, v217 :: v_dual_mov_b32 v60, v204
	;; [unrolled: 1-line block ×3, first 2 shown]
	v_mov_b32_e32 v103, v212
	v_mov_b32_e32 v107, v207
	;; [unrolled: 1-line block ×10, first 2 shown]
	s_mov_b32 s29, 8
	s_cmp_gt_i32 s18, 8
	s_waitcnt vmcnt(2)
	v_lshl_add_u32 v0, v197, 3, v0
	s_waitcnt vmcnt(0)
	ds_store_b64 v5, v[1:2] offset:18432
	s_clause 0x1
	scratch_load_b64 v[1:2], off, off offset:296
	scratch_load_b64 v[3:4], off, off offset:304
	s_waitcnt vmcnt(0)
	ds_store_2addr_stride64_b64 v0, v[1:2], v[3:4] offset0:16 offset1:20
	s_clause 0x1
	scratch_load_b64 v[1:2], off, off offset:312
	scratch_load_b64 v[3:4], off, off offset:320
	s_waitcnt vmcnt(0)
	ds_store_2addr_stride64_b64 v0, v[1:2], v[3:4] offset0:24 offset1:28
	s_waitcnt lgkmcnt(0)
	s_waitcnt_vscnt null, 0x0
	s_barrier
	buffer_gl0_inv
	scratch_store_b32 off, v221, off offset:8 ; 4-byte Folded Spill
	s_cbranch_scc0 .LBB110_58
; %bb.31:
	scratch_load_b32 v3, off, off offset:352 ; 4-byte Folded Reload
	v_dual_mov_b32 v121, v219 :: v_dual_add_nc_u32 v0, 0x2000, v0
	v_mov_b32_e32 v6, 0
	v_mov_b32_e32 v74, v60
	scratch_store_b32 off, v0, off offset:384 ; 4-byte Folded Spill
	v_add_nc_u32_e32 v0, 0x4800, v5
	scratch_store_b32 off, v0, off offset:388 ; 4-byte Folded Spill
	s_waitcnt vmcnt(0)
	v_mad_i64_i32 v[1:2], null, v3, s30, 0
	s_delay_alu instid0(VALU_DEP_1) | instskip(NEXT) | instid1(VALU_DEP_1)
	v_lshlrev_b64 v[1:2], 3, v[1:2]
	v_add_co_u32 v0, vcc_lo, s22, v1
	s_delay_alu instid0(VALU_DEP_2)
	v_add_co_ci_u32_e32 v1, vcc_lo, s23, v2, vcc_lo
	scratch_load_b64 v[2:3], off, off offset:344 ; 8-byte Folded Reload
	scratch_store_b32 off, v0, off offset:392 ; 4-byte Folded Spill
	v_add_co_u32 v0, vcc_lo, v0, 32
	s_add_i32 s22, s18, -8
	s_mov_b32 s23, 0
	s_clause 0x1
	scratch_store_b32 off, v0, off offset:400
	scratch_store_b32 off, v1, off offset:396
	v_add_co_ci_u32_e32 v0, vcc_lo, 0, v1, vcc_lo
	s_waitcnt vmcnt(0)
	v_lshlrev_b64 v[4:5], 3, v[2:3]
	s_clause 0x1
	scratch_store_b32 off, v0, off offset:404
	scratch_store_b64 off, v[4:5], off offset:320
.LBB110_32:                             ; =>This Loop Header: Depth=1
                                        ;     Child Loop BB110_43 Depth 2
                                        ;     Child Loop BB110_55 Depth 2
	v_add_nc_u32_e32 v2, s29, v197
	s_delay_alu instid0(VALU_DEP_1) | instskip(SKIP_1) | instid1(VALU_DEP_2)
	v_min_i32_e32 v3, s28, v2
	v_cmp_le_i32_e32 vcc_lo, s18, v2
	v_mad_i64_i32 v[0:1], null, v3, s26, 0
	s_or_b32 s30, s2, vcc_lo
	s_delay_alu instid0(SALU_CYCLE_1) | instskip(SKIP_1) | instid1(VALU_DEP_3)
	v_cndmask_b32_e64 v8, 0, 0x7fefffff, s30
	v_cndmask_b32_e64 v7, 0, -1, s30
	v_lshlrev_b64 v[0:1], 3, v[0:1]
	s_delay_alu instid0(VALU_DEP_1) | instskip(NEXT) | instid1(VALU_DEP_1)
	v_add_co_u32 v0, s7, s24, v0
	v_add_co_ci_u32_e64 v1, s7, s25, v1, s7
	s_or_b32 s7, s27, s30
	s_delay_alu instid0(SALU_CYCLE_1) | instskip(SKIP_3) | instid1(SALU_CYCLE_1)
	s_xor_b32 s7, s7, -1
	s_mov_b32 s30, exec_lo
	v_mov_b32_e32 v41, v98
	s_and_b32 s7, s30, s7
	s_mov_b32 exec_lo, s7
	s_cbranch_execz .LBB110_34
; %bb.33:                               ;   in Loop: Header=BB110_32 Depth=1
	v_add_co_u32 v2, s7, v0, v4
	s_delay_alu instid0(VALU_DEP_1)
	v_add_co_ci_u32_e64 v3, s7, v1, v5, s7
	flat_load_b64 v[2:3], v[2:3]
	s_waitcnt vmcnt(0) lgkmcnt(0)
	v_mul_f64 v[7:8], v[2:3], s[20:21]
.LBB110_34:                             ;   in Loop: Header=BB110_32 Depth=1
	s_or_b32 exec_lo, exec_lo, s30
	s_or_b32 s7, s3, vcc_lo
	s_delay_alu instid0(SALU_CYCLE_1) | instskip(SKIP_2) | instid1(SALU_CYCLE_1)
	v_cndmask_b32_e64 v10, 0, 0x7fefffff, s7
	v_cndmask_b32_e64 v9, 0, -1, s7
	s_or_b32 s7, s27, s7
	s_xor_b32 s7, s7, -1
	s_mov_b32 s30, exec_lo
	v_mov_b32_e32 v64, v63
	v_mov_b32_e32 v135, v59
	s_and_b32 s7, s30, s7
	s_delay_alu instid0(SALU_CYCLE_1)
	s_mov_b32 exec_lo, s7
	s_cbranch_execz .LBB110_36
; %bb.35:                               ;   in Loop: Header=BB110_32 Depth=1
	v_add_co_u32 v2, s7, v0, v4
	s_delay_alu instid0(VALU_DEP_1)
	v_add_co_ci_u32_e64 v3, s7, v1, v5, s7
	flat_load_b64 v[2:3], v[2:3] offset:512
	s_waitcnt vmcnt(0) lgkmcnt(0)
	v_mul_f64 v[9:10], v[2:3], s[20:21]
.LBB110_36:                             ;   in Loop: Header=BB110_32 Depth=1
	s_or_b32 exec_lo, exec_lo, s30
	s_or_b32 s7, s4, vcc_lo
	s_delay_alu instid0(SALU_CYCLE_1) | instskip(SKIP_2) | instid1(SALU_CYCLE_1)
	v_cndmask_b32_e64 v3, 0, 0x7fefffff, s7
	v_cndmask_b32_e64 v2, 0, -1, s7
	s_or_b32 s7, s27, s7
	s_xor_b32 s7, s7, -1
	s_delay_alu instid0(SALU_CYCLE_1)
	s_and_saveexec_b32 s30, s7
	s_cbranch_execz .LBB110_38
; %bb.37:                               ;   in Loop: Header=BB110_32 Depth=1
	v_add_co_u32 v2, s7, v0, v4
	s_delay_alu instid0(VALU_DEP_1)
	v_add_co_ci_u32_e64 v3, s7, v1, v5, s7
	flat_load_b64 v[2:3], v[2:3] offset:1024
	s_waitcnt vmcnt(0) lgkmcnt(0)
	v_mul_f64 v[2:3], v[2:3], s[20:21]
.LBB110_38:                             ;   in Loop: Header=BB110_32 Depth=1
	s_or_b32 exec_lo, exec_lo, s30
	s_or_b32 s7, s5, vcc_lo
	s_clause 0x1
	scratch_store_b64 off, v[9:10], off offset:336
	scratch_store_b64 off, v[7:8], off offset:328
	v_cndmask_b32_e64 v8, 0, 0x7fefffff, s7
	v_cndmask_b32_e64 v7, 0, -1, s7
	s_or_b32 s7, s27, s7
	s_delay_alu instid0(SALU_CYCLE_1) | instskip(NEXT) | instid1(SALU_CYCLE_1)
	s_xor_b32 s30, s7, -1
	s_and_saveexec_b32 s7, s30
	s_cbranch_execz .LBB110_40
; %bb.39:                               ;   in Loop: Header=BB110_32 Depth=1
	v_add_co_u32 v0, vcc_lo, v0, v4
	v_add_co_ci_u32_e32 v1, vcc_lo, v1, v5, vcc_lo
	flat_load_b64 v[0:1], v[0:1] offset:1536
	s_waitcnt vmcnt(0) lgkmcnt(0)
	v_mul_f64 v[7:8], v[0:1], s[20:21]
.LBB110_40:                             ;   in Loop: Header=BB110_32 Depth=1
	s_or_b32 exec_lo, exec_lo, s7
	scratch_load_b32 v0, off, off offset:372 ; 4-byte Folded Reload
	v_dual_mov_b32 v196, v95 :: v_dual_mov_b32 v199, v206
	v_dual_mov_b32 v120, v218 :: v_dual_mov_b32 v43, v107
	;; [unrolled: 1-line block ×3, first 2 shown]
	v_mov_b32_e32 v36, v99
	v_mov_b32_e32 v40, v103
	v_mov_b32_e32 v193, v131
	scratch_store_b64 off, v[2:3], off offset:344 ; 8-byte Folded Spill
	s_waitcnt vmcnt(0)
	v_or_b32_e32 v5, s29, v0
	s_delay_alu instid0(VALU_DEP_1) | instskip(SKIP_1) | instid1(SALU_CYCLE_1)
	v_cmp_le_i32_e32 vcc_lo, s18, v5
	s_or_b32 s7, vcc_lo, s6
	v_cndmask_b32_e64 v1, 0, 0x7fefffff, s7
	v_cndmask_b32_e64 v0, 0, -1, s7
	s_or_b32 s7, s27, s7
	s_delay_alu instid0(SALU_CYCLE_1) | instskip(NEXT) | instid1(SALU_CYCLE_1)
	s_xor_b32 s30, s7, -1
	s_and_saveexec_b32 s7, s30
	s_cbranch_execz .LBB110_42
; %bb.41:                               ;   in Loop: Header=BB110_32 Depth=1
	scratch_load_b32 v2, off, off offset:392 ; 4-byte Folded Reload
	v_lshlrev_b64 v[0:1], 3, v[5:6]
	s_waitcnt vmcnt(0)
	s_delay_alu instid0(VALU_DEP_1)
	v_add_co_u32 v0, vcc_lo, v2, v0
	scratch_load_b32 v2, off, off offset:396 ; 4-byte Folded Reload
	s_waitcnt vmcnt(0)
	v_add_co_ci_u32_e32 v1, vcc_lo, v2, v1, vcc_lo
	flat_load_b64 v[0:1], v[0:1]
	s_waitcnt vmcnt(0) lgkmcnt(0)
	v_mul_f64 v[0:1], v[0:1], s[20:21]
.LBB110_42:                             ;   in Loop: Header=BB110_32 Depth=1
	s_or_b32 exec_lo, exec_lo, s7
	v_dual_mov_b32 v51, v57 :: v_dual_mov_b32 v68, v70
	v_dual_mov_b32 v72, v202 :: v_dual_mov_b32 v205, v211
	v_mov_b32_e32 v204, v210
	s_mov_b32 s30, 0
	s_mov_b32 s7, -1
	s_clause 0x2
	scratch_store_b64 off, v[0:1], off offset:360
	scratch_store_b64 off, v[7:8], off offset:352
	;; [unrolled: 1-line block ×3, first 2 shown]
.LBB110_43:                             ;   Parent Loop BB110_32 Depth=1
                                        ; =>  This Inner Loop Header: Depth=2
	s_lshl_b32 s30, s30, 3
	v_dual_mov_b32 v52, v124 :: v_dual_mov_b32 v233, v190
	v_lshl_add_u32 v29, v22, 5, s30
	v_lshl_add_u32 v4, v221, 5, s30
	v_mov_b32_e32 v190, v138
	v_dual_mov_b32 v148, v86 :: v_dual_mov_b32 v151, v87
	ds_load_b128 v[46:49], v29 offset:18432
	ds_load_b128 v[0:3], v4 offset:8192
	;; [unrolled: 1-line block ×4, first 2 shown]
	s_mov_b32 s30, 2
	s_and_not1_b32 vcc_lo, exec_lo, s7
	s_mov_b32 s7, 0
	s_waitcnt lgkmcnt(2)
	v_add_f64 v[124:125], v[2:3], v[48:49]
	s_waitcnt lgkmcnt(1)
	v_add_f64 v[5:6], v[156:157], v[48:49]
	v_add_f64 v[144:145], v[0:1], v[46:47]
	scratch_store_b64 off, v[5:6], off offset:16 ; 8-byte Folded Spill
	v_add_f64 v[5:6], v[154:155], v[46:47]
	scratch_store_b64 off, v[5:6], off offset:72 ; 8-byte Folded Spill
	ds_load_b128 v[162:165], v4 offset:10240
	ds_load_b128 v[166:169], v4 offset:11264
	s_waitcnt lgkmcnt(1)
	v_add_f64 v[5:6], v[164:165], v[48:49]
	scratch_store_b64 off, v[5:6], off offset:48 ; 8-byte Folded Spill
	v_add_f64 v[5:6], v[162:163], v[46:47]
	scratch_store_b64 off, v[5:6], off offset:104 ; 8-byte Folded Spill
	s_waitcnt lgkmcnt(0)
	v_add_f64 v[5:6], v[168:169], v[48:49]
	scratch_store_b64 off, v[5:6], off offset:24 ; 8-byte Folded Spill
	v_add_f64 v[5:6], v[166:167], v[46:47]
	scratch_store_b64 off, v[5:6], off offset:80 ; 8-byte Folded Spill
	ds_load_b128 v[170:173], v4 offset:12288
	ds_load_b128 v[174:177], v4 offset:13312
	s_waitcnt lgkmcnt(1)
	v_add_f64 v[5:6], v[172:173], v[48:49]
	scratch_store_b64 off, v[5:6], off offset:56 ; 8-byte Folded Spill
	v_add_f64 v[5:6], v[170:171], v[46:47]
	scratch_store_b64 off, v[5:6], off offset:112 ; 8-byte Folded Spill
	s_waitcnt lgkmcnt(0)
	;; [unrolled: 12-line block ×3, first 2 shown]
	v_add_f64 v[4:5], v[184:185], v[48:49]
	v_mov_b32_e32 v49, v85
	scratch_store_b64 off, v[4:5], off offset:40 ; 8-byte Folded Spill
	v_add_f64 v[4:5], v[182:183], v[46:47]
	scratch_store_b64 off, v[4:5], off offset:96 ; 8-byte Folded Spill
	v_add_f64 v[4:5], v[2:3], v[160:161]
	;; [unrolled: 2-line block ×17, first 2 shown]
	scratch_store_b64 off, v[4:5], off offset:248 ; 8-byte Folded Spill
	ds_load_b128 v[158:161], v29 offset:18944
	ds_load_b128 v[186:189], v29 offset:19200
	s_waitcnt lgkmcnt(1)
	v_add_f64 v[4:5], v[172:173], v[160:161]
	v_add_f64 v[146:147], v[2:3], v[160:161]
	v_add_f64 v[116:117], v[0:1], v[158:159]
	v_add_f64 v[118:119], v[156:157], v[160:161]
	v_add_f64 v[137:138], v[154:155], v[158:159]
	v_add_f64 v[34:35], v[164:165], v[160:161]
	v_add_f64 v[18:19], v[162:163], v[158:159]
	v_add_f64 v[47:48], v[168:169], v[160:161]
	v_add_f64 v[32:33], v[166:167], v[158:159]
	v_add_f64 v[208:209], v[170:171], v[158:159]
	s_waitcnt lgkmcnt(0)
	v_add_f64 v[222:223], v[2:3], v[188:189]
	v_add_f64 v[224:225], v[0:1], v[186:187]
	;; [unrolled: 1-line block ×16, first 2 shown]
	scratch_store_b64 off, v[4:5], off offset:288 ; 8-byte Folded Spill
	v_add_f64 v[4:5], v[176:177], v[160:161]
	scratch_store_b64 off, v[4:5], off offset:280 ; 8-byte Folded Spill
	v_add_f64 v[4:5], v[174:175], v[158:159]
	;; [unrolled: 2-line block ×6, first 2 shown]
	scratch_store_b64 off, v[4:5], off offset:264 ; 8-byte Folded Spill
	ds_load_b128 v[158:161], v29 offset:19456
	ds_load_b128 v[186:189], v29 offset:19712
	s_waitcnt lgkmcnt(1)
	v_add_f64 v[254:255], v[2:3], v[160:161]
	v_add_f64 v[152:153], v[0:1], v[158:159]
	;; [unrolled: 1-line block ×16, first 2 shown]
	s_waitcnt lgkmcnt(0)
	v_add_f64 v[88:89], v[2:3], v[188:189]
	v_add_f64 v[90:91], v[0:1], v[186:187]
	;; [unrolled: 1-line block ×16, first 2 shown]
	ds_load_b128 v[158:161], v29 offset:19968
	ds_load_b128 v[186:189], v29 offset:20224
	v_cvt_f32_f64_e32 v29, v[144:145]
	v_dual_mov_b32 v144, v133 :: v_dual_mov_b32 v133, v128
	v_mov_b32_e32 v128, v126
	v_mov_b32_e32 v126, v122
	;; [unrolled: 1-line block ×3, first 2 shown]
	v_cvt_f32_f64_e32 v66, v[124:125]
	v_mov_b32_e32 v124, v52
	v_cvt_f32_f64_e32 v4, v[4:5]
	v_cvt_f32_f64_e32 v5, v[149:150]
	s_waitcnt lgkmcnt(1)
	v_add_f64 v[106:107], v[0:1], v[158:159]
	v_add_f64 v[110:111], v[154:155], v[158:159]
	;; [unrolled: 1-line block ×8, first 2 shown]
	s_waitcnt lgkmcnt(0)
	v_add_f64 v[0:1], v[0:1], v[186:187]
	v_add_f64 v[154:155], v[154:155], v[186:187]
	v_add_f64 v[162:163], v[162:163], v[186:187]
	v_add_f64 v[166:167], v[166:167], v[186:187]
	v_add_f64 v[170:171], v[170:171], v[186:187]
	v_add_f64 v[174:175], v[174:175], v[186:187]
	v_add_f64 v[178:179], v[178:179], v[186:187]
	v_add_f64 v[182:183], v[182:183], v[186:187]
	scratch_load_b64 v[186:187], off, off offset:72 ; 8-byte Folded Reload
	v_add_f64 v[104:105], v[2:3], v[160:161]
	v_add_f64 v[108:109], v[156:157], v[160:161]
	;; [unrolled: 1-line block ×9, first 2 shown]
	v_min3_f32 v143, v29, v66, v143
	v_add_f64 v[172:173], v[172:173], v[188:189]
	v_add_f64 v[216:217], v[176:177], v[160:161]
	v_min3_f32 v135, v4, v5, v135
	v_cvt_f32_f64_e32 v4, v[8:9]
	v_cvt_f32_f64_e32 v5, v[6:7]
	v_add_f64 v[176:177], v[176:177], v[188:189]
	v_add_f64 v[212:213], v[180:181], v[160:161]
	;; [unrolled: 1-line block ×5, first 2 shown]
	v_cvt_f32_f64_e32 v0, v[0:1]
	v_cvt_f32_f64_e32 v1, v[2:3]
	v_min3_f32 v136, v4, v5, v136
	v_cvt_f32_f64_e32 v4, v[12:13]
	v_cvt_f32_f64_e32 v5, v[10:11]
	s_delay_alu instid0(VALU_DEP_1) | instskip(SKIP_2) | instid1(VALU_DEP_1)
	v_min3_f32 v51, v4, v5, v51
	v_cvt_f32_f64_e32 v4, v[16:17]
	v_cvt_f32_f64_e32 v5, v[14:15]
	v_min3_f32 v193, v4, v5, v193
	v_cvt_f32_f64_e32 v4, v[78:79]
	v_cvt_f32_f64_e32 v5, v[26:27]
	s_delay_alu instid0(VALU_DEP_1) | instskip(SKIP_3) | instid1(VALU_DEP_2)
	v_min3_f32 v54, v4, v5, v54
	v_cvt_f32_f64_e32 v4, v[82:83]
	v_cvt_f32_f64_e32 v5, v[84:85]
	v_mov_b32_e32 v85, v49
	v_min3_f32 v53, v4, v5, v53
	v_cvt_f32_f64_e32 v4, v[86:87]
	v_mov_b32_e32 v87, v151
	v_cvt_f32_f64_e32 v5, v[130:131]
	v_mov_b32_e32 v86, v148
	s_delay_alu instid0(VALU_DEP_2) | instskip(SKIP_2) | instid1(VALU_DEP_1)
	v_min3_f32 v124, v4, v5, v124
	v_cvt_f32_f64_e32 v4, v[90:91]
	v_cvt_f32_f64_e32 v5, v[88:89]
	v_min3_f32 v64, v4, v5, v64
	v_cvt_f32_f64_e32 v4, v[24:25]
	v_cvt_f32_f64_e32 v5, v[92:93]
	s_waitcnt vmcnt(0)
	v_cvt_f32_f64_e32 v29, v[186:187]
	scratch_load_b64 v[186:187], off, off offset:16 ; 8-byte Folded Reload
	v_min3_f32 v65, v4, v5, v65
	v_cvt_f32_f64_e32 v4, v[22:23]
	scratch_load_b32 v22, off, off offset:4 ; 4-byte Folded Reload
	v_cvt_f32_f64_e32 v5, v[94:95]
	s_delay_alu instid0(VALU_DEP_1) | instskip(SKIP_2) | instid1(VALU_DEP_1)
	v_min3_f32 v85, v4, v5, v85
	v_cvt_f32_f64_e32 v4, v[98:99]
	v_cvt_f32_f64_e32 v5, v[96:97]
	v_min3_f32 v55, v4, v5, v55
	v_cvt_f32_f64_e32 v4, v[58:59]
	v_cvt_f32_f64_e32 v5, v[56:57]
	s_delay_alu instid0(VALU_DEP_1) | instskip(SKIP_2) | instid1(VALU_DEP_1)
	v_min3_f32 v192, v4, v5, v192
	v_cvt_f32_f64_e32 v4, v[62:63]
	v_cvt_f32_f64_e32 v5, v[60:61]
	v_min3_f32 v87, v4, v5, v87
	v_cvt_f32_f64_e32 v4, v[76:77]
	;; [unrolled: 7-line block ×3, first 2 shown]
	v_cvt_f32_f64_e32 v5, v[104:105]
	s_delay_alu instid0(VALU_DEP_1)
	v_min3_f32 v121, v4, v5, v121
	v_cvt_f32_f64_e32 v4, v[110:111]
	v_cvt_f32_f64_e32 v5, v[108:109]
	s_waitcnt vmcnt(1)
	v_cvt_f32_f64_e32 v66, v[186:187]
	scratch_load_b64 v[186:187], off, off offset:104 ; 8-byte Folded Reload
	v_min3_f32 v142, v29, v66, v142
	s_waitcnt vmcnt(0)
	v_cvt_f32_f64_e32 v29, v[186:187]
	scratch_load_b64 v[186:187], off, off offset:48 ; 8-byte Folded Reload
	s_waitcnt vmcnt(0)
	v_cvt_f32_f64_e32 v66, v[186:187]
	scratch_load_b64 v[186:187], off, off offset:80 ; 8-byte Folded Reload
	v_min3_f32 v141, v29, v66, v141
	s_waitcnt vmcnt(0)
	v_cvt_f32_f64_e32 v29, v[186:187]
	scratch_load_b64 v[186:187], off, off offset:24 ; 8-byte Folded Reload
	;; [unrolled: 7-line block ×7, first 2 shown]
	s_waitcnt vmcnt(0)
	v_cvt_f32_f64_e32 v66, v[186:187]
	s_delay_alu instid0(VALU_DEP_1)
	v_min3_f32 v28, v29, v66, v28
	v_mov_b32_e32 v66, v122
	v_mov_b32_e32 v122, v126
	;; [unrolled: 1-line block ×3, first 2 shown]
	v_dual_mov_b32 v128, v133 :: v_dual_mov_b32 v133, v144
	scratch_load_b64 v[144:145], off, off offset:152 ; 8-byte Folded Reload
	v_min3_f32 v128, v0, v1, v128
	v_cvt_f32_f64_e32 v0, v[154:155]
	v_cvt_f32_f64_e32 v1, v[156:157]
	s_delay_alu instid0(VALU_DEP_1) | instskip(SKIP_2) | instid1(VALU_DEP_1)
	v_min3_f32 v129, v0, v1, v129
	v_cvt_f32_f64_e32 v0, v[162:163]
	v_cvt_f32_f64_e32 v1, v[164:165]
	v_min3_f32 v127, v0, v1, v127
	v_cvt_f32_f64_e32 v0, v[166:167]
	v_cvt_f32_f64_e32 v1, v[168:169]
	s_delay_alu instid0(VALU_DEP_1) | instskip(SKIP_2) | instid1(VALU_DEP_1)
	v_min3_f32 v122, v0, v1, v122
	v_cvt_f32_f64_e32 v0, v[170:171]
	v_cvt_f32_f64_e32 v1, v[172:173]
	;; [unrolled: 7-line block ×3, first 2 shown]
	v_min3_f32 v66, v0, v1, v66
	v_cvt_f32_f64_e32 v0, v[182:183]
	v_cvt_f32_f64_e32 v1, v[184:185]
	s_delay_alu instid0(VALU_DEP_1)
	v_min3_f32 v67, v0, v1, v67
	s_waitcnt vmcnt(0)
	v_cvt_f32_f64_e32 v29, v[144:145]
	scratch_load_b64 v[144:145], off, off offset:144 ; 8-byte Folded Reload
	s_waitcnt vmcnt(0)
	v_cvt_f32_f64_e32 v52, v[144:145]
	scratch_load_b64 v[144:145], off, off offset:168 ; 8-byte Folded Reload
	v_min3_f32 v201, v29, v52, v201
	s_waitcnt vmcnt(0)
	v_cvt_f32_f64_e32 v29, v[144:145]
	scratch_load_b64 v[144:145], off, off offset:160 ; 8-byte Folded Reload
	s_waitcnt vmcnt(0)
	v_cvt_f32_f64_e32 v50, v[144:145]
	scratch_load_b64 v[144:145], off, off offset:184 ; 8-byte Folded Reload
	v_min3_f32 v196, v29, v50, v196
	s_waitcnt vmcnt(0)
	v_cvt_f32_f64_e32 v29, v[144:145]
	scratch_load_b64 v[144:145], off, off offset:176 ; 8-byte Folded Reload
	s_waitcnt vmcnt(0)
	v_cvt_f32_f64_e32 v46, v[144:145]
	scratch_load_b64 v[144:145], off, off offset:200 ; 8-byte Folded Reload
	v_min3_f32 v120, v29, v46, v120
	s_waitcnt vmcnt(0)
	v_cvt_f32_f64_e32 v29, v[144:145]
	scratch_load_b64 v[144:145], off, off offset:192 ; 8-byte Folded Reload
	s_waitcnt vmcnt(0)
	v_cvt_f32_f64_e32 v44, v[144:145]
	scratch_load_b64 v[144:145], off, off offset:216 ; 8-byte Folded Reload
	v_min3_f32 v39, v29, v44, v39
	s_waitcnt vmcnt(0)
	v_cvt_f32_f64_e32 v29, v[144:145]
	scratch_load_b64 v[144:145], off, off offset:208 ; 8-byte Folded Reload
	s_waitcnt vmcnt(0)
	v_cvt_f32_f64_e32 v44, v[144:145]
	scratch_load_b64 v[144:145], off, off offset:232 ; 8-byte Folded Reload
	v_min3_f32 v38, v29, v44, v38
	s_waitcnt vmcnt(0)
	v_cvt_f32_f64_e32 v29, v[144:145]
	scratch_load_b64 v[144:145], off, off offset:224 ; 8-byte Folded Reload
	s_waitcnt vmcnt(0)
	v_cvt_f32_f64_e32 v44, v[144:145]
	scratch_load_b64 v[144:145], off, off offset:248 ; 8-byte Folded Reload
	v_min3_f32 v37, v29, v44, v37
	s_waitcnt vmcnt(0)
	v_cvt_f32_f64_e32 v29, v[144:145]
	scratch_load_b64 v[144:145], off, off offset:240 ; 8-byte Folded Reload
	s_waitcnt vmcnt(0)
	v_cvt_f32_f64_e32 v42, v[144:145]
	s_delay_alu instid0(VALU_DEP_1) | instskip(SKIP_2) | instid1(VALU_DEP_1)
	v_min3_f32 v36, v29, v42, v36
	v_cvt_f32_f64_e32 v29, v[116:117]
	v_cvt_f32_f64_e32 v42, v[146:147]
	v_min3_f32 v41, v29, v42, v41
	v_cvt_f32_f64_e32 v29, v[137:138]
	v_cvt_f32_f64_e32 v42, v[118:119]
	v_mov_b32_e32 v138, v190
	v_mov_b32_e32 v190, v233
	s_delay_alu instid0(VALU_DEP_1)
	v_min3_f32 v190, v4, v5, v190
	v_cvt_f32_f64_e32 v4, v[218:219]
	v_cvt_f32_f64_e32 v5, v[112:113]
	v_min3_f32 v40, v29, v42, v40
	v_cvt_f32_f64_e32 v29, v[18:19]
	v_cvt_f32_f64_e32 v18, v[34:35]
	;; [unrolled: 1-line block ×3, first 2 shown]
	v_min3_f32 v236, v4, v5, v236
	v_cvt_f32_f64_e32 v4, v[210:211]
	v_cvt_f32_f64_e32 v5, v[214:215]
	v_min3_f32 v205, v29, v18, v205
	v_cvt_f32_f64_e32 v18, v[32:33]
	scratch_load_b64 v[32:33], off, off offset:288 ; 8-byte Folded Reload
	v_min3_f32 v133, v4, v5, v133
	v_cvt_f32_f64_e32 v5, v[220:221]
	v_cvt_f32_f64_e32 v4, v[206:207]
	v_min3_f32 v43, v18, v19, v43
	v_cvt_f32_f64_e32 v18, v[208:209]
	s_waitcnt vmcnt(0)
	v_cvt_f32_f64_e32 v19, v[32:33]
	scratch_load_b64 v[32:33], off, off offset:280 ; 8-byte Folded Reload
	v_min3_f32 v199, v18, v19, v199
	scratch_load_b64 v[18:19], off, off offset:304 ; 8-byte Folded Reload
	s_waitcnt vmcnt(0)
	v_cvt_f32_f64_e32 v18, v[18:19]
	v_cvt_f32_f64_e32 v19, v[32:33]
	scratch_load_b64 v[32:33], off, off offset:272 ; 8-byte Folded Reload
	v_min3_f32 v45, v18, v19, v45
	scratch_load_b64 v[18:19], off, off offset:296 ; 8-byte Folded Reload
	s_waitcnt vmcnt(0)
	v_cvt_f32_f64_e32 v18, v[18:19]
	v_cvt_f32_f64_e32 v19, v[32:33]
	scratch_load_b64 v[32:33], off, off offset:256 ; 8-byte Folded Reload
	v_min3_f32 v74, v18, v19, v74
	s_clause 0x2
	scratch_load_b64 v[18:19], off, off offset:264
	scratch_load_b32 v221, off, off offset:8
	scratch_load_b32 v6, off, off
	s_waitcnt vmcnt(2)
	v_cvt_f32_f64_e32 v18, v[18:19]
	v_cvt_f32_f64_e32 v19, v[32:33]
	s_waitcnt vmcnt(0)
	v_min3_f32 v6, v4, v5, v6
	v_cvt_f32_f64_e32 v4, v[202:203]
	v_cvt_f32_f64_e32 v5, v[216:217]
	scratch_store_b32 off, v6, off          ; 4-byte Folded Spill
	v_min3_f32 v75, v18, v19, v75
	v_cvt_f32_f64_e32 v18, v[224:225]
	v_cvt_f32_f64_e32 v19, v[222:223]
	v_min3_f32 v200, v4, v5, v200
	v_cvt_f32_f64_e32 v4, v[114:115]
	v_cvt_f32_f64_e32 v5, v[212:213]
	s_delay_alu instid0(VALU_DEP_4) | instskip(SKIP_2) | instid1(VALU_DEP_4)
	v_min3_f32 v72, v18, v19, v72
	v_cvt_f32_f64_e32 v18, v[228:229]
	v_cvt_f32_f64_e32 v19, v[226:227]
	v_min3_f32 v132, v4, v5, v132
	v_cvt_f32_f64_e32 v4, v[158:159]
	v_cvt_f32_f64_e32 v5, v[160:161]
	s_delay_alu instid0(VALU_DEP_4) | instskip(SKIP_2) | instid1(VALU_DEP_4)
	v_min3_f32 v73, v18, v19, v73
	v_cvt_f32_f64_e32 v18, v[80:81]
	v_cvt_f32_f64_e32 v19, v[230:231]
	v_min3_f32 v134, v4, v5, v134
	s_delay_alu instid0(VALU_DEP_2) | instskip(SKIP_2) | instid1(VALU_DEP_1)
	v_min3_f32 v198, v18, v19, v198
	v_cvt_f32_f64_e32 v18, v[30:31]
	v_cvt_f32_f64_e32 v19, v[234:235]
	v_min3_f32 v71, v18, v19, v71
	v_cvt_f32_f64_e32 v18, v[240:241]
	v_cvt_f32_f64_e32 v19, v[238:239]
	s_delay_alu instid0(VALU_DEP_1) | instskip(SKIP_2) | instid1(VALU_DEP_1)
	v_min3_f32 v68, v18, v19, v68
	v_cvt_f32_f64_e32 v18, v[244:245]
	v_cvt_f32_f64_e32 v19, v[242:243]
	v_min3_f32 v69, v18, v19, v69
	v_cvt_f32_f64_e32 v18, v[248:249]
	v_cvt_f32_f64_e32 v19, v[246:247]
	s_delay_alu instid0(VALU_DEP_1) | instskip(SKIP_2) | instid1(VALU_DEP_1)
	v_min3_f32 v195, v18, v19, v195
	v_cvt_f32_f64_e32 v18, v[252:253]
	v_cvt_f32_f64_e32 v19, v[250:251]
	v_min3_f32 v194, v18, v19, v194
	v_cvt_f32_f64_e32 v18, v[152:153]
	v_cvt_f32_f64_e32 v19, v[254:255]
	s_delay_alu instid0(VALU_DEP_1)
	v_min3_f32 v138, v18, v19, v138
	s_cbranch_vccz .LBB110_43
; %bb.44:                               ;   in Loop: Header=BB110_32 Depth=1
	v_add3_u32 v2, v197, s29, 4
	v_dual_mov_b32 v102, v205 :: v_dual_mov_b32 v57, v51
	v_mov_b32_e32 v60, v74
	v_mov_b32_e32 v74, v72
	s_delay_alu instid0(VALU_DEP_4) | instskip(SKIP_2) | instid1(VALU_DEP_3)
	v_min_i32_e32 v3, s28, v2
	v_cmp_le_i32_e32 vcc_lo, s18, v2
	v_mov_b32_e32 v70, v68
	v_mad_i64_i32 v[0:1], null, v3, s26, 0
	s_clause 0x2
	scratch_load_b32 v3, off, off offset:376
	scratch_load_b64 v[4:5], off, off offset:328
	scratch_load_b64 v[6:7], off, off offset:336
	s_or_b32 s30, s2, vcc_lo
	v_lshlrev_b64 v[0:1], 3, v[0:1]
	s_delay_alu instid0(VALU_DEP_1) | instskip(NEXT) | instid1(VALU_DEP_1)
	v_add_co_u32 v0, s7, s24, v0
	v_add_co_ci_u32_e64 v1, s7, s25, v1, s7
	s_or_b32 s7, s27, s30
	s_delay_alu instid0(SALU_CYCLE_1)
	s_xor_b32 s7, s7, -1
	s_waitcnt vmcnt(0)
	ds_store_2addr_stride64_b64 v3, v[4:5], v[6:7] offset1:4
	s_clause 0x1
	scratch_load_b64 v[4:5], off, off offset:344
	scratch_load_b64 v[6:7], off, off offset:352
	s_waitcnt vmcnt(0)
	ds_store_2addr_stride64_b64 v3, v[4:5], v[6:7] offset0:8 offset1:12
	s_clause 0x1
	scratch_load_b32 v2, off, off offset:380
	scratch_load_b64 v[3:4], off, off offset:360
	s_waitcnt vmcnt(0)
	ds_store_b64 v2, v[3:4]
	v_cndmask_b32_e64 v3, 0, 0x7fefffff, s30
	v_cndmask_b32_e64 v2, 0, -1, s30
	s_waitcnt lgkmcnt(0)
	s_waitcnt_vscnt null, 0x0
	s_barrier
	buffer_gl0_inv
	s_mov_b32 s30, exec_lo
	scratch_load_b64 v[4:5], off, off offset:320 ; 8-byte Folded Reload
	s_and_b32 s7, s30, s7
	s_delay_alu instid0(SALU_CYCLE_1)
	s_mov_b32 exec_lo, s7
	s_cbranch_execz .LBB110_46
; %bb.45:                               ;   in Loop: Header=BB110_32 Depth=1
	s_waitcnt vmcnt(0)
	v_add_co_u32 v2, s7, v0, v4
	s_delay_alu instid0(VALU_DEP_1)
	v_add_co_ci_u32_e64 v3, s7, v1, v5, s7
	flat_load_b64 v[2:3], v[2:3]
	s_waitcnt vmcnt(0) lgkmcnt(0)
	v_mul_f64 v[2:3], v[2:3], s[20:21]
.LBB110_46:                             ;   in Loop: Header=BB110_32 Depth=1
	s_or_b32 exec_lo, exec_lo, s30
	s_or_b32 s7, s3, vcc_lo
	scratch_store_b64 off, v[2:3], off offset:288 ; 8-byte Folded Spill
	v_cndmask_b32_e64 v9, 0, 0x7fefffff, s7
	v_cndmask_b32_e64 v8, 0, -1, s7
	s_or_b32 s7, s27, s7
	s_delay_alu instid0(SALU_CYCLE_1)
	s_xor_b32 s7, s7, -1
	s_mov_b32 s30, exec_lo
	v_mov_b32_e32 v61, v45
	v_mov_b32_e32 v107, v43
	;; [unrolled: 1-line block ×5, first 2 shown]
	s_and_b32 s7, s30, s7
	s_delay_alu instid0(SALU_CYCLE_1)
	s_mov_b32 exec_lo, s7
	s_cbranch_execz .LBB110_48
; %bb.47:                               ;   in Loop: Header=BB110_32 Depth=1
	s_waitcnt vmcnt(0)
	v_add_co_u32 v2, s7, v0, v4
	s_delay_alu instid0(VALU_DEP_1)
	v_add_co_ci_u32_e64 v3, s7, v1, v5, s7
	flat_load_b64 v[2:3], v[2:3] offset:512
	s_waitcnt vmcnt(0) lgkmcnt(0)
	v_mul_f64 v[8:9], v[2:3], s[20:21]
.LBB110_48:                             ;   in Loop: Header=BB110_32 Depth=1
	s_or_b32 exec_lo, exec_lo, s30
	s_or_b32 s7, s4, vcc_lo
	s_delay_alu instid0(SALU_CYCLE_1) | instskip(SKIP_2) | instid1(SALU_CYCLE_1)
	v_cndmask_b32_e64 v3, 0, 0x7fefffff, s7
	v_cndmask_b32_e64 v2, 0, -1, s7
	s_or_b32 s7, s27, s7
	s_xor_b32 s7, s7, -1
	s_mov_b32 s30, exec_lo
	scratch_load_b64 v[6:7], off, off offset:312 ; 8-byte Folded Reload
	s_and_b32 s7, s30, s7
	s_delay_alu instid0(SALU_CYCLE_1)
	s_mov_b32 exec_lo, s7
	s_cbranch_execz .LBB110_50
; %bb.49:                               ;   in Loop: Header=BB110_32 Depth=1
	s_waitcnt vmcnt(1)
	v_add_co_u32 v2, s7, v0, v4
	s_delay_alu instid0(VALU_DEP_1)
	v_add_co_ci_u32_e64 v3, s7, v1, v5, s7
	flat_load_b64 v[2:3], v[2:3] offset:1024
	s_waitcnt vmcnt(0) lgkmcnt(0)
	v_mul_f64 v[2:3], v[2:3], s[20:21]
.LBB110_50:                             ;   in Loop: Header=BB110_32 Depth=1
	s_or_b32 exec_lo, exec_lo, s30
	s_or_b32 s7, s5, vcc_lo
	scratch_store_b64 off, v[8:9], off offset:296 ; 8-byte Folded Spill
	v_cndmask_b32_e64 v9, 0, 0x7fefffff, s7
	v_cndmask_b32_e64 v8, 0, -1, s7
	s_or_b32 s7, s27, s7
	s_delay_alu instid0(SALU_CYCLE_1) | instskip(NEXT) | instid1(SALU_CYCLE_1)
	s_xor_b32 s30, s7, -1
	s_and_saveexec_b32 s7, s30
	s_cbranch_execz .LBB110_52
; %bb.51:                               ;   in Loop: Header=BB110_32 Depth=1
	s_waitcnt vmcnt(1)
	v_add_co_u32 v0, vcc_lo, v0, v4
	v_add_co_ci_u32_e32 v1, vcc_lo, v1, v5, vcc_lo
	flat_load_b64 v[0:1], v[0:1] offset:1536
	s_waitcnt vmcnt(0) lgkmcnt(0)
	v_mul_f64 v[8:9], v[0:1], s[20:21]
.LBB110_52:                             ;   in Loop: Header=BB110_32 Depth=1
	s_or_b32 exec_lo, exec_lo, s7
	s_waitcnt vmcnt(0)
	v_or_b32_e32 v0, 4, v6
	v_mov_b32_e32 v98, v41
	v_dual_mov_b32 v72, v198 :: v_dual_mov_b32 v233, v85
	v_dual_mov_b32 v68, v195 :: v_dual_mov_b32 v151, v121
	s_delay_alu instid0(VALU_DEP_4)
	v_cmp_le_i32_e32 vcc_lo, s18, v0
	v_mov_b32_e32 v50, v138
	s_clause 0x1
	scratch_store_b64 off, v[8:9], off offset:328
	scratch_store_b64 off, v[2:3], off offset:304
	s_or_b32 s7, vcc_lo, s6
	s_delay_alu instid0(SALU_CYCLE_1) | instskip(SKIP_2) | instid1(SALU_CYCLE_1)
	v_cndmask_b32_e64 v1, 0, 0x7fefffff, s7
	v_cndmask_b32_e64 v0, 0, -1, s7
	s_or_b32 s7, s27, s7
	s_xor_b32 s30, s7, -1
	s_delay_alu instid0(SALU_CYCLE_1)
	s_and_saveexec_b32 s7, s30
	s_cbranch_execz .LBB110_54
; %bb.53:                               ;   in Loop: Header=BB110_32 Depth=1
	scratch_load_b32 v2, off, off offset:400 ; 4-byte Folded Reload
	v_lshlrev_b64 v[0:1], 3, v[6:7]
	s_waitcnt vmcnt(0)
	s_delay_alu instid0(VALU_DEP_1)
	v_add_co_u32 v0, vcc_lo, v2, v0
	scratch_load_b32 v2, off, off offset:404 ; 4-byte Folded Reload
	s_waitcnt vmcnt(0)
	v_add_co_ci_u32_e32 v1, vcc_lo, v2, v1, vcc_lo
	flat_load_b64 v[0:1], v[0:1]
	s_waitcnt vmcnt(0) lgkmcnt(0)
	v_mul_f64 v[0:1], v[0:1], s[20:21]
.LBB110_54:                             ;   in Loop: Header=BB110_32 Depth=1
	s_or_b32 exec_lo, exec_lo, s7
	v_dual_mov_b32 v148, v204 :: v_dual_mov_b32 v59, v135
	v_dual_mov_b32 v62, v65 :: v_dual_mov_b32 v63, v64
	v_dual_mov_b32 v52, v124 :: v_dual_mov_b32 v51, v194
	v_dual_mov_b32 v56, v193 :: v_dual_mov_b32 v109, v39
	v_mov_b32_e32 v58, v136
	v_mov_b32_e32 v106, v199
	;; [unrolled: 1-line block ×4, first 2 shown]
	s_mov_b32 s30, 0
	s_mov_b32 s7, -1
	scratch_store_b64 off, v[0:1], off offset:336 ; 8-byte Folded Spill
.LBB110_55:                             ;   Parent Loop BB110_32 Depth=1
                                        ; =>  This Inner Loop Header: Depth=2
	s_lshl_b32 s30, s30, 3
	s_delay_alu instid0(VALU_DEP_1)
	v_mov_b32_e32 v193, v55
	s_waitcnt vmcnt(0)
	v_lshl_add_u32 v26, v22, 5, s30
	v_lshl_add_u32 v4, v221, 5, s30
	v_mov_b32_e32 v55, v37
	s_mov_b32 s30, 2
	s_and_not1_b32 vcc_lo, exec_lo, s7
	ds_load_b128 v[46:49], v26 offset:16384
	ds_load_b128 v[0:3], v4
	ds_load_b128 v[154:157], v4 offset:1024
	ds_load_b128 v[158:161], v26 offset:16640
	s_mov_b32 s7, 0
	s_waitcnt lgkmcnt(2)
	v_add_f64 v[20:21], v[2:3], v[48:49]
	s_waitcnt lgkmcnt(1)
	v_add_f64 v[5:6], v[156:157], v[48:49]
	v_add_f64 v[76:77], v[0:1], v[46:47]
	s_delay_alu instid0(VALU_DEP_3)
	v_cvt_f32_f64_e32 v20, v[20:21]
	scratch_store_b64 off, v[5:6], off offset:16 ; 8-byte Folded Spill
	v_add_f64 v[5:6], v[154:155], v[46:47]
	v_cvt_f32_f64_e32 v37, v[76:77]
	scratch_store_b64 off, v[5:6], off offset:72 ; 8-byte Folded Spill
	ds_load_b128 v[162:165], v4 offset:2048
	ds_load_b128 v[166:169], v4 offset:3072
	v_min3_f32 v143, v37, v20, v143
	v_mov_b32_e32 v37, v55
	v_mov_b32_e32 v55, v193
	s_waitcnt lgkmcnt(1)
	v_add_f64 v[5:6], v[164:165], v[48:49]
	scratch_store_b64 off, v[5:6], off offset:48 ; 8-byte Folded Spill
	v_add_f64 v[5:6], v[162:163], v[46:47]
	scratch_store_b64 off, v[5:6], off offset:104 ; 8-byte Folded Spill
	s_waitcnt lgkmcnt(0)
	v_add_f64 v[5:6], v[168:169], v[48:49]
	scratch_store_b64 off, v[5:6], off offset:24 ; 8-byte Folded Spill
	v_add_f64 v[5:6], v[166:167], v[46:47]
	scratch_store_b64 off, v[5:6], off offset:80 ; 8-byte Folded Spill
	ds_load_b128 v[170:173], v4 offset:4096
	ds_load_b128 v[174:177], v4 offset:5120
	s_waitcnt lgkmcnt(1)
	v_add_f64 v[5:6], v[172:173], v[48:49]
	scratch_store_b64 off, v[5:6], off offset:56 ; 8-byte Folded Spill
	v_add_f64 v[5:6], v[170:171], v[46:47]
	scratch_store_b64 off, v[5:6], off offset:112 ; 8-byte Folded Spill
	s_waitcnt lgkmcnt(0)
	v_add_f64 v[5:6], v[176:177], v[48:49]
	scratch_store_b64 off, v[5:6], off offset:32 ; 8-byte Folded Spill
	v_add_f64 v[5:6], v[174:175], v[46:47]
	scratch_store_b64 off, v[5:6], off offset:88 ; 8-byte Folded Spill
	ds_load_b128 v[178:181], v4 offset:6144
	ds_load_b128 v[182:185], v4 offset:7168
	s_waitcnt lgkmcnt(1)
	v_add_f64 v[4:5], v[180:181], v[48:49]
	scratch_store_b64 off, v[4:5], off offset:64 ; 8-byte Folded Spill
	v_add_f64 v[4:5], v[178:179], v[46:47]
	scratch_store_b64 off, v[4:5], off offset:120 ; 8-byte Folded Spill
	s_waitcnt lgkmcnt(0)
	v_add_f64 v[4:5], v[184:185], v[48:49]
	scratch_store_b64 off, v[4:5], off offset:40 ; 8-byte Folded Spill
	v_add_f64 v[4:5], v[182:183], v[46:47]
	scratch_store_b64 off, v[4:5], off offset:96 ; 8-byte Folded Spill
	;; [unrolled: 2-line block ×18, first 2 shown]
	ds_load_b128 v[158:161], v26 offset:16896
	ds_load_b128 v[186:189], v26 offset:17152
	s_waitcnt lgkmcnt(1)
	v_add_f64 v[4:5], v[176:177], v[160:161]
	v_add_f64 v[78:79], v[2:3], v[160:161]
	;; [unrolled: 1-line block ×13, first 2 shown]
	s_waitcnt lgkmcnt(0)
	v_add_f64 v[110:111], v[2:3], v[188:189]
	v_add_f64 v[112:113], v[0:1], v[186:187]
	;; [unrolled: 1-line block ×16, first 2 shown]
	scratch_store_b64 off, v[4:5], off offset:272 ; 8-byte Folded Spill
	v_add_f64 v[4:5], v[180:181], v[160:161]
	v_cvt_f32_f64_e32 v18, v[18:19]
	scratch_store_b64 off, v[4:5], off offset:264 ; 8-byte Folded Spill
	v_add_f64 v[4:5], v[184:185], v[160:161]
	scratch_store_b64 off, v[4:5], off offset:256 ; 8-byte Folded Spill
	v_add_f64 v[4:5], v[182:183], v[158:159]
	scratch_store_b64 off, v[4:5], off offset:280 ; 8-byte Folded Spill
	ds_load_b128 v[158:161], v26 offset:17408
	ds_load_b128 v[186:189], v26 offset:17664
	s_waitcnt lgkmcnt(1)
	v_add_f64 v[208:209], v[2:3], v[160:161]
	v_add_f64 v[210:211], v[0:1], v[158:159]
	v_add_f64 v[212:213], v[156:157], v[160:161]
	v_add_f64 v[214:215], v[154:155], v[158:159]
	v_add_f64 v[216:217], v[164:165], v[160:161]
	v_add_f64 v[218:219], v[162:163], v[158:159]
	v_add_f64 v[220:221], v[168:169], v[160:161]
	v_add_f64 v[222:223], v[166:167], v[158:159]
	v_add_f64 v[224:225], v[172:173], v[160:161]
	v_add_f64 v[226:227], v[170:171], v[158:159]
	v_add_f64 v[228:229], v[176:177], v[160:161]
	v_add_f64 v[230:231], v[174:175], v[158:159]
	v_add_f64 v[22:23], v[180:181], v[160:161]
	v_add_f64 v[234:235], v[178:179], v[158:159]
	v_add_f64 v[24:25], v[184:185], v[160:161]
	v_add_f64 v[238:239], v[182:183], v[158:159]
	s_waitcnt lgkmcnt(0)
	v_add_f64 v[240:241], v[2:3], v[188:189]
	v_add_f64 v[242:243], v[0:1], v[186:187]
	;; [unrolled: 1-line block ×16, first 2 shown]
	ds_load_b128 v[158:161], v26 offset:17920
	ds_load_b128 v[186:189], v26 offset:18176
	s_clause 0x1
	scratch_load_b64 v[20:21], off, off offset:72
	scratch_load_b64 v[76:77], off, off offset:16
	v_cvt_f32_f64_e32 v19, v[208:209]
	s_waitcnt lgkmcnt(1)
	v_add_f64 v[116:117], v[2:3], v[160:161]
	v_add_f64 v[118:119], v[0:1], v[158:159]
	s_waitcnt lgkmcnt(0)
	v_add_f64 v[2:3], v[2:3], v[188:189]
	v_add_f64 v[0:1], v[0:1], v[186:187]
	v_add_f64 v[137:138], v[156:157], v[160:161]
	v_add_f64 v[194:195], v[154:155], v[158:159]
	v_add_f64 v[156:157], v[156:157], v[188:189]
	v_add_f64 v[154:155], v[154:155], v[186:187]
	v_add_f64 v[196:197], v[164:165], v[160:161]
	v_add_f64 v[80:81], v[162:163], v[158:159]
	v_add_f64 v[164:165], v[164:165], v[188:189]
	v_add_f64 v[162:163], v[162:163], v[186:187]
	v_add_f64 v[120:121], v[168:169], v[160:161]
	v_add_f64 v[26:27], v[166:167], v[158:159]
	v_add_f64 v[168:169], v[168:169], v[188:189]
	v_add_f64 v[166:167], v[166:167], v[186:187]
	v_cvt_f32_f64_e32 v4, v[4:5]
	v_cvt_f32_f64_e32 v5, v[16:17]
	v_add_f64 v[204:205], v[172:173], v[160:161]
	v_add_f64 v[64:65], v[170:171], v[158:159]
	;; [unrolled: 1-line block ×16, first 2 shown]
	v_cvt_f32_f64_e32 v10, v[10:11]
	v_cvt_f32_f64_e32 v8, v[8:9]
	;; [unrolled: 1-line block ×5, first 2 shown]
	v_min3_f32 v86, v4, v5, v86
	v_cvt_f32_f64_e32 v5, v[6:7]
	v_cvt_f32_f64_e32 v4, v[198:199]
	scratch_load_b32 v6, off, off           ; 4-byte Folded Reload
	v_min3_f32 v192, v10, v8, v192
	v_cvt_f32_f64_e32 v8, v[14:15]
	v_min3_f32 v128, v0, v1, v128
	v_cvt_f32_f64_e32 v0, v[154:155]
	v_cvt_f32_f64_e32 v1, v[156:157]
	v_min3_f32 v148, v4, v5, v148
	v_cvt_f32_f64_e32 v4, v[118:119]
	v_cvt_f32_f64_e32 v5, v[116:117]
	v_min3_f32 v87, v8, v9, v87
	v_min3_f32 v129, v0, v1, v129
	v_cvt_f32_f64_e32 v0, v[162:163]
	v_cvt_f32_f64_e32 v1, v[164:165]
	v_min3_f32 v151, v4, v5, v151
	v_cvt_f32_f64_e32 v4, v[194:195]
	v_cvt_f32_f64_e32 v5, v[137:138]
	s_delay_alu instid0(VALU_DEP_4) | instskip(SKIP_2) | instid1(VALU_DEP_4)
	v_min3_f32 v127, v0, v1, v127
	v_cvt_f32_f64_e32 v0, v[166:167]
	v_cvt_f32_f64_e32 v1, v[168:169]
	v_min3_f32 v190, v4, v5, v190
	v_cvt_f32_f64_e32 v4, v[80:81]
	v_cvt_f32_f64_e32 v5, v[196:197]
	s_delay_alu instid0(VALU_DEP_4) | instskip(SKIP_2) | instid1(VALU_DEP_4)
	;; [unrolled: 7-line block ×3, first 2 shown]
	v_min3_f32 v126, v0, v1, v126
	v_cvt_f32_f64_e32 v0, v[174:175]
	v_cvt_f32_f64_e32 v1, v[176:177]
	v_min3_f32 v133, v4, v5, v133
	v_cvt_f32_f64_e32 v4, v[64:65]
	v_cvt_f32_f64_e32 v5, v[204:205]
	s_delay_alu instid0(VALU_DEP_4)
	v_min3_f32 v123, v0, v1, v123
	v_cvt_f32_f64_e32 v0, v[178:179]
	v_cvt_f32_f64_e32 v1, v[180:181]
	s_waitcnt vmcnt(2)
	v_cvt_f32_f64_e32 v20, v[20:21]
	s_waitcnt vmcnt(1)
	v_cvt_f32_f64_e32 v21, v[76:77]
	scratch_load_b64 v[76:77], off, off offset:48 ; 8-byte Folded Reload
	v_min3_f32 v66, v0, v1, v66
	v_cvt_f32_f64_e32 v0, v[182:183]
	v_cvt_f32_f64_e32 v1, v[184:185]
	v_min3_f32 v142, v20, v21, v142
	scratch_load_b64 v[20:21], off, off offset:104 ; 8-byte Folded Reload
	v_min3_f32 v67, v0, v1, v67
	s_waitcnt vmcnt(2)
	v_min3_f32 v6, v4, v5, v6
	v_cvt_f32_f64_e32 v4, v[130:131]
	v_cvt_f32_f64_e32 v5, v[135:136]
	scratch_store_b32 off, v6, off          ; 4-byte Folded Spill
	v_min3_f32 v200, v4, v5, v200
	v_cvt_f32_f64_e32 v4, v[84:85]
	v_cvt_f32_f64_e32 v5, v[124:125]
	s_delay_alu instid0(VALU_DEP_1) | instskip(SKIP_2) | instid1(VALU_DEP_1)
	v_min3_f32 v132, v4, v5, v132
	v_cvt_f32_f64_e32 v4, v[158:159]
	v_cvt_f32_f64_e32 v5, v[160:161]
	v_min3_f32 v134, v4, v5, v134
	s_waitcnt vmcnt(0)
	v_cvt_f32_f64_e32 v20, v[20:21]
	v_cvt_f32_f64_e32 v21, v[76:77]
	scratch_load_b64 v[76:77], off, off offset:24 ; 8-byte Folded Reload
	v_min3_f32 v141, v20, v21, v141
	scratch_load_b64 v[20:21], off, off offset:80 ; 8-byte Folded Reload
	s_waitcnt vmcnt(0)
	v_cvt_f32_f64_e32 v20, v[20:21]
	v_cvt_f32_f64_e32 v21, v[76:77]
	scratch_load_b64 v[76:77], off, off offset:56 ; 8-byte Folded Reload
	v_min3_f32 v140, v20, v21, v140
	scratch_load_b64 v[20:21], off, off offset:112 ; 8-byte Folded Reload
	;; [unrolled: 6-line block ×13, first 2 shown]
	s_waitcnt vmcnt(0)
	v_cvt_f32_f64_e32 v20, v[20:21]
	v_cvt_f32_f64_e32 v21, v[76:77]
	s_delay_alu instid0(VALU_DEP_1) | instskip(SKIP_3) | instid1(VALU_DEP_1)
	v_min3_f32 v99, v20, v21, v99
	v_cvt_f32_f64_e32 v20, v[42:43]
	scratch_load_b64 v[42:43], off, off offset:272 ; 8-byte Folded Reload
	v_cvt_f32_f64_e32 v21, v[78:79]
	v_min3_f32 v98, v20, v21, v98
	v_cvt_f32_f64_e32 v20, v[44:45]
	v_cvt_f32_f64_e32 v21, v[82:83]
	s_delay_alu instid0(VALU_DEP_1) | instskip(SKIP_2) | instid1(VALU_DEP_1)
	v_min3_f32 v103, v20, v21, v103
	v_cvt_f32_f64_e32 v20, v[88:89]
	v_cvt_f32_f64_e32 v21, v[46:47]
	v_min3_f32 v102, v20, v21, v102
	v_cvt_f32_f64_e32 v20, v[92:93]
	v_cvt_f32_f64_e32 v21, v[90:91]
	s_delay_alu instid0(VALU_DEP_1) | instskip(SKIP_2) | instid1(VALU_DEP_1)
	v_min3_f32 v107, v20, v21, v107
	v_cvt_f32_f64_e32 v20, v[96:97]
	v_cvt_f32_f64_e32 v21, v[48:49]
	v_min3_f32 v106, v20, v21, v106
	v_cvt_f32_f64_e32 v20, v[100:101]
	s_waitcnt vmcnt(0)
	v_cvt_f32_f64_e32 v21, v[42:43]
	scratch_load_b64 v[42:43], off, off offset:264 ; 8-byte Folded Reload
	v_min3_f32 v61, v20, v21, v61
	v_cvt_f32_f64_e32 v20, v[104:105]
	s_waitcnt vmcnt(0)
	v_cvt_f32_f64_e32 v21, v[42:43]
	scratch_load_b64 v[42:43], off, off offset:256 ; 8-byte Folded Reload
	v_min3_f32 v60, v20, v21, v60
	scratch_load_b64 v[20:21], off, off offset:280 ; 8-byte Folded Reload
	s_waitcnt vmcnt(0)
	v_cvt_f32_f64_e32 v20, v[20:21]
	v_cvt_f32_f64_e32 v21, v[42:43]
	s_delay_alu instid0(VALU_DEP_1) | instskip(SKIP_2) | instid1(VALU_DEP_1)
	v_min3_f32 v75, v20, v21, v75
	v_cvt_f32_f64_e32 v20, v[112:113]
	v_cvt_f32_f64_e32 v21, v[110:111]
	v_min3_f32 v74, v20, v21, v74
	v_cvt_f32_f64_e32 v20, v[40:41]
	v_cvt_f32_f64_e32 v21, v[114:115]
	s_delay_alu instid0(VALU_DEP_1) | instskip(SKIP_2) | instid1(VALU_DEP_1)
	v_min3_f32 v73, v20, v21, v73
	v_cvt_f32_f64_e32 v20, v[146:147]
	v_cvt_f32_f64_e32 v21, v[144:145]
	v_min3_f32 v72, v20, v21, v72
	;; [unrolled: 7-line block ×4, first 2 shown]
	v_cvt_f32_f64_e32 v20, v[206:207]
	s_delay_alu instid0(VALU_DEP_1) | instskip(SKIP_1) | instid1(VALU_DEP_1)
	v_min3_f32 v51, v20, v18, v51
	v_cvt_f32_f64_e32 v18, v[210:211]
	v_min3_f32 v50, v18, v19, v50
	v_cvt_f32_f64_e32 v18, v[214:215]
	v_cvt_f32_f64_e32 v19, v[212:213]
	s_delay_alu instid0(VALU_DEP_1) | instskip(SKIP_2) | instid1(VALU_DEP_1)
	v_min3_f32 v59, v18, v19, v59
	v_cvt_f32_f64_e32 v18, v[218:219]
	v_cvt_f32_f64_e32 v19, v[216:217]
	v_min3_f32 v58, v18, v19, v58
	v_cvt_f32_f64_e32 v18, v[222:223]
	v_cvt_f32_f64_e32 v19, v[220:221]
	scratch_load_b32 v221, off, off offset:8 ; 4-byte Folded Reload
	v_min3_f32 v57, v18, v19, v57
	v_cvt_f32_f64_e32 v18, v[226:227]
	v_cvt_f32_f64_e32 v19, v[224:225]
	s_delay_alu instid0(VALU_DEP_1) | instskip(SKIP_2) | instid1(VALU_DEP_1)
	v_min3_f32 v56, v18, v19, v56
	v_cvt_f32_f64_e32 v18, v[230:231]
	v_cvt_f32_f64_e32 v19, v[228:229]
	v_min3_f32 v54, v18, v19, v54
	v_cvt_f32_f64_e32 v19, v[22:23]
	scratch_load_b32 v22, off, off offset:4 ; 4-byte Folded Reload
	v_cvt_f32_f64_e32 v18, v[234:235]
	s_delay_alu instid0(VALU_DEP_1) | instskip(SKIP_2) | instid1(VALU_DEP_1)
	v_min3_f32 v53, v18, v19, v53
	v_cvt_f32_f64_e32 v18, v[238:239]
	v_cvt_f32_f64_e32 v19, v[24:25]
	v_min3_f32 v52, v18, v19, v52
	v_cvt_f32_f64_e32 v18, v[242:243]
	v_cvt_f32_f64_e32 v19, v[240:241]
	s_delay_alu instid0(VALU_DEP_1) | instskip(SKIP_2) | instid1(VALU_DEP_1)
	v_min3_f32 v63, v18, v19, v63
	v_cvt_f32_f64_e32 v18, v[246:247]
	v_cvt_f32_f64_e32 v19, v[244:245]
	v_min3_f32 v62, v18, v19, v62
	v_cvt_f32_f64_e32 v18, v[250:251]
	v_cvt_f32_f64_e32 v19, v[248:249]
	s_delay_alu instid0(VALU_DEP_1) | instskip(SKIP_2) | instid1(VALU_DEP_1)
	v_min3_f32 v233, v18, v19, v233
	v_cvt_f32_f64_e32 v18, v[254:255]
	v_cvt_f32_f64_e32 v19, v[252:253]
	v_min3_f32 v55, v18, v19, v55
	s_cbranch_vccz .LBB110_55
; %bb.56:                               ;   in Loop: Header=BB110_32 Depth=1
	s_clause 0x2
	scratch_load_b32 v0, off, off offset:384
	scratch_load_b64 v[1:2], off, off offset:288
	scratch_load_b64 v[3:4], off, off offset:296
	v_dual_mov_b32 v39, v109 :: v_dual_mov_b32 v216, v108
	v_dual_mov_b32 v194, v51 :: v_dual_mov_b32 v65, v62
	v_mov_b32_e32 v136, v58
	v_mov_b32_e32 v124, v52
	;; [unrolled: 1-line block ×3, first 2 shown]
	s_add_i32 s23, s23, 8
	s_add_i32 s29, s29, 8
	s_cmp_ge_i32 s23, s22
	s_waitcnt vmcnt(0)
	ds_store_2addr_stride64_b64 v0, v[1:2], v[3:4] offset1:4
	s_clause 0x1
	scratch_load_b64 v[1:2], off, off offset:304
	scratch_load_b64 v[3:4], off, off offset:328
	s_waitcnt vmcnt(0)
	ds_store_2addr_stride64_b64 v0, v[1:2], v[3:4] offset0:8 offset1:12
	s_clause 0x1
	scratch_load_b32 v0, off, off offset:388
	scratch_load_b64 v[1:2], off, off offset:336
	s_waitcnt vmcnt(0)
	ds_store_b64 v0, v[1:2]
	s_waitcnt lgkmcnt(0)
	s_waitcnt_vscnt null, 0x0
	s_barrier
	buffer_gl0_inv
	s_cbranch_scc1 .LBB110_59
; %bb.57:                               ;   in Loop: Header=BB110_32 Depth=1
	s_clause 0x2
	scratch_load_b32 v197, off, off offset:368
	scratch_load_b64 v[4:5], off, off offset:320
	scratch_load_b64 v[0:1], off, off offset:312
	v_dual_mov_b32 v121, v151 :: v_dual_mov_b32 v138, v50
	v_dual_mov_b32 v85, v233 :: v_dual_mov_b32 v198, v72
	;; [unrolled: 1-line block ×5, first 2 shown]
	v_mov_b32_e32 v218, v94
	s_waitcnt vmcnt(0)
	v_mov_b32_e32 v6, v1
	s_branch .LBB110_32
.LBB110_58:
	v_mov_b32_e32 v94, v218
	v_mov_b32_e32 v204, v219
	s_branch .LBB110_60
.LBB110_59:
	v_dual_mov_b32 v204, v151 :: v_dual_mov_b32 v85, v233
	v_dual_mov_b32 v131, v56 :: v_dual_mov_b32 v138, v50
	;; [unrolled: 1-line block ×4, first 2 shown]
	v_mov_b32_e32 v206, v106
.LBB110_60:
	v_dual_mov_b32 v114, v99 :: v_dual_mov_b32 v31, v69
	v_dual_mov_b32 v108, v103 :: v_dual_mov_b32 v79, v73
	s_delay_alu instid0(VALU_DEP_3)
	v_dual_mov_b32 v112, v206 :: v_dual_mov_b32 v135, v59
	v_dual_mov_b32 v36, v202 :: v_dual_mov_b32 v77, v195
	;; [unrolled: 1-line block ×7, first 2 shown]
	v_mov_b32_e32 v56, v71
	v_dual_mov_b32 v84, v60 :: v_dual_mov_b32 v111, v95
	v_mov_b32_e32 v104, v216
	v_mov_b32_e32 v110, v94
	s_mov_b32 s3, 0
	s_mov_b32 s2, -1
.LBB110_61:                             ; =>This Inner Loop Header: Depth=1
	s_lshl_b32 s3, s3, 3
	v_mov_b32_e32 v29, v61
	v_lshl_add_u32 v4, v22, 5, s3
	s_waitcnt vmcnt(0)
	v_lshl_add_u32 v5, v221, 5, s3
	v_mov_b32_e32 v193, v131
	s_mov_b32 s3, 2
	s_and_not1_b32 vcc_lo, exec_lo, s2
	ds_load_b128 v[32:35], v4 offset:18432
	ds_load_b128 v[0:3], v5 offset:8192
	ds_load_b128 v[60:63], v5 offset:9216
	ds_load_b128 v[68:71], v4 offset:18688
	s_mov_b32 s2, 0
	s_waitcnt lgkmcnt(1)
	v_add_f64 v[6:7], v[62:63], v[34:35]
	v_add_f64 v[44:45], v[2:3], v[34:35]
	;; [unrolled: 1-line block ×3, first 2 shown]
	scratch_store_b64 off, v[6:7], off offset:16 ; 8-byte Folded Spill
	v_add_f64 v[6:7], v[60:61], v[32:33]
	scratch_store_b64 off, v[6:7], off offset:72 ; 8-byte Folded Spill
	ds_load_b128 v[72:75], v5 offset:10240
	ds_load_b128 v[144:147], v5 offset:11264
	s_waitcnt lgkmcnt(1)
	v_add_f64 v[6:7], v[74:75], v[34:35]
	scratch_store_b64 off, v[6:7], off offset:48 ; 8-byte Folded Spill
	v_add_f64 v[6:7], v[72:73], v[32:33]
	scratch_store_b64 off, v[6:7], off offset:104 ; 8-byte Folded Spill
	s_waitcnt lgkmcnt(0)
	v_add_f64 v[6:7], v[146:147], v[34:35]
	scratch_store_b64 off, v[6:7], off offset:24 ; 8-byte Folded Spill
	v_add_f64 v[6:7], v[144:145], v[32:33]
	scratch_store_b64 off, v[6:7], off offset:80 ; 8-byte Folded Spill
	ds_load_b128 v[148:151], v5 offset:12288
	ds_load_b128 v[152:155], v5 offset:13312
	s_waitcnt lgkmcnt(1)
	v_add_f64 v[6:7], v[150:151], v[34:35]
	scratch_store_b64 off, v[6:7], off offset:56 ; 8-byte Folded Spill
	v_add_f64 v[6:7], v[148:149], v[32:33]
	scratch_store_b64 off, v[6:7], off offset:112 ; 8-byte Folded Spill
	s_waitcnt lgkmcnt(0)
	v_add_f64 v[6:7], v[154:155], v[34:35]
	;; [unrolled: 12-line block ×3, first 2 shown]
	scratch_store_b64 off, v[5:6], off offset:40 ; 8-byte Folded Spill
	v_add_f64 v[5:6], v[160:161], v[32:33]
	scratch_store_b64 off, v[5:6], off offset:96 ; 8-byte Folded Spill
	v_add_f64 v[5:6], v[2:3], v[70:71]
	;; [unrolled: 2-line block ×17, first 2 shown]
	scratch_store_b64 off, v[5:6], off offset:248 ; 8-byte Folded Spill
	ds_load_b128 v[68:71], v4 offset:18944
	ds_load_b128 v[164:167], v4 offset:19200
	s_waitcnt lgkmcnt(1)
	v_add_f64 v[5:6], v[150:151], v[70:71]
	v_add_f64 v[88:89], v[2:3], v[70:71]
	;; [unrolled: 1-line block ×11, first 2 shown]
	s_waitcnt lgkmcnt(0)
	v_add_f64 v[116:117], v[2:3], v[166:167]
	v_add_f64 v[118:119], v[0:1], v[164:165]
	;; [unrolled: 1-line block ×16, first 2 shown]
	scratch_store_b64 off, v[5:6], off offset:288 ; 8-byte Folded Spill
	v_add_f64 v[5:6], v[154:155], v[70:71]
	scratch_store_b64 off, v[5:6], off offset:272 ; 8-byte Folded Spill
	v_add_f64 v[5:6], v[158:159], v[70:71]
	;; [unrolled: 2-line block ×5, first 2 shown]
	scratch_store_b64 off, v[5:6], off offset:280 ; 8-byte Folded Spill
	ds_load_b128 v[68:71], v4 offset:19456
	ds_load_b128 v[164:167], v4 offset:19712
	s_waitcnt lgkmcnt(1)
	v_add_f64 v[186:187], v[2:3], v[70:71]
	v_add_f64 v[188:189], v[0:1], v[68:69]
	;; [unrolled: 1-line block ×16, first 2 shown]
	s_waitcnt lgkmcnt(0)
	v_add_f64 v[218:219], v[2:3], v[166:167]
	v_add_f64 v[220:221], v[0:1], v[164:165]
	;; [unrolled: 1-line block ×16, first 2 shown]
	ds_load_b128 v[68:71], v4 offset:19968
	ds_load_b128 v[164:167], v4 offset:20224
	s_waitcnt lgkmcnt(1)
	v_add_f64 v[4:5], v[60:61], v[68:69]
	s_waitcnt lgkmcnt(0)
	v_add_f64 v[82:83], v[60:61], v[164:165]
	v_mov_b32_e32 v61, v29
	v_cvt_f32_f64_e32 v29, v[26:27]
	v_cvt_f32_f64_e32 v26, v[44:45]
	scratch_load_b64 v[44:45], off, off offset:16 ; 8-byte Folded Reload
	v_add_f64 v[254:255], v[62:63], v[70:71]
	v_add_f64 v[6:7], v[72:73], v[68:69]
	;; [unrolled: 1-line block ×30, first 2 shown]
	v_cvt_f32_f64_e32 v4, v[4:5]
	v_min3_f32 v143, v29, v26, v143
	scratch_load_b64 v[26:27], off, off offset:72 ; 8-byte Folded Reload
	v_cvt_f32_f64_e32 v5, v[254:255]
	v_cvt_f32_f64_e32 v0, v[0:1]
	v_cvt_f32_f64_e32 v1, v[2:3]
	s_delay_alu instid0(VALU_DEP_3)
	v_min3_f32 v190, v4, v5, v190
	v_cvt_f32_f64_e32 v4, v[6:7]
	v_cvt_f32_f64_e32 v5, v[10:11]
	scratch_load_b32 v6, off, off           ; 4-byte Folded Reload
	v_min3_f32 v128, v0, v1, v128
	v_cvt_f32_f64_e32 v0, v[82:83]
	v_cvt_f32_f64_e32 v1, v[62:63]
	v_min3_f32 v236, v4, v5, v236
	v_cvt_f32_f64_e32 v4, v[8:9]
	v_cvt_f32_f64_e32 v5, v[14:15]
	s_delay_alu instid0(VALU_DEP_4) | instskip(SKIP_2) | instid1(VALU_DEP_4)
	v_min3_f32 v129, v0, v1, v129
	v_cvt_f32_f64_e32 v0, v[72:73]
	v_cvt_f32_f64_e32 v1, v[74:75]
	v_min3_f32 v133, v4, v5, v133
	v_cvt_f32_f64_e32 v4, v[12:13]
	v_cvt_f32_f64_e32 v5, v[18:19]
	s_delay_alu instid0(VALU_DEP_4) | instskip(SKIP_2) | instid1(VALU_DEP_1)
	v_min3_f32 v127, v0, v1, v127
	v_cvt_f32_f64_e32 v0, v[144:145]
	v_cvt_f32_f64_e32 v1, v[146:147]
	v_min3_f32 v122, v0, v1, v122
	v_cvt_f32_f64_e32 v0, v[148:149]
	v_cvt_f32_f64_e32 v1, v[150:151]
	s_delay_alu instid0(VALU_DEP_1) | instskip(SKIP_2) | instid1(VALU_DEP_1)
	v_min3_f32 v126, v0, v1, v126
	v_cvt_f32_f64_e32 v0, v[152:153]
	v_cvt_f32_f64_e32 v1, v[154:155]
	v_min3_f32 v123, v0, v1, v123
	v_cvt_f32_f64_e32 v0, v[156:157]
	v_cvt_f32_f64_e32 v1, v[158:159]
	s_delay_alu instid0(VALU_DEP_1)
	v_min3_f32 v66, v0, v1, v66
	v_cvt_f32_f64_e32 v0, v[160:161]
	v_cvt_f32_f64_e32 v1, v[162:163]
	s_waitcnt vmcnt(1)
	v_cvt_f32_f64_e32 v26, v[26:27]
	v_cvt_f32_f64_e32 v27, v[44:45]
	scratch_load_b64 v[44:45], off, off offset:48 ; 8-byte Folded Reload
	v_min3_f32 v67, v0, v1, v67
	v_min3_f32 v142, v26, v27, v142
	scratch_load_b64 v[26:27], off, off offset:104 ; 8-byte Folded Reload
	s_waitcnt vmcnt(2)
	v_min3_f32 v6, v4, v5, v6
	v_cvt_f32_f64_e32 v5, v[22:23]
	scratch_load_b32 v22, off, off offset:4 ; 4-byte Folded Reload
	v_cvt_f32_f64_e32 v4, v[16:17]
	scratch_store_b32 off, v6, off          ; 4-byte Folded Spill
	v_min3_f32 v200, v4, v5, v200
	v_cvt_f32_f64_e32 v4, v[20:21]
	v_cvt_f32_f64_e32 v5, v[24:25]
	s_delay_alu instid0(VALU_DEP_1) | instskip(SKIP_2) | instid1(VALU_DEP_1)
	v_min3_f32 v132, v4, v5, v132
	v_cvt_f32_f64_e32 v4, v[68:69]
	v_cvt_f32_f64_e32 v5, v[70:71]
	v_min3_f32 v134, v4, v5, v134
	s_waitcnt vmcnt(1)
	v_cvt_f32_f64_e32 v26, v[26:27]
	v_cvt_f32_f64_e32 v27, v[44:45]
	scratch_load_b64 v[44:45], off, off offset:24 ; 8-byte Folded Reload
	v_min3_f32 v141, v26, v27, v141
	scratch_load_b64 v[26:27], off, off offset:80 ; 8-byte Folded Reload
	s_waitcnt vmcnt(0)
	v_cvt_f32_f64_e32 v26, v[26:27]
	v_cvt_f32_f64_e32 v27, v[44:45]
	scratch_load_b64 v[44:45], off, off offset:56 ; 8-byte Folded Reload
	v_min3_f32 v140, v26, v27, v140
	scratch_load_b64 v[26:27], off, off offset:112 ; 8-byte Folded Reload
	;; [unrolled: 6-line block ×13, first 2 shown]
	s_waitcnt vmcnt(0)
	v_cvt_f32_f64_e32 v26, v[26:27]
	v_cvt_f32_f64_e32 v27, v[44:45]
	scratch_load_b64 v[44:45], off, off offset:288 ; 8-byte Folded Reload
	v_min3_f32 v114, v26, v27, v114
	v_cvt_f32_f64_e32 v26, v[58:59]
	v_cvt_f32_f64_e32 v27, v[88:89]
	s_delay_alu instid0(VALU_DEP_1) | instskip(SKIP_2) | instid1(VALU_DEP_1)
	v_min3_f32 v109, v26, v27, v109
	v_cvt_f32_f64_e32 v26, v[90:91]
	v_cvt_f32_f64_e32 v27, v[92:93]
	v_min3_f32 v108, v26, v27, v108
	v_cvt_f32_f64_e32 v26, v[94:95]
	v_cvt_f32_f64_e32 v27, v[96:97]
	s_delay_alu instid0(VALU_DEP_1) | instskip(SKIP_2) | instid1(VALU_DEP_1)
	v_min3_f32 v211, v26, v27, v211
	v_cvt_f32_f64_e32 v26, v[98:99]
	v_cvt_f32_f64_e32 v27, v[100:101]
	v_min3_f32 v113, v26, v27, v113
	v_cvt_f32_f64_e32 v26, v[102:103]
	s_waitcnt vmcnt(0)
	v_cvt_f32_f64_e32 v27, v[44:45]
	scratch_load_b64 v[44:45], off, off offset:272 ; 8-byte Folded Reload
	v_min3_f32 v112, v26, v27, v112
	v_cvt_f32_f64_e32 v26, v[106:107]
	s_waitcnt vmcnt(0)
	v_cvt_f32_f64_e32 v27, v[44:45]
	scratch_load_b64 v[44:45], off, off offset:264 ; 8-byte Folded Reload
	v_min3_f32 v61, v26, v27, v61
	scratch_load_b64 v[26:27], off, off offset:296 ; 8-byte Folded Reload
	s_waitcnt vmcnt(0)
	v_cvt_f32_f64_e32 v26, v[26:27]
	v_cvt_f32_f64_e32 v27, v[44:45]
	scratch_load_b64 v[44:45], off, off offset:256 ; 8-byte Folded Reload
	v_min3_f32 v84, v26, v27, v84
	scratch_load_b64 v[26:27], off, off offset:280 ; 8-byte Folded Reload
	s_waitcnt vmcnt(0)
	v_cvt_f32_f64_e32 v26, v[26:27]
	v_cvt_f32_f64_e32 v27, v[44:45]
	s_delay_alu instid0(VALU_DEP_1) | instskip(SKIP_2) | instid1(VALU_DEP_1)
	v_min3_f32 v43, v26, v27, v43
	v_cvt_f32_f64_e32 v26, v[118:119]
	v_cvt_f32_f64_e32 v27, v[116:117]
	v_min3_f32 v36, v26, v27, v36
	v_cvt_f32_f64_e32 v26, v[130:131]
	v_cvt_f32_f64_e32 v27, v[120:121]
	v_mov_b32_e32 v131, v193
	s_delay_alu instid0(VALU_DEP_2) | instskip(SKIP_2) | instid1(VALU_DEP_1)
	v_min3_f32 v79, v26, v27, v79
	v_cvt_f32_f64_e32 v26, v[46:47]
	v_cvt_f32_f64_e32 v27, v[50:51]
	v_min3_f32 v78, v26, v27, v78
	v_cvt_f32_f64_e32 v26, v[168:169]
	v_cvt_f32_f64_e32 v27, v[48:49]
	s_delay_alu instid0(VALU_DEP_1) | instskip(SKIP_2) | instid1(VALU_DEP_1)
	v_min3_f32 v56, v26, v27, v56
	v_cvt_f32_f64_e32 v26, v[172:173]
	v_cvt_f32_f64_e32 v27, v[170:171]
	v_min3_f32 v30, v26, v27, v30
	v_cvt_f32_f64_e32 v26, v[176:177]
	v_cvt_f32_f64_e32 v27, v[174:175]
	s_delay_alu instid0(VALU_DEP_1) | instskip(SKIP_2) | instid1(VALU_DEP_1)
	;; [unrolled: 7-line block ×6, first 2 shown]
	v_min3_f32 v54, v26, v27, v54
	v_cvt_f32_f64_e32 v26, v[212:213]
	v_cvt_f32_f64_e32 v27, v[41:42]
	v_min3_f32 v53, v26, v27, v53
	v_cvt_f32_f64_e32 v26, v[216:217]
	v_cvt_f32_f64_e32 v27, v[214:215]
	s_delay_alu instid0(VALU_DEP_1) | instskip(SKIP_3) | instid1(VALU_DEP_1)
	v_min3_f32 v124, v26, v27, v124
	v_cvt_f32_f64_e32 v26, v[220:221]
	scratch_load_b32 v221, off, off offset:8 ; 4-byte Folded Reload
	v_cvt_f32_f64_e32 v27, v[218:219]
	v_min3_f32 v64, v26, v27, v64
	v_cvt_f32_f64_e32 v26, v[224:225]
	v_cvt_f32_f64_e32 v27, v[222:223]
	s_delay_alu instid0(VALU_DEP_1) | instskip(SKIP_2) | instid1(VALU_DEP_1)
	v_min3_f32 v65, v26, v27, v65
	v_cvt_f32_f64_e32 v26, v[228:229]
	v_cvt_f32_f64_e32 v27, v[226:227]
	v_min3_f32 v85, v26, v27, v85
	v_cvt_f32_f64_e32 v26, v[34:35]
	v_cvt_f32_f64_e32 v27, v[230:231]
	s_delay_alu instid0(VALU_DEP_1) | instskip(SKIP_2) | instid1(VALU_DEP_1)
	v_min3_f32 v55, v26, v27, v55
	v_cvt_f32_f64_e32 v26, v[32:33]
	;; [unrolled: 7-line block ×4, first 2 shown]
	v_cvt_f32_f64_e32 v27, v[250:251]
	v_min3_f32 v204, v26, v27, v204
	s_cbranch_vccz .LBB110_61
; %bb.62:
	s_clause 0x2
	s_load_b32 s20, s[0:1], 0x58
	s_load_b32 s18, s[0:1], 0x70
	s_load_b64 s[2:3], s[0:1], 0x78
	v_dual_mov_b32 v32, v30 :: v_dual_add_nc_u32 v19, s19, v22
	s_waitcnt vmcnt(0)
	v_add_nc_u32_e32 v0, s8, v221
	v_cndmask_b32_e64 v18, 0, 1, s9
	s_delay_alu instid0(VALU_DEP_3) | instskip(NEXT) | instid1(VALU_DEP_3)
	v_cmp_gt_i32_e64 s8, s17, v19
	v_cmp_gt_i32_e64 s0, s16, v0
	v_ashrrev_i32_e32 v1, 31, v0
	s_waitcnt lgkmcnt(0)
	v_mad_i64_i32 v[2:3], null, v19, s20, 0
	v_mad_i64_i32 v[4:5], null, v19, s18, 0
	s_lshl_b64 s[2:3], s[2:3], 3
	s_delay_alu instid0(SALU_CYCLE_1) | instskip(SKIP_1) | instid1(VALU_DEP_2)
	s_add_u32 s14, s14, s2
	s_addc_u32 s15, s15, s3
	v_lshlrev_b64 v[2:3], 3, v[2:3]
	s_and_b32 s2, s0, s8
	s_delay_alu instid0(VALU_DEP_2) | instskip(NEXT) | instid1(VALU_DEP_2)
	v_lshlrev_b64 v[4:5], 3, v[4:5]
	v_add_co_u32 v16, vcc_lo, s12, v2
	s_delay_alu instid0(VALU_DEP_3) | instskip(NEXT) | instid1(VALU_DEP_3)
	v_add_co_ci_u32_e32 v17, vcc_lo, s13, v3, vcc_lo
	v_add_co_u32 v22, vcc_lo, s14, v4
	s_delay_alu instid0(VALU_DEP_4) | instskip(SKIP_3) | instid1(SALU_CYCLE_1)
	v_add_co_ci_u32_e32 v21, vcc_lo, s15, v5, vcc_lo
	s_mov_b32 s1, exec_lo
	v_dual_mov_b32 v30, v77 :: v_dual_mov_b32 v35, v79
	s_and_b32 s2, s1, s2
	s_mov_b32 exec_lo, s2
	s_cbranch_execz .LBB110_67
; %bb.63:
	s_and_not1_b32 vcc_lo, exec_lo, s9
	s_cbranch_vccnz .LBB110_65
; %bb.64:
	v_lshlrev_b64 v[2:3], 3, v[0:1]
	s_delay_alu instid0(VALU_DEP_1) | instskip(NEXT) | instid1(VALU_DEP_2)
	v_add_co_u32 v2, vcc_lo, v16, v2
	v_add_co_ci_u32_e32 v3, vcc_lo, v17, v3, vcc_lo
	flat_load_b64 v[2:3], v[2:3]
	s_waitcnt vmcnt(0) lgkmcnt(0)
	v_mul_f64 v[2:3], v[2:3], s[10:11]
	s_branch .LBB110_66
.LBB110_65:
	v_mov_b32_e32 v2, 0
	v_mov_b32_e32 v3, 0
.LBB110_66:
	s_delay_alu instid0(VALU_DEP_1) | instskip(SKIP_2) | instid1(VALU_DEP_1)
	v_cvt_f32_f64_e32 v2, v[2:3]
	v_max_f32_e32 v3, v143, v143
	v_lshlrev_b64 v[4:5], 3, v[0:1]
	v_add_co_u32 v4, vcc_lo, v22, v4
	s_delay_alu instid0(VALU_DEP_2) | instskip(NEXT) | instid1(VALU_DEP_4)
	v_add_co_ci_u32_e32 v5, vcc_lo, v21, v5, vcc_lo
	v_min_f32_e32 v2, v2, v3
	s_delay_alu instid0(VALU_DEP_1)
	v_cvt_f64_f32_e32 v[2:3], v2
	global_store_b64 v[4:5], v[2:3], off
.LBB110_67:
	s_or_b32 exec_lo, exec_lo, s1
	v_add_nc_u32_e32 v2, 32, v0
	s_delay_alu instid0(VALU_DEP_1) | instskip(SKIP_1) | instid1(VALU_DEP_2)
	v_cmp_gt_i32_e64 s1, s16, v2
	v_ashrrev_i32_e32 v3, 31, v2
	s_and_b32 s3, s1, s8
	s_delay_alu instid0(SALU_CYCLE_1)
	s_and_saveexec_b32 s2, s3
	s_cbranch_execz .LBB110_72
; %bb.68:
	v_cmp_ne_u32_e32 vcc_lo, 1, v18
	s_cbranch_vccnz .LBB110_70
; %bb.69:
	v_lshlrev_b64 v[4:5], 3, v[2:3]
	s_delay_alu instid0(VALU_DEP_1) | instskip(NEXT) | instid1(VALU_DEP_2)
	v_add_co_u32 v4, vcc_lo, v16, v4
	v_add_co_ci_u32_e32 v5, vcc_lo, v17, v5, vcc_lo
	flat_load_b64 v[4:5], v[4:5]
	s_waitcnt vmcnt(0) lgkmcnt(0)
	v_mul_f64 v[4:5], v[4:5], s[10:11]
	s_branch .LBB110_71
.LBB110_70:
	v_mov_b32_e32 v4, 0
	v_mov_b32_e32 v5, 0
.LBB110_71:
	s_delay_alu instid0(VALU_DEP_1) | instskip(SKIP_2) | instid1(VALU_DEP_1)
	v_cvt_f32_f64_e32 v4, v[4:5]
	v_max_f32_e32 v5, v142, v142
	v_lshlrev_b64 v[6:7], 3, v[2:3]
	v_add_co_u32 v6, vcc_lo, v22, v6
	s_delay_alu instid0(VALU_DEP_2) | instskip(NEXT) | instid1(VALU_DEP_4)
	v_add_co_ci_u32_e32 v7, vcc_lo, v21, v7, vcc_lo
	v_min_f32_e32 v4, v4, v5
	s_delay_alu instid0(VALU_DEP_1)
	v_cvt_f64_f32_e32 v[4:5], v4
	global_store_b64 v[6:7], v[4:5], off
.LBB110_72:
	s_or_b32 exec_lo, exec_lo, s2
	v_add_nc_u32_e32 v4, 64, v0
	s_delay_alu instid0(VALU_DEP_1) | instskip(SKIP_1) | instid1(VALU_DEP_2)
	v_cmp_gt_i32_e64 s2, s16, v4
	v_ashrrev_i32_e32 v5, 31, v4
	s_and_b32 s4, s2, s8
	s_delay_alu instid0(SALU_CYCLE_1)
	s_and_saveexec_b32 s3, s4
	s_cbranch_execz .LBB110_77
; %bb.73:
	v_cmp_ne_u32_e32 vcc_lo, 1, v18
	s_cbranch_vccnz .LBB110_75
; %bb.74:
	v_lshlrev_b64 v[6:7], 3, v[4:5]
	s_delay_alu instid0(VALU_DEP_1) | instskip(NEXT) | instid1(VALU_DEP_2)
	v_add_co_u32 v6, vcc_lo, v16, v6
	v_add_co_ci_u32_e32 v7, vcc_lo, v17, v7, vcc_lo
	flat_load_b64 v[6:7], v[6:7]
	s_waitcnt vmcnt(0) lgkmcnt(0)
	v_mul_f64 v[6:7], v[6:7], s[10:11]
	s_branch .LBB110_76
.LBB110_75:
	v_mov_b32_e32 v6, 0
	v_mov_b32_e32 v7, 0
.LBB110_76:
	s_delay_alu instid0(VALU_DEP_1) | instskip(SKIP_2) | instid1(VALU_DEP_1)
	v_cvt_f32_f64_e32 v6, v[6:7]
	v_max_f32_e32 v7, v141, v141
	v_lshlrev_b64 v[8:9], 3, v[4:5]
	v_add_co_u32 v8, vcc_lo, v22, v8
	s_delay_alu instid0(VALU_DEP_2) | instskip(NEXT) | instid1(VALU_DEP_4)
	v_add_co_ci_u32_e32 v9, vcc_lo, v21, v9, vcc_lo
	v_min_f32_e32 v6, v6, v7
	s_delay_alu instid0(VALU_DEP_1)
	v_cvt_f64_f32_e32 v[6:7], v6
	global_store_b64 v[8:9], v[6:7], off
.LBB110_77:
	;; [unrolled: 37-line block ×7, first 2 shown]
	s_or_b32 exec_lo, exec_lo, s8
	v_add_nc_u32_e32 v22, 8, v19
	s_delay_alu instid0(VALU_DEP_1) | instskip(SKIP_2) | instid1(VALU_DEP_3)
	v_mad_i64_i32 v[16:17], null, v22, s20, 0
	v_mad_i64_i32 v[20:21], null, v22, s18, 0
	v_cmp_gt_i32_e64 s8, s17, v22
	v_lshlrev_b64 v[16:17], 3, v[16:17]
	s_delay_alu instid0(VALU_DEP_2) | instskip(NEXT) | instid1(VALU_DEP_3)
	s_and_b32 s16, s0, s8
	v_lshlrev_b64 v[20:21], 3, v[20:21]
	s_delay_alu instid0(VALU_DEP_2) | instskip(NEXT) | instid1(VALU_DEP_3)
	v_add_co_u32 v24, vcc_lo, s12, v16
	v_add_co_ci_u32_e32 v23, vcc_lo, s13, v17, vcc_lo
	s_delay_alu instid0(VALU_DEP_3) | instskip(NEXT) | instid1(VALU_DEP_4)
	v_add_co_u32 v22, vcc_lo, s14, v20
	v_add_co_ci_u32_e32 v21, vcc_lo, s15, v21, vcc_lo
	s_and_saveexec_b32 s9, s16
	s_cbranch_execnz .LBB110_110
; %bb.103:
	s_or_b32 exec_lo, exec_lo, s9
	s_and_b32 s16, s1, s8
	s_delay_alu instid0(SALU_CYCLE_1)
	s_and_saveexec_b32 s9, s16
	s_cbranch_execnz .LBB110_114
.LBB110_104:
	s_or_b32 exec_lo, exec_lo, s9
	s_and_b32 s16, s2, s8
	s_delay_alu instid0(SALU_CYCLE_1)
	s_and_saveexec_b32 s9, s16
	s_cbranch_execnz .LBB110_118
.LBB110_105:
	s_or_b32 exec_lo, exec_lo, s9
	s_and_b32 s16, s3, s8
	s_delay_alu instid0(SALU_CYCLE_1)
	s_and_saveexec_b32 s9, s16
	s_cbranch_execnz .LBB110_122
.LBB110_106:
	s_or_b32 exec_lo, exec_lo, s9
	s_and_b32 s16, s4, s8
	s_delay_alu instid0(SALU_CYCLE_1)
	s_and_saveexec_b32 s9, s16
	s_cbranch_execnz .LBB110_126
.LBB110_107:
	s_or_b32 exec_lo, exec_lo, s9
	s_and_b32 s16, s5, s8
	s_delay_alu instid0(SALU_CYCLE_1)
	s_and_saveexec_b32 s9, s16
	s_cbranch_execnz .LBB110_130
.LBB110_108:
	s_or_b32 exec_lo, exec_lo, s9
	s_and_b32 s16, s6, s8
	s_delay_alu instid0(SALU_CYCLE_1)
	s_and_saveexec_b32 s9, s16
	s_cbranch_execnz .LBB110_134
.LBB110_109:
	s_or_b32 exec_lo, exec_lo, s9
	s_and_b32 s9, s7, s8
	s_delay_alu instid0(SALU_CYCLE_1)
	s_and_saveexec_b32 s8, s9
	s_cbranch_execnz .LBB110_138
	s_branch .LBB110_142
.LBB110_110:
	v_cmp_ne_u32_e32 vcc_lo, 1, v18
	s_cbranch_vccnz .LBB110_112
; %bb.111:
	v_lshlrev_b64 v[16:17], 3, v[0:1]
	s_delay_alu instid0(VALU_DEP_1) | instskip(NEXT) | instid1(VALU_DEP_2)
	v_add_co_u32 v16, vcc_lo, v24, v16
	v_add_co_ci_u32_e32 v17, vcc_lo, v23, v17, vcc_lo
	flat_load_b64 v[16:17], v[16:17]
	s_waitcnt vmcnt(0) lgkmcnt(0)
	v_mul_f64 v[16:17], v[16:17], s[10:11]
	s_branch .LBB110_113
.LBB110_112:
	v_mov_b32_e32 v16, 0
	v_mov_b32_e32 v17, 0
.LBB110_113:
	s_delay_alu instid0(VALU_DEP_1) | instskip(SKIP_2) | instid1(VALU_DEP_1)
	v_cvt_f32_f64_e32 v16, v[16:17]
	v_max_f32_e32 v17, v28, v28
	v_lshlrev_b64 v[25:26], 3, v[0:1]
	v_add_co_u32 v25, vcc_lo, v22, v25
	s_delay_alu instid0(VALU_DEP_2) | instskip(NEXT) | instid1(VALU_DEP_4)
	v_add_co_ci_u32_e32 v26, vcc_lo, v21, v26, vcc_lo
	v_min_f32_e32 v16, v16, v17
	s_delay_alu instid0(VALU_DEP_1) | instskip(SKIP_3) | instid1(SALU_CYCLE_1)
	v_cvt_f64_f32_e32 v[16:17], v16
	global_store_b64 v[25:26], v[16:17], off
	s_or_b32 exec_lo, exec_lo, s9
	s_and_b32 s16, s1, s8
	s_and_saveexec_b32 s9, s16
	s_cbranch_execz .LBB110_104
.LBB110_114:
	v_cmp_ne_u32_e32 vcc_lo, 1, v18
	s_cbranch_vccnz .LBB110_116
; %bb.115:
	v_lshlrev_b64 v[16:17], 3, v[2:3]
	s_delay_alu instid0(VALU_DEP_1) | instskip(NEXT) | instid1(VALU_DEP_2)
	v_add_co_u32 v16, vcc_lo, v24, v16
	v_add_co_ci_u32_e32 v17, vcc_lo, v23, v17, vcc_lo
	flat_load_b64 v[16:17], v[16:17]
	s_waitcnt vmcnt(0) lgkmcnt(0)
	v_mul_f64 v[16:17], v[16:17], s[10:11]
	s_branch .LBB110_117
.LBB110_116:
	v_mov_b32_e32 v16, 0
	v_mov_b32_e32 v17, 0
.LBB110_117:
	s_delay_alu instid0(VALU_DEP_1) | instskip(SKIP_2) | instid1(VALU_DEP_1)
	v_cvt_f32_f64_e32 v16, v[16:17]
	v_max_f32_e32 v17, v201, v201
	v_lshlrev_b64 v[25:26], 3, v[2:3]
	v_add_co_u32 v25, vcc_lo, v22, v25
	s_delay_alu instid0(VALU_DEP_2) | instskip(NEXT) | instid1(VALU_DEP_4)
	v_add_co_ci_u32_e32 v26, vcc_lo, v21, v26, vcc_lo
	v_min_f32_e32 v16, v16, v17
	s_delay_alu instid0(VALU_DEP_1) | instskip(SKIP_3) | instid1(SALU_CYCLE_1)
	v_cvt_f64_f32_e32 v[16:17], v16
	global_store_b64 v[25:26], v[16:17], off
	s_or_b32 exec_lo, exec_lo, s9
	s_and_b32 s16, s2, s8
	s_and_saveexec_b32 s9, s16
	s_cbranch_execz .LBB110_105
.LBB110_118:
	v_cmp_ne_u32_e32 vcc_lo, 1, v18
	s_cbranch_vccnz .LBB110_120
; %bb.119:
	v_lshlrev_b64 v[16:17], 3, v[4:5]
	s_delay_alu instid0(VALU_DEP_1) | instskip(NEXT) | instid1(VALU_DEP_2)
	v_add_co_u32 v16, vcc_lo, v24, v16
	v_add_co_ci_u32_e32 v17, vcc_lo, v23, v17, vcc_lo
	flat_load_b64 v[16:17], v[16:17]
	s_waitcnt vmcnt(0) lgkmcnt(0)
	v_mul_f64 v[16:17], v[16:17], s[10:11]
	s_branch .LBB110_121
.LBB110_120:
	v_mov_b32_e32 v16, 0
	v_mov_b32_e32 v17, 0
.LBB110_121:
	s_delay_alu instid0(VALU_DEP_1) | instskip(SKIP_2) | instid1(VALU_DEP_1)
	v_cvt_f32_f64_e32 v16, v[16:17]
	v_max_f32_e32 v17, v111, v111
	v_lshlrev_b64 v[25:26], 3, v[4:5]
	v_add_co_u32 v25, vcc_lo, v22, v25
	s_delay_alu instid0(VALU_DEP_2) | instskip(NEXT) | instid1(VALU_DEP_4)
	v_add_co_ci_u32_e32 v26, vcc_lo, v21, v26, vcc_lo
	v_min_f32_e32 v16, v16, v17
	s_delay_alu instid0(VALU_DEP_1) | instskip(SKIP_3) | instid1(SALU_CYCLE_1)
	v_cvt_f64_f32_e32 v[16:17], v16
	global_store_b64 v[25:26], v[16:17], off
	s_or_b32 exec_lo, exec_lo, s9
	s_and_b32 s16, s3, s8
	s_and_saveexec_b32 s9, s16
	s_cbranch_execz .LBB110_106
.LBB110_122:
	v_cmp_ne_u32_e32 vcc_lo, 1, v18
	s_cbranch_vccnz .LBB110_124
; %bb.123:
	v_lshlrev_b64 v[16:17], 3, v[6:7]
	s_delay_alu instid0(VALU_DEP_1) | instskip(NEXT) | instid1(VALU_DEP_2)
	v_add_co_u32 v16, vcc_lo, v24, v16
	v_add_co_ci_u32_e32 v17, vcc_lo, v23, v17, vcc_lo
	flat_load_b64 v[16:17], v[16:17]
	s_waitcnt vmcnt(0) lgkmcnt(0)
	v_mul_f64 v[16:17], v[16:17], s[10:11]
	s_branch .LBB110_125
.LBB110_124:
	v_mov_b32_e32 v16, 0
	v_mov_b32_e32 v17, 0
.LBB110_125:
	s_delay_alu instid0(VALU_DEP_1) | instskip(SKIP_2) | instid1(VALU_DEP_1)
	v_cvt_f32_f64_e32 v16, v[16:17]
	v_max_f32_e32 v17, v110, v110
	v_lshlrev_b64 v[25:26], 3, v[6:7]
	v_add_co_u32 v25, vcc_lo, v22, v25
	s_delay_alu instid0(VALU_DEP_2) | instskip(NEXT) | instid1(VALU_DEP_4)
	v_add_co_ci_u32_e32 v26, vcc_lo, v21, v26, vcc_lo
	v_min_f32_e32 v16, v16, v17
	s_delay_alu instid0(VALU_DEP_1) | instskip(SKIP_3) | instid1(SALU_CYCLE_1)
	v_cvt_f64_f32_e32 v[16:17], v16
	global_store_b64 v[25:26], v[16:17], off
	s_or_b32 exec_lo, exec_lo, s9
	s_and_b32 s16, s4, s8
	s_and_saveexec_b32 s9, s16
	s_cbranch_execz .LBB110_107
.LBB110_126:
	v_cmp_ne_u32_e32 vcc_lo, 1, v18
	s_cbranch_vccnz .LBB110_128
; %bb.127:
	v_lshlrev_b64 v[16:17], 3, v[8:9]
	s_delay_alu instid0(VALU_DEP_1) | instskip(NEXT) | instid1(VALU_DEP_2)
	v_add_co_u32 v16, vcc_lo, v24, v16
	v_add_co_ci_u32_e32 v17, vcc_lo, v23, v17, vcc_lo
	flat_load_b64 v[16:17], v[16:17]
	s_waitcnt vmcnt(0) lgkmcnt(0)
	v_mul_f64 v[16:17], v[16:17], s[10:11]
	s_branch .LBB110_129
.LBB110_128:
	v_mov_b32_e32 v16, 0
	v_mov_b32_e32 v17, 0
.LBB110_129:
	s_delay_alu instid0(VALU_DEP_1) | instskip(SKIP_2) | instid1(VALU_DEP_1)
	v_cvt_f32_f64_e32 v16, v[16:17]
	v_max_f32_e32 v17, v105, v105
	v_lshlrev_b64 v[25:26], 3, v[8:9]
	v_add_co_u32 v25, vcc_lo, v22, v25
	s_delay_alu instid0(VALU_DEP_2) | instskip(NEXT) | instid1(VALU_DEP_4)
	v_add_co_ci_u32_e32 v26, vcc_lo, v21, v26, vcc_lo
	v_min_f32_e32 v16, v16, v17
	s_delay_alu instid0(VALU_DEP_1) | instskip(SKIP_3) | instid1(SALU_CYCLE_1)
	v_cvt_f64_f32_e32 v[16:17], v16
	global_store_b64 v[25:26], v[16:17], off
	s_or_b32 exec_lo, exec_lo, s9
	s_and_b32 s16, s5, s8
	s_and_saveexec_b32 s9, s16
	s_cbranch_execz .LBB110_108
.LBB110_130:
	v_cmp_ne_u32_e32 vcc_lo, 1, v18
	s_cbranch_vccnz .LBB110_132
; %bb.131:
	v_lshlrev_b64 v[16:17], 3, v[10:11]
	s_delay_alu instid0(VALU_DEP_1) | instskip(NEXT) | instid1(VALU_DEP_2)
	v_add_co_u32 v16, vcc_lo, v24, v16
	v_add_co_ci_u32_e32 v17, vcc_lo, v23, v17, vcc_lo
	flat_load_b64 v[16:17], v[16:17]
	s_waitcnt vmcnt(0) lgkmcnt(0)
	v_mul_f64 v[16:17], v[16:17], s[10:11]
	s_branch .LBB110_133
.LBB110_132:
	v_mov_b32_e32 v16, 0
	v_mov_b32_e32 v17, 0
.LBB110_133:
	s_delay_alu instid0(VALU_DEP_1) | instskip(SKIP_2) | instid1(VALU_DEP_1)
	v_cvt_f32_f64_e32 v16, v[16:17]
	v_max_f32_e32 v17, v104, v104
	v_lshlrev_b64 v[25:26], 3, v[10:11]
	v_add_co_u32 v25, vcc_lo, v22, v25
	s_delay_alu instid0(VALU_DEP_2) | instskip(NEXT) | instid1(VALU_DEP_4)
	v_add_co_ci_u32_e32 v26, vcc_lo, v21, v26, vcc_lo
	v_min_f32_e32 v16, v16, v17
	s_delay_alu instid0(VALU_DEP_1) | instskip(SKIP_3) | instid1(SALU_CYCLE_1)
	v_cvt_f64_f32_e32 v[16:17], v16
	global_store_b64 v[25:26], v[16:17], off
	s_or_b32 exec_lo, exec_lo, s9
	s_and_b32 s16, s6, s8
	s_and_saveexec_b32 s9, s16
	s_cbranch_execz .LBB110_109
.LBB110_134:
	v_cmp_ne_u32_e32 vcc_lo, 1, v18
	s_cbranch_vccnz .LBB110_136
; %bb.135:
	v_lshlrev_b64 v[16:17], 3, v[12:13]
	s_delay_alu instid0(VALU_DEP_1) | instskip(NEXT) | instid1(VALU_DEP_2)
	v_add_co_u32 v16, vcc_lo, v24, v16
	v_add_co_ci_u32_e32 v17, vcc_lo, v23, v17, vcc_lo
	flat_load_b64 v[16:17], v[16:17]
	s_waitcnt vmcnt(0) lgkmcnt(0)
	v_mul_f64 v[16:17], v[16:17], s[10:11]
	s_branch .LBB110_137
.LBB110_136:
	v_mov_b32_e32 v16, 0
	v_mov_b32_e32 v17, 0
.LBB110_137:
	s_delay_alu instid0(VALU_DEP_1) | instskip(SKIP_2) | instid1(VALU_DEP_1)
	v_cvt_f32_f64_e32 v16, v[16:17]
	v_max_f32_e32 v17, v115, v115
	v_lshlrev_b64 v[25:26], 3, v[12:13]
	v_add_co_u32 v25, vcc_lo, v22, v25
	s_delay_alu instid0(VALU_DEP_2) | instskip(NEXT) | instid1(VALU_DEP_4)
	v_add_co_ci_u32_e32 v26, vcc_lo, v21, v26, vcc_lo
	v_min_f32_e32 v16, v16, v17
	s_delay_alu instid0(VALU_DEP_1) | instskip(SKIP_3) | instid1(SALU_CYCLE_1)
	v_cvt_f64_f32_e32 v[16:17], v16
	global_store_b64 v[25:26], v[16:17], off
	s_or_b32 exec_lo, exec_lo, s9
	s_and_b32 s9, s7, s8
	s_and_saveexec_b32 s8, s9
	s_cbranch_execz .LBB110_142
.LBB110_138:
	v_cmp_ne_u32_e32 vcc_lo, 1, v18
	s_cbranch_vccnz .LBB110_140
; %bb.139:
	v_lshlrev_b64 v[16:17], 3, v[14:15]
	s_delay_alu instid0(VALU_DEP_1) | instskip(NEXT) | instid1(VALU_DEP_2)
	v_add_co_u32 v16, vcc_lo, v24, v16
	v_add_co_ci_u32_e32 v17, vcc_lo, v23, v17, vcc_lo
	flat_load_b64 v[16:17], v[16:17]
	s_waitcnt vmcnt(0) lgkmcnt(0)
	v_mul_f64 v[16:17], v[16:17], s[10:11]
	s_branch .LBB110_141
.LBB110_140:
	v_mov_b32_e32 v16, 0
	v_mov_b32_e32 v17, 0
.LBB110_141:
	s_delay_alu instid0(VALU_DEP_1) | instskip(SKIP_2) | instid1(VALU_DEP_1)
	v_cvt_f32_f64_e32 v16, v[16:17]
	v_max_f32_e32 v17, v114, v114
	v_lshlrev_b64 v[23:24], 3, v[14:15]
	v_add_co_u32 v20, vcc_lo, v22, v23
	s_delay_alu instid0(VALU_DEP_2) | instskip(NEXT) | instid1(VALU_DEP_4)
	v_add_co_ci_u32_e32 v21, vcc_lo, v21, v24, vcc_lo
	v_min_f32_e32 v16, v16, v17
	s_delay_alu instid0(VALU_DEP_1)
	v_cvt_f64_f32_e32 v[16:17], v16
	global_store_b64 v[20:21], v[16:17], off
.LBB110_142:
	s_or_b32 exec_lo, exec_lo, s8
	v_add_nc_u32_e32 v22, 16, v19
	s_delay_alu instid0(VALU_DEP_1) | instskip(SKIP_2) | instid1(VALU_DEP_3)
	v_mad_i64_i32 v[16:17], null, v22, s20, 0
	v_mad_i64_i32 v[20:21], null, v22, s18, 0
	v_cmp_gt_i32_e64 s8, s17, v22
	v_lshlrev_b64 v[16:17], 3, v[16:17]
	s_delay_alu instid0(VALU_DEP_2) | instskip(NEXT) | instid1(VALU_DEP_3)
	s_and_b32 s16, s0, s8
	v_lshlrev_b64 v[20:21], 3, v[20:21]
	s_delay_alu instid0(VALU_DEP_2) | instskip(NEXT) | instid1(VALU_DEP_3)
	v_add_co_u32 v24, vcc_lo, s12, v16
	v_add_co_ci_u32_e32 v23, vcc_lo, s13, v17, vcc_lo
	s_delay_alu instid0(VALU_DEP_3) | instskip(NEXT) | instid1(VALU_DEP_4)
	v_add_co_u32 v22, vcc_lo, s14, v20
	v_add_co_ci_u32_e32 v21, vcc_lo, s15, v21, vcc_lo
	s_and_saveexec_b32 s9, s16
	s_cbranch_execnz .LBB110_150
; %bb.143:
	s_or_b32 exec_lo, exec_lo, s9
	s_and_b32 s16, s1, s8
	s_delay_alu instid0(SALU_CYCLE_1)
	s_and_saveexec_b32 s9, s16
	s_cbranch_execnz .LBB110_154
.LBB110_144:
	s_or_b32 exec_lo, exec_lo, s9
	s_and_b32 s16, s2, s8
	s_delay_alu instid0(SALU_CYCLE_1)
	s_and_saveexec_b32 s9, s16
	s_cbranch_execnz .LBB110_158
.LBB110_145:
	s_or_b32 exec_lo, exec_lo, s9
	s_and_b32 s16, s3, s8
	s_delay_alu instid0(SALU_CYCLE_1)
	s_and_saveexec_b32 s9, s16
	s_cbranch_execnz .LBB110_162
.LBB110_146:
	s_or_b32 exec_lo, exec_lo, s9
	s_and_b32 s16, s4, s8
	s_delay_alu instid0(SALU_CYCLE_1)
	s_and_saveexec_b32 s9, s16
	s_cbranch_execnz .LBB110_166
.LBB110_147:
	s_or_b32 exec_lo, exec_lo, s9
	s_and_b32 s16, s5, s8
	s_delay_alu instid0(SALU_CYCLE_1)
	s_and_saveexec_b32 s9, s16
	s_cbranch_execnz .LBB110_170
.LBB110_148:
	s_or_b32 exec_lo, exec_lo, s9
	s_and_b32 s16, s6, s8
	s_delay_alu instid0(SALU_CYCLE_1)
	s_and_saveexec_b32 s9, s16
	s_cbranch_execnz .LBB110_174
.LBB110_149:
	s_or_b32 exec_lo, exec_lo, s9
	s_and_b32 s9, s7, s8
	s_delay_alu instid0(SALU_CYCLE_1)
	s_and_saveexec_b32 s8, s9
	s_cbranch_execnz .LBB110_178
	s_branch .LBB110_182
.LBB110_150:
	v_cmp_ne_u32_e32 vcc_lo, 1, v18
	s_cbranch_vccnz .LBB110_152
; %bb.151:
	v_lshlrev_b64 v[16:17], 3, v[0:1]
	s_delay_alu instid0(VALU_DEP_1) | instskip(NEXT) | instid1(VALU_DEP_2)
	v_add_co_u32 v16, vcc_lo, v24, v16
	v_add_co_ci_u32_e32 v17, vcc_lo, v23, v17, vcc_lo
	flat_load_b64 v[16:17], v[16:17]
	s_waitcnt vmcnt(0) lgkmcnt(0)
	v_mul_f64 v[16:17], v[16:17], s[10:11]
	s_branch .LBB110_153
.LBB110_152:
	v_mov_b32_e32 v16, 0
	v_mov_b32_e32 v17, 0
.LBB110_153:
	s_delay_alu instid0(VALU_DEP_1) | instskip(SKIP_2) | instid1(VALU_DEP_1)
	v_cvt_f32_f64_e32 v16, v[16:17]
	v_max_f32_e32 v17, v109, v109
	v_lshlrev_b64 v[25:26], 3, v[0:1]
	v_add_co_u32 v25, vcc_lo, v22, v25
	s_delay_alu instid0(VALU_DEP_2) | instskip(NEXT) | instid1(VALU_DEP_4)
	v_add_co_ci_u32_e32 v26, vcc_lo, v21, v26, vcc_lo
	v_min_f32_e32 v16, v16, v17
	s_delay_alu instid0(VALU_DEP_1) | instskip(SKIP_3) | instid1(SALU_CYCLE_1)
	v_cvt_f64_f32_e32 v[16:17], v16
	global_store_b64 v[25:26], v[16:17], off
	s_or_b32 exec_lo, exec_lo, s9
	s_and_b32 s16, s1, s8
	s_and_saveexec_b32 s9, s16
	s_cbranch_execz .LBB110_144
.LBB110_154:
	v_cmp_ne_u32_e32 vcc_lo, 1, v18
	s_cbranch_vccnz .LBB110_156
; %bb.155:
	v_lshlrev_b64 v[16:17], 3, v[2:3]
	s_delay_alu instid0(VALU_DEP_1) | instskip(NEXT) | instid1(VALU_DEP_2)
	v_add_co_u32 v16, vcc_lo, v24, v16
	v_add_co_ci_u32_e32 v17, vcc_lo, v23, v17, vcc_lo
	flat_load_b64 v[16:17], v[16:17]
	s_waitcnt vmcnt(0) lgkmcnt(0)
	v_mul_f64 v[16:17], v[16:17], s[10:11]
	s_branch .LBB110_157
.LBB110_156:
	v_mov_b32_e32 v16, 0
	v_mov_b32_e32 v17, 0
.LBB110_157:
	s_delay_alu instid0(VALU_DEP_1) | instskip(SKIP_2) | instid1(VALU_DEP_1)
	v_cvt_f32_f64_e32 v16, v[16:17]
	v_max_f32_e32 v17, v108, v108
	v_lshlrev_b64 v[25:26], 3, v[2:3]
	v_add_co_u32 v25, vcc_lo, v22, v25
	s_delay_alu instid0(VALU_DEP_2) | instskip(NEXT) | instid1(VALU_DEP_4)
	v_add_co_ci_u32_e32 v26, vcc_lo, v21, v26, vcc_lo
	v_min_f32_e32 v16, v16, v17
	s_delay_alu instid0(VALU_DEP_1) | instskip(SKIP_3) | instid1(SALU_CYCLE_1)
	v_cvt_f64_f32_e32 v[16:17], v16
	global_store_b64 v[25:26], v[16:17], off
	s_or_b32 exec_lo, exec_lo, s9
	s_and_b32 s16, s2, s8
	s_and_saveexec_b32 s9, s16
	s_cbranch_execz .LBB110_145
.LBB110_158:
	v_cmp_ne_u32_e32 vcc_lo, 1, v18
	s_cbranch_vccnz .LBB110_160
; %bb.159:
	v_lshlrev_b64 v[16:17], 3, v[4:5]
	s_delay_alu instid0(VALU_DEP_1) | instskip(NEXT) | instid1(VALU_DEP_2)
	v_add_co_u32 v16, vcc_lo, v24, v16
	v_add_co_ci_u32_e32 v17, vcc_lo, v23, v17, vcc_lo
	flat_load_b64 v[16:17], v[16:17]
	s_waitcnt vmcnt(0) lgkmcnt(0)
	v_mul_f64 v[16:17], v[16:17], s[10:11]
	s_branch .LBB110_161
.LBB110_160:
	v_mov_b32_e32 v16, 0
	v_mov_b32_e32 v17, 0
.LBB110_161:
	s_delay_alu instid0(VALU_DEP_1) | instskip(SKIP_2) | instid1(VALU_DEP_1)
	v_cvt_f32_f64_e32 v16, v[16:17]
	v_max_f32_e32 v17, v211, v211
	v_lshlrev_b64 v[25:26], 3, v[4:5]
	v_add_co_u32 v25, vcc_lo, v22, v25
	s_delay_alu instid0(VALU_DEP_2) | instskip(NEXT) | instid1(VALU_DEP_4)
	v_add_co_ci_u32_e32 v26, vcc_lo, v21, v26, vcc_lo
	v_min_f32_e32 v16, v16, v17
	s_delay_alu instid0(VALU_DEP_1) | instskip(SKIP_3) | instid1(SALU_CYCLE_1)
	v_cvt_f64_f32_e32 v[16:17], v16
	global_store_b64 v[25:26], v[16:17], off
	s_or_b32 exec_lo, exec_lo, s9
	s_and_b32 s16, s3, s8
	s_and_saveexec_b32 s9, s16
	s_cbranch_execz .LBB110_146
.LBB110_162:
	v_cmp_ne_u32_e32 vcc_lo, 1, v18
	s_cbranch_vccnz .LBB110_164
; %bb.163:
	v_lshlrev_b64 v[16:17], 3, v[6:7]
	s_delay_alu instid0(VALU_DEP_1) | instskip(NEXT) | instid1(VALU_DEP_2)
	v_add_co_u32 v16, vcc_lo, v24, v16
	v_add_co_ci_u32_e32 v17, vcc_lo, v23, v17, vcc_lo
	flat_load_b64 v[16:17], v[16:17]
	s_waitcnt vmcnt(0) lgkmcnt(0)
	v_mul_f64 v[16:17], v[16:17], s[10:11]
	s_branch .LBB110_165
.LBB110_164:
	v_mov_b32_e32 v16, 0
	v_mov_b32_e32 v17, 0
.LBB110_165:
	s_delay_alu instid0(VALU_DEP_1) | instskip(SKIP_2) | instid1(VALU_DEP_1)
	v_cvt_f32_f64_e32 v16, v[16:17]
	v_max_f32_e32 v17, v113, v113
	v_lshlrev_b64 v[25:26], 3, v[6:7]
	v_add_co_u32 v25, vcc_lo, v22, v25
	s_delay_alu instid0(VALU_DEP_2) | instskip(NEXT) | instid1(VALU_DEP_4)
	v_add_co_ci_u32_e32 v26, vcc_lo, v21, v26, vcc_lo
	v_min_f32_e32 v16, v16, v17
	s_delay_alu instid0(VALU_DEP_1) | instskip(SKIP_3) | instid1(SALU_CYCLE_1)
	v_cvt_f64_f32_e32 v[16:17], v16
	global_store_b64 v[25:26], v[16:17], off
	s_or_b32 exec_lo, exec_lo, s9
	s_and_b32 s16, s4, s8
	s_and_saveexec_b32 s9, s16
	s_cbranch_execz .LBB110_147
.LBB110_166:
	v_cmp_ne_u32_e32 vcc_lo, 1, v18
	s_cbranch_vccnz .LBB110_168
; %bb.167:
	v_lshlrev_b64 v[16:17], 3, v[8:9]
	s_delay_alu instid0(VALU_DEP_1) | instskip(NEXT) | instid1(VALU_DEP_2)
	v_add_co_u32 v16, vcc_lo, v24, v16
	v_add_co_ci_u32_e32 v17, vcc_lo, v23, v17, vcc_lo
	flat_load_b64 v[16:17], v[16:17]
	s_waitcnt vmcnt(0) lgkmcnt(0)
	v_mul_f64 v[16:17], v[16:17], s[10:11]
	s_branch .LBB110_169
.LBB110_168:
	v_mov_b32_e32 v16, 0
	v_mov_b32_e32 v17, 0
.LBB110_169:
	s_delay_alu instid0(VALU_DEP_1) | instskip(SKIP_2) | instid1(VALU_DEP_1)
	v_cvt_f32_f64_e32 v16, v[16:17]
	v_max_f32_e32 v17, v112, v112
	v_lshlrev_b64 v[25:26], 3, v[8:9]
	v_add_co_u32 v25, vcc_lo, v22, v25
	s_delay_alu instid0(VALU_DEP_2) | instskip(NEXT) | instid1(VALU_DEP_4)
	v_add_co_ci_u32_e32 v26, vcc_lo, v21, v26, vcc_lo
	v_min_f32_e32 v16, v16, v17
	s_delay_alu instid0(VALU_DEP_1) | instskip(SKIP_3) | instid1(SALU_CYCLE_1)
	v_cvt_f64_f32_e32 v[16:17], v16
	global_store_b64 v[25:26], v[16:17], off
	s_or_b32 exec_lo, exec_lo, s9
	s_and_b32 s16, s5, s8
	s_and_saveexec_b32 s9, s16
	s_cbranch_execz .LBB110_148
.LBB110_170:
	v_cmp_ne_u32_e32 vcc_lo, 1, v18
	s_cbranch_vccnz .LBB110_172
; %bb.171:
	v_lshlrev_b64 v[16:17], 3, v[10:11]
	s_delay_alu instid0(VALU_DEP_1) | instskip(NEXT) | instid1(VALU_DEP_2)
	v_add_co_u32 v16, vcc_lo, v24, v16
	v_add_co_ci_u32_e32 v17, vcc_lo, v23, v17, vcc_lo
	flat_load_b64 v[16:17], v[16:17]
	s_waitcnt vmcnt(0) lgkmcnt(0)
	v_mul_f64 v[16:17], v[16:17], s[10:11]
	s_branch .LBB110_173
.LBB110_172:
	v_mov_b32_e32 v16, 0
	v_mov_b32_e32 v17, 0
.LBB110_173:
	s_delay_alu instid0(VALU_DEP_1) | instskip(SKIP_2) | instid1(VALU_DEP_1)
	v_cvt_f32_f64_e32 v16, v[16:17]
	v_max_f32_e32 v17, v61, v61
	v_lshlrev_b64 v[25:26], 3, v[10:11]
	v_add_co_u32 v25, vcc_lo, v22, v25
	s_delay_alu instid0(VALU_DEP_2) | instskip(NEXT) | instid1(VALU_DEP_4)
	v_add_co_ci_u32_e32 v26, vcc_lo, v21, v26, vcc_lo
	v_min_f32_e32 v16, v16, v17
	s_delay_alu instid0(VALU_DEP_1) | instskip(SKIP_3) | instid1(SALU_CYCLE_1)
	v_cvt_f64_f32_e32 v[16:17], v16
	global_store_b64 v[25:26], v[16:17], off
	s_or_b32 exec_lo, exec_lo, s9
	s_and_b32 s16, s6, s8
	s_and_saveexec_b32 s9, s16
	s_cbranch_execz .LBB110_149
.LBB110_174:
	v_cmp_ne_u32_e32 vcc_lo, 1, v18
	s_cbranch_vccnz .LBB110_176
; %bb.175:
	v_lshlrev_b64 v[16:17], 3, v[12:13]
	s_delay_alu instid0(VALU_DEP_1) | instskip(NEXT) | instid1(VALU_DEP_2)
	v_add_co_u32 v16, vcc_lo, v24, v16
	v_add_co_ci_u32_e32 v17, vcc_lo, v23, v17, vcc_lo
	flat_load_b64 v[16:17], v[16:17]
	s_waitcnt vmcnt(0) lgkmcnt(0)
	v_mul_f64 v[16:17], v[16:17], s[10:11]
	s_branch .LBB110_177
.LBB110_176:
	v_mov_b32_e32 v16, 0
	v_mov_b32_e32 v17, 0
.LBB110_177:
	s_delay_alu instid0(VALU_DEP_1) | instskip(SKIP_2) | instid1(VALU_DEP_1)
	v_cvt_f32_f64_e32 v16, v[16:17]
	v_max_f32_e32 v17, v84, v84
	v_lshlrev_b64 v[25:26], 3, v[12:13]
	v_add_co_u32 v25, vcc_lo, v22, v25
	s_delay_alu instid0(VALU_DEP_2) | instskip(NEXT) | instid1(VALU_DEP_4)
	v_add_co_ci_u32_e32 v26, vcc_lo, v21, v26, vcc_lo
	v_min_f32_e32 v16, v16, v17
	s_delay_alu instid0(VALU_DEP_1) | instskip(SKIP_3) | instid1(SALU_CYCLE_1)
	v_cvt_f64_f32_e32 v[16:17], v16
	global_store_b64 v[25:26], v[16:17], off
	s_or_b32 exec_lo, exec_lo, s9
	s_and_b32 s9, s7, s8
	s_and_saveexec_b32 s8, s9
	s_cbranch_execz .LBB110_182
.LBB110_178:
	v_cmp_ne_u32_e32 vcc_lo, 1, v18
	s_cbranch_vccnz .LBB110_180
; %bb.179:
	v_lshlrev_b64 v[16:17], 3, v[14:15]
	s_delay_alu instid0(VALU_DEP_1) | instskip(NEXT) | instid1(VALU_DEP_2)
	v_add_co_u32 v16, vcc_lo, v24, v16
	v_add_co_ci_u32_e32 v17, vcc_lo, v23, v17, vcc_lo
	flat_load_b64 v[16:17], v[16:17]
	s_waitcnt vmcnt(0) lgkmcnt(0)
	v_mul_f64 v[16:17], v[16:17], s[10:11]
	s_branch .LBB110_181
.LBB110_180:
	v_mov_b32_e32 v16, 0
	v_mov_b32_e32 v17, 0
.LBB110_181:
	s_delay_alu instid0(VALU_DEP_1) | instskip(SKIP_2) | instid1(VALU_DEP_1)
	v_cvt_f32_f64_e32 v16, v[16:17]
	v_max_f32_e32 v17, v43, v43
	v_lshlrev_b64 v[23:24], 3, v[14:15]
	v_add_co_u32 v20, vcc_lo, v22, v23
	s_delay_alu instid0(VALU_DEP_2) | instskip(NEXT) | instid1(VALU_DEP_4)
	v_add_co_ci_u32_e32 v21, vcc_lo, v21, v24, vcc_lo
	v_min_f32_e32 v16, v16, v17
	s_delay_alu instid0(VALU_DEP_1)
	v_cvt_f64_f32_e32 v[16:17], v16
	global_store_b64 v[20:21], v[16:17], off
.LBB110_182:
	s_or_b32 exec_lo, exec_lo, s8
	v_add_nc_u32_e32 v22, 24, v19
	s_delay_alu instid0(VALU_DEP_1) | instskip(SKIP_2) | instid1(VALU_DEP_3)
	v_mad_i64_i32 v[16:17], null, v22, s20, 0
	v_mad_i64_i32 v[20:21], null, v22, s18, 0
	v_cmp_gt_i32_e64 s8, s17, v22
	v_lshlrev_b64 v[16:17], 3, v[16:17]
	s_delay_alu instid0(VALU_DEP_2) | instskip(NEXT) | instid1(VALU_DEP_3)
	s_and_b32 s16, s0, s8
	v_lshlrev_b64 v[20:21], 3, v[20:21]
	s_delay_alu instid0(VALU_DEP_2) | instskip(NEXT) | instid1(VALU_DEP_3)
	v_add_co_u32 v24, vcc_lo, s12, v16
	v_add_co_ci_u32_e32 v23, vcc_lo, s13, v17, vcc_lo
	s_delay_alu instid0(VALU_DEP_3) | instskip(NEXT) | instid1(VALU_DEP_4)
	v_add_co_u32 v22, vcc_lo, s14, v20
	v_add_co_ci_u32_e32 v21, vcc_lo, s15, v21, vcc_lo
	s_and_saveexec_b32 s9, s16
	s_cbranch_execnz .LBB110_190
; %bb.183:
	s_or_b32 exec_lo, exec_lo, s9
	s_and_b32 s16, s1, s8
	s_delay_alu instid0(SALU_CYCLE_1)
	s_and_saveexec_b32 s9, s16
	s_cbranch_execnz .LBB110_194
.LBB110_184:
	s_or_b32 exec_lo, exec_lo, s9
	s_and_b32 s16, s2, s8
	s_delay_alu instid0(SALU_CYCLE_1)
	s_and_saveexec_b32 s9, s16
	s_cbranch_execnz .LBB110_198
.LBB110_185:
	s_or_b32 exec_lo, exec_lo, s9
	s_and_b32 s16, s3, s8
	s_delay_alu instid0(SALU_CYCLE_1)
	s_and_saveexec_b32 s9, s16
	s_cbranch_execnz .LBB110_202
.LBB110_186:
	s_or_b32 exec_lo, exec_lo, s9
	s_and_b32 s16, s4, s8
	s_delay_alu instid0(SALU_CYCLE_1)
	s_and_saveexec_b32 s9, s16
	s_cbranch_execnz .LBB110_206
.LBB110_187:
	s_or_b32 exec_lo, exec_lo, s9
	s_and_b32 s16, s5, s8
	s_delay_alu instid0(SALU_CYCLE_1)
	s_and_saveexec_b32 s9, s16
	s_cbranch_execnz .LBB110_210
.LBB110_188:
	s_or_b32 exec_lo, exec_lo, s9
	s_and_b32 s16, s6, s8
	s_delay_alu instid0(SALU_CYCLE_1)
	s_and_saveexec_b32 s9, s16
	s_cbranch_execnz .LBB110_214
.LBB110_189:
	s_or_b32 exec_lo, exec_lo, s9
	s_and_b32 s9, s7, s8
	s_delay_alu instid0(SALU_CYCLE_1)
	s_and_saveexec_b32 s8, s9
	s_cbranch_execnz .LBB110_218
	s_branch .LBB110_222
.LBB110_190:
	v_cmp_ne_u32_e32 vcc_lo, 1, v18
	s_cbranch_vccnz .LBB110_192
; %bb.191:
	v_lshlrev_b64 v[16:17], 3, v[0:1]
	s_delay_alu instid0(VALU_DEP_1) | instskip(NEXT) | instid1(VALU_DEP_2)
	v_add_co_u32 v16, vcc_lo, v24, v16
	v_add_co_ci_u32_e32 v17, vcc_lo, v23, v17, vcc_lo
	flat_load_b64 v[16:17], v[16:17]
	s_waitcnt vmcnt(0) lgkmcnt(0)
	v_mul_f64 v[16:17], v[16:17], s[10:11]
	s_branch .LBB110_193
.LBB110_192:
	v_mov_b32_e32 v16, 0
	v_mov_b32_e32 v17, 0
.LBB110_193:
	s_delay_alu instid0(VALU_DEP_1) | instskip(SKIP_2) | instid1(VALU_DEP_1)
	v_cvt_f32_f64_e32 v16, v[16:17]
	v_max_f32_e32 v17, v36, v36
	v_lshlrev_b64 v[25:26], 3, v[0:1]
	v_add_co_u32 v25, vcc_lo, v22, v25
	s_delay_alu instid0(VALU_DEP_2) | instskip(NEXT) | instid1(VALU_DEP_4)
	v_add_co_ci_u32_e32 v26, vcc_lo, v21, v26, vcc_lo
	v_min_f32_e32 v16, v16, v17
	s_delay_alu instid0(VALU_DEP_1) | instskip(SKIP_3) | instid1(SALU_CYCLE_1)
	v_cvt_f64_f32_e32 v[16:17], v16
	global_store_b64 v[25:26], v[16:17], off
	s_or_b32 exec_lo, exec_lo, s9
	s_and_b32 s16, s1, s8
	s_and_saveexec_b32 s9, s16
	s_cbranch_execz .LBB110_184
.LBB110_194:
	v_cmp_ne_u32_e32 vcc_lo, 1, v18
	s_cbranch_vccnz .LBB110_196
; %bb.195:
	v_lshlrev_b64 v[16:17], 3, v[2:3]
	s_delay_alu instid0(VALU_DEP_1) | instskip(NEXT) | instid1(VALU_DEP_2)
	v_add_co_u32 v16, vcc_lo, v24, v16
	v_add_co_ci_u32_e32 v17, vcc_lo, v23, v17, vcc_lo
	flat_load_b64 v[16:17], v[16:17]
	s_waitcnt vmcnt(0) lgkmcnt(0)
	v_mul_f64 v[16:17], v[16:17], s[10:11]
	s_branch .LBB110_197
.LBB110_196:
	v_mov_b32_e32 v16, 0
	v_mov_b32_e32 v17, 0
.LBB110_197:
	s_delay_alu instid0(VALU_DEP_1) | instskip(SKIP_2) | instid1(VALU_DEP_1)
	v_cvt_f32_f64_e32 v16, v[16:17]
	v_max_f32_e32 v17, v35, v35
	v_lshlrev_b64 v[25:26], 3, v[2:3]
	v_add_co_u32 v25, vcc_lo, v22, v25
	s_delay_alu instid0(VALU_DEP_2) | instskip(NEXT) | instid1(VALU_DEP_4)
	v_add_co_ci_u32_e32 v26, vcc_lo, v21, v26, vcc_lo
	v_min_f32_e32 v16, v16, v17
	s_delay_alu instid0(VALU_DEP_1) | instskip(SKIP_3) | instid1(SALU_CYCLE_1)
	v_cvt_f64_f32_e32 v[16:17], v16
	global_store_b64 v[25:26], v[16:17], off
	s_or_b32 exec_lo, exec_lo, s9
	s_and_b32 s16, s2, s8
	s_and_saveexec_b32 s9, s16
	s_cbranch_execz .LBB110_185
.LBB110_198:
	v_cmp_ne_u32_e32 vcc_lo, 1, v18
	s_cbranch_vccnz .LBB110_200
; %bb.199:
	v_lshlrev_b64 v[16:17], 3, v[4:5]
	s_delay_alu instid0(VALU_DEP_1) | instskip(NEXT) | instid1(VALU_DEP_2)
	v_add_co_u32 v16, vcc_lo, v24, v16
	v_add_co_ci_u32_e32 v17, vcc_lo, v23, v17, vcc_lo
	flat_load_b64 v[16:17], v[16:17]
	s_waitcnt vmcnt(0) lgkmcnt(0)
	v_mul_f64 v[16:17], v[16:17], s[10:11]
	s_branch .LBB110_201
.LBB110_200:
	v_mov_b32_e32 v16, 0
	v_mov_b32_e32 v17, 0
.LBB110_201:
	s_delay_alu instid0(VALU_DEP_1) | instskip(SKIP_2) | instid1(VALU_DEP_1)
	v_cvt_f32_f64_e32 v16, v[16:17]
	v_max_f32_e32 v17, v78, v78
	v_lshlrev_b64 v[25:26], 3, v[4:5]
	v_add_co_u32 v25, vcc_lo, v22, v25
	s_delay_alu instid0(VALU_DEP_2) | instskip(NEXT) | instid1(VALU_DEP_4)
	v_add_co_ci_u32_e32 v26, vcc_lo, v21, v26, vcc_lo
	v_min_f32_e32 v16, v16, v17
	s_delay_alu instid0(VALU_DEP_1) | instskip(SKIP_3) | instid1(SALU_CYCLE_1)
	v_cvt_f64_f32_e32 v[16:17], v16
	global_store_b64 v[25:26], v[16:17], off
	s_or_b32 exec_lo, exec_lo, s9
	s_and_b32 s16, s3, s8
	s_and_saveexec_b32 s9, s16
	s_cbranch_execz .LBB110_186
.LBB110_202:
	v_cmp_ne_u32_e32 vcc_lo, 1, v18
	s_cbranch_vccnz .LBB110_204
; %bb.203:
	v_lshlrev_b64 v[16:17], 3, v[6:7]
	s_delay_alu instid0(VALU_DEP_1) | instskip(NEXT) | instid1(VALU_DEP_2)
	v_add_co_u32 v16, vcc_lo, v24, v16
	v_add_co_ci_u32_e32 v17, vcc_lo, v23, v17, vcc_lo
	flat_load_b64 v[16:17], v[16:17]
	s_waitcnt vmcnt(0) lgkmcnt(0)
	v_mul_f64 v[16:17], v[16:17], s[10:11]
	s_branch .LBB110_205
.LBB110_204:
	v_mov_b32_e32 v16, 0
	v_mov_b32_e32 v17, 0
.LBB110_205:
	s_delay_alu instid0(VALU_DEP_1) | instskip(SKIP_2) | instid1(VALU_DEP_1)
	v_cvt_f32_f64_e32 v16, v[16:17]
	v_max_f32_e32 v17, v56, v56
	v_lshlrev_b64 v[25:26], 3, v[6:7]
	v_add_co_u32 v25, vcc_lo, v22, v25
	s_delay_alu instid0(VALU_DEP_2) | instskip(NEXT) | instid1(VALU_DEP_4)
	v_add_co_ci_u32_e32 v26, vcc_lo, v21, v26, vcc_lo
	v_min_f32_e32 v16, v16, v17
	s_delay_alu instid0(VALU_DEP_1) | instskip(SKIP_3) | instid1(SALU_CYCLE_1)
	v_cvt_f64_f32_e32 v[16:17], v16
	global_store_b64 v[25:26], v[16:17], off
	s_or_b32 exec_lo, exec_lo, s9
	s_and_b32 s16, s4, s8
	s_and_saveexec_b32 s9, s16
	s_cbranch_execz .LBB110_187
.LBB110_206:
	v_cmp_ne_u32_e32 vcc_lo, 1, v18
	s_cbranch_vccnz .LBB110_208
; %bb.207:
	v_lshlrev_b64 v[16:17], 3, v[8:9]
	s_delay_alu instid0(VALU_DEP_1) | instskip(NEXT) | instid1(VALU_DEP_2)
	v_add_co_u32 v16, vcc_lo, v24, v16
	v_add_co_ci_u32_e32 v17, vcc_lo, v23, v17, vcc_lo
	flat_load_b64 v[16:17], v[16:17]
	s_waitcnt vmcnt(0) lgkmcnt(0)
	v_mul_f64 v[16:17], v[16:17], s[10:11]
	s_branch .LBB110_209
.LBB110_208:
	v_mov_b32_e32 v16, 0
	v_mov_b32_e32 v17, 0
.LBB110_209:
	s_delay_alu instid0(VALU_DEP_1) | instskip(SKIP_2) | instid1(VALU_DEP_1)
	v_cvt_f32_f64_e32 v16, v[16:17]
	v_max_f32_e32 v17, v32, v32
	v_lshlrev_b64 v[25:26], 3, v[8:9]
	v_add_co_u32 v25, vcc_lo, v22, v25
	s_delay_alu instid0(VALU_DEP_2) | instskip(NEXT) | instid1(VALU_DEP_4)
	v_add_co_ci_u32_e32 v26, vcc_lo, v21, v26, vcc_lo
	v_min_f32_e32 v16, v16, v17
	s_delay_alu instid0(VALU_DEP_1) | instskip(SKIP_3) | instid1(SALU_CYCLE_1)
	v_cvt_f64_f32_e32 v[16:17], v16
	global_store_b64 v[25:26], v[16:17], off
	s_or_b32 exec_lo, exec_lo, s9
	s_and_b32 s16, s5, s8
	s_and_saveexec_b32 s9, s16
	s_cbranch_execz .LBB110_188
.LBB110_210:
	v_cmp_ne_u32_e32 vcc_lo, 1, v18
	s_cbranch_vccnz .LBB110_212
; %bb.211:
	v_lshlrev_b64 v[16:17], 3, v[10:11]
	s_delay_alu instid0(VALU_DEP_1) | instskip(NEXT) | instid1(VALU_DEP_2)
	v_add_co_u32 v16, vcc_lo, v24, v16
	v_add_co_ci_u32_e32 v17, vcc_lo, v23, v17, vcc_lo
	flat_load_b64 v[16:17], v[16:17]
	s_waitcnt vmcnt(0) lgkmcnt(0)
	v_mul_f64 v[16:17], v[16:17], s[10:11]
	s_branch .LBB110_213
.LBB110_212:
	v_mov_b32_e32 v16, 0
	v_mov_b32_e32 v17, 0
.LBB110_213:
	s_delay_alu instid0(VALU_DEP_1) | instskip(SKIP_2) | instid1(VALU_DEP_1)
	v_cvt_f32_f64_e32 v16, v[16:17]
	v_max_f32_e32 v17, v31, v31
	v_lshlrev_b64 v[25:26], 3, v[10:11]
	v_add_co_u32 v25, vcc_lo, v22, v25
	s_delay_alu instid0(VALU_DEP_2) | instskip(NEXT) | instid1(VALU_DEP_4)
	v_add_co_ci_u32_e32 v26, vcc_lo, v21, v26, vcc_lo
	v_min_f32_e32 v16, v16, v17
	s_delay_alu instid0(VALU_DEP_1) | instskip(SKIP_3) | instid1(SALU_CYCLE_1)
	v_cvt_f64_f32_e32 v[16:17], v16
	global_store_b64 v[25:26], v[16:17], off
	s_or_b32 exec_lo, exec_lo, s9
	s_and_b32 s16, s6, s8
	s_and_saveexec_b32 s9, s16
	s_cbranch_execz .LBB110_189
.LBB110_214:
	v_cmp_ne_u32_e32 vcc_lo, 1, v18
	s_cbranch_vccnz .LBB110_216
; %bb.215:
	v_lshlrev_b64 v[16:17], 3, v[12:13]
	s_delay_alu instid0(VALU_DEP_1) | instskip(NEXT) | instid1(VALU_DEP_2)
	v_add_co_u32 v16, vcc_lo, v24, v16
	v_add_co_ci_u32_e32 v17, vcc_lo, v23, v17, vcc_lo
	flat_load_b64 v[16:17], v[16:17]
	s_waitcnt vmcnt(0) lgkmcnt(0)
	v_mul_f64 v[16:17], v[16:17], s[10:11]
	s_branch .LBB110_217
.LBB110_216:
	v_mov_b32_e32 v16, 0
	v_mov_b32_e32 v17, 0
.LBB110_217:
	s_delay_alu instid0(VALU_DEP_1) | instskip(SKIP_2) | instid1(VALU_DEP_1)
	v_cvt_f32_f64_e32 v16, v[16:17]
	v_max_f32_e32 v17, v30, v30
	v_lshlrev_b64 v[25:26], 3, v[12:13]
	v_add_co_u32 v25, vcc_lo, v22, v25
	s_delay_alu instid0(VALU_DEP_2) | instskip(NEXT) | instid1(VALU_DEP_4)
	v_add_co_ci_u32_e32 v26, vcc_lo, v21, v26, vcc_lo
	v_min_f32_e32 v16, v16, v17
	s_delay_alu instid0(VALU_DEP_1) | instskip(SKIP_3) | instid1(SALU_CYCLE_1)
	v_cvt_f64_f32_e32 v[16:17], v16
	global_store_b64 v[25:26], v[16:17], off
	s_or_b32 exec_lo, exec_lo, s9
	s_and_b32 s9, s7, s8
	s_and_saveexec_b32 s8, s9
	s_cbranch_execz .LBB110_222
.LBB110_218:
	v_cmp_ne_u32_e32 vcc_lo, 1, v18
	s_cbranch_vccnz .LBB110_220
; %bb.219:
	v_lshlrev_b64 v[16:17], 3, v[14:15]
	s_delay_alu instid0(VALU_DEP_1) | instskip(NEXT) | instid1(VALU_DEP_2)
	v_add_co_u32 v16, vcc_lo, v24, v16
	v_add_co_ci_u32_e32 v17, vcc_lo, v23, v17, vcc_lo
	flat_load_b64 v[16:17], v[16:17]
	s_waitcnt vmcnt(0) lgkmcnt(0)
	v_mul_f64 v[16:17], v[16:17], s[10:11]
	s_branch .LBB110_221
.LBB110_220:
	v_mov_b32_e32 v16, 0
	v_mov_b32_e32 v17, 0
.LBB110_221:
	s_delay_alu instid0(VALU_DEP_1) | instskip(SKIP_2) | instid1(VALU_DEP_1)
	v_cvt_f32_f64_e32 v16, v[16:17]
	v_max_f32_e32 v17, v76, v76
	v_lshlrev_b64 v[23:24], 3, v[14:15]
	v_add_co_u32 v20, vcc_lo, v22, v23
	s_delay_alu instid0(VALU_DEP_2) | instskip(NEXT) | instid1(VALU_DEP_4)
	v_add_co_ci_u32_e32 v21, vcc_lo, v21, v24, vcc_lo
	v_min_f32_e32 v16, v16, v17
	s_delay_alu instid0(VALU_DEP_1)
	v_cvt_f64_f32_e32 v[16:17], v16
	global_store_b64 v[20:21], v[16:17], off
.LBB110_222:
	s_or_b32 exec_lo, exec_lo, s8
	v_add_nc_u32_e32 v22, 32, v19
	s_delay_alu instid0(VALU_DEP_1) | instskip(SKIP_2) | instid1(VALU_DEP_3)
	v_mad_i64_i32 v[16:17], null, v22, s20, 0
	v_mad_i64_i32 v[20:21], null, v22, s18, 0
	v_cmp_gt_i32_e64 s8, s17, v22
	v_lshlrev_b64 v[16:17], 3, v[16:17]
	s_delay_alu instid0(VALU_DEP_2) | instskip(NEXT) | instid1(VALU_DEP_3)
	s_and_b32 s16, s0, s8
	v_lshlrev_b64 v[20:21], 3, v[20:21]
	s_delay_alu instid0(VALU_DEP_2) | instskip(NEXT) | instid1(VALU_DEP_3)
	v_add_co_u32 v24, vcc_lo, s12, v16
	v_add_co_ci_u32_e32 v23, vcc_lo, s13, v17, vcc_lo
	s_delay_alu instid0(VALU_DEP_3) | instskip(NEXT) | instid1(VALU_DEP_4)
	v_add_co_u32 v22, vcc_lo, s14, v20
	v_add_co_ci_u32_e32 v21, vcc_lo, s15, v21, vcc_lo
	s_and_saveexec_b32 s9, s16
	s_cbranch_execnz .LBB110_230
; %bb.223:
	s_or_b32 exec_lo, exec_lo, s9
	s_and_b32 s16, s1, s8
	s_delay_alu instid0(SALU_CYCLE_1)
	s_and_saveexec_b32 s9, s16
	s_cbranch_execnz .LBB110_234
.LBB110_224:
	s_or_b32 exec_lo, exec_lo, s9
	s_and_b32 s16, s2, s8
	s_delay_alu instid0(SALU_CYCLE_1)
	s_and_saveexec_b32 s9, s16
	s_cbranch_execnz .LBB110_238
.LBB110_225:
	s_or_b32 exec_lo, exec_lo, s9
	s_and_b32 s16, s3, s8
	s_delay_alu instid0(SALU_CYCLE_1)
	s_and_saveexec_b32 s9, s16
	s_cbranch_execnz .LBB110_242
.LBB110_226:
	s_or_b32 exec_lo, exec_lo, s9
	s_and_b32 s16, s4, s8
	s_delay_alu instid0(SALU_CYCLE_1)
	s_and_saveexec_b32 s9, s16
	s_cbranch_execnz .LBB110_246
.LBB110_227:
	s_or_b32 exec_lo, exec_lo, s9
	s_and_b32 s16, s5, s8
	s_delay_alu instid0(SALU_CYCLE_1)
	s_and_saveexec_b32 s9, s16
	s_cbranch_execnz .LBB110_250
.LBB110_228:
	s_or_b32 exec_lo, exec_lo, s9
	s_and_b32 s16, s6, s8
	s_delay_alu instid0(SALU_CYCLE_1)
	s_and_saveexec_b32 s9, s16
	s_cbranch_execnz .LBB110_254
.LBB110_229:
	s_or_b32 exec_lo, exec_lo, s9
	s_and_b32 s9, s7, s8
	s_delay_alu instid0(SALU_CYCLE_1)
	s_and_saveexec_b32 s8, s9
	s_cbranch_execnz .LBB110_258
	s_branch .LBB110_262
.LBB110_230:
	v_cmp_ne_u32_e32 vcc_lo, 1, v18
	s_cbranch_vccnz .LBB110_232
; %bb.231:
	v_lshlrev_b64 v[16:17], 3, v[0:1]
	s_delay_alu instid0(VALU_DEP_1) | instskip(NEXT) | instid1(VALU_DEP_2)
	v_add_co_u32 v16, vcc_lo, v24, v16
	v_add_co_ci_u32_e32 v17, vcc_lo, v23, v17, vcc_lo
	flat_load_b64 v[16:17], v[16:17]
	s_waitcnt vmcnt(0) lgkmcnt(0)
	v_mul_f64 v[16:17], v[16:17], s[10:11]
	s_branch .LBB110_233
.LBB110_232:
	v_mov_b32_e32 v16, 0
	v_mov_b32_e32 v17, 0
.LBB110_233:
	s_delay_alu instid0(VALU_DEP_1) | instskip(SKIP_2) | instid1(VALU_DEP_1)
	v_cvt_f32_f64_e32 v16, v[16:17]
	v_max_f32_e32 v17, v52, v52
	v_lshlrev_b64 v[25:26], 3, v[0:1]
	v_add_co_u32 v25, vcc_lo, v22, v25
	s_delay_alu instid0(VALU_DEP_2) | instskip(NEXT) | instid1(VALU_DEP_4)
	v_add_co_ci_u32_e32 v26, vcc_lo, v21, v26, vcc_lo
	v_min_f32_e32 v16, v16, v17
	s_delay_alu instid0(VALU_DEP_1) | instskip(SKIP_3) | instid1(SALU_CYCLE_1)
	v_cvt_f64_f32_e32 v[16:17], v16
	global_store_b64 v[25:26], v[16:17], off
	s_or_b32 exec_lo, exec_lo, s9
	s_and_b32 s16, s1, s8
	s_and_saveexec_b32 s9, s16
	s_cbranch_execz .LBB110_224
.LBB110_234:
	v_cmp_ne_u32_e32 vcc_lo, 1, v18
	s_cbranch_vccnz .LBB110_236
; %bb.235:
	v_lshlrev_b64 v[16:17], 3, v[2:3]
	s_delay_alu instid0(VALU_DEP_1) | instskip(NEXT) | instid1(VALU_DEP_2)
	v_add_co_u32 v16, vcc_lo, v24, v16
	v_add_co_ci_u32_e32 v17, vcc_lo, v23, v17, vcc_lo
	flat_load_b64 v[16:17], v[16:17]
	s_waitcnt vmcnt(0) lgkmcnt(0)
	v_mul_f64 v[16:17], v[16:17], s[10:11]
	s_branch .LBB110_237
.LBB110_236:
	v_mov_b32_e32 v16, 0
	v_mov_b32_e32 v17, 0
.LBB110_237:
	s_delay_alu instid0(VALU_DEP_1) | instskip(SKIP_2) | instid1(VALU_DEP_1)
	v_cvt_f32_f64_e32 v16, v[16:17]
	v_max_f32_e32 v17, v135, v135
	v_lshlrev_b64 v[25:26], 3, v[2:3]
	v_add_co_u32 v25, vcc_lo, v22, v25
	s_delay_alu instid0(VALU_DEP_2) | instskip(NEXT) | instid1(VALU_DEP_4)
	v_add_co_ci_u32_e32 v26, vcc_lo, v21, v26, vcc_lo
	v_min_f32_e32 v16, v16, v17
	s_delay_alu instid0(VALU_DEP_1) | instskip(SKIP_3) | instid1(SALU_CYCLE_1)
	v_cvt_f64_f32_e32 v[16:17], v16
	global_store_b64 v[25:26], v[16:17], off
	s_or_b32 exec_lo, exec_lo, s9
	s_and_b32 s16, s2, s8
	s_and_saveexec_b32 s9, s16
	s_cbranch_execz .LBB110_225
.LBB110_238:
	v_cmp_ne_u32_e32 vcc_lo, 1, v18
	s_cbranch_vccnz .LBB110_240
; %bb.239:
	v_lshlrev_b64 v[16:17], 3, v[4:5]
	s_delay_alu instid0(VALU_DEP_1) | instskip(NEXT) | instid1(VALU_DEP_2)
	v_add_co_u32 v16, vcc_lo, v24, v16
	v_add_co_ci_u32_e32 v17, vcc_lo, v23, v17, vcc_lo
	flat_load_b64 v[16:17], v[16:17]
	s_waitcnt vmcnt(0) lgkmcnt(0)
	v_mul_f64 v[16:17], v[16:17], s[10:11]
	s_branch .LBB110_241
.LBB110_240:
	v_mov_b32_e32 v16, 0
	v_mov_b32_e32 v17, 0
.LBB110_241:
	s_delay_alu instid0(VALU_DEP_1) | instskip(SKIP_2) | instid1(VALU_DEP_1)
	v_cvt_f32_f64_e32 v16, v[16:17]
	v_max_f32_e32 v17, v136, v136
	v_lshlrev_b64 v[25:26], 3, v[4:5]
	v_add_co_u32 v25, vcc_lo, v22, v25
	s_delay_alu instid0(VALU_DEP_2) | instskip(NEXT) | instid1(VALU_DEP_4)
	v_add_co_ci_u32_e32 v26, vcc_lo, v21, v26, vcc_lo
	v_min_f32_e32 v16, v16, v17
	s_delay_alu instid0(VALU_DEP_1) | instskip(SKIP_3) | instid1(SALU_CYCLE_1)
	v_cvt_f64_f32_e32 v[16:17], v16
	global_store_b64 v[25:26], v[16:17], off
	s_or_b32 exec_lo, exec_lo, s9
	s_and_b32 s16, s3, s8
	s_and_saveexec_b32 s9, s16
	s_cbranch_execz .LBB110_226
.LBB110_242:
	v_cmp_ne_u32_e32 vcc_lo, 1, v18
	s_cbranch_vccnz .LBB110_244
; %bb.243:
	v_lshlrev_b64 v[16:17], 3, v[6:7]
	s_delay_alu instid0(VALU_DEP_1) | instskip(NEXT) | instid1(VALU_DEP_2)
	v_add_co_u32 v16, vcc_lo, v24, v16
	v_add_co_ci_u32_e32 v17, vcc_lo, v23, v17, vcc_lo
	flat_load_b64 v[16:17], v[16:17]
	s_waitcnt vmcnt(0) lgkmcnt(0)
	v_mul_f64 v[16:17], v[16:17], s[10:11]
	s_branch .LBB110_245
.LBB110_244:
	v_mov_b32_e32 v16, 0
	v_mov_b32_e32 v17, 0
.LBB110_245:
	s_delay_alu instid0(VALU_DEP_1) | instskip(SKIP_2) | instid1(VALU_DEP_1)
	v_cvt_f32_f64_e32 v16, v[16:17]
	v_max_f32_e32 v17, v57, v57
	v_lshlrev_b64 v[25:26], 3, v[6:7]
	v_add_co_u32 v25, vcc_lo, v22, v25
	s_delay_alu instid0(VALU_DEP_2) | instskip(NEXT) | instid1(VALU_DEP_4)
	v_add_co_ci_u32_e32 v26, vcc_lo, v21, v26, vcc_lo
	v_min_f32_e32 v16, v16, v17
	s_delay_alu instid0(VALU_DEP_1) | instskip(SKIP_3) | instid1(SALU_CYCLE_1)
	v_cvt_f64_f32_e32 v[16:17], v16
	global_store_b64 v[25:26], v[16:17], off
	s_or_b32 exec_lo, exec_lo, s9
	s_and_b32 s16, s4, s8
	s_and_saveexec_b32 s9, s16
	s_cbranch_execz .LBB110_227
.LBB110_246:
	v_cmp_ne_u32_e32 vcc_lo, 1, v18
	s_cbranch_vccnz .LBB110_248
; %bb.247:
	v_lshlrev_b64 v[16:17], 3, v[8:9]
	s_delay_alu instid0(VALU_DEP_1) | instskip(NEXT) | instid1(VALU_DEP_2)
	v_add_co_u32 v16, vcc_lo, v24, v16
	v_add_co_ci_u32_e32 v17, vcc_lo, v23, v17, vcc_lo
	flat_load_b64 v[16:17], v[16:17]
	s_waitcnt vmcnt(0) lgkmcnt(0)
	v_mul_f64 v[16:17], v[16:17], s[10:11]
	s_branch .LBB110_249
.LBB110_248:
	v_mov_b32_e32 v16, 0
	v_mov_b32_e32 v17, 0
.LBB110_249:
	s_delay_alu instid0(VALU_DEP_1) | instskip(SKIP_2) | instid1(VALU_DEP_1)
	v_cvt_f32_f64_e32 v16, v[16:17]
	v_max_f32_e32 v17, v131, v131
	v_lshlrev_b64 v[25:26], 3, v[8:9]
	v_add_co_u32 v25, vcc_lo, v22, v25
	s_delay_alu instid0(VALU_DEP_2) | instskip(NEXT) | instid1(VALU_DEP_4)
	v_add_co_ci_u32_e32 v26, vcc_lo, v21, v26, vcc_lo
	v_min_f32_e32 v16, v16, v17
	s_delay_alu instid0(VALU_DEP_1) | instskip(SKIP_3) | instid1(SALU_CYCLE_1)
	v_cvt_f64_f32_e32 v[16:17], v16
	global_store_b64 v[25:26], v[16:17], off
	s_or_b32 exec_lo, exec_lo, s9
	s_and_b32 s16, s5, s8
	s_and_saveexec_b32 s9, s16
	s_cbranch_execz .LBB110_228
.LBB110_250:
	v_cmp_ne_u32_e32 vcc_lo, 1, v18
	s_cbranch_vccnz .LBB110_252
; %bb.251:
	v_lshlrev_b64 v[16:17], 3, v[10:11]
	s_delay_alu instid0(VALU_DEP_1) | instskip(NEXT) | instid1(VALU_DEP_2)
	v_add_co_u32 v16, vcc_lo, v24, v16
	v_add_co_ci_u32_e32 v17, vcc_lo, v23, v17, vcc_lo
	flat_load_b64 v[16:17], v[16:17]
	s_waitcnt vmcnt(0) lgkmcnt(0)
	v_mul_f64 v[16:17], v[16:17], s[10:11]
	s_branch .LBB110_253
.LBB110_252:
	v_mov_b32_e32 v16, 0
	v_mov_b32_e32 v17, 0
.LBB110_253:
	s_delay_alu instid0(VALU_DEP_1) | instskip(SKIP_2) | instid1(VALU_DEP_1)
	v_cvt_f32_f64_e32 v16, v[16:17]
	v_max_f32_e32 v17, v54, v54
	v_lshlrev_b64 v[25:26], 3, v[10:11]
	v_add_co_u32 v25, vcc_lo, v22, v25
	s_delay_alu instid0(VALU_DEP_2) | instskip(NEXT) | instid1(VALU_DEP_4)
	v_add_co_ci_u32_e32 v26, vcc_lo, v21, v26, vcc_lo
	v_min_f32_e32 v16, v16, v17
	s_delay_alu instid0(VALU_DEP_1) | instskip(SKIP_3) | instid1(SALU_CYCLE_1)
	v_cvt_f64_f32_e32 v[16:17], v16
	global_store_b64 v[25:26], v[16:17], off
	s_or_b32 exec_lo, exec_lo, s9
	s_and_b32 s16, s6, s8
	s_and_saveexec_b32 s9, s16
	s_cbranch_execz .LBB110_229
.LBB110_254:
	v_cmp_ne_u32_e32 vcc_lo, 1, v18
	s_cbranch_vccnz .LBB110_256
; %bb.255:
	v_lshlrev_b64 v[16:17], 3, v[12:13]
	s_delay_alu instid0(VALU_DEP_1) | instskip(NEXT) | instid1(VALU_DEP_2)
	v_add_co_u32 v16, vcc_lo, v24, v16
	v_add_co_ci_u32_e32 v17, vcc_lo, v23, v17, vcc_lo
	flat_load_b64 v[16:17], v[16:17]
	s_waitcnt vmcnt(0) lgkmcnt(0)
	v_mul_f64 v[16:17], v[16:17], s[10:11]
	s_branch .LBB110_257
.LBB110_256:
	v_mov_b32_e32 v16, 0
	v_mov_b32_e32 v17, 0
.LBB110_257:
	s_delay_alu instid0(VALU_DEP_1) | instskip(SKIP_2) | instid1(VALU_DEP_1)
	v_cvt_f32_f64_e32 v16, v[16:17]
	v_max_f32_e32 v17, v53, v53
	v_lshlrev_b64 v[25:26], 3, v[12:13]
	v_add_co_u32 v25, vcc_lo, v22, v25
	s_delay_alu instid0(VALU_DEP_2) | instskip(NEXT) | instid1(VALU_DEP_4)
	v_add_co_ci_u32_e32 v26, vcc_lo, v21, v26, vcc_lo
	v_min_f32_e32 v16, v16, v17
	s_delay_alu instid0(VALU_DEP_1) | instskip(SKIP_3) | instid1(SALU_CYCLE_1)
	v_cvt_f64_f32_e32 v[16:17], v16
	global_store_b64 v[25:26], v[16:17], off
	s_or_b32 exec_lo, exec_lo, s9
	s_and_b32 s9, s7, s8
	s_and_saveexec_b32 s8, s9
	s_cbranch_execz .LBB110_262
.LBB110_258:
	v_cmp_ne_u32_e32 vcc_lo, 1, v18
	s_cbranch_vccnz .LBB110_260
; %bb.259:
	v_lshlrev_b64 v[16:17], 3, v[14:15]
	s_delay_alu instid0(VALU_DEP_1) | instskip(NEXT) | instid1(VALU_DEP_2)
	v_add_co_u32 v16, vcc_lo, v24, v16
	v_add_co_ci_u32_e32 v17, vcc_lo, v23, v17, vcc_lo
	flat_load_b64 v[16:17], v[16:17]
	s_waitcnt vmcnt(0) lgkmcnt(0)
	v_mul_f64 v[16:17], v[16:17], s[10:11]
	s_branch .LBB110_261
.LBB110_260:
	v_mov_b32_e32 v16, 0
	v_mov_b32_e32 v17, 0
.LBB110_261:
	s_delay_alu instid0(VALU_DEP_1) | instskip(SKIP_2) | instid1(VALU_DEP_1)
	v_cvt_f32_f64_e32 v16, v[16:17]
	v_max_f32_e32 v17, v124, v124
	v_lshlrev_b64 v[23:24], 3, v[14:15]
	v_add_co_u32 v20, vcc_lo, v22, v23
	s_delay_alu instid0(VALU_DEP_2) | instskip(NEXT) | instid1(VALU_DEP_4)
	v_add_co_ci_u32_e32 v21, vcc_lo, v21, v24, vcc_lo
	v_min_f32_e32 v16, v16, v17
	s_delay_alu instid0(VALU_DEP_1)
	v_cvt_f64_f32_e32 v[16:17], v16
	global_store_b64 v[20:21], v[16:17], off
.LBB110_262:
	s_or_b32 exec_lo, exec_lo, s8
	v_add_nc_u32_e32 v22, 40, v19
	s_delay_alu instid0(VALU_DEP_1) | instskip(SKIP_2) | instid1(VALU_DEP_3)
	v_mad_i64_i32 v[16:17], null, v22, s20, 0
	v_mad_i64_i32 v[20:21], null, v22, s18, 0
	v_cmp_gt_i32_e64 s8, s17, v22
	v_lshlrev_b64 v[16:17], 3, v[16:17]
	s_delay_alu instid0(VALU_DEP_2) | instskip(NEXT) | instid1(VALU_DEP_3)
	s_and_b32 s16, s0, s8
	v_lshlrev_b64 v[20:21], 3, v[20:21]
	s_delay_alu instid0(VALU_DEP_2) | instskip(NEXT) | instid1(VALU_DEP_3)
	v_add_co_u32 v24, vcc_lo, s12, v16
	v_add_co_ci_u32_e32 v23, vcc_lo, s13, v17, vcc_lo
	s_delay_alu instid0(VALU_DEP_3) | instskip(NEXT) | instid1(VALU_DEP_4)
	v_add_co_u32 v20, vcc_lo, s14, v20
	v_add_co_ci_u32_e32 v21, vcc_lo, s15, v21, vcc_lo
	s_and_saveexec_b32 s9, s16
	s_cbranch_execnz .LBB110_270
; %bb.263:
	s_or_b32 exec_lo, exec_lo, s9
	s_and_b32 s16, s1, s8
	s_delay_alu instid0(SALU_CYCLE_1)
	s_and_saveexec_b32 s9, s16
	s_cbranch_execnz .LBB110_274
.LBB110_264:
	s_or_b32 exec_lo, exec_lo, s9
	s_and_b32 s16, s2, s8
	s_delay_alu instid0(SALU_CYCLE_1)
	s_and_saveexec_b32 s9, s16
	s_cbranch_execnz .LBB110_278
.LBB110_265:
	s_or_b32 exec_lo, exec_lo, s9
	s_and_b32 s16, s3, s8
	s_delay_alu instid0(SALU_CYCLE_1)
	s_and_saveexec_b32 s9, s16
	s_cbranch_execnz .LBB110_282
.LBB110_266:
	s_or_b32 exec_lo, exec_lo, s9
	s_and_b32 s16, s4, s8
	s_delay_alu instid0(SALU_CYCLE_1)
	s_and_saveexec_b32 s9, s16
	s_cbranch_execnz .LBB110_286
.LBB110_267:
	s_or_b32 exec_lo, exec_lo, s9
	s_and_b32 s16, s5, s8
	s_delay_alu instid0(SALU_CYCLE_1)
	s_and_saveexec_b32 s9, s16
	s_cbranch_execnz .LBB110_290
.LBB110_268:
	s_or_b32 exec_lo, exec_lo, s9
	s_and_b32 s16, s6, s8
	s_delay_alu instid0(SALU_CYCLE_1)
	s_and_saveexec_b32 s9, s16
	s_cbranch_execnz .LBB110_294
.LBB110_269:
	s_or_b32 exec_lo, exec_lo, s9
	s_and_b32 s9, s7, s8
	s_delay_alu instid0(SALU_CYCLE_1)
	s_and_saveexec_b32 s8, s9
	s_cbranch_execnz .LBB110_298
	s_branch .LBB110_302
.LBB110_270:
	v_cmp_ne_u32_e32 vcc_lo, 1, v18
	s_cbranch_vccnz .LBB110_272
; %bb.271:
	v_lshlrev_b64 v[16:17], 3, v[0:1]
	s_delay_alu instid0(VALU_DEP_1) | instskip(NEXT) | instid1(VALU_DEP_2)
	v_add_co_u32 v16, vcc_lo, v24, v16
	v_add_co_ci_u32_e32 v17, vcc_lo, v23, v17, vcc_lo
	flat_load_b64 v[16:17], v[16:17]
	s_waitcnt vmcnt(0) lgkmcnt(0)
	v_mul_f64 v[16:17], v[16:17], s[10:11]
	s_branch .LBB110_273
.LBB110_272:
	v_mov_b32_e32 v16, 0
	v_mov_b32_e32 v17, 0
.LBB110_273:
	s_delay_alu instid0(VALU_DEP_1) | instskip(SKIP_2) | instid1(VALU_DEP_1)
	v_cvt_f32_f64_e32 v16, v[16:17]
	v_max_f32_e32 v17, v64, v64
	v_lshlrev_b64 v[25:26], 3, v[0:1]
	v_add_co_u32 v25, vcc_lo, v20, v25
	s_delay_alu instid0(VALU_DEP_2) | instskip(NEXT) | instid1(VALU_DEP_4)
	v_add_co_ci_u32_e32 v26, vcc_lo, v21, v26, vcc_lo
	v_min_f32_e32 v16, v16, v17
	s_delay_alu instid0(VALU_DEP_1) | instskip(SKIP_3) | instid1(SALU_CYCLE_1)
	v_cvt_f64_f32_e32 v[16:17], v16
	global_store_b64 v[25:26], v[16:17], off
	s_or_b32 exec_lo, exec_lo, s9
	s_and_b32 s16, s1, s8
	s_and_saveexec_b32 s9, s16
	s_cbranch_execz .LBB110_264
.LBB110_274:
	v_cmp_ne_u32_e32 vcc_lo, 1, v18
	s_cbranch_vccnz .LBB110_276
; %bb.275:
	v_lshlrev_b64 v[16:17], 3, v[2:3]
	s_delay_alu instid0(VALU_DEP_1) | instskip(NEXT) | instid1(VALU_DEP_2)
	v_add_co_u32 v16, vcc_lo, v24, v16
	v_add_co_ci_u32_e32 v17, vcc_lo, v23, v17, vcc_lo
	flat_load_b64 v[16:17], v[16:17]
	s_waitcnt vmcnt(0) lgkmcnt(0)
	v_mul_f64 v[16:17], v[16:17], s[10:11]
	s_branch .LBB110_277
.LBB110_276:
	v_mov_b32_e32 v16, 0
	v_mov_b32_e32 v17, 0
.LBB110_277:
	s_delay_alu instid0(VALU_DEP_1) | instskip(SKIP_2) | instid1(VALU_DEP_1)
	v_cvt_f32_f64_e32 v16, v[16:17]
	v_max_f32_e32 v17, v65, v65
	v_lshlrev_b64 v[25:26], 3, v[2:3]
	v_add_co_u32 v25, vcc_lo, v20, v25
	s_delay_alu instid0(VALU_DEP_2) | instskip(NEXT) | instid1(VALU_DEP_4)
	v_add_co_ci_u32_e32 v26, vcc_lo, v21, v26, vcc_lo
	v_min_f32_e32 v16, v16, v17
	s_delay_alu instid0(VALU_DEP_1) | instskip(SKIP_3) | instid1(SALU_CYCLE_1)
	v_cvt_f64_f32_e32 v[16:17], v16
	global_store_b64 v[25:26], v[16:17], off
	s_or_b32 exec_lo, exec_lo, s9
	s_and_b32 s16, s2, s8
	s_and_saveexec_b32 s9, s16
	s_cbranch_execz .LBB110_265
.LBB110_278:
	v_cmp_ne_u32_e32 vcc_lo, 1, v18
	s_cbranch_vccnz .LBB110_280
; %bb.279:
	v_lshlrev_b64 v[16:17], 3, v[4:5]
	s_delay_alu instid0(VALU_DEP_1) | instskip(NEXT) | instid1(VALU_DEP_2)
	v_add_co_u32 v16, vcc_lo, v24, v16
	v_add_co_ci_u32_e32 v17, vcc_lo, v23, v17, vcc_lo
	flat_load_b64 v[16:17], v[16:17]
	s_waitcnt vmcnt(0) lgkmcnt(0)
	v_mul_f64 v[16:17], v[16:17], s[10:11]
	s_branch .LBB110_281
.LBB110_280:
	v_mov_b32_e32 v16, 0
	v_mov_b32_e32 v17, 0
.LBB110_281:
	s_delay_alu instid0(VALU_DEP_1) | instskip(SKIP_2) | instid1(VALU_DEP_1)
	v_cvt_f32_f64_e32 v16, v[16:17]
	v_max_f32_e32 v17, v85, v85
	v_lshlrev_b64 v[25:26], 3, v[4:5]
	v_add_co_u32 v25, vcc_lo, v20, v25
	s_delay_alu instid0(VALU_DEP_2) | instskip(NEXT) | instid1(VALU_DEP_4)
	v_add_co_ci_u32_e32 v26, vcc_lo, v21, v26, vcc_lo
	v_min_f32_e32 v16, v16, v17
	s_delay_alu instid0(VALU_DEP_1) | instskip(SKIP_3) | instid1(SALU_CYCLE_1)
	v_cvt_f64_f32_e32 v[16:17], v16
	global_store_b64 v[25:26], v[16:17], off
	s_or_b32 exec_lo, exec_lo, s9
	s_and_b32 s16, s3, s8
	s_and_saveexec_b32 s9, s16
	s_cbranch_execz .LBB110_266
.LBB110_282:
	v_cmp_ne_u32_e32 vcc_lo, 1, v18
	s_cbranch_vccnz .LBB110_284
; %bb.283:
	v_lshlrev_b64 v[16:17], 3, v[6:7]
	s_delay_alu instid0(VALU_DEP_1) | instskip(NEXT) | instid1(VALU_DEP_2)
	v_add_co_u32 v16, vcc_lo, v24, v16
	v_add_co_ci_u32_e32 v17, vcc_lo, v23, v17, vcc_lo
	flat_load_b64 v[16:17], v[16:17]
	s_waitcnt vmcnt(0) lgkmcnt(0)
	v_mul_f64 v[16:17], v[16:17], s[10:11]
	s_branch .LBB110_285
.LBB110_284:
	v_mov_b32_e32 v16, 0
	v_mov_b32_e32 v17, 0
.LBB110_285:
	s_delay_alu instid0(VALU_DEP_1) | instskip(SKIP_2) | instid1(VALU_DEP_1)
	v_cvt_f32_f64_e32 v16, v[16:17]
	v_max_f32_e32 v17, v55, v55
	v_lshlrev_b64 v[25:26], 3, v[6:7]
	v_add_co_u32 v25, vcc_lo, v20, v25
	s_delay_alu instid0(VALU_DEP_2) | instskip(NEXT) | instid1(VALU_DEP_4)
	v_add_co_ci_u32_e32 v26, vcc_lo, v21, v26, vcc_lo
	v_min_f32_e32 v16, v16, v17
	s_delay_alu instid0(VALU_DEP_1) | instskip(SKIP_3) | instid1(SALU_CYCLE_1)
	v_cvt_f64_f32_e32 v[16:17], v16
	global_store_b64 v[25:26], v[16:17], off
	s_or_b32 exec_lo, exec_lo, s9
	s_and_b32 s16, s4, s8
	s_and_saveexec_b32 s9, s16
	s_cbranch_execz .LBB110_267
.LBB110_286:
	v_cmp_ne_u32_e32 vcc_lo, 1, v18
	s_cbranch_vccnz .LBB110_288
; %bb.287:
	v_lshlrev_b64 v[16:17], 3, v[8:9]
	s_delay_alu instid0(VALU_DEP_1) | instskip(NEXT) | instid1(VALU_DEP_2)
	v_add_co_u32 v16, vcc_lo, v24, v16
	v_add_co_ci_u32_e32 v17, vcc_lo, v23, v17, vcc_lo
	flat_load_b64 v[16:17], v[16:17]
	s_waitcnt vmcnt(0) lgkmcnt(0)
	v_mul_f64 v[16:17], v[16:17], s[10:11]
	s_branch .LBB110_289
.LBB110_288:
	v_mov_b32_e32 v16, 0
	v_mov_b32_e32 v17, 0
.LBB110_289:
	s_delay_alu instid0(VALU_DEP_1) | instskip(SKIP_2) | instid1(VALU_DEP_1)
	v_cvt_f32_f64_e32 v16, v[16:17]
	v_max_f32_e32 v17, v192, v192
	v_lshlrev_b64 v[25:26], 3, v[8:9]
	v_add_co_u32 v25, vcc_lo, v20, v25
	s_delay_alu instid0(VALU_DEP_2) | instskip(NEXT) | instid1(VALU_DEP_4)
	v_add_co_ci_u32_e32 v26, vcc_lo, v21, v26, vcc_lo
	v_min_f32_e32 v16, v16, v17
	s_delay_alu instid0(VALU_DEP_1) | instskip(SKIP_3) | instid1(SALU_CYCLE_1)
	v_cvt_f64_f32_e32 v[16:17], v16
	global_store_b64 v[25:26], v[16:17], off
	s_or_b32 exec_lo, exec_lo, s9
	s_and_b32 s16, s5, s8
	s_and_saveexec_b32 s9, s16
	s_cbranch_execz .LBB110_268
.LBB110_290:
	v_cmp_ne_u32_e32 vcc_lo, 1, v18
	s_cbranch_vccnz .LBB110_292
; %bb.291:
	v_lshlrev_b64 v[16:17], 3, v[10:11]
	s_delay_alu instid0(VALU_DEP_1) | instskip(NEXT) | instid1(VALU_DEP_2)
	v_add_co_u32 v16, vcc_lo, v24, v16
	v_add_co_ci_u32_e32 v17, vcc_lo, v23, v17, vcc_lo
	flat_load_b64 v[16:17], v[16:17]
	s_waitcnt vmcnt(0) lgkmcnt(0)
	v_mul_f64 v[16:17], v[16:17], s[10:11]
	s_branch .LBB110_293
.LBB110_292:
	v_mov_b32_e32 v16, 0
	v_mov_b32_e32 v17, 0
.LBB110_293:
	s_delay_alu instid0(VALU_DEP_1) | instskip(SKIP_2) | instid1(VALU_DEP_1)
	v_cvt_f32_f64_e32 v16, v[16:17]
	v_max_f32_e32 v17, v87, v87
	v_lshlrev_b64 v[25:26], 3, v[10:11]
	v_add_co_u32 v25, vcc_lo, v20, v25
	s_delay_alu instid0(VALU_DEP_2) | instskip(NEXT) | instid1(VALU_DEP_4)
	v_add_co_ci_u32_e32 v26, vcc_lo, v21, v26, vcc_lo
	v_min_f32_e32 v16, v16, v17
	s_delay_alu instid0(VALU_DEP_1) | instskip(SKIP_3) | instid1(SALU_CYCLE_1)
	v_cvt_f64_f32_e32 v[16:17], v16
	global_store_b64 v[25:26], v[16:17], off
	s_or_b32 exec_lo, exec_lo, s9
	s_and_b32 s16, s6, s8
	s_and_saveexec_b32 s9, s16
	s_cbranch_execz .LBB110_269
.LBB110_294:
	v_cmp_ne_u32_e32 vcc_lo, 1, v18
	s_cbranch_vccnz .LBB110_296
; %bb.295:
	v_lshlrev_b64 v[16:17], 3, v[12:13]
	s_delay_alu instid0(VALU_DEP_1) | instskip(NEXT) | instid1(VALU_DEP_2)
	v_add_co_u32 v16, vcc_lo, v24, v16
	v_add_co_ci_u32_e32 v17, vcc_lo, v23, v17, vcc_lo
	flat_load_b64 v[16:17], v[16:17]
	s_waitcnt vmcnt(0) lgkmcnt(0)
	v_mul_f64 v[16:17], v[16:17], s[10:11]
	s_branch .LBB110_297
.LBB110_296:
	v_mov_b32_e32 v16, 0
	v_mov_b32_e32 v17, 0
.LBB110_297:
	s_delay_alu instid0(VALU_DEP_1) | instskip(SKIP_2) | instid1(VALU_DEP_1)
	v_cvt_f32_f64_e32 v16, v[16:17]
	v_max_f32_e32 v17, v86, v86
	v_lshlrev_b64 v[25:26], 3, v[12:13]
	v_add_co_u32 v25, vcc_lo, v20, v25
	s_delay_alu instid0(VALU_DEP_2) | instskip(NEXT) | instid1(VALU_DEP_4)
	v_add_co_ci_u32_e32 v26, vcc_lo, v21, v26, vcc_lo
	v_min_f32_e32 v16, v16, v17
	s_delay_alu instid0(VALU_DEP_1) | instskip(SKIP_3) | instid1(SALU_CYCLE_1)
	v_cvt_f64_f32_e32 v[16:17], v16
	global_store_b64 v[25:26], v[16:17], off
	s_or_b32 exec_lo, exec_lo, s9
	s_and_b32 s9, s7, s8
	s_and_saveexec_b32 s8, s9
	s_cbranch_execz .LBB110_302
.LBB110_298:
	v_cmp_ne_u32_e32 vcc_lo, 1, v18
	s_cbranch_vccnz .LBB110_300
; %bb.299:
	v_lshlrev_b64 v[16:17], 3, v[14:15]
	s_delay_alu instid0(VALU_DEP_1) | instskip(NEXT) | instid1(VALU_DEP_2)
	v_add_co_u32 v16, vcc_lo, v24, v16
	v_add_co_ci_u32_e32 v17, vcc_lo, v23, v17, vcc_lo
	flat_load_b64 v[16:17], v[16:17]
	s_waitcnt vmcnt(0) lgkmcnt(0)
	v_mul_f64 v[16:17], v[16:17], s[10:11]
	s_branch .LBB110_301
.LBB110_300:
	v_mov_b32_e32 v16, 0
	v_mov_b32_e32 v17, 0
.LBB110_301:
	s_delay_alu instid0(VALU_DEP_1) | instskip(SKIP_2) | instid1(VALU_DEP_1)
	v_cvt_f32_f64_e32 v16, v[16:17]
	v_max_f32_e32 v17, v210, v210
	v_lshlrev_b64 v[22:23], 3, v[14:15]
	v_add_co_u32 v20, vcc_lo, v20, v22
	s_delay_alu instid0(VALU_DEP_2) | instskip(NEXT) | instid1(VALU_DEP_4)
	v_add_co_ci_u32_e32 v21, vcc_lo, v21, v23, vcc_lo
	v_min_f32_e32 v16, v16, v17
	s_delay_alu instid0(VALU_DEP_1)
	v_cvt_f64_f32_e32 v[16:17], v16
	global_store_b64 v[20:21], v[16:17], off
.LBB110_302:
	s_or_b32 exec_lo, exec_lo, s8
	v_add_nc_u32_e32 v22, 48, v19
	s_delay_alu instid0(VALU_DEP_1) | instskip(SKIP_2) | instid1(VALU_DEP_3)
	v_mad_i64_i32 v[16:17], null, v22, s20, 0
	v_mad_i64_i32 v[20:21], null, v22, s18, 0
	v_cmp_gt_i32_e64 s8, s17, v22
	v_lshlrev_b64 v[16:17], 3, v[16:17]
	s_delay_alu instid0(VALU_DEP_2) | instskip(NEXT) | instid1(VALU_DEP_3)
	s_and_b32 s16, s0, s8
	v_lshlrev_b64 v[20:21], 3, v[20:21]
	s_delay_alu instid0(VALU_DEP_2) | instskip(NEXT) | instid1(VALU_DEP_3)
	v_add_co_u32 v22, vcc_lo, s12, v16
	v_add_co_ci_u32_e32 v23, vcc_lo, s13, v17, vcc_lo
	s_delay_alu instid0(VALU_DEP_3) | instskip(NEXT) | instid1(VALU_DEP_4)
	v_add_co_u32 v20, vcc_lo, s14, v20
	v_add_co_ci_u32_e32 v21, vcc_lo, s15, v21, vcc_lo
	s_and_saveexec_b32 s9, s16
	s_cbranch_execnz .LBB110_310
; %bb.303:
	s_or_b32 exec_lo, exec_lo, s9
	s_and_b32 s16, s1, s8
	s_delay_alu instid0(SALU_CYCLE_1)
	s_and_saveexec_b32 s9, s16
	s_cbranch_execnz .LBB110_314
.LBB110_304:
	s_or_b32 exec_lo, exec_lo, s9
	s_and_b32 s16, s2, s8
	s_delay_alu instid0(SALU_CYCLE_1)
	s_and_saveexec_b32 s9, s16
	s_cbranch_execnz .LBB110_318
.LBB110_305:
	s_or_b32 exec_lo, exec_lo, s9
	s_and_b32 s16, s3, s8
	s_delay_alu instid0(SALU_CYCLE_1)
	s_and_saveexec_b32 s9, s16
	s_cbranch_execnz .LBB110_322
.LBB110_306:
	s_or_b32 exec_lo, exec_lo, s9
	s_and_b32 s16, s4, s8
	s_delay_alu instid0(SALU_CYCLE_1)
	s_and_saveexec_b32 s9, s16
	s_cbranch_execnz .LBB110_326
.LBB110_307:
	s_or_b32 exec_lo, exec_lo, s9
	s_and_b32 s16, s5, s8
	s_delay_alu instid0(SALU_CYCLE_1)
	s_and_saveexec_b32 s9, s16
	s_cbranch_execnz .LBB110_330
.LBB110_308:
	s_or_b32 exec_lo, exec_lo, s9
	s_and_b32 s16, s6, s8
	s_delay_alu instid0(SALU_CYCLE_1)
	s_and_saveexec_b32 s9, s16
	s_cbranch_execnz .LBB110_334
.LBB110_309:
	s_or_b32 exec_lo, exec_lo, s9
	s_and_b32 s9, s7, s8
	s_delay_alu instid0(SALU_CYCLE_1)
	s_and_saveexec_b32 s8, s9
	s_cbranch_execnz .LBB110_338
	s_branch .LBB110_342
.LBB110_310:
	v_cmp_ne_u32_e32 vcc_lo, 1, v18
	s_cbranch_vccnz .LBB110_312
; %bb.311:
	v_lshlrev_b64 v[16:17], 3, v[0:1]
	s_delay_alu instid0(VALU_DEP_1) | instskip(NEXT) | instid1(VALU_DEP_2)
	v_add_co_u32 v16, vcc_lo, v22, v16
	v_add_co_ci_u32_e32 v17, vcc_lo, v23, v17, vcc_lo
	flat_load_b64 v[16:17], v[16:17]
	s_waitcnt vmcnt(0) lgkmcnt(0)
	v_mul_f64 v[16:17], v[16:17], s[10:11]
	s_branch .LBB110_313
.LBB110_312:
	v_mov_b32_e32 v16, 0
	v_mov_b32_e32 v17, 0
.LBB110_313:
	s_delay_alu instid0(VALU_DEP_1) | instskip(SKIP_2) | instid1(VALU_DEP_1)
	v_cvt_f32_f64_e32 v16, v[16:17]
	v_max_f32_e32 v17, v204, v204
	v_lshlrev_b64 v[24:25], 3, v[0:1]
	v_add_co_u32 v24, vcc_lo, v20, v24
	s_delay_alu instid0(VALU_DEP_2) | instskip(NEXT) | instid1(VALU_DEP_4)
	v_add_co_ci_u32_e32 v25, vcc_lo, v21, v25, vcc_lo
	v_min_f32_e32 v16, v16, v17
	s_delay_alu instid0(VALU_DEP_1) | instskip(SKIP_3) | instid1(SALU_CYCLE_1)
	v_cvt_f64_f32_e32 v[16:17], v16
	global_store_b64 v[24:25], v[16:17], off
	s_or_b32 exec_lo, exec_lo, s9
	s_and_b32 s16, s1, s8
	s_and_saveexec_b32 s9, s16
	s_cbranch_execz .LBB110_304
.LBB110_314:
	v_cmp_ne_u32_e32 vcc_lo, 1, v18
	s_cbranch_vccnz .LBB110_316
; %bb.315:
	v_lshlrev_b64 v[16:17], 3, v[2:3]
	s_delay_alu instid0(VALU_DEP_1) | instskip(NEXT) | instid1(VALU_DEP_2)
	v_add_co_u32 v16, vcc_lo, v22, v16
	v_add_co_ci_u32_e32 v17, vcc_lo, v23, v17, vcc_lo
	flat_load_b64 v[16:17], v[16:17]
	s_waitcnt vmcnt(0) lgkmcnt(0)
	v_mul_f64 v[16:17], v[16:17], s[10:11]
	s_branch .LBB110_317
.LBB110_316:
	v_mov_b32_e32 v16, 0
	v_mov_b32_e32 v17, 0
.LBB110_317:
	s_delay_alu instid0(VALU_DEP_1) | instskip(SKIP_2) | instid1(VALU_DEP_1)
	v_cvt_f32_f64_e32 v16, v[16:17]
	v_max_f32_e32 v17, v190, v190
	v_lshlrev_b64 v[24:25], 3, v[2:3]
	v_add_co_u32 v24, vcc_lo, v20, v24
	s_delay_alu instid0(VALU_DEP_2) | instskip(NEXT) | instid1(VALU_DEP_4)
	v_add_co_ci_u32_e32 v25, vcc_lo, v21, v25, vcc_lo
	v_min_f32_e32 v16, v16, v17
	s_delay_alu instid0(VALU_DEP_1) | instskip(SKIP_3) | instid1(SALU_CYCLE_1)
	v_cvt_f64_f32_e32 v[16:17], v16
	global_store_b64 v[24:25], v[16:17], off
	s_or_b32 exec_lo, exec_lo, s9
	s_and_b32 s16, s2, s8
	s_and_saveexec_b32 s9, s16
	s_cbranch_execz .LBB110_305
.LBB110_318:
	v_cmp_ne_u32_e32 vcc_lo, 1, v18
	s_cbranch_vccnz .LBB110_320
; %bb.319:
	v_lshlrev_b64 v[16:17], 3, v[4:5]
	s_delay_alu instid0(VALU_DEP_1) | instskip(NEXT) | instid1(VALU_DEP_2)
	v_add_co_u32 v16, vcc_lo, v22, v16
	v_add_co_ci_u32_e32 v17, vcc_lo, v23, v17, vcc_lo
	flat_load_b64 v[16:17], v[16:17]
	s_waitcnt vmcnt(0) lgkmcnt(0)
	v_mul_f64 v[16:17], v[16:17], s[10:11]
	s_branch .LBB110_321
.LBB110_320:
	v_mov_b32_e32 v16, 0
	v_mov_b32_e32 v17, 0
.LBB110_321:
	s_delay_alu instid0(VALU_DEP_1) | instskip(SKIP_2) | instid1(VALU_DEP_1)
	v_cvt_f32_f64_e32 v16, v[16:17]
	v_max_f32_e32 v17, v236, v236
	v_lshlrev_b64 v[24:25], 3, v[4:5]
	v_add_co_u32 v24, vcc_lo, v20, v24
	s_delay_alu instid0(VALU_DEP_2) | instskip(NEXT) | instid1(VALU_DEP_4)
	v_add_co_ci_u32_e32 v25, vcc_lo, v21, v25, vcc_lo
	v_min_f32_e32 v16, v16, v17
	s_delay_alu instid0(VALU_DEP_1) | instskip(SKIP_3) | instid1(SALU_CYCLE_1)
	v_cvt_f64_f32_e32 v[16:17], v16
	global_store_b64 v[24:25], v[16:17], off
	s_or_b32 exec_lo, exec_lo, s9
	s_and_b32 s16, s3, s8
	s_and_saveexec_b32 s9, s16
	s_cbranch_execz .LBB110_306
.LBB110_322:
	v_cmp_ne_u32_e32 vcc_lo, 1, v18
	s_cbranch_vccnz .LBB110_324
; %bb.323:
	v_lshlrev_b64 v[16:17], 3, v[6:7]
	s_delay_alu instid0(VALU_DEP_1) | instskip(NEXT) | instid1(VALU_DEP_2)
	v_add_co_u32 v16, vcc_lo, v22, v16
	v_add_co_ci_u32_e32 v17, vcc_lo, v23, v17, vcc_lo
	flat_load_b64 v[16:17], v[16:17]
	s_waitcnt vmcnt(0) lgkmcnt(0)
	v_mul_f64 v[16:17], v[16:17], s[10:11]
	s_branch .LBB110_325
.LBB110_324:
	v_mov_b32_e32 v16, 0
	v_mov_b32_e32 v17, 0
.LBB110_325:
	s_delay_alu instid0(VALU_DEP_1) | instskip(SKIP_2) | instid1(VALU_DEP_1)
	v_cvt_f32_f64_e32 v16, v[16:17]
	v_max_f32_e32 v17, v133, v133
	v_lshlrev_b64 v[24:25], 3, v[6:7]
	v_add_co_u32 v24, vcc_lo, v20, v24
	s_delay_alu instid0(VALU_DEP_2) | instskip(NEXT) | instid1(VALU_DEP_4)
	v_add_co_ci_u32_e32 v25, vcc_lo, v21, v25, vcc_lo
	v_min_f32_e32 v16, v16, v17
	s_delay_alu instid0(VALU_DEP_1) | instskip(SKIP_3) | instid1(SALU_CYCLE_1)
	v_cvt_f64_f32_e32 v[16:17], v16
	global_store_b64 v[24:25], v[16:17], off
	s_or_b32 exec_lo, exec_lo, s9
	s_and_b32 s16, s4, s8
	s_and_saveexec_b32 s9, s16
	s_cbranch_execz .LBB110_307
.LBB110_326:
	v_cmp_ne_u32_e32 vcc_lo, 1, v18
	s_cbranch_vccnz .LBB110_328
; %bb.327:
	v_lshlrev_b64 v[16:17], 3, v[8:9]
	s_delay_alu instid0(VALU_DEP_1) | instskip(NEXT) | instid1(VALU_DEP_2)
	v_add_co_u32 v16, vcc_lo, v22, v16
	v_add_co_ci_u32_e32 v17, vcc_lo, v23, v17, vcc_lo
	flat_load_b64 v[16:17], v[16:17]
	s_waitcnt vmcnt(0) lgkmcnt(0)
	v_mul_f64 v[16:17], v[16:17], s[10:11]
	s_branch .LBB110_329
.LBB110_328:
	v_mov_b32_e32 v16, 0
	v_mov_b32_e32 v17, 0
.LBB110_329:
	s_delay_alu instid0(VALU_DEP_1) | instskip(SKIP_2) | instid1(VALU_DEP_1)
	v_cvt_f32_f64_e32 v16, v[16:17]
	scratch_load_b32 v17, off, off          ; 4-byte Folded Reload
	v_lshlrev_b64 v[24:25], 3, v[8:9]
	v_add_co_u32 v24, vcc_lo, v20, v24
	s_delay_alu instid0(VALU_DEP_2) | instskip(SKIP_2) | instid1(VALU_DEP_1)
	v_add_co_ci_u32_e32 v25, vcc_lo, v21, v25, vcc_lo
	s_waitcnt vmcnt(0)
	v_max_f32_e32 v17, v17, v17
	v_min_f32_e32 v16, v16, v17
	s_delay_alu instid0(VALU_DEP_1) | instskip(SKIP_3) | instid1(SALU_CYCLE_1)
	v_cvt_f64_f32_e32 v[16:17], v16
	global_store_b64 v[24:25], v[16:17], off
	s_or_b32 exec_lo, exec_lo, s9
	s_and_b32 s16, s5, s8
	s_and_saveexec_b32 s9, s16
	s_cbranch_execz .LBB110_308
.LBB110_330:
	v_cmp_ne_u32_e32 vcc_lo, 1, v18
	s_cbranch_vccnz .LBB110_332
; %bb.331:
	v_lshlrev_b64 v[16:17], 3, v[10:11]
	s_delay_alu instid0(VALU_DEP_1) | instskip(NEXT) | instid1(VALU_DEP_2)
	v_add_co_u32 v16, vcc_lo, v22, v16
	v_add_co_ci_u32_e32 v17, vcc_lo, v23, v17, vcc_lo
	flat_load_b64 v[16:17], v[16:17]
	s_waitcnt vmcnt(0) lgkmcnt(0)
	v_mul_f64 v[16:17], v[16:17], s[10:11]
	s_branch .LBB110_333
.LBB110_332:
	v_mov_b32_e32 v16, 0
	v_mov_b32_e32 v17, 0
.LBB110_333:
	s_delay_alu instid0(VALU_DEP_1) | instskip(SKIP_2) | instid1(VALU_DEP_1)
	v_cvt_f32_f64_e32 v16, v[16:17]
	v_max_f32_e32 v17, v200, v200
	v_lshlrev_b64 v[24:25], 3, v[10:11]
	v_add_co_u32 v24, vcc_lo, v20, v24
	s_delay_alu instid0(VALU_DEP_2) | instskip(NEXT) | instid1(VALU_DEP_4)
	v_add_co_ci_u32_e32 v25, vcc_lo, v21, v25, vcc_lo
	v_min_f32_e32 v16, v16, v17
	s_delay_alu instid0(VALU_DEP_1) | instskip(SKIP_3) | instid1(SALU_CYCLE_1)
	v_cvt_f64_f32_e32 v[16:17], v16
	global_store_b64 v[24:25], v[16:17], off
	s_or_b32 exec_lo, exec_lo, s9
	s_and_b32 s16, s6, s8
	s_and_saveexec_b32 s9, s16
	s_cbranch_execz .LBB110_309
.LBB110_334:
	v_cmp_ne_u32_e32 vcc_lo, 1, v18
	s_cbranch_vccnz .LBB110_336
; %bb.335:
	v_lshlrev_b64 v[16:17], 3, v[12:13]
	s_delay_alu instid0(VALU_DEP_1) | instskip(NEXT) | instid1(VALU_DEP_2)
	v_add_co_u32 v16, vcc_lo, v22, v16
	v_add_co_ci_u32_e32 v17, vcc_lo, v23, v17, vcc_lo
	flat_load_b64 v[16:17], v[16:17]
	s_waitcnt vmcnt(0) lgkmcnt(0)
	v_mul_f64 v[16:17], v[16:17], s[10:11]
	s_branch .LBB110_337
.LBB110_336:
	v_mov_b32_e32 v16, 0
	v_mov_b32_e32 v17, 0
.LBB110_337:
	s_delay_alu instid0(VALU_DEP_1) | instskip(SKIP_2) | instid1(VALU_DEP_1)
	v_cvt_f32_f64_e32 v16, v[16:17]
	v_max_f32_e32 v17, v132, v132
	v_lshlrev_b64 v[24:25], 3, v[12:13]
	v_add_co_u32 v24, vcc_lo, v20, v24
	s_delay_alu instid0(VALU_DEP_2) | instskip(NEXT) | instid1(VALU_DEP_4)
	v_add_co_ci_u32_e32 v25, vcc_lo, v21, v25, vcc_lo
	v_min_f32_e32 v16, v16, v17
	s_delay_alu instid0(VALU_DEP_1) | instskip(SKIP_3) | instid1(SALU_CYCLE_1)
	v_cvt_f64_f32_e32 v[16:17], v16
	global_store_b64 v[24:25], v[16:17], off
	s_or_b32 exec_lo, exec_lo, s9
	s_and_b32 s9, s7, s8
	s_and_saveexec_b32 s8, s9
	s_cbranch_execz .LBB110_342
.LBB110_338:
	v_cmp_ne_u32_e32 vcc_lo, 1, v18
	s_cbranch_vccnz .LBB110_340
; %bb.339:
	v_lshlrev_b64 v[16:17], 3, v[14:15]
	s_delay_alu instid0(VALU_DEP_1) | instskip(NEXT) | instid1(VALU_DEP_2)
	v_add_co_u32 v16, vcc_lo, v22, v16
	v_add_co_ci_u32_e32 v17, vcc_lo, v23, v17, vcc_lo
	flat_load_b64 v[16:17], v[16:17]
	s_waitcnt vmcnt(0) lgkmcnt(0)
	v_mul_f64 v[16:17], v[16:17], s[10:11]
	s_branch .LBB110_341
.LBB110_340:
	v_mov_b32_e32 v16, 0
	v_mov_b32_e32 v17, 0
.LBB110_341:
	s_delay_alu instid0(VALU_DEP_1) | instskip(SKIP_2) | instid1(VALU_DEP_1)
	v_cvt_f32_f64_e32 v16, v[16:17]
	v_max_f32_e32 v17, v134, v134
	v_lshlrev_b64 v[22:23], 3, v[14:15]
	v_add_co_u32 v20, vcc_lo, v20, v22
	s_delay_alu instid0(VALU_DEP_2) | instskip(NEXT) | instid1(VALU_DEP_4)
	v_add_co_ci_u32_e32 v21, vcc_lo, v21, v23, vcc_lo
	v_min_f32_e32 v16, v16, v17
	s_delay_alu instid0(VALU_DEP_1)
	v_cvt_f64_f32_e32 v[16:17], v16
	global_store_b64 v[20:21], v[16:17], off
.LBB110_342:
	s_or_b32 exec_lo, exec_lo, s8
	v_add_nc_u32_e32 v21, 56, v19
	s_delay_alu instid0(VALU_DEP_1) | instskip(SKIP_2) | instid1(VALU_DEP_3)
	v_mad_i64_i32 v[16:17], null, v21, s20, 0
	v_mad_i64_i32 v[19:20], null, v21, s18, 0
	v_cmp_gt_i32_e64 s8, s17, v21
	v_lshlrev_b64 v[16:17], 3, v[16:17]
	s_delay_alu instid0(VALU_DEP_2) | instskip(NEXT) | instid1(VALU_DEP_3)
	s_and_b32 s9, s0, s8
	v_lshlrev_b64 v[21:22], 3, v[19:20]
	s_delay_alu instid0(VALU_DEP_2) | instskip(NEXT) | instid1(VALU_DEP_3)
	v_add_co_u32 v19, vcc_lo, s12, v16
	v_add_co_ci_u32_e32 v20, vcc_lo, s13, v17, vcc_lo
	s_delay_alu instid0(VALU_DEP_3) | instskip(NEXT) | instid1(VALU_DEP_4)
	v_add_co_u32 v16, vcc_lo, s14, v21
	v_add_co_ci_u32_e32 v17, vcc_lo, s15, v22, vcc_lo
	s_and_saveexec_b32 s0, s9
	s_cbranch_execnz .LBB110_351
; %bb.343:
	s_or_b32 exec_lo, exec_lo, s0
	s_and_b32 s1, s1, s8
	s_delay_alu instid0(SALU_CYCLE_1)
	s_and_saveexec_b32 s0, s1
	s_cbranch_execnz .LBB110_355
.LBB110_344:
	s_or_b32 exec_lo, exec_lo, s0
	s_and_b32 s1, s2, s8
	s_delay_alu instid0(SALU_CYCLE_1)
	s_and_saveexec_b32 s0, s1
	s_cbranch_execnz .LBB110_359
.LBB110_345:
	s_or_b32 exec_lo, exec_lo, s0
	s_and_b32 s1, s3, s8
	s_delay_alu instid0(SALU_CYCLE_1)
	s_and_saveexec_b32 s0, s1
	s_cbranch_execnz .LBB110_363
.LBB110_346:
	s_or_b32 exec_lo, exec_lo, s0
	s_and_b32 s1, s4, s8
	s_delay_alu instid0(SALU_CYCLE_1)
	s_and_saveexec_b32 s0, s1
	s_cbranch_execnz .LBB110_367
.LBB110_347:
	s_or_b32 exec_lo, exec_lo, s0
	s_and_b32 s1, s5, s8
	s_delay_alu instid0(SALU_CYCLE_1)
	s_and_saveexec_b32 s0, s1
	s_cbranch_execnz .LBB110_371
.LBB110_348:
	s_or_b32 exec_lo, exec_lo, s0
	s_and_b32 s1, s6, s8
	s_delay_alu instid0(SALU_CYCLE_1)
	s_and_saveexec_b32 s0, s1
	s_cbranch_execnz .LBB110_375
.LBB110_349:
	s_or_b32 exec_lo, exec_lo, s0
	s_and_b32 s0, s7, s8
	s_delay_alu instid0(SALU_CYCLE_1)
	s_and_saveexec_b32 s1, s0
	s_cbranch_execnz .LBB110_379
.LBB110_350:
	s_endpgm
.LBB110_351:
	v_cmp_ne_u32_e32 vcc_lo, 1, v18
	v_lshlrev_b64 v[0:1], 3, v[0:1]
	s_cbranch_vccnz .LBB110_353
; %bb.352:
	s_delay_alu instid0(VALU_DEP_1) | instskip(NEXT) | instid1(VALU_DEP_2)
	v_add_co_u32 v21, vcc_lo, v19, v0
	v_add_co_ci_u32_e32 v22, vcc_lo, v20, v1, vcc_lo
	flat_load_b64 v[21:22], v[21:22]
	s_waitcnt vmcnt(0) lgkmcnt(0)
	v_mul_f64 v[21:22], v[21:22], s[10:11]
	s_delay_alu instid0(VALU_DEP_1)
	v_cvt_f32_f64_e32 v21, v[21:22]
	s_branch .LBB110_354
.LBB110_353:
	v_mov_b32_e32 v21, 0
.LBB110_354:
	s_delay_alu instid0(VALU_DEP_1) | instskip(NEXT) | instid1(VALU_DEP_3)
	v_dual_max_f32 v22, v128, v128 :: v_dual_max_f32 v21, v21, v21
	v_add_co_u32 v0, vcc_lo, v16, v0
	s_delay_alu instid0(VALU_DEP_4) | instskip(NEXT) | instid1(VALU_DEP_3)
	v_add_co_ci_u32_e32 v1, vcc_lo, v17, v1, vcc_lo
	v_min_f32_e32 v21, v21, v22
	s_delay_alu instid0(VALU_DEP_1) | instskip(SKIP_3) | instid1(SALU_CYCLE_1)
	v_cvt_f64_f32_e32 v[21:22], v21
	global_store_b64 v[0:1], v[21:22], off
	s_or_b32 exec_lo, exec_lo, s0
	s_and_b32 s1, s1, s8
	s_and_saveexec_b32 s0, s1
	s_cbranch_execz .LBB110_344
.LBB110_355:
	v_cmp_ne_u32_e32 vcc_lo, 1, v18
	v_lshlrev_b64 v[0:1], 3, v[2:3]
	s_cbranch_vccnz .LBB110_357
; %bb.356:
	s_delay_alu instid0(VALU_DEP_1) | instskip(NEXT) | instid1(VALU_DEP_2)
	v_add_co_u32 v2, vcc_lo, v19, v0
	v_add_co_ci_u32_e32 v3, vcc_lo, v20, v1, vcc_lo
	flat_load_b64 v[2:3], v[2:3]
	s_waitcnt vmcnt(0) lgkmcnt(0)
	v_mul_f64 v[2:3], v[2:3], s[10:11]
	s_delay_alu instid0(VALU_DEP_1)
	v_cvt_f32_f64_e32 v2, v[2:3]
	s_branch .LBB110_358
.LBB110_357:
	v_mov_b32_e32 v2, 0
.LBB110_358:
	s_delay_alu instid0(VALU_DEP_1) | instskip(NEXT) | instid1(VALU_DEP_3)
	v_dual_max_f32 v3, v129, v129 :: v_dual_max_f32 v2, v2, v2
	v_add_co_u32 v0, vcc_lo, v16, v0
	s_delay_alu instid0(VALU_DEP_4) | instskip(NEXT) | instid1(VALU_DEP_3)
	v_add_co_ci_u32_e32 v1, vcc_lo, v17, v1, vcc_lo
	v_min_f32_e32 v2, v2, v3
	s_delay_alu instid0(VALU_DEP_1) | instskip(SKIP_3) | instid1(SALU_CYCLE_1)
	v_cvt_f64_f32_e32 v[2:3], v2
	global_store_b64 v[0:1], v[2:3], off
	s_or_b32 exec_lo, exec_lo, s0
	s_and_b32 s1, s2, s8
	s_and_saveexec_b32 s0, s1
	s_cbranch_execz .LBB110_345
.LBB110_359:
	v_cmp_ne_u32_e32 vcc_lo, 1, v18
	v_lshlrev_b64 v[0:1], 3, v[4:5]
	s_cbranch_vccnz .LBB110_361
; %bb.360:
	s_delay_alu instid0(VALU_DEP_1) | instskip(NEXT) | instid1(VALU_DEP_2)
	v_add_co_u32 v2, vcc_lo, v19, v0
	v_add_co_ci_u32_e32 v3, vcc_lo, v20, v1, vcc_lo
	flat_load_b64 v[2:3], v[2:3]
	s_waitcnt vmcnt(0) lgkmcnt(0)
	v_mul_f64 v[2:3], v[2:3], s[10:11]
	s_delay_alu instid0(VALU_DEP_1)
	v_cvt_f32_f64_e32 v2, v[2:3]
	s_branch .LBB110_362
.LBB110_361:
	v_mov_b32_e32 v2, 0
.LBB110_362:
	s_delay_alu instid0(VALU_DEP_1) | instskip(NEXT) | instid1(VALU_DEP_3)
	v_dual_max_f32 v3, v127, v127 :: v_dual_max_f32 v2, v2, v2
	v_add_co_u32 v0, vcc_lo, v16, v0
	s_delay_alu instid0(VALU_DEP_4) | instskip(NEXT) | instid1(VALU_DEP_3)
	v_add_co_ci_u32_e32 v1, vcc_lo, v17, v1, vcc_lo
	v_min_f32_e32 v2, v2, v3
	s_delay_alu instid0(VALU_DEP_1) | instskip(SKIP_3) | instid1(SALU_CYCLE_1)
	v_cvt_f64_f32_e32 v[2:3], v2
	global_store_b64 v[0:1], v[2:3], off
	s_or_b32 exec_lo, exec_lo, s0
	s_and_b32 s1, s3, s8
	s_and_saveexec_b32 s0, s1
	s_cbranch_execz .LBB110_346
.LBB110_363:
	v_cmp_ne_u32_e32 vcc_lo, 1, v18
	v_lshlrev_b64 v[0:1], 3, v[6:7]
	s_cbranch_vccnz .LBB110_365
; %bb.364:
	s_delay_alu instid0(VALU_DEP_1) | instskip(NEXT) | instid1(VALU_DEP_2)
	v_add_co_u32 v2, vcc_lo, v19, v0
	v_add_co_ci_u32_e32 v3, vcc_lo, v20, v1, vcc_lo
	flat_load_b64 v[2:3], v[2:3]
	s_waitcnt vmcnt(0) lgkmcnt(0)
	v_mul_f64 v[2:3], v[2:3], s[10:11]
	s_delay_alu instid0(VALU_DEP_1)
	v_cvt_f32_f64_e32 v2, v[2:3]
	s_branch .LBB110_366
.LBB110_365:
	v_mov_b32_e32 v2, 0
.LBB110_366:
	v_max_f32_e32 v3, v122, v122
	s_delay_alu instid0(VALU_DEP_2) | instskip(NEXT) | instid1(VALU_DEP_4)
	v_max_f32_e32 v2, v2, v2
	v_add_co_u32 v0, vcc_lo, v16, v0
	v_add_co_ci_u32_e32 v1, vcc_lo, v17, v1, vcc_lo
	s_delay_alu instid0(VALU_DEP_3) | instskip(NEXT) | instid1(VALU_DEP_1)
	v_min_f32_e32 v2, v2, v3
	v_cvt_f64_f32_e32 v[2:3], v2
	global_store_b64 v[0:1], v[2:3], off
	s_or_b32 exec_lo, exec_lo, s0
	s_and_b32 s1, s4, s8
	s_delay_alu instid0(SALU_CYCLE_1)
	s_and_saveexec_b32 s0, s1
	s_cbranch_execz .LBB110_347
.LBB110_367:
	v_cmp_ne_u32_e32 vcc_lo, 1, v18
	v_lshlrev_b64 v[0:1], 3, v[8:9]
	s_cbranch_vccnz .LBB110_369
; %bb.368:
	s_delay_alu instid0(VALU_DEP_1) | instskip(NEXT) | instid1(VALU_DEP_2)
	v_add_co_u32 v2, vcc_lo, v19, v0
	v_add_co_ci_u32_e32 v3, vcc_lo, v20, v1, vcc_lo
	flat_load_b64 v[2:3], v[2:3]
	s_waitcnt vmcnt(0) lgkmcnt(0)
	v_mul_f64 v[2:3], v[2:3], s[10:11]
	s_delay_alu instid0(VALU_DEP_1)
	v_cvt_f32_f64_e32 v2, v[2:3]
	s_branch .LBB110_370
.LBB110_369:
	v_mov_b32_e32 v2, 0
.LBB110_370:
	v_max_f32_e32 v3, v126, v126
	s_delay_alu instid0(VALU_DEP_2) | instskip(NEXT) | instid1(VALU_DEP_4)
	v_max_f32_e32 v2, v2, v2
	v_add_co_u32 v0, vcc_lo, v16, v0
	v_add_co_ci_u32_e32 v1, vcc_lo, v17, v1, vcc_lo
	s_delay_alu instid0(VALU_DEP_3) | instskip(NEXT) | instid1(VALU_DEP_1)
	v_min_f32_e32 v2, v2, v3
	v_cvt_f64_f32_e32 v[2:3], v2
	global_store_b64 v[0:1], v[2:3], off
	s_or_b32 exec_lo, exec_lo, s0
	s_and_b32 s1, s5, s8
	s_delay_alu instid0(SALU_CYCLE_1)
	s_and_saveexec_b32 s0, s1
	s_cbranch_execz .LBB110_348
.LBB110_371:
	v_cmp_ne_u32_e32 vcc_lo, 1, v18
	v_lshlrev_b64 v[0:1], 3, v[10:11]
	s_cbranch_vccnz .LBB110_373
; %bb.372:
	s_delay_alu instid0(VALU_DEP_1) | instskip(NEXT) | instid1(VALU_DEP_2)
	v_add_co_u32 v2, vcc_lo, v19, v0
	v_add_co_ci_u32_e32 v3, vcc_lo, v20, v1, vcc_lo
	flat_load_b64 v[2:3], v[2:3]
	s_waitcnt vmcnt(0) lgkmcnt(0)
	v_mul_f64 v[2:3], v[2:3], s[10:11]
	s_delay_alu instid0(VALU_DEP_1)
	v_cvt_f32_f64_e32 v2, v[2:3]
	s_branch .LBB110_374
.LBB110_373:
	v_mov_b32_e32 v2, 0
.LBB110_374:
	s_delay_alu instid0(VALU_DEP_1) | instskip(NEXT) | instid1(VALU_DEP_3)
	v_dual_max_f32 v3, v123, v123 :: v_dual_max_f32 v2, v2, v2
	v_add_co_u32 v0, vcc_lo, v16, v0
	s_delay_alu instid0(VALU_DEP_4) | instskip(NEXT) | instid1(VALU_DEP_3)
	v_add_co_ci_u32_e32 v1, vcc_lo, v17, v1, vcc_lo
	v_min_f32_e32 v2, v2, v3
	s_delay_alu instid0(VALU_DEP_1) | instskip(SKIP_3) | instid1(SALU_CYCLE_1)
	v_cvt_f64_f32_e32 v[2:3], v2
	global_store_b64 v[0:1], v[2:3], off
	s_or_b32 exec_lo, exec_lo, s0
	s_and_b32 s1, s6, s8
	s_and_saveexec_b32 s0, s1
	s_cbranch_execz .LBB110_349
.LBB110_375:
	v_cmp_ne_u32_e32 vcc_lo, 1, v18
	v_lshlrev_b64 v[0:1], 3, v[12:13]
	s_cbranch_vccnz .LBB110_377
; %bb.376:
	s_delay_alu instid0(VALU_DEP_1) | instskip(NEXT) | instid1(VALU_DEP_2)
	v_add_co_u32 v2, vcc_lo, v19, v0
	v_add_co_ci_u32_e32 v3, vcc_lo, v20, v1, vcc_lo
	flat_load_b64 v[2:3], v[2:3]
	s_waitcnt vmcnt(0) lgkmcnt(0)
	v_mul_f64 v[2:3], v[2:3], s[10:11]
	s_delay_alu instid0(VALU_DEP_1)
	v_cvt_f32_f64_e32 v2, v[2:3]
	s_branch .LBB110_378
.LBB110_377:
	v_mov_b32_e32 v2, 0
.LBB110_378:
	v_max_f32_e32 v3, v66, v66
	s_delay_alu instid0(VALU_DEP_2) | instskip(NEXT) | instid1(VALU_DEP_4)
	v_max_f32_e32 v2, v2, v2
	v_add_co_u32 v0, vcc_lo, v16, v0
	v_add_co_ci_u32_e32 v1, vcc_lo, v17, v1, vcc_lo
	s_delay_alu instid0(VALU_DEP_3) | instskip(NEXT) | instid1(VALU_DEP_1)
	v_min_f32_e32 v2, v2, v3
	v_cvt_f64_f32_e32 v[2:3], v2
	global_store_b64 v[0:1], v[2:3], off
	s_or_b32 exec_lo, exec_lo, s0
	s_and_b32 s0, s7, s8
	s_delay_alu instid0(SALU_CYCLE_1)
	s_and_saveexec_b32 s1, s0
	s_cbranch_execz .LBB110_350
.LBB110_379:
	v_cmp_ne_u32_e32 vcc_lo, 1, v18
	v_lshlrev_b64 v[0:1], 3, v[14:15]
	s_cbranch_vccnz .LBB110_381
; %bb.380:
	s_delay_alu instid0(VALU_DEP_1) | instskip(NEXT) | instid1(VALU_DEP_2)
	v_add_co_u32 v2, vcc_lo, v19, v0
	v_add_co_ci_u32_e32 v3, vcc_lo, v20, v1, vcc_lo
	flat_load_b64 v[2:3], v[2:3]
	s_waitcnt vmcnt(0) lgkmcnt(0)
	v_mul_f64 v[2:3], v[2:3], s[10:11]
	s_delay_alu instid0(VALU_DEP_1)
	v_cvt_f32_f64_e32 v2, v[2:3]
	s_branch .LBB110_382
.LBB110_381:
	v_mov_b32_e32 v2, 0
.LBB110_382:
	s_delay_alu instid0(VALU_DEP_1) | instskip(NEXT) | instid1(VALU_DEP_3)
	v_dual_max_f32 v3, v67, v67 :: v_dual_max_f32 v2, v2, v2
	v_add_co_u32 v0, vcc_lo, v16, v0
	s_delay_alu instid0(VALU_DEP_4) | instskip(NEXT) | instid1(VALU_DEP_3)
	v_add_co_ci_u32_e32 v1, vcc_lo, v17, v1, vcc_lo
	v_min_f32_e32 v2, v2, v3
	s_delay_alu instid0(VALU_DEP_1)
	v_cvt_f64_f32_e32 v[2:3], v2
	global_store_b64 v[0:1], v[2:3], off
	s_endpgm
	.section	.rodata,"a",@progbits
	.p2align	6, 0x0
	.amdhsa_kernel _ZN12_GLOBAL__N_120geam_min_plus_kernelId15HIP_vector_typeIdLj2EEdLi32ELi8ELi256ELi64ELi4ELi64ELi4ELi4ELi64ELc78ELc78ELb0ELb1ELb1EdKPKdKPdEEviiiT16_PT17_ilSA_ilS8_SA_ilPT18_ili26rocblas_geam_ex_operation_
		.amdhsa_group_segment_fixed_size 20480
		.amdhsa_private_segment_fixed_size 412
		.amdhsa_kernarg_size 136
		.amdhsa_user_sgpr_count 14
		.amdhsa_user_sgpr_dispatch_ptr 0
		.amdhsa_user_sgpr_queue_ptr 0
		.amdhsa_user_sgpr_kernarg_segment_ptr 1
		.amdhsa_user_sgpr_dispatch_id 0
		.amdhsa_user_sgpr_private_segment_size 0
		.amdhsa_wavefront_size32 1
		.amdhsa_uses_dynamic_stack 0
		.amdhsa_enable_private_segment 1
		.amdhsa_system_sgpr_workgroup_id_x 1
		.amdhsa_system_sgpr_workgroup_id_y 0
		.amdhsa_system_sgpr_workgroup_id_z 1
		.amdhsa_system_sgpr_workgroup_info 0
		.amdhsa_system_vgpr_workitem_id 1
		.amdhsa_next_free_vgpr 256
		.amdhsa_next_free_sgpr 32
		.amdhsa_reserve_vcc 1
		.amdhsa_float_round_mode_32 0
		.amdhsa_float_round_mode_16_64 0
		.amdhsa_float_denorm_mode_32 3
		.amdhsa_float_denorm_mode_16_64 3
		.amdhsa_dx10_clamp 1
		.amdhsa_ieee_mode 1
		.amdhsa_fp16_overflow 0
		.amdhsa_workgroup_processor_mode 1
		.amdhsa_memory_ordered 1
		.amdhsa_forward_progress 0
		.amdhsa_shared_vgpr_count 0
		.amdhsa_exception_fp_ieee_invalid_op 0
		.amdhsa_exception_fp_denorm_src 0
		.amdhsa_exception_fp_ieee_div_zero 0
		.amdhsa_exception_fp_ieee_overflow 0
		.amdhsa_exception_fp_ieee_underflow 0
		.amdhsa_exception_fp_ieee_inexact 0
		.amdhsa_exception_int_div_zero 0
	.end_amdhsa_kernel
	.section	.text._ZN12_GLOBAL__N_120geam_min_plus_kernelId15HIP_vector_typeIdLj2EEdLi32ELi8ELi256ELi64ELi4ELi64ELi4ELi4ELi64ELc78ELc78ELb0ELb1ELb1EdKPKdKPdEEviiiT16_PT17_ilSA_ilS8_SA_ilPT18_ili26rocblas_geam_ex_operation_,"axG",@progbits,_ZN12_GLOBAL__N_120geam_min_plus_kernelId15HIP_vector_typeIdLj2EEdLi32ELi8ELi256ELi64ELi4ELi64ELi4ELi4ELi64ELc78ELc78ELb0ELb1ELb1EdKPKdKPdEEviiiT16_PT17_ilSA_ilS8_SA_ilPT18_ili26rocblas_geam_ex_operation_,comdat
.Lfunc_end110:
	.size	_ZN12_GLOBAL__N_120geam_min_plus_kernelId15HIP_vector_typeIdLj2EEdLi32ELi8ELi256ELi64ELi4ELi64ELi4ELi4ELi64ELc78ELc78ELb0ELb1ELb1EdKPKdKPdEEviiiT16_PT17_ilSA_ilS8_SA_ilPT18_ili26rocblas_geam_ex_operation_, .Lfunc_end110-_ZN12_GLOBAL__N_120geam_min_plus_kernelId15HIP_vector_typeIdLj2EEdLi32ELi8ELi256ELi64ELi4ELi64ELi4ELi4ELi64ELc78ELc78ELb0ELb1ELb1EdKPKdKPdEEviiiT16_PT17_ilSA_ilS8_SA_ilPT18_ili26rocblas_geam_ex_operation_
                                        ; -- End function
	.section	.AMDGPU.csdata,"",@progbits
; Kernel info:
; codeLenInByte = 27880
; NumSgprs: 34
; NumVgprs: 256
; ScratchSize: 412
; MemoryBound: 0
; FloatMode: 240
; IeeeMode: 1
; LDSByteSize: 20480 bytes/workgroup (compile time only)
; SGPRBlocks: 4
; VGPRBlocks: 31
; NumSGPRsForWavesPerEU: 34
; NumVGPRsForWavesPerEU: 256
; Occupancy: 5
; WaveLimiterHint : 1
; COMPUTE_PGM_RSRC2:SCRATCH_EN: 1
; COMPUTE_PGM_RSRC2:USER_SGPR: 14
; COMPUTE_PGM_RSRC2:TRAP_HANDLER: 0
; COMPUTE_PGM_RSRC2:TGID_X_EN: 1
; COMPUTE_PGM_RSRC2:TGID_Y_EN: 0
; COMPUTE_PGM_RSRC2:TGID_Z_EN: 1
; COMPUTE_PGM_RSRC2:TIDIG_COMP_CNT: 1
	.section	.text._ZN12_GLOBAL__N_120geam_min_plus_kernelId15HIP_vector_typeIdLj2EEdLi32ELi8ELi128ELi128ELi4ELi4ELi64ELi4ELi64ELc84ELc78ELb0ELb0ELb1EPKdKS4_KPdEEviiiT16_PT17_ilSA_ilS8_SA_ilPT18_ili26rocblas_geam_ex_operation_,"axG",@progbits,_ZN12_GLOBAL__N_120geam_min_plus_kernelId15HIP_vector_typeIdLj2EEdLi32ELi8ELi128ELi128ELi4ELi4ELi64ELi4ELi64ELc84ELc78ELb0ELb0ELb1EPKdKS4_KPdEEviiiT16_PT17_ilSA_ilS8_SA_ilPT18_ili26rocblas_geam_ex_operation_,comdat
	.globl	_ZN12_GLOBAL__N_120geam_min_plus_kernelId15HIP_vector_typeIdLj2EEdLi32ELi8ELi128ELi128ELi4ELi4ELi64ELi4ELi64ELc84ELc78ELb0ELb0ELb1EPKdKS4_KPdEEviiiT16_PT17_ilSA_ilS8_SA_ilPT18_ili26rocblas_geam_ex_operation_ ; -- Begin function _ZN12_GLOBAL__N_120geam_min_plus_kernelId15HIP_vector_typeIdLj2EEdLi32ELi8ELi128ELi128ELi4ELi4ELi64ELi4ELi64ELc84ELc78ELb0ELb0ELb1EPKdKS4_KPdEEviiiT16_PT17_ilSA_ilS8_SA_ilPT18_ili26rocblas_geam_ex_operation_
	.p2align	8
	.type	_ZN12_GLOBAL__N_120geam_min_plus_kernelId15HIP_vector_typeIdLj2EEdLi32ELi8ELi128ELi128ELi4ELi4ELi64ELi4ELi64ELc84ELc78ELb0ELb0ELb1EPKdKS4_KPdEEviiiT16_PT17_ilSA_ilS8_SA_ilPT18_ili26rocblas_geam_ex_operation_,@function
_ZN12_GLOBAL__N_120geam_min_plus_kernelId15HIP_vector_typeIdLj2EEdLi32ELi8ELi128ELi128ELi4ELi4ELi64ELi4ELi64ELc84ELc78ELb0ELb0ELb1EPKdKS4_KPdEEviiiT16_PT17_ilSA_ilS8_SA_ilPT18_ili26rocblas_geam_ex_operation_: ; @_ZN12_GLOBAL__N_120geam_min_plus_kernelId15HIP_vector_typeIdLj2EEdLi32ELi8ELi128ELi128ELi4ELi4ELi64ELi4ELi64ELc84ELc78ELb0ELb0ELb1EPKdKS4_KPdEEviiiT16_PT17_ilSA_ilS8_SA_ilPT18_ili26rocblas_geam_ex_operation_
; %bb.0:
	s_clause 0x1
	s_load_b128 s[16:19], s[0:1], 0x10
	s_load_b128 s[4:7], s[0:1], 0x28
	s_mov_b32 s2, s15
	s_mov_b32 s3, 0
	s_delay_alu instid0(SALU_CYCLE_1)
	s_lshl_b64 s[22:23], s[2:3], 3
	s_waitcnt lgkmcnt(0)
	s_add_u32 s2, s16, s22
	s_addc_u32 s3, s17, s23
	s_mov_b64 s[16:17], 0
	s_load_b64 s[12:13], s[2:3], 0x0
	s_clause 0x1
	s_load_b128 s[8:11], s[0:1], 0x40
	s_load_b64 s[24:25], s[0:1], 0x50
	s_waitcnt lgkmcnt(0)
	s_add_u32 s2, s10, s22
	v_cmp_eq_f64_e64 s20, s[12:13], 0
	v_cmp_neq_f64_e64 s15, s[12:13], 0
	s_addc_u32 s3, s11, s23
	s_delay_alu instid0(VALU_DEP_2)
	s_and_b32 vcc_lo, exec_lo, s20
	s_mov_b64 s[20:21], 0
	s_cbranch_vccnz .LBB111_2
; %bb.1:
	s_add_u32 s10, s18, s22
	s_addc_u32 s11, s19, s23
	s_lshl_b64 s[4:5], s[4:5], 3
	s_load_b64 s[10:11], s[10:11], 0x0
	s_waitcnt lgkmcnt(0)
	s_add_u32 s20, s10, s4
	s_addc_u32 s21, s11, s5
.LBB111_2:
	s_load_b64 s[10:11], s[2:3], 0x0
	s_delay_alu instid0(VALU_DEP_1) | instskip(SKIP_1) | instid1(VALU_DEP_1)
	v_cndmask_b32_e64 v1, 0, 1, s15
	s_and_not1_b32 vcc_lo, exec_lo, s15
	v_cmp_ne_u32_e64 s3, 1, v1
	s_cbranch_vccnz .LBB111_4
; %bb.3:
	s_add_u32 s4, s6, s22
	s_addc_u32 s5, s7, s23
	s_lshl_b64 s[6:7], s[8:9], 3
	s_load_b64 s[4:5], s[4:5], 0x0
	s_waitcnt lgkmcnt(0)
	s_add_u32 s16, s4, s6
	s_addc_u32 s17, s5, s7
.LBB111_4:
	s_waitcnt lgkmcnt(0)
	v_cmp_eq_f64_e64 s2, s[10:11], 0
	s_load_b128 s[4:7], s[0:1], 0x60
	s_mov_b64 s[8:9], 0
	s_delay_alu instid0(VALU_DEP_1) | instskip(NEXT) | instid1(SALU_CYCLE_1)
	s_and_b32 s2, exec_lo, s2
	s_mov_b32 vcc_lo, s2
	s_cbranch_vccnz .LBB111_6
; %bb.5:
	s_add_u32 s8, s24, s22
	s_addc_u32 s9, s25, s23
	s_waitcnt lgkmcnt(0)
	s_lshl_b64 s[4:5], s[4:5], 3
	s_load_b64 s[8:9], s[8:9], 0x0
	s_waitcnt lgkmcnt(0)
	s_add_u32 s8, s8, s4
	s_addc_u32 s9, s9, s5
.LBB111_6:
	s_clause 0x1
	s_load_b32 s18, s[0:1], 0x0
	s_load_b32 s15, s[0:1], 0x20
	s_waitcnt lgkmcnt(0)
	s_add_u32 s4, s6, s22
	s_addc_u32 s5, s7, s23
	v_and_b32_e32 v44, 0x3ff, v0
	v_bfe_u32 v93, v0, 10, 10
	s_load_b64 s[4:5], s[4:5], 0x0
	s_delay_alu instid0(VALU_DEP_1) | instskip(NEXT) | instid1(VALU_DEP_1)
	v_lshl_add_u32 v0, v93, 5, v44
	v_lshrrev_b32_e32 v20, 2, v0
	v_and_b32_e32 v0, 3, v44
	s_add_i32 s6, s18, -1
	s_delay_alu instid0(VALU_DEP_1) | instskip(SKIP_3) | instid1(SALU_CYCLE_1)
	v_lshlrev_b32_e32 v21, 3, v0
	s_ashr_i32 s7, s6, 31
	scratch_store_b32 off, v0, off offset:380 ; 4-byte Folded Spill
	s_lshr_b32 s7, s7, 25
	s_add_i32 s6, s6, s7
	s_delay_alu instid0(SALU_CYCLE_1) | instskip(NEXT) | instid1(SALU_CYCLE_1)
	s_ashr_i32 s6, s6, 7
	s_add_i32 s18, s6, 1
	s_not_b32 s6, s6
	v_cvt_f32_u32_e32 v1, s18
	s_delay_alu instid0(VALU_DEP_1) | instskip(SKIP_2) | instid1(VALU_DEP_1)
	v_rcp_iflag_f32_e32 v1, v1
	s_waitcnt_depctr 0xfff
	v_mul_f32_e32 v1, 0x4f7ffffe, v1
	v_cvt_u32_f32_e32 v1, v1
	s_delay_alu instid0(VALU_DEP_1) | instskip(NEXT) | instid1(VALU_DEP_1)
	v_readfirstlane_b32 s7, v1
	s_mul_i32 s6, s6, s7
	s_delay_alu instid0(SALU_CYCLE_1) | instskip(NEXT) | instid1(SALU_CYCLE_1)
	s_mul_hi_u32 s6, s7, s6
	s_add_i32 s7, s7, s6
	s_delay_alu instid0(SALU_CYCLE_1) | instskip(NEXT) | instid1(SALU_CYCLE_1)
	s_mul_hi_u32 s6, s14, s7
	s_mul_i32 s7, s6, s18
	s_add_i32 s19, s6, 1
	s_sub_i32 s7, s14, s7
	s_delay_alu instid0(SALU_CYCLE_1)
	s_sub_i32 s22, s7, s18
	s_cmp_ge_u32 s7, s18
	s_cselect_b32 s6, s19, s6
	s_cselect_b32 s7, s22, s7
	s_add_i32 s19, s6, 1
	s_cmp_ge_u32 s7, s18
	s_cselect_b32 s7, s19, s6
	s_and_b32 vcc_lo, exec_lo, s3
	s_mul_i32 s6, s7, s18
	s_delay_alu instid0(SALU_CYCLE_1) | instskip(NEXT) | instid1(SALU_CYCLE_1)
	s_sub_i32 s6, s14, s6
	s_lshl_b32 s6, s6, 7
	s_delay_alu instid0(SALU_CYCLE_1) | instskip(NEXT) | instid1(VALU_DEP_1)
	v_add_nc_u32_e32 v10, s6, v20
	v_add_nc_u32_e32 v12, 64, v10
	s_cbranch_vccnz .LBB111_8
; %bb.7:
	v_mad_i64_i32 v[0:1], null, v10, s15, 0
	s_delay_alu instid0(VALU_DEP_2) | instskip(SKIP_1) | instid1(VALU_DEP_1)
	v_mad_i64_i32 v[2:3], null, v12, s15, 0
	v_add_co_u32 v4, s14, s20, v21
	v_add_co_ci_u32_e64 v5, null, s21, 0, s14
	s_delay_alu instid0(VALU_DEP_4) | instskip(NEXT) | instid1(VALU_DEP_4)
	v_lshlrev_b64 v[0:1], 3, v[0:1]
	v_lshlrev_b64 v[2:3], 3, v[2:3]
	s_delay_alu instid0(VALU_DEP_2) | instskip(NEXT) | instid1(VALU_DEP_3)
	v_add_co_u32 v0, vcc_lo, v4, v0
	v_add_co_ci_u32_e32 v1, vcc_lo, v5, v1, vcc_lo
	s_delay_alu instid0(VALU_DEP_3) | instskip(NEXT) | instid1(VALU_DEP_4)
	v_add_co_u32 v2, vcc_lo, v4, v2
	v_add_co_ci_u32_e32 v3, vcc_lo, v5, v3, vcc_lo
	s_clause 0x1
	flat_load_b64 v[0:1], v[0:1]
	flat_load_b64 v[2:3], v[2:3]
	s_waitcnt vmcnt(1) lgkmcnt(0)
	v_mul_f64 v[0:1], s[12:13], v[0:1]
	s_waitcnt vmcnt(0)
	v_mul_f64 v[2:3], s[12:13], v[2:3]
	s_branch .LBB111_9
.LBB111_8:
	v_mov_b32_e32 v0, 0
	v_dual_mov_b32 v1, 0 :: v_dual_mov_b32 v2, 0
	v_mov_b32_e32 v3, 0
.LBB111_9:
	s_load_b32 s18, s[0:1], 0x38
	s_lshl_b32 s7, s7, 7
	s_and_b32 vcc_lo, exec_lo, s3
	v_add_nc_u32_e32 v97, s7, v20
	s_delay_alu instid0(VALU_DEP_1)
	v_add_nc_u32_e32 v16, 64, v97
	s_cbranch_vccnz .LBB111_13
; %bb.10:
	s_waitcnt lgkmcnt(0)
	v_mad_i64_i32 v[4:5], null, v97, s18, 0
	s_delay_alu instid0(VALU_DEP_2) | instskip(SKIP_1) | instid1(VALU_DEP_1)
	v_mad_i64_i32 v[6:7], null, v16, s18, 0
	v_add_co_u32 v8, s14, s16, v21
	v_add_co_ci_u32_e64 v9, null, s17, 0, s14
	s_delay_alu instid0(VALU_DEP_4) | instskip(NEXT) | instid1(VALU_DEP_4)
	v_lshlrev_b64 v[4:5], 3, v[4:5]
	v_lshlrev_b64 v[6:7], 3, v[6:7]
	s_delay_alu instid0(VALU_DEP_2) | instskip(NEXT) | instid1(VALU_DEP_3)
	v_add_co_u32 v4, vcc_lo, v8, v4
	v_add_co_ci_u32_e32 v5, vcc_lo, v9, v5, vcc_lo
	s_delay_alu instid0(VALU_DEP_3) | instskip(NEXT) | instid1(VALU_DEP_4)
	v_add_co_u32 v6, vcc_lo, v8, v6
	v_add_co_ci_u32_e32 v7, vcc_lo, v9, v7, vcc_lo
	s_clause 0x1
	flat_load_b64 v[4:5], v[4:5]
	flat_load_b64 v[6:7], v[6:7]
	s_waitcnt vmcnt(1) lgkmcnt(1)
	v_mul_f64 v[4:5], s[12:13], v[4:5]
	s_waitcnt vmcnt(0) lgkmcnt(0)
	v_mul_f64 v[6:7], s[12:13], v[6:7]
	s_and_b32 vcc_lo, exec_lo, s3
	s_clause 0x1
	scratch_store_b32 off, v12, off offset:328
	scratch_store_b32 off, v10, off offset:336
	s_cbranch_vccnz .LBB111_14
.LBB111_11:
	v_mad_i64_i32 v[8:9], null, v10, s15, 0
	v_mad_i64_i32 v[10:11], null, v12, s15, 0
	v_add_co_u32 v12, s14, s20, v21
	s_delay_alu instid0(VALU_DEP_1) | instskip(NEXT) | instid1(VALU_DEP_4)
	v_add_co_ci_u32_e64 v13, null, s21, 0, s14
	v_lshlrev_b64 v[8:9], 3, v[8:9]
	s_delay_alu instid0(VALU_DEP_4) | instskip(NEXT) | instid1(VALU_DEP_2)
	v_lshlrev_b64 v[10:11], 3, v[10:11]
	v_add_co_u32 v8, vcc_lo, v12, v8
	s_delay_alu instid0(VALU_DEP_3) | instskip(NEXT) | instid1(VALU_DEP_3)
	v_add_co_ci_u32_e32 v9, vcc_lo, v13, v9, vcc_lo
	v_add_co_u32 v10, vcc_lo, v12, v10
	s_delay_alu instid0(VALU_DEP_4)
	v_add_co_ci_u32_e32 v11, vcc_lo, v13, v11, vcc_lo
	s_clause 0x1
	flat_load_b64 v[8:9], v[8:9] offset:32
	flat_load_b64 v[10:11], v[10:11] offset:32
	s_waitcnt vmcnt(1) lgkmcnt(0)
	v_mul_f64 v[8:9], s[12:13], v[8:9]
	scratch_store_b64 off, v[8:9], off offset:288 ; 8-byte Folded Spill
	s_waitcnt vmcnt(0)
	v_mul_f64 v[8:9], s[12:13], v[10:11]
	s_and_b32 vcc_lo, exec_lo, s3
	s_clause 0x1
	scratch_store_b64 off, v[8:9], off offset:304
	scratch_store_b32 off, v16, off offset:344
	s_cbranch_vccnz .LBB111_15
.LBB111_12:
	s_waitcnt lgkmcnt(0)
	v_mad_i64_i32 v[12:13], null, v97, s18, 0
	v_mad_i64_i32 v[14:15], null, v16, s18, 0
	v_add_co_u32 v8, s14, s16, v21
	s_delay_alu instid0(VALU_DEP_1) | instskip(NEXT) | instid1(VALU_DEP_4)
	v_add_co_ci_u32_e64 v9, null, s17, 0, s14
	v_lshlrev_b64 v[12:13], 3, v[12:13]
	s_delay_alu instid0(VALU_DEP_4) | instskip(NEXT) | instid1(VALU_DEP_2)
	v_lshlrev_b64 v[14:15], 3, v[14:15]
	v_add_co_u32 v12, vcc_lo, v8, v12
	s_delay_alu instid0(VALU_DEP_3) | instskip(NEXT) | instid1(VALU_DEP_3)
	v_add_co_ci_u32_e32 v13, vcc_lo, v9, v13, vcc_lo
	v_add_co_u32 v14, vcc_lo, v8, v14
	s_delay_alu instid0(VALU_DEP_4)
	v_add_co_ci_u32_e32 v15, vcc_lo, v9, v15, vcc_lo
	s_clause 0x1
	flat_load_b64 v[12:13], v[12:13] offset:32
	flat_load_b64 v[14:15], v[14:15] offset:32
	s_waitcnt vmcnt(1) lgkmcnt(1)
	v_mul_f64 v[8:9], s[12:13], v[12:13]
	scratch_store_b64 off, v[8:9], off offset:312 ; 8-byte Folded Spill
	s_waitcnt vmcnt(0) lgkmcnt(0)
	v_mul_f64 v[8:9], s[12:13], v[14:15]
	s_branch .LBB111_16
.LBB111_13:
	v_mov_b32_e32 v4, 0
	v_dual_mov_b32 v5, 0 :: v_dual_mov_b32 v6, 0
	v_mov_b32_e32 v7, 0
	s_and_b32 vcc_lo, exec_lo, s3
	s_clause 0x1
	scratch_store_b32 off, v12, off offset:328
	scratch_store_b32 off, v10, off offset:336
	s_cbranch_vccz .LBB111_11
.LBB111_14:
	v_mov_b32_e32 v8, 0
	v_mov_b32_e32 v9, 0
	scratch_store_b64 off, v[8:9], off offset:288 ; 8-byte Folded Spill
	v_mov_b32_e32 v8, 0
	v_mov_b32_e32 v9, 0
	s_and_b32 vcc_lo, exec_lo, s3
	s_clause 0x1
	scratch_store_b64 off, v[8:9], off offset:304
	scratch_store_b32 off, v16, off offset:344
	s_cbranch_vccz .LBB111_12
.LBB111_15:
	v_mov_b32_e32 v8, 0
	v_mov_b32_e32 v9, 0
	scratch_store_b64 off, v[8:9], off offset:312 ; 8-byte Folded Spill
	v_mov_b32_e32 v8, 0
	v_mov_b32_e32 v9, 0
.LBB111_16:
	scratch_store_b64 off, v[8:9], off offset:320 ; 8-byte Folded Spill
	v_lshl_or_b32 v8, v20, 5, v21
	v_dual_mov_b32 v255, 0x7f800000 :: v_dual_mov_b32 v228, 0x7f800000
	v_dual_mov_b32 v211, 0x7f800000 :: v_dual_mov_b32 v214, 0x7f800000
	ds_store_2addr_stride64_b64 v8, v[0:1], v[2:3] offset1:4
	v_add_nc_u32_e32 v0, 0x2000, v8
	v_dual_mov_b32 v213, 0x7f800000 :: v_dual_mov_b32 v230, 0x7f800000
	v_dual_mov_b32 v215, 0x7f800000 :: v_dual_mov_b32 v238, 0x7f800000
	;; [unrolled: 1-line block ×27, first 2 shown]
	v_mov_b32_e32 v171, 0x7f800000
	v_mov_b32_e32 v173, 0x7f800000
	;; [unrolled: 1-line block ×6, first 2 shown]
	s_mov_b32 s19, 0
	s_mov_b32 s14, -1
	s_clause 0x1
	scratch_store_b32 off, v0, off offset:384
	scratch_store_b32 off, v8, off offset:376
	ds_store_2addr_stride64_b64 v8, v[4:5], v[6:7] offset0:16 offset1:20
	s_waitcnt lgkmcnt(0)
	s_waitcnt_vscnt null, 0x0
	s_barrier
	buffer_gl0_inv
	s_clause 0x1
	scratch_store_b32 off, v44, off offset:296
	scratch_store_b32 off, v93, off offset:300
.LBB111_17:                             ; =>This Inner Loop Header: Depth=1
	s_lshl_b32 s19, s19, 3
	v_dual_mov_b32 v210, v113 :: v_dual_mov_b32 v221, v114
	s_waitcnt vmcnt(1)
	v_lshl_add_u32 v20, v93, 5, s19
	s_waitcnt vmcnt(0)
	v_lshl_add_u32 v8, v44, 5, s19
	v_dual_mov_b32 v206, v109 :: v_dual_mov_b32 v117, v234
	ds_load_b128 v[21:24], v20 offset:8192
	ds_load_b128 v[0:3], v8
	ds_load_b128 v[4:7], v8 offset:1024
	ds_load_b128 v[25:28], v20 offset:8448
	v_mov_b32_e32 v208, v111
	v_mov_b32_e32 v220, v115
	;; [unrolled: 1-line block ×4, first 2 shown]
	s_mov_b32 s19, 2
	s_and_not1_b32 vcc_lo, exec_lo, s14
	s_mov_b32 s14, 0
	s_waitcnt lgkmcnt(2)
	v_add_f64 v[9:10], v[2:3], v[23:24]
	scratch_store_b64 off, v[9:10], off offset:16 ; 8-byte Folded Spill
	v_add_f64 v[9:10], v[0:1], v[21:22]
	scratch_store_b64 off, v[9:10], off offset:48 ; 8-byte Folded Spill
	s_waitcnt lgkmcnt(1)
	v_add_f64 v[9:10], v[6:7], v[23:24]
	scratch_store_b64 off, v[9:10], off     ; 8-byte Folded Spill
	v_add_f64 v[9:10], v[4:5], v[21:22]
	scratch_store_b64 off, v[9:10], off offset:32 ; 8-byte Folded Spill
	ds_load_b128 v[29:32], v8 offset:2048
	ds_load_b128 v[33:36], v8 offset:3072
	s_waitcnt lgkmcnt(1)
	v_add_f64 v[8:9], v[31:32], v[23:24]
	scratch_store_b64 off, v[8:9], off offset:24 ; 8-byte Folded Spill
	v_add_f64 v[8:9], v[29:30], v[21:22]
	scratch_store_b64 off, v[8:9], off offset:56 ; 8-byte Folded Spill
	s_waitcnt lgkmcnt(0)
	v_add_f64 v[8:9], v[35:36], v[23:24]
	scratch_store_b64 off, v[8:9], off offset:8 ; 8-byte Folded Spill
	v_add_f64 v[8:9], v[33:34], v[21:22]
	scratch_store_b64 off, v[8:9], off offset:40 ; 8-byte Folded Spill
	;; [unrolled: 2-line block ×10, first 2 shown]
	ds_load_b128 v[21:24], v20 offset:8704
	ds_load_b128 v[25:28], v20 offset:8960
	s_waitcnt lgkmcnt(1)
	v_add_f64 v[8:9], v[2:3], v[23:24]
	scratch_store_b64 off, v[8:9], off offset:160 ; 8-byte Folded Spill
	v_add_f64 v[8:9], v[0:1], v[21:22]
	scratch_store_b64 off, v[8:9], off offset:184 ; 8-byte Folded Spill
	;; [unrolled: 2-line block ×8, first 2 shown]
	s_waitcnt lgkmcnt(0)
	v_add_f64 v[8:9], v[2:3], v[27:28]
	scratch_store_b64 off, v[8:9], off offset:192 ; 8-byte Folded Spill
	v_add_f64 v[8:9], v[0:1], v[25:26]
	scratch_store_b64 off, v[8:9], off offset:200 ; 8-byte Folded Spill
	;; [unrolled: 2-line block ×8, first 2 shown]
	ds_load_b128 v[21:24], v20 offset:9216
	ds_load_b128 v[25:28], v20 offset:9472
	s_waitcnt lgkmcnt(1)
	v_add_f64 v[8:9], v[6:7], v[23:24]
	v_add_f64 v[113:114], v[2:3], v[23:24]
	;; [unrolled: 1-line block ×5, first 2 shown]
	s_waitcnt lgkmcnt(0)
	v_add_f64 v[140:141], v[2:3], v[27:28]
	v_add_f64 v[189:190], v[0:1], v[25:26]
	;; [unrolled: 1-line block ×8, first 2 shown]
	scratch_store_b64 off, v[8:9], off offset:272 ; 8-byte Folded Spill
	v_add_f64 v[8:9], v[31:32], v[23:24]
	scratch_store_b64 off, v[8:9], off offset:264 ; 8-byte Folded Spill
	v_add_f64 v[8:9], v[35:36], v[23:24]
	;; [unrolled: 2-line block ×3, first 2 shown]
	scratch_store_b64 off, v[8:9], off offset:280 ; 8-byte Folded Spill
	ds_load_b128 v[21:24], v20 offset:9728
	ds_load_b128 v[25:28], v20 offset:9984
	s_waitcnt lgkmcnt(1)
	v_add_f64 v[203:204], v[2:3], v[23:24]
	v_add_f64 v[130:131], v[0:1], v[21:22]
	v_add_f64 v[138:139], v[6:7], v[23:24]
	v_add_f64 v[128:129], v[4:5], v[21:22]
	v_add_f64 v[136:137], v[31:32], v[23:24]
	v_add_f64 v[126:127], v[29:30], v[21:22]
	v_add_f64 v[134:135], v[35:36], v[23:24]
	v_add_f64 v[98:99], v[33:34], v[21:22]
	s_waitcnt lgkmcnt(0)
	v_add_f64 v[132:133], v[2:3], v[27:28]
	v_add_f64 v[142:143], v[0:1], v[25:26]
	v_add_f64 v[144:145], v[6:7], v[27:28]
	v_add_f64 v[146:147], v[4:5], v[25:26]
	v_add_f64 v[14:15], v[31:32], v[27:28]
	v_add_f64 v[150:151], v[29:30], v[25:26]
	v_add_f64 v[152:153], v[35:36], v[27:28]
	v_add_f64 v[233:234], v[33:34], v[25:26]
	ds_load_b128 v[21:24], v20 offset:10240
	ds_load_b128 v[25:28], v20 offset:10496
	s_waitcnt lgkmcnt(1)
	v_add_f64 v[154:155], v[2:3], v[23:24]
	v_add_f64 v[156:157], v[0:1], v[21:22]
	v_add_f64 v[239:240], v[6:7], v[23:24]
	v_add_f64 v[241:242], v[4:5], v[21:22]
	v_add_f64 v[243:244], v[31:32], v[23:24]
	v_add_f64 v[245:246], v[29:30], v[21:22]
	v_add_f64 v[247:248], v[35:36], v[23:24]
	v_add_f64 v[249:250], v[33:34], v[21:22]
	s_waitcnt lgkmcnt(0)
	v_add_f64 v[251:252], v[2:3], v[27:28]
	v_add_f64 v[253:254], v[0:1], v[25:26]
	v_add_f64 v[107:108], v[6:7], v[27:28]
	v_add_f64 v[103:104], v[4:5], v[25:26]
	v_add_f64 v[105:106], v[31:32], v[27:28]
	v_add_f64 v[101:102], v[29:30], v[25:26]
	v_add_f64 v[95:96], v[35:36], v[27:28]
	v_add_f64 v[120:121], v[33:34], v[25:26]
	;; [unrolled: 20-line block ×4, first 2 shown]
	ds_load_b128 v[21:24], v20 offset:11776
	ds_load_b128 v[25:28], v20 offset:12032
	s_waitcnt lgkmcnt(1)
	v_add_f64 v[8:9], v[0:1], v[21:22]
	v_add_f64 v[10:11], v[4:5], v[21:22]
	;; [unrolled: 1-line block ×4, first 2 shown]
	s_waitcnt lgkmcnt(0)
	v_add_f64 v[0:1], v[0:1], v[25:26]
	v_add_f64 v[4:5], v[4:5], v[25:26]
	;; [unrolled: 1-line block ×4, first 2 shown]
	scratch_load_b64 v[33:34], off, off offset:48 ; 8-byte Folded Reload
	v_add_f64 v[12:13], v[2:3], v[23:24]
	v_add_f64 v[2:3], v[2:3], v[27:28]
	;; [unrolled: 1-line block ×8, first 2 shown]
	v_cvt_f32_f64_e32 v8, v[8:9]
	v_cvt_f32_f64_e32 v0, v[0:1]
	;; [unrolled: 1-line block ×4, first 2 shown]
	s_delay_alu instid0(VALU_DEP_2) | instskip(SKIP_2) | instid1(VALU_DEP_4)
	v_min3_f32 v217, v8, v9, v217
	v_cvt_f32_f64_e32 v8, v[10:11]
	v_cvt_f32_f64_e32 v9, v[16:17]
	v_min3_f32 v213, v0, v1, v213
	v_cvt_f32_f64_e32 v0, v[4:5]
	v_cvt_f32_f64_e32 v1, v[6:7]
	s_delay_alu instid0(VALU_DEP_4) | instskip(SKIP_2) | instid1(VALU_DEP_4)
	v_min3_f32 v230, v8, v9, v230
	v_cvt_f32_f64_e32 v8, v[148:149]
	v_cvt_f32_f64_e32 v9, v[18:19]
	v_min3_f32 v228, v0, v1, v228
	v_cvt_f32_f64_e32 v0, v[29:30]
	v_cvt_f32_f64_e32 v1, v[31:32]
	s_delay_alu instid0(VALU_DEP_4) | instskip(SKIP_2) | instid1(VALU_DEP_4)
	v_min3_f32 v215, v8, v9, v215
	v_cvt_f32_f64_e32 v8, v[20:21]
	v_cvt_f32_f64_e32 v9, v[23:24]
	v_min3_f32 v211, v0, v1, v211
	v_cvt_f32_f64_e32 v0, v[25:26]
	v_cvt_f32_f64_e32 v1, v[27:28]
	s_delay_alu instid0(VALU_DEP_4) | instskip(NEXT) | instid1(VALU_DEP_2)
	v_min3_f32 v214, v8, v9, v214
	v_min3_f32 v255, v0, v1, v255
	s_waitcnt vmcnt(0)
	v_cvt_f32_f64_e32 v22, v[33:34]
	scratch_load_b64 v[33:34], off, off offset:16 ; 8-byte Folded Reload
	s_waitcnt vmcnt(0)
	v_cvt_f32_f64_e32 v33, v[33:34]
	s_delay_alu instid0(VALU_DEP_1)
	v_min3_f32 v183, v22, v33, v183
	scratch_load_b64 v[33:34], off, off offset:32 ; 8-byte Folded Reload
	s_waitcnt vmcnt(0)
	v_cvt_f32_f64_e32 v22, v[33:34]
	scratch_load_b64 v[33:34], off, off     ; 8-byte Folded Reload
	s_waitcnt vmcnt(0)
	v_cvt_f32_f64_e32 v33, v[33:34]
	s_delay_alu instid0(VALU_DEP_1)
	v_min3_f32 v182, v22, v33, v182
	scratch_load_b64 v[33:34], off, off offset:56 ; 8-byte Folded Reload
	s_waitcnt vmcnt(0)
	v_cvt_f32_f64_e32 v22, v[33:34]
	scratch_load_b64 v[33:34], off, off offset:24 ; 8-byte Folded Reload
	s_waitcnt vmcnt(0)
	v_cvt_f32_f64_e32 v33, v[33:34]
	s_delay_alu instid0(VALU_DEP_1)
	v_min3_f32 v181, v22, v33, v181
	scratch_load_b64 v[33:34], off, off offset:40 ; 8-byte Folded Reload
	s_waitcnt vmcnt(0)
	v_cvt_f32_f64_e32 v22, v[33:34]
	scratch_load_b64 v[33:34], off, off offset:8 ; 8-byte Folded Reload
	;; [unrolled: 8-line block ×14, first 2 shown]
	s_waitcnt vmcnt(0)
	v_cvt_f32_f64_e32 v33, v[33:34]
	s_delay_alu instid0(VALU_DEP_1) | instskip(SKIP_4) | instid1(VALU_DEP_3)
	v_min3_f32 v166, v22, v33, v166
	v_cvt_f32_f64_e32 v22, v[109:110]
	v_cvt_f32_f64_e32 v33, v[113:114]
	v_mov_b32_e32 v109, v206
	v_mov_b32_e32 v113, v210
	v_min3_f32 v165, v22, v33, v165
	scratch_load_b64 v[33:34], off, off offset:272 ; 8-byte Folded Reload
	v_cvt_f32_f64_e32 v22, v[111:112]
	v_dual_mov_b32 v111, v208 :: v_dual_mov_b32 v114, v221
	s_waitcnt vmcnt(0)
	v_cvt_f32_f64_e32 v33, v[33:34]
	s_delay_alu instid0(VALU_DEP_1)
	v_min3_f32 v164, v22, v33, v164
	scratch_load_b64 v[33:34], off, off offset:264 ; 8-byte Folded Reload
	v_cvt_f32_f64_e32 v22, v[115:116]
	v_mov_b32_e32 v115, v220
	s_waitcnt vmcnt(0)
	v_cvt_f32_f64_e32 v33, v[33:34]
	s_delay_alu instid0(VALU_DEP_1)
	v_min3_f32 v232, v22, v33, v232
	scratch_load_b64 v[33:34], off, off offset:280 ; 8-byte Folded Reload
	s_waitcnt vmcnt(0)
	v_cvt_f32_f64_e32 v22, v[33:34]
	scratch_load_b64 v[33:34], off, off offset:256 ; 8-byte Folded Reload
	s_waitcnt vmcnt(0)
	v_cvt_f32_f64_e32 v33, v[33:34]
	s_delay_alu instid0(VALU_DEP_1) | instskip(SKIP_2) | instid1(VALU_DEP_1)
	v_min3_f32 v231, v22, v33, v231
	v_cvt_f32_f64_e32 v22, v[189:190]
	v_cvt_f32_f64_e32 v33, v[140:141]
	v_min3_f32 v212, v22, v33, v212
	v_cvt_f32_f64_e32 v22, v[193:194]
	v_cvt_f32_f64_e32 v33, v[191:192]
	s_delay_alu instid0(VALU_DEP_1) | instskip(SKIP_2) | instid1(VALU_DEP_1)
	v_min3_f32 v188, v22, v33, v188
	v_cvt_f32_f64_e32 v22, v[197:198]
	v_cvt_f32_f64_e32 v33, v[195:196]
	v_min3_f32 v229, v22, v33, v229
	v_cvt_f32_f64_e32 v22, v[201:202]
	;; [unrolled: 7-line block ×6, first 2 shown]
	v_mov_b32_e32 v233, v100
	v_cvt_f32_f64_e32 v33, v[152:153]
	v_mov_b32_e32 v234, v117
	s_delay_alu instid0(VALU_DEP_2) | instskip(SKIP_3) | instid1(VALU_DEP_2)
	v_min3_f32 v207, v22, v33, v207
	v_cvt_f32_f64_e32 v22, v[156:157]
	v_cvt_f32_f64_e32 v33, v[154:155]
	v_mov_b32_e32 v155, v226
	v_min3_f32 v109, v22, v33, v109
	v_cvt_f32_f64_e32 v22, v[241:242]
	v_cvt_f32_f64_e32 v33, v[239:240]
	s_delay_alu instid0(VALU_DEP_1) | instskip(SKIP_2) | instid1(VALU_DEP_1)
	v_min3_f32 v205, v22, v33, v205
	v_cvt_f32_f64_e32 v22, v[245:246]
	v_cvt_f32_f64_e32 v33, v[243:244]
	v_min3_f32 v187, v22, v33, v187
	v_cvt_f32_f64_e32 v22, v[249:250]
	v_cvt_f32_f64_e32 v33, v[247:248]
	s_delay_alu instid0(VALU_DEP_1) | instskip(SKIP_2) | instid1(VALU_DEP_1)
	v_min3_f32 v186, v22, v33, v186
	v_cvt_f32_f64_e32 v22, v[253:254]
	v_cvt_f32_f64_e32 v33, v[251:252]
	;; [unrolled: 7-line block ×5, first 2 shown]
	v_min3_f32 v155, v22, v33, v155
	v_cvt_f32_f64_e32 v22, v[87:88]
	v_cvt_f32_f64_e32 v33, v[93:94]
	scratch_load_b32 v93, off, off offset:300 ; 4-byte Folded Reload
	v_min3_f32 v160, v22, v33, v160
	v_cvt_f32_f64_e32 v22, v[75:76]
	v_cvt_f32_f64_e32 v33, v[79:80]
	s_delay_alu instid0(VALU_DEP_1) | instskip(SKIP_2) | instid1(VALU_DEP_1)
	v_min3_f32 v159, v22, v33, v159
	v_cvt_f32_f64_e32 v22, v[63:64]
	v_cvt_f32_f64_e32 v33, v[77:78]
	v_min3_f32 v158, v22, v33, v158
	v_cvt_f32_f64_e32 v22, v[122:123]
	v_cvt_f32_f64_e32 v33, v[73:74]
	s_delay_alu instid0(VALU_DEP_1) | instskip(SKIP_2) | instid1(VALU_DEP_1)
	v_min3_f32 v236, v22, v33, v236
	v_cvt_f32_f64_e32 v22, v[69:70]
	v_cvt_f32_f64_e32 v33, v[71:72]
	v_min3_f32 v234, v22, v33, v234
	v_cvt_f32_f64_e32 v22, v[37:38]
	v_cvt_f32_f64_e32 v33, v[118:119]
	s_delay_alu instid0(VALU_DEP_1) | instskip(SKIP_3) | instid1(VALU_DEP_1)
	v_min3_f32 v233, v22, v33, v233
	v_cvt_f32_f64_e32 v33, v[43:44]
	scratch_load_b32 v44, off, off offset:296 ; 4-byte Folded Reload
	v_cvt_f32_f64_e32 v22, v[39:40]
	v_min3_f32 v222, v22, v33, v222
	v_cvt_f32_f64_e32 v22, v[41:42]
	v_cvt_f32_f64_e32 v33, v[47:48]
	s_delay_alu instid0(VALU_DEP_1) | instskip(SKIP_2) | instid1(VALU_DEP_1)
	v_min3_f32 v225, v22, v33, v225
	v_cvt_f32_f64_e32 v22, v[45:46]
	v_cvt_f32_f64_e32 v33, v[51:52]
	v_min3_f32 v224, v22, v33, v224
	v_cvt_f32_f64_e32 v22, v[65:66]
	v_cvt_f32_f64_e32 v33, v[67:68]
	s_delay_alu instid0(VALU_DEP_1) | instskip(SKIP_2) | instid1(VALU_DEP_1)
	v_min3_f32 v223, v22, v33, v223
	v_cvt_f32_f64_e32 v22, v[59:60]
	;; [unrolled: 7-line block ×3, first 2 shown]
	v_cvt_f32_f64_e32 v33, v[49:50]
	v_min3_f32 v237, v22, v33, v237
	s_cbranch_vccz .LBB111_17
; %bb.18:
	s_clause 0x2
	scratch_load_b32 v8, off, off offset:376
	scratch_load_b64 v[0:1], off, off offset:288
	scratch_load_b64 v[2:3], off, off offset:304
	s_load_b32 s19, s[0:1], 0x8
	v_dual_mov_b32 v90, v218 :: v_dual_mov_b32 v107, v187
	v_dual_mov_b32 v88, v209 :: v_dual_mov_b32 v37, v184
	;; [unrolled: 1-line block ×5, first 2 shown]
	v_mov_b32_e32 v36, v178
	v_mov_b32_e32 v226, v162
	v_dual_mov_b32 v100, v160 :: v_dual_mov_b32 v235, v158
	v_mov_b32_e32 v74, v159
	s_mov_b32 s14, 8
	s_waitcnt lgkmcnt(0)
	s_cmp_gt_i32 s19, 8
	s_waitcnt vmcnt(0)
	ds_store_2addr_stride64_b64 v8, v[0:1], v[2:3] offset0:8 offset1:12
	s_clause 0x1
	scratch_load_b64 v[0:1], off, off offset:312
	scratch_load_b64 v[2:3], off, off offset:320
	s_waitcnt vmcnt(0)
	ds_store_2addr_stride64_b64 v8, v[0:1], v[2:3] offset0:24 offset1:28
	s_waitcnt lgkmcnt(0)
	s_waitcnt_vscnt null, 0x0
	s_barrier
	buffer_gl0_inv
	s_cbranch_scc0 .LBB111_37
; %bb.19:
	s_clause 0x2
	scratch_load_b32 v2, off, off offset:336
	scratch_load_b32 v9, off, off offset:344
	;; [unrolled: 1-line block ×3, first 2 shown]
	v_mov_b32_e32 v149, v222
	s_waitcnt vmcnt(2)
	v_mad_i64_i32 v[0:1], null, v2, s15, 0
	s_waitcnt vmcnt(0)
	v_mad_i64_i32 v[2:3], null, v4, s15, 0
	v_mad_i64_i32 v[6:7], null, v9, s18, 0
	v_add_nc_u32_e32 v9, 0x1000, v8
	v_mad_i64_i32 v[4:5], null, v97, s18, 0
	v_lshlrev_b64 v[0:1], 3, v[0:1]
	v_add_nc_u32_e32 v8, 0x3000, v8
	scratch_store_b32 off, v9, off offset:388 ; 4-byte Folded Spill
	s_add_i32 s15, s19, -8
	s_mov_b32 s18, 0
	scratch_store_b64 off, v[0:1], off offset:344 ; 8-byte Folded Spill
	v_lshlrev_b64 v[0:1], 3, v[2:3]
	s_clause 0x1
	scratch_store_b32 off, v8, off offset:392
	scratch_store_b64 off, v[0:1], off offset:352
	v_lshlrev_b64 v[0:1], 3, v[4:5]
	scratch_store_b64 off, v[0:1], off offset:360 ; 8-byte Folded Spill
	v_lshlrev_b64 v[0:1], 3, v[6:7]
	v_mov_b32_e32 v7, 0
	scratch_store_b64 off, v[0:1], off offset:368 ; 8-byte Folded Spill
	scratch_load_b32 v0, off, off offset:380 ; 4-byte Folded Reload
	s_and_b32 vcc_lo, exec_lo, s3
	s_waitcnt vmcnt(0)
	v_or_b32_e32 v6, s14, v0
	s_cbranch_vccz .LBB111_22
	s_branch .LBB111_21
.LBB111_20:
	s_clause 0x1
	scratch_load_b64 v[6:7], off, off offset:304
	scratch_load_b32 v0, off, off offset:380
	s_and_b32 vcc_lo, exec_lo, s3
	s_waitcnt vmcnt(0)
	v_or_b32_e32 v6, s14, v0
	s_cbranch_vccz .LBB111_22
.LBB111_21:
	v_mov_b32_e32 v0, 0
	v_mov_b32_e32 v1, 0
	scratch_store_b64 off, v[0:1], off offset:288 ; 8-byte Folded Spill
	v_mov_b32_e32 v0, 0
	v_mov_b32_e32 v1, 0
	s_branch .LBB111_23
.LBB111_22:
	s_delay_alu instid0(VALU_DEP_1)
	v_lshlrev_b64 v[0:1], 3, v[6:7]
	scratch_load_b64 v[4:5], off, off offset:352 ; 8-byte Folded Reload
	v_add_co_u32 v2, vcc_lo, s20, v0
	v_add_co_ci_u32_e32 v3, vcc_lo, s21, v1, vcc_lo
	scratch_load_b64 v[0:1], off, off offset:344 ; 8-byte Folded Reload
	s_waitcnt vmcnt(0)
	v_add_co_u32 v0, vcc_lo, v2, v0
	v_add_co_ci_u32_e32 v1, vcc_lo, v3, v1, vcc_lo
	v_add_co_u32 v2, vcc_lo, v2, v4
	v_add_co_ci_u32_e32 v3, vcc_lo, v3, v5, vcc_lo
	s_clause 0x1
	flat_load_b64 v[0:1], v[0:1]
	flat_load_b64 v[2:3], v[2:3]
	s_waitcnt vmcnt(1) lgkmcnt(1)
	v_mul_f64 v[0:1], s[12:13], v[0:1]
	scratch_store_b64 off, v[0:1], off offset:288 ; 8-byte Folded Spill
	s_waitcnt vmcnt(0) lgkmcnt(0)
	v_mul_f64 v[0:1], s[12:13], v[2:3]
.LBB111_23:
	v_mov_b32_e32 v154, v225
	v_mov_b32_e32 v148, v114
	;; [unrolled: 1-line block ×3, first 2 shown]
	s_and_b32 vcc_lo, exec_lo, s3
	s_clause 0x1
	scratch_store_b64 off, v[0:1], off offset:312
	scratch_store_b64 off, v[6:7], off offset:304
	s_cbranch_vccnz .LBB111_25
; %bb.24:
	v_lshlrev_b64 v[0:1], 3, v[6:7]
	scratch_load_b64 v[4:5], off, off offset:368 ; 8-byte Folded Reload
	v_add_co_u32 v2, vcc_lo, s16, v0
	v_add_co_ci_u32_e32 v3, vcc_lo, s17, v1, vcc_lo
	scratch_load_b64 v[0:1], off, off offset:360 ; 8-byte Folded Reload
	s_waitcnt vmcnt(0)
	v_add_co_u32 v0, vcc_lo, v2, v0
	v_add_co_ci_u32_e32 v1, vcc_lo, v3, v1, vcc_lo
	v_add_co_u32 v2, vcc_lo, v2, v4
	v_add_co_ci_u32_e32 v3, vcc_lo, v3, v5, vcc_lo
	s_clause 0x1
	flat_load_b64 v[0:1], v[0:1]
	flat_load_b64 v[2:3], v[2:3]
	s_waitcnt vmcnt(1) lgkmcnt(1)
	v_mul_f64 v[0:1], s[12:13], v[0:1]
	scratch_store_b64 off, v[0:1], off offset:320 ; 8-byte Folded Spill
	s_waitcnt vmcnt(0) lgkmcnt(0)
	v_mul_f64 v[0:1], s[12:13], v[2:3]
	s_branch .LBB111_26
.LBB111_25:
	v_mov_b32_e32 v0, 0
	v_mov_b32_e32 v1, 0
	scratch_store_b64 off, v[0:1], off offset:320 ; 8-byte Folded Spill
	v_mov_b32_e32 v0, 0
	v_mov_b32_e32 v1, 0
.LBB111_26:
	v_dual_mov_b32 v160, v237 :: v_dual_mov_b32 v237, v235
	v_dual_mov_b32 v222, v238 :: v_dual_mov_b32 v225, v100
	;; [unrolled: 1-line block ×3, first 2 shown]
	v_mov_b32_e32 v114, v90
	s_mov_b32 s22, 0
	s_mov_b32 s19, -1
	scratch_store_b64 off, v[0:1], off offset:328 ; 8-byte Folded Spill
.LBB111_27:                             ; =>This Inner Loop Header: Depth=1
	s_lshl_b32 s22, s22, 3
	v_mov_b32_e32 v210, v255
	v_lshl_add_u32 v189, v93, 5, s22
	v_lshl_add_u32 v8, v44, 5, s22
	s_mov_b32 s22, 2
	s_and_not1_b32 vcc_lo, exec_lo, s19
	s_mov_b32 s19, 0
	ds_load_b128 v[38:41], v189 offset:12288
	ds_load_b128 v[0:3], v8 offset:4096
	;; [unrolled: 1-line block ×4, first 2 shown]
	s_waitcnt lgkmcnt(2)
	v_add_f64 v[140:141], v[2:3], v[40:41]
	s_waitcnt lgkmcnt(1)
	v_add_f64 v[9:10], v[6:7], v[40:41]
	v_add_f64 v[142:143], v[0:1], v[38:39]
	s_delay_alu instid0(VALU_DEP_3)
	v_cvt_f32_f64_e32 v140, v[140:141]
	scratch_store_b64 off, v[9:10], off     ; 8-byte Folded Spill
	v_add_f64 v[9:10], v[4:5], v[38:39]
	v_cvt_f32_f64_e32 v142, v[142:143]
	scratch_store_b64 off, v[9:10], off offset:24 ; 8-byte Folded Spill
	ds_load_b128 v[190:193], v8 offset:6144
	ds_load_b128 v[194:197], v8 offset:7168
	v_min3_f32 v183, v142, v140, v183
	s_waitcnt lgkmcnt(1)
	v_add_f64 v[8:9], v[192:193], v[40:41]
	scratch_store_b64 off, v[8:9], off offset:16 ; 8-byte Folded Spill
	v_add_f64 v[8:9], v[190:191], v[38:39]
	scratch_store_b64 off, v[8:9], off offset:40 ; 8-byte Folded Spill
	s_waitcnt lgkmcnt(0)
	v_add_f64 v[8:9], v[196:197], v[40:41]
	scratch_store_b64 off, v[8:9], off offset:8 ; 8-byte Folded Spill
	v_add_f64 v[8:9], v[194:195], v[38:39]
	scratch_store_b64 off, v[8:9], off offset:32 ; 8-byte Folded Spill
	;; [unrolled: 2-line block ×10, first 2 shown]
	v_mov_b32_e32 v8, v71
	ds_load_b128 v[70:73], v189 offset:12800
	ds_load_b128 v[84:87], v189 offset:13056
	s_waitcnt lgkmcnt(1)
	v_add_f64 v[9:10], v[2:3], v[72:73]
	s_waitcnt lgkmcnt(0)
	v_add_f64 v[66:67], v[190:191], v[84:85]
	v_add_f64 v[54:55], v[194:195], v[84:85]
	scratch_store_b64 off, v[9:10], off offset:144 ; 8-byte Folded Spill
	v_add_f64 v[9:10], v[0:1], v[70:71]
	v_cvt_f32_f64_e32 v66, v[66:67]
	scratch_store_b64 off, v[9:10], off offset:168 ; 8-byte Folded Spill
	v_add_f64 v[9:10], v[6:7], v[72:73]
	scratch_store_b64 off, v[9:10], off offset:128 ; 8-byte Folded Spill
	v_add_f64 v[9:10], v[4:5], v[70:71]
	;; [unrolled: 2-line block ×5, first 2 shown]
	v_add_f64 v[72:73], v[0:1], v[84:85]
	scratch_store_b64 off, v[9:10], off offset:112 ; 8-byte Folded Spill
	v_add_f64 v[9:10], v[194:195], v[70:71]
	v_add_f64 v[70:71], v[4:5], v[84:85]
	v_cvt_f32_f64_e32 v72, v[72:73]
	scratch_store_b64 off, v[9:10], off offset:136 ; 8-byte Folded Spill
	v_add_f64 v[9:10], v[2:3], v[86:87]
	v_cvt_f32_f64_e32 v70, v[70:71]
	scratch_store_b64 off, v[9:10], off offset:176 ; 8-byte Folded Spill
	v_add_f64 v[9:10], v[6:7], v[86:87]
	scratch_store_b64 off, v[9:10], off offset:184 ; 8-byte Folded Spill
	v_add_f64 v[9:10], v[192:193], v[86:87]
	;; [unrolled: 2-line block ×3, first 2 shown]
	scratch_store_b64 off, v[9:10], off offset:200 ; 8-byte Folded Spill
	ds_load_b128 v[102:105], v189 offset:13312
	ds_load_b128 v[198:201], v189 offset:13568
	s_waitcnt lgkmcnt(1)
	v_add_f64 v[9:10], v[2:3], v[104:105]
	v_add_f64 v[30:31], v[0:1], v[102:103]
	s_waitcnt lgkmcnt(0)
	v_add_f64 v[86:87], v[190:191], v[198:199]
	v_add_f64 v[84:85], v[196:197], v[200:201]
	v_add_f64 v[28:29], v[194:195], v[198:199]
	scratch_store_b64 off, v[9:10], off offset:240 ; 8-byte Folded Spill
	v_add_f64 v[9:10], v[6:7], v[104:105]
	v_cvt_f32_f64_e32 v30, v[30:31]
	v_cvt_f32_f64_e32 v28, v[28:29]
	;; [unrolled: 1-line block ×3, first 2 shown]
	scratch_store_b64 off, v[9:10], off offset:224 ; 8-byte Folded Spill
	v_add_f64 v[9:10], v[4:5], v[102:103]
	v_min3_f32 v216, v28, v29, v216
	scratch_store_b64 off, v[9:10], off offset:256 ; 8-byte Folded Spill
	v_add_f64 v[9:10], v[192:193], v[104:105]
	scratch_store_b64 off, v[9:10], off offset:216 ; 8-byte Folded Spill
	v_add_f64 v[9:10], v[190:191], v[102:103]
	scratch_store_b64 off, v[9:10], off offset:248 ; 8-byte Folded Spill
	v_add_f64 v[9:10], v[196:197], v[104:105]
	v_add_f64 v[104:105], v[4:5], v[198:199]
	scratch_store_b64 off, v[9:10], off offset:208 ; 8-byte Folded Spill
	v_add_f64 v[9:10], v[194:195], v[102:103]
	v_add_f64 v[102:103], v[192:193], v[200:201]
	scratch_store_b64 off, v[9:10], off offset:232 ; 8-byte Folded Spill
	v_add_f64 v[9:10], v[2:3], v[200:201]
	scratch_store_b64 off, v[9:10], off offset:264 ; 8-byte Folded Spill
	;; [unrolled: 2-line block ×4, first 2 shown]
	ds_load_b128 v[198:201], v189 offset:13824
	ds_load_b128 v[202:205], v189 offset:14080
	s_waitcnt lgkmcnt(1)
	v_add_f64 v[152:153], v[2:3], v[200:201]
	v_add_f64 v[150:151], v[0:1], v[198:199]
	;; [unrolled: 1-line block ×8, first 2 shown]
	s_waitcnt lgkmcnt(0)
	v_add_f64 v[156:157], v[2:3], v[204:205]
	v_add_f64 v[186:187], v[0:1], v[202:203]
	v_add_f64 v[206:207], v[6:7], v[204:205]
	v_add_f64 v[158:159], v[4:5], v[202:203]
	v_add_f64 v[162:163], v[192:193], v[204:205]
	v_add_f64 v[220:221], v[190:191], v[202:203]
	v_add_f64 v[38:39], v[196:197], v[204:205]
	v_add_f64 v[34:35], v[194:195], v[202:203]
	ds_load_b128 v[198:201], v189 offset:14336
	ds_load_b128 v[202:205], v189 offset:14592
	s_waitcnt lgkmcnt(1)
	v_add_f64 v[238:239], v[2:3], v[200:201]
	v_add_f64 v[240:241], v[0:1], v[198:199]
	;; [unrolled: 1-line block ×8, first 2 shown]
	s_waitcnt lgkmcnt(0)
	v_add_f64 v[184:185], v[2:3], v[204:205]
	v_add_f64 v[32:33], v[0:1], v[202:203]
	;; [unrolled: 1-line block ×8, first 2 shown]
	ds_load_b128 v[198:201], v189 offset:14848
	ds_load_b128 v[202:205], v189 offset:15104
	v_cvt_f32_f64_e32 v28, v[150:151]
	v_cvt_f32_f64_e32 v29, v[152:153]
	s_waitcnt lgkmcnt(1)
	v_add_f64 v[16:17], v[2:3], v[200:201]
	v_add_f64 v[24:25], v[0:1], v[198:199]
	;; [unrolled: 1-line block ×8, first 2 shown]
	s_waitcnt lgkmcnt(0)
	v_add_f64 v[50:51], v[2:3], v[204:205]
	v_add_f64 v[56:57], v[0:1], v[202:203]
	;; [unrolled: 1-line block ×8, first 2 shown]
	ds_load_b128 v[198:201], v189 offset:15360
	ds_load_b128 v[202:205], v189 offset:15616
	v_cvt_f32_f64_e32 v9, v[184:185]
	v_min3_f32 v227, v28, v29, v227
	v_cvt_f32_f64_e32 v28, v[146:147]
	v_cvt_f32_f64_e32 v29, v[177:178]
	s_waitcnt lgkmcnt(1)
	v_add_f64 v[78:79], v[2:3], v[200:201]
	v_add_f64 v[80:81], v[0:1], v[198:199]
	;; [unrolled: 1-line block ×8, first 2 shown]
	s_waitcnt lgkmcnt(0)
	v_add_f64 v[90:91], v[2:3], v[204:205]
	v_add_f64 v[92:93], v[0:1], v[202:203]
	;; [unrolled: 1-line block ×8, first 2 shown]
	ds_load_b128 v[198:201], v189 offset:15872
	ds_load_b128 v[202:205], v189 offset:16128
	scratch_load_b64 v[140:141], off, off offset:24 ; 8-byte Folded Reload
	v_min3_f32 v148, v28, v29, v148
	v_cvt_f32_f64_e32 v28, v[144:145]
	v_cvt_f32_f64_e32 v29, v[40:41]
	s_waitcnt lgkmcnt(1)
	v_add_f64 v[116:117], v[2:3], v[200:201]
	v_add_f64 v[132:133], v[0:1], v[198:199]
	s_waitcnt lgkmcnt(0)
	v_add_f64 v[2:3], v[2:3], v[204:205]
	v_add_f64 v[0:1], v[0:1], v[202:203]
	;; [unrolled: 1-line block ×14, first 2 shown]
	v_min3_f32 v115, v28, v29, v115
	v_cvt_f32_f64_e32 v28, v[26:27]
	v_cvt_f32_f64_e32 v26, v[52:53]
	;; [unrolled: 1-line block ×5, first 2 shown]
	s_delay_alu instid0(VALU_DEP_4) | instskip(SKIP_1) | instid1(VALU_DEP_3)
	v_min3_f32 v114, v28, v26, v114
	v_cvt_f32_f64_e32 v26, v[186:187]
	v_min3_f32 v213, v0, v1, v213
	v_cvt_f32_f64_e32 v0, v[4:5]
	v_cvt_f32_f64_e32 v1, v[6:7]
	s_delay_alu instid0(VALU_DEP_4) | instskip(SKIP_2) | instid1(VALU_DEP_4)
	v_min3_f32 v113, v26, v27, v113
	v_cvt_f32_f64_e32 v26, v[158:159]
	v_cvt_f32_f64_e32 v27, v[206:207]
	v_min3_f32 v228, v0, v1, v228
	v_cvt_f32_f64_e32 v0, v[189:190]
	v_cvt_f32_f64_e32 v1, v[192:193]
	s_delay_alu instid0(VALU_DEP_4) | instskip(SKIP_2) | instid1(VALU_DEP_4)
	v_min3_f32 v112, v26, v27, v112
	v_cvt_f32_f64_e32 v26, v[220:221]
	v_cvt_f32_f64_e32 v27, v[162:163]
	v_min3_f32 v211, v0, v1, v211
	v_cvt_f32_f64_e32 v0, v[194:195]
	v_cvt_f32_f64_e32 v1, v[196:197]
	s_delay_alu instid0(VALU_DEP_4) | instskip(SKIP_2) | instid1(VALU_DEP_1)
	v_min3_f32 v111, v26, v27, v111
	v_cvt_f32_f64_e32 v26, v[34:35]
	v_cvt_f32_f64_e32 v27, v[38:39]
	v_min3_f32 v110, v26, v27, v110
	v_cvt_f32_f64_e32 v26, v[240:241]
	v_cvt_f32_f64_e32 v27, v[238:239]
	s_delay_alu instid0(VALU_DEP_1)
	v_min3_f32 v109, v26, v27, v109
	v_cvt_f32_f64_e32 v26, v[244:245]
	v_cvt_f32_f64_e32 v27, v[242:243]
	s_waitcnt vmcnt(0)
	v_cvt_f32_f64_e32 v140, v[140:141]
	scratch_load_b64 v[141:142], off, off   ; 8-byte Folded Reload
	v_min3_f32 v108, v26, v27, v108
	v_cvt_f32_f64_e32 v26, v[248:249]
	v_cvt_f32_f64_e32 v27, v[246:247]
	s_delay_alu instid0(VALU_DEP_1) | instskip(SKIP_2) | instid1(VALU_DEP_1)
	v_min3_f32 v107, v26, v27, v107
	v_cvt_f32_f64_e32 v26, v[252:253]
	v_cvt_f32_f64_e32 v27, v[250:251]
	v_min3_f32 v106, v26, v27, v106
	s_waitcnt vmcnt(0)
	v_cvt_f32_f64_e32 v141, v[141:142]
	s_delay_alu instid0(VALU_DEP_1)
	v_min3_f32 v182, v140, v141, v182
	scratch_load_b64 v[140:141], off, off offset:40 ; 8-byte Folded Reload
	s_waitcnt vmcnt(0)
	v_cvt_f32_f64_e32 v140, v[140:141]
	scratch_load_b64 v[141:142], off, off offset:16 ; 8-byte Folded Reload
	s_waitcnt vmcnt(0)
	v_cvt_f32_f64_e32 v141, v[141:142]
	s_delay_alu instid0(VALU_DEP_1)
	v_min3_f32 v181, v140, v141, v181
	scratch_load_b64 v[140:141], off, off offset:32 ; 8-byte Folded Reload
	s_waitcnt vmcnt(0)
	v_cvt_f32_f64_e32 v140, v[140:141]
	scratch_load_b64 v[141:142], off, off offset:8 ; 8-byte Folded Reload
	;; [unrolled: 8-line block ×10, first 2 shown]
	s_waitcnt vmcnt(0)
	v_cvt_f32_f64_e32 v141, v[141:142]
	s_delay_alu instid0(VALU_DEP_1) | instskip(SKIP_3) | instid1(VALU_DEP_1)
	v_min3_f32 v170, v140, v141, v170
	scratch_load_b64 v[140:141], off, off offset:176 ; 8-byte Folded Reload
	s_waitcnt vmcnt(0)
	v_cvt_f32_f64_e32 v73, v[140:141]
	v_min3_f32 v169, v72, v73, v169
	scratch_load_b64 v[71:72], off, off offset:184 ; 8-byte Folded Reload
	s_waitcnt vmcnt(0)
	v_cvt_f32_f64_e32 v71, v[71:72]
	scratch_load_b64 v[72:73], off, off offset:192 ; 8-byte Folded Reload
	v_min3_f32 v168, v70, v71, v168
	v_mov_b32_e32 v71, v8
	v_cvt_f32_f64_e32 v8, v[32:33]
	s_delay_alu instid0(VALU_DEP_1) | instskip(SKIP_2) | instid1(VALU_DEP_1)
	v_min3_f32 v71, v8, v9, v71
	v_cvt_f32_f64_e32 v8, v[12:13]
	v_cvt_f32_f64_e32 v9, v[10:11]
	v_min3_f32 v37, v8, v9, v37
	v_cvt_f32_f64_e32 v8, v[18:19]
	v_cvt_f32_f64_e32 v9, v[208:209]
	s_delay_alu instid0(VALU_DEP_1) | instskip(SKIP_2) | instid1(VALU_DEP_1)
	v_min3_f32 v36, v8, v9, v36
	v_cvt_f32_f64_e32 v8, v[22:23]
	v_cvt_f32_f64_e32 v9, v[20:21]
	v_min3_f32 v69, v8, v9, v69
	v_cvt_f32_f64_e32 v8, v[24:25]
	v_cvt_f32_f64_e32 v9, v[16:17]
	s_delay_alu instid0(VALU_DEP_1) | instskip(SKIP_3) | instid1(VALU_DEP_1)
	v_min3_f32 v68, v8, v9, v68
	v_cvt_f32_f64_e32 v8, v[118:119]
	v_cvt_f32_f64_e32 v9, v[254:255]
	v_mov_b32_e32 v255, v210
	v_min3_f32 v255, v0, v1, v255
	s_delay_alu instid0(VALU_DEP_3) | instskip(SKIP_3) | instid1(VALU_DEP_1)
	v_min3_f32 v226, v8, v9, v226
	v_cvt_f32_f64_e32 v8, v[44:45]
	scratch_load_b32 v44, off, off offset:296 ; 4-byte Folded Reload
	v_cvt_f32_f64_e32 v9, v[42:43]
	v_min3_f32 v155, v8, v9, v155
	v_cvt_f32_f64_e32 v8, v[48:49]
	s_waitcnt vmcnt(1)
	v_cvt_f32_f64_e32 v67, v[72:73]
	v_cvt_f32_f64_e32 v9, v[46:47]
	s_delay_alu instid0(VALU_DEP_2)
	v_min3_f32 v167, v66, v67, v167
	v_cvt_f32_f64_e32 v66, v[54:55]
	scratch_load_b64 v[54:55], off, off offset:200 ; 8-byte Folded Reload
	v_min3_f32 v225, v8, v9, v225
	v_cvt_f32_f64_e32 v8, v[56:57]
	v_cvt_f32_f64_e32 v9, v[50:51]
	s_delay_alu instid0(VALU_DEP_1) | instskip(SKIP_2) | instid1(VALU_DEP_1)
	v_min3_f32 v235, v8, v9, v235
	v_cvt_f32_f64_e32 v8, v[60:61]
	v_cvt_f32_f64_e32 v9, v[58:59]
	v_min3_f32 v237, v8, v9, v237
	v_cvt_f32_f64_e32 v8, v[64:65]
	v_cvt_f32_f64_e32 v9, v[62:63]
	s_delay_alu instid0(VALU_DEP_1) | instskip(SKIP_2) | instid1(VALU_DEP_1)
	v_min3_f32 v236, v8, v9, v236
	v_cvt_f32_f64_e32 v8, v[76:77]
	v_cvt_f32_f64_e32 v9, v[74:75]
	;; [unrolled: 7-line block ×4, first 2 shown]
	v_min3_f32 v224, v8, v9, v224
	v_cvt_f32_f64_e32 v8, v[92:93]
	scratch_load_b32 v93, off, off offset:300 ; 4-byte Folded Reload
	s_waitcnt vmcnt(1)
	v_cvt_f32_f64_e32 v54, v[54:55]
	v_cvt_f32_f64_e32 v9, v[90:91]
	s_delay_alu instid0(VALU_DEP_2) | instskip(SKIP_4) | instid1(VALU_DEP_1)
	v_min3_f32 v166, v66, v54, v166
	scratch_load_b64 v[54:55], off, off offset:240 ; 8-byte Folded Reload
	v_min3_f32 v223, v8, v9, v223
	v_cvt_f32_f64_e32 v8, v[96:97]
	v_cvt_f32_f64_e32 v9, v[94:95]
	v_min3_f32 v222, v8, v9, v222
	v_cvt_f32_f64_e32 v8, v[98:99]
	v_cvt_f32_f64_e32 v9, v[128:129]
	s_delay_alu instid0(VALU_DEP_1) | instskip(SKIP_2) | instid1(VALU_DEP_1)
	v_min3_f32 v161, v8, v9, v161
	v_cvt_f32_f64_e32 v8, v[130:131]
	v_cvt_f32_f64_e32 v9, v[100:101]
	v_min3_f32 v160, v8, v9, v160
	v_cvt_f32_f64_e32 v8, v[132:133]
	v_cvt_f32_f64_e32 v9, v[116:117]
	s_delay_alu instid0(VALU_DEP_1) | instskip(SKIP_2) | instid1(VALU_DEP_1)
	v_min3_f32 v217, v8, v9, v217
	v_cvt_f32_f64_e32 v8, v[136:137]
	v_cvt_f32_f64_e32 v9, v[134:135]
	v_min3_f32 v230, v8, v9, v230
	v_cvt_f32_f64_e32 v8, v[218:219]
	v_cvt_f32_f64_e32 v9, v[138:139]
	s_delay_alu instid0(VALU_DEP_1) | instskip(SKIP_2) | instid1(VALU_DEP_1)
	v_min3_f32 v215, v8, v9, v215
	v_cvt_f32_f64_e32 v8, v[198:199]
	v_cvt_f32_f64_e32 v9, v[200:201]
	v_min3_f32 v214, v8, v9, v214
	s_waitcnt vmcnt(0)
	v_cvt_f32_f64_e32 v31, v[54:55]
	scratch_load_b64 v[54:55], off, off offset:224 ; 8-byte Folded Reload
	v_min3_f32 v165, v30, v31, v165
	scratch_load_b64 v[30:31], off, off offset:256 ; 8-byte Folded Reload
	s_waitcnt vmcnt(0)
	v_cvt_f32_f64_e32 v30, v[30:31]
	v_cvt_f32_f64_e32 v31, v[54:55]
	scratch_load_b64 v[54:55], off, off offset:216 ; 8-byte Folded Reload
	v_min3_f32 v164, v30, v31, v164
	scratch_load_b64 v[30:31], off, off offset:248 ; 8-byte Folded Reload
	s_waitcnt vmcnt(0)
	v_cvt_f32_f64_e32 v30, v[30:31]
	;; [unrolled: 6-line block ×4, first 2 shown]
	v_cvt_f32_f64_e32 v31, v[54:55]
	scratch_load_b64 v[54:55], off, off offset:280 ; 8-byte Folded Reload
	v_min3_f32 v212, v30, v31, v212
	v_cvt_f32_f64_e32 v30, v[104:105]
	s_waitcnt vmcnt(0)
	v_cvt_f32_f64_e32 v31, v[54:55]
	s_delay_alu instid0(VALU_DEP_1) | instskip(SKIP_2) | instid1(VALU_DEP_1)
	v_min3_f32 v188, v30, v31, v188
	v_cvt_f32_f64_e32 v30, v[86:87]
	v_cvt_f32_f64_e32 v31, v[102:103]
	v_min3_f32 v229, v30, v31, v229
	s_cbranch_vccz .LBB111_27
; %bb.28:
	s_clause 0x2
	scratch_load_b32 v0, off, off offset:376
	scratch_load_b64 v[1:2], off, off offset:288
	scratch_load_b64 v[3:4], off, off offset:312
	v_mov_b32_e32 v88, v112
	v_mov_b32_e32 v100, v225
	v_dual_mov_b32 v74, v235 :: v_dual_mov_b32 v235, v237
	v_dual_mov_b32 v237, v160 :: v_dual_mov_b32 v238, v222
	s_and_b32 vcc_lo, exec_lo, s3
	s_waitcnt vmcnt(0)
	ds_store_2addr_stride64_b64 v0, v[1:2], v[3:4] offset1:4
	s_clause 0x2
	scratch_load_b32 v0, off, off offset:384
	scratch_load_b64 v[1:2], off, off offset:320
	scratch_load_b64 v[3:4], off, off offset:328
	s_waitcnt vmcnt(0)
	ds_store_2addr_stride64_b64 v0, v[1:2], v[3:4] offset1:4
	s_waitcnt lgkmcnt(0)
	s_waitcnt_vscnt null, 0x0
	s_barrier
	buffer_gl0_inv
	s_cbranch_vccnz .LBB111_30
; %bb.29:
	s_clause 0x1
	scratch_load_b64 v[6:7], off, off offset:304
	scratch_load_b64 v[4:5], off, off offset:352
	v_mov_b32_e32 v77, v68
	s_waitcnt vmcnt(1)
	v_lshlrev_b64 v[0:1], 3, v[6:7]
	s_delay_alu instid0(VALU_DEP_1) | instskip(NEXT) | instid1(VALU_DEP_2)
	v_add_co_u32 v2, vcc_lo, s20, v0
	v_add_co_ci_u32_e32 v3, vcc_lo, s21, v1, vcc_lo
	scratch_load_b64 v[0:1], off, off offset:344 ; 8-byte Folded Reload
	s_waitcnt vmcnt(0)
	v_add_co_u32 v0, vcc_lo, v2, v0
	v_add_co_ci_u32_e32 v1, vcc_lo, v3, v1, vcc_lo
	v_add_co_u32 v2, vcc_lo, v2, v4
	v_add_co_ci_u32_e32 v3, vcc_lo, v3, v5, vcc_lo
	s_clause 0x1
	flat_load_b64 v[0:1], v[0:1] offset:32
	flat_load_b64 v[2:3], v[2:3] offset:32
	s_waitcnt vmcnt(1) lgkmcnt(1)
	v_mul_f64 v[0:1], s[12:13], v[0:1]
	scratch_store_b64 off, v[0:1], off offset:312 ; 8-byte Folded Spill
	s_waitcnt vmcnt(0) lgkmcnt(0)
	v_mul_f64 v[0:1], s[12:13], v[2:3]
	s_branch .LBB111_31
.LBB111_30:
	scratch_load_b64 v[6:7], off, off offset:304 ; 8-byte Folded Reload
	v_dual_mov_b32 v0, 0 :: v_dual_mov_b32 v77, v68
	v_mov_b32_e32 v1, 0
	scratch_store_b64 off, v[0:1], off offset:312 ; 8-byte Folded Spill
	v_mov_b32_e32 v0, 0
	v_mov_b32_e32 v1, 0
.LBB111_31:
	scratch_store_b64 off, v[0:1], off offset:320 ; 8-byte Folded Spill
	v_mov_b32_e32 v75, v155
	v_dual_mov_b32 v67, v149 :: v_dual_mov_b32 v160, v223
	s_and_b32 vcc_lo, exec_lo, s3
	s_cbranch_vccnz .LBB111_33
; %bb.32:
	s_waitcnt vmcnt(0)
	v_lshlrev_b64 v[0:1], 3, v[6:7]
	scratch_load_b64 v[4:5], off, off offset:368 ; 8-byte Folded Reload
	v_add_co_u32 v2, vcc_lo, s16, v0
	v_add_co_ci_u32_e32 v3, vcc_lo, s17, v1, vcc_lo
	scratch_load_b64 v[0:1], off, off offset:360 ; 8-byte Folded Reload
	s_waitcnt vmcnt(0)
	v_add_co_u32 v0, vcc_lo, v2, v0
	v_add_co_ci_u32_e32 v1, vcc_lo, v3, v1, vcc_lo
	v_add_co_u32 v2, vcc_lo, v2, v4
	v_add_co_ci_u32_e32 v3, vcc_lo, v3, v5, vcc_lo
	s_clause 0x1
	flat_load_b64 v[0:1], v[0:1] offset:32
	flat_load_b64 v[2:3], v[2:3] offset:32
	s_waitcnt vmcnt(1) lgkmcnt(1)
	v_mul_f64 v[0:1], s[12:13], v[0:1]
	scratch_store_b64 off, v[0:1], off offset:328 ; 8-byte Folded Spill
	s_waitcnt vmcnt(0) lgkmcnt(0)
	v_mul_f64 v[0:1], s[12:13], v[2:3]
	s_branch .LBB111_34
.LBB111_33:
	v_mov_b32_e32 v0, 0
	v_mov_b32_e32 v1, 0
	scratch_store_b64 off, v[0:1], off offset:328 ; 8-byte Folded Spill
	v_mov_b32_e32 v0, 0
	v_mov_b32_e32 v1, 0
.LBB111_34:
	v_dual_mov_b32 v218, v224 :: v_dual_mov_b32 v83, v110
	v_mov_b32_e32 v66, v154
	v_mov_b32_e32 v76, v226
	;; [unrolled: 1-line block ×7, first 2 shown]
	s_mov_b32 s22, 0
	s_mov_b32 s19, -1
	scratch_store_b64 off, v[0:1], off offset:336 ; 8-byte Folded Spill
.LBB111_35:                             ; =>This Inner Loop Header: Depth=1
	s_lshl_b32 s22, s22, 3
	v_dual_mov_b32 v47, v71 :: v_dual_mov_b32 v36, v213
	v_lshl_add_u32 v16, v93, 5, s22
	v_lshl_add_u32 v8, v44, 5, s22
	v_dual_mov_b32 v81, v107 :: v_dual_mov_b32 v50, v214
	ds_load_b128 v[38:41], v16 offset:8192
	ds_load_b128 v[0:3], v8
	s_waitcnt vmcnt(0)
	ds_load_b128 v[4:7], v8 offset:1024
	ds_load_b128 v[52:55], v16 offset:8448
	v_mov_b32_e32 v89, v113
	v_mov_b32_e32 v29, v69
	s_mov_b32 s22, 2
	s_and_not1_b32 vcc_lo, exec_lo, s19
	s_mov_b32 s19, 0
	s_waitcnt lgkmcnt(2)
	v_add_f64 v[96:97], v[2:3], v[40:41]
	s_waitcnt lgkmcnt(1)
	v_add_f64 v[9:10], v[6:7], v[40:41]
	v_add_f64 v[98:99], v[0:1], v[38:39]
	scratch_store_b64 off, v[9:10], off     ; 8-byte Folded Spill
	v_add_f64 v[9:10], v[4:5], v[38:39]
	scratch_store_b64 off, v[9:10], off offset:24 ; 8-byte Folded Spill
	ds_load_b128 v[189:192], v8 offset:2048
	ds_load_b128 v[193:196], v8 offset:3072
	s_waitcnt lgkmcnt(1)
	v_add_f64 v[8:9], v[191:192], v[40:41]
	scratch_store_b64 off, v[8:9], off offset:16 ; 8-byte Folded Spill
	v_add_f64 v[8:9], v[189:190], v[38:39]
	scratch_store_b64 off, v[8:9], off offset:40 ; 8-byte Folded Spill
	s_waitcnt lgkmcnt(0)
	v_add_f64 v[8:9], v[195:196], v[40:41]
	scratch_store_b64 off, v[8:9], off offset:8 ; 8-byte Folded Spill
	v_add_f64 v[8:9], v[193:194], v[38:39]
	scratch_store_b64 off, v[8:9], off offset:32 ; 8-byte Folded Spill
	;; [unrolled: 2-line block ×9, first 2 shown]
	v_add_f64 v[8:9], v[193:194], v[52:53]
	v_cvt_f32_f64_e32 v53, v[96:97]
	scratch_store_b64 off, v[8:9], off offset:104 ; 8-byte Folded Spill
	ds_load_b128 v[70:73], v16 offset:8704
	ds_load_b128 v[84:87], v16 offset:8960
	s_waitcnt lgkmcnt(1)
	v_add_f64 v[8:9], v[2:3], v[72:73]
	v_add_f64 v[51:52], v[0:1], v[70:71]
	scratch_store_b64 off, v[8:9], off offset:144 ; 8-byte Folded Spill
	v_add_f64 v[8:9], v[6:7], v[72:73]
	scratch_store_b64 off, v[8:9], off offset:128 ; 8-byte Folded Spill
	;; [unrolled: 2-line block ×7, first 2 shown]
	s_waitcnt lgkmcnt(0)
	v_add_f64 v[8:9], v[2:3], v[86:87]
	scratch_store_b64 off, v[8:9], off offset:168 ; 8-byte Folded Spill
	v_add_f64 v[8:9], v[0:1], v[84:85]
	scratch_store_b64 off, v[8:9], off offset:176 ; 8-byte Folded Spill
	;; [unrolled: 2-line block ×6, first 2 shown]
	v_add_f64 v[8:9], v[195:196], v[86:87]
	v_dual_mov_b32 v87, v109 :: v_dual_mov_b32 v86, v111
	scratch_store_b64 off, v[8:9], off offset:216 ; 8-byte Folded Spill
	v_add_f64 v[8:9], v[193:194], v[84:85]
	scratch_store_b64 off, v[8:9], off offset:224 ; 8-byte Folded Spill
	ds_load_b128 v[102:105], v16 offset:9216
	ds_load_b128 v[197:200], v16 offset:9472
	s_waitcnt lgkmcnt(1)
	v_add_f64 v[8:9], v[2:3], v[104:105]
	v_add_f64 v[70:71], v[0:1], v[102:103]
	s_waitcnt lgkmcnt(0)
	v_add_f64 v[106:107], v[6:7], v[199:200]
	v_add_f64 v[108:109], v[4:5], v[197:198]
	v_add_f64 v[110:111], v[191:192], v[199:200]
	v_add_f64 v[112:113], v[189:190], v[197:198]
	v_add_f64 v[94:95], v[193:194], v[197:198]
	scratch_store_b64 off, v[8:9], off offset:264 ; 8-byte Folded Spill
	v_add_f64 v[8:9], v[6:7], v[104:105]
	scratch_store_b64 off, v[8:9], off offset:248 ; 8-byte Folded Spill
	v_add_f64 v[8:9], v[4:5], v[102:103]
	;; [unrolled: 2-line block ×5, first 2 shown]
	v_add_f64 v[104:105], v[0:1], v[197:198]
	scratch_store_b64 off, v[8:9], off offset:232 ; 8-byte Folded Spill
	v_add_f64 v[8:9], v[193:194], v[102:103]
	v_add_f64 v[101:102], v[195:196], v[199:200]
	scratch_store_b64 off, v[8:9], off offset:256 ; 8-byte Folded Spill
	v_add_f64 v[8:9], v[2:3], v[199:200]
	scratch_store_b64 off, v[8:9], off offset:288 ; 8-byte Folded Spill
	ds_load_b128 v[197:200], v16 offset:9728
	ds_load_b128 v[201:204], v16 offset:9984
	s_waitcnt lgkmcnt(1)
	v_add_f64 v[84:85], v[2:3], v[199:200]
	v_add_f64 v[116:117], v[0:1], v[197:198]
	v_add_f64 v[118:119], v[6:7], v[199:200]
	v_add_f64 v[120:121], v[4:5], v[197:198]
	v_add_f64 v[122:123], v[191:192], v[199:200]
	v_add_f64 v[124:125], v[189:190], v[197:198]
	v_add_f64 v[126:127], v[195:196], v[199:200]
	v_add_f64 v[128:129], v[193:194], v[197:198]
	s_waitcnt lgkmcnt(0)
	v_add_f64 v[130:131], v[2:3], v[203:204]
	v_add_f64 v[132:133], v[0:1], v[201:202]
	v_add_f64 v[134:135], v[6:7], v[203:204]
	v_add_f64 v[136:137], v[4:5], v[201:202]
	v_add_f64 v[138:139], v[191:192], v[203:204]
	v_add_f64 v[72:73], v[189:190], v[201:202]
	v_add_f64 v[68:69], v[195:196], v[203:204]
	v_add_f64 v[45:46], v[193:194], v[201:202]
	ds_load_b128 v[197:200], v16 offset:10240
	ds_load_b128 v[201:204], v16 offset:10496
	s_waitcnt lgkmcnt(1)
	v_add_f64 v[56:57], v[2:3], v[199:200]
	v_add_f64 v[42:43], v[0:1], v[197:198]
	v_add_f64 v[60:61], v[6:7], v[199:200]
	v_add_f64 v[48:49], v[4:5], v[197:198]
	v_add_f64 v[62:63], v[191:192], v[199:200]
	v_add_f64 v[58:59], v[189:190], v[197:198]
	v_add_f64 v[64:65], v[195:196], v[199:200]
	v_add_f64 v[91:92], v[193:194], v[197:198]
	s_waitcnt lgkmcnt(0)
	v_add_f64 v[40:41], v[2:3], v[203:204]
	v_add_f64 v[12:13], v[0:1], v[201:202]
	v_add_f64 v[54:55], v[6:7], v[203:204]
	v_add_f64 v[34:35], v[4:5], v[201:202]
	v_add_f64 v[38:39], v[191:192], v[203:204]
	v_add_f64 v[30:31], v[189:190], v[201:202]
	v_add_f64 v[32:33], v[195:196], v[203:204]
	v_add_f64 v[27:28], v[193:194], v[201:202]
	;; [unrolled: 20-line block ×3, first 2 shown]
	ds_load_b128 v[197:200], v16 offset:11264
	ds_load_b128 v[201:204], v16 offset:11520
	v_cvt_f32_f64_e32 v12, v[12:13]
	v_cvt_f32_f64_e32 v13, v[40:41]
	s_waitcnt lgkmcnt(1)
	v_add_f64 v[142:143], v[2:3], v[199:200]
	v_add_f64 v[177:178], v[0:1], v[197:198]
	;; [unrolled: 1-line block ×8, first 2 shown]
	s_waitcnt lgkmcnt(0)
	v_add_f64 v[152:153], v[2:3], v[203:204]
	v_add_f64 v[213:214], v[0:1], v[201:202]
	;; [unrolled: 1-line block ×8, first 2 shown]
	ds_load_b128 v[197:200], v16 offset:11776
	ds_load_b128 v[201:204], v16 offset:12032
	scratch_load_b64 v[96:97], off, off offset:24 ; 8-byte Folded Reload
	v_cvt_f32_f64_e32 v16, v[98:99]
	v_cvt_f32_f64_e32 v8, v[8:9]
	;; [unrolled: 1-line block ×3, first 2 shown]
	s_waitcnt lgkmcnt(1)
	v_add_f64 v[186:187], v[2:3], v[199:200]
	v_add_f64 v[221:222], v[0:1], v[197:198]
	s_waitcnt lgkmcnt(0)
	v_add_f64 v[2:3], v[2:3], v[203:204]
	v_add_f64 v[0:1], v[0:1], v[201:202]
	;; [unrolled: 1-line block ×14, first 2 shown]
	v_min3_f32 v183, v16, v53, v183
	v_min3_f32 v236, v8, v9, v236
	v_cvt_f32_f64_e32 v8, v[140:141]
	v_cvt_f32_f64_e32 v9, v[10:11]
	;; [unrolled: 1-line block ×4, first 2 shown]
	s_delay_alu instid0(VALU_DEP_3) | instskip(SKIP_2) | instid1(VALU_DEP_1)
	v_min3_f32 v234, v8, v9, v234
	v_cvt_f32_f64_e32 v8, v[177:178]
	v_cvt_f32_f64_e32 v9, v[142:143]
	v_min3_f32 v233, v8, v9, v233
	v_cvt_f32_f64_e32 v8, v[184:185]
	v_cvt_f32_f64_e32 v9, v[144:145]
	s_delay_alu instid0(VALU_DEP_1) | instskip(SKIP_2) | instid1(VALU_DEP_1)
	v_min3_f32 v67, v8, v9, v67
	v_cvt_f32_f64_e32 v8, v[148:149]
	v_cvt_f32_f64_e32 v9, v[146:147]
	v_min3_f32 v66, v8, v9, v66
	v_cvt_f32_f64_e32 v8, v[162:163]
	v_cvt_f32_f64_e32 v9, v[150:151]
	s_delay_alu instid0(VALU_DEP_1) | instskip(SKIP_4) | instid1(VALU_DEP_1)
	v_min3_f32 v218, v8, v9, v218
	v_cvt_f32_f64_e32 v8, v[213:214]
	v_mov_b32_e32 v214, v50
	v_cvt_f32_f64_e32 v9, v[152:153]
	v_mov_b32_e32 v213, v36
	v_min3_f32 v213, v0, v1, v213
	v_cvt_f32_f64_e32 v0, v[4:5]
	v_cvt_f32_f64_e32 v1, v[6:7]
	v_min3_f32 v160, v8, v9, v160
	v_cvt_f32_f64_e32 v8, v[154:155]
	v_cvt_f32_f64_e32 v9, v[209:210]
	s_delay_alu instid0(VALU_DEP_4)
	v_min3_f32 v228, v0, v1, v228
	v_cvt_f32_f64_e32 v0, v[189:190]
	v_cvt_f32_f64_e32 v1, v[191:192]
	s_waitcnt vmcnt(0)
	v_cvt_f32_f64_e32 v16, v[96:97]
	scratch_load_b64 v[96:97], off, off     ; 8-byte Folded Reload
	v_min3_f32 v238, v8, v9, v238
	v_cvt_f32_f64_e32 v8, v[158:159]
	v_cvt_f32_f64_e32 v9, v[219:220]
	v_min3_f32 v211, v0, v1, v211
	v_cvt_f32_f64_e32 v0, v[193:194]
	v_cvt_f32_f64_e32 v1, v[195:196]
	s_delay_alu instid0(VALU_DEP_4) | instskip(SKIP_2) | instid1(VALU_DEP_4)
	v_min3_f32 v161, v8, v9, v161
	v_cvt_f32_f64_e32 v8, v[207:208]
	v_cvt_f32_f64_e32 v9, v[14:15]
	v_min3_f32 v255, v0, v1, v255
	s_delay_alu instid0(VALU_DEP_2) | instskip(SKIP_2) | instid1(VALU_DEP_1)
	v_min3_f32 v237, v8, v9, v237
	v_cvt_f32_f64_e32 v8, v[221:222]
	v_cvt_f32_f64_e32 v9, v[186:187]
	v_min3_f32 v217, v8, v9, v217
	v_cvt_f32_f64_e32 v8, v[156:157]
	v_cvt_f32_f64_e32 v9, v[205:206]
	s_delay_alu instid0(VALU_DEP_1) | instskip(SKIP_2) | instid1(VALU_DEP_1)
	v_min3_f32 v230, v8, v9, v230
	v_cvt_f32_f64_e32 v8, v[225:226]
	v_cvt_f32_f64_e32 v9, v[223:224]
	v_min3_f32 v215, v8, v9, v215
	v_cvt_f32_f64_e32 v8, v[197:198]
	v_cvt_f32_f64_e32 v9, v[199:200]
	s_delay_alu instid0(VALU_DEP_1)
	v_min3_f32 v214, v8, v9, v214
	s_waitcnt vmcnt(0)
	v_cvt_f32_f64_e32 v53, v[96:97]
	scratch_load_b64 v[96:97], off, off offset:40 ; 8-byte Folded Reload
	v_min3_f32 v182, v16, v53, v182
	s_waitcnt vmcnt(0)
	v_cvt_f32_f64_e32 v16, v[96:97]
	scratch_load_b64 v[96:97], off, off offset:16 ; 8-byte Folded Reload
	s_waitcnt vmcnt(0)
	v_cvt_f32_f64_e32 v53, v[96:97]
	scratch_load_b64 v[96:97], off, off offset:32 ; 8-byte Folded Reload
	v_min3_f32 v181, v16, v53, v181
	s_waitcnt vmcnt(0)
	v_cvt_f32_f64_e32 v16, v[96:97]
	scratch_load_b64 v[96:97], off, off offset:8 ; 8-byte Folded Reload
	;; [unrolled: 7-line block ×6, first 2 shown]
	s_waitcnt vmcnt(0)
	v_cvt_f32_f64_e32 v53, v[96:97]
	s_delay_alu instid0(VALU_DEP_1) | instskip(SKIP_4) | instid1(VALU_DEP_1)
	v_min3_f32 v174, v16, v53, v174
	v_cvt_f32_f64_e32 v16, v[51:52]
	scratch_load_b64 v[51:52], off, off offset:144 ; 8-byte Folded Reload
	s_waitcnt vmcnt(0)
	v_cvt_f32_f64_e32 v51, v[51:52]
	v_min3_f32 v173, v16, v51, v173
	scratch_load_b64 v[51:52], off, off offset:160 ; 8-byte Folded Reload
	s_waitcnt vmcnt(0)
	v_cvt_f32_f64_e32 v16, v[51:52]
	scratch_load_b64 v[51:52], off, off offset:128 ; 8-byte Folded Reload
	s_waitcnt vmcnt(0)
	v_cvt_f32_f64_e32 v51, v[51:52]
	s_delay_alu instid0(VALU_DEP_1)
	v_min3_f32 v172, v16, v51, v172
	scratch_load_b64 v[51:52], off, off offset:152 ; 8-byte Folded Reload
	s_waitcnt vmcnt(0)
	v_cvt_f32_f64_e32 v16, v[51:52]
	scratch_load_b64 v[51:52], off, off offset:120 ; 8-byte Folded Reload
	s_waitcnt vmcnt(0)
	v_cvt_f32_f64_e32 v51, v[51:52]
	s_delay_alu instid0(VALU_DEP_1)
	;; [unrolled: 8-line block ×6, first 2 shown]
	v_min3_f32 v167, v16, v51, v167
	scratch_load_b64 v[51:52], off, off offset:224 ; 8-byte Folded Reload
	s_waitcnt vmcnt(0)
	v_cvt_f32_f64_e32 v16, v[51:52]
	scratch_load_b64 v[51:52], off, off offset:216 ; 8-byte Folded Reload
	s_waitcnt vmcnt(0)
	v_cvt_f32_f64_e32 v51, v[51:52]
	s_delay_alu instid0(VALU_DEP_1) | instskip(SKIP_4) | instid1(VALU_DEP_2)
	v_min3_f32 v166, v16, v51, v166
	scratch_load_b64 v[51:52], off, off offset:264 ; 8-byte Folded Reload
	v_cvt_f32_f64_e32 v16, v[70:71]
	v_mov_b32_e32 v71, v47
	v_cvt_f32_f64_e32 v47, v[138:139]
	v_min3_f32 v71, v12, v13, v71
	v_cvt_f32_f64_e32 v12, v[34:35]
	v_cvt_f32_f64_e32 v13, v[54:55]
	s_delay_alu instid0(VALU_DEP_1) | instskip(SKIP_2) | instid1(VALU_DEP_1)
	v_min3_f32 v37, v12, v13, v37
	v_cvt_f32_f64_e32 v12, v[30:31]
	v_cvt_f32_f64_e32 v13, v[38:39]
	v_min3_f32 v78, v12, v13, v78
	v_cvt_f32_f64_e32 v12, v[27:28]
	v_cvt_f32_f64_e32 v13, v[32:33]
	s_waitcnt vmcnt(0)
	v_cvt_f32_f64_e32 v51, v[51:52]
	s_delay_alu instid0(VALU_DEP_1)
	v_min3_f32 v165, v16, v51, v165
	scratch_load_b64 v[51:52], off, off offset:280 ; 8-byte Folded Reload
	s_waitcnt vmcnt(0)
	v_cvt_f32_f64_e32 v16, v[51:52]
	scratch_load_b64 v[51:52], off, off offset:248 ; 8-byte Folded Reload
	s_waitcnt vmcnt(0)
	v_cvt_f32_f64_e32 v51, v[51:52]
	s_delay_alu instid0(VALU_DEP_1)
	v_min3_f32 v164, v16, v51, v164
	scratch_load_b64 v[51:52], off, off offset:272 ; 8-byte Folded Reload
	s_waitcnt vmcnt(0)
	v_cvt_f32_f64_e32 v16, v[51:52]
	scratch_load_b64 v[51:52], off, off offset:240 ; 8-byte Folded Reload
	;; [unrolled: 8-line block ×3, first 2 shown]
	s_waitcnt vmcnt(0)
	v_cvt_f32_f64_e32 v51, v[51:52]
	s_delay_alu instid0(VALU_DEP_1) | instskip(SKIP_4) | instid1(VALU_DEP_1)
	v_min3_f32 v231, v16, v51, v231
	scratch_load_b64 v[51:52], off, off offset:288 ; 8-byte Folded Reload
	v_cvt_f32_f64_e32 v16, v[104:105]
	s_waitcnt vmcnt(0)
	v_cvt_f32_f64_e32 v51, v[51:52]
	v_min3_f32 v212, v16, v51, v212
	v_cvt_f32_f64_e32 v16, v[108:109]
	v_cvt_f32_f64_e32 v51, v[106:107]
	v_mov_b32_e32 v109, v87
	v_mov_b32_e32 v107, v81
	s_delay_alu instid0(VALU_DEP_3) | instskip(SKIP_4) | instid1(VALU_DEP_3)
	v_min3_f32 v188, v16, v51, v188
	v_cvt_f32_f64_e32 v16, v[112:113]
	v_cvt_f32_f64_e32 v51, v[110:111]
	v_mov_b32_e32 v113, v89
	v_mov_b32_e32 v111, v86
	v_min3_f32 v229, v16, v51, v229
	v_cvt_f32_f64_e32 v16, v[94:95]
	v_cvt_f32_f64_e32 v51, v[101:102]
	s_delay_alu instid0(VALU_DEP_1) | instskip(SKIP_2) | instid1(VALU_DEP_1)
	v_min3_f32 v216, v16, v51, v216
	v_cvt_f32_f64_e32 v16, v[116:117]
	v_cvt_f32_f64_e32 v51, v[84:85]
	v_min3_f32 v227, v16, v51, v227
	v_cvt_f32_f64_e32 v16, v[120:121]
	v_cvt_f32_f64_e32 v51, v[118:119]
	s_delay_alu instid0(VALU_DEP_1) | instskip(SKIP_2) | instid1(VALU_DEP_1)
	v_min3_f32 v114, v16, v51, v114
	v_cvt_f32_f64_e32 v16, v[124:125]
	v_cvt_f32_f64_e32 v51, v[122:123]
	v_min3_f32 v115, v16, v51, v115
	v_cvt_f32_f64_e32 v16, v[128:129]
	v_cvt_f32_f64_e32 v51, v[126:127]
	s_delay_alu instid0(VALU_DEP_1) | instskip(SKIP_2) | instid1(VALU_DEP_1)
	v_min3_f32 v90, v16, v51, v90
	v_cvt_f32_f64_e32 v16, v[132:133]
	v_cvt_f32_f64_e32 v51, v[130:131]
	v_min3_f32 v113, v16, v51, v113
	v_cvt_f32_f64_e32 v16, v[136:137]
	v_cvt_f32_f64_e32 v51, v[134:135]
	s_delay_alu instid0(VALU_DEP_1) | instskip(SKIP_1) | instid1(VALU_DEP_1)
	v_min3_f32 v88, v16, v51, v88
	v_cvt_f32_f64_e32 v16, v[72:73]
	v_min3_f32 v111, v16, v47, v111
	v_cvt_f32_f64_e32 v16, v[45:46]
	v_cvt_f32_f64_e32 v45, v[68:69]
	v_mov_b32_e32 v69, v29
	v_cvt_f32_f64_e32 v29, v[56:57]
	s_delay_alu instid0(VALU_DEP_2) | instskip(SKIP_4) | instid1(VALU_DEP_3)
	v_min3_f32 v69, v12, v13, v69
	v_cvt_f32_f64_e32 v12, v[239:240]
	v_cvt_f32_f64_e32 v13, v[25:26]
	v_min3_f32 v83, v16, v45, v83
	v_cvt_f32_f64_e32 v16, v[42:43]
	v_min3_f32 v77, v12, v13, v77
	v_cvt_f32_f64_e32 v12, v[243:244]
	v_cvt_f32_f64_e32 v13, v[241:242]
	s_delay_alu instid0(VALU_DEP_4) | instskip(SKIP_2) | instid1(VALU_DEP_4)
	v_min3_f32 v109, v16, v29, v109
	v_cvt_f32_f64_e32 v16, v[48:49]
	v_cvt_f32_f64_e32 v29, v[60:61]
	v_min3_f32 v76, v12, v13, v76
	v_cvt_f32_f64_e32 v12, v[247:248]
	v_cvt_f32_f64_e32 v13, v[245:246]
	s_delay_alu instid0(VALU_DEP_4) | instskip(SKIP_2) | instid1(VALU_DEP_4)
	v_min3_f32 v82, v16, v29, v82
	v_cvt_f32_f64_e32 v16, v[58:59]
	;; [unrolled: 7-line block ×3, first 2 shown]
	v_cvt_f32_f64_e32 v29, v[64:65]
	v_min3_f32 v100, v12, v13, v100
	v_cvt_f32_f64_e32 v12, v[17:18]
	v_cvt_f32_f64_e32 v13, v[253:254]
	s_delay_alu instid0(VALU_DEP_4) | instskip(NEXT) | instid1(VALU_DEP_2)
	v_min3_f32 v80, v16, v29, v80
	v_min3_f32 v74, v12, v13, v74
	v_cvt_f32_f64_e32 v12, v[21:22]
	v_cvt_f32_f64_e32 v13, v[19:20]
	s_delay_alu instid0(VALU_DEP_1)
	v_min3_f32 v235, v12, v13, v235
	s_cbranch_vccz .LBB111_35
; %bb.36:
	s_clause 0x2
	scratch_load_b32 v0, off, off offset:388
	scratch_load_b64 v[1:2], off, off offset:312
	scratch_load_b64 v[3:4], off, off offset:320
	v_dual_mov_b32 v110, v83 :: v_dual_mov_b32 v225, v66
	v_dual_mov_b32 v108, v82 :: v_dual_mov_b32 v223, v160
	;; [unrolled: 1-line block ×4, first 2 shown]
	v_mov_b32_e32 v226, v76
	v_mov_b32_e32 v224, v218
	s_add_i32 s18, s18, 8
	s_add_i32 s14, s14, 8
	s_cmp_ge_i32 s18, s15
	s_waitcnt vmcnt(0)
	ds_store_2addr_stride64_b64 v0, v[1:2], v[3:4] offset1:4
	s_clause 0x2
	scratch_load_b32 v0, off, off offset:392
	scratch_load_b64 v[1:2], off, off offset:328
	scratch_load_b64 v[3:4], off, off offset:336
	s_waitcnt vmcnt(0)
	ds_store_2addr_stride64_b64 v0, v[1:2], v[3:4] offset1:4
	s_waitcnt lgkmcnt(0)
	s_waitcnt_vscnt null, 0x0
	s_barrier
	buffer_gl0_inv
	s_cbranch_scc0 .LBB111_20
	s_branch .LBB111_38
.LBB111_37:
	v_mov_b32_e32 v149, v222
.LBB111_38:
	v_dual_mov_b32 v82, v238 :: v_dual_mov_b32 v15, v36
	v_dual_mov_b32 v78, v111 :: v_dual_mov_b32 v99, v74
	;; [unrolled: 1-line block ×4, first 2 shown]
	v_mov_b32_e32 v72, v106
	v_mov_b32_e32 v74, v108
	;; [unrolled: 1-line block ×4, first 2 shown]
	s_mov_b32 s12, 0
	s_mov_b32 s3, -1
.LBB111_39:                             ; =>This Inner Loop Header: Depth=1
	s_lshl_b32 s12, s12, 3
	v_dual_mov_b32 v118, v77 :: v_dual_mov_b32 v89, v114
	s_waitcnt vmcnt(1)
	v_lshl_add_u32 v98, v93, 5, s12
	s_waitcnt vmcnt(0)
	v_lshl_add_u32 v8, v44, 5, s12
	v_dual_mov_b32 v77, v113 :: v_dual_mov_b32 v160, v223
	ds_load_b128 v[20:23], v98 offset:12288
	ds_load_b128 v[0:3], v8 offset:4096
	;; [unrolled: 1-line block ×4, first 2 shown]
	v_mov_b32_e32 v235, v155
	s_mov_b32 s12, 2
	s_and_not1_b32 vcc_lo, exec_lo, s3
	s_mov_b32 s3, 0
	v_dual_mov_b32 v79, v115 :: v_dual_mov_b32 v218, v224
	s_waitcnt lgkmcnt(2)
	v_add_f64 v[119:120], v[2:3], v[22:23]
	s_waitcnt lgkmcnt(1)
	v_add_f64 v[9:10], v[6:7], v[22:23]
	v_add_f64 v[121:122], v[0:1], v[20:21]
	scratch_store_b64 off, v[9:10], off     ; 8-byte Folded Spill
	v_add_f64 v[9:10], v[4:5], v[20:21]
	scratch_store_b64 off, v[9:10], off offset:24 ; 8-byte Folded Spill
	ds_load_b128 v[101:104], v8 offset:6144
	ds_load_b128 v[105:108], v8 offset:7168
	;; [unrolled: 1-line block ×3, first 2 shown]
	s_waitcnt lgkmcnt(2)
	v_add_f64 v[8:9], v[103:104], v[22:23]
	scratch_store_b64 off, v[8:9], off offset:16 ; 8-byte Folded Spill
	v_add_f64 v[8:9], v[101:102], v[20:21]
	scratch_store_b64 off, v[8:9], off offset:40 ; 8-byte Folded Spill
	s_waitcnt lgkmcnt(1)
	v_add_f64 v[8:9], v[107:108], v[22:23]
	scratch_store_b64 off, v[8:9], off offset:8 ; 8-byte Folded Spill
	v_add_f64 v[8:9], v[105:106], v[20:21]
	scratch_store_b64 off, v[8:9], off offset:32 ; 8-byte Folded Spill
	;; [unrolled: 2-line block ×10, first 2 shown]
	v_mov_b32_e32 v8, v69
	ds_load_b128 v[66:69], v98 offset:13056
	s_waitcnt lgkmcnt(1)
	v_add_f64 v[9:10], v[2:3], v[54:55]
	v_add_f64 v[48:49], v[0:1], v[52:53]
	;; [unrolled: 1-line block ×4, first 2 shown]
	scratch_store_b64 off, v[9:10], off offset:144 ; 8-byte Folded Spill
	v_add_f64 v[9:10], v[6:7], v[54:55]
	v_cvt_f32_f64_e32 v48, v[48:49]
	v_cvt_f32_f64_e32 v46, v[46:47]
	v_cvt_f32_f64_e32 v44, v[44:45]
	scratch_store_b64 off, v[9:10], off offset:128 ; 8-byte Folded Spill
	v_add_f64 v[9:10], v[103:104], v[54:55]
	scratch_store_b64 off, v[9:10], off offset:120 ; 8-byte Folded Spill
	v_add_f64 v[9:10], v[107:108], v[54:55]
	;; [unrolled: 2-line block ×3, first 2 shown]
	scratch_store_b64 off, v[9:10], off offset:136 ; 8-byte Folded Spill
	s_waitcnt lgkmcnt(0)
	v_add_f64 v[9:10], v[2:3], v[68:69]
	scratch_store_b64 off, v[9:10], off offset:152 ; 8-byte Folded Spill
	v_add_f64 v[9:10], v[0:1], v[66:67]
	scratch_store_b64 off, v[9:10], off offset:160 ; 8-byte Folded Spill
	;; [unrolled: 2-line block ×8, first 2 shown]
	ds_load_b128 v[84:87], v98 offset:13312
	ds_load_b128 v[109:112], v98 offset:13568
	;; [unrolled: 1-line block ×3, first 2 shown]
	s_waitcnt lgkmcnt(2)
	v_add_f64 v[9:10], v[2:3], v[86:87]
	v_add_f64 v[68:69], v[0:1], v[84:85]
	s_waitcnt lgkmcnt(1)
	v_add_f64 v[90:91], v[103:104], v[111:112]
	v_add_f64 v[92:93], v[101:102], v[109:110]
	;; [unrolled: 1-line block ×4, first 2 shown]
	s_waitcnt lgkmcnt(0)
	v_add_f64 v[139:140], v[2:3], v[115:116]
	v_add_f64 v[141:142], v[0:1], v[113:114]
	;; [unrolled: 1-line block ×7, first 2 shown]
	scratch_store_b64 off, v[9:10], off offset:248 ; 8-byte Folded Spill
	v_add_f64 v[9:10], v[6:7], v[86:87]
	scratch_store_b64 off, v[9:10], off offset:232 ; 8-byte Folded Spill
	v_add_f64 v[9:10], v[4:5], v[84:85]
	;; [unrolled: 2-line block ×5, first 2 shown]
	v_add_f64 v[86:87], v[0:1], v[109:110]
	scratch_store_b64 off, v[9:10], off offset:216 ; 8-byte Folded Spill
	v_add_f64 v[9:10], v[105:106], v[84:85]
	v_add_f64 v[83:84], v[4:5], v[109:110]
	v_mov_b32_e32 v85, v149
	v_add_f64 v[149:150], v[101:102], v[113:114]
	scratch_store_b64 off, v[9:10], off offset:240 ; 8-byte Folded Spill
	v_add_f64 v[9:10], v[2:3], v[111:112]
	scratch_store_b64 off, v[9:10], off offset:272 ; 8-byte Folded Spill
	v_add_f64 v[9:10], v[6:7], v[111:112]
	ds_load_b128 v[109:112], v98 offset:13824
	s_waitcnt lgkmcnt(0)
	v_add_f64 v[123:124], v[2:3], v[111:112]
	v_add_f64 v[125:126], v[0:1], v[109:110]
	;; [unrolled: 1-line block ×8, first 2 shown]
	scratch_store_b64 off, v[9:10], off offset:280 ; 8-byte Folded Spill
	ds_load_b128 v[109:112], v98 offset:14336
	ds_load_b128 v[113:116], v98 offset:14592
	s_waitcnt lgkmcnt(1)
	v_add_f64 v[155:156], v[2:3], v[111:112]
	v_add_f64 v[177:178], v[0:1], v[109:110]
	v_add_f64 v[184:185], v[6:7], v[111:112]
	v_add_f64 v[186:187], v[4:5], v[109:110]
	v_add_f64 v[189:190], v[103:104], v[111:112]
	v_add_f64 v[191:192], v[101:102], v[109:110]
	v_add_f64 v[193:194], v[107:108], v[111:112]
	v_add_f64 v[195:196], v[105:106], v[109:110]
	s_waitcnt lgkmcnt(0)
	v_add_f64 v[197:198], v[2:3], v[115:116]
	v_add_f64 v[199:200], v[0:1], v[113:114]
	v_add_f64 v[201:202], v[6:7], v[115:116]
	v_add_f64 v[203:204], v[4:5], v[113:114]
	v_add_f64 v[205:206], v[103:104], v[115:116]
	v_add_f64 v[207:208], v[101:102], v[113:114]
	v_add_f64 v[209:210], v[107:108], v[115:116]
	v_add_f64 v[66:67], v[105:106], v[113:114]
	ds_load_b128 v[109:112], v98 offset:14848
	ds_load_b128 v[113:116], v98 offset:15104
	s_waitcnt lgkmcnt(1)
	v_add_f64 v[58:59], v[2:3], v[111:112]
	v_add_f64 v[158:159], v[0:1], v[109:110]
	v_add_f64 v[162:163], v[6:7], v[111:112]
	v_add_f64 v[219:220], v[4:5], v[109:110]
	v_add_f64 v[221:222], v[103:104], v[111:112]
	v_add_f64 v[60:61], v[101:102], v[109:110]
	v_add_f64 v[64:65], v[107:108], v[111:112]
	v_add_f64 v[62:63], v[105:106], v[109:110]
	s_waitcnt lgkmcnt(0)
	v_add_f64 v[56:57], v[2:3], v[115:116]
	v_add_f64 v[52:53], v[0:1], v[113:114]
	v_add_f64 v[54:55], v[6:7], v[115:116]
	v_add_f64 v[223:224], v[4:5], v[113:114]
	v_add_f64 v[50:51], v[103:104], v[115:116]
	v_add_f64 v[239:240], v[101:102], v[113:114]
	v_add_f64 v[241:242], v[107:108], v[115:116]
	v_add_f64 v[243:244], v[105:106], v[113:114]
	;; [unrolled: 20-line block ×3, first 2 shown]
	ds_load_b128 v[109:112], v98 offset:15872
	ds_load_b128 v[113:116], v98 offset:16128
	v_cvt_f32_f64_e32 v98, v[121:122]
	s_waitcnt lgkmcnt(1)
	v_add_f64 v[9:10], v[0:1], v[109:110]
	v_add_f64 v[11:12], v[4:5], v[109:110]
	;; [unrolled: 1-line block ×4, first 2 shown]
	s_waitcnt lgkmcnt(0)
	v_add_f64 v[0:1], v[0:1], v[113:114]
	v_add_f64 v[4:5], v[4:5], v[113:114]
	;; [unrolled: 1-line block ×4, first 2 shown]
	v_cvt_f32_f64_e32 v113, v[119:120]
	scratch_load_b64 v[119:120], off, off offset:24 ; 8-byte Folded Reload
	v_mov_b32_e32 v114, v89
	v_add_f64 v[13:14], v[2:3], v[111:112]
	v_add_f64 v[18:19], v[6:7], v[111:112]
	;; [unrolled: 1-line block ×8, first 2 shown]
	v_mov_b32_e32 v115, v79
	v_cvt_f32_f64_e32 v38, v[38:39]
	v_cvt_f32_f64_e32 v39, v[253:254]
	;; [unrolled: 1-line block ×11, first 2 shown]
	v_min3_f32 v183, v98, v113, v183
	v_cvt_f32_f64_e32 v1, v[2:3]
	v_min3_f32 v225, v38, v39, v225
	v_cvt_f32_f64_e32 v38, v[40:41]
	v_cvt_f32_f64_e32 v39, v[42:43]
	v_min3_f32 v82, v30, v31, v82
	v_min3_f32 v161, v26, v27, v161
	;; [unrolled: 1-line block ×4, first 2 shown]
	v_cvt_f32_f64_e32 v0, v[4:5]
	v_cvt_f32_f64_e32 v1, v[6:7]
	s_delay_alu instid0(VALU_DEP_1) | instskip(SKIP_2) | instid1(VALU_DEP_1)
	v_min3_f32 v228, v0, v1, v228
	v_cvt_f32_f64_e32 v0, v[101:102]
	v_cvt_f32_f64_e32 v1, v[103:104]
	v_min3_f32 v211, v0, v1, v211
	v_cvt_f32_f64_e32 v0, v[105:106]
	v_cvt_f32_f64_e32 v1, v[107:108]
	s_delay_alu instid0(VALU_DEP_1)
	v_min3_f32 v255, v0, v1, v255
	s_waitcnt vmcnt(0)
	v_cvt_f32_f64_e32 v98, v[119:120]
	scratch_load_b64 v[119:120], off, off   ; 8-byte Folded Reload
	s_waitcnt vmcnt(0)
	v_cvt_f32_f64_e32 v113, v[119:120]
	scratch_load_b64 v[119:120], off, off offset:40 ; 8-byte Folded Reload
	v_min3_f32 v182, v98, v113, v182
	s_waitcnt vmcnt(0)
	v_cvt_f32_f64_e32 v98, v[119:120]
	scratch_load_b64 v[119:120], off, off offset:16 ; 8-byte Folded Reload
	s_waitcnt vmcnt(0)
	v_cvt_f32_f64_e32 v113, v[119:120]
	scratch_load_b64 v[119:120], off, off offset:32 ; 8-byte Folded Reload
	v_min3_f32 v181, v98, v113, v181
	s_waitcnt vmcnt(0)
	v_cvt_f32_f64_e32 v98, v[119:120]
	scratch_load_b64 v[119:120], off, off offset:8 ; 8-byte Folded Reload
	;; [unrolled: 7-line block ×6, first 2 shown]
	s_waitcnt vmcnt(0)
	v_cvt_f32_f64_e32 v113, v[119:120]
	scratch_load_b64 v[119:120], off, off offset:144 ; 8-byte Folded Reload
	v_min3_f32 v174, v98, v113, v174
	v_mov_b32_e32 v113, v77
	v_mov_b32_e32 v77, v118
	s_waitcnt vmcnt(0)
	v_cvt_f32_f64_e32 v49, v[119:120]
	s_delay_alu instid0(VALU_DEP_1) | instskip(SKIP_3) | instid1(VALU_DEP_1)
	v_min3_f32 v173, v48, v49, v173
	scratch_load_b64 v[47:48], off, off offset:128 ; 8-byte Folded Reload
	s_waitcnt vmcnt(0)
	v_cvt_f32_f64_e32 v47, v[47:48]
	v_min3_f32 v172, v46, v47, v172
	scratch_load_b64 v[45:46], off, off offset:120 ; 8-byte Folded Reload
	s_waitcnt vmcnt(0)
	v_cvt_f32_f64_e32 v45, v[45:46]
	s_delay_alu instid0(VALU_DEP_1)
	v_min3_f32 v171, v44, v45, v171
	scratch_load_b64 v[44:45], off, off offset:136 ; 8-byte Folded Reload
	s_waitcnt vmcnt(0)
	v_cvt_f32_f64_e32 v44, v[44:45]
	scratch_load_b64 v[45:46], off, off offset:112 ; 8-byte Folded Reload
	s_waitcnt vmcnt(0)
	v_cvt_f32_f64_e32 v45, v[45:46]
	s_delay_alu instid0(VALU_DEP_1)
	v_min3_f32 v170, v44, v45, v170
	scratch_load_b64 v[44:45], off, off offset:160 ; 8-byte Folded Reload
	s_waitcnt vmcnt(0)
	v_cvt_f32_f64_e32 v44, v[44:45]
	scratch_load_b64 v[45:46], off, off offset:152 ; 8-byte Folded Reload
	s_waitcnt vmcnt(0)
	v_cvt_f32_f64_e32 v45, v[45:46]
	s_delay_alu instid0(VALU_DEP_1)
	v_min3_f32 v169, v44, v45, v169
	scratch_load_b64 v[44:45], off, off offset:176 ; 8-byte Folded Reload
	s_waitcnt vmcnt(0)
	v_cvt_f32_f64_e32 v44, v[44:45]
	scratch_load_b64 v[45:46], off, off offset:168 ; 8-byte Folded Reload
	s_waitcnt vmcnt(0)
	v_cvt_f32_f64_e32 v45, v[45:46]
	s_delay_alu instid0(VALU_DEP_1)
	v_min3_f32 v168, v44, v45, v168
	scratch_load_b64 v[44:45], off, off offset:192 ; 8-byte Folded Reload
	s_waitcnt vmcnt(0)
	v_cvt_f32_f64_e32 v44, v[44:45]
	scratch_load_b64 v[45:46], off, off offset:184 ; 8-byte Folded Reload
	s_waitcnt vmcnt(0)
	v_cvt_f32_f64_e32 v45, v[45:46]
	s_delay_alu instid0(VALU_DEP_1)
	v_min3_f32 v167, v44, v45, v167
	scratch_load_b64 v[44:45], off, off offset:208 ; 8-byte Folded Reload
	s_waitcnt vmcnt(0)
	v_cvt_f32_f64_e32 v44, v[44:45]
	scratch_load_b64 v[45:46], off, off offset:200 ; 8-byte Folded Reload
	s_waitcnt vmcnt(0)
	v_cvt_f32_f64_e32 v45, v[45:46]
	s_delay_alu instid0(VALU_DEP_1)
	v_min3_f32 v166, v44, v45, v166
	scratch_load_b64 v[45:46], off, off offset:248 ; 8-byte Folded Reload
	v_cvt_f32_f64_e32 v44, v[68:69]
	v_mov_b32_e32 v69, v8
	v_cvt_f32_f64_e32 v8, v[9:10]
	v_cvt_f32_f64_e32 v9, v[13:14]
	s_delay_alu instid0(VALU_DEP_1) | instskip(SKIP_2) | instid1(VALU_DEP_1)
	v_min3_f32 v217, v8, v9, v217
	v_cvt_f32_f64_e32 v8, v[11:12]
	v_cvt_f32_f64_e32 v9, v[18:19]
	v_min3_f32 v230, v8, v9, v230
	v_cvt_f32_f64_e32 v8, v[16:17]
	v_cvt_f32_f64_e32 v9, v[20:21]
	s_delay_alu instid0(VALU_DEP_1) | instskip(SKIP_2) | instid1(VALU_DEP_1)
	v_min3_f32 v215, v8, v9, v215
	v_cvt_f32_f64_e32 v8, v[109:110]
	v_cvt_f32_f64_e32 v9, v[111:112]
	v_min3_f32 v214, v8, v9, v214
	s_waitcnt vmcnt(0)
	v_cvt_f32_f64_e32 v45, v[45:46]
	s_delay_alu instid0(VALU_DEP_1)
	v_min3_f32 v165, v44, v45, v165
	scratch_load_b64 v[44:45], off, off offset:264 ; 8-byte Folded Reload
	s_waitcnt vmcnt(0)
	v_cvt_f32_f64_e32 v44, v[44:45]
	scratch_load_b64 v[45:46], off, off offset:232 ; 8-byte Folded Reload
	s_waitcnt vmcnt(0)
	v_cvt_f32_f64_e32 v45, v[45:46]
	s_delay_alu instid0(VALU_DEP_1)
	v_min3_f32 v164, v44, v45, v164
	scratch_load_b64 v[44:45], off, off offset:256 ; 8-byte Folded Reload
	s_waitcnt vmcnt(0)
	v_cvt_f32_f64_e32 v44, v[44:45]
	scratch_load_b64 v[45:46], off, off offset:224 ; 8-byte Folded Reload
	s_waitcnt vmcnt(0)
	v_cvt_f32_f64_e32 v45, v[45:46]
	s_delay_alu instid0(VALU_DEP_1)
	v_min3_f32 v232, v44, v45, v232
	scratch_load_b64 v[44:45], off, off offset:240 ; 8-byte Folded Reload
	s_waitcnt vmcnt(0)
	v_cvt_f32_f64_e32 v44, v[44:45]
	scratch_load_b64 v[45:46], off, off offset:216 ; 8-byte Folded Reload
	s_waitcnt vmcnt(0)
	v_cvt_f32_f64_e32 v45, v[45:46]
	s_delay_alu instid0(VALU_DEP_1) | instskip(SKIP_4) | instid1(VALU_DEP_1)
	v_min3_f32 v231, v44, v45, v231
	scratch_load_b64 v[45:46], off, off offset:272 ; 8-byte Folded Reload
	v_cvt_f32_f64_e32 v44, v[86:87]
	s_waitcnt vmcnt(0)
	v_cvt_f32_f64_e32 v45, v[45:46]
	v_min3_f32 v212, v44, v45, v212
	scratch_load_b64 v[45:46], off, off offset:280 ; 8-byte Folded Reload
	v_cvt_f32_f64_e32 v44, v[83:84]
	s_waitcnt vmcnt(0)
	v_cvt_f32_f64_e32 v45, v[45:46]
	s_delay_alu instid0(VALU_DEP_1)
	v_min3_f32 v188, v44, v45, v188
	v_cvt_f32_f64_e32 v44, v[92:93]
	v_cvt_f32_f64_e32 v45, v[90:91]
	scratch_load_b32 v93, off, off offset:300 ; 4-byte Folded Reload
	v_min3_f32 v229, v44, v45, v229
	v_cvt_f32_f64_e32 v44, v[96:97]
	v_cvt_f32_f64_e32 v45, v[94:95]
	s_delay_alu instid0(VALU_DEP_1) | instskip(SKIP_2) | instid1(VALU_DEP_1)
	v_min3_f32 v216, v44, v45, v216
	v_cvt_f32_f64_e32 v44, v[125:126]
	v_cvt_f32_f64_e32 v45, v[123:124]
	v_min3_f32 v227, v44, v45, v227
	v_cvt_f32_f64_e32 v44, v[129:130]
	v_cvt_f32_f64_e32 v45, v[127:128]
	s_delay_alu instid0(VALU_DEP_1) | instskip(SKIP_2) | instid1(VALU_DEP_1)
	v_min3_f32 v114, v44, v45, v114
	v_cvt_f32_f64_e32 v44, v[133:134]
	v_cvt_f32_f64_e32 v45, v[131:132]
	;; [unrolled: 7-line block ×3, first 2 shown]
	v_min3_f32 v113, v44, v45, v113
	v_cvt_f32_f64_e32 v44, v[145:146]
	v_cvt_f32_f64_e32 v45, v[143:144]
	s_delay_alu instid0(VALU_DEP_1) | instskip(SKIP_3) | instid1(VALU_DEP_2)
	v_min3_f32 v88, v44, v45, v88
	v_cvt_f32_f64_e32 v44, v[149:150]
	v_cvt_f32_f64_e32 v45, v[147:148]
	v_mov_b32_e32 v149, v85
	v_min3_f32 v78, v44, v45, v78
	v_cvt_f32_f64_e32 v44, v[153:154]
	v_cvt_f32_f64_e32 v45, v[151:152]
	s_delay_alu instid0(VALU_DEP_1) | instskip(SKIP_3) | instid1(VALU_DEP_2)
	v_min3_f32 v76, v44, v45, v76
	v_cvt_f32_f64_e32 v44, v[177:178]
	v_cvt_f32_f64_e32 v45, v[155:156]
	v_mov_b32_e32 v155, v235
	v_min3_f32 v75, v44, v45, v75
	v_cvt_f32_f64_e32 v44, v[186:187]
	v_cvt_f32_f64_e32 v45, v[184:185]
	s_delay_alu instid0(VALU_DEP_1) | instskip(SKIP_2) | instid1(VALU_DEP_1)
	v_min3_f32 v74, v44, v45, v74
	v_cvt_f32_f64_e32 v44, v[191:192]
	v_cvt_f32_f64_e32 v45, v[189:190]
	v_min3_f32 v73, v44, v45, v73
	v_cvt_f32_f64_e32 v44, v[195:196]
	v_cvt_f32_f64_e32 v45, v[193:194]
	s_delay_alu instid0(VALU_DEP_1) | instskip(SKIP_2) | instid1(VALU_DEP_1)
	v_min3_f32 v72, v44, v45, v72
	v_cvt_f32_f64_e32 v44, v[199:200]
	v_cvt_f32_f64_e32 v45, v[197:198]
	v_min3_f32 v71, v44, v45, v71
	v_cvt_f32_f64_e32 v44, v[203:204]
	v_cvt_f32_f64_e32 v45, v[201:202]
	s_delay_alu instid0(VALU_DEP_1) | instskip(SKIP_2) | instid1(VALU_DEP_1)
	v_min3_f32 v70, v44, v45, v70
	v_cvt_f32_f64_e32 v44, v[207:208]
	v_cvt_f32_f64_e32 v45, v[205:206]
	v_min3_f32 v15, v44, v45, v15
	v_cvt_f32_f64_e32 v44, v[66:67]
	v_cvt_f32_f64_e32 v45, v[209:210]
	s_delay_alu instid0(VALU_DEP_1) | instskip(SKIP_2) | instid1(VALU_DEP_1)
	v_min3_f32 v69, v44, v45, v69
	v_cvt_f32_f64_e32 v44, v[158:159]
	v_cvt_f32_f64_e32 v45, v[58:59]
	v_min3_f32 v77, v44, v45, v77
	v_cvt_f32_f64_e32 v44, v[219:220]
	v_cvt_f32_f64_e32 v45, v[162:163]
	s_delay_alu instid0(VALU_DEP_1) | instskip(SKIP_2) | instid1(VALU_DEP_1)
	v_min3_f32 v226, v44, v45, v226
	v_cvt_f32_f64_e32 v44, v[60:61]
	v_cvt_f32_f64_e32 v45, v[221:222]
	v_min3_f32 v155, v44, v45, v155
	v_cvt_f32_f64_e32 v44, v[62:63]
	v_cvt_f32_f64_e32 v45, v[64:65]
	s_delay_alu instid0(VALU_DEP_1) | instskip(SKIP_2) | instid1(VALU_DEP_1)
	v_min3_f32 v100, v44, v45, v100
	v_cvt_f32_f64_e32 v44, v[52:53]
	v_cvt_f32_f64_e32 v45, v[56:57]
	v_min3_f32 v99, v44, v45, v99
	v_cvt_f32_f64_e32 v44, v[223:224]
	v_cvt_f32_f64_e32 v45, v[54:55]
	v_dual_mov_b32 v224, v218 :: v_dual_mov_b32 v223, v160
	s_delay_alu instid0(VALU_DEP_1) | instskip(NEXT) | instid1(VALU_DEP_2)
	v_min3_f32 v224, v38, v39, v224
	v_min3_f32 v223, v34, v35, v223
	s_delay_alu instid0(VALU_DEP_4) | instskip(SKIP_2) | instid1(VALU_DEP_1)
	v_min3_f32 v238, v44, v45, v238
	v_cvt_f32_f64_e32 v44, v[239:240]
	v_cvt_f32_f64_e32 v45, v[50:51]
	v_min3_f32 v236, v44, v45, v236
	v_cvt_f32_f64_e32 v44, v[243:244]
	v_cvt_f32_f64_e32 v45, v[241:242]
	s_delay_alu instid0(VALU_DEP_1) | instskip(SKIP_2) | instid1(VALU_DEP_1)
	v_min3_f32 v234, v44, v45, v234
	v_cvt_f32_f64_e32 v44, v[247:248]
	v_cvt_f32_f64_e32 v45, v[245:246]
	v_min3_f32 v233, v44, v45, v233
	v_cvt_f32_f64_e32 v44, v[251:252]
	v_cvt_f32_f64_e32 v45, v[249:250]
	s_delay_alu instid0(VALU_DEP_1)
	v_min3_f32 v149, v44, v45, v149
	scratch_load_b32 v44, off, off offset:296 ; 4-byte Folded Reload
	s_cbranch_vccz .LBB111_39
; %bb.40:
	s_clause 0x2
	s_load_b32 s12, s[0:1], 0x70
	s_load_b32 s3, s[0:1], 0x58
	s_load_b64 s[0:1], s[0:1], 0x78
	s_waitcnt vmcnt(1)
	v_dual_mov_b32 v31, v73 :: v_dual_add_nc_u32 v10, s7, v93
	s_waitcnt vmcnt(0)
	v_dual_mov_b32 v25, v238 :: v_dual_add_nc_u32 v4, s6, v44
	s_delay_alu instid0(VALU_DEP_1)
	v_ashrrev_i32_e32 v5, 31, v4
	v_add_nc_u32_e32 v2, 32, v4
	s_waitcnt lgkmcnt(0)
	v_mad_i64_i32 v[0:1], null, v10, s12, 0
	v_mad_i64_i32 v[6:7], null, v10, s3, 0
	s_lshl_b64 s[0:1], s[0:1], 3
	s_delay_alu instid0(SALU_CYCLE_1) | instskip(SKIP_1) | instid1(VALU_DEP_2)
	s_add_u32 s4, s4, s0
	s_addc_u32 s5, s5, s1
	v_lshlrev_b64 v[8:9], 3, v[0:1]
	v_lshlrev_b64 v[0:1], 3, v[4:5]
	s_delay_alu instid0(VALU_DEP_3) | instskip(NEXT) | instid1(VALU_DEP_3)
	v_lshlrev_b64 v[5:6], 3, v[6:7]
	v_add_co_u32 v11, vcc_lo, s4, v8
	s_delay_alu instid0(VALU_DEP_4) | instskip(NEXT) | instid1(VALU_DEP_3)
	v_add_co_ci_u32_e32 v12, vcc_lo, s5, v9, vcc_lo
	v_add_co_u32 v8, vcc_lo, s8, v5
	v_max_f32_e32 v5, v183, v183
	v_ashrrev_i32_e32 v3, 31, v2
	v_add_co_ci_u32_e32 v9, vcc_lo, s9, v6, vcc_lo
	s_mov_b32 vcc_lo, s2
	s_cbranch_vccz .LBB111_42
; %bb.41:
	v_min_f32_e32 v6, 0, v5
	v_add_co_u32 v16, vcc_lo, v11, v0
	v_add_co_ci_u32_e32 v17, vcc_lo, v12, v1, vcc_lo
	s_delay_alu instid0(VALU_DEP_3)
	v_cvt_f64_f32_e32 v[6:7], v6
	s_mov_b32 s6, 0
	s_mov_b64 s[0:1], 0
	global_store_b64 v[16:17], v[6:7], off
	s_branch .LBB111_43
.LBB111_42:
	s_mov_b32 s6, -1
                                        ; implicit-def: $sgpr0_sgpr1
.LBB111_43:
	v_lshlrev_b64 v[2:3], 3, v[2:3]
	v_mov_b32_e32 v28, v15
	v_mov_b32_e32 v33, v75
	s_and_not1_b32 vcc_lo, exec_lo, s6
	s_cbranch_vccnz .LBB111_45
; %bb.44:
	v_add_co_u32 v6, vcc_lo, v8, v0
	v_add_co_ci_u32_e32 v7, vcc_lo, v9, v1, vcc_lo
	v_add_co_u32 v16, vcc_lo, v11, v0
	v_add_co_ci_u32_e32 v17, vcc_lo, v12, v1, vcc_lo
	flat_load_b64 v[6:7], v[6:7]
	v_add_co_u32 v18, vcc_lo, v8, v2
	v_add_co_ci_u32_e32 v19, vcc_lo, v9, v3, vcc_lo
	s_waitcnt vmcnt(0) lgkmcnt(0)
	v_mul_f64 v[6:7], s[10:11], v[6:7]
	s_delay_alu instid0(VALU_DEP_1) | instskip(NEXT) | instid1(VALU_DEP_1)
	v_cvt_f32_f64_e32 v6, v[6:7]
	v_min_f32_e32 v5, v6, v5
	s_delay_alu instid0(VALU_DEP_1)
	v_cvt_f64_f32_e32 v[5:6], v5
	global_store_b64 v[16:17], v[5:6], off
	flat_load_b64 v[5:6], v[18:19]
	s_waitcnt vmcnt(0) lgkmcnt(0)
	v_mul_f64 v[5:6], s[10:11], v[5:6]
	s_branch .LBB111_46
.LBB111_45:
	v_dual_mov_b32 v6, s1 :: v_dual_mov_b32 v5, s0
.LBB111_46:
	s_delay_alu instid0(VALU_DEP_1)
	v_cvt_f32_f64_e32 v5, v[5:6]
	v_dual_max_f32 v6, v182, v182 :: v_dual_max_f32 v13, v181, v181
	v_add_co_u32 v20, vcc_lo, v11, v2
	v_add_co_ci_u32_e32 v21, vcc_lo, v12, v3, vcc_lo
	s_mov_b32 vcc_lo, s2
	v_add_nc_u32_e32 v18, 64, v4
	s_delay_alu instid0(VALU_DEP_1) | instskip(SKIP_1) | instid1(VALU_DEP_1)
	v_ashrrev_i32_e32 v19, 31, v18
	v_dual_min_f32 v5, v5, v6 :: v_dual_add_nc_u32 v6, 0x60, v4
	v_cvt_f64_f32_e32 v[16:17], v5
	s_delay_alu instid0(VALU_DEP_2) | instskip(NEXT) | instid1(VALU_DEP_4)
	v_ashrrev_i32_e32 v7, 31, v6
	v_lshlrev_b64 v[4:5], 3, v[18:19]
	global_store_b64 v[20:21], v[16:17], off
	s_cbranch_vccz .LBB111_49
; %bb.47:
	v_min_f32_e32 v16, 0, v13
	v_add_co_u32 v18, vcc_lo, v11, v4
	v_add_co_ci_u32_e32 v19, vcc_lo, v12, v5, vcc_lo
	s_delay_alu instid0(VALU_DEP_3)
	v_cvt_f64_f32_e32 v[16:17], v16
	s_mov_b64 s[0:1], 0
	global_store_b64 v[18:19], v[16:17], off
	v_lshlrev_b64 v[6:7], 3, v[6:7]
	s_cbranch_execz .LBB111_50
; %bb.48:
	v_dual_mov_b32 v9, s1 :: v_dual_mov_b32 v8, s0
	s_branch .LBB111_51
.LBB111_49:
                                        ; implicit-def: $sgpr0_sgpr1
	v_lshlrev_b64 v[6:7], 3, v[6:7]
.LBB111_50:
	v_add_co_u32 v16, vcc_lo, v8, v4
	v_add_co_ci_u32_e32 v17, vcc_lo, v9, v5, vcc_lo
	v_add_co_u32 v18, vcc_lo, v11, v4
	v_add_co_ci_u32_e32 v19, vcc_lo, v12, v5, vcc_lo
	flat_load_b64 v[16:17], v[16:17]
	v_add_co_u32 v8, vcc_lo, v8, v6
	v_add_co_ci_u32_e32 v9, vcc_lo, v9, v7, vcc_lo
	s_waitcnt vmcnt(0) lgkmcnt(0)
	v_mul_f64 v[16:17], s[10:11], v[16:17]
	s_delay_alu instid0(VALU_DEP_1) | instskip(NEXT) | instid1(VALU_DEP_1)
	v_cvt_f32_f64_e32 v16, v[16:17]
	v_min_f32_e32 v13, v16, v13
	s_delay_alu instid0(VALU_DEP_1)
	v_cvt_f64_f32_e32 v[16:17], v13
	global_store_b64 v[18:19], v[16:17], off
	flat_load_b64 v[8:9], v[8:9]
	s_waitcnt vmcnt(0) lgkmcnt(0)
	v_mul_f64 v[8:9], s[10:11], v[8:9]
.LBB111_51:
	s_delay_alu instid0(VALU_DEP_1) | instskip(SKIP_4) | instid1(VALU_DEP_1)
	v_cvt_f32_f64_e32 v8, v[8:9]
	v_max_f32_e32 v9, v180, v180
	v_add_co_u32 v23, vcc_lo, v11, v6
	v_add_co_ci_u32_e32 v24, vcc_lo, v12, v7, vcc_lo
	v_add_nc_u32_e32 v13, 8, v10
	v_mad_i64_i32 v[19:20], null, v13, s3, 0
	s_delay_alu instid0(VALU_DEP_1) | instskip(SKIP_1) | instid1(VALU_DEP_1)
	v_lshlrev_b64 v[19:20], 3, v[19:20]
	v_min_f32_e32 v8, v8, v9
	v_cvt_f64_f32_e32 v[17:18], v8
	v_mad_i64_i32 v[8:9], null, v13, s12, 0
	s_delay_alu instid0(VALU_DEP_1) | instskip(SKIP_1) | instid1(VALU_DEP_2)
	v_lshlrev_b64 v[21:22], 3, v[8:9]
	v_max_f32_e32 v8, v179, v179
	v_add_co_u32 v11, vcc_lo, s4, v21
	s_delay_alu instid0(VALU_DEP_3)
	v_add_co_ci_u32_e32 v12, vcc_lo, s5, v22, vcc_lo
	v_add_co_u32 v13, vcc_lo, s8, v19
	v_add_co_ci_u32_e32 v16, vcc_lo, s9, v20, vcc_lo
	s_mov_b32 vcc_lo, s2
	global_store_b64 v[23:24], v[17:18], off
	s_cbranch_vccz .LBB111_54
; %bb.52:
	v_min_f32_e32 v9, 0, v8
	v_add_co_u32 v19, vcc_lo, v11, v0
	v_add_co_ci_u32_e32 v20, vcc_lo, v12, v1, vcc_lo
	s_delay_alu instid0(VALU_DEP_3)
	v_cvt_f64_f32_e32 v[17:18], v9
	s_mov_b64 s[0:1], 0
	global_store_b64 v[19:20], v[17:18], off
	s_cbranch_execz .LBB111_55
; %bb.53:
	v_dual_mov_b32 v9, s1 :: v_dual_mov_b32 v8, s0
	s_branch .LBB111_56
.LBB111_54:
                                        ; implicit-def: $sgpr0_sgpr1
.LBB111_55:
	v_add_co_u32 v17, vcc_lo, v13, v0
	v_add_co_ci_u32_e32 v18, vcc_lo, v16, v1, vcc_lo
	flat_load_b64 v[17:18], v[17:18]
	s_waitcnt vmcnt(0) lgkmcnt(0)
	v_mul_f64 v[17:18], s[10:11], v[17:18]
	s_delay_alu instid0(VALU_DEP_1)
	v_cvt_f32_f64_e32 v9, v[17:18]
	v_add_co_u32 v17, vcc_lo, v11, v0
	v_add_co_ci_u32_e32 v18, vcc_lo, v12, v1, vcc_lo
	v_add_co_u32 v19, vcc_lo, v13, v2
	v_add_co_ci_u32_e32 v20, vcc_lo, v16, v3, vcc_lo
	v_min_f32_e32 v8, v9, v8
	s_delay_alu instid0(VALU_DEP_1)
	v_cvt_f64_f32_e32 v[8:9], v8
	global_store_b64 v[17:18], v[8:9], off
	flat_load_b64 v[8:9], v[19:20]
	s_waitcnt vmcnt(0) lgkmcnt(0)
	v_mul_f64 v[8:9], s[10:11], v[8:9]
.LBB111_56:
	s_delay_alu instid0(VALU_DEP_1) | instskip(SKIP_4) | instid1(VALU_DEP_3)
	v_cvt_f32_f64_e32 v8, v[8:9]
	v_max_f32_e32 v9, v176, v176
	v_add_co_u32 v19, vcc_lo, v11, v2
	v_add_co_ci_u32_e32 v20, vcc_lo, v12, v3, vcc_lo
	s_mov_b32 vcc_lo, s2
	v_min_f32_e32 v8, v8, v9
	s_delay_alu instid0(VALU_DEP_1)
	v_cvt_f64_f32_e32 v[17:18], v8
	v_max_f32_e32 v8, v175, v175
	global_store_b64 v[19:20], v[17:18], off
	s_cbranch_vccz .LBB111_59
; %bb.57:
	v_min_f32_e32 v9, 0, v8
	v_add_co_u32 v19, vcc_lo, v11, v4
	v_add_co_ci_u32_e32 v20, vcc_lo, v12, v5, vcc_lo
	s_delay_alu instid0(VALU_DEP_3)
	v_cvt_f64_f32_e32 v[17:18], v9
	s_mov_b64 s[0:1], 0
	global_store_b64 v[19:20], v[17:18], off
	s_cbranch_execz .LBB111_60
; %bb.58:
	v_dual_mov_b32 v9, s1 :: v_dual_mov_b32 v8, s0
	s_branch .LBB111_61
.LBB111_59:
                                        ; implicit-def: $sgpr0_sgpr1
.LBB111_60:
	v_add_co_u32 v17, vcc_lo, v13, v4
	v_add_co_ci_u32_e32 v18, vcc_lo, v16, v5, vcc_lo
	flat_load_b64 v[17:18], v[17:18]
	s_waitcnt vmcnt(0) lgkmcnt(0)
	v_mul_f64 v[17:18], s[10:11], v[17:18]
	s_delay_alu instid0(VALU_DEP_1)
	v_cvt_f32_f64_e32 v9, v[17:18]
	v_add_co_u32 v17, vcc_lo, v11, v4
	v_add_co_ci_u32_e32 v18, vcc_lo, v12, v5, vcc_lo
	v_add_co_u32 v19, vcc_lo, v13, v6
	v_add_co_ci_u32_e32 v20, vcc_lo, v16, v7, vcc_lo
	v_min_f32_e32 v8, v9, v8
	s_delay_alu instid0(VALU_DEP_1)
	v_cvt_f64_f32_e32 v[8:9], v8
	global_store_b64 v[17:18], v[8:9], off
	flat_load_b64 v[8:9], v[19:20]
	s_waitcnt vmcnt(0) lgkmcnt(0)
	v_mul_f64 v[8:9], s[10:11], v[8:9]
.LBB111_61:
	s_delay_alu instid0(VALU_DEP_1) | instskip(SKIP_4) | instid1(VALU_DEP_1)
	v_cvt_f32_f64_e32 v8, v[8:9]
	v_max_f32_e32 v9, v174, v174
	v_add_co_u32 v23, vcc_lo, v11, v6
	v_add_co_ci_u32_e32 v24, vcc_lo, v12, v7, vcc_lo
	v_add_nc_u32_e32 v13, 16, v10
	v_mad_i64_i32 v[19:20], null, v13, s3, 0
	s_delay_alu instid0(VALU_DEP_1) | instskip(SKIP_1) | instid1(VALU_DEP_1)
	v_lshlrev_b64 v[19:20], 3, v[19:20]
	v_min_f32_e32 v8, v8, v9
	v_cvt_f64_f32_e32 v[17:18], v8
	v_mad_i64_i32 v[8:9], null, v13, s12, 0
	s_delay_alu instid0(VALU_DEP_1) | instskip(SKIP_1) | instid1(VALU_DEP_2)
	v_lshlrev_b64 v[21:22], 3, v[8:9]
	v_max_f32_e32 v8, v173, v173
	v_add_co_u32 v11, vcc_lo, s4, v21
	s_delay_alu instid0(VALU_DEP_3)
	v_add_co_ci_u32_e32 v12, vcc_lo, s5, v22, vcc_lo
	v_add_co_u32 v13, vcc_lo, s8, v19
	v_add_co_ci_u32_e32 v16, vcc_lo, s9, v20, vcc_lo
	s_mov_b32 vcc_lo, s2
	global_store_b64 v[23:24], v[17:18], off
	s_cbranch_vccz .LBB111_64
; %bb.62:
	v_min_f32_e32 v9, 0, v8
	v_add_co_u32 v19, vcc_lo, v11, v0
	v_add_co_ci_u32_e32 v20, vcc_lo, v12, v1, vcc_lo
	s_delay_alu instid0(VALU_DEP_3)
	v_cvt_f64_f32_e32 v[17:18], v9
	s_mov_b64 s[0:1], 0
	global_store_b64 v[19:20], v[17:18], off
	s_cbranch_execz .LBB111_65
; %bb.63:
	v_dual_mov_b32 v9, s1 :: v_dual_mov_b32 v8, s0
	s_branch .LBB111_66
.LBB111_64:
                                        ; implicit-def: $sgpr0_sgpr1
.LBB111_65:
	v_add_co_u32 v17, vcc_lo, v13, v0
	v_add_co_ci_u32_e32 v18, vcc_lo, v16, v1, vcc_lo
	flat_load_b64 v[17:18], v[17:18]
	s_waitcnt vmcnt(0) lgkmcnt(0)
	v_mul_f64 v[17:18], s[10:11], v[17:18]
	s_delay_alu instid0(VALU_DEP_1)
	v_cvt_f32_f64_e32 v9, v[17:18]
	v_add_co_u32 v17, vcc_lo, v11, v0
	v_add_co_ci_u32_e32 v18, vcc_lo, v12, v1, vcc_lo
	v_add_co_u32 v19, vcc_lo, v13, v2
	v_add_co_ci_u32_e32 v20, vcc_lo, v16, v3, vcc_lo
	v_min_f32_e32 v8, v9, v8
	s_delay_alu instid0(VALU_DEP_1)
	v_cvt_f64_f32_e32 v[8:9], v8
	global_store_b64 v[17:18], v[8:9], off
	flat_load_b64 v[8:9], v[19:20]
	s_waitcnt vmcnt(0) lgkmcnt(0)
	v_mul_f64 v[8:9], s[10:11], v[8:9]
.LBB111_66:
	s_delay_alu instid0(VALU_DEP_1) | instskip(SKIP_4) | instid1(VALU_DEP_3)
	v_cvt_f32_f64_e32 v8, v[8:9]
	v_max_f32_e32 v9, v172, v172
	v_add_co_u32 v19, vcc_lo, v11, v2
	v_add_co_ci_u32_e32 v20, vcc_lo, v12, v3, vcc_lo
	s_mov_b32 vcc_lo, s2
	v_min_f32_e32 v8, v8, v9
	s_delay_alu instid0(VALU_DEP_1)
	v_cvt_f64_f32_e32 v[17:18], v8
	v_max_f32_e32 v8, v171, v171
	global_store_b64 v[19:20], v[17:18], off
	s_cbranch_vccz .LBB111_69
; %bb.67:
	v_min_f32_e32 v9, 0, v8
	v_add_co_u32 v19, vcc_lo, v11, v4
	v_add_co_ci_u32_e32 v20, vcc_lo, v12, v5, vcc_lo
	s_delay_alu instid0(VALU_DEP_3)
	v_cvt_f64_f32_e32 v[17:18], v9
	s_mov_b64 s[0:1], 0
	global_store_b64 v[19:20], v[17:18], off
	s_cbranch_execz .LBB111_70
; %bb.68:
	v_dual_mov_b32 v9, s1 :: v_dual_mov_b32 v8, s0
	s_branch .LBB111_71
.LBB111_69:
                                        ; implicit-def: $sgpr0_sgpr1
.LBB111_70:
	v_add_co_u32 v17, vcc_lo, v13, v4
	v_add_co_ci_u32_e32 v18, vcc_lo, v16, v5, vcc_lo
	flat_load_b64 v[17:18], v[17:18]
	s_waitcnt vmcnt(0) lgkmcnt(0)
	v_mul_f64 v[17:18], s[10:11], v[17:18]
	s_delay_alu instid0(VALU_DEP_1)
	v_cvt_f32_f64_e32 v9, v[17:18]
	v_add_co_u32 v17, vcc_lo, v11, v4
	v_add_co_ci_u32_e32 v18, vcc_lo, v12, v5, vcc_lo
	v_add_co_u32 v19, vcc_lo, v13, v6
	v_add_co_ci_u32_e32 v20, vcc_lo, v16, v7, vcc_lo
	v_min_f32_e32 v8, v9, v8
	s_delay_alu instid0(VALU_DEP_1)
	v_cvt_f64_f32_e32 v[8:9], v8
	global_store_b64 v[17:18], v[8:9], off
	flat_load_b64 v[8:9], v[19:20]
	s_waitcnt vmcnt(0) lgkmcnt(0)
	v_mul_f64 v[8:9], s[10:11], v[8:9]
.LBB111_71:
	s_delay_alu instid0(VALU_DEP_1) | instskip(SKIP_4) | instid1(VALU_DEP_1)
	v_cvt_f32_f64_e32 v8, v[8:9]
	v_max_f32_e32 v9, v170, v170
	v_add_co_u32 v23, vcc_lo, v11, v6
	v_add_co_ci_u32_e32 v24, vcc_lo, v12, v7, vcc_lo
	v_add_nc_u32_e32 v13, 24, v10
	v_mad_i64_i32 v[19:20], null, v13, s3, 0
	s_delay_alu instid0(VALU_DEP_1) | instskip(SKIP_1) | instid1(VALU_DEP_1)
	v_lshlrev_b64 v[19:20], 3, v[19:20]
	v_min_f32_e32 v8, v8, v9
	v_cvt_f64_f32_e32 v[17:18], v8
	v_mad_i64_i32 v[8:9], null, v13, s12, 0
	s_delay_alu instid0(VALU_DEP_1) | instskip(SKIP_1) | instid1(VALU_DEP_2)
	v_lshlrev_b64 v[21:22], 3, v[8:9]
	v_max_f32_e32 v8, v169, v169
	v_add_co_u32 v11, vcc_lo, s4, v21
	s_delay_alu instid0(VALU_DEP_3)
	v_add_co_ci_u32_e32 v12, vcc_lo, s5, v22, vcc_lo
	v_add_co_u32 v13, vcc_lo, s8, v19
	v_add_co_ci_u32_e32 v16, vcc_lo, s9, v20, vcc_lo
	s_mov_b32 vcc_lo, s2
	global_store_b64 v[23:24], v[17:18], off
	s_cbranch_vccz .LBB111_74
; %bb.72:
	v_min_f32_e32 v9, 0, v8
	v_add_co_u32 v19, vcc_lo, v11, v0
	v_add_co_ci_u32_e32 v20, vcc_lo, v12, v1, vcc_lo
	s_delay_alu instid0(VALU_DEP_3)
	v_cvt_f64_f32_e32 v[17:18], v9
	s_mov_b64 s[0:1], 0
	global_store_b64 v[19:20], v[17:18], off
	s_cbranch_execz .LBB111_75
; %bb.73:
	v_dual_mov_b32 v9, s1 :: v_dual_mov_b32 v8, s0
	s_branch .LBB111_76
.LBB111_74:
                                        ; implicit-def: $sgpr0_sgpr1
.LBB111_75:
	v_add_co_u32 v17, vcc_lo, v13, v0
	v_add_co_ci_u32_e32 v18, vcc_lo, v16, v1, vcc_lo
	flat_load_b64 v[17:18], v[17:18]
	s_waitcnt vmcnt(0) lgkmcnt(0)
	v_mul_f64 v[17:18], s[10:11], v[17:18]
	s_delay_alu instid0(VALU_DEP_1)
	v_cvt_f32_f64_e32 v9, v[17:18]
	v_add_co_u32 v17, vcc_lo, v11, v0
	v_add_co_ci_u32_e32 v18, vcc_lo, v12, v1, vcc_lo
	v_add_co_u32 v19, vcc_lo, v13, v2
	v_add_co_ci_u32_e32 v20, vcc_lo, v16, v3, vcc_lo
	v_min_f32_e32 v8, v9, v8
	s_delay_alu instid0(VALU_DEP_1)
	v_cvt_f64_f32_e32 v[8:9], v8
	global_store_b64 v[17:18], v[8:9], off
	flat_load_b64 v[8:9], v[19:20]
	s_waitcnt vmcnt(0) lgkmcnt(0)
	v_mul_f64 v[8:9], s[10:11], v[8:9]
.LBB111_76:
	s_delay_alu instid0(VALU_DEP_1) | instskip(SKIP_4) | instid1(VALU_DEP_3)
	v_cvt_f32_f64_e32 v8, v[8:9]
	v_max_f32_e32 v9, v168, v168
	v_add_co_u32 v19, vcc_lo, v11, v2
	v_add_co_ci_u32_e32 v20, vcc_lo, v12, v3, vcc_lo
	s_mov_b32 vcc_lo, s2
	v_min_f32_e32 v8, v8, v9
	s_delay_alu instid0(VALU_DEP_1)
	v_cvt_f64_f32_e32 v[17:18], v8
	v_max_f32_e32 v8, v167, v167
	global_store_b64 v[19:20], v[17:18], off
	s_cbranch_vccz .LBB111_79
; %bb.77:
	v_min_f32_e32 v9, 0, v8
	v_add_co_u32 v19, vcc_lo, v11, v4
	v_add_co_ci_u32_e32 v20, vcc_lo, v12, v5, vcc_lo
	s_delay_alu instid0(VALU_DEP_3)
	v_cvt_f64_f32_e32 v[17:18], v9
	s_mov_b64 s[0:1], 0
	global_store_b64 v[19:20], v[17:18], off
	s_cbranch_execz .LBB111_80
; %bb.78:
	v_dual_mov_b32 v9, s1 :: v_dual_mov_b32 v8, s0
	s_branch .LBB111_81
.LBB111_79:
                                        ; implicit-def: $sgpr0_sgpr1
.LBB111_80:
	v_add_co_u32 v17, vcc_lo, v13, v4
	v_add_co_ci_u32_e32 v18, vcc_lo, v16, v5, vcc_lo
	flat_load_b64 v[17:18], v[17:18]
	s_waitcnt vmcnt(0) lgkmcnt(0)
	v_mul_f64 v[17:18], s[10:11], v[17:18]
	s_delay_alu instid0(VALU_DEP_1)
	v_cvt_f32_f64_e32 v9, v[17:18]
	v_add_co_u32 v17, vcc_lo, v11, v4
	v_add_co_ci_u32_e32 v18, vcc_lo, v12, v5, vcc_lo
	v_add_co_u32 v19, vcc_lo, v13, v6
	v_add_co_ci_u32_e32 v20, vcc_lo, v16, v7, vcc_lo
	v_min_f32_e32 v8, v9, v8
	s_delay_alu instid0(VALU_DEP_1)
	v_cvt_f64_f32_e32 v[8:9], v8
	global_store_b64 v[17:18], v[8:9], off
	flat_load_b64 v[8:9], v[19:20]
	s_waitcnt vmcnt(0) lgkmcnt(0)
	v_mul_f64 v[8:9], s[10:11], v[8:9]
.LBB111_81:
	s_delay_alu instid0(VALU_DEP_1) | instskip(SKIP_4) | instid1(VALU_DEP_1)
	v_cvt_f32_f64_e32 v8, v[8:9]
	v_max_f32_e32 v9, v166, v166
	v_add_co_u32 v23, vcc_lo, v11, v6
	v_add_co_ci_u32_e32 v24, vcc_lo, v12, v7, vcc_lo
	v_add_nc_u32_e32 v13, 32, v10
	v_mad_i64_i32 v[19:20], null, v13, s3, 0
	s_delay_alu instid0(VALU_DEP_1) | instskip(SKIP_1) | instid1(VALU_DEP_1)
	v_lshlrev_b64 v[19:20], 3, v[19:20]
	v_min_f32_e32 v8, v8, v9
	v_cvt_f64_f32_e32 v[17:18], v8
	v_mad_i64_i32 v[8:9], null, v13, s12, 0
	s_delay_alu instid0(VALU_DEP_1) | instskip(SKIP_1) | instid1(VALU_DEP_2)
	v_lshlrev_b64 v[21:22], 3, v[8:9]
	v_max_f32_e32 v8, v165, v165
	v_add_co_u32 v11, vcc_lo, s4, v21
	s_delay_alu instid0(VALU_DEP_3)
	v_add_co_ci_u32_e32 v12, vcc_lo, s5, v22, vcc_lo
	v_add_co_u32 v13, vcc_lo, s8, v19
	v_add_co_ci_u32_e32 v16, vcc_lo, s9, v20, vcc_lo
	s_mov_b32 vcc_lo, s2
	global_store_b64 v[23:24], v[17:18], off
	s_cbranch_vccz .LBB111_84
; %bb.82:
	v_min_f32_e32 v9, 0, v8
	v_add_co_u32 v19, vcc_lo, v11, v0
	v_add_co_ci_u32_e32 v20, vcc_lo, v12, v1, vcc_lo
	s_delay_alu instid0(VALU_DEP_3)
	v_cvt_f64_f32_e32 v[17:18], v9
	s_mov_b64 s[0:1], 0
	global_store_b64 v[19:20], v[17:18], off
	s_cbranch_execz .LBB111_85
; %bb.83:
	v_dual_mov_b32 v9, s1 :: v_dual_mov_b32 v8, s0
	s_branch .LBB111_86
.LBB111_84:
                                        ; implicit-def: $sgpr0_sgpr1
.LBB111_85:
	v_add_co_u32 v17, vcc_lo, v13, v0
	v_add_co_ci_u32_e32 v18, vcc_lo, v16, v1, vcc_lo
	flat_load_b64 v[17:18], v[17:18]
	s_waitcnt vmcnt(0) lgkmcnt(0)
	v_mul_f64 v[17:18], s[10:11], v[17:18]
	s_delay_alu instid0(VALU_DEP_1)
	v_cvt_f32_f64_e32 v9, v[17:18]
	v_add_co_u32 v17, vcc_lo, v11, v0
	v_add_co_ci_u32_e32 v18, vcc_lo, v12, v1, vcc_lo
	v_add_co_u32 v19, vcc_lo, v13, v2
	v_add_co_ci_u32_e32 v20, vcc_lo, v16, v3, vcc_lo
	v_min_f32_e32 v8, v9, v8
	s_delay_alu instid0(VALU_DEP_1)
	v_cvt_f64_f32_e32 v[8:9], v8
	global_store_b64 v[17:18], v[8:9], off
	flat_load_b64 v[8:9], v[19:20]
	s_waitcnt vmcnt(0) lgkmcnt(0)
	v_mul_f64 v[8:9], s[10:11], v[8:9]
.LBB111_86:
	s_delay_alu instid0(VALU_DEP_1) | instskip(SKIP_4) | instid1(VALU_DEP_3)
	v_cvt_f32_f64_e32 v8, v[8:9]
	v_max_f32_e32 v9, v164, v164
	v_add_co_u32 v19, vcc_lo, v11, v2
	v_add_co_ci_u32_e32 v20, vcc_lo, v12, v3, vcc_lo
	s_mov_b32 vcc_lo, s2
	v_min_f32_e32 v8, v8, v9
	s_delay_alu instid0(VALU_DEP_1)
	v_cvt_f64_f32_e32 v[17:18], v8
	v_max_f32_e32 v8, v232, v232
	global_store_b64 v[19:20], v[17:18], off
	s_cbranch_vccz .LBB111_89
; %bb.87:
	v_min_f32_e32 v9, 0, v8
	v_add_co_u32 v19, vcc_lo, v11, v4
	v_add_co_ci_u32_e32 v20, vcc_lo, v12, v5, vcc_lo
	s_delay_alu instid0(VALU_DEP_3)
	v_cvt_f64_f32_e32 v[17:18], v9
	s_mov_b64 s[0:1], 0
	global_store_b64 v[19:20], v[17:18], off
	s_cbranch_execz .LBB111_90
; %bb.88:
	v_dual_mov_b32 v9, s1 :: v_dual_mov_b32 v8, s0
	s_branch .LBB111_91
.LBB111_89:
                                        ; implicit-def: $sgpr0_sgpr1
.LBB111_90:
	v_add_co_u32 v17, vcc_lo, v13, v4
	v_add_co_ci_u32_e32 v18, vcc_lo, v16, v5, vcc_lo
	flat_load_b64 v[17:18], v[17:18]
	s_waitcnt vmcnt(0) lgkmcnt(0)
	v_mul_f64 v[17:18], s[10:11], v[17:18]
	s_delay_alu instid0(VALU_DEP_1)
	v_cvt_f32_f64_e32 v9, v[17:18]
	v_add_co_u32 v17, vcc_lo, v11, v4
	v_add_co_ci_u32_e32 v18, vcc_lo, v12, v5, vcc_lo
	v_add_co_u32 v19, vcc_lo, v13, v6
	v_add_co_ci_u32_e32 v20, vcc_lo, v16, v7, vcc_lo
	v_min_f32_e32 v8, v9, v8
	s_delay_alu instid0(VALU_DEP_1)
	v_cvt_f64_f32_e32 v[8:9], v8
	global_store_b64 v[17:18], v[8:9], off
	flat_load_b64 v[8:9], v[19:20]
	s_waitcnt vmcnt(0) lgkmcnt(0)
	v_mul_f64 v[8:9], s[10:11], v[8:9]
.LBB111_91:
	s_delay_alu instid0(VALU_DEP_1) | instskip(SKIP_4) | instid1(VALU_DEP_1)
	v_cvt_f32_f64_e32 v8, v[8:9]
	v_max_f32_e32 v9, v231, v231
	v_add_co_u32 v23, vcc_lo, v11, v6
	v_add_co_ci_u32_e32 v24, vcc_lo, v12, v7, vcc_lo
	v_add_nc_u32_e32 v13, 40, v10
	v_mad_i64_i32 v[19:20], null, v13, s3, 0
	s_delay_alu instid0(VALU_DEP_1) | instskip(SKIP_1) | instid1(VALU_DEP_1)
	v_lshlrev_b64 v[19:20], 3, v[19:20]
	v_min_f32_e32 v8, v8, v9
	v_cvt_f64_f32_e32 v[17:18], v8
	v_mad_i64_i32 v[8:9], null, v13, s12, 0
	s_delay_alu instid0(VALU_DEP_1) | instskip(SKIP_1) | instid1(VALU_DEP_2)
	v_lshlrev_b64 v[21:22], 3, v[8:9]
	v_max_f32_e32 v8, v212, v212
	v_add_co_u32 v11, vcc_lo, s4, v21
	s_delay_alu instid0(VALU_DEP_3)
	v_add_co_ci_u32_e32 v12, vcc_lo, s5, v22, vcc_lo
	v_add_co_u32 v13, vcc_lo, s8, v19
	v_add_co_ci_u32_e32 v16, vcc_lo, s9, v20, vcc_lo
	s_mov_b32 vcc_lo, s2
	global_store_b64 v[23:24], v[17:18], off
	s_cbranch_vccz .LBB111_94
; %bb.92:
	v_min_f32_e32 v9, 0, v8
	v_add_co_u32 v19, vcc_lo, v11, v0
	v_add_co_ci_u32_e32 v20, vcc_lo, v12, v1, vcc_lo
	s_delay_alu instid0(VALU_DEP_3)
	v_cvt_f64_f32_e32 v[17:18], v9
	s_mov_b64 s[0:1], 0
	global_store_b64 v[19:20], v[17:18], off
	s_cbranch_execz .LBB111_95
; %bb.93:
	v_dual_mov_b32 v9, s1 :: v_dual_mov_b32 v8, s0
	s_branch .LBB111_96
.LBB111_94:
                                        ; implicit-def: $sgpr0_sgpr1
.LBB111_95:
	v_add_co_u32 v17, vcc_lo, v13, v0
	v_add_co_ci_u32_e32 v18, vcc_lo, v16, v1, vcc_lo
	flat_load_b64 v[17:18], v[17:18]
	s_waitcnt vmcnt(0) lgkmcnt(0)
	v_mul_f64 v[17:18], s[10:11], v[17:18]
	s_delay_alu instid0(VALU_DEP_1)
	v_cvt_f32_f64_e32 v9, v[17:18]
	v_add_co_u32 v17, vcc_lo, v11, v0
	v_add_co_ci_u32_e32 v18, vcc_lo, v12, v1, vcc_lo
	v_add_co_u32 v19, vcc_lo, v13, v2
	v_add_co_ci_u32_e32 v20, vcc_lo, v16, v3, vcc_lo
	v_min_f32_e32 v8, v9, v8
	s_delay_alu instid0(VALU_DEP_1)
	v_cvt_f64_f32_e32 v[8:9], v8
	global_store_b64 v[17:18], v[8:9], off
	flat_load_b64 v[8:9], v[19:20]
	s_waitcnt vmcnt(0) lgkmcnt(0)
	v_mul_f64 v[8:9], s[10:11], v[8:9]
.LBB111_96:
	s_delay_alu instid0(VALU_DEP_1) | instskip(SKIP_4) | instid1(VALU_DEP_3)
	v_cvt_f32_f64_e32 v8, v[8:9]
	v_max_f32_e32 v9, v188, v188
	v_add_co_u32 v19, vcc_lo, v11, v2
	v_add_co_ci_u32_e32 v20, vcc_lo, v12, v3, vcc_lo
	s_mov_b32 vcc_lo, s2
	v_min_f32_e32 v8, v8, v9
	s_delay_alu instid0(VALU_DEP_1)
	v_cvt_f64_f32_e32 v[17:18], v8
	v_max_f32_e32 v8, v229, v229
	global_store_b64 v[19:20], v[17:18], off
	s_cbranch_vccz .LBB111_99
; %bb.97:
	v_min_f32_e32 v9, 0, v8
	v_add_co_u32 v19, vcc_lo, v11, v4
	v_add_co_ci_u32_e32 v20, vcc_lo, v12, v5, vcc_lo
	s_delay_alu instid0(VALU_DEP_3)
	v_cvt_f64_f32_e32 v[17:18], v9
	s_mov_b64 s[0:1], 0
	global_store_b64 v[19:20], v[17:18], off
	s_cbranch_execz .LBB111_100
; %bb.98:
	v_dual_mov_b32 v9, s1 :: v_dual_mov_b32 v8, s0
	s_branch .LBB111_101
.LBB111_99:
                                        ; implicit-def: $sgpr0_sgpr1
.LBB111_100:
	v_add_co_u32 v17, vcc_lo, v13, v4
	v_add_co_ci_u32_e32 v18, vcc_lo, v16, v5, vcc_lo
	flat_load_b64 v[17:18], v[17:18]
	s_waitcnt vmcnt(0) lgkmcnt(0)
	v_mul_f64 v[17:18], s[10:11], v[17:18]
	s_delay_alu instid0(VALU_DEP_1)
	v_cvt_f32_f64_e32 v9, v[17:18]
	v_add_co_u32 v17, vcc_lo, v11, v4
	v_add_co_ci_u32_e32 v18, vcc_lo, v12, v5, vcc_lo
	v_add_co_u32 v19, vcc_lo, v13, v6
	v_add_co_ci_u32_e32 v20, vcc_lo, v16, v7, vcc_lo
	v_min_f32_e32 v8, v9, v8
	s_delay_alu instid0(VALU_DEP_1)
	v_cvt_f64_f32_e32 v[8:9], v8
	global_store_b64 v[17:18], v[8:9], off
	flat_load_b64 v[8:9], v[19:20]
	s_waitcnt vmcnt(0) lgkmcnt(0)
	v_mul_f64 v[8:9], s[10:11], v[8:9]
.LBB111_101:
	s_delay_alu instid0(VALU_DEP_1) | instskip(SKIP_4) | instid1(VALU_DEP_1)
	v_cvt_f32_f64_e32 v8, v[8:9]
	v_max_f32_e32 v9, v216, v216
	v_add_co_u32 v22, vcc_lo, v11, v6
	v_add_co_ci_u32_e32 v23, vcc_lo, v12, v7, vcc_lo
	v_add_nc_u32_e32 v13, 48, v10
	v_mad_i64_i32 v[18:19], null, v13, s3, 0
	v_min_f32_e32 v8, v8, v9
	s_delay_alu instid0(VALU_DEP_1) | instskip(SKIP_1) | instid1(VALU_DEP_4)
	v_cvt_f64_f32_e32 v[16:17], v8
	v_mad_i64_i32 v[8:9], null, v13, s12, 0
	v_lshlrev_b64 v[13:14], 3, v[18:19]
	s_delay_alu instid0(VALU_DEP_2) | instskip(SKIP_1) | instid1(VALU_DEP_2)
	v_lshlrev_b64 v[20:21], 3, v[8:9]
	v_max_f32_e32 v8, v227, v227
	v_add_co_u32 v11, vcc_lo, s4, v20
	s_delay_alu instid0(VALU_DEP_3)
	v_add_co_ci_u32_e32 v12, vcc_lo, s5, v21, vcc_lo
	v_add_co_u32 v13, vcc_lo, s8, v13
	v_add_co_ci_u32_e32 v14, vcc_lo, s9, v14, vcc_lo
	s_mov_b32 vcc_lo, s2
	global_store_b64 v[22:23], v[16:17], off
	s_cbranch_vccz .LBB111_104
; %bb.102:
	v_min_f32_e32 v9, 0, v8
	v_add_co_u32 v18, vcc_lo, v11, v0
	v_add_co_ci_u32_e32 v19, vcc_lo, v12, v1, vcc_lo
	s_delay_alu instid0(VALU_DEP_3)
	v_cvt_f64_f32_e32 v[16:17], v9
	s_mov_b64 s[0:1], 0
	global_store_b64 v[18:19], v[16:17], off
	s_cbranch_execz .LBB111_105
; %bb.103:
	v_dual_mov_b32 v9, s1 :: v_dual_mov_b32 v8, s0
	s_branch .LBB111_106
.LBB111_104:
                                        ; implicit-def: $sgpr0_sgpr1
.LBB111_105:
	v_add_co_u32 v16, vcc_lo, v13, v0
	v_add_co_ci_u32_e32 v17, vcc_lo, v14, v1, vcc_lo
	flat_load_b64 v[16:17], v[16:17]
	s_waitcnt vmcnt(0) lgkmcnt(0)
	v_mul_f64 v[16:17], s[10:11], v[16:17]
	s_delay_alu instid0(VALU_DEP_1)
	v_cvt_f32_f64_e32 v9, v[16:17]
	v_add_co_u32 v16, vcc_lo, v11, v0
	v_add_co_ci_u32_e32 v17, vcc_lo, v12, v1, vcc_lo
	v_add_co_u32 v18, vcc_lo, v13, v2
	v_add_co_ci_u32_e32 v19, vcc_lo, v14, v3, vcc_lo
	v_min_f32_e32 v8, v9, v8
	s_delay_alu instid0(VALU_DEP_1)
	v_cvt_f64_f32_e32 v[8:9], v8
	global_store_b64 v[16:17], v[8:9], off
	flat_load_b64 v[8:9], v[18:19]
	s_waitcnt vmcnt(0) lgkmcnt(0)
	v_mul_f64 v[8:9], s[10:11], v[8:9]
.LBB111_106:
	s_delay_alu instid0(VALU_DEP_1) | instskip(SKIP_4) | instid1(VALU_DEP_3)
	v_cvt_f32_f64_e32 v8, v[8:9]
	v_max_f32_e32 v9, v114, v114
	v_add_co_u32 v17, vcc_lo, v11, v2
	v_add_co_ci_u32_e32 v18, vcc_lo, v12, v3, vcc_lo
	s_mov_b32 vcc_lo, s2
	v_min_f32_e32 v8, v8, v9
	s_delay_alu instid0(VALU_DEP_1)
	v_cvt_f64_f32_e32 v[15:16], v8
	v_max_f32_e32 v8, v115, v115
	global_store_b64 v[17:18], v[15:16], off
	s_cbranch_vccz .LBB111_109
; %bb.107:
	v_min_f32_e32 v9, 0, v8
	v_add_co_u32 v17, vcc_lo, v11, v4
	v_add_co_ci_u32_e32 v18, vcc_lo, v12, v5, vcc_lo
	s_delay_alu instid0(VALU_DEP_3)
	v_cvt_f64_f32_e32 v[15:16], v9
	s_mov_b64 s[0:1], 0
	global_store_b64 v[17:18], v[15:16], off
	s_cbranch_execz .LBB111_110
; %bb.108:
	v_dual_mov_b32 v9, s1 :: v_dual_mov_b32 v8, s0
	s_branch .LBB111_111
.LBB111_109:
                                        ; implicit-def: $sgpr0_sgpr1
.LBB111_110:
	v_add_co_u32 v15, vcc_lo, v13, v4
	v_add_co_ci_u32_e32 v16, vcc_lo, v14, v5, vcc_lo
	flat_load_b64 v[15:16], v[15:16]
	s_waitcnt vmcnt(0) lgkmcnt(0)
	v_mul_f64 v[15:16], s[10:11], v[15:16]
	s_delay_alu instid0(VALU_DEP_1)
	v_cvt_f32_f64_e32 v9, v[15:16]
	v_add_co_u32 v15, vcc_lo, v11, v4
	v_add_co_ci_u32_e32 v16, vcc_lo, v12, v5, vcc_lo
	v_add_co_u32 v13, vcc_lo, v13, v6
	v_add_co_ci_u32_e32 v14, vcc_lo, v14, v7, vcc_lo
	v_min_f32_e32 v8, v9, v8
	s_delay_alu instid0(VALU_DEP_1)
	v_cvt_f64_f32_e32 v[8:9], v8
	global_store_b64 v[15:16], v[8:9], off
	flat_load_b64 v[8:9], v[13:14]
	s_waitcnt vmcnt(0) lgkmcnt(0)
	v_mul_f64 v[8:9], s[10:11], v[8:9]
.LBB111_111:
	s_delay_alu instid0(VALU_DEP_1) | instskip(SKIP_4) | instid1(VALU_DEP_1)
	v_cvt_f32_f64_e32 v8, v[8:9]
	v_max_f32_e32 v9, v80, v80
	v_add_co_u32 v19, vcc_lo, v11, v6
	v_add_co_ci_u32_e32 v20, vcc_lo, v12, v7, vcc_lo
	v_add_nc_u32_e32 v17, 56, v10
	v_mad_i64_i32 v[13:14], null, v17, s3, 0
	s_delay_alu instid0(VALU_DEP_1) | instskip(SKIP_1) | instid1(VALU_DEP_1)
	v_lshlrev_b64 v[13:14], 3, v[13:14]
	v_min_f32_e32 v8, v8, v9
	v_cvt_f64_f32_e32 v[15:16], v8
	v_mad_i64_i32 v[8:9], null, v17, s12, 0
	s_delay_alu instid0(VALU_DEP_1) | instskip(SKIP_1) | instid1(VALU_DEP_2)
	v_lshlrev_b64 v[17:18], 3, v[8:9]
	v_max_f32_e32 v8, v113, v113
	v_add_co_u32 v11, vcc_lo, s4, v17
	s_delay_alu instid0(VALU_DEP_3)
	v_add_co_ci_u32_e32 v12, vcc_lo, s5, v18, vcc_lo
	v_add_co_u32 v13, vcc_lo, s8, v13
	v_add_co_ci_u32_e32 v14, vcc_lo, s9, v14, vcc_lo
	s_mov_b32 vcc_lo, s2
	global_store_b64 v[19:20], v[15:16], off
	s_cbranch_vccz .LBB111_114
; %bb.112:
	v_min_f32_e32 v9, 0, v8
	v_add_co_u32 v17, vcc_lo, v11, v0
	v_add_co_ci_u32_e32 v18, vcc_lo, v12, v1, vcc_lo
	s_delay_alu instid0(VALU_DEP_3)
	v_cvt_f64_f32_e32 v[15:16], v9
	s_mov_b64 s[0:1], 0
	global_store_b64 v[17:18], v[15:16], off
	s_cbranch_execz .LBB111_115
; %bb.113:
	v_dual_mov_b32 v9, s1 :: v_dual_mov_b32 v8, s0
	s_branch .LBB111_116
.LBB111_114:
                                        ; implicit-def: $sgpr0_sgpr1
.LBB111_115:
	v_add_co_u32 v15, vcc_lo, v13, v0
	v_add_co_ci_u32_e32 v16, vcc_lo, v14, v1, vcc_lo
	flat_load_b64 v[15:16], v[15:16]
	s_waitcnt vmcnt(0) lgkmcnt(0)
	v_mul_f64 v[15:16], s[10:11], v[15:16]
	s_delay_alu instid0(VALU_DEP_1)
	v_cvt_f32_f64_e32 v9, v[15:16]
	v_add_co_u32 v15, vcc_lo, v11, v0
	v_add_co_ci_u32_e32 v16, vcc_lo, v12, v1, vcc_lo
	v_add_co_u32 v17, vcc_lo, v13, v2
	v_add_co_ci_u32_e32 v18, vcc_lo, v14, v3, vcc_lo
	v_min_f32_e32 v8, v9, v8
	s_delay_alu instid0(VALU_DEP_1)
	v_cvt_f64_f32_e32 v[8:9], v8
	global_store_b64 v[15:16], v[8:9], off
	flat_load_b64 v[8:9], v[17:18]
	s_waitcnt vmcnt(0) lgkmcnt(0)
	v_mul_f64 v[8:9], s[10:11], v[8:9]
.LBB111_116:
	s_delay_alu instid0(VALU_DEP_1) | instskip(SKIP_4) | instid1(VALU_DEP_3)
	v_cvt_f32_f64_e32 v8, v[8:9]
	v_max_f32_e32 v9, v88, v88
	v_add_co_u32 v17, vcc_lo, v11, v2
	v_add_co_ci_u32_e32 v18, vcc_lo, v12, v3, vcc_lo
	s_mov_b32 vcc_lo, s2
	v_min_f32_e32 v8, v8, v9
	s_delay_alu instid0(VALU_DEP_1)
	v_cvt_f64_f32_e32 v[15:16], v8
	v_max_f32_e32 v8, v78, v78
	global_store_b64 v[17:18], v[15:16], off
	s_cbranch_vccz .LBB111_119
; %bb.117:
	v_min_f32_e32 v9, 0, v8
	v_add_co_u32 v17, vcc_lo, v11, v4
	v_add_co_ci_u32_e32 v18, vcc_lo, v12, v5, vcc_lo
	s_delay_alu instid0(VALU_DEP_3)
	v_cvt_f64_f32_e32 v[15:16], v9
	s_mov_b64 s[0:1], 0
	global_store_b64 v[17:18], v[15:16], off
	s_cbranch_execz .LBB111_120
; %bb.118:
	v_dual_mov_b32 v9, s1 :: v_dual_mov_b32 v8, s0
	s_branch .LBB111_121
.LBB111_119:
                                        ; implicit-def: $sgpr0_sgpr1
.LBB111_120:
	v_add_co_u32 v15, vcc_lo, v13, v4
	v_add_co_ci_u32_e32 v16, vcc_lo, v14, v5, vcc_lo
	flat_load_b64 v[15:16], v[15:16]
	s_waitcnt vmcnt(0) lgkmcnt(0)
	v_mul_f64 v[15:16], s[10:11], v[15:16]
	s_delay_alu instid0(VALU_DEP_1)
	v_cvt_f32_f64_e32 v9, v[15:16]
	v_add_co_u32 v15, vcc_lo, v11, v4
	v_add_co_ci_u32_e32 v16, vcc_lo, v12, v5, vcc_lo
	v_add_co_u32 v13, vcc_lo, v13, v6
	v_add_co_ci_u32_e32 v14, vcc_lo, v14, v7, vcc_lo
	v_min_f32_e32 v8, v9, v8
	s_delay_alu instid0(VALU_DEP_1)
	v_cvt_f64_f32_e32 v[8:9], v8
	global_store_b64 v[15:16], v[8:9], off
	flat_load_b64 v[8:9], v[13:14]
	s_waitcnt vmcnt(0) lgkmcnt(0)
	v_mul_f64 v[8:9], s[10:11], v[8:9]
.LBB111_121:
	s_delay_alu instid0(VALU_DEP_1) | instskip(SKIP_4) | instid1(VALU_DEP_1)
	v_cvt_f32_f64_e32 v8, v[8:9]
	v_max_f32_e32 v9, v76, v76
	v_add_co_u32 v19, vcc_lo, v11, v6
	v_add_co_ci_u32_e32 v20, vcc_lo, v12, v7, vcc_lo
	v_add_nc_u32_e32 v17, 64, v10
	v_mad_i64_i32 v[13:14], null, v17, s3, 0
	s_delay_alu instid0(VALU_DEP_1) | instskip(SKIP_1) | instid1(VALU_DEP_1)
	v_lshlrev_b64 v[13:14], 3, v[13:14]
	v_min_f32_e32 v8, v8, v9
	v_cvt_f64_f32_e32 v[15:16], v8
	v_mad_i64_i32 v[8:9], null, v17, s12, 0
	s_delay_alu instid0(VALU_DEP_1) | instskip(SKIP_1) | instid1(VALU_DEP_2)
	v_lshlrev_b64 v[17:18], 3, v[8:9]
	v_max_f32_e32 v8, v33, v33
	v_add_co_u32 v11, vcc_lo, s4, v17
	s_delay_alu instid0(VALU_DEP_3)
	v_add_co_ci_u32_e32 v12, vcc_lo, s5, v18, vcc_lo
	v_add_co_u32 v13, vcc_lo, s8, v13
	v_add_co_ci_u32_e32 v14, vcc_lo, s9, v14, vcc_lo
	s_mov_b32 vcc_lo, s2
	global_store_b64 v[19:20], v[15:16], off
	s_cbranch_vccz .LBB111_124
; %bb.122:
	v_min_f32_e32 v9, 0, v8
	v_add_co_u32 v17, vcc_lo, v11, v0
	v_add_co_ci_u32_e32 v18, vcc_lo, v12, v1, vcc_lo
	s_delay_alu instid0(VALU_DEP_3)
	v_cvt_f64_f32_e32 v[15:16], v9
	s_mov_b64 s[0:1], 0
	global_store_b64 v[17:18], v[15:16], off
	s_cbranch_execz .LBB111_125
; %bb.123:
	v_dual_mov_b32 v9, s1 :: v_dual_mov_b32 v8, s0
	s_branch .LBB111_126
.LBB111_124:
                                        ; implicit-def: $sgpr0_sgpr1
.LBB111_125:
	v_add_co_u32 v15, vcc_lo, v13, v0
	v_add_co_ci_u32_e32 v16, vcc_lo, v14, v1, vcc_lo
	flat_load_b64 v[15:16], v[15:16]
	s_waitcnt vmcnt(0) lgkmcnt(0)
	v_mul_f64 v[15:16], s[10:11], v[15:16]
	s_delay_alu instid0(VALU_DEP_1)
	v_cvt_f32_f64_e32 v9, v[15:16]
	v_add_co_u32 v15, vcc_lo, v11, v0
	v_add_co_ci_u32_e32 v16, vcc_lo, v12, v1, vcc_lo
	v_add_co_u32 v17, vcc_lo, v13, v2
	v_add_co_ci_u32_e32 v18, vcc_lo, v14, v3, vcc_lo
	v_min_f32_e32 v8, v9, v8
	s_delay_alu instid0(VALU_DEP_1)
	v_cvt_f64_f32_e32 v[8:9], v8
	global_store_b64 v[15:16], v[8:9], off
	flat_load_b64 v[8:9], v[17:18]
	s_waitcnt vmcnt(0) lgkmcnt(0)
	v_mul_f64 v[8:9], s[10:11], v[8:9]
.LBB111_126:
	s_delay_alu instid0(VALU_DEP_1) | instskip(SKIP_4) | instid1(VALU_DEP_3)
	v_cvt_f32_f64_e32 v8, v[8:9]
	v_max_f32_e32 v9, v74, v74
	v_add_co_u32 v17, vcc_lo, v11, v2
	v_add_co_ci_u32_e32 v18, vcc_lo, v12, v3, vcc_lo
	s_mov_b32 vcc_lo, s2
	v_min_f32_e32 v8, v8, v9
	s_delay_alu instid0(VALU_DEP_1)
	v_cvt_f64_f32_e32 v[15:16], v8
	v_max_f32_e32 v8, v31, v31
	global_store_b64 v[17:18], v[15:16], off
	s_cbranch_vccz .LBB111_129
; %bb.127:
	v_min_f32_e32 v9, 0, v8
	v_add_co_u32 v17, vcc_lo, v11, v4
	v_add_co_ci_u32_e32 v18, vcc_lo, v12, v5, vcc_lo
	s_delay_alu instid0(VALU_DEP_3)
	v_cvt_f64_f32_e32 v[15:16], v9
	s_mov_b64 s[0:1], 0
	global_store_b64 v[17:18], v[15:16], off
	s_cbranch_execz .LBB111_130
; %bb.128:
	v_dual_mov_b32 v9, s1 :: v_dual_mov_b32 v8, s0
	s_branch .LBB111_131
.LBB111_129:
                                        ; implicit-def: $sgpr0_sgpr1
.LBB111_130:
	v_add_co_u32 v15, vcc_lo, v13, v4
	v_add_co_ci_u32_e32 v16, vcc_lo, v14, v5, vcc_lo
	flat_load_b64 v[15:16], v[15:16]
	s_waitcnt vmcnt(0) lgkmcnt(0)
	v_mul_f64 v[15:16], s[10:11], v[15:16]
	s_delay_alu instid0(VALU_DEP_1)
	v_cvt_f32_f64_e32 v9, v[15:16]
	v_add_co_u32 v15, vcc_lo, v11, v4
	v_add_co_ci_u32_e32 v16, vcc_lo, v12, v5, vcc_lo
	v_add_co_u32 v13, vcc_lo, v13, v6
	v_add_co_ci_u32_e32 v14, vcc_lo, v14, v7, vcc_lo
	v_min_f32_e32 v8, v9, v8
	s_delay_alu instid0(VALU_DEP_1)
	v_cvt_f64_f32_e32 v[8:9], v8
	global_store_b64 v[15:16], v[8:9], off
	flat_load_b64 v[8:9], v[13:14]
	s_waitcnt vmcnt(0) lgkmcnt(0)
	v_mul_f64 v[8:9], s[10:11], v[8:9]
.LBB111_131:
	s_delay_alu instid0(VALU_DEP_1) | instskip(SKIP_4) | instid1(VALU_DEP_1)
	v_cvt_f32_f64_e32 v8, v[8:9]
	v_max_f32_e32 v9, v72, v72
	v_add_co_u32 v19, vcc_lo, v11, v6
	v_add_co_ci_u32_e32 v20, vcc_lo, v12, v7, vcc_lo
	v_add_nc_u32_e32 v17, 0x48, v10
	v_mad_i64_i32 v[13:14], null, v17, s3, 0
	s_delay_alu instid0(VALU_DEP_1) | instskip(SKIP_1) | instid1(VALU_DEP_1)
	v_lshlrev_b64 v[13:14], 3, v[13:14]
	v_min_f32_e32 v8, v8, v9
	v_cvt_f64_f32_e32 v[15:16], v8
	v_mad_i64_i32 v[8:9], null, v17, s12, 0
	s_delay_alu instid0(VALU_DEP_1) | instskip(SKIP_1) | instid1(VALU_DEP_2)
	v_lshlrev_b64 v[17:18], 3, v[8:9]
	v_max_f32_e32 v8, v71, v71
	v_add_co_u32 v11, vcc_lo, s4, v17
	s_delay_alu instid0(VALU_DEP_3)
	v_add_co_ci_u32_e32 v12, vcc_lo, s5, v18, vcc_lo
	v_add_co_u32 v13, vcc_lo, s8, v13
	v_add_co_ci_u32_e32 v14, vcc_lo, s9, v14, vcc_lo
	s_mov_b32 vcc_lo, s2
	global_store_b64 v[19:20], v[15:16], off
	s_cbranch_vccz .LBB111_134
; %bb.132:
	v_min_f32_e32 v9, 0, v8
	v_add_co_u32 v17, vcc_lo, v11, v0
	v_add_co_ci_u32_e32 v18, vcc_lo, v12, v1, vcc_lo
	s_delay_alu instid0(VALU_DEP_3)
	v_cvt_f64_f32_e32 v[15:16], v9
	s_mov_b64 s[0:1], 0
	global_store_b64 v[17:18], v[15:16], off
	s_cbranch_execz .LBB111_135
; %bb.133:
	v_dual_mov_b32 v9, s1 :: v_dual_mov_b32 v8, s0
	s_branch .LBB111_136
.LBB111_134:
                                        ; implicit-def: $sgpr0_sgpr1
.LBB111_135:
	v_add_co_u32 v15, vcc_lo, v13, v0
	v_add_co_ci_u32_e32 v16, vcc_lo, v14, v1, vcc_lo
	flat_load_b64 v[15:16], v[15:16]
	s_waitcnt vmcnt(0) lgkmcnt(0)
	v_mul_f64 v[15:16], s[10:11], v[15:16]
	s_delay_alu instid0(VALU_DEP_1)
	v_cvt_f32_f64_e32 v9, v[15:16]
	v_add_co_u32 v15, vcc_lo, v11, v0
	v_add_co_ci_u32_e32 v16, vcc_lo, v12, v1, vcc_lo
	v_add_co_u32 v17, vcc_lo, v13, v2
	v_add_co_ci_u32_e32 v18, vcc_lo, v14, v3, vcc_lo
	v_min_f32_e32 v8, v9, v8
	s_delay_alu instid0(VALU_DEP_1)
	v_cvt_f64_f32_e32 v[8:9], v8
	global_store_b64 v[15:16], v[8:9], off
	flat_load_b64 v[8:9], v[17:18]
	s_waitcnt vmcnt(0) lgkmcnt(0)
	v_mul_f64 v[8:9], s[10:11], v[8:9]
.LBB111_136:
	s_delay_alu instid0(VALU_DEP_1) | instskip(SKIP_4) | instid1(VALU_DEP_3)
	v_cvt_f32_f64_e32 v8, v[8:9]
	v_max_f32_e32 v9, v70, v70
	v_add_co_u32 v17, vcc_lo, v11, v2
	v_add_co_ci_u32_e32 v18, vcc_lo, v12, v3, vcc_lo
	s_mov_b32 vcc_lo, s2
	v_min_f32_e32 v8, v8, v9
	s_delay_alu instid0(VALU_DEP_1)
	v_cvt_f64_f32_e32 v[15:16], v8
	v_max_f32_e32 v8, v28, v28
	global_store_b64 v[17:18], v[15:16], off
	s_cbranch_vccz .LBB111_139
; %bb.137:
	v_min_f32_e32 v9, 0, v8
	v_add_co_u32 v17, vcc_lo, v11, v4
	v_add_co_ci_u32_e32 v18, vcc_lo, v12, v5, vcc_lo
	s_delay_alu instid0(VALU_DEP_3)
	v_cvt_f64_f32_e32 v[15:16], v9
	s_mov_b64 s[0:1], 0
	global_store_b64 v[17:18], v[15:16], off
	s_cbranch_execz .LBB111_140
; %bb.138:
	v_dual_mov_b32 v9, s1 :: v_dual_mov_b32 v8, s0
	s_branch .LBB111_141
.LBB111_139:
                                        ; implicit-def: $sgpr0_sgpr1
.LBB111_140:
	v_add_co_u32 v15, vcc_lo, v13, v4
	v_add_co_ci_u32_e32 v16, vcc_lo, v14, v5, vcc_lo
	flat_load_b64 v[15:16], v[15:16]
	s_waitcnt vmcnt(0) lgkmcnt(0)
	v_mul_f64 v[15:16], s[10:11], v[15:16]
	s_delay_alu instid0(VALU_DEP_1)
	v_cvt_f32_f64_e32 v9, v[15:16]
	v_add_co_u32 v15, vcc_lo, v11, v4
	v_add_co_ci_u32_e32 v16, vcc_lo, v12, v5, vcc_lo
	v_add_co_u32 v13, vcc_lo, v13, v6
	v_add_co_ci_u32_e32 v14, vcc_lo, v14, v7, vcc_lo
	v_min_f32_e32 v8, v9, v8
	s_delay_alu instid0(VALU_DEP_1)
	v_cvt_f64_f32_e32 v[8:9], v8
	global_store_b64 v[15:16], v[8:9], off
	flat_load_b64 v[8:9], v[13:14]
	s_waitcnt vmcnt(0) lgkmcnt(0)
	v_mul_f64 v[8:9], s[10:11], v[8:9]
.LBB111_141:
	s_delay_alu instid0(VALU_DEP_1) | instskip(SKIP_4) | instid1(VALU_DEP_1)
	v_cvt_f32_f64_e32 v8, v[8:9]
	v_max_f32_e32 v9, v69, v69
	v_add_co_u32 v19, vcc_lo, v11, v6
	v_add_co_ci_u32_e32 v20, vcc_lo, v12, v7, vcc_lo
	v_add_nc_u32_e32 v17, 0x50, v10
	v_mad_i64_i32 v[13:14], null, v17, s3, 0
	s_delay_alu instid0(VALU_DEP_1) | instskip(SKIP_1) | instid1(VALU_DEP_1)
	v_lshlrev_b64 v[13:14], 3, v[13:14]
	v_min_f32_e32 v8, v8, v9
	v_cvt_f64_f32_e32 v[15:16], v8
	v_mad_i64_i32 v[8:9], null, v17, s12, 0
	s_delay_alu instid0(VALU_DEP_1) | instskip(SKIP_1) | instid1(VALU_DEP_2)
	v_lshlrev_b64 v[17:18], 3, v[8:9]
	v_max_f32_e32 v8, v77, v77
	v_add_co_u32 v11, vcc_lo, s4, v17
	s_delay_alu instid0(VALU_DEP_3)
	v_add_co_ci_u32_e32 v12, vcc_lo, s5, v18, vcc_lo
	v_add_co_u32 v13, vcc_lo, s8, v13
	v_add_co_ci_u32_e32 v14, vcc_lo, s9, v14, vcc_lo
	s_mov_b32 vcc_lo, s2
	global_store_b64 v[19:20], v[15:16], off
	s_cbranch_vccz .LBB111_144
; %bb.142:
	v_min_f32_e32 v9, 0, v8
	v_add_co_u32 v17, vcc_lo, v11, v0
	v_add_co_ci_u32_e32 v18, vcc_lo, v12, v1, vcc_lo
	s_delay_alu instid0(VALU_DEP_3)
	v_cvt_f64_f32_e32 v[15:16], v9
	s_mov_b64 s[0:1], 0
	global_store_b64 v[17:18], v[15:16], off
	s_cbranch_execz .LBB111_145
; %bb.143:
	v_dual_mov_b32 v9, s1 :: v_dual_mov_b32 v8, s0
	s_branch .LBB111_146
.LBB111_144:
                                        ; implicit-def: $sgpr0_sgpr1
.LBB111_145:
	v_add_co_u32 v15, vcc_lo, v13, v0
	v_add_co_ci_u32_e32 v16, vcc_lo, v14, v1, vcc_lo
	flat_load_b64 v[15:16], v[15:16]
	s_waitcnt vmcnt(0) lgkmcnt(0)
	v_mul_f64 v[15:16], s[10:11], v[15:16]
	s_delay_alu instid0(VALU_DEP_1)
	v_cvt_f32_f64_e32 v9, v[15:16]
	v_add_co_u32 v15, vcc_lo, v11, v0
	v_add_co_ci_u32_e32 v16, vcc_lo, v12, v1, vcc_lo
	v_add_co_u32 v17, vcc_lo, v13, v2
	v_add_co_ci_u32_e32 v18, vcc_lo, v14, v3, vcc_lo
	v_min_f32_e32 v8, v9, v8
	s_delay_alu instid0(VALU_DEP_1)
	v_cvt_f64_f32_e32 v[8:9], v8
	global_store_b64 v[15:16], v[8:9], off
	flat_load_b64 v[8:9], v[17:18]
	s_waitcnt vmcnt(0) lgkmcnt(0)
	v_mul_f64 v[8:9], s[10:11], v[8:9]
.LBB111_146:
	s_delay_alu instid0(VALU_DEP_1) | instskip(SKIP_4) | instid1(VALU_DEP_3)
	v_cvt_f32_f64_e32 v8, v[8:9]
	v_max_f32_e32 v9, v226, v226
	v_add_co_u32 v17, vcc_lo, v11, v2
	v_add_co_ci_u32_e32 v18, vcc_lo, v12, v3, vcc_lo
	s_mov_b32 vcc_lo, s2
	v_min_f32_e32 v8, v8, v9
	s_delay_alu instid0(VALU_DEP_1)
	v_cvt_f64_f32_e32 v[15:16], v8
	v_max_f32_e32 v8, v155, v155
	global_store_b64 v[17:18], v[15:16], off
	s_cbranch_vccz .LBB111_149
; %bb.147:
	v_min_f32_e32 v9, 0, v8
	v_add_co_u32 v17, vcc_lo, v11, v4
	v_add_co_ci_u32_e32 v18, vcc_lo, v12, v5, vcc_lo
	s_delay_alu instid0(VALU_DEP_3)
	v_cvt_f64_f32_e32 v[15:16], v9
	s_mov_b32 s0, 0
	global_store_b64 v[17:18], v[15:16], off
	s_cbranch_execz .LBB111_150
; %bb.148:
	v_mov_b32_e32 v8, s0
	s_branch .LBB111_151
.LBB111_149:
	s_mov_b32 s0, -1
.LBB111_150:
	v_add_co_u32 v15, vcc_lo, v13, v4
	v_add_co_ci_u32_e32 v16, vcc_lo, v14, v5, vcc_lo
	flat_load_b64 v[15:16], v[15:16]
	s_waitcnt vmcnt(0) lgkmcnt(0)
	v_mul_f64 v[15:16], s[10:11], v[15:16]
	s_delay_alu instid0(VALU_DEP_1)
	v_cvt_f32_f64_e32 v9, v[15:16]
	v_add_co_u32 v15, vcc_lo, v11, v4
	v_add_co_ci_u32_e32 v16, vcc_lo, v12, v5, vcc_lo
	v_add_co_u32 v13, vcc_lo, v13, v6
	v_add_co_ci_u32_e32 v14, vcc_lo, v14, v7, vcc_lo
	v_min_f32_e32 v8, v9, v8
	s_delay_alu instid0(VALU_DEP_1) | instskip(SKIP_4) | instid1(VALU_DEP_1)
	v_cvt_f64_f32_e32 v[8:9], v8
	global_store_b64 v[15:16], v[8:9], off
	flat_load_b64 v[8:9], v[13:14]
	s_waitcnt vmcnt(0) lgkmcnt(0)
	v_mul_f64 v[8:9], s[10:11], v[8:9]
	v_cvt_f32_f64_e32 v8, v[8:9]
.LBB111_151:
	v_max_f32_e32 v9, v100, v100
	s_delay_alu instid0(VALU_DEP_2) | instskip(SKIP_2) | instid1(VALU_DEP_3)
	v_dual_max_f32 v8, v8, v8 :: v_dual_add_nc_u32 v13, 0x58, v10
	v_add_co_u32 v18, vcc_lo, v11, v6
	v_add_co_ci_u32_e32 v19, vcc_lo, v12, v7, vcc_lo
	v_min_f32_e32 v8, v8, v9
	s_delay_alu instid0(VALU_DEP_4) | instskip(NEXT) | instid1(VALU_DEP_2)
	v_mad_i64_i32 v[16:17], null, v13, s3, 0
	v_cvt_f64_f32_e32 v[14:15], v8
	v_mad_i64_i32 v[8:9], null, v13, s12, 0
	v_max_f32_e32 v13, v99, v99
	s_delay_alu instid0(VALU_DEP_4) | instskip(NEXT) | instid1(VALU_DEP_3)
	v_lshlrev_b64 v[11:12], 3, v[16:17]
	v_lshlrev_b64 v[8:9], 3, v[8:9]
	s_delay_alu instid0(VALU_DEP_1) | instskip(NEXT) | instid1(VALU_DEP_2)
	v_add_co_u32 v8, vcc_lo, s4, v8
	v_add_co_ci_u32_e32 v9, vcc_lo, s5, v9, vcc_lo
	s_delay_alu instid0(VALU_DEP_4)
	v_add_co_u32 v11, vcc_lo, s8, v11
	v_add_co_ci_u32_e32 v12, vcc_lo, s9, v12, vcc_lo
	s_mov_b32 vcc_lo, s2
	global_store_b64 v[18:19], v[14:15], off
	s_cbranch_vccz .LBB111_154
; %bb.152:
	v_min_f32_e32 v14, 0, v13
	v_add_co_u32 v16, vcc_lo, v8, v0
	v_add_co_ci_u32_e32 v17, vcc_lo, v9, v1, vcc_lo
	s_delay_alu instid0(VALU_DEP_3)
	v_cvt_f64_f32_e32 v[14:15], v14
	s_mov_b32 s0, 0
	global_store_b64 v[16:17], v[14:15], off
	s_cbranch_execz .LBB111_155
; %bb.153:
	v_mov_b32_e32 v13, s0
	s_branch .LBB111_156
.LBB111_154:
	s_mov_b32 s0, -1
.LBB111_155:
	v_add_co_u32 v14, vcc_lo, v11, v0
	v_add_co_ci_u32_e32 v15, vcc_lo, v12, v1, vcc_lo
	flat_load_b64 v[14:15], v[14:15]
	s_waitcnt vmcnt(0) lgkmcnt(0)
	v_mul_f64 v[14:15], s[10:11], v[14:15]
	s_delay_alu instid0(VALU_DEP_1)
	v_cvt_f32_f64_e32 v14, v[14:15]
	v_add_co_u32 v15, vcc_lo, v8, v0
	v_add_co_ci_u32_e32 v16, vcc_lo, v9, v1, vcc_lo
	v_add_co_u32 v17, vcc_lo, v11, v2
	v_add_co_ci_u32_e32 v18, vcc_lo, v12, v3, vcc_lo
	v_min_f32_e32 v13, v14, v13
	s_delay_alu instid0(VALU_DEP_1) | instskip(SKIP_4) | instid1(VALU_DEP_1)
	v_cvt_f64_f32_e32 v[13:14], v13
	global_store_b64 v[15:16], v[13:14], off
	flat_load_b64 v[13:14], v[17:18]
	s_waitcnt vmcnt(0) lgkmcnt(0)
	v_mul_f64 v[13:14], s[10:11], v[13:14]
	v_cvt_f32_f64_e32 v13, v[13:14]
.LBB111_156:
	v_max_f32_e32 v14, v25, v25
	s_delay_alu instid0(VALU_DEP_2) | instskip(SKIP_2) | instid1(VALU_DEP_3)
	v_max_f32_e32 v13, v13, v13
	v_add_co_u32 v16, vcc_lo, v8, v2
	v_add_co_ci_u32_e32 v17, vcc_lo, v9, v3, vcc_lo
	v_min_f32_e32 v13, v13, v14
	s_mov_b32 vcc_lo, s2
	s_delay_alu instid0(VALU_DEP_1)
	v_cvt_f64_f32_e32 v[14:15], v13
	v_max_f32_e32 v13, v236, v236
	global_store_b64 v[16:17], v[14:15], off
	s_cbranch_vccz .LBB111_159
; %bb.157:
	v_min_f32_e32 v14, 0, v13
	v_add_co_u32 v16, vcc_lo, v8, v4
	v_add_co_ci_u32_e32 v17, vcc_lo, v9, v5, vcc_lo
	s_delay_alu instid0(VALU_DEP_3)
	v_cvt_f64_f32_e32 v[14:15], v14
	s_mov_b32 s0, 0
	global_store_b64 v[16:17], v[14:15], off
	s_cbranch_execz .LBB111_160
; %bb.158:
	v_mov_b32_e32 v11, s0
	s_branch .LBB111_161
.LBB111_159:
	s_mov_b32 s0, -1
.LBB111_160:
	v_add_co_u32 v14, vcc_lo, v11, v4
	v_add_co_ci_u32_e32 v15, vcc_lo, v12, v5, vcc_lo
	flat_load_b64 v[14:15], v[14:15]
	s_waitcnt vmcnt(0) lgkmcnt(0)
	v_mul_f64 v[14:15], s[10:11], v[14:15]
	s_delay_alu instid0(VALU_DEP_1)
	v_cvt_f32_f64_e32 v14, v[14:15]
	v_add_co_u32 v15, vcc_lo, v8, v4
	v_add_co_ci_u32_e32 v16, vcc_lo, v9, v5, vcc_lo
	v_add_co_u32 v11, vcc_lo, v11, v6
	v_add_co_ci_u32_e32 v12, vcc_lo, v12, v7, vcc_lo
	v_min_f32_e32 v13, v14, v13
	s_delay_alu instid0(VALU_DEP_1) | instskip(SKIP_4) | instid1(VALU_DEP_1)
	v_cvt_f64_f32_e32 v[13:14], v13
	global_store_b64 v[15:16], v[13:14], off
	flat_load_b64 v[11:12], v[11:12]
	s_waitcnt vmcnt(0) lgkmcnt(0)
	v_mul_f64 v[11:12], s[10:11], v[11:12]
	v_cvt_f32_f64_e32 v11, v[11:12]
.LBB111_161:
	s_delay_alu instid0(VALU_DEP_1) | instskip(SKIP_3) | instid1(VALU_DEP_4)
	v_dual_max_f32 v12, v234, v234 :: v_dual_max_f32 v11, v11, v11
	v_add_nc_u32_e32 v13, 0x60, v10
	v_add_co_u32 v18, vcc_lo, v8, v6
	v_add_co_ci_u32_e32 v19, vcc_lo, v9, v7, vcc_lo
	v_min_f32_e32 v11, v11, v12
	s_delay_alu instid0(VALU_DEP_4) | instskip(NEXT) | instid1(VALU_DEP_2)
	v_mad_i64_i32 v[16:17], null, v13, s3, 0
	v_cvt_f64_f32_e32 v[14:15], v11
	v_mad_i64_i32 v[11:12], null, v13, s12, 0
	v_max_f32_e32 v13, v233, v233
	s_delay_alu instid0(VALU_DEP_4) | instskip(NEXT) | instid1(VALU_DEP_3)
	v_lshlrev_b64 v[16:17], 3, v[16:17]
	v_lshlrev_b64 v[11:12], 3, v[11:12]
	s_delay_alu instid0(VALU_DEP_1) | instskip(NEXT) | instid1(VALU_DEP_2)
	v_add_co_u32 v8, vcc_lo, s4, v11
	v_add_co_ci_u32_e32 v9, vcc_lo, s5, v12, vcc_lo
	s_delay_alu instid0(VALU_DEP_4)
	v_add_co_u32 v11, vcc_lo, s8, v16
	v_add_co_ci_u32_e32 v12, vcc_lo, s9, v17, vcc_lo
	s_mov_b32 vcc_lo, s2
	global_store_b64 v[18:19], v[14:15], off
	s_cbranch_vccz .LBB111_164
; %bb.162:
	v_min_f32_e32 v14, 0, v13
	v_add_co_u32 v16, vcc_lo, v8, v0
	v_add_co_ci_u32_e32 v17, vcc_lo, v9, v1, vcc_lo
	s_delay_alu instid0(VALU_DEP_3)
	v_cvt_f64_f32_e32 v[14:15], v14
	s_mov_b32 s0, 0
	global_store_b64 v[16:17], v[14:15], off
	s_cbranch_execz .LBB111_165
; %bb.163:
	v_mov_b32_e32 v13, s0
	s_branch .LBB111_166
.LBB111_164:
	s_mov_b32 s0, -1
.LBB111_165:
	v_add_co_u32 v14, vcc_lo, v11, v0
	v_add_co_ci_u32_e32 v15, vcc_lo, v12, v1, vcc_lo
	flat_load_b64 v[14:15], v[14:15]
	s_waitcnt vmcnt(0) lgkmcnt(0)
	v_mul_f64 v[14:15], s[10:11], v[14:15]
	s_delay_alu instid0(VALU_DEP_1)
	v_cvt_f32_f64_e32 v14, v[14:15]
	v_add_co_u32 v15, vcc_lo, v8, v0
	v_add_co_ci_u32_e32 v16, vcc_lo, v9, v1, vcc_lo
	v_add_co_u32 v17, vcc_lo, v11, v2
	v_add_co_ci_u32_e32 v18, vcc_lo, v12, v3, vcc_lo
	v_min_f32_e32 v13, v14, v13
	s_delay_alu instid0(VALU_DEP_1) | instskip(SKIP_4) | instid1(VALU_DEP_1)
	v_cvt_f64_f32_e32 v[13:14], v13
	global_store_b64 v[15:16], v[13:14], off
	flat_load_b64 v[13:14], v[17:18]
	s_waitcnt vmcnt(0) lgkmcnt(0)
	v_mul_f64 v[13:14], s[10:11], v[13:14]
	v_cvt_f32_f64_e32 v13, v[13:14]
.LBB111_166:
	v_max_f32_e32 v14, v149, v149
	s_delay_alu instid0(VALU_DEP_2) | instskip(SKIP_2) | instid1(VALU_DEP_3)
	v_max_f32_e32 v13, v13, v13
	v_add_co_u32 v16, vcc_lo, v8, v2
	v_add_co_ci_u32_e32 v17, vcc_lo, v9, v3, vcc_lo
	v_min_f32_e32 v13, v13, v14
	s_mov_b32 vcc_lo, s2
	s_delay_alu instid0(VALU_DEP_1)
	v_cvt_f64_f32_e32 v[14:15], v13
	v_max_f32_e32 v13, v225, v225
	global_store_b64 v[16:17], v[14:15], off
	s_cbranch_vccz .LBB111_169
; %bb.167:
	v_min_f32_e32 v14, 0, v13
	v_add_co_u32 v16, vcc_lo, v8, v4
	v_add_co_ci_u32_e32 v17, vcc_lo, v9, v5, vcc_lo
	s_delay_alu instid0(VALU_DEP_3)
	v_cvt_f64_f32_e32 v[14:15], v14
	s_mov_b32 s0, 0
	global_store_b64 v[16:17], v[14:15], off
	s_cbranch_execz .LBB111_170
; %bb.168:
	v_mov_b32_e32 v11, s0
	s_branch .LBB111_171
.LBB111_169:
	s_mov_b32 s0, -1
.LBB111_170:
	v_add_co_u32 v14, vcc_lo, v11, v4
	v_add_co_ci_u32_e32 v15, vcc_lo, v12, v5, vcc_lo
	flat_load_b64 v[14:15], v[14:15]
	s_waitcnt vmcnt(0) lgkmcnt(0)
	v_mul_f64 v[14:15], s[10:11], v[14:15]
	s_delay_alu instid0(VALU_DEP_1)
	v_cvt_f32_f64_e32 v14, v[14:15]
	v_add_co_u32 v15, vcc_lo, v8, v4
	v_add_co_ci_u32_e32 v16, vcc_lo, v9, v5, vcc_lo
	v_add_co_u32 v11, vcc_lo, v11, v6
	v_add_co_ci_u32_e32 v12, vcc_lo, v12, v7, vcc_lo
	v_min_f32_e32 v13, v14, v13
	s_delay_alu instid0(VALU_DEP_1) | instskip(SKIP_4) | instid1(VALU_DEP_1)
	v_cvt_f64_f32_e32 v[13:14], v13
	global_store_b64 v[15:16], v[13:14], off
	flat_load_b64 v[11:12], v[11:12]
	s_waitcnt vmcnt(0) lgkmcnt(0)
	v_mul_f64 v[11:12], s[10:11], v[11:12]
	v_cvt_f32_f64_e32 v11, v[11:12]
.LBB111_171:
	s_delay_alu instid0(VALU_DEP_1) | instskip(SKIP_3) | instid1(VALU_DEP_4)
	v_dual_max_f32 v12, v224, v224 :: v_dual_max_f32 v11, v11, v11
	v_add_nc_u32_e32 v13, 0x68, v10
	v_add_co_u32 v18, vcc_lo, v8, v6
	v_add_co_ci_u32_e32 v19, vcc_lo, v9, v7, vcc_lo
	v_min_f32_e32 v11, v11, v12
	s_delay_alu instid0(VALU_DEP_4) | instskip(NEXT) | instid1(VALU_DEP_2)
	v_mad_i64_i32 v[16:17], null, v13, s3, 0
	v_cvt_f64_f32_e32 v[14:15], v11
	v_mad_i64_i32 v[11:12], null, v13, s12, 0
	v_max_f32_e32 v13, v223, v223
	s_delay_alu instid0(VALU_DEP_4) | instskip(NEXT) | instid1(VALU_DEP_3)
	v_lshlrev_b64 v[16:17], 3, v[16:17]
	v_lshlrev_b64 v[11:12], 3, v[11:12]
	s_delay_alu instid0(VALU_DEP_1) | instskip(NEXT) | instid1(VALU_DEP_2)
	v_add_co_u32 v8, vcc_lo, s4, v11
	v_add_co_ci_u32_e32 v9, vcc_lo, s5, v12, vcc_lo
	s_delay_alu instid0(VALU_DEP_4)
	v_add_co_u32 v11, vcc_lo, s8, v16
	v_add_co_ci_u32_e32 v12, vcc_lo, s9, v17, vcc_lo
	s_mov_b32 vcc_lo, s2
	global_store_b64 v[18:19], v[14:15], off
	s_cbranch_vccz .LBB111_174
; %bb.172:
	v_min_f32_e32 v14, 0, v13
	v_add_co_u32 v16, vcc_lo, v8, v0
	v_add_co_ci_u32_e32 v17, vcc_lo, v9, v1, vcc_lo
	s_delay_alu instid0(VALU_DEP_3)
	v_cvt_f64_f32_e32 v[14:15], v14
	s_mov_b32 s0, 0
	global_store_b64 v[16:17], v[14:15], off
	s_cbranch_execz .LBB111_175
; %bb.173:
	v_mov_b32_e32 v13, s0
	s_branch .LBB111_176
.LBB111_174:
	s_mov_b32 s0, -1
.LBB111_175:
	v_add_co_u32 v14, vcc_lo, v11, v0
	v_add_co_ci_u32_e32 v15, vcc_lo, v12, v1, vcc_lo
	flat_load_b64 v[14:15], v[14:15]
	s_waitcnt vmcnt(0) lgkmcnt(0)
	v_mul_f64 v[14:15], s[10:11], v[14:15]
	s_delay_alu instid0(VALU_DEP_1)
	v_cvt_f32_f64_e32 v14, v[14:15]
	v_add_co_u32 v15, vcc_lo, v8, v0
	v_add_co_ci_u32_e32 v16, vcc_lo, v9, v1, vcc_lo
	v_add_co_u32 v17, vcc_lo, v11, v2
	v_add_co_ci_u32_e32 v18, vcc_lo, v12, v3, vcc_lo
	v_min_f32_e32 v13, v14, v13
	s_delay_alu instid0(VALU_DEP_1) | instskip(SKIP_4) | instid1(VALU_DEP_1)
	v_cvt_f64_f32_e32 v[13:14], v13
	global_store_b64 v[15:16], v[13:14], off
	flat_load_b64 v[13:14], v[17:18]
	s_waitcnt vmcnt(0) lgkmcnt(0)
	v_mul_f64 v[13:14], s[10:11], v[13:14]
	v_cvt_f32_f64_e32 v13, v[13:14]
.LBB111_176:
	s_delay_alu instid0(VALU_DEP_1) | instskip(SKIP_2) | instid1(VALU_DEP_3)
	v_dual_max_f32 v14, v82, v82 :: v_dual_max_f32 v13, v13, v13
	v_add_co_u32 v16, vcc_lo, v8, v2
	v_add_co_ci_u32_e32 v17, vcc_lo, v9, v3, vcc_lo
	v_min_f32_e32 v13, v13, v14
	s_mov_b32 vcc_lo, s2
	s_delay_alu instid0(VALU_DEP_1)
	v_cvt_f64_f32_e32 v[14:15], v13
	v_max_f32_e32 v13, v161, v161
	global_store_b64 v[16:17], v[14:15], off
	s_cbranch_vccz .LBB111_179
; %bb.177:
	v_min_f32_e32 v14, 0, v13
	v_add_co_u32 v16, vcc_lo, v8, v4
	v_add_co_ci_u32_e32 v17, vcc_lo, v9, v5, vcc_lo
	s_delay_alu instid0(VALU_DEP_3)
	v_cvt_f64_f32_e32 v[14:15], v14
	s_mov_b32 s0, 0
	global_store_b64 v[16:17], v[14:15], off
	s_cbranch_execz .LBB111_180
; %bb.178:
	v_mov_b32_e32 v11, s0
	s_branch .LBB111_181
.LBB111_179:
	s_mov_b32 s0, -1
.LBB111_180:
	v_add_co_u32 v14, vcc_lo, v11, v4
	v_add_co_ci_u32_e32 v15, vcc_lo, v12, v5, vcc_lo
	flat_load_b64 v[14:15], v[14:15]
	s_waitcnt vmcnt(0) lgkmcnt(0)
	v_mul_f64 v[14:15], s[10:11], v[14:15]
	s_delay_alu instid0(VALU_DEP_1)
	v_cvt_f32_f64_e32 v14, v[14:15]
	v_add_co_u32 v15, vcc_lo, v8, v4
	v_add_co_ci_u32_e32 v16, vcc_lo, v9, v5, vcc_lo
	v_add_co_u32 v11, vcc_lo, v11, v6
	v_add_co_ci_u32_e32 v12, vcc_lo, v12, v7, vcc_lo
	v_min_f32_e32 v13, v14, v13
	s_delay_alu instid0(VALU_DEP_1) | instskip(SKIP_4) | instid1(VALU_DEP_1)
	v_cvt_f64_f32_e32 v[13:14], v13
	global_store_b64 v[15:16], v[13:14], off
	flat_load_b64 v[11:12], v[11:12]
	s_waitcnt vmcnt(0) lgkmcnt(0)
	v_mul_f64 v[11:12], s[10:11], v[11:12]
	v_cvt_f32_f64_e32 v11, v[11:12]
.LBB111_181:
	s_delay_alu instid0(VALU_DEP_1) | instskip(SKIP_3) | instid1(VALU_DEP_4)
	v_dual_max_f32 v12, v237, v237 :: v_dual_max_f32 v11, v11, v11
	v_add_nc_u32_e32 v13, 0x70, v10
	v_add_co_u32 v18, vcc_lo, v8, v6
	v_add_co_ci_u32_e32 v19, vcc_lo, v9, v7, vcc_lo
	v_min_f32_e32 v11, v11, v12
	s_delay_alu instid0(VALU_DEP_4) | instskip(NEXT) | instid1(VALU_DEP_2)
	v_mad_i64_i32 v[16:17], null, v13, s3, 0
	v_cvt_f64_f32_e32 v[14:15], v11
	v_mad_i64_i32 v[11:12], null, v13, s12, 0
	v_max_f32_e32 v13, v217, v217
	s_delay_alu instid0(VALU_DEP_4) | instskip(NEXT) | instid1(VALU_DEP_3)
	v_lshlrev_b64 v[16:17], 3, v[16:17]
	v_lshlrev_b64 v[11:12], 3, v[11:12]
	s_delay_alu instid0(VALU_DEP_1) | instskip(NEXT) | instid1(VALU_DEP_2)
	v_add_co_u32 v8, vcc_lo, s4, v11
	v_add_co_ci_u32_e32 v9, vcc_lo, s5, v12, vcc_lo
	s_delay_alu instid0(VALU_DEP_4)
	v_add_co_u32 v11, vcc_lo, s8, v16
	v_add_co_ci_u32_e32 v12, vcc_lo, s9, v17, vcc_lo
	s_mov_b32 vcc_lo, s2
	global_store_b64 v[18:19], v[14:15], off
	s_cbranch_vccz .LBB111_184
; %bb.182:
	v_min_f32_e32 v14, 0, v13
	v_add_co_u32 v16, vcc_lo, v8, v0
	v_add_co_ci_u32_e32 v17, vcc_lo, v9, v1, vcc_lo
	s_delay_alu instid0(VALU_DEP_3)
	v_cvt_f64_f32_e32 v[14:15], v14
	s_mov_b32 s0, 0
	global_store_b64 v[16:17], v[14:15], off
	s_cbranch_execz .LBB111_185
; %bb.183:
	v_mov_b32_e32 v13, s0
	s_branch .LBB111_186
.LBB111_184:
	s_mov_b32 s0, -1
.LBB111_185:
	v_add_co_u32 v14, vcc_lo, v11, v0
	v_add_co_ci_u32_e32 v15, vcc_lo, v12, v1, vcc_lo
	flat_load_b64 v[14:15], v[14:15]
	s_waitcnt vmcnt(0) lgkmcnt(0)
	v_mul_f64 v[14:15], s[10:11], v[14:15]
	s_delay_alu instid0(VALU_DEP_1)
	v_cvt_f32_f64_e32 v14, v[14:15]
	v_add_co_u32 v15, vcc_lo, v8, v0
	v_add_co_ci_u32_e32 v16, vcc_lo, v9, v1, vcc_lo
	v_add_co_u32 v17, vcc_lo, v11, v2
	v_add_co_ci_u32_e32 v18, vcc_lo, v12, v3, vcc_lo
	v_min_f32_e32 v13, v14, v13
	s_delay_alu instid0(VALU_DEP_1) | instskip(SKIP_4) | instid1(VALU_DEP_1)
	v_cvt_f64_f32_e32 v[13:14], v13
	global_store_b64 v[15:16], v[13:14], off
	flat_load_b64 v[13:14], v[17:18]
	s_waitcnt vmcnt(0) lgkmcnt(0)
	v_mul_f64 v[13:14], s[10:11], v[13:14]
	v_cvt_f32_f64_e32 v13, v[13:14]
.LBB111_186:
	s_delay_alu instid0(VALU_DEP_1) | instskip(SKIP_2) | instid1(VALU_DEP_3)
	v_dual_max_f32 v14, v230, v230 :: v_dual_max_f32 v13, v13, v13
	v_add_co_u32 v16, vcc_lo, v8, v2
	v_add_co_ci_u32_e32 v17, vcc_lo, v9, v3, vcc_lo
	v_min_f32_e32 v13, v13, v14
	s_mov_b32 vcc_lo, s2
	s_delay_alu instid0(VALU_DEP_1)
	v_cvt_f64_f32_e32 v[14:15], v13
	v_max_f32_e32 v13, v215, v215
	global_store_b64 v[16:17], v[14:15], off
	s_cbranch_vccz .LBB111_189
; %bb.187:
	v_min_f32_e32 v14, 0, v13
	v_add_co_u32 v16, vcc_lo, v8, v4
	v_add_co_ci_u32_e32 v17, vcc_lo, v9, v5, vcc_lo
	s_delay_alu instid0(VALU_DEP_3)
	v_cvt_f64_f32_e32 v[14:15], v14
	s_mov_b32 s0, 0
	global_store_b64 v[16:17], v[14:15], off
	s_cbranch_execz .LBB111_190
; %bb.188:
	v_mov_b32_e32 v11, s0
	s_branch .LBB111_191
.LBB111_189:
	s_mov_b32 s0, -1
.LBB111_190:
	v_add_co_u32 v14, vcc_lo, v11, v4
	v_add_co_ci_u32_e32 v15, vcc_lo, v12, v5, vcc_lo
	flat_load_b64 v[14:15], v[14:15]
	s_waitcnt vmcnt(0) lgkmcnt(0)
	v_mul_f64 v[14:15], s[10:11], v[14:15]
	s_delay_alu instid0(VALU_DEP_1)
	v_cvt_f32_f64_e32 v14, v[14:15]
	v_add_co_u32 v15, vcc_lo, v8, v4
	v_add_co_ci_u32_e32 v16, vcc_lo, v9, v5, vcc_lo
	v_add_co_u32 v11, vcc_lo, v11, v6
	v_add_co_ci_u32_e32 v12, vcc_lo, v12, v7, vcc_lo
	v_min_f32_e32 v13, v14, v13
	s_delay_alu instid0(VALU_DEP_1) | instskip(SKIP_4) | instid1(VALU_DEP_1)
	v_cvt_f64_f32_e32 v[13:14], v13
	global_store_b64 v[15:16], v[13:14], off
	flat_load_b64 v[11:12], v[11:12]
	s_waitcnt vmcnt(0) lgkmcnt(0)
	v_mul_f64 v[11:12], s[10:11], v[11:12]
	v_cvt_f32_f64_e32 v11, v[11:12]
.LBB111_191:
	s_delay_alu instid0(VALU_DEP_1) | instskip(SKIP_2) | instid1(VALU_DEP_3)
	v_dual_max_f32 v12, v214, v214 :: v_dual_max_f32 v11, v11, v11
	v_add_co_u32 v17, vcc_lo, v8, v6
	v_add_co_ci_u32_e32 v18, vcc_lo, v9, v7, vcc_lo
	v_dual_min_f32 v11, v11, v12 :: v_dual_add_nc_u32 v12, 0x78, v10
	s_delay_alu instid0(VALU_DEP_1) | instskip(NEXT) | instid1(VALU_DEP_2)
	v_cvt_f64_f32_e32 v[13:14], v11
	v_mad_i64_i32 v[10:11], null, v12, s12, 0
	v_mad_i64_i32 v[15:16], null, v12, s3, 0
	v_max_f32_e32 v12, v213, v213
	s_delay_alu instid0(VALU_DEP_3) | instskip(NEXT) | instid1(VALU_DEP_3)
	v_lshlrev_b64 v[10:11], 3, v[10:11]
	v_lshlrev_b64 v[15:16], 3, v[15:16]
	s_delay_alu instid0(VALU_DEP_2) | instskip(NEXT) | instid1(VALU_DEP_3)
	v_add_co_u32 v8, vcc_lo, s4, v10
	v_add_co_ci_u32_e32 v9, vcc_lo, s5, v11, vcc_lo
	s_delay_alu instid0(VALU_DEP_3) | instskip(NEXT) | instid1(VALU_DEP_4)
	v_add_co_u32 v10, vcc_lo, s8, v15
	v_add_co_ci_u32_e32 v11, vcc_lo, s9, v16, vcc_lo
	s_mov_b32 vcc_lo, s2
	global_store_b64 v[17:18], v[13:14], off
	s_cbranch_vccz .LBB111_194
; %bb.192:
	v_min_f32_e32 v13, 0, v12
	v_add_co_u32 v15, vcc_lo, v8, v0
	v_add_co_ci_u32_e32 v16, vcc_lo, v9, v1, vcc_lo
	s_delay_alu instid0(VALU_DEP_3)
	v_cvt_f64_f32_e32 v[13:14], v13
	s_mov_b32 s0, 0
	global_store_b64 v[15:16], v[13:14], off
	s_cbranch_execz .LBB111_195
; %bb.193:
	v_mov_b32_e32 v0, s0
	s_branch .LBB111_196
.LBB111_194:
	s_mov_b32 s0, -1
.LBB111_195:
	v_add_co_u32 v13, vcc_lo, v10, v0
	v_add_co_ci_u32_e32 v14, vcc_lo, v11, v1, vcc_lo
	v_add_co_u32 v0, vcc_lo, v8, v0
	v_add_co_ci_u32_e32 v1, vcc_lo, v9, v1, vcc_lo
	flat_load_b64 v[13:14], v[13:14]
	s_waitcnt vmcnt(0) lgkmcnt(0)
	v_mul_f64 v[13:14], s[10:11], v[13:14]
	s_delay_alu instid0(VALU_DEP_1) | instskip(SKIP_2) | instid1(VALU_DEP_3)
	v_cvt_f32_f64_e32 v13, v[13:14]
	v_add_co_u32 v14, vcc_lo, v10, v2
	v_add_co_ci_u32_e32 v15, vcc_lo, v11, v3, vcc_lo
	v_min_f32_e32 v12, v13, v12
	s_delay_alu instid0(VALU_DEP_1) | instskip(SKIP_4) | instid1(VALU_DEP_1)
	v_cvt_f64_f32_e32 v[12:13], v12
	global_store_b64 v[0:1], v[12:13], off
	flat_load_b64 v[0:1], v[14:15]
	s_waitcnt vmcnt(0) lgkmcnt(0)
	v_mul_f64 v[0:1], s[10:11], v[0:1]
	v_cvt_f32_f64_e32 v0, v[0:1]
.LBB111_196:
	v_max_f32_e32 v1, v228, v228
	s_delay_alu instid0(VALU_DEP_2) | instskip(NEXT) | instid1(VALU_DEP_1)
	v_max_f32_e32 v0, v0, v0
	v_min_f32_e32 v0, v0, v1
	v_add_co_u32 v1, vcc_lo, v8, v2
	v_add_co_ci_u32_e32 v2, vcc_lo, v9, v3, vcc_lo
	s_delay_alu instid0(VALU_DEP_3)
	v_cvt_f64_f32_e32 v[12:13], v0
	v_max_f32_e32 v0, v211, v211
	s_mov_b32 vcc_lo, s2
	global_store_b64 v[1:2], v[12:13], off
	s_cbranch_vccz .LBB111_199
; %bb.197:
	v_min_f32_e32 v1, 0, v0
	v_add_co_u32 v12, vcc_lo, v8, v4
	v_add_co_ci_u32_e32 v13, vcc_lo, v9, v5, vcc_lo
	s_delay_alu instid0(VALU_DEP_3)
	v_cvt_f64_f32_e32 v[1:2], v1
	s_mov_b32 s0, 0
	global_store_b64 v[12:13], v[1:2], off
	s_cbranch_execz .LBB111_200
; %bb.198:
	v_mov_b32_e32 v0, s0
	s_branch .LBB111_201
.LBB111_199:
	s_mov_b32 s0, -1
.LBB111_200:
	v_add_co_u32 v1, vcc_lo, v10, v4
	v_add_co_ci_u32_e32 v2, vcc_lo, v11, v5, vcc_lo
	flat_load_b64 v[1:2], v[1:2]
	s_waitcnt vmcnt(0) lgkmcnt(0)
	v_mul_f64 v[1:2], s[10:11], v[1:2]
	s_delay_alu instid0(VALU_DEP_1)
	v_cvt_f32_f64_e32 v1, v[1:2]
	v_add_co_u32 v2, vcc_lo, v8, v4
	v_add_co_ci_u32_e32 v3, vcc_lo, v9, v5, vcc_lo
	v_add_co_u32 v4, vcc_lo, v10, v6
	v_add_co_ci_u32_e32 v5, vcc_lo, v11, v7, vcc_lo
	v_min_f32_e32 v0, v1, v0
	s_delay_alu instid0(VALU_DEP_1) | instskip(SKIP_4) | instid1(VALU_DEP_1)
	v_cvt_f64_f32_e32 v[0:1], v0
	global_store_b64 v[2:3], v[0:1], off
	flat_load_b64 v[0:1], v[4:5]
	s_waitcnt vmcnt(0) lgkmcnt(0)
	v_mul_f64 v[0:1], s[10:11], v[0:1]
	v_cvt_f32_f64_e32 v0, v[0:1]
.LBB111_201:
	s_delay_alu instid0(VALU_DEP_1) | instskip(SKIP_2) | instid1(VALU_DEP_3)
	v_dual_max_f32 v1, v255, v255 :: v_dual_max_f32 v0, v0, v0
	v_add_co_u32 v2, vcc_lo, v8, v6
	v_add_co_ci_u32_e32 v3, vcc_lo, v9, v7, vcc_lo
	v_min_f32_e32 v0, v0, v1
	s_delay_alu instid0(VALU_DEP_1)
	v_cvt_f64_f32_e32 v[0:1], v0
	global_store_b64 v[2:3], v[0:1], off
	s_endpgm
	.section	.rodata,"a",@progbits
	.p2align	6, 0x0
	.amdhsa_kernel _ZN12_GLOBAL__N_120geam_min_plus_kernelId15HIP_vector_typeIdLj2EEdLi32ELi8ELi128ELi128ELi4ELi4ELi64ELi4ELi64ELc84ELc78ELb0ELb0ELb1EPKdKS4_KPdEEviiiT16_PT17_ilSA_ilS8_SA_ilPT18_ili26rocblas_geam_ex_operation_
		.amdhsa_group_segment_fixed_size 16384
		.amdhsa_private_segment_fixed_size 400
		.amdhsa_kernarg_size 136
		.amdhsa_user_sgpr_count 14
		.amdhsa_user_sgpr_dispatch_ptr 0
		.amdhsa_user_sgpr_queue_ptr 0
		.amdhsa_user_sgpr_kernarg_segment_ptr 1
		.amdhsa_user_sgpr_dispatch_id 0
		.amdhsa_user_sgpr_private_segment_size 0
		.amdhsa_wavefront_size32 1
		.amdhsa_uses_dynamic_stack 0
		.amdhsa_enable_private_segment 1
		.amdhsa_system_sgpr_workgroup_id_x 1
		.amdhsa_system_sgpr_workgroup_id_y 0
		.amdhsa_system_sgpr_workgroup_id_z 1
		.amdhsa_system_sgpr_workgroup_info 0
		.amdhsa_system_vgpr_workitem_id 1
		.amdhsa_next_free_vgpr 256
		.amdhsa_next_free_sgpr 26
		.amdhsa_reserve_vcc 1
		.amdhsa_float_round_mode_32 0
		.amdhsa_float_round_mode_16_64 0
		.amdhsa_float_denorm_mode_32 3
		.amdhsa_float_denorm_mode_16_64 3
		.amdhsa_dx10_clamp 1
		.amdhsa_ieee_mode 1
		.amdhsa_fp16_overflow 0
		.amdhsa_workgroup_processor_mode 1
		.amdhsa_memory_ordered 1
		.amdhsa_forward_progress 0
		.amdhsa_shared_vgpr_count 0
		.amdhsa_exception_fp_ieee_invalid_op 0
		.amdhsa_exception_fp_denorm_src 0
		.amdhsa_exception_fp_ieee_div_zero 0
		.amdhsa_exception_fp_ieee_overflow 0
		.amdhsa_exception_fp_ieee_underflow 0
		.amdhsa_exception_fp_ieee_inexact 0
		.amdhsa_exception_int_div_zero 0
	.end_amdhsa_kernel
	.section	.text._ZN12_GLOBAL__N_120geam_min_plus_kernelId15HIP_vector_typeIdLj2EEdLi32ELi8ELi128ELi128ELi4ELi4ELi64ELi4ELi64ELc84ELc78ELb0ELb0ELb1EPKdKS4_KPdEEviiiT16_PT17_ilSA_ilS8_SA_ilPT18_ili26rocblas_geam_ex_operation_,"axG",@progbits,_ZN12_GLOBAL__N_120geam_min_plus_kernelId15HIP_vector_typeIdLj2EEdLi32ELi8ELi128ELi128ELi4ELi4ELi64ELi4ELi64ELc84ELc78ELb0ELb0ELb1EPKdKS4_KPdEEviiiT16_PT17_ilSA_ilS8_SA_ilPT18_ili26rocblas_geam_ex_operation_,comdat
.Lfunc_end111:
	.size	_ZN12_GLOBAL__N_120geam_min_plus_kernelId15HIP_vector_typeIdLj2EEdLi32ELi8ELi128ELi128ELi4ELi4ELi64ELi4ELi64ELc84ELc78ELb0ELb0ELb1EPKdKS4_KPdEEviiiT16_PT17_ilSA_ilS8_SA_ilPT18_ili26rocblas_geam_ex_operation_, .Lfunc_end111-_ZN12_GLOBAL__N_120geam_min_plus_kernelId15HIP_vector_typeIdLj2EEdLi32ELi8ELi128ELi128ELi4ELi4ELi64ELi4ELi64ELc84ELc78ELb0ELb0ELb1EPKdKS4_KPdEEviiiT16_PT17_ilSA_ilS8_SA_ilPT18_ili26rocblas_geam_ex_operation_
                                        ; -- End function
	.section	.AMDGPU.csdata,"",@progbits
; Kernel info:
; codeLenInByte = 24524
; NumSgprs: 28
; NumVgprs: 256
; ScratchSize: 400
; MemoryBound: 0
; FloatMode: 240
; IeeeMode: 1
; LDSByteSize: 16384 bytes/workgroup (compile time only)
; SGPRBlocks: 3
; VGPRBlocks: 31
; NumSGPRsForWavesPerEU: 28
; NumVGPRsForWavesPerEU: 256
; Occupancy: 5
; WaveLimiterHint : 1
; COMPUTE_PGM_RSRC2:SCRATCH_EN: 1
; COMPUTE_PGM_RSRC2:USER_SGPR: 14
; COMPUTE_PGM_RSRC2:TRAP_HANDLER: 0
; COMPUTE_PGM_RSRC2:TGID_X_EN: 1
; COMPUTE_PGM_RSRC2:TGID_Y_EN: 0
; COMPUTE_PGM_RSRC2:TGID_Z_EN: 1
; COMPUTE_PGM_RSRC2:TIDIG_COMP_CNT: 1
	.section	.text._ZN12_GLOBAL__N_120geam_min_plus_kernelId15HIP_vector_typeIdLj2EEdLi32ELi8ELi128ELi128ELi4ELi4ELi64ELi4ELi64ELc84ELc78ELb1ELb0ELb1EdKPKdKPdEEviiiT16_PT17_ilSA_ilS8_SA_ilPT18_ili26rocblas_geam_ex_operation_,"axG",@progbits,_ZN12_GLOBAL__N_120geam_min_plus_kernelId15HIP_vector_typeIdLj2EEdLi32ELi8ELi128ELi128ELi4ELi4ELi64ELi4ELi64ELc84ELc78ELb1ELb0ELb1EdKPKdKPdEEviiiT16_PT17_ilSA_ilS8_SA_ilPT18_ili26rocblas_geam_ex_operation_,comdat
	.globl	_ZN12_GLOBAL__N_120geam_min_plus_kernelId15HIP_vector_typeIdLj2EEdLi32ELi8ELi128ELi128ELi4ELi4ELi64ELi4ELi64ELc84ELc78ELb1ELb0ELb1EdKPKdKPdEEviiiT16_PT17_ilSA_ilS8_SA_ilPT18_ili26rocblas_geam_ex_operation_ ; -- Begin function _ZN12_GLOBAL__N_120geam_min_plus_kernelId15HIP_vector_typeIdLj2EEdLi32ELi8ELi128ELi128ELi4ELi4ELi64ELi4ELi64ELc84ELc78ELb1ELb0ELb1EdKPKdKPdEEviiiT16_PT17_ilSA_ilS8_SA_ilPT18_ili26rocblas_geam_ex_operation_
	.p2align	8
	.type	_ZN12_GLOBAL__N_120geam_min_plus_kernelId15HIP_vector_typeIdLj2EEdLi32ELi8ELi128ELi128ELi4ELi4ELi64ELi4ELi64ELc84ELc78ELb1ELb0ELb1EdKPKdKPdEEviiiT16_PT17_ilSA_ilS8_SA_ilPT18_ili26rocblas_geam_ex_operation_,@function
_ZN12_GLOBAL__N_120geam_min_plus_kernelId15HIP_vector_typeIdLj2EEdLi32ELi8ELi128ELi128ELi4ELi4ELi64ELi4ELi64ELc84ELc78ELb1ELb0ELb1EdKPKdKPdEEviiiT16_PT17_ilSA_ilS8_SA_ilPT18_ili26rocblas_geam_ex_operation_: ; @_ZN12_GLOBAL__N_120geam_min_plus_kernelId15HIP_vector_typeIdLj2EEdLi32ELi8ELi128ELi128ELi4ELi4ELi64ELi4ELi64ELc84ELc78ELb1ELb0ELb1EdKPKdKPdEEviiiT16_PT17_ilSA_ilS8_SA_ilPT18_ili26rocblas_geam_ex_operation_
; %bb.0:
	s_clause 0x1
	s_load_b128 s[4:7], s[0:1], 0x10
	s_load_b128 s[8:11], s[0:1], 0x28
	s_mov_b32 s18, s15
	s_mov_b64 s[12:13], 0
	s_waitcnt lgkmcnt(0)
	v_cmp_eq_f64_e64 s2, s[4:5], 0
	s_delay_alu instid0(VALU_DEP_1)
	s_and_b32 vcc_lo, exec_lo, s2
	s_cbranch_vccnz .LBB112_2
; %bb.1:
	s_mov_b32 s19, 0
	s_delay_alu instid0(SALU_CYCLE_1) | instskip(NEXT) | instid1(SALU_CYCLE_1)
	s_lshl_b64 s[4:5], s[18:19], 3
	s_add_u32 s4, s6, s4
	s_addc_u32 s5, s7, s5
	s_lshl_b64 s[6:7], s[8:9], 3
	s_load_b64 s[4:5], s[4:5], 0x0
	s_waitcnt lgkmcnt(0)
	s_add_u32 s12, s4, s6
	s_addc_u32 s13, s5, s7
.LBB112_2:
	s_clause 0x1
	s_load_b128 s[4:7], s[0:1], 0x40
	s_load_b64 s[20:21], s[0:1], 0x50
	s_and_not1_b32 vcc_lo, exec_lo, s2
	s_cbranch_vccnz .LBB112_4
; %bb.3:
	s_mov_b32 s19, 0
	s_mov_b64 s[16:17], 0
	s_cbranch_execz .LBB112_5
	s_branch .LBB112_6
.LBB112_4:
	s_mov_b32 s19, -1
                                        ; implicit-def: $sgpr16_sgpr17
.LBB112_5:
	s_mov_b32 s19, 0
	s_delay_alu instid0(SALU_CYCLE_1) | instskip(NEXT) | instid1(SALU_CYCLE_1)
	s_lshl_b64 s[2:3], s[18:19], 3
	s_add_u32 s2, s10, s2
	s_addc_u32 s3, s11, s3
	s_waitcnt lgkmcnt(0)
	s_lshl_b64 s[4:5], s[4:5], 3
	s_load_b64 s[2:3], s[2:3], 0x0
	s_waitcnt lgkmcnt(0)
	s_add_u32 s16, s2, s4
	s_addc_u32 s17, s3, s5
.LBB112_6:
	s_waitcnt lgkmcnt(0)
	v_cmp_eq_f64_e64 s2, s[6:7], 0
	s_load_b128 s[8:11], s[0:1], 0x60
	s_mov_b64 s[4:5], 0
	s_delay_alu instid0(VALU_DEP_1) | instskip(NEXT) | instid1(SALU_CYCLE_1)
	s_and_b32 s2, exec_lo, s2
	s_mov_b32 vcc_lo, s2
	s_cbranch_vccnz .LBB112_8
; %bb.7:
	s_lshl_b64 s[4:5], s[18:19], 3
	s_delay_alu instid0(SALU_CYCLE_1)
	s_add_u32 s4, s20, s4
	s_addc_u32 s5, s21, s5
	s_waitcnt lgkmcnt(0)
	s_lshl_b64 s[8:9], s[8:9], 3
	s_load_b64 s[4:5], s[4:5], 0x0
	s_waitcnt lgkmcnt(0)
	s_add_u32 s4, s4, s8
	s_addc_u32 s5, s5, s9
.LBB112_8:
	s_load_b32 s3, s[0:1], 0x0
	s_waitcnt lgkmcnt(0)
	s_lshl_b64 s[8:9], s[18:19], 3
	v_and_b32_e32 v129, 0x3ff, v0
	s_add_u32 s8, s10, s8
	s_addc_u32 s9, s11, s9
	v_bfe_u32 v248, v0, 10, 10
	s_clause 0x1
	s_load_b32 s15, s[0:1], 0x20
	s_load_b32 s18, s[0:1], 0x38
	v_dual_mov_b32 v225, 0x7f800000 :: v_dual_mov_b32 v172, 0x7f800000
	v_mov_b32_e32 v221, 0x7f800000
	v_lshl_add_u32 v0, v248, 5, v129
	v_dual_mov_b32 v173, 0x7f800000 :: v_dual_mov_b32 v196, 0x7f800000
	v_dual_mov_b32 v223, 0x7f800000 :: v_dual_mov_b32 v174, 0x7f800000
	v_mov_b32_e32 v175, 0x7f800000
	s_delay_alu instid0(VALU_DEP_4)
	v_lshrrev_b32_e32 v8, 2, v0
	v_and_b32_e32 v0, 3, v129
	v_dual_mov_b32 v170, 0x7f800000 :: v_dual_mov_b32 v227, 0x7f800000
	v_mov_b32_e32 v178, 0x7f800000
	s_add_i32 s3, s3, -1
	scratch_store_b32 off, v0, off offset:368 ; 4-byte Folded Spill
	s_ashr_i32 s10, s3, 31
	v_lshlrev_b32_e32 v9, 3, v0
	s_lshr_b32 s10, s10, 25
	v_dual_mov_b32 v231, 0x7f800000 :: v_dual_mov_b32 v246, 0x7f800000
	s_add_i32 s3, s3, s10
	s_delay_alu instid0(VALU_DEP_2)
	v_lshl_or_b32 v220, v8, 5, v9
	s_ashr_i32 s3, s3, 7
	v_dual_mov_b32 v229, 0x7f800000 :: v_dual_mov_b32 v250, 0x7f800000
	s_add_i32 s10, s3, 1
	s_not_b32 s3, s3
	v_cvt_f32_u32_e32 v1, s10
	v_dual_mov_b32 v249, 0x7f800000 :: v_dual_mov_b32 v180, 0x7f800000
	v_dual_mov_b32 v235, 0x7f800000 :: v_dual_mov_b32 v126, 0x7f800000
	s_delay_alu instid0(VALU_DEP_3)
	v_rcp_iflag_f32_e32 v1, v1
	v_dual_mov_b32 v233, 0x7f800000 :: v_dual_mov_b32 v238, 0x7f800000
	v_dual_mov_b32 v245, 0x7f800000 :: v_dual_mov_b32 v184, 0x7f800000
	;; [unrolled: 1-line block ×5, first 2 shown]
	s_waitcnt_depctr 0xfff
	v_mul_f32_e32 v1, 0x4f7ffffe, v1
	v_dual_mov_b32 v179, 0x7f800000 :: v_dual_mov_b32 v192, 0x7f800000
	v_dual_mov_b32 v45, 0x7f800000 :: v_dual_mov_b32 v128, 0x7f800000
	s_delay_alu instid0(VALU_DEP_3) | instskip(SKIP_2) | instid1(VALU_DEP_3)
	v_cvt_u32_f32_e32 v1, v1
	v_dual_mov_b32 v167, 0x7f800000 :: v_dual_mov_b32 v226, 0x7f800000
	v_dual_mov_b32 v115, 0x7f800000 :: v_dual_mov_b32 v222, 0x7f800000
	v_readfirstlane_b32 s11, v1
	v_dual_mov_b32 v187, 0x7f800000 :: v_dual_mov_b32 v224, 0x7f800000
	v_dual_mov_b32 v193, 0x7f800000 :: v_dual_mov_b32 v230, 0x7f800000
	s_delay_alu instid0(VALU_DEP_3)
	s_mul_i32 s3, s3, s11
	v_dual_mov_b32 v213, 0x7f800000 :: v_dual_mov_b32 v232, 0x7f800000
	s_mul_hi_u32 s3, s11, s3
	v_dual_mov_b32 v215, 0x7f800000 :: v_dual_mov_b32 v228, 0x7f800000
	s_add_i32 s11, s11, s3
	v_dual_mov_b32 v39, 0x7f800000 :: v_dual_mov_b32 v242, 0x7f800000
	s_mul_hi_u32 s3, s14, s11
	v_dual_mov_b32 v217, 0x7f800000 :: v_dual_mov_b32 v234, 0x7f800000
	s_mul_i32 s11, s3, s10
	s_add_i32 s19, s3, 1
	s_sub_i32 s11, s14, s11
	v_dual_mov_b32 v247, 0x7f800000 :: v_dual_mov_b32 v236, 0x7f800000
	s_sub_i32 s20, s11, s10
	s_cmp_ge_u32 s11, s10
	v_dual_mov_b32 v169, 0x7f800000 :: v_dual_mov_b32 v252, 0x7f800000
	s_cselect_b32 s3, s19, s3
	s_cselect_b32 s11, s20, s11
	s_add_i32 s19, s3, 1
	s_cmp_ge_u32 s11, s10
	v_mov_b32_e32 v171, 0x7f800000
	s_cselect_b32 s3, s19, s3
	v_mov_b32_e32 v195, 0x7f800000
	s_mul_i32 s10, s3, s10
	s_lshl_b32 s3, s3, 7
	s_sub_i32 s10, s14, s10
	v_add_nc_u32_e32 v2, s3, v8
	s_lshl_b32 s10, s10, 7
	v_add_co_u32 v6, s11, s12, v9
	v_add_nc_u32_e32 v4, s10, v8
	s_waitcnt lgkmcnt(0)
	v_mad_i64_i32 v[0:1], null, v2, s18, 0
	v_add_nc_u32_e32 v10, 64, v2
	v_add_co_ci_u32_e64 v7, null, s13, 0, s11
	v_mad_i64_i32 v[2:3], null, v4, s15, 0
	v_dual_mov_b32 v168, 0x7f800000 :: v_dual_add_nc_u32 v11, 64, v4
	s_delay_alu instid0(VALU_DEP_4) | instskip(SKIP_1) | instid1(VALU_DEP_3)
	v_mad_i64_i32 v[4:5], null, v10, s18, 0
	v_lshlrev_b64 v[12:13], 3, v[0:1]
	v_mad_i64_i32 v[0:1], null, v11, s15, 0
	v_add_co_u32 v10, s11, s16, v9
	s_delay_alu instid0(VALU_DEP_1) | instskip(SKIP_2) | instid1(VALU_DEP_4)
	v_add_co_ci_u32_e64 v11, null, s17, 0, s11
	v_lshlrev_b64 v[14:15], 3, v[2:3]
	v_lshlrev_b64 v[16:17], 3, v[4:5]
	v_add_co_u32 v2, vcc_lo, v10, v12
	s_delay_alu instid0(VALU_DEP_4)
	v_add_co_ci_u32_e32 v3, vcc_lo, v11, v13, vcc_lo
	s_clause 0x1
	scratch_store_b64 off, v[12:13], off offset:372
	scratch_store_b64 off, v[14:15], off offset:380
	v_lshlrev_b64 v[12:13], 3, v[0:1]
	scratch_store_b64 off, v[16:17], off offset:388 ; 8-byte Folded Spill
	v_add_co_u32 v0, vcc_lo, v6, v14
	v_add_co_ci_u32_e32 v1, vcc_lo, v7, v15, vcc_lo
	scratch_store_b64 off, v[12:13], off offset:396 ; 8-byte Folded Spill
	v_add_co_u32 v4, vcc_lo, v10, v16
	v_add_co_ci_u32_e32 v5, vcc_lo, v11, v17, vcc_lo
	v_add_co_u32 v6, vcc_lo, v6, v12
	v_add_co_ci_u32_e32 v7, vcc_lo, v7, v13, vcc_lo
	flat_load_b64 v[24:25], v[2:3]
	flat_load_b64 v[26:27], v[0:1]
	flat_load_b64 v[28:29], v[4:5]
	flat_load_b64 v[30:31], v[6:7]
	flat_load_b64 v[4:5], v[4:5] offset:32
	flat_load_b64 v[0:1], v[0:1] offset:32
	;; [unrolled: 1-line block ×3, first 2 shown]
	s_load_b64 s[8:9], s[8:9], 0x0
	v_dual_mov_b32 v255, 0x7f800000 :: v_dual_mov_b32 v186, 0x7f800000
	v_dual_mov_b32 v237, 0x7f800000 :: v_dual_mov_b32 v190, 0x7f800000
	v_mov_b32_e32 v185, 0x7f800000
	v_mov_b32_e32 v189, 0x7f800000
	;; [unrolled: 1-line block ×3, first 2 shown]
	s_mov_b32 s11, -1
	s_mov_b32 s14, 0
	s_waitcnt vmcnt(1) lgkmcnt(0)
	scratch_store_b64 off, v[0:1], off offset:328 ; 8-byte Folded Spill
	v_mov_b32_e32 v0, 0x7f800000
	s_clause 0x1
	scratch_store_b64 off, v[4:5], off offset:304
	scratch_store_b32 off, v0, off
	v_add_nc_u32_e32 v0, 0x2000, v220
	s_waitcnt vmcnt(0)
	scratch_store_b64 off, v[2:3], off offset:312 ; 8-byte Folded Spill
	flat_load_b64 v[2:3], v[6:7] offset:32
	scratch_store_b32 off, v0, off offset:404 ; 4-byte Folded Spill
	s_waitcnt vmcnt(0) lgkmcnt(0)
	scratch_store_b64 off, v[2:3], off offset:320 ; 8-byte Folded Spill
	ds_store_2addr_stride64_b64 v220, v[24:25], v[28:29] offset0:16 offset1:20
	ds_store_2addr_stride64_b64 v220, v[26:27], v[30:31] offset1:4
	s_waitcnt lgkmcnt(0)
	s_waitcnt_vscnt null, 0x0
	s_barrier
	buffer_gl0_inv
	scratch_store_b32 off, v129, off offset:300 ; 4-byte Folded Spill
.LBB112_9:                              ; =>This Inner Loop Header: Depth=1
	s_lshl_b32 s14, s14, 3
	v_mov_b32_e32 v181, v115
	v_lshl_add_u32 v24, v248, 5, s14
	s_waitcnt vmcnt(0)
	v_lshl_add_u32 v8, v129, 5, s14
	v_mov_b32_e32 v216, v39
	s_mov_b32 s14, 2
	ds_load_b128 v[25:28], v24 offset:8192
	ds_load_b128 v[0:3], v8
	ds_load_b128 v[4:7], v8 offset:1024
	ds_load_b128 v[29:32], v24 offset:8448
	;; [unrolled: 1-line block ×4, first 2 shown]
	s_waitcnt lgkmcnt(4)
	v_add_f64 v[9:10], v[2:3], v[27:28]
	scratch_store_b64 off, v[9:10], off offset:20 ; 8-byte Folded Spill
	v_add_f64 v[9:10], v[0:1], v[25:26]
	scratch_store_b64 off, v[9:10], off offset:52 ; 8-byte Folded Spill
	s_waitcnt lgkmcnt(3)
	v_add_f64 v[9:10], v[6:7], v[27:28]
	scratch_store_b64 off, v[9:10], off offset:4 ; 8-byte Folded Spill
	v_add_f64 v[9:10], v[4:5], v[25:26]
	scratch_store_b64 off, v[9:10], off offset:36 ; 8-byte Folded Spill
	;; [unrolled: 5-line block ×4, first 2 shown]
	v_add_f64 v[8:9], v[2:3], v[31:32]
	scratch_store_b64 off, v[8:9], off offset:68 ; 8-byte Folded Spill
	v_add_f64 v[8:9], v[0:1], v[29:30]
	scratch_store_b64 off, v[8:9], off offset:76 ; 8-byte Folded Spill
	v_add_f64 v[8:9], v[6:7], v[31:32]
	scratch_store_b64 off, v[8:9], off offset:84 ; 8-byte Folded Spill
	v_add_f64 v[8:9], v[4:5], v[29:30]
	scratch_store_b64 off, v[8:9], off offset:92 ; 8-byte Folded Spill
	v_add_f64 v[8:9], v[35:36], v[31:32]
	scratch_store_b64 off, v[8:9], off offset:100 ; 8-byte Folded Spill
	v_add_f64 v[8:9], v[33:34], v[29:30]
	scratch_store_b64 off, v[8:9], off offset:108 ; 8-byte Folded Spill
	v_add_f64 v[8:9], v[39:40], v[31:32]
	scratch_store_b64 off, v[8:9], off offset:116 ; 8-byte Folded Spill
	v_add_f64 v[8:9], v[37:38], v[29:30]
	scratch_store_b64 off, v[8:9], off offset:124 ; 8-byte Folded Spill
	ds_load_b128 v[25:28], v24 offset:8704
	ds_load_b128 v[29:32], v24 offset:8960
	s_waitcnt lgkmcnt(1)
	v_add_f64 v[8:9], v[2:3], v[27:28]
	scratch_store_b64 off, v[8:9], off offset:164 ; 8-byte Folded Spill
	v_add_f64 v[8:9], v[0:1], v[25:26]
	scratch_store_b64 off, v[8:9], off offset:188 ; 8-byte Folded Spill
	v_add_f64 v[8:9], v[6:7], v[27:28]
	scratch_store_b64 off, v[8:9], off offset:148 ; 8-byte Folded Spill
	v_add_f64 v[8:9], v[4:5], v[25:26]
	scratch_store_b64 off, v[8:9], off offset:180 ; 8-byte Folded Spill
	v_add_f64 v[8:9], v[35:36], v[27:28]
	scratch_store_b64 off, v[8:9], off offset:140 ; 8-byte Folded Spill
	v_add_f64 v[8:9], v[33:34], v[25:26]
	scratch_store_b64 off, v[8:9], off offset:172 ; 8-byte Folded Spill
	v_add_f64 v[8:9], v[39:40], v[27:28]
	scratch_store_b64 off, v[8:9], off offset:132 ; 8-byte Folded Spill
	v_add_f64 v[8:9], v[37:38], v[25:26]
	scratch_store_b64 off, v[8:9], off offset:156 ; 8-byte Folded Spill
	s_waitcnt lgkmcnt(0)
	v_add_f64 v[8:9], v[2:3], v[31:32]
	scratch_store_b64 off, v[8:9], off offset:196 ; 8-byte Folded Spill
	v_add_f64 v[8:9], v[0:1], v[29:30]
	scratch_store_b64 off, v[8:9], off offset:204 ; 8-byte Folded Spill
	;; [unrolled: 2-line block ×8, first 2 shown]
	ds_load_b128 v[25:28], v24 offset:9216
	ds_load_b128 v[29:32], v24 offset:9472
	s_waitcnt lgkmcnt(1)
	v_add_f64 v[8:9], v[2:3], v[27:28]
	v_add_f64 v[113:114], v[0:1], v[25:26]
	v_add_f64 v[115:116], v[4:5], v[25:26]
	v_add_f64 v[119:120], v[33:34], v[25:26]
	s_waitcnt lgkmcnt(0)
	v_add_f64 v[121:122], v[2:3], v[31:32]
	v_add_f64 v[123:124], v[0:1], v[29:30]
	;; [unrolled: 1-line block ×8, first 2 shown]
	scratch_store_b64 off, v[8:9], off offset:292 ; 8-byte Folded Spill
	v_add_f64 v[8:9], v[6:7], v[27:28]
	scratch_store_b64 off, v[8:9], off offset:276 ; 8-byte Folded Spill
	v_add_f64 v[8:9], v[35:36], v[27:28]
	;; [unrolled: 2-line block ×4, first 2 shown]
	scratch_store_b64 off, v[8:9], off offset:284 ; 8-byte Folded Spill
	ds_load_b128 v[25:28], v24 offset:9728
	ds_load_b128 v[29:32], v24 offset:9984
	s_waitcnt lgkmcnt(1)
	v_add_f64 v[207:208], v[2:3], v[27:28]
	v_add_f64 v[209:210], v[0:1], v[25:26]
	;; [unrolled: 1-line block ×8, first 2 shown]
	s_waitcnt lgkmcnt(0)
	v_add_f64 v[141:142], v[2:3], v[31:32]
	v_add_f64 v[143:144], v[0:1], v[29:30]
	;; [unrolled: 1-line block ×8, first 2 shown]
	ds_load_b128 v[25:28], v24 offset:10240
	ds_load_b128 v[29:32], v24 offset:10496
	s_waitcnt lgkmcnt(1)
	v_add_f64 v[239:240], v[2:3], v[27:28]
	v_add_f64 v[161:162], v[0:1], v[25:26]
	;; [unrolled: 1-line block ×8, first 2 shown]
	s_waitcnt lgkmcnt(0)
	v_add_f64 v[111:112], v[2:3], v[31:32]
	v_add_f64 v[109:110], v[0:1], v[29:30]
	;; [unrolled: 1-line block ×8, first 2 shown]
	ds_load_b128 v[25:28], v24 offset:10752
	ds_load_b128 v[29:32], v24 offset:11008
	v_cvt_f32_f64_e32 v10, v[10:11]
	v_cvt_f32_f64_e32 v11, v[131:132]
	s_waitcnt lgkmcnt(1)
	v_add_f64 v[81:82], v[2:3], v[27:28]
	v_add_f64 v[75:76], v[0:1], v[25:26]
	;; [unrolled: 1-line block ×8, first 2 shown]
	s_waitcnt lgkmcnt(0)
	v_add_f64 v[77:78], v[2:3], v[31:32]
	v_add_f64 v[73:74], v[0:1], v[29:30]
	;; [unrolled: 1-line block ×8, first 2 shown]
	ds_load_b128 v[25:28], v24 offset:11264
	ds_load_b128 v[29:32], v24 offset:11520
	s_waitcnt lgkmcnt(1)
	v_add_f64 v[22:23], v[2:3], v[27:28]
	v_add_f64 v[129:130], v[0:1], v[25:26]
	;; [unrolled: 1-line block ×8, first 2 shown]
	s_waitcnt lgkmcnt(0)
	v_add_f64 v[57:58], v[2:3], v[31:32]
	v_add_f64 v[59:60], v[0:1], v[29:30]
	;; [unrolled: 1-line block ×8, first 2 shown]
	ds_load_b128 v[25:28], v24 offset:11776
	ds_load_b128 v[29:32], v24 offset:12032
	s_waitcnt lgkmcnt(1)
	v_add_f64 v[8:9], v[0:1], v[25:26]
	v_add_f64 v[133:134], v[4:5], v[25:26]
	;; [unrolled: 1-line block ×4, first 2 shown]
	s_waitcnt lgkmcnt(0)
	v_add_f64 v[0:1], v[0:1], v[29:30]
	v_add_f64 v[4:5], v[4:5], v[29:30]
	;; [unrolled: 1-line block ×4, first 2 shown]
	scratch_load_b64 v[37:38], off, off offset:52 ; 8-byte Folded Reload
	v_add_f64 v[155:156], v[2:3], v[27:28]
	v_add_f64 v[16:17], v[6:7], v[27:28]
	v_add_f64 v[18:19], v[35:36], v[27:28]
	v_add_f64 v[27:28], v[39:40], v[27:28]
	v_add_f64 v[2:3], v[2:3], v[31:32]
	v_add_f64 v[6:7], v[6:7], v[31:32]
	v_add_f64 v[35:36], v[35:36], v[31:32]
	v_add_f64 v[31:32], v[39:40], v[31:32]
	v_cvt_f32_f64_e32 v8, v[8:9]
	v_cvt_f32_f64_e32 v0, v[0:1]
	;; [unrolled: 1-line block ×4, first 2 shown]
	s_delay_alu instid0(VALU_DEP_2) | instskip(SKIP_2) | instid1(VALU_DEP_4)
	v_min3_f32 v221, v8, v9, v221
	v_cvt_f32_f64_e32 v8, v[133:134]
	v_cvt_f32_f64_e32 v9, v[16:17]
	v_min3_f32 v168, v0, v1, v168
	v_cvt_f32_f64_e32 v0, v[4:5]
	v_cvt_f32_f64_e32 v1, v[6:7]
	s_delay_alu instid0(VALU_DEP_4) | instskip(SKIP_2) | instid1(VALU_DEP_4)
	v_min3_f32 v196, v8, v9, v196
	v_cvt_f32_f64_e32 v8, v[137:138]
	v_cvt_f32_f64_e32 v9, v[18:19]
	v_min3_f32 v171, v0, v1, v171
	v_cvt_f32_f64_e32 v0, v[33:34]
	v_cvt_f32_f64_e32 v1, v[35:36]
	s_delay_alu instid0(VALU_DEP_4) | instskip(SKIP_2) | instid1(VALU_DEP_4)
	v_min3_f32 v195, v8, v9, v195
	v_cvt_f32_f64_e32 v8, v[24:25]
	v_cvt_f32_f64_e32 v9, v[27:28]
	v_min3_f32 v170, v0, v1, v170
	v_cvt_f32_f64_e32 v0, v[29:30]
	v_cvt_f32_f64_e32 v1, v[31:32]
	s_delay_alu instid0(VALU_DEP_4) | instskip(NEXT) | instid1(VALU_DEP_2)
	v_min3_f32 v172, v8, v9, v172
	v_min3_f32 v173, v0, v1, v173
	v_cndmask_b32_e64 v0, 0, 1, s11
	s_mov_b32 s11, 0
	s_delay_alu instid0(VALU_DEP_1)
	v_cmp_ne_u32_e32 vcc_lo, 1, v0
	s_and_b32 vcc_lo, exec_lo, vcc_lo
	s_waitcnt vmcnt(0)
	v_cvt_f32_f64_e32 v26, v[37:38]
	scratch_load_b64 v[37:38], off, off offset:20 ; 8-byte Folded Reload
	s_waitcnt vmcnt(0)
	v_cvt_f32_f64_e32 v37, v[37:38]
	s_delay_alu instid0(VALU_DEP_1)
	v_min3_f32 v191, v26, v37, v191
	scratch_load_b64 v[37:38], off, off offset:36 ; 8-byte Folded Reload
	s_waitcnt vmcnt(0)
	v_cvt_f32_f64_e32 v26, v[37:38]
	scratch_load_b64 v[37:38], off, off offset:4 ; 8-byte Folded Reload
	s_waitcnt vmcnt(0)
	v_cvt_f32_f64_e32 v37, v[37:38]
	s_delay_alu instid0(VALU_DEP_1)
	v_min3_f32 v190, v26, v37, v190
	scratch_load_b64 v[37:38], off, off offset:60 ; 8-byte Folded Reload
	;; [unrolled: 8-line block ×15, first 2 shown]
	s_waitcnt vmcnt(0)
	v_cvt_f32_f64_e32 v26, v[37:38]
	scratch_load_b64 v[37:38], off, off offset:244 ; 8-byte Folded Reload
	s_waitcnt vmcnt(0)
	v_cvt_f32_f64_e32 v37, v[37:38]
	s_delay_alu instid0(VALU_DEP_1) | instskip(SKIP_4) | instid1(VALU_DEP_1)
	v_min3_f32 v226, v26, v37, v226
	scratch_load_b64 v[37:38], off, off offset:292 ; 8-byte Folded Reload
	v_cvt_f32_f64_e32 v26, v[113:114]
	s_waitcnt vmcnt(0)
	v_cvt_f32_f64_e32 v37, v[37:38]
	v_min3_f32 v255, v26, v37, v255
	scratch_load_b64 v[37:38], off, off offset:276 ; 8-byte Folded Reload
	v_cvt_f32_f64_e32 v26, v[115:116]
	v_mov_b32_e32 v115, v181
	v_mov_b32_e32 v39, v216
	s_waitcnt vmcnt(0)
	v_cvt_f32_f64_e32 v37, v[37:38]
	s_delay_alu instid0(VALU_DEP_1) | instskip(SKIP_4) | instid1(VALU_DEP_1)
	v_min3_f32 v169, v26, v37, v169
	scratch_load_b64 v[37:38], off, off offset:268 ; 8-byte Folded Reload
	v_cvt_f32_f64_e32 v26, v[119:120]
	s_waitcnt vmcnt(0)
	v_cvt_f32_f64_e32 v37, v[37:38]
	v_min3_f32 v128, v26, v37, v128
	scratch_load_b64 v[37:38], off, off offset:284 ; 8-byte Folded Reload
	s_waitcnt vmcnt(0)
	v_cvt_f32_f64_e32 v26, v[37:38]
	scratch_load_b64 v[37:38], off, off offset:260 ; 8-byte Folded Reload
	s_waitcnt vmcnt(0)
	v_cvt_f32_f64_e32 v37, v[37:38]
	s_delay_alu instid0(VALU_DEP_1) | instskip(SKIP_2) | instid1(VALU_DEP_1)
	v_min3_f32 v247, v26, v37, v247
	v_cvt_f32_f64_e32 v26, v[123:124]
	v_cvt_f32_f64_e32 v37, v[121:122]
	v_min3_f32 v192, v26, v37, v192
	v_cvt_f32_f64_e32 v26, v[197:198]
	v_cvt_f32_f64_e32 v37, v[139:140]
	s_delay_alu instid0(VALU_DEP_1) | instskip(SKIP_2) | instid1(VALU_DEP_1)
	v_min3_f32 v217, v26, v37, v217
	v_cvt_f32_f64_e32 v26, v[201:202]
	v_cvt_f32_f64_e32 v37, v[199:200]
	v_min3_f32 v39, v26, v37, v39
	v_cvt_f32_f64_e32 v26, v[205:206]
	;; [unrolled: 7-line block ×3, first 2 shown]
	v_cvt_f32_f64_e32 v37, v[211:212]
	s_delay_alu instid0(VALU_DEP_1) | instskip(SKIP_1) | instid1(VALU_DEP_1)
	v_min3_f32 v213, v26, v37, v213
	v_cvt_f32_f64_e32 v26, v[99:100]
	v_min3_f32 v194, v26, v10, v194
	v_cvt_f32_f64_e32 v10, v[97:98]
	s_delay_alu instid0(VALU_DEP_1) | instskip(SKIP_2) | instid1(VALU_DEP_1)
	v_min3_f32 v193, v10, v11, v193
	v_cvt_f32_f64_e32 v10, v[143:144]
	v_cvt_f32_f64_e32 v11, v[141:142]
	v_min3_f32 v188, v10, v11, v188
	v_cvt_f32_f64_e32 v10, v[147:148]
	v_cvt_f32_f64_e32 v11, v[145:146]
	s_delay_alu instid0(VALU_DEP_1) | instskip(SKIP_2) | instid1(VALU_DEP_1)
	v_min3_f32 v187, v10, v11, v187
	v_cvt_f32_f64_e32 v10, v[151:152]
	v_cvt_f32_f64_e32 v11, v[149:150]
	v_min3_f32 v184, v10, v11, v184
	v_cvt_f32_f64_e32 v10, v[176:177]
	v_cvt_f32_f64_e32 v11, v[153:154]
	s_delay_alu instid0(VALU_DEP_1) | instskip(SKIP_2) | instid1(VALU_DEP_1)
	v_min3_f32 v238, v10, v11, v238
	v_cvt_f32_f64_e32 v10, v[161:162]
	v_cvt_f32_f64_e32 v11, v[239:240]
	v_min3_f32 v115, v10, v11, v115
	v_cvt_f32_f64_e32 v10, v[159:160]
	v_cvt_f32_f64_e32 v11, v[243:244]
	s_delay_alu instid0(VALU_DEP_1)
	v_min3_f32 v167, v10, v11, v167
	v_cvt_f32_f64_e32 v10, v[14:15]
	v_cvt_f32_f64_e32 v11, v[218:219]
	scratch_load_b32 v14, off, off          ; 4-byte Folded Reload
	v_min3_f32 v126, v10, v11, v126
	v_cvt_f32_f64_e32 v10, v[253:254]
	v_cvt_f32_f64_e32 v11, v[163:164]
	s_delay_alu instid0(VALU_DEP_1) | instskip(SKIP_2) | instid1(VALU_DEP_1)
	v_min3_f32 v180, v10, v11, v180
	v_cvt_f32_f64_e32 v10, v[109:110]
	v_cvt_f32_f64_e32 v11, v[111:112]
	v_min3_f32 v45, v10, v11, v45
	v_cvt_f32_f64_e32 v10, v[105:106]
	v_cvt_f32_f64_e32 v11, v[107:108]
	s_delay_alu instid0(VALU_DEP_1) | instskip(SKIP_2) | instid1(VALU_DEP_1)
	v_min3_f32 v179, v10, v11, v179
	v_cvt_f32_f64_e32 v10, v[101:102]
	v_cvt_f32_f64_e32 v11, v[135:136]
	;; [unrolled: 7-line block ×6, first 2 shown]
	v_min3_f32 v246, v10, v11, v246
	v_cvt_f32_f64_e32 v10, v[67:68]
	v_cvt_f32_f64_e32 v11, v[71:72]
	s_delay_alu instid0(VALU_DEP_1) | instskip(SKIP_3) | instid1(VALU_DEP_1)
	v_min3_f32 v178, v10, v11, v178
	v_cvt_f32_f64_e32 v10, v[129:130]
	scratch_load_b32 v129, off, off offset:300 ; 4-byte Folded Reload
	v_cvt_f32_f64_e32 v11, v[22:23]
	v_min3_f32 v229, v10, v11, v229
	v_cvt_f32_f64_e32 v10, v[20:21]
	v_cvt_f32_f64_e32 v11, v[43:44]
	s_delay_alu instid0(VALU_DEP_1) | instskip(SKIP_2) | instid1(VALU_DEP_1)
	v_min3_f32 v231, v10, v11, v231
	v_cvt_f32_f64_e32 v10, v[12:13]
	v_cvt_f32_f64_e32 v11, v[47:48]
	v_min3_f32 v227, v10, v11, v227
	v_cvt_f32_f64_e32 v10, v[41:42]
	v_cvt_f32_f64_e32 v11, v[51:52]
	s_waitcnt vmcnt(1)
	s_delay_alu instid0(VALU_DEP_1)
	v_min3_f32 v14, v10, v11, v14
	v_cvt_f32_f64_e32 v10, v[59:60]
	v_cvt_f32_f64_e32 v11, v[57:58]
	scratch_store_b32 off, v14, off         ; 4-byte Folded Spill
	v_min3_f32 v225, v10, v11, v225
	v_cvt_f32_f64_e32 v10, v[55:56]
	v_cvt_f32_f64_e32 v11, v[61:62]
	s_delay_alu instid0(VALU_DEP_1) | instskip(SKIP_2) | instid1(VALU_DEP_1)
	v_min3_f32 v175, v10, v11, v175
	v_cvt_f32_f64_e32 v10, v[157:158]
	v_cvt_f32_f64_e32 v11, v[49:50]
	v_min3_f32 v223, v10, v11, v223
	v_cvt_f32_f64_e32 v10, v[165:166]
	v_cvt_f32_f64_e32 v11, v[53:54]
	s_delay_alu instid0(VALU_DEP_1)
	v_min3_f32 v174, v10, v11, v174
	s_cbranch_vccz .LBB112_9
; %bb.10:
	s_clause 0x1
	scratch_load_b64 v[0:1], off, off offset:320
	scratch_load_b64 v[2:3], off, off offset:328
	s_load_b32 s11, s[0:1], 0x8
	v_dual_mov_b32 v95, v217 :: v_dual_mov_b32 v70, v194
	v_dual_mov_b32 v67, v214 :: v_dual_mov_b32 v72, v187
	;; [unrolled: 1-line block ×6, first 2 shown]
	v_mov_b32_e32 v69, v193
	s_waitcnt lgkmcnt(0)
	s_cmp_lt_i32 s11, 9
	s_waitcnt vmcnt(0)
	ds_store_2addr_stride64_b64 v220, v[2:3], v[0:1] offset0:8 offset1:12
	s_clause 0x1
	scratch_load_b64 v[0:1], off, off offset:304
	scratch_load_b64 v[2:3], off, off offset:312
	s_waitcnt vmcnt(0)
	ds_store_2addr_stride64_b64 v220, v[2:3], v[0:1] offset0:24 offset1:28
	s_waitcnt lgkmcnt(0)
	s_waitcnt_vscnt null, 0x0
	s_barrier
	buffer_gl0_inv
	s_cbranch_scc1 .LBB112_19
; %bb.11:
	v_add_nc_u32_e32 v0, 0x1000, v220
	v_dual_mov_b32 v108, v180 :: v_dual_mov_b32 v1, 0
	v_mov_b32_e32 v106, v179
	s_add_i32 s11, s11, -8
	s_clause 0x1
	scratch_store_b32 off, v0, off offset:412
	scratch_store_b32 off, v220, off offset:408
	v_add_nc_u32_e32 v0, 0x3000, v220
	s_mov_b32 s14, 8
	s_mov_b32 s15, 0
	scratch_store_b32 off, v0, off offset:416 ; 4-byte Folded Spill
.LBB112_12:                             ; =>This Loop Header: Depth=1
                                        ;     Child Loop BB112_13 Depth 2
                                        ;     Child Loop BB112_15 Depth 2
	s_clause 0x1
	scratch_load_b32 v0, off, off offset:368
	scratch_load_b64 v[4:5], off, off offset:380
	s_waitcnt vmcnt(2)
	v_mov_b32_e32 v2, v1
	s_mov_b32 s18, -1
	s_mov_b32 s19, 0
	scratch_store_b64 off, v[1:2], off offset:360 ; 8-byte Folded Spill
	s_waitcnt vmcnt(1)
	v_or_b32_e32 v0, s14, v0
	s_delay_alu instid0(VALU_DEP_1) | instskip(NEXT) | instid1(VALU_DEP_1)
	v_lshlrev_b64 v[0:1], 3, v[0:1]
	v_add_co_u32 v2, vcc_lo, s12, v0
	s_delay_alu instid0(VALU_DEP_2)
	v_add_co_ci_u32_e32 v3, vcc_lo, s13, v1, vcc_lo
	v_add_co_u32 v0, vcc_lo, s16, v0
	v_add_co_ci_u32_e32 v1, vcc_lo, s17, v1, vcc_lo
	s_waitcnt vmcnt(0)
	v_add_co_u32 v6, vcc_lo, v2, v4
	v_add_co_ci_u32_e32 v7, vcc_lo, v3, v5, vcc_lo
	scratch_load_b64 v[4:5], off, off offset:396 ; 8-byte Folded Reload
	scratch_store_b64 off, v[6:7], off offset:292 ; 8-byte Folded Spill
	s_waitcnt vmcnt(0)
	v_add_co_u32 v4, vcc_lo, v2, v4
	v_add_co_ci_u32_e32 v5, vcc_lo, v3, v5, vcc_lo
	scratch_load_b64 v[2:3], off, off offset:372 ; 8-byte Folded Reload
	s_waitcnt vmcnt(0)
	v_add_co_u32 v8, vcc_lo, v0, v2
	v_add_co_ci_u32_e32 v9, vcc_lo, v1, v3, vcc_lo
	scratch_load_b64 v[2:3], off, off offset:388 ; 8-byte Folded Reload
	s_waitcnt vmcnt(0)
	v_add_co_u32 v0, vcc_lo, v0, v2
	v_add_co_ci_u32_e32 v1, vcc_lo, v1, v3, vcc_lo
	flat_load_b64 v[2:3], v[6:7]
	s_waitcnt vmcnt(0) lgkmcnt(0)
	s_clause 0x1
	scratch_store_b64 off, v[2:3], off offset:328
	scratch_store_b64 off, v[4:5], off offset:304
	flat_load_b64 v[2:3], v[4:5]
	s_waitcnt vmcnt(0) lgkmcnt(0)
	s_clause 0x1
	scratch_store_b64 off, v[2:3], off offset:336
	scratch_store_b64 off, v[8:9], off offset:312
	;; [unrolled: 5-line block ×3, first 2 shown]
	flat_load_b64 v[0:1], v[0:1]
	s_waitcnt vmcnt(0) lgkmcnt(0)
	scratch_store_b64 off, v[0:1], off offset:352 ; 8-byte Folded Spill
.LBB112_13:                             ;   Parent Loop BB112_12 Depth=1
                                        ; =>  This Inner Loop Header: Depth=2
	s_lshl_b32 s19, s19, 3
	v_mov_b32_e32 v17, v248
	v_lshl_add_u32 v16, v248, 5, s19
	v_mov_b32_e32 v248, v249
	v_lshl_add_u32 v8, v129, 5, s19
	v_mov_b32_e32 v249, v247
	v_dual_mov_b32 v247, v192 :: v_dual_mov_b32 v192, v95
	ds_load_b128 v[46:49], v16 offset:12288
	ds_load_b128 v[0:3], v8 offset:4096
	;; [unrolled: 1-line block ×4, first 2 shown]
	s_mov_b32 s19, 2
	s_and_not1_b32 vcc_lo, exec_lo, s18
	s_mov_b32 s18, 0
	s_waitcnt lgkmcnt(2)
	v_add_f64 v[52:53], v[0:1], v[46:47]
	s_waitcnt lgkmcnt(1)
	v_add_f64 v[9:10], v[6:7], v[48:49]
	v_add_f64 v[104:105], v[2:3], v[48:49]
	scratch_store_b64 off, v[9:10], off offset:4 ; 8-byte Folded Spill
	v_add_f64 v[9:10], v[4:5], v[46:47]
	v_cvt_f32_f64_e32 v25, v[104:105]
	scratch_store_b64 off, v[9:10], off offset:28 ; 8-byte Folded Spill
	ds_load_b128 v[197:200], v8 offset:6144
	ds_load_b128 v[201:204], v8 offset:7168
	;; [unrolled: 1-line block ×4, first 2 shown]
	s_waitcnt lgkmcnt(3)
	v_add_f64 v[8:9], v[199:200], v[48:49]
	scratch_store_b64 off, v[8:9], off offset:20 ; 8-byte Folded Spill
	v_add_f64 v[8:9], v[197:198], v[46:47]
	scratch_store_b64 off, v[8:9], off offset:44 ; 8-byte Folded Spill
	s_waitcnt lgkmcnt(2)
	v_add_f64 v[8:9], v[203:204], v[48:49]
	scratch_store_b64 off, v[8:9], off offset:12 ; 8-byte Folded Spill
	v_add_f64 v[8:9], v[201:202], v[46:47]
	scratch_store_b64 off, v[8:9], off offset:36 ; 8-byte Folded Spill
	;; [unrolled: 2-line block ×10, first 2 shown]
	s_waitcnt lgkmcnt(1)
	v_add_f64 v[8:9], v[2:3], v[80:81]
	scratch_store_b64 off, v[8:9], off offset:148 ; 8-byte Folded Spill
	v_add_f64 v[8:9], v[0:1], v[78:79]
	scratch_store_b64 off, v[8:9], off offset:172 ; 8-byte Folded Spill
	;; [unrolled: 2-line block ×8, first 2 shown]
	s_waitcnt lgkmcnt(0)
	v_add_f64 v[8:9], v[2:3], v[94:95]
	scratch_store_b64 off, v[8:9], off offset:180 ; 8-byte Folded Spill
	v_add_f64 v[8:9], v[0:1], v[92:93]
	scratch_store_b64 off, v[8:9], off offset:188 ; 8-byte Folded Spill
	;; [unrolled: 2-line block ×8, first 2 shown]
	ds_load_b128 v[110:113], v16 offset:13312
	ds_load_b128 v[205:208], v16 offset:13568
	s_waitcnt lgkmcnt(1)
	v_add_f64 v[8:9], v[2:3], v[112:113]
	v_add_f64 v[94:95], v[0:1], v[110:111]
	;; [unrolled: 1-line block ×3, first 2 shown]
	s_waitcnt lgkmcnt(0)
	v_add_f64 v[92:93], v[6:7], v[207:208]
	v_add_f64 v[86:87], v[4:5], v[205:206]
	;; [unrolled: 1-line block ×6, first 2 shown]
	scratch_store_b64 off, v[8:9], off offset:276 ; 8-byte Folded Spill
	v_add_f64 v[8:9], v[6:7], v[112:113]
	scratch_store_b64 off, v[8:9], off offset:260 ; 8-byte Folded Spill
	v_add_f64 v[8:9], v[199:200], v[112:113]
	;; [unrolled: 2-line block ×4, first 2 shown]
	v_add_f64 v[112:113], v[0:1], v[205:206]
	scratch_store_b64 off, v[8:9], off offset:244 ; 8-byte Folded Spill
	v_add_f64 v[8:9], v[201:202], v[110:111]
	v_add_f64 v[110:111], v[2:3], v[207:208]
	scratch_store_b64 off, v[8:9], off offset:268 ; 8-byte Folded Spill
	ds_load_b128 v[205:208], v16 offset:13824
	ds_load_b128 v[209:212], v16 offset:14080
	s_waitcnt lgkmcnt(1)
	v_add_f64 v[60:61], v[2:3], v[207:208]
	v_add_f64 v[40:41], v[0:1], v[205:206]
	v_add_f64 v[84:85], v[6:7], v[207:208]
	v_add_f64 v[46:47], v[4:5], v[205:206]
	v_add_f64 v[78:79], v[199:200], v[207:208]
	v_add_f64 v[54:55], v[197:198], v[205:206]
	v_add_f64 v[80:81], v[203:204], v[207:208]
	v_add_f64 v[62:63], v[201:202], v[205:206]
	s_waitcnt lgkmcnt(0)
	v_add_f64 v[166:167], v[2:3], v[211:212]
	v_add_f64 v[152:153], v[0:1], v[209:210]
	v_add_f64 v[154:155], v[6:7], v[211:212]
	v_add_f64 v[156:157], v[4:5], v[209:210]
	v_add_f64 v[158:159], v[199:200], v[211:212]
	v_add_f64 v[160:161], v[197:198], v[209:210]
	v_add_f64 v[162:163], v[203:204], v[211:212]
	v_add_f64 v[164:165], v[201:202], v[209:210]
	ds_load_b128 v[205:208], v16 offset:14336
	ds_load_b128 v[209:212], v16 offset:14592
	s_waitcnt lgkmcnt(1)
	v_add_f64 v[44:45], v[2:3], v[207:208]
	v_add_f64 v[239:240], v[0:1], v[205:206]
	v_add_f64 v[181:182], v[6:7], v[207:208]
	v_add_f64 v[243:244], v[4:5], v[205:206]
	v_add_f64 v[48:49], v[199:200], v[207:208]
	v_add_f64 v[37:38], v[197:198], v[205:206]
	v_add_f64 v[50:51], v[203:204], v[207:208]
	v_add_f64 v[183:184], v[201:202], v[205:206]
	s_waitcnt lgkmcnt(0)
	v_add_f64 v[253:254], v[2:3], v[211:212]
	v_add_f64 v[150:151], v[0:1], v[209:210]
	v_add_f64 v[35:36], v[6:7], v[211:212]
	v_add_f64 v[33:34], v[4:5], v[209:210]
	v_add_f64 v[42:43], v[199:200], v[211:212]
	v_add_f64 v[30:31], v[197:198], v[209:210]
	v_add_f64 v[28:29], v[203:204], v[211:212]
	v_add_f64 v[26:27], v[201:202], v[209:210]
	;; [unrolled: 20-line block ×4, first 2 shown]
	ds_load_b128 v[205:208], v16 offset:15872
	ds_load_b128 v[209:212], v16 offset:16128
	v_cvt_f32_f64_e32 v16, v[52:53]
	scratch_load_b64 v[52:53], off, off offset:28 ; 8-byte Folded Reload
	s_waitcnt lgkmcnt(1)
	v_add_f64 v[219:220], v[2:3], v[207:208]
	v_add_f64 v[10:11], v[0:1], v[205:206]
	s_waitcnt lgkmcnt(0)
	v_add_f64 v[2:3], v[2:3], v[211:212]
	v_add_f64 v[0:1], v[0:1], v[209:210]
	;; [unrolled: 1-line block ×11, first 2 shown]
	v_cvt_f32_f64_e32 v8, v[8:9]
	v_add_f64 v[205:206], v[201:202], v[205:206]
	v_cvt_f32_f64_e32 v9, v[146:147]
	v_add_f64 v[203:204], v[203:204], v[211:212]
	v_add_f64 v[201:202], v[201:202], v[209:210]
	v_min3_f32 v191, v16, v25, v191
	v_cvt_f32_f64_e32 v0, v[0:1]
	v_cvt_f32_f64_e32 v1, v[2:3]
	s_delay_alu instid0(VALU_DEP_1) | instskip(SKIP_2) | instid1(VALU_DEP_1)
	v_min3_f32 v168, v0, v1, v168
	v_cvt_f32_f64_e32 v0, v[4:5]
	v_cvt_f32_f64_e32 v1, v[6:7]
	v_min3_f32 v171, v0, v1, v171
	v_cvt_f32_f64_e32 v0, v[197:198]
	v_cvt_f32_f64_e32 v1, v[199:200]
	s_delay_alu instid0(VALU_DEP_1) | instskip(SKIP_2) | instid1(VALU_DEP_1)
	v_min3_f32 v170, v0, v1, v170
	v_cvt_f32_f64_e32 v0, v[201:202]
	v_cvt_f32_f64_e32 v1, v[203:204]
	v_min3_f32 v173, v0, v1, v173
	s_waitcnt vmcnt(0)
	v_cvt_f32_f64_e32 v16, v[52:53]
	scratch_load_b64 v[52:53], off, off offset:4 ; 8-byte Folded Reload
	s_waitcnt vmcnt(0)
	v_cvt_f32_f64_e32 v25, v[52:53]
	scratch_load_b64 v[52:53], off, off offset:44 ; 8-byte Folded Reload
	v_min3_f32 v190, v16, v25, v190
	s_waitcnt vmcnt(0)
	v_cvt_f32_f64_e32 v16, v[52:53]
	scratch_load_b64 v[52:53], off, off offset:20 ; 8-byte Folded Reload
	s_waitcnt vmcnt(0)
	v_cvt_f32_f64_e32 v25, v[52:53]
	scratch_load_b64 v[52:53], off, off offset:36 ; 8-byte Folded Reload
	;; [unrolled: 7-line block ×15, first 2 shown]
	v_min3_f32 v226, v16, v25, v226
	v_cvt_f32_f64_e32 v16, v[94:95]
	v_dual_mov_b32 v95, v192 :: v_dual_mov_b32 v192, v247
	v_mov_b32_e32 v247, v249
	v_dual_mov_b32 v249, v248 :: v_dual_mov_b32 v248, v17
	v_cvt_f32_f64_e32 v17, v[28:29]
	s_waitcnt vmcnt(0)
	v_cvt_f32_f64_e32 v25, v[52:53]
	scratch_load_b64 v[52:53], off, off offset:260 ; 8-byte Folded Reload
	v_min3_f32 v255, v16, v25, v255
	v_cvt_f32_f64_e32 v16, v[102:103]
	s_waitcnt vmcnt(0)
	v_cvt_f32_f64_e32 v25, v[52:53]
	scratch_load_b64 v[52:53], off, off offset:284 ; 8-byte Folded Reload
	v_min3_f32 v169, v16, v25, v169
	s_waitcnt vmcnt(0)
	v_cvt_f32_f64_e32 v16, v[52:53]
	scratch_load_b64 v[52:53], off, off offset:252 ; 8-byte Folded Reload
	s_waitcnt vmcnt(0)
	v_cvt_f32_f64_e32 v25, v[52:53]
	scratch_load_b64 v[52:53], off, off offset:268 ; 8-byte Folded Reload
	v_min3_f32 v128, v16, v25, v128
	s_waitcnt vmcnt(0)
	v_cvt_f32_f64_e32 v16, v[52:53]
	scratch_load_b64 v[52:53], off, off offset:244 ; 8-byte Folded Reload
	s_waitcnt vmcnt(0)
	v_cvt_f32_f64_e32 v25, v[52:53]
	s_delay_alu instid0(VALU_DEP_1) | instskip(SKIP_2) | instid1(VALU_DEP_1)
	v_min3_f32 v247, v16, v25, v247
	v_cvt_f32_f64_e32 v16, v[112:113]
	v_cvt_f32_f64_e32 v25, v[110:111]
	v_min3_f32 v192, v16, v25, v192
	v_cvt_f32_f64_e32 v16, v[86:87]
	v_cvt_f32_f64_e32 v25, v[92:93]
	s_delay_alu instid0(VALU_DEP_1) | instskip(SKIP_2) | instid1(VALU_DEP_1)
	v_min3_f32 v95, v16, v25, v95
	v_cvt_f32_f64_e32 v16, v[120:121]
	v_cvt_f32_f64_e32 v25, v[118:119]
	v_min3_f32 v39, v16, v25, v39
	v_cvt_f32_f64_e32 v16, v[124:125]
	;; [unrolled: 7-line block ×10, first 2 shown]
	s_delay_alu instid0(VALU_DEP_1) | instskip(SKIP_2) | instid1(VALU_DEP_1)
	v_min3_f32 v250, v16, v17, v250
	v_cvt_f32_f64_e32 v16, v[23:24]
	v_cvt_f32_f64_e32 v17, v[21:22]
	v_min3_f32 v251, v16, v17, v251
	v_cvt_f32_f64_e32 v16, v[12:13]
	v_cvt_f32_f64_e32 v17, v[179:180]
	;; [unrolled: 1-line block ×4, first 2 shown]
	s_delay_alu instid0(VALU_DEP_3) | instskip(SKIP_2) | instid1(VALU_DEP_1)
	v_min3_f32 v241, v16, v17, v241
	v_cvt_f32_f64_e32 v16, v[126:127]
	v_cvt_f32_f64_e32 v17, v[176:177]
	v_min3_f32 v245, v16, v17, v245
	v_cvt_f32_f64_e32 v16, v[56:57]
	s_delay_alu instid0(VALU_DEP_1) | instskip(SKIP_2) | instid1(VALU_DEP_1)
	v_min3_f32 v233, v16, v12, v233
	scratch_load_b32 v16, off, off          ; 4-byte Folded Reload
	v_cvt_f32_f64_e32 v12, v[64:65]
	v_min3_f32 v235, v12, v13, v235
	v_cvt_f32_f64_e32 v12, v[76:77]
	v_cvt_f32_f64_e32 v13, v[74:75]
	s_delay_alu instid0(VALU_DEP_1) | instskip(SKIP_2) | instid1(VALU_DEP_1)
	v_min3_f32 v249, v12, v13, v249
	v_cvt_f32_f64_e32 v12, v[130:131]
	v_cvt_f32_f64_e32 v13, v[82:83]
	v_min3_f32 v246, v12, v13, v246
	v_cvt_f32_f64_e32 v12, v[88:89]
	v_cvt_f32_f64_e32 v13, v[132:133]
	s_delay_alu instid0(VALU_DEP_1) | instskip(SKIP_2) | instid1(VALU_DEP_1)
	v_min3_f32 v178, v12, v13, v178
	v_cvt_f32_f64_e32 v12, v[96:97]
	;; [unrolled: 7-line block ×3, first 2 shown]
	v_cvt_f32_f64_e32 v13, v[100:101]
	v_min3_f32 v227, v12, v13, v227
	v_cvt_f32_f64_e32 v12, v[116:117]
	v_cvt_f32_f64_e32 v13, v[138:139]
	s_waitcnt vmcnt(0)
	s_delay_alu instid0(VALU_DEP_1)
	v_min3_f32 v16, v12, v13, v16
	v_cvt_f32_f64_e32 v12, v[142:143]
	v_cvt_f32_f64_e32 v13, v[140:141]
	scratch_store_b32 off, v16, off         ; 4-byte Folded Spill
	v_min3_f32 v225, v12, v13, v225
	v_cvt_f32_f64_e32 v12, v[144:145]
	s_delay_alu instid0(VALU_DEP_1) | instskip(SKIP_1) | instid1(VALU_DEP_1)
	v_min3_f32 v175, v12, v8, v175
	v_cvt_f32_f64_e32 v8, v[217:218]
	v_min3_f32 v223, v8, v9, v223
	v_cvt_f32_f64_e32 v8, v[187:188]
	v_cvt_f32_f64_e32 v9, v[213:214]
	s_delay_alu instid0(VALU_DEP_1) | instskip(SKIP_2) | instid1(VALU_DEP_1)
	v_min3_f32 v174, v8, v9, v174
	v_cvt_f32_f64_e32 v8, v[10:11]
	v_cvt_f32_f64_e32 v9, v[219:220]
	v_min3_f32 v221, v8, v9, v221
	v_cvt_f32_f64_e32 v8, v[193:194]
	v_cvt_f32_f64_e32 v9, v[215:216]
	s_delay_alu instid0(VALU_DEP_1) | instskip(SKIP_2) | instid1(VALU_DEP_1)
	v_min3_f32 v196, v8, v9, v196
	v_cvt_f32_f64_e32 v8, v[148:149]
	v_cvt_f32_f64_e32 v9, v[14:15]
	v_min3_f32 v195, v8, v9, v195
	v_cvt_f32_f64_e32 v8, v[205:206]
	v_cvt_f32_f64_e32 v9, v[207:208]
	s_delay_alu instid0(VALU_DEP_1)
	v_min3_f32 v172, v8, v9, v172
	s_cbranch_vccz .LBB112_13
; %bb.14:                               ;   in Loop: Header=BB112_12 Depth=1
	s_clause 0x2
	scratch_load_b32 v0, off, off offset:408
	scratch_load_b64 v[1:2], off, off offset:328
	scratch_load_b64 v[3:4], off, off offset:336
	v_mov_b32_e32 v94, v39
	s_mov_b32 s19, 0
	s_mov_b32 s18, -1
	s_waitcnt vmcnt(0)
	ds_store_2addr_stride64_b64 v0, v[1:2], v[3:4] offset1:4
	s_clause 0x2
	scratch_load_b32 v0, off, off offset:404
	scratch_load_b64 v[1:2], off, off offset:344
	scratch_load_b64 v[3:4], off, off offset:352
	s_waitcnt vmcnt(0)
	ds_store_2addr_stride64_b64 v0, v[1:2], v[3:4] offset1:4
	s_waitcnt lgkmcnt(0)
	s_waitcnt_vscnt null, 0x0
	s_barrier
	buffer_gl0_inv
	scratch_load_b64 v[0:1], off, off offset:292 ; 8-byte Folded Reload
	s_waitcnt vmcnt(0)
	flat_load_b64 v[0:1], v[0:1] offset:32
	s_waitcnt vmcnt(0) lgkmcnt(0)
	scratch_store_b64 off, v[0:1], off offset:328 ; 8-byte Folded Spill
	scratch_load_b64 v[0:1], off, off offset:304 ; 8-byte Folded Reload
	s_waitcnt vmcnt(0)
	flat_load_b64 v[0:1], v[0:1] offset:32
	s_waitcnt vmcnt(0) lgkmcnt(0)
	scratch_store_b64 off, v[0:1], off offset:304 ; 8-byte Folded Spill
	;; [unrolled: 5-line block ×4, first 2 shown]
.LBB112_15:                             ;   Parent Loop BB112_12 Depth=1
                                        ; =>  This Inner Loop Header: Depth=2
	s_lshl_b32 s19, s19, 3
	s_and_not1_b32 vcc_lo, exec_lo, s18
	v_lshl_add_u32 v16, v248, 5, s19
	v_lshl_add_u32 v8, v129, 5, s19
	s_mov_b32 s19, 2
	s_mov_b32 s18, 0
	ds_load_b128 v[38:41], v16 offset:8192
	ds_load_b128 v[0:3], v8
	ds_load_b128 v[4:7], v8 offset:1024
	ds_load_b128 v[52:55], v16 offset:8448
	v_dual_mov_b32 v17, v72 :: v_dual_mov_b32 v20, v195
	s_waitcnt lgkmcnt(2)
	v_add_f64 v[88:89], v[2:3], v[40:41]
	s_waitcnt lgkmcnt(1)
	v_add_f64 v[9:10], v[6:7], v[40:41]
	v_add_f64 v[98:99], v[0:1], v[38:39]
	scratch_store_b64 off, v[9:10], off offset:4 ; 8-byte Folded Spill
	v_add_f64 v[9:10], v[4:5], v[38:39]
	v_cvt_f32_f64_e32 v14, v[98:99]
	scratch_store_b64 off, v[9:10], off offset:28 ; 8-byte Folded Spill
	ds_load_b128 v[118:121], v8 offset:2048
	ds_load_b128 v[122:125], v8 offset:3072
	s_waitcnt lgkmcnt(1)
	v_add_f64 v[8:9], v[120:121], v[40:41]
	scratch_store_b64 off, v[8:9], off offset:20 ; 8-byte Folded Spill
	v_add_f64 v[8:9], v[118:119], v[38:39]
	scratch_store_b64 off, v[8:9], off offset:44 ; 8-byte Folded Spill
	s_waitcnt lgkmcnt(0)
	v_add_f64 v[8:9], v[124:125], v[40:41]
	v_cvt_f32_f64_e32 v41, v[88:89]
	scratch_store_b64 off, v[8:9], off offset:12 ; 8-byte Folded Spill
	v_add_f64 v[8:9], v[122:123], v[38:39]
	v_min3_f32 v191, v14, v41, v191
	scratch_store_b64 off, v[8:9], off offset:36 ; 8-byte Folded Spill
	v_add_f64 v[8:9], v[2:3], v[54:55]
	scratch_store_b64 off, v[8:9], off offset:52 ; 8-byte Folded Spill
	v_add_f64 v[8:9], v[0:1], v[52:53]
	;; [unrolled: 2-line block ×8, first 2 shown]
	scratch_store_b64 off, v[8:9], off offset:108 ; 8-byte Folded Spill
	v_dual_mov_b32 v8, v73 :: v_dual_mov_b32 v9, v70
	v_mov_b32_e32 v25, v71
	ds_load_b128 v[70:73], v16 offset:8704
	ds_load_b128 v[84:87], v16 offset:8960
	s_waitcnt lgkmcnt(1)
	v_add_f64 v[10:11], v[2:3], v[72:73]
	scratch_store_b64 off, v[10:11], off offset:148 ; 8-byte Folded Spill
	v_add_f64 v[10:11], v[0:1], v[70:71]
	scratch_store_b64 off, v[10:11], off offset:172 ; 8-byte Folded Spill
	;; [unrolled: 2-line block ×6, first 2 shown]
	v_add_f64 v[10:11], v[124:125], v[72:73]
	v_mov_b32_e32 v73, v8
	scratch_store_b64 off, v[10:11], off offset:116 ; 8-byte Folded Spill
	v_add_f64 v[10:11], v[122:123], v[70:71]
	v_mov_b32_e32 v70, v9
	s_waitcnt lgkmcnt(0)
	v_add_f64 v[8:9], v[2:3], v[86:87]
	v_mov_b32_e32 v36, v196
	s_clause 0x1
	scratch_store_b64 off, v[10:11], off offset:140
	scratch_store_b64 off, v[8:9], off offset:180
	v_add_f64 v[8:9], v[0:1], v[84:85]
	scratch_store_b64 off, v[8:9], off offset:188 ; 8-byte Folded Spill
	v_add_f64 v[8:9], v[6:7], v[86:87]
	scratch_store_b64 off, v[8:9], off offset:196 ; 8-byte Folded Spill
	v_add_f64 v[8:9], v[4:5], v[84:85]
	scratch_store_b64 off, v[8:9], off offset:204 ; 8-byte Folded Spill
	v_add_f64 v[8:9], v[120:121], v[86:87]
	scratch_store_b64 off, v[8:9], off offset:212 ; 8-byte Folded Spill
	v_add_f64 v[8:9], v[118:119], v[84:85]
	scratch_store_b64 off, v[8:9], off offset:220 ; 8-byte Folded Spill
	v_add_f64 v[8:9], v[124:125], v[86:87]
	scratch_store_b64 off, v[8:9], off offset:228 ; 8-byte Folded Spill
	v_add_f64 v[8:9], v[122:123], v[84:85]
	scratch_store_b64 off, v[8:9], off offset:236 ; 8-byte Folded Spill
	ds_load_b128 v[102:105], v16 offset:9216
	ds_load_b128 v[197:200], v16 offset:9472
	s_waitcnt lgkmcnt(1)
	v_add_f64 v[8:9], v[2:3], v[104:105]
	v_add_f64 v[96:97], v[0:1], v[102:103]
	s_waitcnt lgkmcnt(0)
	v_add_f64 v[92:93], v[6:7], v[199:200]
	v_add_f64 v[86:87], v[4:5], v[197:198]
	v_add_f64 v[110:111], v[120:121], v[199:200]
	v_add_f64 v[112:113], v[118:119], v[197:198]
	v_add_f64 v[84:85], v[124:125], v[199:200]
	v_add_f64 v[90:91], v[122:123], v[197:198]
	scratch_store_b64 off, v[8:9], off offset:276 ; 8-byte Folded Spill
	v_add_f64 v[8:9], v[6:7], v[104:105]
	scratch_store_b64 off, v[8:9], off offset:260 ; 8-byte Folded Spill
	v_add_f64 v[8:9], v[4:5], v[102:103]
	scratch_store_b64 off, v[8:9], off offset:292 ; 8-byte Folded Spill
	v_add_f64 v[8:9], v[120:121], v[104:105]
	scratch_store_b64 off, v[8:9], off offset:252 ; 8-byte Folded Spill
	v_add_f64 v[8:9], v[118:119], v[102:103]
	scratch_store_b64 off, v[8:9], off offset:284 ; 8-byte Folded Spill
	v_add_f64 v[8:9], v[124:125], v[104:105]
	v_add_f64 v[104:105], v[0:1], v[197:198]
	scratch_store_b64 off, v[8:9], off offset:244 ; 8-byte Folded Spill
	v_add_f64 v[8:9], v[122:123], v[102:103]
	v_add_f64 v[102:103], v[2:3], v[199:200]
	scratch_store_b64 off, v[8:9], off offset:268 ; 8-byte Folded Spill
	ds_load_b128 v[197:200], v16 offset:9728
	ds_load_b128 v[201:204], v16 offset:9984
	s_waitcnt lgkmcnt(1)
	v_add_f64 v[100:101], v[2:3], v[199:200]
	v_add_f64 v[116:117], v[0:1], v[197:198]
	v_add_f64 v[82:83], v[6:7], v[199:200]
	v_add_f64 v[71:72], v[4:5], v[197:198]
	v_add_f64 v[130:131], v[120:121], v[199:200]
	v_add_f64 v[132:133], v[118:119], v[197:198]
	v_add_f64 v[134:135], v[124:125], v[199:200]
	v_add_f64 v[136:137], v[122:123], v[197:198]
	s_waitcnt lgkmcnt(0)
	v_add_f64 v[138:139], v[2:3], v[203:204]
	v_add_f64 v[140:141], v[0:1], v[201:202]
	v_add_f64 v[142:143], v[6:7], v[203:204]
	v_add_f64 v[144:145], v[4:5], v[201:202]
	v_add_f64 v[146:147], v[120:121], v[203:204]
	v_add_f64 v[148:149], v[118:119], v[201:202]
	v_add_f64 v[187:188], v[124:125], v[203:204]
	v_add_f64 v[193:194], v[122:123], v[201:202]
	ds_load_b128 v[197:200], v16 offset:10240
	ds_load_b128 v[201:204], v16 offset:10496
	s_waitcnt lgkmcnt(1)
	v_add_f64 v[39:40], v[2:3], v[199:200]
	v_add_f64 v[205:206], v[0:1], v[197:198]
	v_add_f64 v[207:208], v[6:7], v[199:200]
	v_add_f64 v[209:210], v[4:5], v[197:198]
	v_add_f64 v[211:212], v[120:121], v[199:200]
	v_add_f64 v[213:214], v[118:119], v[197:198]
	v_add_f64 v[215:216], v[124:125], v[199:200]
	v_add_f64 v[217:218], v[122:123], v[197:198]
	s_waitcnt lgkmcnt(0)
	v_add_f64 v[219:220], v[2:3], v[203:204]
	v_add_f64 v[37:38], v[0:1], v[201:202]
	v_add_f64 v[80:81], v[6:7], v[203:204]
	v_add_f64 v[76:77], v[4:5], v[201:202]
	v_add_f64 v[78:79], v[120:121], v[203:204]
	v_add_f64 v[74:75], v[118:119], v[201:202]
	v_add_f64 v[62:63], v[124:125], v[203:204]
	v_add_f64 v[64:65], v[122:123], v[201:202]
	;; [unrolled: 20-line block ×3, first 2 shown]
	ds_load_b128 v[197:200], v16 offset:11264
	ds_load_b128 v[201:204], v16 offset:11520
	v_cvt_f32_f64_e32 v39, v[39:40]
	v_cvt_f32_f64_e32 v33, v[80:81]
	;; [unrolled: 1-line block ×3, first 2 shown]
	s_waitcnt lgkmcnt(1)
	v_add_f64 v[150:151], v[2:3], v[199:200]
	v_add_f64 v[152:153], v[0:1], v[197:198]
	;; [unrolled: 1-line block ×8, first 2 shown]
	s_waitcnt lgkmcnt(0)
	v_add_f64 v[18:19], v[2:3], v[203:204]
	v_add_f64 v[176:177], v[0:1], v[201:202]
	;; [unrolled: 1-line block ×8, first 2 shown]
	ds_load_b128 v[197:200], v16 offset:11776
	ds_load_b128 v[201:204], v16 offset:12032
	scratch_load_b64 v[88:89], off, off offset:28 ; 8-byte Folded Reload
	v_cvt_f32_f64_e32 v8, v[8:9]
	v_cvt_f32_f64_e32 v9, v[30:31]
	s_waitcnt lgkmcnt(1)
	v_add_f64 v[166:167], v[2:3], v[199:200]
	v_add_f64 v[181:182], v[0:1], v[197:198]
	s_waitcnt lgkmcnt(0)
	v_add_f64 v[2:3], v[2:3], v[203:204]
	v_add_f64 v[0:1], v[0:1], v[201:202]
	;; [unrolled: 1-line block ×14, first 2 shown]
	v_min3_f32 v246, v8, v9, v246
	v_cvt_f32_f64_e32 v8, v[21:22]
	v_cvt_f32_f64_e32 v9, v[23:24]
	;; [unrolled: 1-line block ×4, first 2 shown]
	s_delay_alu instid0(VALU_DEP_3) | instskip(SKIP_2) | instid1(VALU_DEP_4)
	v_min3_f32 v178, v8, v9, v178
	v_cvt_f32_f64_e32 v8, v[152:153]
	v_cvt_f32_f64_e32 v9, v[150:151]
	v_min3_f32 v168, v0, v1, v168
	v_cvt_f32_f64_e32 v0, v[4:5]
	v_cvt_f32_f64_e32 v1, v[6:7]
	s_delay_alu instid0(VALU_DEP_4) | instskip(SKIP_2) | instid1(VALU_DEP_4)
	v_min3_f32 v229, v8, v9, v229
	v_cvt_f32_f64_e32 v8, v[156:157]
	v_cvt_f32_f64_e32 v9, v[154:155]
	v_min3_f32 v171, v0, v1, v171
	v_cvt_f32_f64_e32 v0, v[118:119]
	v_cvt_f32_f64_e32 v1, v[120:121]
	s_delay_alu instid0(VALU_DEP_4) | instskip(SKIP_2) | instid1(VALU_DEP_4)
	v_min3_f32 v231, v8, v9, v231
	v_cvt_f32_f64_e32 v8, v[160:161]
	v_cvt_f32_f64_e32 v9, v[158:159]
	v_min3_f32 v170, v0, v1, v170
	v_cvt_f32_f64_e32 v0, v[122:123]
	v_cvt_f32_f64_e32 v1, v[124:125]
	s_delay_alu instid0(VALU_DEP_4)
	v_min3_f32 v227, v8, v9, v227
	v_cvt_f32_f64_e32 v8, v[195:196]
	v_cvt_f32_f64_e32 v9, v[162:163]
	v_mov_b32_e32 v195, v20
	v_min3_f32 v173, v0, v1, v173
	s_waitcnt vmcnt(0)
	v_cvt_f32_f64_e32 v14, v[88:89]
	scratch_load_b64 v[88:89], off, off offset:4 ; 8-byte Folded Reload
	s_waitcnt vmcnt(0)
	v_cvt_f32_f64_e32 v41, v[88:89]
	scratch_load_b64 v[88:89], off, off offset:44 ; 8-byte Folded Reload
	v_min3_f32 v190, v14, v41, v190
	s_waitcnt vmcnt(0)
	v_cvt_f32_f64_e32 v14, v[88:89]
	scratch_load_b64 v[88:89], off, off offset:20 ; 8-byte Folded Reload
	s_waitcnt vmcnt(0)
	v_cvt_f32_f64_e32 v41, v[88:89]
	scratch_load_b64 v[88:89], off, off offset:36 ; 8-byte Folded Reload
	;; [unrolled: 7-line block ×15, first 2 shown]
	v_min3_f32 v226, v14, v41, v226
	v_cvt_f32_f64_e32 v14, v[96:97]
	s_waitcnt vmcnt(0)
	v_cvt_f32_f64_e32 v41, v[88:89]
	scratch_load_b64 v[88:89], off, off offset:292 ; 8-byte Folded Reload
	v_min3_f32 v255, v14, v41, v255
	s_waitcnt vmcnt(0)
	v_cvt_f32_f64_e32 v14, v[88:89]
	scratch_load_b64 v[88:89], off, off offset:260 ; 8-byte Folded Reload
	s_waitcnt vmcnt(0)
	v_cvt_f32_f64_e32 v41, v[88:89]
	scratch_load_b64 v[88:89], off, off offset:284 ; 8-byte Folded Reload
	v_min3_f32 v169, v14, v41, v169
	s_waitcnt vmcnt(0)
	v_cvt_f32_f64_e32 v14, v[88:89]
	scratch_load_b64 v[88:89], off, off offset:252 ; 8-byte Folded Reload
	;; [unrolled: 7-line block ×3, first 2 shown]
	s_waitcnt vmcnt(0)
	v_cvt_f32_f64_e32 v41, v[88:89]
	s_delay_alu instid0(VALU_DEP_1) | instskip(SKIP_2) | instid1(VALU_DEP_1)
	v_min3_f32 v247, v14, v41, v247
	v_cvt_f32_f64_e32 v14, v[104:105]
	v_cvt_f32_f64_e32 v41, v[102:103]
	v_min3_f32 v192, v14, v41, v192
	v_cvt_f32_f64_e32 v14, v[86:87]
	v_cvt_f32_f64_e32 v41, v[92:93]
	s_delay_alu instid0(VALU_DEP_1) | instskip(SKIP_2) | instid1(VALU_DEP_1)
	v_min3_f32 v95, v14, v41, v95
	v_cvt_f32_f64_e32 v14, v[112:113]
	v_cvt_f32_f64_e32 v41, v[110:111]
	v_min3_f32 v94, v14, v41, v94
	v_cvt_f32_f64_e32 v14, v[90:91]
	;; [unrolled: 7-line block ×3, first 2 shown]
	v_cvt_f32_f64_e32 v41, v[82:83]
	v_mov_b32_e32 v71, v25
	v_mov_b32_e32 v72, v17
	v_cvt_f32_f64_e32 v25, v[62:63]
	v_cvt_f32_f64_e32 v17, v[253:254]
	v_mov_b32_e32 v196, v36
	v_min3_f32 v66, v14, v41, v66
	v_cvt_f32_f64_e32 v14, v[132:133]
	v_cvt_f32_f64_e32 v41, v[130:131]
	s_delay_alu instid0(VALU_DEP_1) | instskip(SKIP_2) | instid1(VALU_DEP_1)
	v_min3_f32 v70, v14, v41, v70
	v_cvt_f32_f64_e32 v14, v[136:137]
	v_cvt_f32_f64_e32 v41, v[134:135]
	v_min3_f32 v69, v14, v41, v69
	v_cvt_f32_f64_e32 v14, v[140:141]
	v_cvt_f32_f64_e32 v41, v[138:139]
	s_delay_alu instid0(VALU_DEP_1) | instskip(SKIP_2) | instid1(VALU_DEP_1)
	v_min3_f32 v71, v14, v41, v71
	v_cvt_f32_f64_e32 v14, v[144:145]
	v_cvt_f32_f64_e32 v41, v[142:143]
	;; [unrolled: 7-line block ×3, first 2 shown]
	v_min3_f32 v238, v14, v41, v238
	v_cvt_f32_f64_e32 v14, v[205:206]
	s_delay_alu instid0(VALU_DEP_1) | instskip(SKIP_2) | instid1(VALU_DEP_1)
	v_min3_f32 v115, v14, v39, v115
	v_cvt_f32_f64_e32 v14, v[209:210]
	v_cvt_f32_f64_e32 v39, v[207:208]
	v_min3_f32 v114, v14, v39, v114
	v_cvt_f32_f64_e32 v14, v[213:214]
	v_cvt_f32_f64_e32 v39, v[211:212]
	s_delay_alu instid0(VALU_DEP_1) | instskip(SKIP_2) | instid1(VALU_DEP_1)
	v_min3_f32 v109, v14, v39, v109
	v_cvt_f32_f64_e32 v14, v[217:218]
	v_cvt_f32_f64_e32 v39, v[215:216]
	v_min3_f32 v108, v14, v39, v108
	v_cvt_f32_f64_e32 v14, v[37:38]
	v_cvt_f32_f64_e32 v37, v[219:220]
	s_delay_alu instid0(VALU_DEP_1) | instskip(SKIP_1) | instid1(VALU_DEP_1)
	v_min3_f32 v107, v14, v37, v107
	v_cvt_f32_f64_e32 v14, v[76:77]
	v_min3_f32 v106, v14, v33, v106
	v_cvt_f32_f64_e32 v14, v[74:75]
	s_delay_alu instid0(VALU_DEP_1) | instskip(SKIP_1) | instid1(VALU_DEP_1)
	v_min3_f32 v68, v14, v29, v68
	v_cvt_f32_f64_e32 v14, v[64:65]
	v_min3_f32 v250, v14, v25, v250
	v_cvt_f32_f64_e32 v14, v[239:240]
	v_cvt_f32_f64_e32 v25, v[46:47]
	s_delay_alu instid0(VALU_DEP_1) | instskip(SKIP_2) | instid1(VALU_DEP_1)
	v_min3_f32 v251, v14, v25, v251
	v_cvt_f32_f64_e32 v14, v[243:244]
	v_cvt_f32_f64_e32 v25, v[54:55]
	v_min3_f32 v241, v14, v25, v241
	v_cvt_f32_f64_e32 v14, v[48:49]
	v_cvt_f32_f64_e32 v25, v[58:59]
	s_delay_alu instid0(VALU_DEP_1) | instskip(SKIP_2) | instid1(VALU_DEP_1)
	v_min3_f32 v245, v14, v25, v245
	v_cvt_f32_f64_e32 v14, v[52:53]
	v_cvt_f32_f64_e32 v25, v[60:61]
	v_min3_f32 v233, v14, v25, v233
	v_cvt_f32_f64_e32 v14, v[34:35]
	s_delay_alu instid0(VALU_DEP_1) | instskip(SKIP_2) | instid1(VALU_DEP_1)
	v_min3_f32 v235, v14, v17, v235
	v_cvt_f32_f64_e32 v14, v[26:27]
	v_cvt_f32_f64_e32 v17, v[56:57]
	v_min3_f32 v249, v14, v17, v249
	scratch_load_b32 v14, off, off          ; 4-byte Folded Reload
	s_waitcnt vmcnt(0)
	v_min3_f32 v14, v8, v9, v14
	v_cvt_f32_f64_e32 v8, v[176:177]
	v_cvt_f32_f64_e32 v9, v[18:19]
	scratch_store_b32 off, v14, off         ; 4-byte Folded Spill
	v_min3_f32 v225, v8, v9, v225
	v_cvt_f32_f64_e32 v8, v[126:127]
	v_cvt_f32_f64_e32 v9, v[42:43]
	s_delay_alu instid0(VALU_DEP_1) | instskip(SKIP_2) | instid1(VALU_DEP_1)
	v_min3_f32 v175, v8, v9, v175
	v_cvt_f32_f64_e32 v8, v[179:180]
	v_cvt_f32_f64_e32 v9, v[164:165]
	v_min3_f32 v223, v8, v9, v223
	v_cvt_f32_f64_e32 v8, v[183:184]
	v_cvt_f32_f64_e32 v9, v[44:45]
	s_delay_alu instid0(VALU_DEP_1) | instskip(SKIP_2) | instid1(VALU_DEP_1)
	v_min3_f32 v174, v8, v9, v174
	v_cvt_f32_f64_e32 v8, v[181:182]
	v_cvt_f32_f64_e32 v9, v[166:167]
	;; [unrolled: 7-line block ×3, first 2 shown]
	v_min3_f32 v195, v8, v9, v195
	v_cvt_f32_f64_e32 v8, v[197:198]
	v_cvt_f32_f64_e32 v9, v[199:200]
	s_delay_alu instid0(VALU_DEP_1)
	v_min3_f32 v172, v8, v9, v172
	s_cbranch_vccz .LBB112_15
; %bb.16:                               ;   in Loop: Header=BB112_12 Depth=1
	s_clause 0x2
	scratch_load_b32 v0, off, off offset:412
	scratch_load_b64 v[1:2], off, off offset:328
	scratch_load_b64 v[3:4], off, off offset:304
	s_add_i32 s15, s15, 8
	s_add_i32 s14, s14, 8
	s_cmp_ge_i32 s15, s11
	s_waitcnt vmcnt(0)
	ds_store_2addr_stride64_b64 v0, v[1:2], v[3:4] offset1:4
	s_clause 0x2
	scratch_load_b32 v0, off, off offset:416
	scratch_load_b64 v[1:2], off, off offset:312
	scratch_load_b64 v[3:4], off, off offset:320
	s_waitcnt vmcnt(0)
	ds_store_2addr_stride64_b64 v0, v[1:2], v[3:4] offset1:4
	s_waitcnt lgkmcnt(0)
	s_waitcnt_vscnt null, 0x0
	s_barrier
	buffer_gl0_inv
	s_cbranch_scc1 .LBB112_18
; %bb.17:                               ;   in Loop: Header=BB112_12 Depth=1
	scratch_load_b64 v[0:1], off, off offset:360 ; 8-byte Folded Reload
	v_mov_b32_e32 v39, v94
	s_branch .LBB112_12
.LBB112_18:
	v_dual_mov_b32 v179, v106 :: v_dual_mov_b32 v180, v108
	v_mov_b32_e32 v39, v94
.LBB112_19:
	v_dual_mov_b32 v80, v95 :: v_dual_mov_b32 v43, v109
	v_dual_mov_b32 v41, v233 :: v_dual_mov_b32 v46, v250
	;; [unrolled: 1-line block ×7, first 2 shown]
	v_mov_b32_e32 v75, v67
	v_mov_b32_e32 v79, v39
	s_mov_b32 s12, 0
	s_mov_b32 s11, -1
.LBB112_20:                             ; =>This Inner Loop Header: Depth=1
	s_lshl_b32 s12, s12, 3
	v_dual_mov_b32 v40, v115 :: v_dual_mov_b32 v125, v246
	v_lshl_add_u32 v98, v248, 5, s12
	s_waitcnt vmcnt(0)
	v_lshl_add_u32 v8, v129, 5, s12
	v_dual_mov_b32 v81, v179 :: v_dual_mov_b32 v100, v70
	ds_load_b128 v[20:23], v98 offset:12288
	ds_load_b128 v[0:3], v8 offset:4096
	ds_load_b128 v[4:7], v8 offset:5120
	ds_load_b128 v[34:37], v98 offset:12544
	v_mov_b32_e32 v179, v71
	v_mov_b32_e32 v47, v168
	s_mov_b32 s12, 2
	s_and_not1_b32 vcc_lo, exec_lo, s11
	s_mov_b32 s11, 0
	s_waitcnt lgkmcnt(2)
	v_add_f64 v[44:45], v[2:3], v[22:23]
	s_waitcnt lgkmcnt(1)
	v_add_f64 v[9:10], v[6:7], v[22:23]
	v_add_f64 v[121:122], v[0:1], v[20:21]
	scratch_store_b64 off, v[9:10], off offset:4 ; 8-byte Folded Spill
	v_add_f64 v[9:10], v[4:5], v[20:21]
	scratch_store_b64 off, v[9:10], off offset:28 ; 8-byte Folded Spill
	ds_load_b128 v[101:104], v8 offset:6144
	ds_load_b128 v[105:108], v8 offset:7168
	s_waitcnt lgkmcnt(1)
	v_add_f64 v[8:9], v[103:104], v[22:23]
	scratch_store_b64 off, v[8:9], off offset:20 ; 8-byte Folded Spill
	v_add_f64 v[8:9], v[101:102], v[20:21]
	scratch_store_b64 off, v[8:9], off offset:44 ; 8-byte Folded Spill
	s_waitcnt lgkmcnt(0)
	v_add_f64 v[8:9], v[107:108], v[22:23]
	scratch_store_b64 off, v[8:9], off offset:12 ; 8-byte Folded Spill
	v_add_f64 v[8:9], v[105:106], v[20:21]
	scratch_store_b64 off, v[8:9], off offset:36 ; 8-byte Folded Spill
	;; [unrolled: 2-line block ×10, first 2 shown]
	ds_load_b128 v[52:55], v98 offset:12800
	ds_load_b128 v[66:69], v98 offset:13056
	s_waitcnt lgkmcnt(1)
	v_add_f64 v[8:9], v[2:3], v[54:55]
	s_waitcnt lgkmcnt(0)
	v_add_f64 v[34:35], v[4:5], v[66:67]
	v_add_f64 v[38:39], v[0:1], v[52:53]
	;; [unrolled: 1-line block ×3, first 2 shown]
	scratch_store_b64 off, v[8:9], off offset:148 ; 8-byte Folded Spill
	v_add_f64 v[8:9], v[6:7], v[54:55]
	scratch_store_b64 off, v[8:9], off offset:132 ; 8-byte Folded Spill
	v_add_f64 v[8:9], v[103:104], v[54:55]
	;; [unrolled: 2-line block ×12, first 2 shown]
	scratch_store_b64 off, v[8:9], off offset:212 ; 8-byte Folded Spill
	ds_load_b128 v[84:87], v98 offset:13312
	ds_load_b128 v[109:112], v98 offset:13568
	;; [unrolled: 1-line block ×3, first 2 shown]
	s_waitcnt lgkmcnt(2)
	v_add_f64 v[8:9], v[2:3], v[86:87]
	s_waitcnt lgkmcnt(1)
	v_add_f64 v[82:83], v[6:7], v[111:112]
	v_add_f64 v[88:89], v[4:5], v[109:110]
	;; [unrolled: 1-line block ×6, first 2 shown]
	s_waitcnt lgkmcnt(0)
	v_add_f64 v[139:140], v[2:3], v[115:116]
	v_add_f64 v[141:142], v[0:1], v[113:114]
	;; [unrolled: 1-line block ×8, first 2 shown]
	scratch_store_b64 off, v[8:9], off offset:252 ; 8-byte Folded Spill
	v_add_f64 v[8:9], v[0:1], v[84:85]
	scratch_store_b64 off, v[8:9], off offset:276 ; 8-byte Folded Spill
	v_add_f64 v[8:9], v[6:7], v[86:87]
	;; [unrolled: 2-line block ×6, first 2 shown]
	v_add_f64 v[86:87], v[0:1], v[109:110]
	scratch_store_b64 off, v[8:9], off offset:220 ; 8-byte Folded Spill
	v_add_f64 v[8:9], v[105:106], v[84:85]
	v_add_f64 v[84:85], v[2:3], v[111:112]
	ds_load_b128 v[109:112], v98 offset:13824
	s_waitcnt lgkmcnt(0)
	v_add_f64 v[123:124], v[2:3], v[111:112]
	v_add_f64 v[70:71], v[0:1], v[109:110]
	;; [unrolled: 1-line block ×8, first 2 shown]
	scratch_store_b64 off, v[8:9], off offset:244 ; 8-byte Folded Spill
	ds_load_b128 v[109:112], v98 offset:14336
	ds_load_b128 v[113:116], v98 offset:14592
	s_waitcnt lgkmcnt(1)
	v_add_f64 v[155:156], v[2:3], v[111:112]
	v_add_f64 v[157:158], v[0:1], v[109:110]
	v_add_f64 v[159:160], v[6:7], v[111:112]
	v_add_f64 v[161:162], v[4:5], v[109:110]
	v_add_f64 v[163:164], v[103:104], v[111:112]
	v_add_f64 v[165:166], v[101:102], v[109:110]
	v_add_f64 v[167:168], v[107:108], v[111:112]
	v_add_f64 v[181:182], v[105:106], v[109:110]
	s_waitcnt lgkmcnt(0)
	v_add_f64 v[76:77], v[2:3], v[115:116]
	v_add_f64 v[187:188], v[0:1], v[113:114]
	v_add_f64 v[193:194], v[6:7], v[115:116]
	v_add_f64 v[68:69], v[4:5], v[113:114]
	v_add_f64 v[197:198], v[103:104], v[115:116]
	v_add_f64 v[199:200], v[101:102], v[113:114]
	v_add_f64 v[201:202], v[107:108], v[115:116]
	v_add_f64 v[203:204], v[105:106], v[113:114]
	ds_load_b128 v[109:112], v98 offset:14848
	ds_load_b128 v[113:116], v98 offset:15104
	s_waitcnt lgkmcnt(1)
	v_add_f64 v[205:206], v[2:3], v[111:112]
	v_add_f64 v[207:208], v[0:1], v[109:110]
	v_add_f64 v[209:210], v[6:7], v[111:112]
	v_add_f64 v[211:212], v[4:5], v[109:110]
	v_add_f64 v[213:214], v[103:104], v[111:112]
	v_add_f64 v[215:216], v[101:102], v[109:110]
	v_add_f64 v[217:218], v[107:108], v[111:112]
	v_add_f64 v[219:220], v[105:106], v[109:110]
	s_waitcnt lgkmcnt(0)
	v_add_f64 v[66:67], v[2:3], v[115:116]
	v_add_f64 v[64:65], v[0:1], v[113:114]
	v_add_f64 v[62:63], v[6:7], v[115:116]
	v_add_f64 v[176:177], v[4:5], v[113:114]
	v_add_f64 v[126:127], v[103:104], v[115:116]
	v_add_f64 v[60:61], v[101:102], v[113:114]
	v_add_f64 v[119:120], v[107:108], v[115:116]
	v_add_f64 v[183:184], v[105:106], v[113:114]
	;; [unrolled: 20-line block ×3, first 2 shown]
	ds_load_b128 v[109:112], v98 offset:15872
	ds_load_b128 v[113:116], v98 offset:16128
	v_cvt_f32_f64_e32 v98, v[121:122]
	s_waitcnt lgkmcnt(1)
	v_add_f64 v[8:9], v[0:1], v[109:110]
	v_add_f64 v[10:11], v[4:5], v[109:110]
	;; [unrolled: 1-line block ×4, first 2 shown]
	s_waitcnt lgkmcnt(0)
	v_add_f64 v[0:1], v[0:1], v[113:114]
	v_add_f64 v[4:5], v[4:5], v[113:114]
	;; [unrolled: 1-line block ×4, first 2 shown]
	v_cvt_f32_f64_e32 v113, v[44:45]
	scratch_load_b64 v[44:45], off, off offset:28 ; 8-byte Folded Reload
	v_add_f64 v[12:13], v[2:3], v[111:112]
	v_add_f64 v[16:17], v[6:7], v[111:112]
	;; [unrolled: 1-line block ×8, first 2 shown]
	v_mov_b32_e32 v115, v40
	v_cvt_f32_f64_e32 v32, v[32:33]
	v_cvt_f32_f64_e32 v33, v[253:254]
	;; [unrolled: 1-line block ×10, first 2 shown]
	v_min3_f32 v191, v98, v113, v191
	v_cvt_f32_f64_e32 v9, v[12:13]
	v_cvt_f32_f64_e32 v1, v[2:3]
	v_min3_f32 v225, v32, v33, v225
	v_min3_f32 v175, v28, v29, v175
	;; [unrolled: 1-line block ×5, first 2 shown]
	v_cvt_f32_f64_e32 v8, v[10:11]
	v_cvt_f32_f64_e32 v9, v[16:17]
	s_delay_alu instid0(VALU_DEP_1) | instskip(SKIP_2) | instid1(VALU_DEP_1)
	v_min3_f32 v196, v8, v9, v196
	v_cvt_f32_f64_e32 v8, v[14:15]
	v_cvt_f32_f64_e32 v9, v[18:19]
	v_min3_f32 v195, v8, v9, v195
	v_cvt_f32_f64_e32 v8, v[109:110]
	v_cvt_f32_f64_e32 v9, v[111:112]
	s_delay_alu instid0(VALU_DEP_1)
	v_min3_f32 v172, v8, v9, v172
	s_waitcnt vmcnt(0)
	v_cvt_f32_f64_e32 v98, v[44:45]
	scratch_load_b64 v[44:45], off, off offset:4 ; 8-byte Folded Reload
	s_waitcnt vmcnt(0)
	v_cvt_f32_f64_e32 v113, v[44:45]
	scratch_load_b64 v[44:45], off, off offset:44 ; 8-byte Folded Reload
	v_min3_f32 v190, v98, v113, v190
	s_waitcnt vmcnt(0)
	v_cvt_f32_f64_e32 v98, v[44:45]
	scratch_load_b64 v[44:45], off, off offset:20 ; 8-byte Folded Reload
	s_waitcnt vmcnt(0)
	v_cvt_f32_f64_e32 v113, v[44:45]
	scratch_load_b64 v[44:45], off, off offset:36 ; 8-byte Folded Reload
	;; [unrolled: 7-line block ×6, first 2 shown]
	v_min3_f32 v236, v98, v113, v236
	s_waitcnt vmcnt(0)
	v_cvt_f32_f64_e32 v98, v[44:45]
	scratch_load_b64 v[44:45], off, off offset:100 ; 8-byte Folded Reload
	s_waitcnt vmcnt(0)
	v_cvt_f32_f64_e32 v113, v[44:45]
	v_cvt_f32_f64_e32 v44, v[38:39]
	scratch_load_b64 v[38:39], off, off offset:148 ; 8-byte Folded Reload
	v_min3_f32 v234, v98, v113, v234
	s_waitcnt vmcnt(0)
	v_cvt_f32_f64_e32 v42, v[38:39]
	s_delay_alu instid0(VALU_DEP_1)
	v_min3_f32 v242, v44, v42, v242
	v_cvt_f32_f64_e32 v42, v[36:37]
	scratch_load_b64 v[36:37], off, off offset:132 ; 8-byte Folded Reload
	s_waitcnt vmcnt(0)
	v_cvt_f32_f64_e32 v40, v[36:37]
	s_clause 0x1
	scratch_load_b32 v39, off, off
	scratch_load_b64 v[36:37], off, off offset:156
	v_min3_f32 v237, v42, v40, v237
	s_waitcnt vmcnt(0)
	v_cvt_f32_f64_e32 v40, v[36:37]
	scratch_load_b64 v[36:37], off, off offset:124 ; 8-byte Folded Reload
	s_waitcnt vmcnt(0)
	v_cvt_f32_f64_e32 v38, v[36:37]
	scratch_load_b64 v[36:37], off, off offset:140 ; 8-byte Folded Reload
	v_min3_f32 v228, v40, v38, v228
	s_waitcnt vmcnt(0)
	v_cvt_f32_f64_e32 v38, v[36:37]
	scratch_load_b64 v[36:37], off, off offset:116 ; 8-byte Folded Reload
	s_waitcnt vmcnt(0)
	v_cvt_f32_f64_e32 v36, v[36:37]
	s_delay_alu instid0(VALU_DEP_1)
	v_min3_f32 v232, v38, v36, v232
	scratch_load_b64 v[36:37], off, off offset:172 ; 8-byte Folded Reload
	s_waitcnt vmcnt(0)
	v_cvt_f32_f64_e32 v36, v[36:37]
	scratch_load_b64 v[37:38], off, off offset:164 ; 8-byte Folded Reload
	s_waitcnt vmcnt(0)
	v_cvt_f32_f64_e32 v37, v[37:38]
	s_delay_alu instid0(VALU_DEP_1) | instskip(SKIP_4) | instid1(VALU_DEP_1)
	v_min3_f32 v230, v36, v37, v230
	v_cvt_f32_f64_e32 v36, v[34:35]
	scratch_load_b64 v[34:35], off, off offset:180 ; 8-byte Folded Reload
	s_waitcnt vmcnt(0)
	v_cvt_f32_f64_e32 v34, v[34:35]
	v_min3_f32 v224, v36, v34, v224
	scratch_load_b64 v[34:35], off, off offset:196 ; 8-byte Folded Reload
	s_waitcnt vmcnt(0)
	v_cvt_f32_f64_e32 v34, v[34:35]
	scratch_load_b64 v[35:36], off, off offset:188 ; 8-byte Folded Reload
	s_waitcnt vmcnt(0)
	v_cvt_f32_f64_e32 v35, v[35:36]
	s_delay_alu instid0(VALU_DEP_1)
	v_min3_f32 v222, v34, v35, v222
	scratch_load_b64 v[34:35], off, off offset:212 ; 8-byte Folded Reload
	s_waitcnt vmcnt(0)
	v_cvt_f32_f64_e32 v34, v[34:35]
	scratch_load_b64 v[35:36], off, off offset:204 ; 8-byte Folded Reload
	s_waitcnt vmcnt(0)
	v_cvt_f32_f64_e32 v35, v[35:36]
	s_delay_alu instid0(VALU_DEP_1)
	;; [unrolled: 8-line block ×5, first 2 shown]
	v_min3_f32 v128, v34, v35, v128
	scratch_load_b64 v[34:35], off, off offset:244 ; 8-byte Folded Reload
	s_waitcnt vmcnt(0)
	v_cvt_f32_f64_e32 v34, v[34:35]
	scratch_load_b64 v[35:36], off, off offset:220 ; 8-byte Folded Reload
	s_waitcnt vmcnt(0)
	v_cvt_f32_f64_e32 v35, v[35:36]
	s_delay_alu instid0(VALU_DEP_1) | instskip(SKIP_2) | instid1(VALU_DEP_1)
	v_min3_f32 v247, v34, v35, v247
	v_cvt_f32_f64_e32 v34, v[86:87]
	v_cvt_f32_f64_e32 v35, v[84:85]
	v_min3_f32 v192, v34, v35, v192
	v_cvt_f32_f64_e32 v34, v[88:89]
	v_cvt_f32_f64_e32 v35, v[82:83]
	s_delay_alu instid0(VALU_DEP_1) | instskip(SKIP_2) | instid1(VALU_DEP_1)
	v_min3_f32 v80, v34, v35, v80
	v_cvt_f32_f64_e32 v34, v[94:95]
	v_cvt_f32_f64_e32 v35, v[92:93]
	v_min3_f32 v79, v34, v35, v79
	v_cvt_f32_f64_e32 v34, v[96:97]
	v_cvt_f32_f64_e32 v35, v[90:91]
	s_delay_alu instid0(VALU_DEP_1) | instskip(SKIP_4) | instid1(VALU_DEP_3)
	v_min3_f32 v78, v34, v35, v78
	v_cvt_f32_f64_e32 v34, v[70:71]
	v_cvt_f32_f64_e32 v35, v[123:124]
	v_dual_mov_b32 v70, v100 :: v_dual_mov_b32 v71, v179
	v_mov_b32_e32 v179, v81
	v_min3_f32 v75, v34, v35, v75
	v_cvt_f32_f64_e32 v34, v[129:130]
	v_cvt_f32_f64_e32 v35, v[245:246]
	scratch_load_b32 v129, off, off offset:300 ; 4-byte Folded Reload
	v_mov_b32_e32 v246, v125
	v_min3_f32 v74, v34, v35, v74
	v_cvt_f32_f64_e32 v34, v[133:134]
	v_cvt_f32_f64_e32 v35, v[131:132]
	s_delay_alu instid0(VALU_DEP_1) | instskip(SKIP_2) | instid1(VALU_DEP_1)
	v_min3_f32 v70, v34, v35, v70
	v_cvt_f32_f64_e32 v34, v[137:138]
	v_cvt_f32_f64_e32 v35, v[135:136]
	v_min3_f32 v99, v34, v35, v99
	v_cvt_f32_f64_e32 v34, v[141:142]
	v_cvt_f32_f64_e32 v35, v[139:140]
	s_delay_alu instid0(VALU_DEP_1) | instskip(SKIP_2) | instid1(VALU_DEP_1)
	v_min3_f32 v71, v34, v35, v71
	v_cvt_f32_f64_e32 v34, v[145:146]
	v_cvt_f32_f64_e32 v35, v[143:144]
	;; [unrolled: 7-line block ×4, first 2 shown]
	v_min3_f32 v117, v34, v35, v117
	v_cvt_f32_f64_e32 v34, v[165:166]
	v_cvt_f32_f64_e32 v35, v[163:164]
	s_delay_alu instid0(VALU_DEP_1) | instskip(SKIP_3) | instid1(VALU_DEP_1)
	v_min3_f32 v43, v34, v35, v43
	v_cvt_f32_f64_e32 v34, v[181:182]
	v_cvt_f32_f64_e32 v35, v[167:168]
	v_mov_b32_e32 v168, v47
	v_min3_f32 v168, v0, v1, v168
	v_cvt_f32_f64_e32 v0, v[4:5]
	v_cvt_f32_f64_e32 v1, v[6:7]
	v_min3_f32 v180, v34, v35, v180
	v_cvt_f32_f64_e32 v34, v[187:188]
	v_cvt_f32_f64_e32 v35, v[76:77]
	s_delay_alu instid0(VALU_DEP_4) | instskip(SKIP_2) | instid1(VALU_DEP_4)
	v_min3_f32 v171, v0, v1, v171
	v_cvt_f32_f64_e32 v0, v[101:102]
	v_cvt_f32_f64_e32 v1, v[103:104]
	v_min3_f32 v250, v34, v35, v250
	v_cvt_f32_f64_e32 v34, v[68:69]
	v_cvt_f32_f64_e32 v35, v[193:194]
	s_delay_alu instid0(VALU_DEP_4) | instskip(SKIP_2) | instid1(VALU_DEP_4)
	v_min3_f32 v170, v0, v1, v170
	v_cvt_f32_f64_e32 v0, v[105:106]
	v_cvt_f32_f64_e32 v1, v[107:108]
	v_min3_f32 v179, v34, v35, v179
	v_cvt_f32_f64_e32 v34, v[199:200]
	v_cvt_f32_f64_e32 v35, v[197:198]
	s_delay_alu instid0(VALU_DEP_4) | instskip(NEXT) | instid1(VALU_DEP_2)
	v_min3_f32 v173, v0, v1, v173
	v_min3_f32 v238, v34, v35, v238
	v_cvt_f32_f64_e32 v34, v[203:204]
	v_cvt_f32_f64_e32 v35, v[201:202]
	s_delay_alu instid0(VALU_DEP_1) | instskip(SKIP_2) | instid1(VALU_DEP_1)
	v_min3_f32 v46, v34, v35, v46
	v_cvt_f32_f64_e32 v34, v[207:208]
	v_cvt_f32_f64_e32 v35, v[205:206]
	v_min3_f32 v251, v34, v35, v251
	v_cvt_f32_f64_e32 v34, v[211:212]
	v_cvt_f32_f64_e32 v35, v[209:210]
	s_delay_alu instid0(VALU_DEP_1) | instskip(SKIP_2) | instid1(VALU_DEP_1)
	v_min3_f32 v235, v34, v35, v235
	v_cvt_f32_f64_e32 v34, v[215:216]
	v_cvt_f32_f64_e32 v35, v[213:214]
	;; [unrolled: 7-line block ×6, first 2 shown]
	v_min3_f32 v227, v34, v35, v227
	v_cvt_f32_f64_e32 v34, v[52:53]
	v_cvt_f32_f64_e32 v35, v[58:59]
	s_delay_alu instid0(VALU_DEP_1)
	v_min3_f32 v39, v34, v35, v39
	scratch_store_b32 off, v39, off         ; 4-byte Folded Spill
	s_cbranch_vccz .LBB112_20
; %bb.21:
	s_clause 0x2
	s_load_b32 s12, s[0:1], 0x70
	s_load_b32 s11, s[0:1], 0x58
	s_load_b64 s[0:1], s[0:1], 0x78
	v_add_nc_u32_e32 v10, s3, v248
	s_waitcnt vmcnt(0)
	v_add_nc_u32_e32 v4, s10, v129
	v_mov_b32_e32 v34, v75
	v_mov_b32_e32 v28, v250
	s_delay_alu instid0(VALU_DEP_3) | instskip(SKIP_1) | instid1(VALU_DEP_1)
	v_ashrrev_i32_e32 v5, 31, v4
	v_add_nc_u32_e32 v2, 32, v4
	v_ashrrev_i32_e32 v3, 31, v2
	s_waitcnt lgkmcnt(0)
	v_mad_i64_i32 v[0:1], null, v10, s12, 0
	v_mad_i64_i32 v[6:7], null, v10, s11, 0
	s_lshl_b64 s[0:1], s[0:1], 3
	s_delay_alu instid0(SALU_CYCLE_1) | instskip(SKIP_1) | instid1(VALU_DEP_2)
	s_add_u32 s3, s8, s0
	s_addc_u32 s8, s9, s1
	v_lshlrev_b64 v[8:9], 3, v[0:1]
	v_lshlrev_b64 v[0:1], 3, v[4:5]
	s_delay_alu instid0(VALU_DEP_3) | instskip(NEXT) | instid1(VALU_DEP_3)
	v_lshlrev_b64 v[5:6], 3, v[6:7]
	v_add_co_u32 v11, vcc_lo, s3, v8
	s_delay_alu instid0(VALU_DEP_4) | instskip(NEXT) | instid1(VALU_DEP_3)
	v_add_co_ci_u32_e32 v14, vcc_lo, s8, v9, vcc_lo
	v_add_co_u32 v8, vcc_lo, s4, v5
	v_max_f32_e32 v5, v191, v191
	v_add_co_ci_u32_e32 v9, vcc_lo, s5, v6, vcc_lo
	s_mov_b32 vcc_lo, s2
	s_cbranch_vccz .LBB112_23
; %bb.22:
	s_delay_alu instid0(VALU_DEP_2) | instskip(SKIP_2) | instid1(VALU_DEP_3)
	v_min_f32_e32 v6, 0, v5
	v_add_co_u32 v12, vcc_lo, v11, v0
	v_add_co_ci_u32_e32 v13, vcc_lo, v14, v1, vcc_lo
	v_cvt_f64_f32_e32 v[6:7], v6
	s_mov_b32 s9, 0
	s_mov_b64 s[0:1], 0
	global_store_b64 v[12:13], v[6:7], off
	s_branch .LBB112_24
.LBB112_23:
	s_mov_b32 s9, -1
                                        ; implicit-def: $sgpr0_sgpr1
.LBB112_24:
	v_lshlrev_b64 v[2:3], 3, v[2:3]
	v_dual_mov_b32 v24, v233 :: v_dual_mov_b32 v25, v235
	v_dual_mov_b32 v26, v241 :: v_dual_mov_b32 v27, v46
	;; [unrolled: 1-line block ×3, first 2 shown]
	s_and_not1_b32 vcc_lo, exec_lo, s9
	s_cbranch_vccnz .LBB112_26
; %bb.25:
	v_add_co_u32 v6, vcc_lo, v8, v0
	v_add_co_ci_u32_e32 v7, vcc_lo, v9, v1, vcc_lo
	v_add_co_u32 v12, vcc_lo, v11, v0
	v_add_co_ci_u32_e32 v13, vcc_lo, v14, v1, vcc_lo
	flat_load_b64 v[6:7], v[6:7]
	v_add_co_u32 v15, vcc_lo, v8, v2
	v_add_co_ci_u32_e32 v16, vcc_lo, v9, v3, vcc_lo
	s_waitcnt vmcnt(0) lgkmcnt(0)
	v_mul_f64 v[6:7], v[6:7], s[6:7]
	s_delay_alu instid0(VALU_DEP_1) | instskip(NEXT) | instid1(VALU_DEP_1)
	v_cvt_f32_f64_e32 v6, v[6:7]
	v_min_f32_e32 v5, v6, v5
	s_delay_alu instid0(VALU_DEP_1)
	v_cvt_f64_f32_e32 v[5:6], v5
	global_store_b64 v[12:13], v[5:6], off
	flat_load_b64 v[5:6], v[15:16]
	s_waitcnt vmcnt(0) lgkmcnt(0)
	v_mul_f64 v[5:6], v[5:6], s[6:7]
	s_branch .LBB112_27
.LBB112_26:
	v_dual_mov_b32 v6, s1 :: v_dual_mov_b32 v5, s0
.LBB112_27:
	s_delay_alu instid0(VALU_DEP_1)
	v_cvt_f32_f64_e32 v5, v[5:6]
	v_dual_max_f32 v6, v190, v190 :: v_dual_max_f32 v15, v189, v189
	v_add_co_u32 v18, vcc_lo, v11, v2
	v_add_co_ci_u32_e32 v19, vcc_lo, v14, v3, vcc_lo
	s_mov_b32 vcc_lo, s2
	v_add_nc_u32_e32 v16, 64, v4
	s_delay_alu instid0(VALU_DEP_1) | instskip(SKIP_1) | instid1(VALU_DEP_1)
	v_ashrrev_i32_e32 v17, 31, v16
	v_dual_min_f32 v5, v5, v6 :: v_dual_add_nc_u32 v6, 0x60, v4
	v_cvt_f64_f32_e32 v[12:13], v5
	s_delay_alu instid0(VALU_DEP_2) | instskip(NEXT) | instid1(VALU_DEP_4)
	v_ashrrev_i32_e32 v7, 31, v6
	v_lshlrev_b64 v[4:5], 3, v[16:17]
	global_store_b64 v[18:19], v[12:13], off
	s_cbranch_vccz .LBB112_30
; %bb.28:
	v_min_f32_e32 v12, 0, v15
	v_add_co_u32 v16, vcc_lo, v11, v4
	v_add_co_ci_u32_e32 v17, vcc_lo, v14, v5, vcc_lo
	s_delay_alu instid0(VALU_DEP_3)
	v_cvt_f64_f32_e32 v[12:13], v12
	s_mov_b64 s[0:1], 0
	global_store_b64 v[16:17], v[12:13], off
	v_lshlrev_b64 v[6:7], 3, v[6:7]
	s_cbranch_execz .LBB112_31
; %bb.29:
	v_dual_mov_b32 v9, s1 :: v_dual_mov_b32 v8, s0
	s_branch .LBB112_32
.LBB112_30:
                                        ; implicit-def: $sgpr0_sgpr1
	v_lshlrev_b64 v[6:7], 3, v[6:7]
.LBB112_31:
	v_add_co_u32 v12, vcc_lo, v8, v4
	v_add_co_ci_u32_e32 v13, vcc_lo, v9, v5, vcc_lo
	flat_load_b64 v[12:13], v[12:13]
	s_waitcnt vmcnt(0) lgkmcnt(0)
	v_mul_f64 v[12:13], v[12:13], s[6:7]
	s_delay_alu instid0(VALU_DEP_1) | instskip(NEXT) | instid1(VALU_DEP_1)
	v_cvt_f32_f64_e32 v12, v[12:13]
	v_min_f32_e32 v12, v12, v15
	v_add_co_u32 v15, vcc_lo, v11, v4
	v_add_co_ci_u32_e32 v16, vcc_lo, v14, v5, vcc_lo
	s_delay_alu instid0(VALU_DEP_3)
	v_cvt_f64_f32_e32 v[12:13], v12
	v_add_co_u32 v8, vcc_lo, v8, v6
	v_add_co_ci_u32_e32 v9, vcc_lo, v9, v7, vcc_lo
	global_store_b64 v[15:16], v[12:13], off
	flat_load_b64 v[8:9], v[8:9]
	s_waitcnt vmcnt(0) lgkmcnt(0)
	v_mul_f64 v[8:9], v[8:9], s[6:7]
.LBB112_32:
	s_delay_alu instid0(VALU_DEP_1) | instskip(SKIP_4) | instid1(VALU_DEP_1)
	v_cvt_f32_f64_e32 v8, v[8:9]
	v_max_f32_e32 v9, v186, v186
	v_add_co_u32 v19, vcc_lo, v11, v6
	v_add_co_ci_u32_e32 v20, vcc_lo, v14, v7, vcc_lo
	v_add_nc_u32_e32 v17, 8, v10
	v_mad_i64_i32 v[15:16], null, v17, s11, 0
	s_delay_alu instid0(VALU_DEP_1) | instskip(SKIP_1) | instid1(VALU_DEP_1)
	v_lshlrev_b64 v[21:22], 3, v[15:16]
	v_min_f32_e32 v8, v8, v9
	v_cvt_f64_f32_e32 v[12:13], v8
	v_mad_i64_i32 v[8:9], null, v17, s12, 0
	s_delay_alu instid0(VALU_DEP_1) | instskip(SKIP_1) | instid1(VALU_DEP_2)
	v_lshlrev_b64 v[17:18], 3, v[8:9]
	v_max_f32_e32 v8, v185, v185
	v_add_co_u32 v11, vcc_lo, s3, v17
	s_delay_alu instid0(VALU_DEP_3)
	v_add_co_ci_u32_e32 v15, vcc_lo, s8, v18, vcc_lo
	v_add_co_u32 v16, vcc_lo, s4, v21
	v_add_co_ci_u32_e32 v14, vcc_lo, s5, v22, vcc_lo
	s_mov_b32 vcc_lo, s2
	global_store_b64 v[19:20], v[12:13], off
	s_cbranch_vccz .LBB112_35
; %bb.33:
	v_min_f32_e32 v9, 0, v8
	v_add_co_u32 v17, vcc_lo, v11, v0
	v_add_co_ci_u32_e32 v18, vcc_lo, v15, v1, vcc_lo
	s_delay_alu instid0(VALU_DEP_3)
	v_cvt_f64_f32_e32 v[12:13], v9
	s_mov_b64 s[0:1], 0
	global_store_b64 v[17:18], v[12:13], off
	s_cbranch_execz .LBB112_36
; %bb.34:
	v_dual_mov_b32 v9, s1 :: v_dual_mov_b32 v8, s0
	s_branch .LBB112_37
.LBB112_35:
                                        ; implicit-def: $sgpr0_sgpr1
.LBB112_36:
	v_add_co_u32 v12, vcc_lo, v16, v0
	v_add_co_ci_u32_e32 v13, vcc_lo, v14, v1, vcc_lo
	flat_load_b64 v[12:13], v[12:13]
	s_waitcnt vmcnt(0) lgkmcnt(0)
	v_mul_f64 v[12:13], v[12:13], s[6:7]
	s_delay_alu instid0(VALU_DEP_1)
	v_cvt_f32_f64_e32 v9, v[12:13]
	v_add_co_u32 v12, vcc_lo, v11, v0
	v_add_co_ci_u32_e32 v13, vcc_lo, v15, v1, vcc_lo
	v_add_co_u32 v17, vcc_lo, v16, v2
	v_add_co_ci_u32_e32 v18, vcc_lo, v14, v3, vcc_lo
	v_min_f32_e32 v8, v9, v8
	s_delay_alu instid0(VALU_DEP_1)
	v_cvt_f64_f32_e32 v[8:9], v8
	global_store_b64 v[12:13], v[8:9], off
	flat_load_b64 v[8:9], v[17:18]
	s_waitcnt vmcnt(0) lgkmcnt(0)
	v_mul_f64 v[8:9], v[8:9], s[6:7]
.LBB112_37:
	s_delay_alu instid0(VALU_DEP_1) | instskip(SKIP_4) | instid1(VALU_DEP_3)
	v_cvt_f32_f64_e32 v8, v[8:9]
	v_max_f32_e32 v9, v252, v252
	v_add_co_u32 v17, vcc_lo, v11, v2
	v_add_co_ci_u32_e32 v18, vcc_lo, v15, v3, vcc_lo
	s_mov_b32 vcc_lo, s2
	v_min_f32_e32 v8, v8, v9
	s_delay_alu instid0(VALU_DEP_1)
	v_cvt_f64_f32_e32 v[12:13], v8
	v_max_f32_e32 v8, v236, v236
	global_store_b64 v[17:18], v[12:13], off
	s_cbranch_vccz .LBB112_40
; %bb.38:
	v_min_f32_e32 v9, 0, v8
	v_add_co_u32 v17, vcc_lo, v11, v4
	v_add_co_ci_u32_e32 v18, vcc_lo, v15, v5, vcc_lo
	s_delay_alu instid0(VALU_DEP_3)
	v_cvt_f64_f32_e32 v[12:13], v9
	s_mov_b64 s[0:1], 0
	global_store_b64 v[17:18], v[12:13], off
	s_cbranch_execz .LBB112_41
; %bb.39:
	v_dual_mov_b32 v9, s1 :: v_dual_mov_b32 v8, s0
	s_branch .LBB112_42
.LBB112_40:
                                        ; implicit-def: $sgpr0_sgpr1
.LBB112_41:
	v_add_co_u32 v12, vcc_lo, v16, v4
	v_add_co_ci_u32_e32 v13, vcc_lo, v14, v5, vcc_lo
	flat_load_b64 v[12:13], v[12:13]
	s_waitcnt vmcnt(0) lgkmcnt(0)
	v_mul_f64 v[12:13], v[12:13], s[6:7]
	s_delay_alu instid0(VALU_DEP_1)
	v_cvt_f32_f64_e32 v9, v[12:13]
	v_add_co_u32 v12, vcc_lo, v11, v4
	v_add_co_ci_u32_e32 v13, vcc_lo, v15, v5, vcc_lo
	v_add_co_u32 v16, vcc_lo, v16, v6
	v_add_co_ci_u32_e32 v17, vcc_lo, v14, v7, vcc_lo
	v_min_f32_e32 v8, v9, v8
	s_delay_alu instid0(VALU_DEP_1)
	v_cvt_f64_f32_e32 v[8:9], v8
	global_store_b64 v[12:13], v[8:9], off
	flat_load_b64 v[8:9], v[16:17]
	s_waitcnt vmcnt(0) lgkmcnt(0)
	v_mul_f64 v[8:9], v[8:9], s[6:7]
.LBB112_42:
	s_delay_alu instid0(VALU_DEP_1) | instskip(SKIP_4) | instid1(VALU_DEP_3)
	v_cvt_f32_f64_e32 v8, v[8:9]
	v_max_f32_e32 v9, v234, v234
	v_add_nc_u32_e32 v14, 16, v10
	v_add_co_u32 v20, vcc_lo, v11, v6
	v_add_co_ci_u32_e32 v21, vcc_lo, v15, v7, vcc_lo
	v_mad_i64_i32 v[16:17], null, v14, s11, 0
	s_delay_alu instid0(VALU_DEP_1) | instskip(SKIP_1) | instid1(VALU_DEP_1)
	v_lshlrev_b64 v[16:17], 3, v[16:17]
	v_min_f32_e32 v8, v8, v9
	v_cvt_f64_f32_e32 v[12:13], v8
	v_mad_i64_i32 v[8:9], null, v14, s12, 0
	s_delay_alu instid0(VALU_DEP_1) | instskip(SKIP_1) | instid1(VALU_DEP_2)
	v_lshlrev_b64 v[18:19], 3, v[8:9]
	v_max_f32_e32 v8, v242, v242
	v_add_co_u32 v11, vcc_lo, s3, v18
	s_delay_alu instid0(VALU_DEP_3)
	v_add_co_ci_u32_e32 v15, vcc_lo, s8, v19, vcc_lo
	v_add_co_u32 v16, vcc_lo, s4, v16
	v_add_co_ci_u32_e32 v14, vcc_lo, s5, v17, vcc_lo
	s_mov_b32 vcc_lo, s2
	global_store_b64 v[20:21], v[12:13], off
	s_cbranch_vccz .LBB112_45
; %bb.43:
	v_min_f32_e32 v9, 0, v8
	v_add_co_u32 v17, vcc_lo, v11, v0
	v_add_co_ci_u32_e32 v18, vcc_lo, v15, v1, vcc_lo
	s_delay_alu instid0(VALU_DEP_3)
	v_cvt_f64_f32_e32 v[12:13], v9
	s_mov_b64 s[0:1], 0
	global_store_b64 v[17:18], v[12:13], off
	s_cbranch_execz .LBB112_46
; %bb.44:
	v_dual_mov_b32 v9, s1 :: v_dual_mov_b32 v8, s0
	s_branch .LBB112_47
.LBB112_45:
                                        ; implicit-def: $sgpr0_sgpr1
.LBB112_46:
	v_add_co_u32 v12, vcc_lo, v16, v0
	v_add_co_ci_u32_e32 v13, vcc_lo, v14, v1, vcc_lo
	flat_load_b64 v[12:13], v[12:13]
	s_waitcnt vmcnt(0) lgkmcnt(0)
	v_mul_f64 v[12:13], v[12:13], s[6:7]
	s_delay_alu instid0(VALU_DEP_1)
	v_cvt_f32_f64_e32 v9, v[12:13]
	v_add_co_u32 v12, vcc_lo, v11, v0
	v_add_co_ci_u32_e32 v13, vcc_lo, v15, v1, vcc_lo
	v_add_co_u32 v17, vcc_lo, v16, v2
	v_add_co_ci_u32_e32 v18, vcc_lo, v14, v3, vcc_lo
	v_min_f32_e32 v8, v9, v8
	s_delay_alu instid0(VALU_DEP_1)
	v_cvt_f64_f32_e32 v[8:9], v8
	global_store_b64 v[12:13], v[8:9], off
	flat_load_b64 v[8:9], v[17:18]
	s_waitcnt vmcnt(0) lgkmcnt(0)
	v_mul_f64 v[8:9], v[8:9], s[6:7]
.LBB112_47:
	s_delay_alu instid0(VALU_DEP_1) | instskip(SKIP_4) | instid1(VALU_DEP_3)
	v_cvt_f32_f64_e32 v8, v[8:9]
	v_max_f32_e32 v9, v237, v237
	v_add_co_u32 v17, vcc_lo, v11, v2
	v_add_co_ci_u32_e32 v18, vcc_lo, v15, v3, vcc_lo
	s_mov_b32 vcc_lo, s2
	v_min_f32_e32 v8, v8, v9
	s_delay_alu instid0(VALU_DEP_1)
	v_cvt_f64_f32_e32 v[12:13], v8
	v_max_f32_e32 v8, v228, v228
	global_store_b64 v[17:18], v[12:13], off
	s_cbranch_vccz .LBB112_50
; %bb.48:
	v_min_f32_e32 v9, 0, v8
	v_add_co_u32 v17, vcc_lo, v11, v4
	v_add_co_ci_u32_e32 v18, vcc_lo, v15, v5, vcc_lo
	s_delay_alu instid0(VALU_DEP_3)
	v_cvt_f64_f32_e32 v[12:13], v9
	s_mov_b64 s[0:1], 0
	global_store_b64 v[17:18], v[12:13], off
	s_cbranch_execz .LBB112_51
; %bb.49:
	v_dual_mov_b32 v9, s1 :: v_dual_mov_b32 v8, s0
	s_branch .LBB112_52
.LBB112_50:
                                        ; implicit-def: $sgpr0_sgpr1
.LBB112_51:
	v_add_co_u32 v12, vcc_lo, v16, v4
	v_add_co_ci_u32_e32 v13, vcc_lo, v14, v5, vcc_lo
	flat_load_b64 v[12:13], v[12:13]
	s_waitcnt vmcnt(0) lgkmcnt(0)
	v_mul_f64 v[12:13], v[12:13], s[6:7]
	s_delay_alu instid0(VALU_DEP_1)
	v_cvt_f32_f64_e32 v9, v[12:13]
	v_add_co_u32 v12, vcc_lo, v11, v4
	v_add_co_ci_u32_e32 v13, vcc_lo, v15, v5, vcc_lo
	v_add_co_u32 v16, vcc_lo, v16, v6
	v_add_co_ci_u32_e32 v17, vcc_lo, v14, v7, vcc_lo
	v_min_f32_e32 v8, v9, v8
	s_delay_alu instid0(VALU_DEP_1)
	v_cvt_f64_f32_e32 v[8:9], v8
	global_store_b64 v[12:13], v[8:9], off
	flat_load_b64 v[8:9], v[16:17]
	s_waitcnt vmcnt(0) lgkmcnt(0)
	v_mul_f64 v[8:9], v[8:9], s[6:7]
.LBB112_52:
	s_delay_alu instid0(VALU_DEP_1) | instskip(SKIP_3) | instid1(VALU_DEP_3)
	v_cvt_f32_f64_e32 v8, v[8:9]
	v_dual_max_f32 v9, v232, v232 :: v_dual_add_nc_u32 v14, 24, v10
	v_add_co_u32 v20, vcc_lo, v11, v6
	v_add_co_ci_u32_e32 v21, vcc_lo, v15, v7, vcc_lo
	v_mad_i64_i32 v[16:17], null, v14, s11, 0
	s_delay_alu instid0(VALU_DEP_1) | instskip(SKIP_1) | instid1(VALU_DEP_1)
	v_lshlrev_b64 v[16:17], 3, v[16:17]
	v_min_f32_e32 v8, v8, v9
	v_cvt_f64_f32_e32 v[12:13], v8
	v_mad_i64_i32 v[8:9], null, v14, s12, 0
	s_delay_alu instid0(VALU_DEP_1) | instskip(SKIP_1) | instid1(VALU_DEP_2)
	v_lshlrev_b64 v[18:19], 3, v[8:9]
	v_max_f32_e32 v8, v230, v230
	v_add_co_u32 v11, vcc_lo, s3, v18
	s_delay_alu instid0(VALU_DEP_3)
	v_add_co_ci_u32_e32 v15, vcc_lo, s8, v19, vcc_lo
	v_add_co_u32 v16, vcc_lo, s4, v16
	v_add_co_ci_u32_e32 v14, vcc_lo, s5, v17, vcc_lo
	s_mov_b32 vcc_lo, s2
	global_store_b64 v[20:21], v[12:13], off
	s_cbranch_vccz .LBB112_55
; %bb.53:
	v_min_f32_e32 v9, 0, v8
	v_add_co_u32 v17, vcc_lo, v11, v0
	v_add_co_ci_u32_e32 v18, vcc_lo, v15, v1, vcc_lo
	s_delay_alu instid0(VALU_DEP_3)
	v_cvt_f64_f32_e32 v[12:13], v9
	s_mov_b64 s[0:1], 0
	global_store_b64 v[17:18], v[12:13], off
	s_cbranch_execz .LBB112_56
; %bb.54:
	v_dual_mov_b32 v9, s1 :: v_dual_mov_b32 v8, s0
	s_branch .LBB112_57
.LBB112_55:
                                        ; implicit-def: $sgpr0_sgpr1
.LBB112_56:
	v_add_co_u32 v12, vcc_lo, v16, v0
	v_add_co_ci_u32_e32 v13, vcc_lo, v14, v1, vcc_lo
	flat_load_b64 v[12:13], v[12:13]
	s_waitcnt vmcnt(0) lgkmcnt(0)
	v_mul_f64 v[12:13], v[12:13], s[6:7]
	s_delay_alu instid0(VALU_DEP_1)
	v_cvt_f32_f64_e32 v9, v[12:13]
	v_add_co_u32 v12, vcc_lo, v11, v0
	v_add_co_ci_u32_e32 v13, vcc_lo, v15, v1, vcc_lo
	v_add_co_u32 v17, vcc_lo, v16, v2
	v_add_co_ci_u32_e32 v18, vcc_lo, v14, v3, vcc_lo
	v_min_f32_e32 v8, v9, v8
	s_delay_alu instid0(VALU_DEP_1)
	v_cvt_f64_f32_e32 v[8:9], v8
	global_store_b64 v[12:13], v[8:9], off
	flat_load_b64 v[8:9], v[17:18]
	s_waitcnt vmcnt(0) lgkmcnt(0)
	v_mul_f64 v[8:9], v[8:9], s[6:7]
.LBB112_57:
	s_delay_alu instid0(VALU_DEP_1) | instskip(SKIP_4) | instid1(VALU_DEP_3)
	v_cvt_f32_f64_e32 v8, v[8:9]
	v_max_f32_e32 v9, v224, v224
	v_add_co_u32 v17, vcc_lo, v11, v2
	v_add_co_ci_u32_e32 v18, vcc_lo, v15, v3, vcc_lo
	s_mov_b32 vcc_lo, s2
	v_min_f32_e32 v8, v8, v9
	s_delay_alu instid0(VALU_DEP_1)
	v_cvt_f64_f32_e32 v[12:13], v8
	v_max_f32_e32 v8, v222, v222
	global_store_b64 v[17:18], v[12:13], off
	s_cbranch_vccz .LBB112_60
; %bb.58:
	v_min_f32_e32 v9, 0, v8
	v_add_co_u32 v17, vcc_lo, v11, v4
	v_add_co_ci_u32_e32 v18, vcc_lo, v15, v5, vcc_lo
	s_delay_alu instid0(VALU_DEP_3)
	v_cvt_f64_f32_e32 v[12:13], v9
	s_mov_b64 s[0:1], 0
	global_store_b64 v[17:18], v[12:13], off
	s_cbranch_execz .LBB112_61
; %bb.59:
	v_dual_mov_b32 v9, s1 :: v_dual_mov_b32 v8, s0
	s_branch .LBB112_62
.LBB112_60:
                                        ; implicit-def: $sgpr0_sgpr1
.LBB112_61:
	v_add_co_u32 v12, vcc_lo, v16, v4
	v_add_co_ci_u32_e32 v13, vcc_lo, v14, v5, vcc_lo
	flat_load_b64 v[12:13], v[12:13]
	s_waitcnt vmcnt(0) lgkmcnt(0)
	v_mul_f64 v[12:13], v[12:13], s[6:7]
	s_delay_alu instid0(VALU_DEP_1)
	v_cvt_f32_f64_e32 v9, v[12:13]
	v_add_co_u32 v12, vcc_lo, v11, v4
	v_add_co_ci_u32_e32 v13, vcc_lo, v15, v5, vcc_lo
	v_add_co_u32 v16, vcc_lo, v16, v6
	v_add_co_ci_u32_e32 v17, vcc_lo, v14, v7, vcc_lo
	v_min_f32_e32 v8, v9, v8
	s_delay_alu instid0(VALU_DEP_1)
	v_cvt_f64_f32_e32 v[8:9], v8
	global_store_b64 v[12:13], v[8:9], off
	flat_load_b64 v[8:9], v[16:17]
	s_waitcnt vmcnt(0) lgkmcnt(0)
	v_mul_f64 v[8:9], v[8:9], s[6:7]
.LBB112_62:
	s_delay_alu instid0(VALU_DEP_1) | instskip(SKIP_4) | instid1(VALU_DEP_3)
	v_cvt_f32_f64_e32 v8, v[8:9]
	v_max_f32_e32 v9, v226, v226
	v_add_nc_u32_e32 v14, 32, v10
	v_add_co_u32 v20, vcc_lo, v11, v6
	v_add_co_ci_u32_e32 v21, vcc_lo, v15, v7, vcc_lo
	v_mad_i64_i32 v[16:17], null, v14, s11, 0
	s_delay_alu instid0(VALU_DEP_1) | instskip(SKIP_1) | instid1(VALU_DEP_1)
	v_lshlrev_b64 v[16:17], 3, v[16:17]
	v_min_f32_e32 v8, v8, v9
	v_cvt_f64_f32_e32 v[12:13], v8
	v_mad_i64_i32 v[8:9], null, v14, s12, 0
	s_delay_alu instid0(VALU_DEP_1) | instskip(SKIP_1) | instid1(VALU_DEP_2)
	v_lshlrev_b64 v[18:19], 3, v[8:9]
	v_max_f32_e32 v8, v255, v255
	v_add_co_u32 v11, vcc_lo, s3, v18
	s_delay_alu instid0(VALU_DEP_3)
	v_add_co_ci_u32_e32 v15, vcc_lo, s8, v19, vcc_lo
	v_add_co_u32 v16, vcc_lo, s4, v16
	v_add_co_ci_u32_e32 v14, vcc_lo, s5, v17, vcc_lo
	s_mov_b32 vcc_lo, s2
	global_store_b64 v[20:21], v[12:13], off
	s_cbranch_vccz .LBB112_65
; %bb.63:
	v_min_f32_e32 v9, 0, v8
	v_add_co_u32 v17, vcc_lo, v11, v0
	v_add_co_ci_u32_e32 v18, vcc_lo, v15, v1, vcc_lo
	s_delay_alu instid0(VALU_DEP_3)
	v_cvt_f64_f32_e32 v[12:13], v9
	s_mov_b64 s[0:1], 0
	global_store_b64 v[17:18], v[12:13], off
	s_cbranch_execz .LBB112_66
; %bb.64:
	v_dual_mov_b32 v9, s1 :: v_dual_mov_b32 v8, s0
	s_branch .LBB112_67
.LBB112_65:
                                        ; implicit-def: $sgpr0_sgpr1
.LBB112_66:
	v_add_co_u32 v12, vcc_lo, v16, v0
	v_add_co_ci_u32_e32 v13, vcc_lo, v14, v1, vcc_lo
	flat_load_b64 v[12:13], v[12:13]
	s_waitcnt vmcnt(0) lgkmcnt(0)
	v_mul_f64 v[12:13], v[12:13], s[6:7]
	s_delay_alu instid0(VALU_DEP_1)
	v_cvt_f32_f64_e32 v9, v[12:13]
	v_add_co_u32 v12, vcc_lo, v11, v0
	v_add_co_ci_u32_e32 v13, vcc_lo, v15, v1, vcc_lo
	v_add_co_u32 v17, vcc_lo, v16, v2
	v_add_co_ci_u32_e32 v18, vcc_lo, v14, v3, vcc_lo
	v_min_f32_e32 v8, v9, v8
	s_delay_alu instid0(VALU_DEP_1)
	v_cvt_f64_f32_e32 v[8:9], v8
	global_store_b64 v[12:13], v[8:9], off
	flat_load_b64 v[8:9], v[17:18]
	s_waitcnt vmcnt(0) lgkmcnt(0)
	v_mul_f64 v[8:9], v[8:9], s[6:7]
.LBB112_67:
	s_delay_alu instid0(VALU_DEP_1) | instskip(SKIP_4) | instid1(VALU_DEP_3)
	v_cvt_f32_f64_e32 v8, v[8:9]
	v_max_f32_e32 v9, v169, v169
	v_add_co_u32 v17, vcc_lo, v11, v2
	v_add_co_ci_u32_e32 v18, vcc_lo, v15, v3, vcc_lo
	s_mov_b32 vcc_lo, s2
	v_min_f32_e32 v8, v8, v9
	s_delay_alu instid0(VALU_DEP_1)
	v_cvt_f64_f32_e32 v[12:13], v8
	v_max_f32_e32 v8, v128, v128
	global_store_b64 v[17:18], v[12:13], off
	s_cbranch_vccz .LBB112_70
; %bb.68:
	v_min_f32_e32 v9, 0, v8
	v_add_co_u32 v17, vcc_lo, v11, v4
	v_add_co_ci_u32_e32 v18, vcc_lo, v15, v5, vcc_lo
	s_delay_alu instid0(VALU_DEP_3)
	v_cvt_f64_f32_e32 v[12:13], v9
	s_mov_b64 s[0:1], 0
	global_store_b64 v[17:18], v[12:13], off
	s_cbranch_execz .LBB112_71
; %bb.69:
	v_dual_mov_b32 v9, s1 :: v_dual_mov_b32 v8, s0
	s_branch .LBB112_72
.LBB112_70:
                                        ; implicit-def: $sgpr0_sgpr1
.LBB112_71:
	v_add_co_u32 v12, vcc_lo, v16, v4
	v_add_co_ci_u32_e32 v13, vcc_lo, v14, v5, vcc_lo
	flat_load_b64 v[12:13], v[12:13]
	s_waitcnt vmcnt(0) lgkmcnt(0)
	v_mul_f64 v[12:13], v[12:13], s[6:7]
	s_delay_alu instid0(VALU_DEP_1)
	v_cvt_f32_f64_e32 v9, v[12:13]
	v_add_co_u32 v12, vcc_lo, v11, v4
	v_add_co_ci_u32_e32 v13, vcc_lo, v15, v5, vcc_lo
	v_add_co_u32 v16, vcc_lo, v16, v6
	v_add_co_ci_u32_e32 v17, vcc_lo, v14, v7, vcc_lo
	v_min_f32_e32 v8, v9, v8
	s_delay_alu instid0(VALU_DEP_1)
	v_cvt_f64_f32_e32 v[8:9], v8
	global_store_b64 v[12:13], v[8:9], off
	flat_load_b64 v[8:9], v[16:17]
	s_waitcnt vmcnt(0) lgkmcnt(0)
	v_mul_f64 v[8:9], v[8:9], s[6:7]
.LBB112_72:
	s_delay_alu instid0(VALU_DEP_1) | instskip(SKIP_3) | instid1(VALU_DEP_3)
	v_cvt_f32_f64_e32 v8, v[8:9]
	v_dual_max_f32 v9, v247, v247 :: v_dual_add_nc_u32 v14, 40, v10
	v_add_co_u32 v20, vcc_lo, v11, v6
	v_add_co_ci_u32_e32 v21, vcc_lo, v15, v7, vcc_lo
	v_mad_i64_i32 v[12:13], null, v14, s11, 0
	s_delay_alu instid0(VALU_DEP_4) | instskip(NEXT) | instid1(VALU_DEP_1)
	v_min_f32_e32 v8, v8, v9
	v_cvt_f64_f32_e32 v[16:17], v8
	v_mad_i64_i32 v[8:9], null, v14, s12, 0
	s_delay_alu instid0(VALU_DEP_4) | instskip(NEXT) | instid1(VALU_DEP_2)
	v_lshlrev_b64 v[13:14], 3, v[12:13]
	v_lshlrev_b64 v[18:19], 3, v[8:9]
	v_max_f32_e32 v8, v192, v192
	s_delay_alu instid0(VALU_DEP_2) | instskip(NEXT) | instid1(VALU_DEP_3)
	v_add_co_u32 v11, vcc_lo, s3, v18
	v_add_co_ci_u32_e32 v12, vcc_lo, s8, v19, vcc_lo
	v_add_co_u32 v13, vcc_lo, s4, v13
	v_add_co_ci_u32_e32 v14, vcc_lo, s5, v14, vcc_lo
	s_mov_b32 vcc_lo, s2
	global_store_b64 v[20:21], v[16:17], off
	s_cbranch_vccz .LBB112_75
; %bb.73:
	v_min_f32_e32 v9, 0, v8
	v_add_co_u32 v17, vcc_lo, v11, v0
	v_add_co_ci_u32_e32 v18, vcc_lo, v12, v1, vcc_lo
	s_delay_alu instid0(VALU_DEP_3)
	v_cvt_f64_f32_e32 v[15:16], v9
	s_mov_b64 s[0:1], 0
	global_store_b64 v[17:18], v[15:16], off
	s_cbranch_execz .LBB112_76
; %bb.74:
	v_dual_mov_b32 v9, s1 :: v_dual_mov_b32 v8, s0
	s_branch .LBB112_77
.LBB112_75:
                                        ; implicit-def: $sgpr0_sgpr1
.LBB112_76:
	v_add_co_u32 v15, vcc_lo, v13, v0
	v_add_co_ci_u32_e32 v16, vcc_lo, v14, v1, vcc_lo
	flat_load_b64 v[15:16], v[15:16]
	s_waitcnt vmcnt(0) lgkmcnt(0)
	v_mul_f64 v[15:16], v[15:16], s[6:7]
	s_delay_alu instid0(VALU_DEP_1)
	v_cvt_f32_f64_e32 v9, v[15:16]
	v_add_co_u32 v15, vcc_lo, v11, v0
	v_add_co_ci_u32_e32 v16, vcc_lo, v12, v1, vcc_lo
	v_add_co_u32 v17, vcc_lo, v13, v2
	v_add_co_ci_u32_e32 v18, vcc_lo, v14, v3, vcc_lo
	v_min_f32_e32 v8, v9, v8
	s_delay_alu instid0(VALU_DEP_1)
	v_cvt_f64_f32_e32 v[8:9], v8
	global_store_b64 v[15:16], v[8:9], off
	flat_load_b64 v[8:9], v[17:18]
	s_waitcnt vmcnt(0) lgkmcnt(0)
	v_mul_f64 v[8:9], v[8:9], s[6:7]
.LBB112_77:
	s_delay_alu instid0(VALU_DEP_1) | instskip(SKIP_4) | instid1(VALU_DEP_3)
	v_cvt_f32_f64_e32 v8, v[8:9]
	v_max_f32_e32 v9, v80, v80
	v_add_co_u32 v17, vcc_lo, v11, v2
	v_add_co_ci_u32_e32 v18, vcc_lo, v12, v3, vcc_lo
	s_mov_b32 vcc_lo, s2
	v_min_f32_e32 v8, v8, v9
	s_delay_alu instid0(VALU_DEP_1)
	v_cvt_f64_f32_e32 v[15:16], v8
	v_max_f32_e32 v8, v36, v36
	global_store_b64 v[17:18], v[15:16], off
	s_cbranch_vccz .LBB112_80
; %bb.78:
	v_min_f32_e32 v9, 0, v8
	v_add_co_u32 v17, vcc_lo, v11, v4
	v_add_co_ci_u32_e32 v18, vcc_lo, v12, v5, vcc_lo
	s_delay_alu instid0(VALU_DEP_3)
	v_cvt_f64_f32_e32 v[15:16], v9
	s_mov_b64 s[0:1], 0
	global_store_b64 v[17:18], v[15:16], off
	s_cbranch_execz .LBB112_81
; %bb.79:
	v_dual_mov_b32 v9, s1 :: v_dual_mov_b32 v8, s0
	s_branch .LBB112_82
.LBB112_80:
                                        ; implicit-def: $sgpr0_sgpr1
.LBB112_81:
	v_add_co_u32 v15, vcc_lo, v13, v4
	v_add_co_ci_u32_e32 v16, vcc_lo, v14, v5, vcc_lo
	flat_load_b64 v[15:16], v[15:16]
	s_waitcnt vmcnt(0) lgkmcnt(0)
	v_mul_f64 v[15:16], v[15:16], s[6:7]
	s_delay_alu instid0(VALU_DEP_1)
	v_cvt_f32_f64_e32 v9, v[15:16]
	v_add_co_u32 v15, vcc_lo, v11, v4
	v_add_co_ci_u32_e32 v16, vcc_lo, v12, v5, vcc_lo
	v_add_co_u32 v13, vcc_lo, v13, v6
	v_add_co_ci_u32_e32 v14, vcc_lo, v14, v7, vcc_lo
	v_min_f32_e32 v8, v9, v8
	s_delay_alu instid0(VALU_DEP_1)
	v_cvt_f64_f32_e32 v[8:9], v8
	global_store_b64 v[15:16], v[8:9], off
	flat_load_b64 v[8:9], v[13:14]
	s_waitcnt vmcnt(0) lgkmcnt(0)
	v_mul_f64 v[8:9], v[8:9], s[6:7]
.LBB112_82:
	s_delay_alu instid0(VALU_DEP_1) | instskip(SKIP_4) | instid1(VALU_DEP_1)
	v_cvt_f32_f64_e32 v8, v[8:9]
	v_max_f32_e32 v9, v78, v78
	v_add_co_u32 v19, vcc_lo, v11, v6
	v_add_co_ci_u32_e32 v20, vcc_lo, v12, v7, vcc_lo
	v_add_nc_u32_e32 v17, 48, v10
	v_mad_i64_i32 v[13:14], null, v17, s11, 0
	s_delay_alu instid0(VALU_DEP_1) | instskip(SKIP_1) | instid1(VALU_DEP_1)
	v_lshlrev_b64 v[13:14], 3, v[13:14]
	v_min_f32_e32 v8, v8, v9
	v_cvt_f64_f32_e32 v[15:16], v8
	v_mad_i64_i32 v[8:9], null, v17, s12, 0
	s_delay_alu instid0(VALU_DEP_1) | instskip(SKIP_1) | instid1(VALU_DEP_2)
	v_lshlrev_b64 v[17:18], 3, v[8:9]
	v_max_f32_e32 v8, v34, v34
	v_add_co_u32 v11, vcc_lo, s3, v17
	s_delay_alu instid0(VALU_DEP_3)
	v_add_co_ci_u32_e32 v12, vcc_lo, s8, v18, vcc_lo
	v_add_co_u32 v13, vcc_lo, s4, v13
	v_add_co_ci_u32_e32 v14, vcc_lo, s5, v14, vcc_lo
	s_mov_b32 vcc_lo, s2
	global_store_b64 v[19:20], v[15:16], off
	s_cbranch_vccz .LBB112_85
; %bb.83:
	v_min_f32_e32 v9, 0, v8
	v_add_co_u32 v17, vcc_lo, v11, v0
	v_add_co_ci_u32_e32 v18, vcc_lo, v12, v1, vcc_lo
	s_delay_alu instid0(VALU_DEP_3)
	v_cvt_f64_f32_e32 v[15:16], v9
	s_mov_b64 s[0:1], 0
	global_store_b64 v[17:18], v[15:16], off
	s_cbranch_execz .LBB112_86
; %bb.84:
	v_dual_mov_b32 v9, s1 :: v_dual_mov_b32 v8, s0
	s_branch .LBB112_87
.LBB112_85:
                                        ; implicit-def: $sgpr0_sgpr1
.LBB112_86:
	v_add_co_u32 v15, vcc_lo, v13, v0
	v_add_co_ci_u32_e32 v16, vcc_lo, v14, v1, vcc_lo
	flat_load_b64 v[15:16], v[15:16]
	s_waitcnt vmcnt(0) lgkmcnt(0)
	v_mul_f64 v[15:16], v[15:16], s[6:7]
	s_delay_alu instid0(VALU_DEP_1)
	v_cvt_f32_f64_e32 v9, v[15:16]
	v_add_co_u32 v15, vcc_lo, v11, v0
	v_add_co_ci_u32_e32 v16, vcc_lo, v12, v1, vcc_lo
	v_add_co_u32 v17, vcc_lo, v13, v2
	v_add_co_ci_u32_e32 v18, vcc_lo, v14, v3, vcc_lo
	v_min_f32_e32 v8, v9, v8
	s_delay_alu instid0(VALU_DEP_1)
	v_cvt_f64_f32_e32 v[8:9], v8
	global_store_b64 v[15:16], v[8:9], off
	flat_load_b64 v[8:9], v[17:18]
	s_waitcnt vmcnt(0) lgkmcnt(0)
	v_mul_f64 v[8:9], v[8:9], s[6:7]
.LBB112_87:
	s_delay_alu instid0(VALU_DEP_1) | instskip(SKIP_4) | instid1(VALU_DEP_3)
	v_cvt_f32_f64_e32 v8, v[8:9]
	v_max_f32_e32 v9, v74, v74
	v_add_co_u32 v17, vcc_lo, v11, v2
	v_add_co_ci_u32_e32 v18, vcc_lo, v12, v3, vcc_lo
	s_mov_b32 vcc_lo, s2
	v_min_f32_e32 v8, v8, v9
	s_delay_alu instid0(VALU_DEP_1)
	v_cvt_f64_f32_e32 v[15:16], v8
	v_max_f32_e32 v8, v70, v70
	global_store_b64 v[17:18], v[15:16], off
	s_cbranch_vccz .LBB112_90
; %bb.88:
	v_min_f32_e32 v9, 0, v8
	v_add_co_u32 v17, vcc_lo, v11, v4
	v_add_co_ci_u32_e32 v18, vcc_lo, v12, v5, vcc_lo
	s_delay_alu instid0(VALU_DEP_3)
	v_cvt_f64_f32_e32 v[15:16], v9
	s_mov_b64 s[0:1], 0
	global_store_b64 v[17:18], v[15:16], off
	s_cbranch_execz .LBB112_91
; %bb.89:
	v_dual_mov_b32 v9, s1 :: v_dual_mov_b32 v8, s0
	s_branch .LBB112_92
.LBB112_90:
                                        ; implicit-def: $sgpr0_sgpr1
.LBB112_91:
	v_add_co_u32 v15, vcc_lo, v13, v4
	v_add_co_ci_u32_e32 v16, vcc_lo, v14, v5, vcc_lo
	flat_load_b64 v[15:16], v[15:16]
	s_waitcnt vmcnt(0) lgkmcnt(0)
	v_mul_f64 v[15:16], v[15:16], s[6:7]
	s_delay_alu instid0(VALU_DEP_1)
	v_cvt_f32_f64_e32 v9, v[15:16]
	v_add_co_u32 v15, vcc_lo, v11, v4
	v_add_co_ci_u32_e32 v16, vcc_lo, v12, v5, vcc_lo
	v_add_co_u32 v13, vcc_lo, v13, v6
	v_add_co_ci_u32_e32 v14, vcc_lo, v14, v7, vcc_lo
	v_min_f32_e32 v8, v9, v8
	s_delay_alu instid0(VALU_DEP_1)
	v_cvt_f64_f32_e32 v[8:9], v8
	global_store_b64 v[15:16], v[8:9], off
	flat_load_b64 v[8:9], v[13:14]
	s_waitcnt vmcnt(0) lgkmcnt(0)
	v_mul_f64 v[8:9], v[8:9], s[6:7]
.LBB112_92:
	s_delay_alu instid0(VALU_DEP_1) | instskip(SKIP_4) | instid1(VALU_DEP_1)
	v_cvt_f32_f64_e32 v8, v[8:9]
	v_max_f32_e32 v9, v99, v99
	v_add_co_u32 v19, vcc_lo, v11, v6
	v_add_co_ci_u32_e32 v20, vcc_lo, v12, v7, vcc_lo
	v_add_nc_u32_e32 v17, 56, v10
	v_mad_i64_i32 v[13:14], null, v17, s11, 0
	s_delay_alu instid0(VALU_DEP_1) | instskip(SKIP_1) | instid1(VALU_DEP_1)
	v_lshlrev_b64 v[13:14], 3, v[13:14]
	v_min_f32_e32 v8, v8, v9
	v_cvt_f64_f32_e32 v[15:16], v8
	v_mad_i64_i32 v[8:9], null, v17, s12, 0
	s_delay_alu instid0(VALU_DEP_1) | instskip(SKIP_1) | instid1(VALU_DEP_2)
	v_lshlrev_b64 v[17:18], 3, v[8:9]
	v_max_f32_e32 v8, v71, v71
	v_add_co_u32 v11, vcc_lo, s3, v17
	s_delay_alu instid0(VALU_DEP_3)
	v_add_co_ci_u32_e32 v12, vcc_lo, s8, v18, vcc_lo
	v_add_co_u32 v13, vcc_lo, s4, v13
	v_add_co_ci_u32_e32 v14, vcc_lo, s5, v14, vcc_lo
	s_mov_b32 vcc_lo, s2
	global_store_b64 v[19:20], v[15:16], off
	s_cbranch_vccz .LBB112_95
; %bb.93:
	v_min_f32_e32 v9, 0, v8
	v_add_co_u32 v17, vcc_lo, v11, v0
	v_add_co_ci_u32_e32 v18, vcc_lo, v12, v1, vcc_lo
	s_delay_alu instid0(VALU_DEP_3)
	v_cvt_f64_f32_e32 v[15:16], v9
	s_mov_b64 s[0:1], 0
	global_store_b64 v[17:18], v[15:16], off
	s_cbranch_execz .LBB112_96
; %bb.94:
	v_dual_mov_b32 v9, s1 :: v_dual_mov_b32 v8, s0
	s_branch .LBB112_97
.LBB112_95:
                                        ; implicit-def: $sgpr0_sgpr1
.LBB112_96:
	v_add_co_u32 v15, vcc_lo, v13, v0
	v_add_co_ci_u32_e32 v16, vcc_lo, v14, v1, vcc_lo
	flat_load_b64 v[15:16], v[15:16]
	s_waitcnt vmcnt(0) lgkmcnt(0)
	v_mul_f64 v[15:16], v[15:16], s[6:7]
	s_delay_alu instid0(VALU_DEP_1)
	v_cvt_f32_f64_e32 v9, v[15:16]
	v_add_co_u32 v15, vcc_lo, v11, v0
	v_add_co_ci_u32_e32 v16, vcc_lo, v12, v1, vcc_lo
	v_add_co_u32 v17, vcc_lo, v13, v2
	v_add_co_ci_u32_e32 v18, vcc_lo, v14, v3, vcc_lo
	v_min_f32_e32 v8, v9, v8
	s_delay_alu instid0(VALU_DEP_1)
	v_cvt_f64_f32_e32 v[8:9], v8
	global_store_b64 v[15:16], v[8:9], off
	flat_load_b64 v[8:9], v[17:18]
	s_waitcnt vmcnt(0) lgkmcnt(0)
	v_mul_f64 v[8:9], v[8:9], s[6:7]
.LBB112_97:
	s_delay_alu instid0(VALU_DEP_1) | instskip(SKIP_4) | instid1(VALU_DEP_3)
	v_cvt_f32_f64_e32 v8, v[8:9]
	v_max_f32_e32 v9, v72, v72
	v_add_co_u32 v17, vcc_lo, v11, v2
	v_add_co_ci_u32_e32 v18, vcc_lo, v12, v3, vcc_lo
	s_mov_b32 vcc_lo, s2
	v_min_f32_e32 v8, v8, v9
	s_delay_alu instid0(VALU_DEP_1)
	v_cvt_f64_f32_e32 v[15:16], v8
	v_max_f32_e32 v8, v73, v73
	global_store_b64 v[17:18], v[15:16], off
	s_cbranch_vccz .LBB112_100
; %bb.98:
	v_min_f32_e32 v9, 0, v8
	v_add_co_u32 v17, vcc_lo, v11, v4
	v_add_co_ci_u32_e32 v18, vcc_lo, v12, v5, vcc_lo
	s_delay_alu instid0(VALU_DEP_3)
	v_cvt_f64_f32_e32 v[15:16], v9
	s_mov_b64 s[0:1], 0
	global_store_b64 v[17:18], v[15:16], off
	s_cbranch_execz .LBB112_101
; %bb.99:
	v_dual_mov_b32 v9, s1 :: v_dual_mov_b32 v8, s0
	s_branch .LBB112_102
.LBB112_100:
                                        ; implicit-def: $sgpr0_sgpr1
.LBB112_101:
	v_add_co_u32 v15, vcc_lo, v13, v4
	v_add_co_ci_u32_e32 v16, vcc_lo, v14, v5, vcc_lo
	flat_load_b64 v[15:16], v[15:16]
	s_waitcnt vmcnt(0) lgkmcnt(0)
	v_mul_f64 v[15:16], v[15:16], s[6:7]
	s_delay_alu instid0(VALU_DEP_1)
	v_cvt_f32_f64_e32 v9, v[15:16]
	v_add_co_u32 v15, vcc_lo, v11, v4
	v_add_co_ci_u32_e32 v16, vcc_lo, v12, v5, vcc_lo
	v_add_co_u32 v13, vcc_lo, v13, v6
	v_add_co_ci_u32_e32 v14, vcc_lo, v14, v7, vcc_lo
	v_min_f32_e32 v8, v9, v8
	s_delay_alu instid0(VALU_DEP_1)
	v_cvt_f64_f32_e32 v[8:9], v8
	global_store_b64 v[15:16], v[8:9], off
	flat_load_b64 v[8:9], v[13:14]
	s_waitcnt vmcnt(0) lgkmcnt(0)
	v_mul_f64 v[8:9], v[8:9], s[6:7]
.LBB112_102:
	s_delay_alu instid0(VALU_DEP_1) | instskip(SKIP_4) | instid1(VALU_DEP_1)
	v_cvt_f32_f64_e32 v8, v[8:9]
	v_max_f32_e32 v9, v31, v31
	v_add_co_u32 v19, vcc_lo, v11, v6
	v_add_co_ci_u32_e32 v20, vcc_lo, v12, v7, vcc_lo
	v_add_nc_u32_e32 v17, 64, v10
	v_mad_i64_i32 v[13:14], null, v17, s11, 0
	s_delay_alu instid0(VALU_DEP_1) | instskip(SKIP_1) | instid1(VALU_DEP_1)
	v_lshlrev_b64 v[13:14], 3, v[13:14]
	v_min_f32_e32 v8, v8, v9
	v_cvt_f64_f32_e32 v[15:16], v8
	v_mad_i64_i32 v[8:9], null, v17, s12, 0
	s_delay_alu instid0(VALU_DEP_1) | instskip(SKIP_1) | instid1(VALU_DEP_2)
	v_lshlrev_b64 v[17:18], 3, v[8:9]
	v_max_f32_e32 v8, v115, v115
	v_add_co_u32 v11, vcc_lo, s3, v17
	s_delay_alu instid0(VALU_DEP_3)
	v_add_co_ci_u32_e32 v12, vcc_lo, s8, v18, vcc_lo
	v_add_co_u32 v13, vcc_lo, s4, v13
	v_add_co_ci_u32_e32 v14, vcc_lo, s5, v14, vcc_lo
	s_mov_b32 vcc_lo, s2
	global_store_b64 v[19:20], v[15:16], off
	s_cbranch_vccz .LBB112_105
; %bb.103:
	v_min_f32_e32 v9, 0, v8
	v_add_co_u32 v17, vcc_lo, v11, v0
	v_add_co_ci_u32_e32 v18, vcc_lo, v12, v1, vcc_lo
	s_delay_alu instid0(VALU_DEP_3)
	v_cvt_f64_f32_e32 v[15:16], v9
	s_mov_b64 s[0:1], 0
	global_store_b64 v[17:18], v[15:16], off
	s_cbranch_execz .LBB112_106
; %bb.104:
	v_dual_mov_b32 v9, s1 :: v_dual_mov_b32 v8, s0
	s_branch .LBB112_107
.LBB112_105:
                                        ; implicit-def: $sgpr0_sgpr1
.LBB112_106:
	v_add_co_u32 v15, vcc_lo, v13, v0
	v_add_co_ci_u32_e32 v16, vcc_lo, v14, v1, vcc_lo
	flat_load_b64 v[15:16], v[15:16]
	s_waitcnt vmcnt(0) lgkmcnt(0)
	v_mul_f64 v[15:16], v[15:16], s[6:7]
	s_delay_alu instid0(VALU_DEP_1)
	v_cvt_f32_f64_e32 v9, v[15:16]
	v_add_co_u32 v15, vcc_lo, v11, v0
	v_add_co_ci_u32_e32 v16, vcc_lo, v12, v1, vcc_lo
	v_add_co_u32 v17, vcc_lo, v13, v2
	v_add_co_ci_u32_e32 v18, vcc_lo, v14, v3, vcc_lo
	v_min_f32_e32 v8, v9, v8
	s_delay_alu instid0(VALU_DEP_1)
	v_cvt_f64_f32_e32 v[8:9], v8
	global_store_b64 v[15:16], v[8:9], off
	flat_load_b64 v[8:9], v[17:18]
	s_waitcnt vmcnt(0) lgkmcnt(0)
	v_mul_f64 v[8:9], v[8:9], s[6:7]
.LBB112_107:
	s_delay_alu instid0(VALU_DEP_1) | instskip(SKIP_4) | instid1(VALU_DEP_3)
	v_cvt_f32_f64_e32 v8, v[8:9]
	v_max_f32_e32 v9, v117, v117
	v_add_co_u32 v17, vcc_lo, v11, v2
	v_add_co_ci_u32_e32 v18, vcc_lo, v12, v3, vcc_lo
	s_mov_b32 vcc_lo, s2
	v_min_f32_e32 v8, v8, v9
	s_delay_alu instid0(VALU_DEP_1)
	v_cvt_f64_f32_e32 v[15:16], v8
	v_max_f32_e32 v8, v43, v43
	global_store_b64 v[17:18], v[15:16], off
	s_cbranch_vccz .LBB112_110
; %bb.108:
	v_min_f32_e32 v9, 0, v8
	v_add_co_u32 v17, vcc_lo, v11, v4
	v_add_co_ci_u32_e32 v18, vcc_lo, v12, v5, vcc_lo
	s_delay_alu instid0(VALU_DEP_3)
	v_cvt_f64_f32_e32 v[15:16], v9
	s_mov_b64 s[0:1], 0
	global_store_b64 v[17:18], v[15:16], off
	s_cbranch_execz .LBB112_111
; %bb.109:
	v_dual_mov_b32 v9, s1 :: v_dual_mov_b32 v8, s0
	s_branch .LBB112_112
.LBB112_110:
                                        ; implicit-def: $sgpr0_sgpr1
.LBB112_111:
	v_add_co_u32 v15, vcc_lo, v13, v4
	v_add_co_ci_u32_e32 v16, vcc_lo, v14, v5, vcc_lo
	flat_load_b64 v[15:16], v[15:16]
	s_waitcnt vmcnt(0) lgkmcnt(0)
	v_mul_f64 v[15:16], v[15:16], s[6:7]
	s_delay_alu instid0(VALU_DEP_1)
	v_cvt_f32_f64_e32 v9, v[15:16]
	v_add_co_u32 v15, vcc_lo, v11, v4
	v_add_co_ci_u32_e32 v16, vcc_lo, v12, v5, vcc_lo
	v_add_co_u32 v13, vcc_lo, v13, v6
	v_add_co_ci_u32_e32 v14, vcc_lo, v14, v7, vcc_lo
	v_min_f32_e32 v8, v9, v8
	s_delay_alu instid0(VALU_DEP_1)
	v_cvt_f64_f32_e32 v[8:9], v8
	global_store_b64 v[15:16], v[8:9], off
	flat_load_b64 v[8:9], v[13:14]
	s_waitcnt vmcnt(0) lgkmcnt(0)
	v_mul_f64 v[8:9], v[8:9], s[6:7]
.LBB112_112:
	s_delay_alu instid0(VALU_DEP_1) | instskip(SKIP_4) | instid1(VALU_DEP_1)
	v_cvt_f32_f64_e32 v8, v[8:9]
	v_max_f32_e32 v9, v180, v180
	v_add_co_u32 v19, vcc_lo, v11, v6
	v_add_co_ci_u32_e32 v20, vcc_lo, v12, v7, vcc_lo
	v_add_nc_u32_e32 v17, 0x48, v10
	v_mad_i64_i32 v[13:14], null, v17, s11, 0
	s_delay_alu instid0(VALU_DEP_1) | instskip(SKIP_1) | instid1(VALU_DEP_1)
	v_lshlrev_b64 v[13:14], 3, v[13:14]
	v_min_f32_e32 v8, v8, v9
	v_cvt_f64_f32_e32 v[15:16], v8
	v_mad_i64_i32 v[8:9], null, v17, s12, 0
	s_delay_alu instid0(VALU_DEP_1) | instskip(SKIP_1) | instid1(VALU_DEP_2)
	v_lshlrev_b64 v[17:18], 3, v[8:9]
	v_max_f32_e32 v8, v28, v28
	v_add_co_u32 v11, vcc_lo, s3, v17
	s_delay_alu instid0(VALU_DEP_3)
	v_add_co_ci_u32_e32 v12, vcc_lo, s8, v18, vcc_lo
	v_add_co_u32 v13, vcc_lo, s4, v13
	v_add_co_ci_u32_e32 v14, vcc_lo, s5, v14, vcc_lo
	s_mov_b32 vcc_lo, s2
	global_store_b64 v[19:20], v[15:16], off
	s_cbranch_vccz .LBB112_115
; %bb.113:
	v_min_f32_e32 v9, 0, v8
	v_add_co_u32 v17, vcc_lo, v11, v0
	v_add_co_ci_u32_e32 v18, vcc_lo, v12, v1, vcc_lo
	s_delay_alu instid0(VALU_DEP_3)
	v_cvt_f64_f32_e32 v[15:16], v9
	s_mov_b64 s[0:1], 0
	global_store_b64 v[17:18], v[15:16], off
	s_cbranch_execz .LBB112_116
; %bb.114:
	v_dual_mov_b32 v9, s1 :: v_dual_mov_b32 v8, s0
	s_branch .LBB112_117
.LBB112_115:
                                        ; implicit-def: $sgpr0_sgpr1
.LBB112_116:
	v_add_co_u32 v15, vcc_lo, v13, v0
	v_add_co_ci_u32_e32 v16, vcc_lo, v14, v1, vcc_lo
	flat_load_b64 v[15:16], v[15:16]
	s_waitcnt vmcnt(0) lgkmcnt(0)
	v_mul_f64 v[15:16], v[15:16], s[6:7]
	s_delay_alu instid0(VALU_DEP_1)
	v_cvt_f32_f64_e32 v9, v[15:16]
	v_add_co_u32 v15, vcc_lo, v11, v0
	v_add_co_ci_u32_e32 v16, vcc_lo, v12, v1, vcc_lo
	v_add_co_u32 v17, vcc_lo, v13, v2
	v_add_co_ci_u32_e32 v18, vcc_lo, v14, v3, vcc_lo
	v_min_f32_e32 v8, v9, v8
	s_delay_alu instid0(VALU_DEP_1)
	v_cvt_f64_f32_e32 v[8:9], v8
	global_store_b64 v[15:16], v[8:9], off
	flat_load_b64 v[8:9], v[17:18]
	s_waitcnt vmcnt(0) lgkmcnt(0)
	v_mul_f64 v[8:9], v[8:9], s[6:7]
.LBB112_117:
	s_delay_alu instid0(VALU_DEP_1) | instskip(SKIP_4) | instid1(VALU_DEP_3)
	v_cvt_f32_f64_e32 v8, v[8:9]
	v_max_f32_e32 v9, v179, v179
	v_add_co_u32 v17, vcc_lo, v11, v2
	v_add_co_ci_u32_e32 v18, vcc_lo, v12, v3, vcc_lo
	s_mov_b32 vcc_lo, s2
	v_min_f32_e32 v8, v8, v9
	s_delay_alu instid0(VALU_DEP_1)
	v_cvt_f64_f32_e32 v[15:16], v8
	v_max_f32_e32 v8, v238, v238
	global_store_b64 v[17:18], v[15:16], off
	s_cbranch_vccz .LBB112_120
; %bb.118:
	v_min_f32_e32 v9, 0, v8
	v_add_co_u32 v17, vcc_lo, v11, v4
	v_add_co_ci_u32_e32 v18, vcc_lo, v12, v5, vcc_lo
	s_delay_alu instid0(VALU_DEP_3)
	v_cvt_f64_f32_e32 v[15:16], v9
	s_mov_b64 s[0:1], 0
	global_store_b64 v[17:18], v[15:16], off
	s_cbranch_execz .LBB112_121
; %bb.119:
	v_dual_mov_b32 v9, s1 :: v_dual_mov_b32 v8, s0
	s_branch .LBB112_122
.LBB112_120:
                                        ; implicit-def: $sgpr0_sgpr1
.LBB112_121:
	v_add_co_u32 v15, vcc_lo, v13, v4
	v_add_co_ci_u32_e32 v16, vcc_lo, v14, v5, vcc_lo
	flat_load_b64 v[15:16], v[15:16]
	s_waitcnt vmcnt(0) lgkmcnt(0)
	v_mul_f64 v[15:16], v[15:16], s[6:7]
	s_delay_alu instid0(VALU_DEP_1)
	v_cvt_f32_f64_e32 v9, v[15:16]
	v_add_co_u32 v15, vcc_lo, v11, v4
	v_add_co_ci_u32_e32 v16, vcc_lo, v12, v5, vcc_lo
	v_add_co_u32 v13, vcc_lo, v13, v6
	v_add_co_ci_u32_e32 v14, vcc_lo, v14, v7, vcc_lo
	v_min_f32_e32 v8, v9, v8
	s_delay_alu instid0(VALU_DEP_1)
	v_cvt_f64_f32_e32 v[8:9], v8
	global_store_b64 v[15:16], v[8:9], off
	flat_load_b64 v[8:9], v[13:14]
	s_waitcnt vmcnt(0) lgkmcnt(0)
	v_mul_f64 v[8:9], v[8:9], s[6:7]
.LBB112_122:
	s_delay_alu instid0(VALU_DEP_1) | instskip(SKIP_4) | instid1(VALU_DEP_1)
	v_cvt_f32_f64_e32 v8, v[8:9]
	v_max_f32_e32 v9, v27, v27
	v_add_co_u32 v19, vcc_lo, v11, v6
	v_add_co_ci_u32_e32 v20, vcc_lo, v12, v7, vcc_lo
	v_add_nc_u32_e32 v17, 0x50, v10
	v_mad_i64_i32 v[13:14], null, v17, s11, 0
	s_delay_alu instid0(VALU_DEP_1) | instskip(SKIP_1) | instid1(VALU_DEP_1)
	v_lshlrev_b64 v[13:14], 3, v[13:14]
	v_min_f32_e32 v8, v8, v9
	v_cvt_f64_f32_e32 v[15:16], v8
	v_mad_i64_i32 v[8:9], null, v17, s12, 0
	s_delay_alu instid0(VALU_DEP_1) | instskip(SKIP_1) | instid1(VALU_DEP_2)
	v_lshlrev_b64 v[17:18], 3, v[8:9]
	v_max_f32_e32 v8, v251, v251
	v_add_co_u32 v11, vcc_lo, s3, v17
	s_delay_alu instid0(VALU_DEP_3)
	v_add_co_ci_u32_e32 v12, vcc_lo, s8, v18, vcc_lo
	v_add_co_u32 v13, vcc_lo, s4, v13
	v_add_co_ci_u32_e32 v14, vcc_lo, s5, v14, vcc_lo
	s_mov_b32 vcc_lo, s2
	global_store_b64 v[19:20], v[15:16], off
	s_cbranch_vccz .LBB112_125
; %bb.123:
	v_min_f32_e32 v9, 0, v8
	v_add_co_u32 v17, vcc_lo, v11, v0
	v_add_co_ci_u32_e32 v18, vcc_lo, v12, v1, vcc_lo
	s_delay_alu instid0(VALU_DEP_3)
	v_cvt_f64_f32_e32 v[15:16], v9
	s_mov_b64 s[0:1], 0
	global_store_b64 v[17:18], v[15:16], off
	s_cbranch_execz .LBB112_126
; %bb.124:
	v_dual_mov_b32 v9, s1 :: v_dual_mov_b32 v8, s0
	s_branch .LBB112_127
.LBB112_125:
                                        ; implicit-def: $sgpr0_sgpr1
.LBB112_126:
	v_add_co_u32 v15, vcc_lo, v13, v0
	v_add_co_ci_u32_e32 v16, vcc_lo, v14, v1, vcc_lo
	flat_load_b64 v[15:16], v[15:16]
	s_waitcnt vmcnt(0) lgkmcnt(0)
	v_mul_f64 v[15:16], v[15:16], s[6:7]
	s_delay_alu instid0(VALU_DEP_1)
	v_cvt_f32_f64_e32 v9, v[15:16]
	v_add_co_u32 v15, vcc_lo, v11, v0
	v_add_co_ci_u32_e32 v16, vcc_lo, v12, v1, vcc_lo
	v_add_co_u32 v17, vcc_lo, v13, v2
	v_add_co_ci_u32_e32 v18, vcc_lo, v14, v3, vcc_lo
	v_min_f32_e32 v8, v9, v8
	s_delay_alu instid0(VALU_DEP_1)
	v_cvt_f64_f32_e32 v[8:9], v8
	global_store_b64 v[15:16], v[8:9], off
	flat_load_b64 v[8:9], v[17:18]
	s_waitcnt vmcnt(0) lgkmcnt(0)
	v_mul_f64 v[8:9], v[8:9], s[6:7]
.LBB112_127:
	s_delay_alu instid0(VALU_DEP_1) | instskip(SKIP_4) | instid1(VALU_DEP_3)
	v_cvt_f32_f64_e32 v8, v[8:9]
	v_max_f32_e32 v9, v25, v25
	v_add_co_u32 v17, vcc_lo, v11, v2
	v_add_co_ci_u32_e32 v18, vcc_lo, v12, v3, vcc_lo
	s_mov_b32 vcc_lo, s2
	v_min_f32_e32 v8, v8, v9
	s_delay_alu instid0(VALU_DEP_1)
	v_cvt_f64_f32_e32 v[15:16], v8
	v_max_f32_e32 v8, v26, v26
	global_store_b64 v[17:18], v[15:16], off
	s_cbranch_vccz .LBB112_130
; %bb.128:
	v_min_f32_e32 v9, 0, v8
	v_add_co_u32 v17, vcc_lo, v11, v4
	v_add_co_ci_u32_e32 v18, vcc_lo, v12, v5, vcc_lo
	s_delay_alu instid0(VALU_DEP_3)
	v_cvt_f64_f32_e32 v[15:16], v9
	s_mov_b32 s0, 0
	global_store_b64 v[17:18], v[15:16], off
	s_cbranch_execz .LBB112_131
; %bb.129:
	v_mov_b32_e32 v8, s0
	s_branch .LBB112_132
.LBB112_130:
	s_mov_b32 s0, -1
.LBB112_131:
	v_add_co_u32 v15, vcc_lo, v13, v4
	v_add_co_ci_u32_e32 v16, vcc_lo, v14, v5, vcc_lo
	flat_load_b64 v[15:16], v[15:16]
	s_waitcnt vmcnt(0) lgkmcnt(0)
	v_mul_f64 v[15:16], v[15:16], s[6:7]
	s_delay_alu instid0(VALU_DEP_1)
	v_cvt_f32_f64_e32 v9, v[15:16]
	v_add_co_u32 v15, vcc_lo, v11, v4
	v_add_co_ci_u32_e32 v16, vcc_lo, v12, v5, vcc_lo
	v_add_co_u32 v13, vcc_lo, v13, v6
	v_add_co_ci_u32_e32 v14, vcc_lo, v14, v7, vcc_lo
	v_min_f32_e32 v8, v9, v8
	s_delay_alu instid0(VALU_DEP_1) | instskip(SKIP_4) | instid1(VALU_DEP_1)
	v_cvt_f64_f32_e32 v[8:9], v8
	global_store_b64 v[15:16], v[8:9], off
	flat_load_b64 v[8:9], v[13:14]
	s_waitcnt vmcnt(0) lgkmcnt(0)
	v_mul_f64 v[8:9], v[8:9], s[6:7]
	v_cvt_f32_f64_e32 v8, v[8:9]
.LBB112_132:
	s_delay_alu instid0(VALU_DEP_1) | instskip(SKIP_2) | instid1(VALU_DEP_3)
	v_dual_max_f32 v9, v41, v41 :: v_dual_max_f32 v8, v8, v8
	v_add_co_u32 v18, vcc_lo, v11, v6
	v_add_co_ci_u32_e32 v19, vcc_lo, v12, v7, vcc_lo
	v_dual_min_f32 v8, v8, v9 :: v_dual_add_nc_u32 v13, 0x58, v10
	s_delay_alu instid0(VALU_DEP_1) | instskip(NEXT) | instid1(VALU_DEP_2)
	v_cvt_f64_f32_e32 v[14:15], v8
	v_mad_i64_i32 v[8:9], null, v13, s12, 0
	v_mad_i64_i32 v[16:17], null, v13, s11, 0
	v_max_f32_e32 v13, v24, v24
	s_delay_alu instid0(VALU_DEP_3) | instskip(NEXT) | instid1(VALU_DEP_3)
	v_lshlrev_b64 v[8:9], 3, v[8:9]
	v_lshlrev_b64 v[11:12], 3, v[16:17]
	s_delay_alu instid0(VALU_DEP_2) | instskip(NEXT) | instid1(VALU_DEP_3)
	v_add_co_u32 v8, vcc_lo, s3, v8
	v_add_co_ci_u32_e32 v9, vcc_lo, s8, v9, vcc_lo
	s_delay_alu instid0(VALU_DEP_3) | instskip(NEXT) | instid1(VALU_DEP_4)
	v_add_co_u32 v11, vcc_lo, s4, v11
	v_add_co_ci_u32_e32 v12, vcc_lo, s5, v12, vcc_lo
	s_mov_b32 vcc_lo, s2
	global_store_b64 v[18:19], v[14:15], off
	s_cbranch_vccz .LBB112_135
; %bb.133:
	v_min_f32_e32 v14, 0, v13
	v_add_co_u32 v16, vcc_lo, v8, v0
	v_add_co_ci_u32_e32 v17, vcc_lo, v9, v1, vcc_lo
	s_delay_alu instid0(VALU_DEP_3)
	v_cvt_f64_f32_e32 v[14:15], v14
	s_mov_b32 s0, 0
	global_store_b64 v[16:17], v[14:15], off
	s_cbranch_execz .LBB112_136
; %bb.134:
	v_mov_b32_e32 v13, s0
	s_branch .LBB112_137
.LBB112_135:
	s_mov_b32 s0, -1
.LBB112_136:
	v_add_co_u32 v14, vcc_lo, v11, v0
	v_add_co_ci_u32_e32 v15, vcc_lo, v12, v1, vcc_lo
	flat_load_b64 v[14:15], v[14:15]
	s_waitcnt vmcnt(0) lgkmcnt(0)
	v_mul_f64 v[14:15], v[14:15], s[6:7]
	s_delay_alu instid0(VALU_DEP_1)
	v_cvt_f32_f64_e32 v14, v[14:15]
	v_add_co_u32 v15, vcc_lo, v8, v0
	v_add_co_ci_u32_e32 v16, vcc_lo, v9, v1, vcc_lo
	v_add_co_u32 v17, vcc_lo, v11, v2
	v_add_co_ci_u32_e32 v18, vcc_lo, v12, v3, vcc_lo
	v_min_f32_e32 v13, v14, v13
	s_delay_alu instid0(VALU_DEP_1) | instskip(SKIP_4) | instid1(VALU_DEP_1)
	v_cvt_f64_f32_e32 v[13:14], v13
	global_store_b64 v[15:16], v[13:14], off
	flat_load_b64 v[13:14], v[17:18]
	s_waitcnt vmcnt(0) lgkmcnt(0)
	v_mul_f64 v[13:14], v[13:14], s[6:7]
	v_cvt_f32_f64_e32 v13, v[13:14]
.LBB112_137:
	v_max_f32_e32 v14, v249, v249
	s_delay_alu instid0(VALU_DEP_2) | instskip(SKIP_2) | instid1(VALU_DEP_3)
	v_max_f32_e32 v13, v13, v13
	v_add_co_u32 v16, vcc_lo, v8, v2
	v_add_co_ci_u32_e32 v17, vcc_lo, v9, v3, vcc_lo
	v_min_f32_e32 v13, v13, v14
	s_mov_b32 vcc_lo, s2
	s_delay_alu instid0(VALU_DEP_1)
	v_cvt_f64_f32_e32 v[14:15], v13
	v_max_f32_e32 v13, v246, v246
	global_store_b64 v[16:17], v[14:15], off
	s_cbranch_vccz .LBB112_140
; %bb.138:
	v_min_f32_e32 v14, 0, v13
	v_add_co_u32 v16, vcc_lo, v8, v4
	v_add_co_ci_u32_e32 v17, vcc_lo, v9, v5, vcc_lo
	s_delay_alu instid0(VALU_DEP_3)
	v_cvt_f64_f32_e32 v[14:15], v14
	s_mov_b32 s0, 0
	global_store_b64 v[16:17], v[14:15], off
	s_cbranch_execz .LBB112_141
; %bb.139:
	v_mov_b32_e32 v11, s0
	s_branch .LBB112_142
.LBB112_140:
	s_mov_b32 s0, -1
.LBB112_141:
	v_add_co_u32 v14, vcc_lo, v11, v4
	v_add_co_ci_u32_e32 v15, vcc_lo, v12, v5, vcc_lo
	flat_load_b64 v[14:15], v[14:15]
	s_waitcnt vmcnt(0) lgkmcnt(0)
	v_mul_f64 v[14:15], v[14:15], s[6:7]
	s_delay_alu instid0(VALU_DEP_1)
	v_cvt_f32_f64_e32 v14, v[14:15]
	v_add_co_u32 v15, vcc_lo, v8, v4
	v_add_co_ci_u32_e32 v16, vcc_lo, v9, v5, vcc_lo
	v_add_co_u32 v11, vcc_lo, v11, v6
	v_add_co_ci_u32_e32 v12, vcc_lo, v12, v7, vcc_lo
	v_min_f32_e32 v13, v14, v13
	s_delay_alu instid0(VALU_DEP_1) | instskip(SKIP_4) | instid1(VALU_DEP_1)
	v_cvt_f64_f32_e32 v[13:14], v13
	global_store_b64 v[15:16], v[13:14], off
	flat_load_b64 v[11:12], v[11:12]
	s_waitcnt vmcnt(0) lgkmcnt(0)
	v_mul_f64 v[11:12], v[11:12], s[6:7]
	v_cvt_f32_f64_e32 v11, v[11:12]
.LBB112_142:
	s_delay_alu instid0(VALU_DEP_1) | instskip(SKIP_3) | instid1(VALU_DEP_4)
	v_dual_max_f32 v12, v178, v178 :: v_dual_max_f32 v11, v11, v11
	v_add_nc_u32_e32 v13, 0x60, v10
	v_add_co_u32 v18, vcc_lo, v8, v6
	v_add_co_ci_u32_e32 v19, vcc_lo, v9, v7, vcc_lo
	v_min_f32_e32 v11, v11, v12
	s_delay_alu instid0(VALU_DEP_4) | instskip(NEXT) | instid1(VALU_DEP_2)
	v_mad_i64_i32 v[16:17], null, v13, s11, 0
	v_cvt_f64_f32_e32 v[14:15], v11
	v_mad_i64_i32 v[11:12], null, v13, s12, 0
	v_max_f32_e32 v13, v229, v229
	s_delay_alu instid0(VALU_DEP_4) | instskip(NEXT) | instid1(VALU_DEP_3)
	v_lshlrev_b64 v[16:17], 3, v[16:17]
	v_lshlrev_b64 v[11:12], 3, v[11:12]
	s_delay_alu instid0(VALU_DEP_1) | instskip(NEXT) | instid1(VALU_DEP_2)
	v_add_co_u32 v8, vcc_lo, s3, v11
	v_add_co_ci_u32_e32 v9, vcc_lo, s8, v12, vcc_lo
	s_delay_alu instid0(VALU_DEP_4)
	v_add_co_u32 v11, vcc_lo, s4, v16
	v_add_co_ci_u32_e32 v12, vcc_lo, s5, v17, vcc_lo
	s_mov_b32 vcc_lo, s2
	global_store_b64 v[18:19], v[14:15], off
	s_cbranch_vccz .LBB112_145
; %bb.143:
	v_min_f32_e32 v14, 0, v13
	v_add_co_u32 v16, vcc_lo, v8, v0
	v_add_co_ci_u32_e32 v17, vcc_lo, v9, v1, vcc_lo
	s_delay_alu instid0(VALU_DEP_3)
	v_cvt_f64_f32_e32 v[14:15], v14
	s_mov_b32 s0, 0
	global_store_b64 v[16:17], v[14:15], off
	s_cbranch_execz .LBB112_146
; %bb.144:
	v_mov_b32_e32 v13, s0
	s_branch .LBB112_147
.LBB112_145:
	s_mov_b32 s0, -1
.LBB112_146:
	v_add_co_u32 v14, vcc_lo, v11, v0
	v_add_co_ci_u32_e32 v15, vcc_lo, v12, v1, vcc_lo
	flat_load_b64 v[14:15], v[14:15]
	s_waitcnt vmcnt(0) lgkmcnt(0)
	v_mul_f64 v[14:15], v[14:15], s[6:7]
	s_delay_alu instid0(VALU_DEP_1)
	v_cvt_f32_f64_e32 v14, v[14:15]
	v_add_co_u32 v15, vcc_lo, v8, v0
	v_add_co_ci_u32_e32 v16, vcc_lo, v9, v1, vcc_lo
	v_add_co_u32 v17, vcc_lo, v11, v2
	v_add_co_ci_u32_e32 v18, vcc_lo, v12, v3, vcc_lo
	v_min_f32_e32 v13, v14, v13
	s_delay_alu instid0(VALU_DEP_1) | instskip(SKIP_4) | instid1(VALU_DEP_1)
	v_cvt_f64_f32_e32 v[13:14], v13
	global_store_b64 v[15:16], v[13:14], off
	flat_load_b64 v[13:14], v[17:18]
	s_waitcnt vmcnt(0) lgkmcnt(0)
	v_mul_f64 v[13:14], v[13:14], s[6:7]
	v_cvt_f32_f64_e32 v13, v[13:14]
.LBB112_147:
	s_delay_alu instid0(VALU_DEP_1) | instskip(SKIP_2) | instid1(VALU_DEP_3)
	v_dual_max_f32 v14, v231, v231 :: v_dual_max_f32 v13, v13, v13
	v_add_co_u32 v16, vcc_lo, v8, v2
	v_add_co_ci_u32_e32 v17, vcc_lo, v9, v3, vcc_lo
	v_min_f32_e32 v13, v13, v14
	s_mov_b32 vcc_lo, s2
	s_delay_alu instid0(VALU_DEP_1)
	v_cvt_f64_f32_e32 v[14:15], v13
	v_max_f32_e32 v13, v227, v227
	global_store_b64 v[16:17], v[14:15], off
	s_cbranch_vccz .LBB112_150
; %bb.148:
	v_min_f32_e32 v14, 0, v13
	v_add_co_u32 v16, vcc_lo, v8, v4
	v_add_co_ci_u32_e32 v17, vcc_lo, v9, v5, vcc_lo
	s_delay_alu instid0(VALU_DEP_3)
	v_cvt_f64_f32_e32 v[14:15], v14
	s_mov_b32 s0, 0
	global_store_b64 v[16:17], v[14:15], off
	s_cbranch_execz .LBB112_151
; %bb.149:
	v_mov_b32_e32 v11, s0
	s_branch .LBB112_152
.LBB112_150:
	s_mov_b32 s0, -1
.LBB112_151:
	v_add_co_u32 v14, vcc_lo, v11, v4
	v_add_co_ci_u32_e32 v15, vcc_lo, v12, v5, vcc_lo
	flat_load_b64 v[14:15], v[14:15]
	s_waitcnt vmcnt(0) lgkmcnt(0)
	v_mul_f64 v[14:15], v[14:15], s[6:7]
	s_delay_alu instid0(VALU_DEP_1)
	v_cvt_f32_f64_e32 v14, v[14:15]
	v_add_co_u32 v15, vcc_lo, v8, v4
	v_add_co_ci_u32_e32 v16, vcc_lo, v9, v5, vcc_lo
	v_add_co_u32 v11, vcc_lo, v11, v6
	v_add_co_ci_u32_e32 v12, vcc_lo, v12, v7, vcc_lo
	v_min_f32_e32 v13, v14, v13
	s_delay_alu instid0(VALU_DEP_1) | instskip(SKIP_4) | instid1(VALU_DEP_1)
	v_cvt_f64_f32_e32 v[13:14], v13
	global_store_b64 v[15:16], v[13:14], off
	flat_load_b64 v[11:12], v[11:12]
	s_waitcnt vmcnt(0) lgkmcnt(0)
	v_mul_f64 v[11:12], v[11:12], s[6:7]
	v_cvt_f32_f64_e32 v11, v[11:12]
.LBB112_152:
	scratch_load_b32 v12, off, off          ; 4-byte Folded Reload
	v_add_nc_u32_e32 v13, 0x68, v10
	v_add_co_u32 v18, vcc_lo, v8, v6
	v_add_co_ci_u32_e32 v19, vcc_lo, v9, v7, vcc_lo
	s_delay_alu instid0(VALU_DEP_3) | instskip(SKIP_1) | instid1(VALU_DEP_2)
	v_mad_i64_i32 v[16:17], null, v13, s11, 0
	v_max_f32_e32 v11, v11, v11
	v_lshlrev_b64 v[16:17], 3, v[16:17]
	s_waitcnt vmcnt(0)
	v_max_f32_e32 v12, v12, v12
	s_delay_alu instid0(VALU_DEP_1) | instskip(NEXT) | instid1(VALU_DEP_1)
	v_min_f32_e32 v11, v11, v12
	v_cvt_f64_f32_e32 v[14:15], v11
	v_mad_i64_i32 v[11:12], null, v13, s12, 0
	v_max_f32_e32 v13, v225, v225
	s_delay_alu instid0(VALU_DEP_2) | instskip(NEXT) | instid1(VALU_DEP_1)
	v_lshlrev_b64 v[11:12], 3, v[11:12]
	v_add_co_u32 v8, vcc_lo, s3, v11
	s_delay_alu instid0(VALU_DEP_2)
	v_add_co_ci_u32_e32 v9, vcc_lo, s8, v12, vcc_lo
	v_add_co_u32 v11, vcc_lo, s4, v16
	v_add_co_ci_u32_e32 v12, vcc_lo, s5, v17, vcc_lo
	s_mov_b32 vcc_lo, s2
	global_store_b64 v[18:19], v[14:15], off
	s_cbranch_vccz .LBB112_155
; %bb.153:
	v_min_f32_e32 v14, 0, v13
	v_add_co_u32 v16, vcc_lo, v8, v0
	v_add_co_ci_u32_e32 v17, vcc_lo, v9, v1, vcc_lo
	s_delay_alu instid0(VALU_DEP_3)
	v_cvt_f64_f32_e32 v[14:15], v14
	s_mov_b32 s0, 0
	global_store_b64 v[16:17], v[14:15], off
	s_cbranch_execz .LBB112_156
; %bb.154:
	v_mov_b32_e32 v13, s0
	s_branch .LBB112_157
.LBB112_155:
	s_mov_b32 s0, -1
.LBB112_156:
	v_add_co_u32 v14, vcc_lo, v11, v0
	v_add_co_ci_u32_e32 v15, vcc_lo, v12, v1, vcc_lo
	flat_load_b64 v[14:15], v[14:15]
	s_waitcnt vmcnt(0) lgkmcnt(0)
	v_mul_f64 v[14:15], v[14:15], s[6:7]
	s_delay_alu instid0(VALU_DEP_1)
	v_cvt_f32_f64_e32 v14, v[14:15]
	v_add_co_u32 v15, vcc_lo, v8, v0
	v_add_co_ci_u32_e32 v16, vcc_lo, v9, v1, vcc_lo
	v_add_co_u32 v17, vcc_lo, v11, v2
	v_add_co_ci_u32_e32 v18, vcc_lo, v12, v3, vcc_lo
	v_min_f32_e32 v13, v14, v13
	s_delay_alu instid0(VALU_DEP_1) | instskip(SKIP_4) | instid1(VALU_DEP_1)
	v_cvt_f64_f32_e32 v[13:14], v13
	global_store_b64 v[15:16], v[13:14], off
	flat_load_b64 v[13:14], v[17:18]
	s_waitcnt vmcnt(0) lgkmcnt(0)
	v_mul_f64 v[13:14], v[13:14], s[6:7]
	v_cvt_f32_f64_e32 v13, v[13:14]
.LBB112_157:
	s_delay_alu instid0(VALU_DEP_1) | instskip(SKIP_2) | instid1(VALU_DEP_3)
	v_dual_max_f32 v14, v175, v175 :: v_dual_max_f32 v13, v13, v13
	v_add_co_u32 v16, vcc_lo, v8, v2
	v_add_co_ci_u32_e32 v17, vcc_lo, v9, v3, vcc_lo
	v_min_f32_e32 v13, v13, v14
	s_mov_b32 vcc_lo, s2
	s_delay_alu instid0(VALU_DEP_1)
	v_cvt_f64_f32_e32 v[14:15], v13
	v_max_f32_e32 v13, v223, v223
	global_store_b64 v[16:17], v[14:15], off
	s_cbranch_vccz .LBB112_160
; %bb.158:
	v_min_f32_e32 v14, 0, v13
	v_add_co_u32 v16, vcc_lo, v8, v4
	v_add_co_ci_u32_e32 v17, vcc_lo, v9, v5, vcc_lo
	s_delay_alu instid0(VALU_DEP_3)
	v_cvt_f64_f32_e32 v[14:15], v14
	s_mov_b32 s0, 0
	global_store_b64 v[16:17], v[14:15], off
	s_cbranch_execz .LBB112_161
; %bb.159:
	v_mov_b32_e32 v11, s0
	s_branch .LBB112_162
.LBB112_160:
	s_mov_b32 s0, -1
.LBB112_161:
	v_add_co_u32 v14, vcc_lo, v11, v4
	v_add_co_ci_u32_e32 v15, vcc_lo, v12, v5, vcc_lo
	flat_load_b64 v[14:15], v[14:15]
	s_waitcnt vmcnt(0) lgkmcnt(0)
	v_mul_f64 v[14:15], v[14:15], s[6:7]
	s_delay_alu instid0(VALU_DEP_1)
	v_cvt_f32_f64_e32 v14, v[14:15]
	v_add_co_u32 v15, vcc_lo, v8, v4
	v_add_co_ci_u32_e32 v16, vcc_lo, v9, v5, vcc_lo
	v_add_co_u32 v11, vcc_lo, v11, v6
	v_add_co_ci_u32_e32 v12, vcc_lo, v12, v7, vcc_lo
	v_min_f32_e32 v13, v14, v13
	s_delay_alu instid0(VALU_DEP_1) | instskip(SKIP_4) | instid1(VALU_DEP_1)
	v_cvt_f64_f32_e32 v[13:14], v13
	global_store_b64 v[15:16], v[13:14], off
	flat_load_b64 v[11:12], v[11:12]
	s_waitcnt vmcnt(0) lgkmcnt(0)
	v_mul_f64 v[11:12], v[11:12], s[6:7]
	v_cvt_f32_f64_e32 v11, v[11:12]
.LBB112_162:
	s_delay_alu instid0(VALU_DEP_1) | instskip(SKIP_3) | instid1(VALU_DEP_4)
	v_dual_max_f32 v12, v174, v174 :: v_dual_max_f32 v11, v11, v11
	v_add_nc_u32_e32 v13, 0x70, v10
	v_add_co_u32 v18, vcc_lo, v8, v6
	v_add_co_ci_u32_e32 v19, vcc_lo, v9, v7, vcc_lo
	v_min_f32_e32 v11, v11, v12
	s_delay_alu instid0(VALU_DEP_4) | instskip(NEXT) | instid1(VALU_DEP_2)
	v_mad_i64_i32 v[16:17], null, v13, s11, 0
	v_cvt_f64_f32_e32 v[14:15], v11
	v_mad_i64_i32 v[11:12], null, v13, s12, 0
	v_max_f32_e32 v13, v221, v221
	s_delay_alu instid0(VALU_DEP_4) | instskip(NEXT) | instid1(VALU_DEP_3)
	v_lshlrev_b64 v[16:17], 3, v[16:17]
	v_lshlrev_b64 v[11:12], 3, v[11:12]
	s_delay_alu instid0(VALU_DEP_1) | instskip(NEXT) | instid1(VALU_DEP_2)
	v_add_co_u32 v8, vcc_lo, s3, v11
	v_add_co_ci_u32_e32 v9, vcc_lo, s8, v12, vcc_lo
	s_delay_alu instid0(VALU_DEP_4)
	v_add_co_u32 v11, vcc_lo, s4, v16
	v_add_co_ci_u32_e32 v12, vcc_lo, s5, v17, vcc_lo
	s_mov_b32 vcc_lo, s2
	global_store_b64 v[18:19], v[14:15], off
	s_cbranch_vccz .LBB112_165
; %bb.163:
	v_min_f32_e32 v14, 0, v13
	v_add_co_u32 v16, vcc_lo, v8, v0
	v_add_co_ci_u32_e32 v17, vcc_lo, v9, v1, vcc_lo
	s_delay_alu instid0(VALU_DEP_3)
	v_cvt_f64_f32_e32 v[14:15], v14
	s_mov_b32 s0, 0
	global_store_b64 v[16:17], v[14:15], off
	s_cbranch_execz .LBB112_166
; %bb.164:
	v_mov_b32_e32 v13, s0
	s_branch .LBB112_167
.LBB112_165:
	s_mov_b32 s0, -1
.LBB112_166:
	v_add_co_u32 v14, vcc_lo, v11, v0
	v_add_co_ci_u32_e32 v15, vcc_lo, v12, v1, vcc_lo
	flat_load_b64 v[14:15], v[14:15]
	s_waitcnt vmcnt(0) lgkmcnt(0)
	v_mul_f64 v[14:15], v[14:15], s[6:7]
	s_delay_alu instid0(VALU_DEP_1)
	v_cvt_f32_f64_e32 v14, v[14:15]
	v_add_co_u32 v15, vcc_lo, v8, v0
	v_add_co_ci_u32_e32 v16, vcc_lo, v9, v1, vcc_lo
	v_add_co_u32 v17, vcc_lo, v11, v2
	v_add_co_ci_u32_e32 v18, vcc_lo, v12, v3, vcc_lo
	v_min_f32_e32 v13, v14, v13
	s_delay_alu instid0(VALU_DEP_1) | instskip(SKIP_4) | instid1(VALU_DEP_1)
	v_cvt_f64_f32_e32 v[13:14], v13
	global_store_b64 v[15:16], v[13:14], off
	flat_load_b64 v[13:14], v[17:18]
	s_waitcnt vmcnt(0) lgkmcnt(0)
	v_mul_f64 v[13:14], v[13:14], s[6:7]
	v_cvt_f32_f64_e32 v13, v[13:14]
.LBB112_167:
	s_delay_alu instid0(VALU_DEP_1) | instskip(SKIP_2) | instid1(VALU_DEP_3)
	v_dual_max_f32 v14, v196, v196 :: v_dual_max_f32 v13, v13, v13
	v_add_co_u32 v16, vcc_lo, v8, v2
	v_add_co_ci_u32_e32 v17, vcc_lo, v9, v3, vcc_lo
	v_min_f32_e32 v13, v13, v14
	s_mov_b32 vcc_lo, s2
	s_delay_alu instid0(VALU_DEP_1)
	v_cvt_f64_f32_e32 v[14:15], v13
	v_max_f32_e32 v13, v195, v195
	global_store_b64 v[16:17], v[14:15], off
	s_cbranch_vccz .LBB112_170
; %bb.168:
	v_min_f32_e32 v14, 0, v13
	v_add_co_u32 v16, vcc_lo, v8, v4
	v_add_co_ci_u32_e32 v17, vcc_lo, v9, v5, vcc_lo
	s_delay_alu instid0(VALU_DEP_3)
	v_cvt_f64_f32_e32 v[14:15], v14
	s_mov_b32 s0, 0
	global_store_b64 v[16:17], v[14:15], off
	s_cbranch_execz .LBB112_171
; %bb.169:
	v_mov_b32_e32 v11, s0
	s_branch .LBB112_172
.LBB112_170:
	s_mov_b32 s0, -1
.LBB112_171:
	v_add_co_u32 v14, vcc_lo, v11, v4
	v_add_co_ci_u32_e32 v15, vcc_lo, v12, v5, vcc_lo
	flat_load_b64 v[14:15], v[14:15]
	s_waitcnt vmcnt(0) lgkmcnt(0)
	v_mul_f64 v[14:15], v[14:15], s[6:7]
	s_delay_alu instid0(VALU_DEP_1)
	v_cvt_f32_f64_e32 v14, v[14:15]
	v_add_co_u32 v15, vcc_lo, v8, v4
	v_add_co_ci_u32_e32 v16, vcc_lo, v9, v5, vcc_lo
	v_add_co_u32 v11, vcc_lo, v11, v6
	v_add_co_ci_u32_e32 v12, vcc_lo, v12, v7, vcc_lo
	v_min_f32_e32 v13, v14, v13
	s_delay_alu instid0(VALU_DEP_1) | instskip(SKIP_4) | instid1(VALU_DEP_1)
	v_cvt_f64_f32_e32 v[13:14], v13
	global_store_b64 v[15:16], v[13:14], off
	flat_load_b64 v[11:12], v[11:12]
	s_waitcnt vmcnt(0) lgkmcnt(0)
	v_mul_f64 v[11:12], v[11:12], s[6:7]
	v_cvt_f32_f64_e32 v11, v[11:12]
.LBB112_172:
	s_delay_alu instid0(VALU_DEP_1) | instskip(SKIP_2) | instid1(VALU_DEP_3)
	v_dual_max_f32 v12, v172, v172 :: v_dual_max_f32 v11, v11, v11
	v_add_co_u32 v17, vcc_lo, v8, v6
	v_add_co_ci_u32_e32 v18, vcc_lo, v9, v7, vcc_lo
	v_dual_min_f32 v11, v11, v12 :: v_dual_add_nc_u32 v12, 0x78, v10
	s_delay_alu instid0(VALU_DEP_1) | instskip(NEXT) | instid1(VALU_DEP_2)
	v_cvt_f64_f32_e32 v[13:14], v11
	v_mad_i64_i32 v[10:11], null, v12, s12, 0
	v_mad_i64_i32 v[15:16], null, v12, s11, 0
	v_max_f32_e32 v12, v168, v168
	s_delay_alu instid0(VALU_DEP_3) | instskip(NEXT) | instid1(VALU_DEP_3)
	v_lshlrev_b64 v[10:11], 3, v[10:11]
	v_lshlrev_b64 v[15:16], 3, v[15:16]
	s_delay_alu instid0(VALU_DEP_2) | instskip(NEXT) | instid1(VALU_DEP_3)
	v_add_co_u32 v8, vcc_lo, s3, v10
	v_add_co_ci_u32_e32 v9, vcc_lo, s8, v11, vcc_lo
	s_delay_alu instid0(VALU_DEP_3) | instskip(NEXT) | instid1(VALU_DEP_4)
	v_add_co_u32 v10, vcc_lo, s4, v15
	v_add_co_ci_u32_e32 v11, vcc_lo, s5, v16, vcc_lo
	s_mov_b32 vcc_lo, s2
	global_store_b64 v[17:18], v[13:14], off
	s_cbranch_vccz .LBB112_175
; %bb.173:
	v_min_f32_e32 v13, 0, v12
	v_add_co_u32 v15, vcc_lo, v8, v0
	v_add_co_ci_u32_e32 v16, vcc_lo, v9, v1, vcc_lo
	s_delay_alu instid0(VALU_DEP_3)
	v_cvt_f64_f32_e32 v[13:14], v13
	s_mov_b32 s0, 0
	global_store_b64 v[15:16], v[13:14], off
	s_cbranch_execz .LBB112_176
; %bb.174:
	v_mov_b32_e32 v0, s0
	s_branch .LBB112_177
.LBB112_175:
	s_mov_b32 s0, -1
.LBB112_176:
	v_add_co_u32 v13, vcc_lo, v10, v0
	v_add_co_ci_u32_e32 v14, vcc_lo, v11, v1, vcc_lo
	v_add_co_u32 v0, vcc_lo, v8, v0
	v_add_co_ci_u32_e32 v1, vcc_lo, v9, v1, vcc_lo
	flat_load_b64 v[13:14], v[13:14]
	s_waitcnt vmcnt(0) lgkmcnt(0)
	v_mul_f64 v[13:14], v[13:14], s[6:7]
	s_delay_alu instid0(VALU_DEP_1) | instskip(SKIP_2) | instid1(VALU_DEP_3)
	v_cvt_f32_f64_e32 v13, v[13:14]
	v_add_co_u32 v14, vcc_lo, v10, v2
	v_add_co_ci_u32_e32 v15, vcc_lo, v11, v3, vcc_lo
	v_min_f32_e32 v12, v13, v12
	s_delay_alu instid0(VALU_DEP_1) | instskip(SKIP_4) | instid1(VALU_DEP_1)
	v_cvt_f64_f32_e32 v[12:13], v12
	global_store_b64 v[0:1], v[12:13], off
	flat_load_b64 v[0:1], v[14:15]
	s_waitcnt vmcnt(0) lgkmcnt(0)
	v_mul_f64 v[0:1], v[0:1], s[6:7]
	v_cvt_f32_f64_e32 v0, v[0:1]
.LBB112_177:
	s_delay_alu instid0(VALU_DEP_1) | instskip(NEXT) | instid1(VALU_DEP_1)
	v_dual_max_f32 v1, v171, v171 :: v_dual_max_f32 v0, v0, v0
	v_min_f32_e32 v0, v0, v1
	v_add_co_u32 v1, vcc_lo, v8, v2
	v_add_co_ci_u32_e32 v2, vcc_lo, v9, v3, vcc_lo
	s_delay_alu instid0(VALU_DEP_3)
	v_cvt_f64_f32_e32 v[12:13], v0
	v_max_f32_e32 v0, v170, v170
	s_mov_b32 vcc_lo, s2
	global_store_b64 v[1:2], v[12:13], off
	s_cbranch_vccz .LBB112_180
; %bb.178:
	v_min_f32_e32 v1, 0, v0
	v_add_co_u32 v12, vcc_lo, v8, v4
	v_add_co_ci_u32_e32 v13, vcc_lo, v9, v5, vcc_lo
	s_delay_alu instid0(VALU_DEP_3)
	v_cvt_f64_f32_e32 v[1:2], v1
	s_mov_b32 s0, 0
	global_store_b64 v[12:13], v[1:2], off
	s_cbranch_execz .LBB112_181
; %bb.179:
	v_mov_b32_e32 v0, s0
	s_branch .LBB112_182
.LBB112_180:
	s_mov_b32 s0, -1
.LBB112_181:
	v_add_co_u32 v1, vcc_lo, v10, v4
	v_add_co_ci_u32_e32 v2, vcc_lo, v11, v5, vcc_lo
	flat_load_b64 v[1:2], v[1:2]
	s_waitcnt vmcnt(0) lgkmcnt(0)
	v_mul_f64 v[1:2], v[1:2], s[6:7]
	s_delay_alu instid0(VALU_DEP_1)
	v_cvt_f32_f64_e32 v1, v[1:2]
	v_add_co_u32 v2, vcc_lo, v8, v4
	v_add_co_ci_u32_e32 v3, vcc_lo, v9, v5, vcc_lo
	v_add_co_u32 v4, vcc_lo, v10, v6
	v_add_co_ci_u32_e32 v5, vcc_lo, v11, v7, vcc_lo
	v_min_f32_e32 v0, v1, v0
	s_delay_alu instid0(VALU_DEP_1) | instskip(SKIP_4) | instid1(VALU_DEP_1)
	v_cvt_f64_f32_e32 v[0:1], v0
	global_store_b64 v[2:3], v[0:1], off
	flat_load_b64 v[0:1], v[4:5]
	s_waitcnt vmcnt(0) lgkmcnt(0)
	v_mul_f64 v[0:1], v[0:1], s[6:7]
	v_cvt_f32_f64_e32 v0, v[0:1]
.LBB112_182:
	s_delay_alu instid0(VALU_DEP_1) | instskip(SKIP_2) | instid1(VALU_DEP_3)
	v_dual_max_f32 v1, v173, v173 :: v_dual_max_f32 v0, v0, v0
	v_add_co_u32 v2, vcc_lo, v8, v6
	v_add_co_ci_u32_e32 v3, vcc_lo, v9, v7, vcc_lo
	v_min_f32_e32 v0, v0, v1
	s_delay_alu instid0(VALU_DEP_1)
	v_cvt_f64_f32_e32 v[0:1], v0
	global_store_b64 v[2:3], v[0:1], off
	s_endpgm
	.section	.rodata,"a",@progbits
	.p2align	6, 0x0
	.amdhsa_kernel _ZN12_GLOBAL__N_120geam_min_plus_kernelId15HIP_vector_typeIdLj2EEdLi32ELi8ELi128ELi128ELi4ELi4ELi64ELi4ELi64ELc84ELc78ELb1ELb0ELb1EdKPKdKPdEEviiiT16_PT17_ilSA_ilS8_SA_ilPT18_ili26rocblas_geam_ex_operation_
		.amdhsa_group_segment_fixed_size 16384
		.amdhsa_private_segment_fixed_size 424
		.amdhsa_kernarg_size 136
		.amdhsa_user_sgpr_count 14
		.amdhsa_user_sgpr_dispatch_ptr 0
		.amdhsa_user_sgpr_queue_ptr 0
		.amdhsa_user_sgpr_kernarg_segment_ptr 1
		.amdhsa_user_sgpr_dispatch_id 0
		.amdhsa_user_sgpr_private_segment_size 0
		.amdhsa_wavefront_size32 1
		.amdhsa_uses_dynamic_stack 0
		.amdhsa_enable_private_segment 1
		.amdhsa_system_sgpr_workgroup_id_x 1
		.amdhsa_system_sgpr_workgroup_id_y 0
		.amdhsa_system_sgpr_workgroup_id_z 1
		.amdhsa_system_sgpr_workgroup_info 0
		.amdhsa_system_vgpr_workitem_id 1
		.amdhsa_next_free_vgpr 256
		.amdhsa_next_free_sgpr 22
		.amdhsa_reserve_vcc 1
		.amdhsa_float_round_mode_32 0
		.amdhsa_float_round_mode_16_64 0
		.amdhsa_float_denorm_mode_32 3
		.amdhsa_float_denorm_mode_16_64 3
		.amdhsa_dx10_clamp 1
		.amdhsa_ieee_mode 1
		.amdhsa_fp16_overflow 0
		.amdhsa_workgroup_processor_mode 1
		.amdhsa_memory_ordered 1
		.amdhsa_forward_progress 0
		.amdhsa_shared_vgpr_count 0
		.amdhsa_exception_fp_ieee_invalid_op 0
		.amdhsa_exception_fp_denorm_src 0
		.amdhsa_exception_fp_ieee_div_zero 0
		.amdhsa_exception_fp_ieee_overflow 0
		.amdhsa_exception_fp_ieee_underflow 0
		.amdhsa_exception_fp_ieee_inexact 0
		.amdhsa_exception_int_div_zero 0
	.end_amdhsa_kernel
	.section	.text._ZN12_GLOBAL__N_120geam_min_plus_kernelId15HIP_vector_typeIdLj2EEdLi32ELi8ELi128ELi128ELi4ELi4ELi64ELi4ELi64ELc84ELc78ELb1ELb0ELb1EdKPKdKPdEEviiiT16_PT17_ilSA_ilS8_SA_ilPT18_ili26rocblas_geam_ex_operation_,"axG",@progbits,_ZN12_GLOBAL__N_120geam_min_plus_kernelId15HIP_vector_typeIdLj2EEdLi32ELi8ELi128ELi128ELi4ELi4ELi64ELi4ELi64ELc84ELc78ELb1ELb0ELb1EdKPKdKPdEEviiiT16_PT17_ilSA_ilS8_SA_ilPT18_ili26rocblas_geam_ex_operation_,comdat
.Lfunc_end112:
	.size	_ZN12_GLOBAL__N_120geam_min_plus_kernelId15HIP_vector_typeIdLj2EEdLi32ELi8ELi128ELi128ELi4ELi4ELi64ELi4ELi64ELc84ELc78ELb1ELb0ELb1EdKPKdKPdEEviiiT16_PT17_ilSA_ilS8_SA_ilPT18_ili26rocblas_geam_ex_operation_, .Lfunc_end112-_ZN12_GLOBAL__N_120geam_min_plus_kernelId15HIP_vector_typeIdLj2EEdLi32ELi8ELi128ELi128ELi4ELi4ELi64ELi4ELi64ELc84ELc78ELb1ELb0ELb1EdKPKdKPdEEviiiT16_PT17_ilSA_ilS8_SA_ilPT18_ili26rocblas_geam_ex_operation_
                                        ; -- End function
	.section	.AMDGPU.csdata,"",@progbits
; Kernel info:
; codeLenInByte = 23364
; NumSgprs: 24
; NumVgprs: 256
; ScratchSize: 424
; MemoryBound: 0
; FloatMode: 240
; IeeeMode: 1
; LDSByteSize: 16384 bytes/workgroup (compile time only)
; SGPRBlocks: 2
; VGPRBlocks: 31
; NumSGPRsForWavesPerEU: 24
; NumVGPRsForWavesPerEU: 256
; Occupancy: 5
; WaveLimiterHint : 1
; COMPUTE_PGM_RSRC2:SCRATCH_EN: 1
; COMPUTE_PGM_RSRC2:USER_SGPR: 14
; COMPUTE_PGM_RSRC2:TRAP_HANDLER: 0
; COMPUTE_PGM_RSRC2:TGID_X_EN: 1
; COMPUTE_PGM_RSRC2:TGID_Y_EN: 0
; COMPUTE_PGM_RSRC2:TGID_Z_EN: 1
; COMPUTE_PGM_RSRC2:TIDIG_COMP_CNT: 1
	.section	.text._ZN12_GLOBAL__N_120geam_min_plus_kernelId15HIP_vector_typeIdLj2EEdLi32ELi8ELi128ELi128ELi4ELi4ELi64ELi4ELi64ELc84ELc78ELb0ELb0ELb1EdKPKdKPdEEviiiT16_PT17_ilSA_ilS8_SA_ilPT18_ili26rocblas_geam_ex_operation_,"axG",@progbits,_ZN12_GLOBAL__N_120geam_min_plus_kernelId15HIP_vector_typeIdLj2EEdLi32ELi8ELi128ELi128ELi4ELi4ELi64ELi4ELi64ELc84ELc78ELb0ELb0ELb1EdKPKdKPdEEviiiT16_PT17_ilSA_ilS8_SA_ilPT18_ili26rocblas_geam_ex_operation_,comdat
	.globl	_ZN12_GLOBAL__N_120geam_min_plus_kernelId15HIP_vector_typeIdLj2EEdLi32ELi8ELi128ELi128ELi4ELi4ELi64ELi4ELi64ELc84ELc78ELb0ELb0ELb1EdKPKdKPdEEviiiT16_PT17_ilSA_ilS8_SA_ilPT18_ili26rocblas_geam_ex_operation_ ; -- Begin function _ZN12_GLOBAL__N_120geam_min_plus_kernelId15HIP_vector_typeIdLj2EEdLi32ELi8ELi128ELi128ELi4ELi4ELi64ELi4ELi64ELc84ELc78ELb0ELb0ELb1EdKPKdKPdEEviiiT16_PT17_ilSA_ilS8_SA_ilPT18_ili26rocblas_geam_ex_operation_
	.p2align	8
	.type	_ZN12_GLOBAL__N_120geam_min_plus_kernelId15HIP_vector_typeIdLj2EEdLi32ELi8ELi128ELi128ELi4ELi4ELi64ELi4ELi64ELc84ELc78ELb0ELb0ELb1EdKPKdKPdEEviiiT16_PT17_ilSA_ilS8_SA_ilPT18_ili26rocblas_geam_ex_operation_,@function
_ZN12_GLOBAL__N_120geam_min_plus_kernelId15HIP_vector_typeIdLj2EEdLi32ELi8ELi128ELi128ELi4ELi4ELi64ELi4ELi64ELc84ELc78ELb0ELb0ELb1EdKPKdKPdEEviiiT16_PT17_ilSA_ilS8_SA_ilPT18_ili26rocblas_geam_ex_operation_: ; @_ZN12_GLOBAL__N_120geam_min_plus_kernelId15HIP_vector_typeIdLj2EEdLi32ELi8ELi128ELi128ELi4ELi4ELi64ELi4ELi64ELc84ELc78ELb0ELb0ELb1EdKPKdKPdEEviiiT16_PT17_ilSA_ilS8_SA_ilPT18_ili26rocblas_geam_ex_operation_
; %bb.0:
	s_clause 0x1
	s_load_b128 s[8:11], s[0:1], 0x10
	s_load_b128 s[16:19], s[0:1], 0x28
	s_mov_b32 s22, s15
	s_mov_b64 s[12:13], 0
	s_waitcnt lgkmcnt(0)
	v_cmp_eq_f64_e64 s2, s[8:9], 0
	s_delay_alu instid0(VALU_DEP_1)
	s_and_b32 vcc_lo, exec_lo, s2
	s_cbranch_vccnz .LBB113_2
; %bb.1:
	s_mov_b32 s23, 0
	s_delay_alu instid0(SALU_CYCLE_1) | instskip(NEXT) | instid1(SALU_CYCLE_1)
	s_lshl_b64 s[4:5], s[22:23], 3
	s_add_u32 s4, s10, s4
	s_addc_u32 s5, s11, s5
	s_lshl_b64 s[6:7], s[16:17], 3
	s_load_b64 s[4:5], s[4:5], 0x0
	s_waitcnt lgkmcnt(0)
	s_add_u32 s12, s4, s6
	s_addc_u32 s13, s5, s7
.LBB113_2:
	s_clause 0x1
	s_load_b128 s[4:7], s[0:1], 0x40
	s_load_b64 s[10:11], s[0:1], 0x50
	s_and_not1_b32 vcc_lo, exec_lo, s2
	s_cbranch_vccnz .LBB113_4
; %bb.3:
	s_mov_b32 s23, 0
	s_mov_b64 s[20:21], 0
	s_cbranch_execz .LBB113_5
	s_branch .LBB113_6
.LBB113_4:
	s_mov_b32 s23, -1
                                        ; implicit-def: $sgpr20_sgpr21
.LBB113_5:
	s_mov_b32 s23, 0
	s_delay_alu instid0(SALU_CYCLE_1) | instskip(NEXT) | instid1(SALU_CYCLE_1)
	s_lshl_b64 s[2:3], s[22:23], 3
	s_add_u32 s2, s18, s2
	s_addc_u32 s3, s19, s3
	s_waitcnt lgkmcnt(0)
	s_lshl_b64 s[4:5], s[4:5], 3
	s_load_b64 s[2:3], s[2:3], 0x0
	s_waitcnt lgkmcnt(0)
	s_add_u32 s20, s2, s4
	s_addc_u32 s21, s3, s5
.LBB113_6:
	s_waitcnt lgkmcnt(0)
	v_cmp_eq_f64_e64 s2, s[6:7], 0
	v_cmp_neq_f64_e64 s15, s[8:9], 0
	s_load_b128 s[16:19], s[0:1], 0x60
	s_mov_b64 s[4:5], 0
	s_delay_alu instid0(VALU_DEP_2) | instskip(NEXT) | instid1(SALU_CYCLE_1)
	s_and_b32 s2, exec_lo, s2
	s_mov_b32 vcc_lo, s2
	s_cbranch_vccnz .LBB113_8
; %bb.7:
	s_lshl_b64 s[4:5], s[22:23], 3
	s_delay_alu instid0(SALU_CYCLE_1)
	s_add_u32 s4, s10, s4
	s_addc_u32 s5, s11, s5
	s_waitcnt lgkmcnt(0)
	s_lshl_b64 s[10:11], s[16:17], 3
	s_load_b64 s[4:5], s[4:5], 0x0
	s_waitcnt lgkmcnt(0)
	s_add_u32 s4, s4, s10
	s_addc_u32 s5, s5, s11
.LBB113_8:
	s_load_b32 s3, s[0:1], 0x0
	s_waitcnt lgkmcnt(0)
	s_load_b32 s17, s[0:1], 0x20
	s_lshl_b64 s[10:11], s[22:23], 3
	v_and_b32_e32 v44, 0x3ff, v0
	s_add_u32 s10, s18, s10
	s_addc_u32 s11, s19, s11
	v_bfe_u32 v93, v0, 10, 10
	s_load_b64 s[10:11], s[10:11], 0x0
	s_delay_alu instid0(VALU_DEP_1) | instskip(NEXT) | instid1(VALU_DEP_1)
	v_lshl_add_u32 v0, v93, 5, v44
	v_lshrrev_b32_e32 v20, 2, v0
	v_cndmask_b32_e64 v0, 0, 1, s15
	s_add_i32 s3, s3, -1
	s_delay_alu instid0(SALU_CYCLE_1) | instskip(NEXT) | instid1(SALU_CYCLE_1)
	s_ashr_i32 s16, s3, 31
	s_lshr_b32 s16, s16, 25
	s_delay_alu instid0(SALU_CYCLE_1) | instskip(NEXT) | instid1(SALU_CYCLE_1)
	s_add_i32 s3, s3, s16
	s_ashr_i32 s3, s3, 7
	s_delay_alu instid0(SALU_CYCLE_1) | instskip(SKIP_2) | instid1(VALU_DEP_1)
	s_add_i32 s18, s3, 1
	s_not_b32 s3, s3
	v_cvt_f32_u32_e32 v1, s18
	v_rcp_iflag_f32_e32 v1, v1
	s_waitcnt_depctr 0xfff
	v_mul_f32_e32 v1, 0x4f7ffffe, v1
	s_delay_alu instid0(VALU_DEP_1) | instskip(NEXT) | instid1(VALU_DEP_1)
	v_cvt_u32_f32_e32 v1, v1
	v_readfirstlane_b32 s16, v1
	v_and_b32_e32 v1, 3, v44
	s_delay_alu instid0(VALU_DEP_2) | instskip(NEXT) | instid1(VALU_DEP_1)
	s_mul_i32 s3, s3, s16
	v_lshlrev_b32_e32 v21, 3, v1
	s_mul_hi_u32 s3, s16, s3
	scratch_store_b32 off, v1, off offset:380 ; 4-byte Folded Spill
	s_add_i32 s16, s16, s3
	s_delay_alu instid0(SALU_CYCLE_1) | instskip(NEXT) | instid1(SALU_CYCLE_1)
	s_mul_hi_u32 s3, s14, s16
	s_mul_i32 s16, s3, s18
	s_add_i32 s19, s3, 1
	s_sub_i32 s16, s14, s16
	s_delay_alu instid0(SALU_CYCLE_1)
	s_sub_i32 s22, s16, s18
	s_cmp_ge_u32 s16, s18
	s_cselect_b32 s3, s19, s3
	s_cselect_b32 s16, s22, s16
	s_add_i32 s19, s3, 1
	s_cmp_ge_u32 s16, s18
	s_cselect_b32 s16, s19, s3
	s_and_not1_b32 vcc_lo, exec_lo, s15
	s_mul_i32 s3, s16, s18
	s_delay_alu instid0(SALU_CYCLE_1) | instskip(NEXT) | instid1(SALU_CYCLE_1)
	s_sub_i32 s3, s14, s3
	s_lshl_b32 s14, s3, 7
	v_cmp_ne_u32_e64 s3, 1, v0
	v_add_nc_u32_e32 v97, s14, v20
	s_delay_alu instid0(VALU_DEP_1)
	v_add_nc_u32_e32 v12, 64, v97
	s_cbranch_vccnz .LBB113_10
; %bb.9:
	s_waitcnt lgkmcnt(0)
	v_mad_i64_i32 v[0:1], null, v97, s17, 0
	s_delay_alu instid0(VALU_DEP_2) | instskip(SKIP_1) | instid1(VALU_DEP_1)
	v_mad_i64_i32 v[2:3], null, v12, s17, 0
	v_add_co_u32 v4, s15, s12, v21
	v_add_co_ci_u32_e64 v5, null, s13, 0, s15
	s_delay_alu instid0(VALU_DEP_4) | instskip(NEXT) | instid1(VALU_DEP_4)
	v_lshlrev_b64 v[0:1], 3, v[0:1]
	v_lshlrev_b64 v[2:3], 3, v[2:3]
	s_delay_alu instid0(VALU_DEP_2) | instskip(NEXT) | instid1(VALU_DEP_3)
	v_add_co_u32 v0, vcc_lo, v4, v0
	v_add_co_ci_u32_e32 v1, vcc_lo, v5, v1, vcc_lo
	s_delay_alu instid0(VALU_DEP_3) | instskip(NEXT) | instid1(VALU_DEP_4)
	v_add_co_u32 v2, vcc_lo, v4, v2
	v_add_co_ci_u32_e32 v3, vcc_lo, v5, v3, vcc_lo
	s_clause 0x1
	flat_load_b64 v[0:1], v[0:1]
	flat_load_b64 v[2:3], v[2:3]
	s_waitcnt vmcnt(1) lgkmcnt(1)
	v_mul_f64 v[0:1], v[0:1], s[8:9]
	s_waitcnt vmcnt(0) lgkmcnt(0)
	v_mul_f64 v[2:3], v[2:3], s[8:9]
	s_branch .LBB113_11
.LBB113_10:
	v_mov_b32_e32 v0, 0
	v_dual_mov_b32 v1, 0 :: v_dual_mov_b32 v2, 0
	v_mov_b32_e32 v3, 0
.LBB113_11:
	s_load_b32 s18, s[0:1], 0x38
	s_lshl_b32 s15, s16, 7
	s_and_b32 vcc_lo, exec_lo, s3
	v_add_nc_u32_e32 v14, s15, v20
	s_delay_alu instid0(VALU_DEP_1)
	v_add_nc_u32_e32 v16, 64, v14
	s_cbranch_vccnz .LBB113_14
; %bb.12:
	s_waitcnt lgkmcnt(0)
	v_mad_i64_i32 v[4:5], null, v14, s18, 0
	s_delay_alu instid0(VALU_DEP_2) | instskip(SKIP_1) | instid1(VALU_DEP_1)
	v_mad_i64_i32 v[6:7], null, v16, s18, 0
	v_add_co_u32 v8, s16, s20, v21
	v_add_co_ci_u32_e64 v9, null, s21, 0, s16
	s_delay_alu instid0(VALU_DEP_4) | instskip(NEXT) | instid1(VALU_DEP_4)
	v_lshlrev_b64 v[4:5], 3, v[4:5]
	v_lshlrev_b64 v[6:7], 3, v[6:7]
	s_delay_alu instid0(VALU_DEP_2) | instskip(NEXT) | instid1(VALU_DEP_3)
	v_add_co_u32 v4, vcc_lo, v8, v4
	v_add_co_ci_u32_e32 v5, vcc_lo, v9, v5, vcc_lo
	s_delay_alu instid0(VALU_DEP_3) | instskip(NEXT) | instid1(VALU_DEP_4)
	v_add_co_u32 v6, vcc_lo, v8, v6
	v_add_co_ci_u32_e32 v7, vcc_lo, v9, v7, vcc_lo
	s_clause 0x1
	flat_load_b64 v[4:5], v[4:5]
	flat_load_b64 v[6:7], v[6:7]
	s_waitcnt vmcnt(1) lgkmcnt(1)
	v_mul_f64 v[4:5], v[4:5], s[8:9]
	s_waitcnt vmcnt(0) lgkmcnt(0)
	v_mul_f64 v[6:7], v[6:7], s[8:9]
	s_and_b32 vcc_lo, exec_lo, s3
	scratch_store_b32 off, v12, off offset:328 ; 4-byte Folded Spill
	s_cbranch_vccnz .LBB113_15
.LBB113_13:
	s_waitcnt lgkmcnt(0)
	v_mad_i64_i32 v[8:9], null, v97, s17, 0
	v_mad_i64_i32 v[10:11], null, v12, s17, 0
	v_add_co_u32 v12, s16, s12, v21
	s_delay_alu instid0(VALU_DEP_1) | instskip(NEXT) | instid1(VALU_DEP_4)
	v_add_co_ci_u32_e64 v13, null, s13, 0, s16
	v_lshlrev_b64 v[8:9], 3, v[8:9]
	s_delay_alu instid0(VALU_DEP_4) | instskip(NEXT) | instid1(VALU_DEP_2)
	v_lshlrev_b64 v[10:11], 3, v[10:11]
	v_add_co_u32 v8, vcc_lo, v12, v8
	s_delay_alu instid0(VALU_DEP_3) | instskip(NEXT) | instid1(VALU_DEP_3)
	v_add_co_ci_u32_e32 v9, vcc_lo, v13, v9, vcc_lo
	v_add_co_u32 v10, vcc_lo, v12, v10
	s_delay_alu instid0(VALU_DEP_4)
	v_add_co_ci_u32_e32 v11, vcc_lo, v13, v11, vcc_lo
	s_clause 0x1
	flat_load_b64 v[8:9], v[8:9] offset:32
	flat_load_b64 v[10:11], v[10:11] offset:32
	s_waitcnt vmcnt(1) lgkmcnt(1)
	v_mul_f64 v[8:9], v[8:9], s[8:9]
	scratch_store_b64 off, v[8:9], off offset:288 ; 8-byte Folded Spill
	s_waitcnt vmcnt(0) lgkmcnt(0)
	v_mul_f64 v[8:9], v[10:11], s[8:9]
	s_branch .LBB113_16
.LBB113_14:
	v_mov_b32_e32 v4, 0
	v_dual_mov_b32 v5, 0 :: v_dual_mov_b32 v6, 0
	v_mov_b32_e32 v7, 0
	s_and_b32 vcc_lo, exec_lo, s3
	scratch_store_b32 off, v12, off offset:328 ; 4-byte Folded Spill
	s_cbranch_vccz .LBB113_13
.LBB113_15:
	v_mov_b32_e32 v8, 0
	v_mov_b32_e32 v9, 0
	scratch_store_b64 off, v[8:9], off offset:288 ; 8-byte Folded Spill
	v_mov_b32_e32 v8, 0
	v_mov_b32_e32 v9, 0
.LBB113_16:
	s_and_b32 vcc_lo, exec_lo, s3
	s_clause 0x2
	scratch_store_b64 off, v[8:9], off offset:304
	scratch_store_b32 off, v16, off offset:336
	scratch_store_b32 off, v14, off offset:344
	s_cbranch_vccnz .LBB113_18
; %bb.17:
	s_waitcnt lgkmcnt(0)
	v_mad_i64_i32 v[12:13], null, v14, s18, 0
	v_mad_i64_i32 v[14:15], null, v16, s18, 0
	v_add_co_u32 v8, s16, s20, v21
	s_delay_alu instid0(VALU_DEP_1) | instskip(NEXT) | instid1(VALU_DEP_4)
	v_add_co_ci_u32_e64 v9, null, s21, 0, s16
	v_lshlrev_b64 v[12:13], 3, v[12:13]
	s_delay_alu instid0(VALU_DEP_4) | instskip(NEXT) | instid1(VALU_DEP_2)
	v_lshlrev_b64 v[14:15], 3, v[14:15]
	v_add_co_u32 v12, vcc_lo, v8, v12
	s_delay_alu instid0(VALU_DEP_3) | instskip(NEXT) | instid1(VALU_DEP_3)
	v_add_co_ci_u32_e32 v13, vcc_lo, v9, v13, vcc_lo
	v_add_co_u32 v14, vcc_lo, v8, v14
	s_delay_alu instid0(VALU_DEP_4)
	v_add_co_ci_u32_e32 v15, vcc_lo, v9, v15, vcc_lo
	s_clause 0x1
	flat_load_b64 v[12:13], v[12:13] offset:32
	flat_load_b64 v[14:15], v[14:15] offset:32
	s_waitcnt vmcnt(1) lgkmcnt(1)
	v_mul_f64 v[8:9], v[12:13], s[8:9]
	scratch_store_b64 off, v[8:9], off offset:312 ; 8-byte Folded Spill
	s_waitcnt vmcnt(0) lgkmcnt(0)
	v_mul_f64 v[8:9], v[14:15], s[8:9]
	s_branch .LBB113_19
.LBB113_18:
	v_mov_b32_e32 v8, 0
	v_mov_b32_e32 v9, 0
	scratch_store_b64 off, v[8:9], off offset:312 ; 8-byte Folded Spill
	v_mov_b32_e32 v8, 0
	v_mov_b32_e32 v9, 0
.LBB113_19:
	scratch_store_b64 off, v[8:9], off offset:320 ; 8-byte Folded Spill
	v_lshl_or_b32 v8, v20, 5, v21
	v_dual_mov_b32 v255, 0x7f800000 :: v_dual_mov_b32 v228, 0x7f800000
	v_dual_mov_b32 v211, 0x7f800000 :: v_dual_mov_b32 v214, 0x7f800000
	ds_store_2addr_stride64_b64 v8, v[0:1], v[2:3] offset1:4
	v_add_nc_u32_e32 v0, 0x2000, v8
	v_dual_mov_b32 v213, 0x7f800000 :: v_dual_mov_b32 v230, 0x7f800000
	v_dual_mov_b32 v215, 0x7f800000 :: v_dual_mov_b32 v238, 0x7f800000
	;; [unrolled: 1-line block ×27, first 2 shown]
	v_mov_b32_e32 v171, 0x7f800000
	v_mov_b32_e32 v173, 0x7f800000
	;; [unrolled: 1-line block ×6, first 2 shown]
	s_mov_b32 s19, 0
	s_mov_b32 s16, -1
	s_clause 0x1
	scratch_store_b32 off, v0, off offset:384
	scratch_store_b32 off, v8, off offset:376
	ds_store_2addr_stride64_b64 v8, v[4:5], v[6:7] offset0:16 offset1:20
	s_waitcnt lgkmcnt(0)
	s_waitcnt_vscnt null, 0x0
	s_barrier
	buffer_gl0_inv
	s_clause 0x1
	scratch_store_b32 off, v44, off offset:296
	scratch_store_b32 off, v93, off offset:300
.LBB113_20:                             ; =>This Inner Loop Header: Depth=1
	s_lshl_b32 s19, s19, 3
	v_dual_mov_b32 v210, v113 :: v_dual_mov_b32 v221, v114
	s_waitcnt vmcnt(1)
	v_lshl_add_u32 v20, v93, 5, s19
	s_waitcnt vmcnt(0)
	v_lshl_add_u32 v8, v44, 5, s19
	v_dual_mov_b32 v206, v109 :: v_dual_mov_b32 v117, v234
	ds_load_b128 v[21:24], v20 offset:8192
	ds_load_b128 v[0:3], v8
	ds_load_b128 v[4:7], v8 offset:1024
	ds_load_b128 v[25:28], v20 offset:8448
	v_mov_b32_e32 v208, v111
	v_mov_b32_e32 v220, v115
	v_mov_b32_e32 v100, v233
	v_mov_b32_e32 v226, v155
	s_mov_b32 s19, 2
	s_and_not1_b32 vcc_lo, exec_lo, s16
	s_mov_b32 s16, 0
	s_waitcnt lgkmcnt(2)
	v_add_f64 v[9:10], v[2:3], v[23:24]
	scratch_store_b64 off, v[9:10], off offset:16 ; 8-byte Folded Spill
	v_add_f64 v[9:10], v[0:1], v[21:22]
	scratch_store_b64 off, v[9:10], off offset:48 ; 8-byte Folded Spill
	s_waitcnt lgkmcnt(1)
	v_add_f64 v[9:10], v[6:7], v[23:24]
	scratch_store_b64 off, v[9:10], off     ; 8-byte Folded Spill
	v_add_f64 v[9:10], v[4:5], v[21:22]
	scratch_store_b64 off, v[9:10], off offset:32 ; 8-byte Folded Spill
	ds_load_b128 v[29:32], v8 offset:2048
	ds_load_b128 v[33:36], v8 offset:3072
	s_waitcnt lgkmcnt(1)
	v_add_f64 v[8:9], v[31:32], v[23:24]
	scratch_store_b64 off, v[8:9], off offset:24 ; 8-byte Folded Spill
	v_add_f64 v[8:9], v[29:30], v[21:22]
	scratch_store_b64 off, v[8:9], off offset:56 ; 8-byte Folded Spill
	s_waitcnt lgkmcnt(0)
	v_add_f64 v[8:9], v[35:36], v[23:24]
	scratch_store_b64 off, v[8:9], off offset:8 ; 8-byte Folded Spill
	v_add_f64 v[8:9], v[33:34], v[21:22]
	scratch_store_b64 off, v[8:9], off offset:40 ; 8-byte Folded Spill
	;; [unrolled: 2-line block ×10, first 2 shown]
	ds_load_b128 v[21:24], v20 offset:8704
	ds_load_b128 v[25:28], v20 offset:8960
	s_waitcnt lgkmcnt(1)
	v_add_f64 v[8:9], v[2:3], v[23:24]
	scratch_store_b64 off, v[8:9], off offset:160 ; 8-byte Folded Spill
	v_add_f64 v[8:9], v[0:1], v[21:22]
	scratch_store_b64 off, v[8:9], off offset:184 ; 8-byte Folded Spill
	;; [unrolled: 2-line block ×8, first 2 shown]
	s_waitcnt lgkmcnt(0)
	v_add_f64 v[8:9], v[2:3], v[27:28]
	scratch_store_b64 off, v[8:9], off offset:192 ; 8-byte Folded Spill
	v_add_f64 v[8:9], v[0:1], v[25:26]
	scratch_store_b64 off, v[8:9], off offset:200 ; 8-byte Folded Spill
	;; [unrolled: 2-line block ×8, first 2 shown]
	ds_load_b128 v[21:24], v20 offset:9216
	ds_load_b128 v[25:28], v20 offset:9472
	s_waitcnt lgkmcnt(1)
	v_add_f64 v[8:9], v[6:7], v[23:24]
	v_add_f64 v[113:114], v[2:3], v[23:24]
	;; [unrolled: 1-line block ×5, first 2 shown]
	s_waitcnt lgkmcnt(0)
	v_add_f64 v[140:141], v[2:3], v[27:28]
	v_add_f64 v[189:190], v[0:1], v[25:26]
	;; [unrolled: 1-line block ×8, first 2 shown]
	scratch_store_b64 off, v[8:9], off offset:272 ; 8-byte Folded Spill
	v_add_f64 v[8:9], v[31:32], v[23:24]
	scratch_store_b64 off, v[8:9], off offset:264 ; 8-byte Folded Spill
	v_add_f64 v[8:9], v[35:36], v[23:24]
	;; [unrolled: 2-line block ×3, first 2 shown]
	scratch_store_b64 off, v[8:9], off offset:280 ; 8-byte Folded Spill
	ds_load_b128 v[21:24], v20 offset:9728
	ds_load_b128 v[25:28], v20 offset:9984
	s_waitcnt lgkmcnt(1)
	v_add_f64 v[203:204], v[2:3], v[23:24]
	v_add_f64 v[130:131], v[0:1], v[21:22]
	v_add_f64 v[138:139], v[6:7], v[23:24]
	v_add_f64 v[128:129], v[4:5], v[21:22]
	v_add_f64 v[136:137], v[31:32], v[23:24]
	v_add_f64 v[126:127], v[29:30], v[21:22]
	v_add_f64 v[134:135], v[35:36], v[23:24]
	v_add_f64 v[98:99], v[33:34], v[21:22]
	s_waitcnt lgkmcnt(0)
	v_add_f64 v[132:133], v[2:3], v[27:28]
	v_add_f64 v[142:143], v[0:1], v[25:26]
	v_add_f64 v[144:145], v[6:7], v[27:28]
	v_add_f64 v[146:147], v[4:5], v[25:26]
	v_add_f64 v[14:15], v[31:32], v[27:28]
	v_add_f64 v[150:151], v[29:30], v[25:26]
	v_add_f64 v[152:153], v[35:36], v[27:28]
	v_add_f64 v[233:234], v[33:34], v[25:26]
	ds_load_b128 v[21:24], v20 offset:10240
	ds_load_b128 v[25:28], v20 offset:10496
	s_waitcnt lgkmcnt(1)
	v_add_f64 v[154:155], v[2:3], v[23:24]
	v_add_f64 v[156:157], v[0:1], v[21:22]
	v_add_f64 v[239:240], v[6:7], v[23:24]
	v_add_f64 v[241:242], v[4:5], v[21:22]
	v_add_f64 v[243:244], v[31:32], v[23:24]
	v_add_f64 v[245:246], v[29:30], v[21:22]
	v_add_f64 v[247:248], v[35:36], v[23:24]
	v_add_f64 v[249:250], v[33:34], v[21:22]
	s_waitcnt lgkmcnt(0)
	v_add_f64 v[251:252], v[2:3], v[27:28]
	v_add_f64 v[253:254], v[0:1], v[25:26]
	v_add_f64 v[107:108], v[6:7], v[27:28]
	v_add_f64 v[103:104], v[4:5], v[25:26]
	v_add_f64 v[105:106], v[31:32], v[27:28]
	v_add_f64 v[95:96], v[29:30], v[25:26]
	v_add_f64 v[101:102], v[35:36], v[27:28]
	v_add_f64 v[124:125], v[33:34], v[25:26]
	;; [unrolled: 20-line block ×4, first 2 shown]
	ds_load_b128 v[21:24], v20 offset:11776
	ds_load_b128 v[25:28], v20 offset:12032
	s_waitcnt lgkmcnt(1)
	v_add_f64 v[8:9], v[0:1], v[21:22]
	v_add_f64 v[10:11], v[4:5], v[21:22]
	;; [unrolled: 1-line block ×4, first 2 shown]
	s_waitcnt lgkmcnt(0)
	v_add_f64 v[0:1], v[0:1], v[25:26]
	v_add_f64 v[4:5], v[4:5], v[25:26]
	;; [unrolled: 1-line block ×4, first 2 shown]
	scratch_load_b64 v[33:34], off, off offset:48 ; 8-byte Folded Reload
	v_add_f64 v[12:13], v[2:3], v[23:24]
	v_add_f64 v[2:3], v[2:3], v[27:28]
	;; [unrolled: 1-line block ×8, first 2 shown]
	v_cvt_f32_f64_e32 v8, v[8:9]
	v_cvt_f32_f64_e32 v0, v[0:1]
	;; [unrolled: 1-line block ×4, first 2 shown]
	s_delay_alu instid0(VALU_DEP_2) | instskip(SKIP_2) | instid1(VALU_DEP_4)
	v_min3_f32 v217, v8, v9, v217
	v_cvt_f32_f64_e32 v8, v[10:11]
	v_cvt_f32_f64_e32 v9, v[16:17]
	v_min3_f32 v213, v0, v1, v213
	v_cvt_f32_f64_e32 v0, v[4:5]
	v_cvt_f32_f64_e32 v1, v[6:7]
	s_delay_alu instid0(VALU_DEP_4) | instskip(SKIP_2) | instid1(VALU_DEP_4)
	v_min3_f32 v230, v8, v9, v230
	v_cvt_f32_f64_e32 v8, v[148:149]
	v_cvt_f32_f64_e32 v9, v[18:19]
	v_min3_f32 v228, v0, v1, v228
	v_cvt_f32_f64_e32 v0, v[29:30]
	v_cvt_f32_f64_e32 v1, v[31:32]
	s_delay_alu instid0(VALU_DEP_4) | instskip(SKIP_2) | instid1(VALU_DEP_4)
	v_min3_f32 v215, v8, v9, v215
	v_cvt_f32_f64_e32 v8, v[20:21]
	v_cvt_f32_f64_e32 v9, v[23:24]
	v_min3_f32 v211, v0, v1, v211
	v_cvt_f32_f64_e32 v0, v[25:26]
	v_cvt_f32_f64_e32 v1, v[27:28]
	s_delay_alu instid0(VALU_DEP_4) | instskip(NEXT) | instid1(VALU_DEP_2)
	v_min3_f32 v214, v8, v9, v214
	v_min3_f32 v255, v0, v1, v255
	s_waitcnt vmcnt(0)
	v_cvt_f32_f64_e32 v22, v[33:34]
	scratch_load_b64 v[33:34], off, off offset:16 ; 8-byte Folded Reload
	s_waitcnt vmcnt(0)
	v_cvt_f32_f64_e32 v33, v[33:34]
	s_delay_alu instid0(VALU_DEP_1)
	v_min3_f32 v183, v22, v33, v183
	scratch_load_b64 v[33:34], off, off offset:32 ; 8-byte Folded Reload
	s_waitcnt vmcnt(0)
	v_cvt_f32_f64_e32 v22, v[33:34]
	scratch_load_b64 v[33:34], off, off     ; 8-byte Folded Reload
	s_waitcnt vmcnt(0)
	v_cvt_f32_f64_e32 v33, v[33:34]
	s_delay_alu instid0(VALU_DEP_1)
	v_min3_f32 v182, v22, v33, v182
	scratch_load_b64 v[33:34], off, off offset:56 ; 8-byte Folded Reload
	s_waitcnt vmcnt(0)
	v_cvt_f32_f64_e32 v22, v[33:34]
	scratch_load_b64 v[33:34], off, off offset:24 ; 8-byte Folded Reload
	s_waitcnt vmcnt(0)
	v_cvt_f32_f64_e32 v33, v[33:34]
	s_delay_alu instid0(VALU_DEP_1)
	v_min3_f32 v181, v22, v33, v181
	scratch_load_b64 v[33:34], off, off offset:40 ; 8-byte Folded Reload
	s_waitcnt vmcnt(0)
	v_cvt_f32_f64_e32 v22, v[33:34]
	scratch_load_b64 v[33:34], off, off offset:8 ; 8-byte Folded Reload
	;; [unrolled: 8-line block ×14, first 2 shown]
	s_waitcnt vmcnt(0)
	v_cvt_f32_f64_e32 v33, v[33:34]
	s_delay_alu instid0(VALU_DEP_1) | instskip(SKIP_4) | instid1(VALU_DEP_3)
	v_min3_f32 v166, v22, v33, v166
	v_cvt_f32_f64_e32 v22, v[109:110]
	v_cvt_f32_f64_e32 v33, v[113:114]
	v_mov_b32_e32 v109, v206
	v_mov_b32_e32 v113, v210
	v_min3_f32 v165, v22, v33, v165
	scratch_load_b64 v[33:34], off, off offset:272 ; 8-byte Folded Reload
	v_cvt_f32_f64_e32 v22, v[111:112]
	v_dual_mov_b32 v111, v208 :: v_dual_mov_b32 v114, v221
	s_waitcnt vmcnt(0)
	v_cvt_f32_f64_e32 v33, v[33:34]
	s_delay_alu instid0(VALU_DEP_1)
	v_min3_f32 v164, v22, v33, v164
	scratch_load_b64 v[33:34], off, off offset:264 ; 8-byte Folded Reload
	v_cvt_f32_f64_e32 v22, v[115:116]
	v_mov_b32_e32 v115, v220
	s_waitcnt vmcnt(0)
	v_cvt_f32_f64_e32 v33, v[33:34]
	s_delay_alu instid0(VALU_DEP_1)
	v_min3_f32 v232, v22, v33, v232
	scratch_load_b64 v[33:34], off, off offset:280 ; 8-byte Folded Reload
	s_waitcnt vmcnt(0)
	v_cvt_f32_f64_e32 v22, v[33:34]
	scratch_load_b64 v[33:34], off, off offset:256 ; 8-byte Folded Reload
	s_waitcnt vmcnt(0)
	v_cvt_f32_f64_e32 v33, v[33:34]
	s_delay_alu instid0(VALU_DEP_1) | instskip(SKIP_2) | instid1(VALU_DEP_1)
	v_min3_f32 v231, v22, v33, v231
	v_cvt_f32_f64_e32 v22, v[189:190]
	v_cvt_f32_f64_e32 v33, v[140:141]
	v_min3_f32 v212, v22, v33, v212
	v_cvt_f32_f64_e32 v22, v[193:194]
	v_cvt_f32_f64_e32 v33, v[191:192]
	s_delay_alu instid0(VALU_DEP_1) | instskip(SKIP_2) | instid1(VALU_DEP_1)
	v_min3_f32 v188, v22, v33, v188
	v_cvt_f32_f64_e32 v22, v[197:198]
	v_cvt_f32_f64_e32 v33, v[195:196]
	v_min3_f32 v229, v22, v33, v229
	v_cvt_f32_f64_e32 v22, v[201:202]
	v_cvt_f32_f64_e32 v33, v[199:200]
	s_delay_alu instid0(VALU_DEP_1) | instskip(SKIP_2) | instid1(VALU_DEP_1)
	v_min3_f32 v216, v22, v33, v216
	v_cvt_f32_f64_e32 v22, v[130:131]
	v_cvt_f32_f64_e32 v33, v[203:204]
	v_min3_f32 v227, v22, v33, v227
	v_cvt_f32_f64_e32 v22, v[128:129]
	v_cvt_f32_f64_e32 v33, v[138:139]
	s_delay_alu instid0(VALU_DEP_1) | instskip(SKIP_2) | instid1(VALU_DEP_1)
	v_min3_f32 v114, v22, v33, v114
	v_cvt_f32_f64_e32 v22, v[126:127]
	v_cvt_f32_f64_e32 v33, v[136:137]
	v_min3_f32 v115, v22, v33, v115
	v_cvt_f32_f64_e32 v22, v[98:99]
	v_cvt_f32_f64_e32 v33, v[134:135]
	s_delay_alu instid0(VALU_DEP_1) | instskip(SKIP_2) | instid1(VALU_DEP_1)
	v_min3_f32 v218, v22, v33, v218
	v_cvt_f32_f64_e32 v22, v[142:143]
	v_cvt_f32_f64_e32 v33, v[132:133]
	v_min3_f32 v113, v22, v33, v113
	v_cvt_f32_f64_e32 v22, v[146:147]
	v_cvt_f32_f64_e32 v33, v[144:145]
	s_delay_alu instid0(VALU_DEP_1) | instskip(SKIP_2) | instid1(VALU_DEP_1)
	v_min3_f32 v209, v22, v33, v209
	v_cvt_f32_f64_e32 v22, v[150:151]
	v_cvt_f32_f64_e32 v33, v[14:15]
	v_min3_f32 v111, v22, v33, v111
	v_cvt_f32_f64_e32 v22, v[233:234]
	v_mov_b32_e32 v233, v100
	v_cvt_f32_f64_e32 v33, v[152:153]
	v_mov_b32_e32 v234, v117
	s_delay_alu instid0(VALU_DEP_2) | instskip(SKIP_3) | instid1(VALU_DEP_2)
	v_min3_f32 v207, v22, v33, v207
	v_cvt_f32_f64_e32 v22, v[156:157]
	v_cvt_f32_f64_e32 v33, v[154:155]
	v_mov_b32_e32 v155, v226
	v_min3_f32 v109, v22, v33, v109
	v_cvt_f32_f64_e32 v22, v[241:242]
	v_cvt_f32_f64_e32 v33, v[239:240]
	s_delay_alu instid0(VALU_DEP_1) | instskip(SKIP_2) | instid1(VALU_DEP_1)
	v_min3_f32 v205, v22, v33, v205
	v_cvt_f32_f64_e32 v22, v[245:246]
	v_cvt_f32_f64_e32 v33, v[243:244]
	v_min3_f32 v187, v22, v33, v187
	v_cvt_f32_f64_e32 v22, v[249:250]
	v_cvt_f32_f64_e32 v33, v[247:248]
	s_delay_alu instid0(VALU_DEP_1) | instskip(SKIP_2) | instid1(VALU_DEP_1)
	v_min3_f32 v186, v22, v33, v186
	v_cvt_f32_f64_e32 v22, v[253:254]
	v_cvt_f32_f64_e32 v33, v[251:252]
	;; [unrolled: 7-line block ×4, first 2 shown]
	v_min3_f32 v163, v22, v33, v163
	v_cvt_f32_f64_e32 v22, v[85:86]
	v_cvt_f32_f64_e32 v33, v[91:92]
	s_delay_alu instid0(VALU_DEP_1)
	v_min3_f32 v162, v22, v33, v162
	v_cvt_f32_f64_e32 v22, v[81:82]
	v_cvt_f32_f64_e32 v33, v[93:94]
	scratch_load_b32 v93, off, off offset:300 ; 4-byte Folded Reload
	v_min3_f32 v155, v22, v33, v155
	v_cvt_f32_f64_e32 v22, v[89:90]
	v_cvt_f32_f64_e32 v33, v[120:121]
	s_delay_alu instid0(VALU_DEP_1) | instskip(SKIP_2) | instid1(VALU_DEP_1)
	v_min3_f32 v160, v22, v33, v160
	v_cvt_f32_f64_e32 v22, v[75:76]
	v_cvt_f32_f64_e32 v33, v[79:80]
	v_min3_f32 v159, v22, v33, v159
	v_cvt_f32_f64_e32 v22, v[63:64]
	v_cvt_f32_f64_e32 v33, v[77:78]
	s_delay_alu instid0(VALU_DEP_1) | instskip(SKIP_2) | instid1(VALU_DEP_1)
	v_min3_f32 v158, v22, v33, v158
	v_cvt_f32_f64_e32 v22, v[122:123]
	v_cvt_f32_f64_e32 v33, v[73:74]
	v_min3_f32 v236, v22, v33, v236
	v_cvt_f32_f64_e32 v22, v[69:70]
	v_cvt_f32_f64_e32 v33, v[71:72]
	s_delay_alu instid0(VALU_DEP_1) | instskip(SKIP_2) | instid1(VALU_DEP_1)
	v_min3_f32 v234, v22, v33, v234
	v_cvt_f32_f64_e32 v22, v[37:38]
	v_cvt_f32_f64_e32 v33, v[118:119]
	v_min3_f32 v233, v22, v33, v233
	v_cvt_f32_f64_e32 v33, v[43:44]
	scratch_load_b32 v44, off, off offset:296 ; 4-byte Folded Reload
	v_cvt_f32_f64_e32 v22, v[39:40]
	s_delay_alu instid0(VALU_DEP_1) | instskip(SKIP_2) | instid1(VALU_DEP_1)
	v_min3_f32 v222, v22, v33, v222
	v_cvt_f32_f64_e32 v22, v[41:42]
	v_cvt_f32_f64_e32 v33, v[47:48]
	v_min3_f32 v225, v22, v33, v225
	v_cvt_f32_f64_e32 v22, v[45:46]
	v_cvt_f32_f64_e32 v33, v[51:52]
	s_delay_alu instid0(VALU_DEP_1) | instskip(SKIP_2) | instid1(VALU_DEP_1)
	v_min3_f32 v224, v22, v33, v224
	v_cvt_f32_f64_e32 v22, v[65:66]
	v_cvt_f32_f64_e32 v33, v[67:68]
	v_min3_f32 v223, v22, v33, v223
	v_cvt_f32_f64_e32 v22, v[59:60]
	;; [unrolled: 7-line block ×3, first 2 shown]
	v_cvt_f32_f64_e32 v33, v[49:50]
	s_delay_alu instid0(VALU_DEP_1)
	v_min3_f32 v237, v22, v33, v237
	s_cbranch_vccz .LBB113_20
; %bb.21:
	s_clause 0x2
	scratch_load_b32 v8, off, off offset:376
	scratch_load_b64 v[0:1], off, off offset:288
	scratch_load_b64 v[2:3], off, off offset:304
	s_load_b32 s19, s[0:1], 0x8
	v_dual_mov_b32 v90, v218 :: v_dual_mov_b32 v107, v187
	v_dual_mov_b32 v88, v209 :: v_dual_mov_b32 v37, v184
	;; [unrolled: 1-line block ×5, first 2 shown]
	v_mov_b32_e32 v36, v178
	v_mov_b32_e32 v226, v162
	v_dual_mov_b32 v100, v160 :: v_dual_mov_b32 v235, v158
	v_mov_b32_e32 v74, v159
	s_mov_b32 s16, 8
	s_waitcnt lgkmcnt(0)
	s_cmp_gt_i32 s19, 8
	s_waitcnt vmcnt(0)
	ds_store_2addr_stride64_b64 v8, v[0:1], v[2:3] offset0:8 offset1:12
	s_clause 0x1
	scratch_load_b64 v[0:1], off, off offset:312
	scratch_load_b64 v[2:3], off, off offset:320
	s_waitcnt vmcnt(0)
	ds_store_2addr_stride64_b64 v8, v[0:1], v[2:3] offset0:24 offset1:28
	s_waitcnt lgkmcnt(0)
	s_waitcnt_vscnt null, 0x0
	s_barrier
	buffer_gl0_inv
	s_cbranch_scc0 .LBB113_40
; %bb.22:
	s_clause 0x2
	scratch_load_b32 v4, off, off offset:328
	scratch_load_b32 v9, off, off offset:336
	;; [unrolled: 1-line block ×3, first 2 shown]
	v_mad_i64_i32 v[0:1], null, v97, s17, 0
	v_mov_b32_e32 v149, v222
	s_delay_alu instid0(VALU_DEP_2)
	v_lshlrev_b64 v[0:1], 3, v[0:1]
	scratch_store_b64 off, v[0:1], off offset:344 ; 8-byte Folded Spill
	s_waitcnt vmcnt(2)
	v_mad_i64_i32 v[2:3], null, v4, s17, 0
	s_waitcnt vmcnt(0)
	v_mad_i64_i32 v[4:5], null, v6, s18, 0
	v_mad_i64_i32 v[6:7], null, v9, s18, 0
	v_add_nc_u32_e32 v9, 0x1000, v8
	v_add_nc_u32_e32 v8, 0x3000, v8
	v_lshlrev_b64 v[0:1], 3, v[2:3]
	s_add_i32 s17, s19, -8
	s_mov_b32 s18, 0
	s_clause 0x2
	scratch_store_b32 off, v9, off offset:388
	scratch_store_b32 off, v8, off offset:392
	scratch_store_b64 off, v[0:1], off offset:352
	v_lshlrev_b64 v[0:1], 3, v[4:5]
	scratch_store_b64 off, v[0:1], off offset:360 ; 8-byte Folded Spill
	v_lshlrev_b64 v[0:1], 3, v[6:7]
	v_mov_b32_e32 v7, 0
	scratch_store_b64 off, v[0:1], off offset:368 ; 8-byte Folded Spill
	scratch_load_b32 v0, off, off offset:380 ; 4-byte Folded Reload
	s_and_b32 vcc_lo, exec_lo, s3
	s_waitcnt vmcnt(0)
	v_or_b32_e32 v6, s16, v0
	s_cbranch_vccz .LBB113_25
	s_branch .LBB113_24
.LBB113_23:
	s_clause 0x1
	scratch_load_b64 v[6:7], off, off offset:304
	scratch_load_b32 v0, off, off offset:380
	s_and_b32 vcc_lo, exec_lo, s3
	s_waitcnt vmcnt(0)
	v_or_b32_e32 v6, s16, v0
	s_cbranch_vccz .LBB113_25
.LBB113_24:
	v_mov_b32_e32 v0, 0
	v_mov_b32_e32 v1, 0
	scratch_store_b64 off, v[0:1], off offset:288 ; 8-byte Folded Spill
	v_mov_b32_e32 v0, 0
	v_mov_b32_e32 v1, 0
	s_branch .LBB113_26
.LBB113_25:
	s_delay_alu instid0(VALU_DEP_1)
	v_lshlrev_b64 v[0:1], 3, v[6:7]
	scratch_load_b64 v[4:5], off, off offset:352 ; 8-byte Folded Reload
	v_add_co_u32 v2, vcc_lo, s12, v0
	v_add_co_ci_u32_e32 v3, vcc_lo, s13, v1, vcc_lo
	scratch_load_b64 v[0:1], off, off offset:344 ; 8-byte Folded Reload
	s_waitcnt vmcnt(0)
	v_add_co_u32 v0, vcc_lo, v2, v0
	v_add_co_ci_u32_e32 v1, vcc_lo, v3, v1, vcc_lo
	v_add_co_u32 v2, vcc_lo, v2, v4
	v_add_co_ci_u32_e32 v3, vcc_lo, v3, v5, vcc_lo
	s_clause 0x1
	flat_load_b64 v[0:1], v[0:1]
	flat_load_b64 v[2:3], v[2:3]
	s_waitcnt vmcnt(1) lgkmcnt(1)
	v_mul_f64 v[0:1], v[0:1], s[8:9]
	scratch_store_b64 off, v[0:1], off offset:288 ; 8-byte Folded Spill
	s_waitcnt vmcnt(0) lgkmcnt(0)
	v_mul_f64 v[0:1], v[2:3], s[8:9]
.LBB113_26:
	v_mov_b32_e32 v154, v225
	v_mov_b32_e32 v148, v114
	;; [unrolled: 1-line block ×3, first 2 shown]
	s_and_b32 vcc_lo, exec_lo, s3
	s_clause 0x1
	scratch_store_b64 off, v[0:1], off offset:312
	scratch_store_b64 off, v[6:7], off offset:304
	s_cbranch_vccnz .LBB113_28
; %bb.27:
	v_lshlrev_b64 v[0:1], 3, v[6:7]
	scratch_load_b64 v[4:5], off, off offset:368 ; 8-byte Folded Reload
	v_add_co_u32 v2, vcc_lo, s20, v0
	v_add_co_ci_u32_e32 v3, vcc_lo, s21, v1, vcc_lo
	scratch_load_b64 v[0:1], off, off offset:360 ; 8-byte Folded Reload
	s_waitcnt vmcnt(0)
	v_add_co_u32 v0, vcc_lo, v2, v0
	v_add_co_ci_u32_e32 v1, vcc_lo, v3, v1, vcc_lo
	v_add_co_u32 v2, vcc_lo, v2, v4
	v_add_co_ci_u32_e32 v3, vcc_lo, v3, v5, vcc_lo
	s_clause 0x1
	flat_load_b64 v[0:1], v[0:1]
	flat_load_b64 v[2:3], v[2:3]
	s_waitcnt vmcnt(1) lgkmcnt(1)
	v_mul_f64 v[0:1], v[0:1], s[8:9]
	scratch_store_b64 off, v[0:1], off offset:320 ; 8-byte Folded Spill
	s_waitcnt vmcnt(0) lgkmcnt(0)
	v_mul_f64 v[0:1], v[2:3], s[8:9]
	s_branch .LBB113_29
.LBB113_28:
	v_mov_b32_e32 v0, 0
	v_mov_b32_e32 v1, 0
	scratch_store_b64 off, v[0:1], off offset:320 ; 8-byte Folded Spill
	v_mov_b32_e32 v0, 0
	v_mov_b32_e32 v1, 0
.LBB113_29:
	v_dual_mov_b32 v160, v237 :: v_dual_mov_b32 v237, v235
	v_dual_mov_b32 v222, v238 :: v_dual_mov_b32 v225, v100
	;; [unrolled: 1-line block ×3, first 2 shown]
	v_mov_b32_e32 v114, v90
	s_mov_b32 s22, 0
	s_mov_b32 s19, -1
	scratch_store_b64 off, v[0:1], off offset:328 ; 8-byte Folded Spill
.LBB113_30:                             ; =>This Inner Loop Header: Depth=1
	s_lshl_b32 s22, s22, 3
	v_mov_b32_e32 v210, v255
	v_lshl_add_u32 v189, v93, 5, s22
	v_lshl_add_u32 v8, v44, 5, s22
	s_mov_b32 s22, 2
	s_and_not1_b32 vcc_lo, exec_lo, s19
	s_mov_b32 s19, 0
	ds_load_b128 v[38:41], v189 offset:12288
	ds_load_b128 v[0:3], v8 offset:4096
	;; [unrolled: 1-line block ×4, first 2 shown]
	s_waitcnt lgkmcnt(2)
	v_add_f64 v[140:141], v[2:3], v[40:41]
	s_waitcnt lgkmcnt(1)
	v_add_f64 v[9:10], v[6:7], v[40:41]
	v_add_f64 v[142:143], v[0:1], v[38:39]
	s_delay_alu instid0(VALU_DEP_3)
	v_cvt_f32_f64_e32 v140, v[140:141]
	scratch_store_b64 off, v[9:10], off     ; 8-byte Folded Spill
	v_add_f64 v[9:10], v[4:5], v[38:39]
	v_cvt_f32_f64_e32 v142, v[142:143]
	scratch_store_b64 off, v[9:10], off offset:24 ; 8-byte Folded Spill
	ds_load_b128 v[190:193], v8 offset:6144
	ds_load_b128 v[194:197], v8 offset:7168
	v_min3_f32 v183, v142, v140, v183
	s_waitcnt lgkmcnt(1)
	v_add_f64 v[8:9], v[192:193], v[40:41]
	scratch_store_b64 off, v[8:9], off offset:16 ; 8-byte Folded Spill
	v_add_f64 v[8:9], v[190:191], v[38:39]
	scratch_store_b64 off, v[8:9], off offset:40 ; 8-byte Folded Spill
	s_waitcnt lgkmcnt(0)
	v_add_f64 v[8:9], v[196:197], v[40:41]
	scratch_store_b64 off, v[8:9], off offset:8 ; 8-byte Folded Spill
	v_add_f64 v[8:9], v[194:195], v[38:39]
	scratch_store_b64 off, v[8:9], off offset:32 ; 8-byte Folded Spill
	;; [unrolled: 2-line block ×10, first 2 shown]
	v_mov_b32_e32 v8, v71
	ds_load_b128 v[70:73], v189 offset:12800
	ds_load_b128 v[84:87], v189 offset:13056
	s_waitcnt lgkmcnt(1)
	v_add_f64 v[9:10], v[2:3], v[72:73]
	s_waitcnt lgkmcnt(0)
	v_add_f64 v[66:67], v[190:191], v[84:85]
	v_add_f64 v[54:55], v[194:195], v[84:85]
	scratch_store_b64 off, v[9:10], off offset:144 ; 8-byte Folded Spill
	v_add_f64 v[9:10], v[0:1], v[70:71]
	v_cvt_f32_f64_e32 v66, v[66:67]
	scratch_store_b64 off, v[9:10], off offset:168 ; 8-byte Folded Spill
	v_add_f64 v[9:10], v[6:7], v[72:73]
	scratch_store_b64 off, v[9:10], off offset:128 ; 8-byte Folded Spill
	v_add_f64 v[9:10], v[4:5], v[70:71]
	;; [unrolled: 2-line block ×5, first 2 shown]
	v_add_f64 v[72:73], v[0:1], v[84:85]
	scratch_store_b64 off, v[9:10], off offset:112 ; 8-byte Folded Spill
	v_add_f64 v[9:10], v[194:195], v[70:71]
	v_add_f64 v[70:71], v[4:5], v[84:85]
	v_cvt_f32_f64_e32 v72, v[72:73]
	scratch_store_b64 off, v[9:10], off offset:136 ; 8-byte Folded Spill
	v_add_f64 v[9:10], v[2:3], v[86:87]
	v_cvt_f32_f64_e32 v70, v[70:71]
	scratch_store_b64 off, v[9:10], off offset:176 ; 8-byte Folded Spill
	v_add_f64 v[9:10], v[6:7], v[86:87]
	scratch_store_b64 off, v[9:10], off offset:184 ; 8-byte Folded Spill
	v_add_f64 v[9:10], v[192:193], v[86:87]
	;; [unrolled: 2-line block ×3, first 2 shown]
	scratch_store_b64 off, v[9:10], off offset:200 ; 8-byte Folded Spill
	ds_load_b128 v[102:105], v189 offset:13312
	ds_load_b128 v[198:201], v189 offset:13568
	s_waitcnt lgkmcnt(1)
	v_add_f64 v[9:10], v[2:3], v[104:105]
	v_add_f64 v[30:31], v[0:1], v[102:103]
	s_waitcnt lgkmcnt(0)
	v_add_f64 v[86:87], v[190:191], v[198:199]
	v_add_f64 v[84:85], v[196:197], v[200:201]
	;; [unrolled: 1-line block ×3, first 2 shown]
	scratch_store_b64 off, v[9:10], off offset:240 ; 8-byte Folded Spill
	v_add_f64 v[9:10], v[6:7], v[104:105]
	v_cvt_f32_f64_e32 v30, v[30:31]
	v_cvt_f32_f64_e32 v28, v[28:29]
	;; [unrolled: 1-line block ×3, first 2 shown]
	scratch_store_b64 off, v[9:10], off offset:224 ; 8-byte Folded Spill
	v_add_f64 v[9:10], v[4:5], v[102:103]
	v_min3_f32 v216, v28, v29, v216
	scratch_store_b64 off, v[9:10], off offset:256 ; 8-byte Folded Spill
	v_add_f64 v[9:10], v[192:193], v[104:105]
	scratch_store_b64 off, v[9:10], off offset:216 ; 8-byte Folded Spill
	v_add_f64 v[9:10], v[190:191], v[102:103]
	;; [unrolled: 2-line block ×3, first 2 shown]
	v_add_f64 v[104:105], v[4:5], v[198:199]
	scratch_store_b64 off, v[9:10], off offset:208 ; 8-byte Folded Spill
	v_add_f64 v[9:10], v[194:195], v[102:103]
	v_add_f64 v[102:103], v[192:193], v[200:201]
	scratch_store_b64 off, v[9:10], off offset:232 ; 8-byte Folded Spill
	v_add_f64 v[9:10], v[2:3], v[200:201]
	scratch_store_b64 off, v[9:10], off offset:264 ; 8-byte Folded Spill
	v_add_f64 v[9:10], v[0:1], v[198:199]
	scratch_store_b64 off, v[9:10], off offset:272 ; 8-byte Folded Spill
	v_add_f64 v[9:10], v[6:7], v[200:201]
	scratch_store_b64 off, v[9:10], off offset:280 ; 8-byte Folded Spill
	ds_load_b128 v[198:201], v189 offset:13824
	ds_load_b128 v[202:205], v189 offset:14080
	s_waitcnt lgkmcnt(1)
	v_add_f64 v[152:153], v[2:3], v[200:201]
	v_add_f64 v[150:151], v[0:1], v[198:199]
	;; [unrolled: 1-line block ×8, first 2 shown]
	s_waitcnt lgkmcnt(0)
	v_add_f64 v[156:157], v[2:3], v[204:205]
	v_add_f64 v[186:187], v[0:1], v[202:203]
	v_add_f64 v[206:207], v[6:7], v[204:205]
	v_add_f64 v[158:159], v[4:5], v[202:203]
	v_add_f64 v[162:163], v[192:193], v[204:205]
	v_add_f64 v[220:221], v[190:191], v[202:203]
	v_add_f64 v[38:39], v[196:197], v[204:205]
	v_add_f64 v[34:35], v[194:195], v[202:203]
	ds_load_b128 v[198:201], v189 offset:14336
	ds_load_b128 v[202:205], v189 offset:14592
	s_waitcnt lgkmcnt(1)
	v_add_f64 v[238:239], v[2:3], v[200:201]
	v_add_f64 v[240:241], v[0:1], v[198:199]
	;; [unrolled: 1-line block ×8, first 2 shown]
	s_waitcnt lgkmcnt(0)
	v_add_f64 v[184:185], v[2:3], v[204:205]
	v_add_f64 v[32:33], v[0:1], v[202:203]
	;; [unrolled: 1-line block ×8, first 2 shown]
	ds_load_b128 v[198:201], v189 offset:14848
	ds_load_b128 v[202:205], v189 offset:15104
	v_cvt_f32_f64_e32 v28, v[150:151]
	v_cvt_f32_f64_e32 v29, v[152:153]
	s_waitcnt lgkmcnt(1)
	v_add_f64 v[16:17], v[2:3], v[200:201]
	v_add_f64 v[24:25], v[0:1], v[198:199]
	v_add_f64 v[254:255], v[6:7], v[200:201]
	v_add_f64 v[118:119], v[4:5], v[198:199]
	v_add_f64 v[42:43], v[192:193], v[200:201]
	v_add_f64 v[44:45], v[190:191], v[198:199]
	v_add_f64 v[46:47], v[196:197], v[200:201]
	v_add_f64 v[48:49], v[194:195], v[198:199]
	s_waitcnt lgkmcnt(0)
	v_add_f64 v[50:51], v[2:3], v[204:205]
	v_add_f64 v[56:57], v[0:1], v[202:203]
	;; [unrolled: 1-line block ×8, first 2 shown]
	ds_load_b128 v[198:201], v189 offset:15360
	ds_load_b128 v[202:205], v189 offset:15616
	v_cvt_f32_f64_e32 v9, v[184:185]
	v_min3_f32 v227, v28, v29, v227
	v_cvt_f32_f64_e32 v28, v[146:147]
	v_cvt_f32_f64_e32 v29, v[177:178]
	s_waitcnt lgkmcnt(1)
	v_add_f64 v[78:79], v[2:3], v[200:201]
	v_add_f64 v[80:81], v[0:1], v[198:199]
	;; [unrolled: 1-line block ×8, first 2 shown]
	s_waitcnt lgkmcnt(0)
	v_add_f64 v[90:91], v[2:3], v[204:205]
	v_add_f64 v[92:93], v[0:1], v[202:203]
	;; [unrolled: 1-line block ×8, first 2 shown]
	ds_load_b128 v[198:201], v189 offset:15872
	ds_load_b128 v[202:205], v189 offset:16128
	scratch_load_b64 v[140:141], off, off offset:24 ; 8-byte Folded Reload
	v_min3_f32 v148, v28, v29, v148
	v_cvt_f32_f64_e32 v28, v[144:145]
	v_cvt_f32_f64_e32 v29, v[40:41]
	s_waitcnt lgkmcnt(1)
	v_add_f64 v[116:117], v[2:3], v[200:201]
	v_add_f64 v[132:133], v[0:1], v[198:199]
	s_waitcnt lgkmcnt(0)
	v_add_f64 v[2:3], v[2:3], v[204:205]
	v_add_f64 v[0:1], v[0:1], v[202:203]
	;; [unrolled: 1-line block ×14, first 2 shown]
	v_min3_f32 v115, v28, v29, v115
	v_cvt_f32_f64_e32 v28, v[26:27]
	v_cvt_f32_f64_e32 v26, v[52:53]
	;; [unrolled: 1-line block ×5, first 2 shown]
	s_delay_alu instid0(VALU_DEP_4) | instskip(SKIP_1) | instid1(VALU_DEP_3)
	v_min3_f32 v114, v28, v26, v114
	v_cvt_f32_f64_e32 v26, v[186:187]
	v_min3_f32 v213, v0, v1, v213
	v_cvt_f32_f64_e32 v0, v[4:5]
	v_cvt_f32_f64_e32 v1, v[6:7]
	s_delay_alu instid0(VALU_DEP_4) | instskip(SKIP_2) | instid1(VALU_DEP_4)
	v_min3_f32 v113, v26, v27, v113
	v_cvt_f32_f64_e32 v26, v[158:159]
	v_cvt_f32_f64_e32 v27, v[206:207]
	v_min3_f32 v228, v0, v1, v228
	v_cvt_f32_f64_e32 v0, v[189:190]
	v_cvt_f32_f64_e32 v1, v[192:193]
	s_delay_alu instid0(VALU_DEP_4) | instskip(SKIP_2) | instid1(VALU_DEP_4)
	v_min3_f32 v112, v26, v27, v112
	v_cvt_f32_f64_e32 v26, v[220:221]
	v_cvt_f32_f64_e32 v27, v[162:163]
	v_min3_f32 v211, v0, v1, v211
	v_cvt_f32_f64_e32 v0, v[194:195]
	v_cvt_f32_f64_e32 v1, v[196:197]
	s_delay_alu instid0(VALU_DEP_4) | instskip(SKIP_2) | instid1(VALU_DEP_1)
	v_min3_f32 v111, v26, v27, v111
	v_cvt_f32_f64_e32 v26, v[34:35]
	v_cvt_f32_f64_e32 v27, v[38:39]
	v_min3_f32 v110, v26, v27, v110
	v_cvt_f32_f64_e32 v26, v[240:241]
	v_cvt_f32_f64_e32 v27, v[238:239]
	s_delay_alu instid0(VALU_DEP_1)
	v_min3_f32 v109, v26, v27, v109
	v_cvt_f32_f64_e32 v26, v[244:245]
	v_cvt_f32_f64_e32 v27, v[242:243]
	s_waitcnt vmcnt(0)
	v_cvt_f32_f64_e32 v140, v[140:141]
	scratch_load_b64 v[141:142], off, off   ; 8-byte Folded Reload
	v_min3_f32 v108, v26, v27, v108
	v_cvt_f32_f64_e32 v26, v[248:249]
	v_cvt_f32_f64_e32 v27, v[246:247]
	s_delay_alu instid0(VALU_DEP_1) | instskip(SKIP_2) | instid1(VALU_DEP_1)
	v_min3_f32 v107, v26, v27, v107
	v_cvt_f32_f64_e32 v26, v[252:253]
	v_cvt_f32_f64_e32 v27, v[250:251]
	v_min3_f32 v106, v26, v27, v106
	s_waitcnt vmcnt(0)
	v_cvt_f32_f64_e32 v141, v[141:142]
	s_delay_alu instid0(VALU_DEP_1)
	v_min3_f32 v182, v140, v141, v182
	scratch_load_b64 v[140:141], off, off offset:40 ; 8-byte Folded Reload
	s_waitcnt vmcnt(0)
	v_cvt_f32_f64_e32 v140, v[140:141]
	scratch_load_b64 v[141:142], off, off offset:16 ; 8-byte Folded Reload
	s_waitcnt vmcnt(0)
	v_cvt_f32_f64_e32 v141, v[141:142]
	s_delay_alu instid0(VALU_DEP_1)
	v_min3_f32 v181, v140, v141, v181
	scratch_load_b64 v[140:141], off, off offset:32 ; 8-byte Folded Reload
	s_waitcnt vmcnt(0)
	v_cvt_f32_f64_e32 v140, v[140:141]
	scratch_load_b64 v[141:142], off, off offset:8 ; 8-byte Folded Reload
	;; [unrolled: 8-line block ×10, first 2 shown]
	s_waitcnt vmcnt(0)
	v_cvt_f32_f64_e32 v141, v[141:142]
	s_delay_alu instid0(VALU_DEP_1) | instskip(SKIP_3) | instid1(VALU_DEP_1)
	v_min3_f32 v170, v140, v141, v170
	scratch_load_b64 v[140:141], off, off offset:176 ; 8-byte Folded Reload
	s_waitcnt vmcnt(0)
	v_cvt_f32_f64_e32 v73, v[140:141]
	v_min3_f32 v169, v72, v73, v169
	scratch_load_b64 v[71:72], off, off offset:184 ; 8-byte Folded Reload
	s_waitcnt vmcnt(0)
	v_cvt_f32_f64_e32 v71, v[71:72]
	scratch_load_b64 v[72:73], off, off offset:192 ; 8-byte Folded Reload
	v_min3_f32 v168, v70, v71, v168
	v_mov_b32_e32 v71, v8
	v_cvt_f32_f64_e32 v8, v[32:33]
	s_delay_alu instid0(VALU_DEP_1) | instskip(SKIP_2) | instid1(VALU_DEP_1)
	v_min3_f32 v71, v8, v9, v71
	v_cvt_f32_f64_e32 v8, v[12:13]
	v_cvt_f32_f64_e32 v9, v[10:11]
	v_min3_f32 v37, v8, v9, v37
	v_cvt_f32_f64_e32 v8, v[18:19]
	v_cvt_f32_f64_e32 v9, v[208:209]
	s_delay_alu instid0(VALU_DEP_1) | instskip(SKIP_2) | instid1(VALU_DEP_1)
	v_min3_f32 v36, v8, v9, v36
	v_cvt_f32_f64_e32 v8, v[22:23]
	v_cvt_f32_f64_e32 v9, v[20:21]
	v_min3_f32 v69, v8, v9, v69
	v_cvt_f32_f64_e32 v8, v[24:25]
	v_cvt_f32_f64_e32 v9, v[16:17]
	s_delay_alu instid0(VALU_DEP_1) | instskip(SKIP_3) | instid1(VALU_DEP_1)
	v_min3_f32 v68, v8, v9, v68
	v_cvt_f32_f64_e32 v8, v[118:119]
	v_cvt_f32_f64_e32 v9, v[254:255]
	v_mov_b32_e32 v255, v210
	v_min3_f32 v255, v0, v1, v255
	s_delay_alu instid0(VALU_DEP_3) | instskip(SKIP_3) | instid1(VALU_DEP_1)
	v_min3_f32 v226, v8, v9, v226
	v_cvt_f32_f64_e32 v8, v[44:45]
	scratch_load_b32 v44, off, off offset:296 ; 4-byte Folded Reload
	v_cvt_f32_f64_e32 v9, v[42:43]
	v_min3_f32 v155, v8, v9, v155
	v_cvt_f32_f64_e32 v8, v[48:49]
	s_waitcnt vmcnt(1)
	v_cvt_f32_f64_e32 v67, v[72:73]
	v_cvt_f32_f64_e32 v9, v[46:47]
	s_delay_alu instid0(VALU_DEP_2)
	v_min3_f32 v167, v66, v67, v167
	v_cvt_f32_f64_e32 v66, v[54:55]
	scratch_load_b64 v[54:55], off, off offset:200 ; 8-byte Folded Reload
	v_min3_f32 v225, v8, v9, v225
	v_cvt_f32_f64_e32 v8, v[56:57]
	v_cvt_f32_f64_e32 v9, v[50:51]
	s_delay_alu instid0(VALU_DEP_1) | instskip(SKIP_2) | instid1(VALU_DEP_1)
	v_min3_f32 v235, v8, v9, v235
	v_cvt_f32_f64_e32 v8, v[60:61]
	v_cvt_f32_f64_e32 v9, v[58:59]
	v_min3_f32 v237, v8, v9, v237
	v_cvt_f32_f64_e32 v8, v[64:65]
	v_cvt_f32_f64_e32 v9, v[62:63]
	s_delay_alu instid0(VALU_DEP_1) | instskip(SKIP_2) | instid1(VALU_DEP_1)
	v_min3_f32 v236, v8, v9, v236
	v_cvt_f32_f64_e32 v8, v[76:77]
	v_cvt_f32_f64_e32 v9, v[74:75]
	;; [unrolled: 7-line block ×4, first 2 shown]
	v_min3_f32 v224, v8, v9, v224
	v_cvt_f32_f64_e32 v8, v[92:93]
	scratch_load_b32 v93, off, off offset:300 ; 4-byte Folded Reload
	s_waitcnt vmcnt(1)
	v_cvt_f32_f64_e32 v54, v[54:55]
	v_cvt_f32_f64_e32 v9, v[90:91]
	s_delay_alu instid0(VALU_DEP_2) | instskip(SKIP_4) | instid1(VALU_DEP_1)
	v_min3_f32 v166, v66, v54, v166
	scratch_load_b64 v[54:55], off, off offset:240 ; 8-byte Folded Reload
	v_min3_f32 v223, v8, v9, v223
	v_cvt_f32_f64_e32 v8, v[96:97]
	v_cvt_f32_f64_e32 v9, v[94:95]
	v_min3_f32 v222, v8, v9, v222
	v_cvt_f32_f64_e32 v8, v[98:99]
	v_cvt_f32_f64_e32 v9, v[128:129]
	s_delay_alu instid0(VALU_DEP_1) | instskip(SKIP_2) | instid1(VALU_DEP_1)
	v_min3_f32 v161, v8, v9, v161
	v_cvt_f32_f64_e32 v8, v[130:131]
	v_cvt_f32_f64_e32 v9, v[100:101]
	v_min3_f32 v160, v8, v9, v160
	v_cvt_f32_f64_e32 v8, v[132:133]
	v_cvt_f32_f64_e32 v9, v[116:117]
	s_delay_alu instid0(VALU_DEP_1) | instskip(SKIP_2) | instid1(VALU_DEP_1)
	;; [unrolled: 7-line block ×3, first 2 shown]
	v_min3_f32 v215, v8, v9, v215
	v_cvt_f32_f64_e32 v8, v[198:199]
	v_cvt_f32_f64_e32 v9, v[200:201]
	v_min3_f32 v214, v8, v9, v214
	s_waitcnt vmcnt(0)
	v_cvt_f32_f64_e32 v31, v[54:55]
	scratch_load_b64 v[54:55], off, off offset:224 ; 8-byte Folded Reload
	v_min3_f32 v165, v30, v31, v165
	scratch_load_b64 v[30:31], off, off offset:256 ; 8-byte Folded Reload
	s_waitcnt vmcnt(0)
	v_cvt_f32_f64_e32 v30, v[30:31]
	v_cvt_f32_f64_e32 v31, v[54:55]
	scratch_load_b64 v[54:55], off, off offset:216 ; 8-byte Folded Reload
	v_min3_f32 v164, v30, v31, v164
	scratch_load_b64 v[30:31], off, off offset:248 ; 8-byte Folded Reload
	s_waitcnt vmcnt(0)
	v_cvt_f32_f64_e32 v30, v[30:31]
	;; [unrolled: 6-line block ×4, first 2 shown]
	v_cvt_f32_f64_e32 v31, v[54:55]
	scratch_load_b64 v[54:55], off, off offset:280 ; 8-byte Folded Reload
	v_min3_f32 v212, v30, v31, v212
	v_cvt_f32_f64_e32 v30, v[104:105]
	s_waitcnt vmcnt(0)
	v_cvt_f32_f64_e32 v31, v[54:55]
	s_delay_alu instid0(VALU_DEP_1) | instskip(SKIP_2) | instid1(VALU_DEP_1)
	v_min3_f32 v188, v30, v31, v188
	v_cvt_f32_f64_e32 v30, v[86:87]
	v_cvt_f32_f64_e32 v31, v[102:103]
	v_min3_f32 v229, v30, v31, v229
	s_cbranch_vccz .LBB113_30
; %bb.31:
	s_clause 0x2
	scratch_load_b32 v0, off, off offset:376
	scratch_load_b64 v[1:2], off, off offset:288
	scratch_load_b64 v[3:4], off, off offset:312
	v_mov_b32_e32 v88, v112
	v_mov_b32_e32 v100, v225
	v_dual_mov_b32 v74, v235 :: v_dual_mov_b32 v235, v237
	v_dual_mov_b32 v237, v160 :: v_dual_mov_b32 v238, v222
	s_and_b32 vcc_lo, exec_lo, s3
	s_waitcnt vmcnt(0)
	ds_store_2addr_stride64_b64 v0, v[1:2], v[3:4] offset1:4
	s_clause 0x2
	scratch_load_b32 v0, off, off offset:384
	scratch_load_b64 v[1:2], off, off offset:320
	scratch_load_b64 v[3:4], off, off offset:328
	s_waitcnt vmcnt(0)
	ds_store_2addr_stride64_b64 v0, v[1:2], v[3:4] offset1:4
	s_waitcnt lgkmcnt(0)
	s_waitcnt_vscnt null, 0x0
	s_barrier
	buffer_gl0_inv
	s_cbranch_vccnz .LBB113_33
; %bb.32:
	s_clause 0x1
	scratch_load_b64 v[6:7], off, off offset:304
	scratch_load_b64 v[4:5], off, off offset:352
	v_mov_b32_e32 v77, v68
	s_waitcnt vmcnt(1)
	v_lshlrev_b64 v[0:1], 3, v[6:7]
	s_delay_alu instid0(VALU_DEP_1) | instskip(NEXT) | instid1(VALU_DEP_2)
	v_add_co_u32 v2, vcc_lo, s12, v0
	v_add_co_ci_u32_e32 v3, vcc_lo, s13, v1, vcc_lo
	scratch_load_b64 v[0:1], off, off offset:344 ; 8-byte Folded Reload
	s_waitcnt vmcnt(0)
	v_add_co_u32 v0, vcc_lo, v2, v0
	v_add_co_ci_u32_e32 v1, vcc_lo, v3, v1, vcc_lo
	v_add_co_u32 v2, vcc_lo, v2, v4
	v_add_co_ci_u32_e32 v3, vcc_lo, v3, v5, vcc_lo
	s_clause 0x1
	flat_load_b64 v[0:1], v[0:1] offset:32
	flat_load_b64 v[2:3], v[2:3] offset:32
	s_waitcnt vmcnt(1) lgkmcnt(1)
	v_mul_f64 v[0:1], v[0:1], s[8:9]
	scratch_store_b64 off, v[0:1], off offset:312 ; 8-byte Folded Spill
	s_waitcnt vmcnt(0) lgkmcnt(0)
	v_mul_f64 v[0:1], v[2:3], s[8:9]
	s_branch .LBB113_34
.LBB113_33:
	scratch_load_b64 v[6:7], off, off offset:304 ; 8-byte Folded Reload
	v_dual_mov_b32 v0, 0 :: v_dual_mov_b32 v77, v68
	v_mov_b32_e32 v1, 0
	scratch_store_b64 off, v[0:1], off offset:312 ; 8-byte Folded Spill
	v_mov_b32_e32 v0, 0
	v_mov_b32_e32 v1, 0
.LBB113_34:
	scratch_store_b64 off, v[0:1], off offset:320 ; 8-byte Folded Spill
	v_mov_b32_e32 v75, v155
	v_dual_mov_b32 v67, v149 :: v_dual_mov_b32 v160, v223
	s_and_b32 vcc_lo, exec_lo, s3
	s_cbranch_vccnz .LBB113_36
; %bb.35:
	s_waitcnt vmcnt(0)
	v_lshlrev_b64 v[0:1], 3, v[6:7]
	scratch_load_b64 v[4:5], off, off offset:368 ; 8-byte Folded Reload
	v_add_co_u32 v2, vcc_lo, s20, v0
	v_add_co_ci_u32_e32 v3, vcc_lo, s21, v1, vcc_lo
	scratch_load_b64 v[0:1], off, off offset:360 ; 8-byte Folded Reload
	s_waitcnt vmcnt(0)
	v_add_co_u32 v0, vcc_lo, v2, v0
	v_add_co_ci_u32_e32 v1, vcc_lo, v3, v1, vcc_lo
	v_add_co_u32 v2, vcc_lo, v2, v4
	v_add_co_ci_u32_e32 v3, vcc_lo, v3, v5, vcc_lo
	s_clause 0x1
	flat_load_b64 v[0:1], v[0:1] offset:32
	flat_load_b64 v[2:3], v[2:3] offset:32
	s_waitcnt vmcnt(1) lgkmcnt(1)
	v_mul_f64 v[0:1], v[0:1], s[8:9]
	scratch_store_b64 off, v[0:1], off offset:328 ; 8-byte Folded Spill
	s_waitcnt vmcnt(0) lgkmcnt(0)
	v_mul_f64 v[0:1], v[2:3], s[8:9]
	s_branch .LBB113_37
.LBB113_36:
	v_mov_b32_e32 v0, 0
	v_mov_b32_e32 v1, 0
	scratch_store_b64 off, v[0:1], off offset:328 ; 8-byte Folded Spill
	v_mov_b32_e32 v0, 0
	v_mov_b32_e32 v1, 0
.LBB113_37:
	v_dual_mov_b32 v218, v224 :: v_dual_mov_b32 v83, v110
	v_mov_b32_e32 v66, v154
	v_mov_b32_e32 v76, v226
	;; [unrolled: 1-line block ×7, first 2 shown]
	s_mov_b32 s22, 0
	s_mov_b32 s19, -1
	scratch_store_b64 off, v[0:1], off offset:336 ; 8-byte Folded Spill
.LBB113_38:                             ; =>This Inner Loop Header: Depth=1
	s_lshl_b32 s22, s22, 3
	v_dual_mov_b32 v47, v71 :: v_dual_mov_b32 v36, v213
	v_lshl_add_u32 v16, v93, 5, s22
	v_lshl_add_u32 v8, v44, 5, s22
	v_dual_mov_b32 v81, v107 :: v_dual_mov_b32 v50, v214
	ds_load_b128 v[38:41], v16 offset:8192
	ds_load_b128 v[0:3], v8
	s_waitcnt vmcnt(0)
	ds_load_b128 v[4:7], v8 offset:1024
	ds_load_b128 v[52:55], v16 offset:8448
	v_mov_b32_e32 v89, v113
	v_mov_b32_e32 v29, v69
	s_mov_b32 s22, 2
	s_and_not1_b32 vcc_lo, exec_lo, s19
	s_mov_b32 s19, 0
	s_waitcnt lgkmcnt(2)
	v_add_f64 v[96:97], v[2:3], v[40:41]
	s_waitcnt lgkmcnt(1)
	v_add_f64 v[9:10], v[6:7], v[40:41]
	v_add_f64 v[98:99], v[0:1], v[38:39]
	scratch_store_b64 off, v[9:10], off     ; 8-byte Folded Spill
	v_add_f64 v[9:10], v[4:5], v[38:39]
	scratch_store_b64 off, v[9:10], off offset:24 ; 8-byte Folded Spill
	ds_load_b128 v[189:192], v8 offset:2048
	ds_load_b128 v[193:196], v8 offset:3072
	s_waitcnt lgkmcnt(1)
	v_add_f64 v[8:9], v[191:192], v[40:41]
	scratch_store_b64 off, v[8:9], off offset:16 ; 8-byte Folded Spill
	v_add_f64 v[8:9], v[189:190], v[38:39]
	scratch_store_b64 off, v[8:9], off offset:40 ; 8-byte Folded Spill
	s_waitcnt lgkmcnt(0)
	v_add_f64 v[8:9], v[195:196], v[40:41]
	scratch_store_b64 off, v[8:9], off offset:8 ; 8-byte Folded Spill
	v_add_f64 v[8:9], v[193:194], v[38:39]
	scratch_store_b64 off, v[8:9], off offset:32 ; 8-byte Folded Spill
	;; [unrolled: 2-line block ×9, first 2 shown]
	v_add_f64 v[8:9], v[193:194], v[52:53]
	v_cvt_f32_f64_e32 v53, v[96:97]
	scratch_store_b64 off, v[8:9], off offset:104 ; 8-byte Folded Spill
	ds_load_b128 v[70:73], v16 offset:8704
	ds_load_b128 v[84:87], v16 offset:8960
	s_waitcnt lgkmcnt(1)
	v_add_f64 v[8:9], v[2:3], v[72:73]
	v_add_f64 v[51:52], v[0:1], v[70:71]
	scratch_store_b64 off, v[8:9], off offset:144 ; 8-byte Folded Spill
	v_add_f64 v[8:9], v[6:7], v[72:73]
	scratch_store_b64 off, v[8:9], off offset:128 ; 8-byte Folded Spill
	;; [unrolled: 2-line block ×7, first 2 shown]
	s_waitcnt lgkmcnt(0)
	v_add_f64 v[8:9], v[2:3], v[86:87]
	scratch_store_b64 off, v[8:9], off offset:168 ; 8-byte Folded Spill
	v_add_f64 v[8:9], v[0:1], v[84:85]
	scratch_store_b64 off, v[8:9], off offset:176 ; 8-byte Folded Spill
	;; [unrolled: 2-line block ×6, first 2 shown]
	v_add_f64 v[8:9], v[195:196], v[86:87]
	v_dual_mov_b32 v87, v109 :: v_dual_mov_b32 v86, v111
	scratch_store_b64 off, v[8:9], off offset:216 ; 8-byte Folded Spill
	v_add_f64 v[8:9], v[193:194], v[84:85]
	scratch_store_b64 off, v[8:9], off offset:224 ; 8-byte Folded Spill
	ds_load_b128 v[102:105], v16 offset:9216
	ds_load_b128 v[197:200], v16 offset:9472
	s_waitcnt lgkmcnt(1)
	v_add_f64 v[8:9], v[2:3], v[104:105]
	v_add_f64 v[70:71], v[0:1], v[102:103]
	s_waitcnt lgkmcnt(0)
	v_add_f64 v[106:107], v[6:7], v[199:200]
	v_add_f64 v[108:109], v[4:5], v[197:198]
	;; [unrolled: 1-line block ×5, first 2 shown]
	scratch_store_b64 off, v[8:9], off offset:264 ; 8-byte Folded Spill
	v_add_f64 v[8:9], v[6:7], v[104:105]
	scratch_store_b64 off, v[8:9], off offset:248 ; 8-byte Folded Spill
	v_add_f64 v[8:9], v[4:5], v[102:103]
	;; [unrolled: 2-line block ×5, first 2 shown]
	v_add_f64 v[104:105], v[0:1], v[197:198]
	scratch_store_b64 off, v[8:9], off offset:232 ; 8-byte Folded Spill
	v_add_f64 v[8:9], v[193:194], v[102:103]
	v_add_f64 v[101:102], v[195:196], v[199:200]
	scratch_store_b64 off, v[8:9], off offset:256 ; 8-byte Folded Spill
	v_add_f64 v[8:9], v[2:3], v[199:200]
	scratch_store_b64 off, v[8:9], off offset:288 ; 8-byte Folded Spill
	ds_load_b128 v[197:200], v16 offset:9728
	ds_load_b128 v[201:204], v16 offset:9984
	s_waitcnt lgkmcnt(1)
	v_add_f64 v[84:85], v[2:3], v[199:200]
	v_add_f64 v[116:117], v[0:1], v[197:198]
	v_add_f64 v[118:119], v[6:7], v[199:200]
	v_add_f64 v[120:121], v[4:5], v[197:198]
	v_add_f64 v[122:123], v[191:192], v[199:200]
	v_add_f64 v[124:125], v[189:190], v[197:198]
	v_add_f64 v[126:127], v[195:196], v[199:200]
	v_add_f64 v[128:129], v[193:194], v[197:198]
	s_waitcnt lgkmcnt(0)
	v_add_f64 v[130:131], v[2:3], v[203:204]
	v_add_f64 v[132:133], v[0:1], v[201:202]
	v_add_f64 v[134:135], v[6:7], v[203:204]
	v_add_f64 v[136:137], v[4:5], v[201:202]
	v_add_f64 v[138:139], v[191:192], v[203:204]
	v_add_f64 v[72:73], v[189:190], v[201:202]
	v_add_f64 v[68:69], v[195:196], v[203:204]
	v_add_f64 v[45:46], v[193:194], v[201:202]
	ds_load_b128 v[197:200], v16 offset:10240
	ds_load_b128 v[201:204], v16 offset:10496
	s_waitcnt lgkmcnt(1)
	v_add_f64 v[56:57], v[2:3], v[199:200]
	v_add_f64 v[42:43], v[0:1], v[197:198]
	v_add_f64 v[60:61], v[6:7], v[199:200]
	v_add_f64 v[48:49], v[4:5], v[197:198]
	v_add_f64 v[62:63], v[191:192], v[199:200]
	v_add_f64 v[58:59], v[189:190], v[197:198]
	v_add_f64 v[64:65], v[195:196], v[199:200]
	v_add_f64 v[91:92], v[193:194], v[197:198]
	s_waitcnt lgkmcnt(0)
	v_add_f64 v[40:41], v[2:3], v[203:204]
	v_add_f64 v[12:13], v[0:1], v[201:202]
	v_add_f64 v[54:55], v[6:7], v[203:204]
	v_add_f64 v[34:35], v[4:5], v[201:202]
	v_add_f64 v[38:39], v[191:192], v[203:204]
	v_add_f64 v[30:31], v[189:190], v[201:202]
	v_add_f64 v[32:33], v[195:196], v[203:204]
	v_add_f64 v[27:28], v[193:194], v[201:202]
	ds_load_b128 v[197:200], v16 offset:10752
	ds_load_b128 v[201:204], v16 offset:11008
	s_waitcnt lgkmcnt(1)
	v_add_f64 v[25:26], v[2:3], v[199:200]
	v_add_f64 v[239:240], v[0:1], v[197:198]
	v_add_f64 v[241:242], v[6:7], v[199:200]
	v_add_f64 v[243:244], v[4:5], v[197:198]
	v_add_f64 v[245:246], v[191:192], v[199:200]
	v_add_f64 v[247:248], v[189:190], v[197:198]
	v_add_f64 v[249:250], v[195:196], v[199:200]
	v_add_f64 v[251:252], v[193:194], v[197:198]
	s_waitcnt lgkmcnt(0)
	v_add_f64 v[253:254], v[2:3], v[203:204]
	v_add_f64 v[17:18], v[0:1], v[201:202]
	v_add_f64 v[19:20], v[6:7], v[203:204]
	v_add_f64 v[21:22], v[4:5], v[201:202]
	v_add_f64 v[23:24], v[191:192], v[203:204]
	v_add_f64 v[8:9], v[189:190], v[201:202]
	v_add_f64 v[10:11], v[195:196], v[203:204]
	v_add_f64 v[140:141], v[193:194], v[201:202]
	ds_load_b128 v[197:200], v16 offset:11264
	ds_load_b128 v[201:204], v16 offset:11520
	v_cvt_f32_f64_e32 v12, v[12:13]
	v_cvt_f32_f64_e32 v13, v[40:41]
	s_waitcnt lgkmcnt(1)
	v_add_f64 v[142:143], v[2:3], v[199:200]
	v_add_f64 v[177:178], v[0:1], v[197:198]
	;; [unrolled: 1-line block ×8, first 2 shown]
	s_waitcnt lgkmcnt(0)
	v_add_f64 v[152:153], v[2:3], v[203:204]
	v_add_f64 v[213:214], v[0:1], v[201:202]
	v_add_f64 v[209:210], v[6:7], v[203:204]
	v_add_f64 v[154:155], v[4:5], v[201:202]
	v_add_f64 v[219:220], v[191:192], v[203:204]
	v_add_f64 v[158:159], v[189:190], v[201:202]
	v_add_f64 v[14:15], v[195:196], v[203:204]
	v_add_f64 v[207:208], v[193:194], v[201:202]
	ds_load_b128 v[197:200], v16 offset:11776
	ds_load_b128 v[201:204], v16 offset:12032
	scratch_load_b64 v[96:97], off, off offset:24 ; 8-byte Folded Reload
	v_cvt_f32_f64_e32 v16, v[98:99]
	v_cvt_f32_f64_e32 v8, v[8:9]
	;; [unrolled: 1-line block ×3, first 2 shown]
	s_waitcnt lgkmcnt(1)
	v_add_f64 v[186:187], v[2:3], v[199:200]
	v_add_f64 v[221:222], v[0:1], v[197:198]
	s_waitcnt lgkmcnt(0)
	v_add_f64 v[2:3], v[2:3], v[203:204]
	v_add_f64 v[0:1], v[0:1], v[201:202]
	v_add_f64 v[205:206], v[6:7], v[199:200]
	v_add_f64 v[156:157], v[4:5], v[197:198]
	v_add_f64 v[6:7], v[6:7], v[203:204]
	v_add_f64 v[4:5], v[4:5], v[201:202]
	v_add_f64 v[223:224], v[191:192], v[199:200]
	v_add_f64 v[225:226], v[189:190], v[197:198]
	v_add_f64 v[191:192], v[191:192], v[203:204]
	v_add_f64 v[189:190], v[189:190], v[201:202]
	v_add_f64 v[199:200], v[195:196], v[199:200]
	v_add_f64 v[197:198], v[193:194], v[197:198]
	v_add_f64 v[195:196], v[195:196], v[203:204]
	v_add_f64 v[193:194], v[193:194], v[201:202]
	v_min3_f32 v183, v16, v53, v183
	v_min3_f32 v236, v8, v9, v236
	v_cvt_f32_f64_e32 v8, v[140:141]
	v_cvt_f32_f64_e32 v9, v[10:11]
	;; [unrolled: 1-line block ×4, first 2 shown]
	s_delay_alu instid0(VALU_DEP_3) | instskip(SKIP_2) | instid1(VALU_DEP_1)
	v_min3_f32 v234, v8, v9, v234
	v_cvt_f32_f64_e32 v8, v[177:178]
	v_cvt_f32_f64_e32 v9, v[142:143]
	v_min3_f32 v233, v8, v9, v233
	v_cvt_f32_f64_e32 v8, v[184:185]
	v_cvt_f32_f64_e32 v9, v[144:145]
	s_delay_alu instid0(VALU_DEP_1) | instskip(SKIP_2) | instid1(VALU_DEP_1)
	v_min3_f32 v67, v8, v9, v67
	v_cvt_f32_f64_e32 v8, v[148:149]
	v_cvt_f32_f64_e32 v9, v[146:147]
	v_min3_f32 v66, v8, v9, v66
	v_cvt_f32_f64_e32 v8, v[162:163]
	v_cvt_f32_f64_e32 v9, v[150:151]
	s_delay_alu instid0(VALU_DEP_1) | instskip(SKIP_4) | instid1(VALU_DEP_1)
	v_min3_f32 v218, v8, v9, v218
	v_cvt_f32_f64_e32 v8, v[213:214]
	v_mov_b32_e32 v214, v50
	v_cvt_f32_f64_e32 v9, v[152:153]
	v_mov_b32_e32 v213, v36
	v_min3_f32 v213, v0, v1, v213
	v_cvt_f32_f64_e32 v0, v[4:5]
	v_cvt_f32_f64_e32 v1, v[6:7]
	v_min3_f32 v160, v8, v9, v160
	v_cvt_f32_f64_e32 v8, v[154:155]
	v_cvt_f32_f64_e32 v9, v[209:210]
	s_delay_alu instid0(VALU_DEP_4)
	v_min3_f32 v228, v0, v1, v228
	v_cvt_f32_f64_e32 v0, v[189:190]
	v_cvt_f32_f64_e32 v1, v[191:192]
	s_waitcnt vmcnt(0)
	v_cvt_f32_f64_e32 v16, v[96:97]
	scratch_load_b64 v[96:97], off, off     ; 8-byte Folded Reload
	v_min3_f32 v238, v8, v9, v238
	v_cvt_f32_f64_e32 v8, v[158:159]
	v_cvt_f32_f64_e32 v9, v[219:220]
	v_min3_f32 v211, v0, v1, v211
	v_cvt_f32_f64_e32 v0, v[193:194]
	v_cvt_f32_f64_e32 v1, v[195:196]
	s_delay_alu instid0(VALU_DEP_4) | instskip(SKIP_2) | instid1(VALU_DEP_4)
	v_min3_f32 v161, v8, v9, v161
	v_cvt_f32_f64_e32 v8, v[207:208]
	v_cvt_f32_f64_e32 v9, v[14:15]
	v_min3_f32 v255, v0, v1, v255
	s_delay_alu instid0(VALU_DEP_2) | instskip(SKIP_2) | instid1(VALU_DEP_1)
	v_min3_f32 v237, v8, v9, v237
	v_cvt_f32_f64_e32 v8, v[221:222]
	v_cvt_f32_f64_e32 v9, v[186:187]
	v_min3_f32 v217, v8, v9, v217
	v_cvt_f32_f64_e32 v8, v[156:157]
	v_cvt_f32_f64_e32 v9, v[205:206]
	s_delay_alu instid0(VALU_DEP_1) | instskip(SKIP_2) | instid1(VALU_DEP_1)
	v_min3_f32 v230, v8, v9, v230
	v_cvt_f32_f64_e32 v8, v[225:226]
	v_cvt_f32_f64_e32 v9, v[223:224]
	v_min3_f32 v215, v8, v9, v215
	v_cvt_f32_f64_e32 v8, v[197:198]
	v_cvt_f32_f64_e32 v9, v[199:200]
	s_delay_alu instid0(VALU_DEP_1)
	v_min3_f32 v214, v8, v9, v214
	s_waitcnt vmcnt(0)
	v_cvt_f32_f64_e32 v53, v[96:97]
	scratch_load_b64 v[96:97], off, off offset:40 ; 8-byte Folded Reload
	v_min3_f32 v182, v16, v53, v182
	s_waitcnt vmcnt(0)
	v_cvt_f32_f64_e32 v16, v[96:97]
	scratch_load_b64 v[96:97], off, off offset:16 ; 8-byte Folded Reload
	s_waitcnt vmcnt(0)
	v_cvt_f32_f64_e32 v53, v[96:97]
	scratch_load_b64 v[96:97], off, off offset:32 ; 8-byte Folded Reload
	v_min3_f32 v181, v16, v53, v181
	s_waitcnt vmcnt(0)
	v_cvt_f32_f64_e32 v16, v[96:97]
	scratch_load_b64 v[96:97], off, off offset:8 ; 8-byte Folded Reload
	s_waitcnt vmcnt(0)
	v_cvt_f32_f64_e32 v53, v[96:97]
	scratch_load_b64 v[96:97], off, off offset:56 ; 8-byte Folded Reload
	v_min3_f32 v180, v16, v53, v180
	s_waitcnt vmcnt(0)
	v_cvt_f32_f64_e32 v16, v[96:97]
	scratch_load_b64 v[96:97], off, off offset:48 ; 8-byte Folded Reload
	s_waitcnt vmcnt(0)
	v_cvt_f32_f64_e32 v53, v[96:97]
	scratch_load_b64 v[96:97], off, off offset:72 ; 8-byte Folded Reload
	v_min3_f32 v179, v16, v53, v179
	s_waitcnt vmcnt(0)
	v_cvt_f32_f64_e32 v16, v[96:97]
	scratch_load_b64 v[96:97], off, off offset:64 ; 8-byte Folded Reload
	s_waitcnt vmcnt(0)
	v_cvt_f32_f64_e32 v53, v[96:97]
	scratch_load_b64 v[96:97], off, off offset:88 ; 8-byte Folded Reload
	v_min3_f32 v176, v16, v53, v176
	s_waitcnt vmcnt(0)
	v_cvt_f32_f64_e32 v16, v[96:97]
	scratch_load_b64 v[96:97], off, off offset:80 ; 8-byte Folded Reload
	s_waitcnt vmcnt(0)
	v_cvt_f32_f64_e32 v53, v[96:97]
	scratch_load_b64 v[96:97], off, off offset:104 ; 8-byte Folded Reload
	v_min3_f32 v175, v16, v53, v175
	s_waitcnt vmcnt(0)
	v_cvt_f32_f64_e32 v16, v[96:97]
	scratch_load_b64 v[96:97], off, off offset:96 ; 8-byte Folded Reload
	s_waitcnt vmcnt(0)
	v_cvt_f32_f64_e32 v53, v[96:97]
	s_delay_alu instid0(VALU_DEP_1) | instskip(SKIP_4) | instid1(VALU_DEP_1)
	v_min3_f32 v174, v16, v53, v174
	v_cvt_f32_f64_e32 v16, v[51:52]
	scratch_load_b64 v[51:52], off, off offset:144 ; 8-byte Folded Reload
	s_waitcnt vmcnt(0)
	v_cvt_f32_f64_e32 v51, v[51:52]
	v_min3_f32 v173, v16, v51, v173
	scratch_load_b64 v[51:52], off, off offset:160 ; 8-byte Folded Reload
	s_waitcnt vmcnt(0)
	v_cvt_f32_f64_e32 v16, v[51:52]
	scratch_load_b64 v[51:52], off, off offset:128 ; 8-byte Folded Reload
	s_waitcnt vmcnt(0)
	v_cvt_f32_f64_e32 v51, v[51:52]
	s_delay_alu instid0(VALU_DEP_1)
	v_min3_f32 v172, v16, v51, v172
	scratch_load_b64 v[51:52], off, off offset:152 ; 8-byte Folded Reload
	s_waitcnt vmcnt(0)
	v_cvt_f32_f64_e32 v16, v[51:52]
	scratch_load_b64 v[51:52], off, off offset:120 ; 8-byte Folded Reload
	s_waitcnt vmcnt(0)
	v_cvt_f32_f64_e32 v51, v[51:52]
	s_delay_alu instid0(VALU_DEP_1)
	;; [unrolled: 8-line block ×6, first 2 shown]
	v_min3_f32 v167, v16, v51, v167
	scratch_load_b64 v[51:52], off, off offset:224 ; 8-byte Folded Reload
	s_waitcnt vmcnt(0)
	v_cvt_f32_f64_e32 v16, v[51:52]
	scratch_load_b64 v[51:52], off, off offset:216 ; 8-byte Folded Reload
	s_waitcnt vmcnt(0)
	v_cvt_f32_f64_e32 v51, v[51:52]
	s_delay_alu instid0(VALU_DEP_1) | instskip(SKIP_4) | instid1(VALU_DEP_2)
	v_min3_f32 v166, v16, v51, v166
	scratch_load_b64 v[51:52], off, off offset:264 ; 8-byte Folded Reload
	v_cvt_f32_f64_e32 v16, v[70:71]
	v_mov_b32_e32 v71, v47
	v_cvt_f32_f64_e32 v47, v[138:139]
	v_min3_f32 v71, v12, v13, v71
	v_cvt_f32_f64_e32 v12, v[34:35]
	v_cvt_f32_f64_e32 v13, v[54:55]
	s_delay_alu instid0(VALU_DEP_1) | instskip(SKIP_2) | instid1(VALU_DEP_1)
	v_min3_f32 v37, v12, v13, v37
	v_cvt_f32_f64_e32 v12, v[30:31]
	v_cvt_f32_f64_e32 v13, v[38:39]
	v_min3_f32 v78, v12, v13, v78
	v_cvt_f32_f64_e32 v12, v[27:28]
	v_cvt_f32_f64_e32 v13, v[32:33]
	s_waitcnt vmcnt(0)
	v_cvt_f32_f64_e32 v51, v[51:52]
	s_delay_alu instid0(VALU_DEP_1)
	v_min3_f32 v165, v16, v51, v165
	scratch_load_b64 v[51:52], off, off offset:280 ; 8-byte Folded Reload
	s_waitcnt vmcnt(0)
	v_cvt_f32_f64_e32 v16, v[51:52]
	scratch_load_b64 v[51:52], off, off offset:248 ; 8-byte Folded Reload
	s_waitcnt vmcnt(0)
	v_cvt_f32_f64_e32 v51, v[51:52]
	s_delay_alu instid0(VALU_DEP_1)
	v_min3_f32 v164, v16, v51, v164
	scratch_load_b64 v[51:52], off, off offset:272 ; 8-byte Folded Reload
	s_waitcnt vmcnt(0)
	v_cvt_f32_f64_e32 v16, v[51:52]
	scratch_load_b64 v[51:52], off, off offset:240 ; 8-byte Folded Reload
	;; [unrolled: 8-line block ×3, first 2 shown]
	s_waitcnt vmcnt(0)
	v_cvt_f32_f64_e32 v51, v[51:52]
	s_delay_alu instid0(VALU_DEP_1) | instskip(SKIP_4) | instid1(VALU_DEP_1)
	v_min3_f32 v231, v16, v51, v231
	scratch_load_b64 v[51:52], off, off offset:288 ; 8-byte Folded Reload
	v_cvt_f32_f64_e32 v16, v[104:105]
	s_waitcnt vmcnt(0)
	v_cvt_f32_f64_e32 v51, v[51:52]
	v_min3_f32 v212, v16, v51, v212
	v_cvt_f32_f64_e32 v16, v[108:109]
	v_cvt_f32_f64_e32 v51, v[106:107]
	v_mov_b32_e32 v109, v87
	v_mov_b32_e32 v107, v81
	s_delay_alu instid0(VALU_DEP_3) | instskip(SKIP_4) | instid1(VALU_DEP_3)
	v_min3_f32 v188, v16, v51, v188
	v_cvt_f32_f64_e32 v16, v[112:113]
	v_cvt_f32_f64_e32 v51, v[110:111]
	v_mov_b32_e32 v113, v89
	v_mov_b32_e32 v111, v86
	v_min3_f32 v229, v16, v51, v229
	v_cvt_f32_f64_e32 v16, v[94:95]
	v_cvt_f32_f64_e32 v51, v[101:102]
	s_delay_alu instid0(VALU_DEP_1) | instskip(SKIP_2) | instid1(VALU_DEP_1)
	v_min3_f32 v216, v16, v51, v216
	v_cvt_f32_f64_e32 v16, v[116:117]
	v_cvt_f32_f64_e32 v51, v[84:85]
	v_min3_f32 v227, v16, v51, v227
	v_cvt_f32_f64_e32 v16, v[120:121]
	v_cvt_f32_f64_e32 v51, v[118:119]
	s_delay_alu instid0(VALU_DEP_1) | instskip(SKIP_2) | instid1(VALU_DEP_1)
	v_min3_f32 v114, v16, v51, v114
	v_cvt_f32_f64_e32 v16, v[124:125]
	v_cvt_f32_f64_e32 v51, v[122:123]
	;; [unrolled: 7-line block ×3, first 2 shown]
	v_min3_f32 v113, v16, v51, v113
	v_cvt_f32_f64_e32 v16, v[136:137]
	v_cvt_f32_f64_e32 v51, v[134:135]
	s_delay_alu instid0(VALU_DEP_1) | instskip(SKIP_1) | instid1(VALU_DEP_1)
	v_min3_f32 v88, v16, v51, v88
	v_cvt_f32_f64_e32 v16, v[72:73]
	v_min3_f32 v111, v16, v47, v111
	v_cvt_f32_f64_e32 v16, v[45:46]
	v_cvt_f32_f64_e32 v45, v[68:69]
	v_mov_b32_e32 v69, v29
	v_cvt_f32_f64_e32 v29, v[56:57]
	s_delay_alu instid0(VALU_DEP_2) | instskip(SKIP_4) | instid1(VALU_DEP_3)
	v_min3_f32 v69, v12, v13, v69
	v_cvt_f32_f64_e32 v12, v[239:240]
	v_cvt_f32_f64_e32 v13, v[25:26]
	v_min3_f32 v83, v16, v45, v83
	v_cvt_f32_f64_e32 v16, v[42:43]
	v_min3_f32 v77, v12, v13, v77
	v_cvt_f32_f64_e32 v12, v[243:244]
	v_cvt_f32_f64_e32 v13, v[241:242]
	s_delay_alu instid0(VALU_DEP_4) | instskip(SKIP_2) | instid1(VALU_DEP_4)
	v_min3_f32 v109, v16, v29, v109
	v_cvt_f32_f64_e32 v16, v[48:49]
	v_cvt_f32_f64_e32 v29, v[60:61]
	v_min3_f32 v76, v12, v13, v76
	v_cvt_f32_f64_e32 v12, v[247:248]
	v_cvt_f32_f64_e32 v13, v[245:246]
	s_delay_alu instid0(VALU_DEP_4) | instskip(SKIP_2) | instid1(VALU_DEP_4)
	v_min3_f32 v82, v16, v29, v82
	v_cvt_f32_f64_e32 v16, v[58:59]
	;; [unrolled: 7-line block ×3, first 2 shown]
	v_cvt_f32_f64_e32 v29, v[64:65]
	v_min3_f32 v100, v12, v13, v100
	v_cvt_f32_f64_e32 v12, v[17:18]
	v_cvt_f32_f64_e32 v13, v[253:254]
	s_delay_alu instid0(VALU_DEP_4) | instskip(NEXT) | instid1(VALU_DEP_2)
	v_min3_f32 v80, v16, v29, v80
	v_min3_f32 v74, v12, v13, v74
	v_cvt_f32_f64_e32 v12, v[21:22]
	v_cvt_f32_f64_e32 v13, v[19:20]
	s_delay_alu instid0(VALU_DEP_1)
	v_min3_f32 v235, v12, v13, v235
	s_cbranch_vccz .LBB113_38
; %bb.39:
	s_clause 0x2
	scratch_load_b32 v0, off, off offset:388
	scratch_load_b64 v[1:2], off, off offset:312
	scratch_load_b64 v[3:4], off, off offset:320
	v_dual_mov_b32 v110, v83 :: v_dual_mov_b32 v225, v66
	v_dual_mov_b32 v108, v82 :: v_dual_mov_b32 v223, v160
	v_dual_mov_b32 v106, v80 :: v_dual_mov_b32 v149, v67
	v_dual_mov_b32 v36, v78 :: v_dual_mov_b32 v155, v75
	v_mov_b32_e32 v226, v76
	v_mov_b32_e32 v224, v218
	s_add_i32 s18, s18, 8
	s_add_i32 s16, s16, 8
	s_cmp_ge_i32 s18, s17
	s_waitcnt vmcnt(0)
	ds_store_2addr_stride64_b64 v0, v[1:2], v[3:4] offset1:4
	s_clause 0x2
	scratch_load_b32 v0, off, off offset:392
	scratch_load_b64 v[1:2], off, off offset:328
	scratch_load_b64 v[3:4], off, off offset:336
	s_waitcnt vmcnt(0)
	ds_store_2addr_stride64_b64 v0, v[1:2], v[3:4] offset1:4
	s_waitcnt lgkmcnt(0)
	s_waitcnt_vscnt null, 0x0
	s_barrier
	buffer_gl0_inv
	s_cbranch_scc0 .LBB113_23
	s_branch .LBB113_41
.LBB113_40:
	v_mov_b32_e32 v149, v222
.LBB113_41:
	v_dual_mov_b32 v82, v238 :: v_dual_mov_b32 v15, v36
	v_dual_mov_b32 v78, v111 :: v_dual_mov_b32 v99, v74
	;; [unrolled: 1-line block ×4, first 2 shown]
	v_mov_b32_e32 v72, v106
	v_mov_b32_e32 v74, v108
	;; [unrolled: 1-line block ×4, first 2 shown]
	s_mov_b32 s8, 0
	s_mov_b32 s3, -1
.LBB113_42:                             ; =>This Inner Loop Header: Depth=1
	s_lshl_b32 s8, s8, 3
	v_dual_mov_b32 v118, v77 :: v_dual_mov_b32 v89, v114
	s_waitcnt vmcnt(1)
	v_lshl_add_u32 v98, v93, 5, s8
	s_waitcnt vmcnt(0)
	v_lshl_add_u32 v8, v44, 5, s8
	v_dual_mov_b32 v77, v113 :: v_dual_mov_b32 v160, v223
	ds_load_b128 v[20:23], v98 offset:12288
	ds_load_b128 v[0:3], v8 offset:4096
	;; [unrolled: 1-line block ×4, first 2 shown]
	v_mov_b32_e32 v235, v155
	s_mov_b32 s8, 2
	s_and_not1_b32 vcc_lo, exec_lo, s3
	s_mov_b32 s3, 0
	v_dual_mov_b32 v79, v115 :: v_dual_mov_b32 v218, v224
	s_waitcnt lgkmcnt(2)
	v_add_f64 v[119:120], v[2:3], v[22:23]
	s_waitcnt lgkmcnt(1)
	v_add_f64 v[9:10], v[6:7], v[22:23]
	v_add_f64 v[121:122], v[0:1], v[20:21]
	scratch_store_b64 off, v[9:10], off     ; 8-byte Folded Spill
	v_add_f64 v[9:10], v[4:5], v[20:21]
	scratch_store_b64 off, v[9:10], off offset:24 ; 8-byte Folded Spill
	ds_load_b128 v[101:104], v8 offset:6144
	ds_load_b128 v[105:108], v8 offset:7168
	;; [unrolled: 1-line block ×3, first 2 shown]
	s_waitcnt lgkmcnt(2)
	v_add_f64 v[8:9], v[103:104], v[22:23]
	scratch_store_b64 off, v[8:9], off offset:16 ; 8-byte Folded Spill
	v_add_f64 v[8:9], v[101:102], v[20:21]
	scratch_store_b64 off, v[8:9], off offset:40 ; 8-byte Folded Spill
	s_waitcnt lgkmcnt(1)
	v_add_f64 v[8:9], v[107:108], v[22:23]
	scratch_store_b64 off, v[8:9], off offset:8 ; 8-byte Folded Spill
	v_add_f64 v[8:9], v[105:106], v[20:21]
	scratch_store_b64 off, v[8:9], off offset:32 ; 8-byte Folded Spill
	v_add_f64 v[8:9], v[2:3], v[36:37]
	scratch_store_b64 off, v[8:9], off offset:48 ; 8-byte Folded Spill
	v_add_f64 v[8:9], v[0:1], v[34:35]
	scratch_store_b64 off, v[8:9], off offset:56 ; 8-byte Folded Spill
	v_add_f64 v[8:9], v[6:7], v[36:37]
	scratch_store_b64 off, v[8:9], off offset:64 ; 8-byte Folded Spill
	v_add_f64 v[8:9], v[4:5], v[34:35]
	scratch_store_b64 off, v[8:9], off offset:72 ; 8-byte Folded Spill
	v_add_f64 v[8:9], v[103:104], v[36:37]
	scratch_store_b64 off, v[8:9], off offset:80 ; 8-byte Folded Spill
	v_add_f64 v[8:9], v[101:102], v[34:35]
	scratch_store_b64 off, v[8:9], off offset:88 ; 8-byte Folded Spill
	v_add_f64 v[8:9], v[107:108], v[36:37]
	scratch_store_b64 off, v[8:9], off offset:96 ; 8-byte Folded Spill
	v_add_f64 v[8:9], v[105:106], v[34:35]
	scratch_store_b64 off, v[8:9], off offset:104 ; 8-byte Folded Spill
	v_mov_b32_e32 v8, v69
	ds_load_b128 v[66:69], v98 offset:13056
	s_waitcnt lgkmcnt(1)
	v_add_f64 v[9:10], v[2:3], v[54:55]
	v_add_f64 v[48:49], v[0:1], v[52:53]
	;; [unrolled: 1-line block ×4, first 2 shown]
	scratch_store_b64 off, v[9:10], off offset:144 ; 8-byte Folded Spill
	v_add_f64 v[9:10], v[6:7], v[54:55]
	v_cvt_f32_f64_e32 v48, v[48:49]
	v_cvt_f32_f64_e32 v46, v[46:47]
	;; [unrolled: 1-line block ×3, first 2 shown]
	scratch_store_b64 off, v[9:10], off offset:128 ; 8-byte Folded Spill
	v_add_f64 v[9:10], v[103:104], v[54:55]
	scratch_store_b64 off, v[9:10], off offset:120 ; 8-byte Folded Spill
	v_add_f64 v[9:10], v[107:108], v[54:55]
	;; [unrolled: 2-line block ×3, first 2 shown]
	scratch_store_b64 off, v[9:10], off offset:136 ; 8-byte Folded Spill
	s_waitcnt lgkmcnt(0)
	v_add_f64 v[9:10], v[2:3], v[68:69]
	scratch_store_b64 off, v[9:10], off offset:152 ; 8-byte Folded Spill
	v_add_f64 v[9:10], v[0:1], v[66:67]
	scratch_store_b64 off, v[9:10], off offset:160 ; 8-byte Folded Spill
	;; [unrolled: 2-line block ×8, first 2 shown]
	ds_load_b128 v[84:87], v98 offset:13312
	ds_load_b128 v[109:112], v98 offset:13568
	ds_load_b128 v[113:116], v98 offset:14080
	s_waitcnt lgkmcnt(2)
	v_add_f64 v[9:10], v[2:3], v[86:87]
	v_add_f64 v[68:69], v[0:1], v[84:85]
	s_waitcnt lgkmcnt(1)
	v_add_f64 v[90:91], v[103:104], v[111:112]
	v_add_f64 v[92:93], v[101:102], v[109:110]
	;; [unrolled: 1-line block ×4, first 2 shown]
	s_waitcnt lgkmcnt(0)
	v_add_f64 v[139:140], v[2:3], v[115:116]
	v_add_f64 v[141:142], v[0:1], v[113:114]
	;; [unrolled: 1-line block ×7, first 2 shown]
	scratch_store_b64 off, v[9:10], off offset:248 ; 8-byte Folded Spill
	v_add_f64 v[9:10], v[6:7], v[86:87]
	scratch_store_b64 off, v[9:10], off offset:232 ; 8-byte Folded Spill
	v_add_f64 v[9:10], v[4:5], v[84:85]
	;; [unrolled: 2-line block ×5, first 2 shown]
	v_add_f64 v[86:87], v[0:1], v[109:110]
	scratch_store_b64 off, v[9:10], off offset:216 ; 8-byte Folded Spill
	v_add_f64 v[9:10], v[105:106], v[84:85]
	v_add_f64 v[83:84], v[4:5], v[109:110]
	v_mov_b32_e32 v85, v149
	v_add_f64 v[149:150], v[101:102], v[113:114]
	scratch_store_b64 off, v[9:10], off offset:240 ; 8-byte Folded Spill
	v_add_f64 v[9:10], v[2:3], v[111:112]
	scratch_store_b64 off, v[9:10], off offset:272 ; 8-byte Folded Spill
	v_add_f64 v[9:10], v[6:7], v[111:112]
	ds_load_b128 v[109:112], v98 offset:13824
	s_waitcnt lgkmcnt(0)
	v_add_f64 v[123:124], v[2:3], v[111:112]
	v_add_f64 v[125:126], v[0:1], v[109:110]
	;; [unrolled: 1-line block ×8, first 2 shown]
	scratch_store_b64 off, v[9:10], off offset:280 ; 8-byte Folded Spill
	ds_load_b128 v[109:112], v98 offset:14336
	ds_load_b128 v[113:116], v98 offset:14592
	s_waitcnt lgkmcnt(1)
	v_add_f64 v[155:156], v[2:3], v[111:112]
	v_add_f64 v[177:178], v[0:1], v[109:110]
	v_add_f64 v[184:185], v[6:7], v[111:112]
	v_add_f64 v[186:187], v[4:5], v[109:110]
	v_add_f64 v[189:190], v[103:104], v[111:112]
	v_add_f64 v[191:192], v[101:102], v[109:110]
	v_add_f64 v[193:194], v[107:108], v[111:112]
	v_add_f64 v[195:196], v[105:106], v[109:110]
	s_waitcnt lgkmcnt(0)
	v_add_f64 v[197:198], v[2:3], v[115:116]
	v_add_f64 v[199:200], v[0:1], v[113:114]
	v_add_f64 v[201:202], v[6:7], v[115:116]
	v_add_f64 v[203:204], v[4:5], v[113:114]
	v_add_f64 v[205:206], v[103:104], v[115:116]
	v_add_f64 v[207:208], v[101:102], v[113:114]
	v_add_f64 v[209:210], v[107:108], v[115:116]
	v_add_f64 v[66:67], v[105:106], v[113:114]
	ds_load_b128 v[109:112], v98 offset:14848
	ds_load_b128 v[113:116], v98 offset:15104
	s_waitcnt lgkmcnt(1)
	v_add_f64 v[58:59], v[2:3], v[111:112]
	v_add_f64 v[158:159], v[0:1], v[109:110]
	v_add_f64 v[162:163], v[6:7], v[111:112]
	v_add_f64 v[219:220], v[4:5], v[109:110]
	v_add_f64 v[221:222], v[103:104], v[111:112]
	v_add_f64 v[60:61], v[101:102], v[109:110]
	v_add_f64 v[64:65], v[107:108], v[111:112]
	v_add_f64 v[62:63], v[105:106], v[109:110]
	s_waitcnt lgkmcnt(0)
	v_add_f64 v[56:57], v[2:3], v[115:116]
	v_add_f64 v[52:53], v[0:1], v[113:114]
	v_add_f64 v[54:55], v[6:7], v[115:116]
	v_add_f64 v[223:224], v[4:5], v[113:114]
	v_add_f64 v[50:51], v[103:104], v[115:116]
	v_add_f64 v[239:240], v[101:102], v[113:114]
	v_add_f64 v[241:242], v[107:108], v[115:116]
	v_add_f64 v[243:244], v[105:106], v[113:114]
	;; [unrolled: 20-line block ×3, first 2 shown]
	ds_load_b128 v[109:112], v98 offset:15872
	ds_load_b128 v[113:116], v98 offset:16128
	v_cvt_f32_f64_e32 v98, v[121:122]
	s_waitcnt lgkmcnt(1)
	v_add_f64 v[9:10], v[0:1], v[109:110]
	v_add_f64 v[11:12], v[4:5], v[109:110]
	;; [unrolled: 1-line block ×4, first 2 shown]
	s_waitcnt lgkmcnt(0)
	v_add_f64 v[0:1], v[0:1], v[113:114]
	v_add_f64 v[4:5], v[4:5], v[113:114]
	;; [unrolled: 1-line block ×4, first 2 shown]
	v_cvt_f32_f64_e32 v113, v[119:120]
	scratch_load_b64 v[119:120], off, off offset:24 ; 8-byte Folded Reload
	v_mov_b32_e32 v114, v89
	v_add_f64 v[13:14], v[2:3], v[111:112]
	v_add_f64 v[18:19], v[6:7], v[111:112]
	;; [unrolled: 1-line block ×8, first 2 shown]
	v_mov_b32_e32 v115, v79
	v_cvt_f32_f64_e32 v38, v[38:39]
	v_cvt_f32_f64_e32 v39, v[253:254]
	v_cvt_f32_f64_e32 v34, v[34:35]
	v_cvt_f32_f64_e32 v35, v[36:37]
	v_cvt_f32_f64_e32 v30, v[30:31]
	v_cvt_f32_f64_e32 v31, v[32:33]
	v_cvt_f32_f64_e32 v26, v[26:27]
	v_cvt_f32_f64_e32 v27, v[28:29]
	v_cvt_f32_f64_e32 v22, v[22:23]
	v_cvt_f32_f64_e32 v23, v[24:25]
	v_cvt_f32_f64_e32 v0, v[0:1]
	v_min3_f32 v183, v98, v113, v183
	v_cvt_f32_f64_e32 v1, v[2:3]
	v_min3_f32 v225, v38, v39, v225
	v_cvt_f32_f64_e32 v38, v[40:41]
	v_cvt_f32_f64_e32 v39, v[42:43]
	v_min3_f32 v82, v30, v31, v82
	v_min3_f32 v161, v26, v27, v161
	;; [unrolled: 1-line block ×4, first 2 shown]
	v_cvt_f32_f64_e32 v0, v[4:5]
	v_cvt_f32_f64_e32 v1, v[6:7]
	s_delay_alu instid0(VALU_DEP_1) | instskip(SKIP_2) | instid1(VALU_DEP_1)
	v_min3_f32 v228, v0, v1, v228
	v_cvt_f32_f64_e32 v0, v[101:102]
	v_cvt_f32_f64_e32 v1, v[103:104]
	v_min3_f32 v211, v0, v1, v211
	v_cvt_f32_f64_e32 v0, v[105:106]
	v_cvt_f32_f64_e32 v1, v[107:108]
	s_delay_alu instid0(VALU_DEP_1)
	v_min3_f32 v255, v0, v1, v255
	s_waitcnt vmcnt(0)
	v_cvt_f32_f64_e32 v98, v[119:120]
	scratch_load_b64 v[119:120], off, off   ; 8-byte Folded Reload
	s_waitcnt vmcnt(0)
	v_cvt_f32_f64_e32 v113, v[119:120]
	scratch_load_b64 v[119:120], off, off offset:40 ; 8-byte Folded Reload
	v_min3_f32 v182, v98, v113, v182
	s_waitcnt vmcnt(0)
	v_cvt_f32_f64_e32 v98, v[119:120]
	scratch_load_b64 v[119:120], off, off offset:16 ; 8-byte Folded Reload
	s_waitcnt vmcnt(0)
	v_cvt_f32_f64_e32 v113, v[119:120]
	scratch_load_b64 v[119:120], off, off offset:32 ; 8-byte Folded Reload
	v_min3_f32 v181, v98, v113, v181
	s_waitcnt vmcnt(0)
	v_cvt_f32_f64_e32 v98, v[119:120]
	scratch_load_b64 v[119:120], off, off offset:8 ; 8-byte Folded Reload
	;; [unrolled: 7-line block ×6, first 2 shown]
	s_waitcnt vmcnt(0)
	v_cvt_f32_f64_e32 v113, v[119:120]
	scratch_load_b64 v[119:120], off, off offset:144 ; 8-byte Folded Reload
	v_min3_f32 v174, v98, v113, v174
	v_mov_b32_e32 v113, v77
	v_mov_b32_e32 v77, v118
	s_waitcnt vmcnt(0)
	v_cvt_f32_f64_e32 v49, v[119:120]
	s_delay_alu instid0(VALU_DEP_1) | instskip(SKIP_3) | instid1(VALU_DEP_1)
	v_min3_f32 v173, v48, v49, v173
	scratch_load_b64 v[47:48], off, off offset:128 ; 8-byte Folded Reload
	s_waitcnt vmcnt(0)
	v_cvt_f32_f64_e32 v47, v[47:48]
	v_min3_f32 v172, v46, v47, v172
	scratch_load_b64 v[45:46], off, off offset:120 ; 8-byte Folded Reload
	s_waitcnt vmcnt(0)
	v_cvt_f32_f64_e32 v45, v[45:46]
	s_delay_alu instid0(VALU_DEP_1)
	v_min3_f32 v171, v44, v45, v171
	scratch_load_b64 v[44:45], off, off offset:136 ; 8-byte Folded Reload
	s_waitcnt vmcnt(0)
	v_cvt_f32_f64_e32 v44, v[44:45]
	scratch_load_b64 v[45:46], off, off offset:112 ; 8-byte Folded Reload
	s_waitcnt vmcnt(0)
	v_cvt_f32_f64_e32 v45, v[45:46]
	s_delay_alu instid0(VALU_DEP_1)
	v_min3_f32 v170, v44, v45, v170
	scratch_load_b64 v[44:45], off, off offset:160 ; 8-byte Folded Reload
	s_waitcnt vmcnt(0)
	v_cvt_f32_f64_e32 v44, v[44:45]
	;; [unrolled: 8-line block ×5, first 2 shown]
	scratch_load_b64 v[45:46], off, off offset:200 ; 8-byte Folded Reload
	s_waitcnt vmcnt(0)
	v_cvt_f32_f64_e32 v45, v[45:46]
	s_delay_alu instid0(VALU_DEP_1)
	v_min3_f32 v166, v44, v45, v166
	scratch_load_b64 v[45:46], off, off offset:248 ; 8-byte Folded Reload
	v_cvt_f32_f64_e32 v44, v[68:69]
	v_mov_b32_e32 v69, v8
	v_cvt_f32_f64_e32 v8, v[9:10]
	v_cvt_f32_f64_e32 v9, v[13:14]
	s_delay_alu instid0(VALU_DEP_1) | instskip(SKIP_2) | instid1(VALU_DEP_1)
	v_min3_f32 v217, v8, v9, v217
	v_cvt_f32_f64_e32 v8, v[11:12]
	v_cvt_f32_f64_e32 v9, v[18:19]
	v_min3_f32 v230, v8, v9, v230
	v_cvt_f32_f64_e32 v8, v[16:17]
	v_cvt_f32_f64_e32 v9, v[20:21]
	s_delay_alu instid0(VALU_DEP_1) | instskip(SKIP_2) | instid1(VALU_DEP_1)
	v_min3_f32 v215, v8, v9, v215
	v_cvt_f32_f64_e32 v8, v[109:110]
	v_cvt_f32_f64_e32 v9, v[111:112]
	v_min3_f32 v214, v8, v9, v214
	s_waitcnt vmcnt(0)
	v_cvt_f32_f64_e32 v45, v[45:46]
	s_delay_alu instid0(VALU_DEP_1)
	v_min3_f32 v165, v44, v45, v165
	scratch_load_b64 v[44:45], off, off offset:264 ; 8-byte Folded Reload
	s_waitcnt vmcnt(0)
	v_cvt_f32_f64_e32 v44, v[44:45]
	scratch_load_b64 v[45:46], off, off offset:232 ; 8-byte Folded Reload
	s_waitcnt vmcnt(0)
	v_cvt_f32_f64_e32 v45, v[45:46]
	s_delay_alu instid0(VALU_DEP_1)
	v_min3_f32 v164, v44, v45, v164
	scratch_load_b64 v[44:45], off, off offset:256 ; 8-byte Folded Reload
	s_waitcnt vmcnt(0)
	v_cvt_f32_f64_e32 v44, v[44:45]
	scratch_load_b64 v[45:46], off, off offset:224 ; 8-byte Folded Reload
	;; [unrolled: 8-line block ×3, first 2 shown]
	s_waitcnt vmcnt(0)
	v_cvt_f32_f64_e32 v45, v[45:46]
	s_delay_alu instid0(VALU_DEP_1) | instskip(SKIP_4) | instid1(VALU_DEP_1)
	v_min3_f32 v231, v44, v45, v231
	scratch_load_b64 v[45:46], off, off offset:272 ; 8-byte Folded Reload
	v_cvt_f32_f64_e32 v44, v[86:87]
	s_waitcnt vmcnt(0)
	v_cvt_f32_f64_e32 v45, v[45:46]
	v_min3_f32 v212, v44, v45, v212
	scratch_load_b64 v[45:46], off, off offset:280 ; 8-byte Folded Reload
	v_cvt_f32_f64_e32 v44, v[83:84]
	s_waitcnt vmcnt(0)
	v_cvt_f32_f64_e32 v45, v[45:46]
	s_delay_alu instid0(VALU_DEP_1)
	v_min3_f32 v188, v44, v45, v188
	v_cvt_f32_f64_e32 v44, v[92:93]
	v_cvt_f32_f64_e32 v45, v[90:91]
	scratch_load_b32 v93, off, off offset:300 ; 4-byte Folded Reload
	v_min3_f32 v229, v44, v45, v229
	v_cvt_f32_f64_e32 v44, v[96:97]
	v_cvt_f32_f64_e32 v45, v[94:95]
	s_delay_alu instid0(VALU_DEP_1) | instskip(SKIP_2) | instid1(VALU_DEP_1)
	v_min3_f32 v216, v44, v45, v216
	v_cvt_f32_f64_e32 v44, v[125:126]
	v_cvt_f32_f64_e32 v45, v[123:124]
	v_min3_f32 v227, v44, v45, v227
	v_cvt_f32_f64_e32 v44, v[129:130]
	v_cvt_f32_f64_e32 v45, v[127:128]
	s_delay_alu instid0(VALU_DEP_1) | instskip(SKIP_2) | instid1(VALU_DEP_1)
	v_min3_f32 v114, v44, v45, v114
	v_cvt_f32_f64_e32 v44, v[133:134]
	v_cvt_f32_f64_e32 v45, v[131:132]
	;; [unrolled: 7-line block ×3, first 2 shown]
	v_min3_f32 v113, v44, v45, v113
	v_cvt_f32_f64_e32 v44, v[145:146]
	v_cvt_f32_f64_e32 v45, v[143:144]
	s_delay_alu instid0(VALU_DEP_1) | instskip(SKIP_3) | instid1(VALU_DEP_2)
	v_min3_f32 v88, v44, v45, v88
	v_cvt_f32_f64_e32 v44, v[149:150]
	v_cvt_f32_f64_e32 v45, v[147:148]
	v_mov_b32_e32 v149, v85
	v_min3_f32 v78, v44, v45, v78
	v_cvt_f32_f64_e32 v44, v[153:154]
	v_cvt_f32_f64_e32 v45, v[151:152]
	s_delay_alu instid0(VALU_DEP_1) | instskip(SKIP_3) | instid1(VALU_DEP_2)
	v_min3_f32 v76, v44, v45, v76
	v_cvt_f32_f64_e32 v44, v[177:178]
	v_cvt_f32_f64_e32 v45, v[155:156]
	v_mov_b32_e32 v155, v235
	v_min3_f32 v75, v44, v45, v75
	v_cvt_f32_f64_e32 v44, v[186:187]
	v_cvt_f32_f64_e32 v45, v[184:185]
	s_delay_alu instid0(VALU_DEP_1) | instskip(SKIP_2) | instid1(VALU_DEP_1)
	v_min3_f32 v74, v44, v45, v74
	v_cvt_f32_f64_e32 v44, v[191:192]
	v_cvt_f32_f64_e32 v45, v[189:190]
	v_min3_f32 v73, v44, v45, v73
	v_cvt_f32_f64_e32 v44, v[195:196]
	v_cvt_f32_f64_e32 v45, v[193:194]
	s_delay_alu instid0(VALU_DEP_1) | instskip(SKIP_2) | instid1(VALU_DEP_1)
	v_min3_f32 v72, v44, v45, v72
	v_cvt_f32_f64_e32 v44, v[199:200]
	v_cvt_f32_f64_e32 v45, v[197:198]
	;; [unrolled: 7-line block ×6, first 2 shown]
	v_min3_f32 v99, v44, v45, v99
	v_cvt_f32_f64_e32 v44, v[223:224]
	v_cvt_f32_f64_e32 v45, v[54:55]
	v_dual_mov_b32 v224, v218 :: v_dual_mov_b32 v223, v160
	s_delay_alu instid0(VALU_DEP_1) | instskip(NEXT) | instid1(VALU_DEP_2)
	v_min3_f32 v224, v38, v39, v224
	v_min3_f32 v223, v34, v35, v223
	s_delay_alu instid0(VALU_DEP_4) | instskip(SKIP_2) | instid1(VALU_DEP_1)
	v_min3_f32 v238, v44, v45, v238
	v_cvt_f32_f64_e32 v44, v[239:240]
	v_cvt_f32_f64_e32 v45, v[50:51]
	v_min3_f32 v236, v44, v45, v236
	v_cvt_f32_f64_e32 v44, v[243:244]
	v_cvt_f32_f64_e32 v45, v[241:242]
	s_delay_alu instid0(VALU_DEP_1) | instskip(SKIP_2) | instid1(VALU_DEP_1)
	v_min3_f32 v234, v44, v45, v234
	v_cvt_f32_f64_e32 v44, v[247:248]
	v_cvt_f32_f64_e32 v45, v[245:246]
	v_min3_f32 v233, v44, v45, v233
	v_cvt_f32_f64_e32 v44, v[251:252]
	v_cvt_f32_f64_e32 v45, v[249:250]
	s_delay_alu instid0(VALU_DEP_1)
	v_min3_f32 v149, v44, v45, v149
	scratch_load_b32 v44, off, off offset:296 ; 4-byte Folded Reload
	s_cbranch_vccz .LBB113_42
; %bb.43:
	s_clause 0x2
	s_load_b32 s8, s[0:1], 0x70
	s_load_b32 s3, s[0:1], 0x58
	s_load_b64 s[0:1], s[0:1], 0x78
	s_waitcnt vmcnt(1)
	v_dual_mov_b32 v31, v73 :: v_dual_add_nc_u32 v10, s15, v93
	s_waitcnt vmcnt(0)
	v_dual_mov_b32 v25, v238 :: v_dual_add_nc_u32 v4, s14, v44
	s_delay_alu instid0(VALU_DEP_1)
	v_ashrrev_i32_e32 v5, 31, v4
	v_add_nc_u32_e32 v2, 32, v4
	s_waitcnt lgkmcnt(0)
	v_mad_i64_i32 v[0:1], null, v10, s8, 0
	v_mad_i64_i32 v[6:7], null, v10, s3, 0
	s_lshl_b64 s[0:1], s[0:1], 3
	s_delay_alu instid0(SALU_CYCLE_1) | instskip(SKIP_1) | instid1(VALU_DEP_2)
	s_add_u32 s9, s10, s0
	s_addc_u32 s10, s11, s1
	v_lshlrev_b64 v[8:9], 3, v[0:1]
	v_lshlrev_b64 v[0:1], 3, v[4:5]
	s_delay_alu instid0(VALU_DEP_3) | instskip(NEXT) | instid1(VALU_DEP_3)
	v_lshlrev_b64 v[5:6], 3, v[6:7]
	v_add_co_u32 v11, vcc_lo, s9, v8
	s_delay_alu instid0(VALU_DEP_4) | instskip(NEXT) | instid1(VALU_DEP_3)
	v_add_co_ci_u32_e32 v12, vcc_lo, s10, v9, vcc_lo
	v_add_co_u32 v8, vcc_lo, s4, v5
	v_max_f32_e32 v5, v183, v183
	v_ashrrev_i32_e32 v3, 31, v2
	v_add_co_ci_u32_e32 v9, vcc_lo, s5, v6, vcc_lo
	s_mov_b32 vcc_lo, s2
	s_cbranch_vccz .LBB113_45
; %bb.44:
	v_min_f32_e32 v6, 0, v5
	v_add_co_u32 v16, vcc_lo, v11, v0
	v_add_co_ci_u32_e32 v17, vcc_lo, v12, v1, vcc_lo
	s_delay_alu instid0(VALU_DEP_3)
	v_cvt_f64_f32_e32 v[6:7], v6
	s_mov_b32 s11, 0
	s_mov_b64 s[0:1], 0
	global_store_b64 v[16:17], v[6:7], off
	s_branch .LBB113_46
.LBB113_45:
	s_mov_b32 s11, -1
                                        ; implicit-def: $sgpr0_sgpr1
.LBB113_46:
	v_lshlrev_b64 v[2:3], 3, v[2:3]
	v_mov_b32_e32 v28, v15
	v_mov_b32_e32 v33, v75
	s_and_not1_b32 vcc_lo, exec_lo, s11
	s_cbranch_vccnz .LBB113_48
; %bb.47:
	v_add_co_u32 v6, vcc_lo, v8, v0
	v_add_co_ci_u32_e32 v7, vcc_lo, v9, v1, vcc_lo
	v_add_co_u32 v16, vcc_lo, v11, v0
	v_add_co_ci_u32_e32 v17, vcc_lo, v12, v1, vcc_lo
	flat_load_b64 v[6:7], v[6:7]
	v_add_co_u32 v18, vcc_lo, v8, v2
	v_add_co_ci_u32_e32 v19, vcc_lo, v9, v3, vcc_lo
	s_waitcnt vmcnt(0) lgkmcnt(0)
	v_mul_f64 v[6:7], v[6:7], s[6:7]
	s_delay_alu instid0(VALU_DEP_1) | instskip(NEXT) | instid1(VALU_DEP_1)
	v_cvt_f32_f64_e32 v6, v[6:7]
	v_min_f32_e32 v5, v6, v5
	s_delay_alu instid0(VALU_DEP_1)
	v_cvt_f64_f32_e32 v[5:6], v5
	global_store_b64 v[16:17], v[5:6], off
	flat_load_b64 v[5:6], v[18:19]
	s_waitcnt vmcnt(0) lgkmcnt(0)
	v_mul_f64 v[5:6], v[5:6], s[6:7]
	s_branch .LBB113_49
.LBB113_48:
	v_dual_mov_b32 v6, s1 :: v_dual_mov_b32 v5, s0
.LBB113_49:
	s_delay_alu instid0(VALU_DEP_1)
	v_cvt_f32_f64_e32 v5, v[5:6]
	v_dual_max_f32 v6, v182, v182 :: v_dual_max_f32 v13, v181, v181
	v_add_co_u32 v20, vcc_lo, v11, v2
	v_add_co_ci_u32_e32 v21, vcc_lo, v12, v3, vcc_lo
	s_mov_b32 vcc_lo, s2
	v_add_nc_u32_e32 v18, 64, v4
	s_delay_alu instid0(VALU_DEP_1) | instskip(SKIP_1) | instid1(VALU_DEP_1)
	v_ashrrev_i32_e32 v19, 31, v18
	v_dual_min_f32 v5, v5, v6 :: v_dual_add_nc_u32 v6, 0x60, v4
	v_cvt_f64_f32_e32 v[16:17], v5
	s_delay_alu instid0(VALU_DEP_2) | instskip(NEXT) | instid1(VALU_DEP_4)
	v_ashrrev_i32_e32 v7, 31, v6
	v_lshlrev_b64 v[4:5], 3, v[18:19]
	global_store_b64 v[20:21], v[16:17], off
	s_cbranch_vccz .LBB113_52
; %bb.50:
	v_min_f32_e32 v16, 0, v13
	v_add_co_u32 v18, vcc_lo, v11, v4
	v_add_co_ci_u32_e32 v19, vcc_lo, v12, v5, vcc_lo
	s_delay_alu instid0(VALU_DEP_3)
	v_cvt_f64_f32_e32 v[16:17], v16
	s_mov_b64 s[0:1], 0
	global_store_b64 v[18:19], v[16:17], off
	v_lshlrev_b64 v[6:7], 3, v[6:7]
	s_cbranch_execz .LBB113_53
; %bb.51:
	v_dual_mov_b32 v9, s1 :: v_dual_mov_b32 v8, s0
	s_branch .LBB113_54
.LBB113_52:
                                        ; implicit-def: $sgpr0_sgpr1
	v_lshlrev_b64 v[6:7], 3, v[6:7]
.LBB113_53:
	v_add_co_u32 v16, vcc_lo, v8, v4
	v_add_co_ci_u32_e32 v17, vcc_lo, v9, v5, vcc_lo
	v_add_co_u32 v18, vcc_lo, v11, v4
	v_add_co_ci_u32_e32 v19, vcc_lo, v12, v5, vcc_lo
	flat_load_b64 v[16:17], v[16:17]
	v_add_co_u32 v8, vcc_lo, v8, v6
	v_add_co_ci_u32_e32 v9, vcc_lo, v9, v7, vcc_lo
	s_waitcnt vmcnt(0) lgkmcnt(0)
	v_mul_f64 v[16:17], v[16:17], s[6:7]
	s_delay_alu instid0(VALU_DEP_1) | instskip(NEXT) | instid1(VALU_DEP_1)
	v_cvt_f32_f64_e32 v16, v[16:17]
	v_min_f32_e32 v13, v16, v13
	s_delay_alu instid0(VALU_DEP_1)
	v_cvt_f64_f32_e32 v[16:17], v13
	global_store_b64 v[18:19], v[16:17], off
	flat_load_b64 v[8:9], v[8:9]
	s_waitcnt vmcnt(0) lgkmcnt(0)
	v_mul_f64 v[8:9], v[8:9], s[6:7]
.LBB113_54:
	s_delay_alu instid0(VALU_DEP_1) | instskip(SKIP_4) | instid1(VALU_DEP_1)
	v_cvt_f32_f64_e32 v8, v[8:9]
	v_max_f32_e32 v9, v180, v180
	v_add_co_u32 v23, vcc_lo, v11, v6
	v_add_co_ci_u32_e32 v24, vcc_lo, v12, v7, vcc_lo
	v_add_nc_u32_e32 v13, 8, v10
	v_mad_i64_i32 v[19:20], null, v13, s3, 0
	s_delay_alu instid0(VALU_DEP_1) | instskip(SKIP_1) | instid1(VALU_DEP_1)
	v_lshlrev_b64 v[19:20], 3, v[19:20]
	v_min_f32_e32 v8, v8, v9
	v_cvt_f64_f32_e32 v[17:18], v8
	v_mad_i64_i32 v[8:9], null, v13, s8, 0
	s_delay_alu instid0(VALU_DEP_1) | instskip(SKIP_1) | instid1(VALU_DEP_2)
	v_lshlrev_b64 v[21:22], 3, v[8:9]
	v_max_f32_e32 v8, v179, v179
	v_add_co_u32 v11, vcc_lo, s9, v21
	s_delay_alu instid0(VALU_DEP_3)
	v_add_co_ci_u32_e32 v12, vcc_lo, s10, v22, vcc_lo
	v_add_co_u32 v13, vcc_lo, s4, v19
	v_add_co_ci_u32_e32 v16, vcc_lo, s5, v20, vcc_lo
	s_mov_b32 vcc_lo, s2
	global_store_b64 v[23:24], v[17:18], off
	s_cbranch_vccz .LBB113_57
; %bb.55:
	v_min_f32_e32 v9, 0, v8
	v_add_co_u32 v19, vcc_lo, v11, v0
	v_add_co_ci_u32_e32 v20, vcc_lo, v12, v1, vcc_lo
	s_delay_alu instid0(VALU_DEP_3)
	v_cvt_f64_f32_e32 v[17:18], v9
	s_mov_b64 s[0:1], 0
	global_store_b64 v[19:20], v[17:18], off
	s_cbranch_execz .LBB113_58
; %bb.56:
	v_dual_mov_b32 v9, s1 :: v_dual_mov_b32 v8, s0
	s_branch .LBB113_59
.LBB113_57:
                                        ; implicit-def: $sgpr0_sgpr1
.LBB113_58:
	v_add_co_u32 v17, vcc_lo, v13, v0
	v_add_co_ci_u32_e32 v18, vcc_lo, v16, v1, vcc_lo
	flat_load_b64 v[17:18], v[17:18]
	s_waitcnt vmcnt(0) lgkmcnt(0)
	v_mul_f64 v[17:18], v[17:18], s[6:7]
	s_delay_alu instid0(VALU_DEP_1)
	v_cvt_f32_f64_e32 v9, v[17:18]
	v_add_co_u32 v17, vcc_lo, v11, v0
	v_add_co_ci_u32_e32 v18, vcc_lo, v12, v1, vcc_lo
	v_add_co_u32 v19, vcc_lo, v13, v2
	v_add_co_ci_u32_e32 v20, vcc_lo, v16, v3, vcc_lo
	v_min_f32_e32 v8, v9, v8
	s_delay_alu instid0(VALU_DEP_1)
	v_cvt_f64_f32_e32 v[8:9], v8
	global_store_b64 v[17:18], v[8:9], off
	flat_load_b64 v[8:9], v[19:20]
	s_waitcnt vmcnt(0) lgkmcnt(0)
	v_mul_f64 v[8:9], v[8:9], s[6:7]
.LBB113_59:
	s_delay_alu instid0(VALU_DEP_1) | instskip(SKIP_4) | instid1(VALU_DEP_3)
	v_cvt_f32_f64_e32 v8, v[8:9]
	v_max_f32_e32 v9, v176, v176
	v_add_co_u32 v19, vcc_lo, v11, v2
	v_add_co_ci_u32_e32 v20, vcc_lo, v12, v3, vcc_lo
	s_mov_b32 vcc_lo, s2
	v_min_f32_e32 v8, v8, v9
	s_delay_alu instid0(VALU_DEP_1)
	v_cvt_f64_f32_e32 v[17:18], v8
	v_max_f32_e32 v8, v175, v175
	global_store_b64 v[19:20], v[17:18], off
	s_cbranch_vccz .LBB113_62
; %bb.60:
	v_min_f32_e32 v9, 0, v8
	v_add_co_u32 v19, vcc_lo, v11, v4
	v_add_co_ci_u32_e32 v20, vcc_lo, v12, v5, vcc_lo
	s_delay_alu instid0(VALU_DEP_3)
	v_cvt_f64_f32_e32 v[17:18], v9
	s_mov_b64 s[0:1], 0
	global_store_b64 v[19:20], v[17:18], off
	s_cbranch_execz .LBB113_63
; %bb.61:
	v_dual_mov_b32 v9, s1 :: v_dual_mov_b32 v8, s0
	s_branch .LBB113_64
.LBB113_62:
                                        ; implicit-def: $sgpr0_sgpr1
.LBB113_63:
	v_add_co_u32 v17, vcc_lo, v13, v4
	v_add_co_ci_u32_e32 v18, vcc_lo, v16, v5, vcc_lo
	flat_load_b64 v[17:18], v[17:18]
	s_waitcnt vmcnt(0) lgkmcnt(0)
	v_mul_f64 v[17:18], v[17:18], s[6:7]
	s_delay_alu instid0(VALU_DEP_1)
	v_cvt_f32_f64_e32 v9, v[17:18]
	v_add_co_u32 v17, vcc_lo, v11, v4
	v_add_co_ci_u32_e32 v18, vcc_lo, v12, v5, vcc_lo
	v_add_co_u32 v19, vcc_lo, v13, v6
	v_add_co_ci_u32_e32 v20, vcc_lo, v16, v7, vcc_lo
	v_min_f32_e32 v8, v9, v8
	s_delay_alu instid0(VALU_DEP_1)
	v_cvt_f64_f32_e32 v[8:9], v8
	global_store_b64 v[17:18], v[8:9], off
	flat_load_b64 v[8:9], v[19:20]
	s_waitcnt vmcnt(0) lgkmcnt(0)
	v_mul_f64 v[8:9], v[8:9], s[6:7]
.LBB113_64:
	s_delay_alu instid0(VALU_DEP_1) | instskip(SKIP_4) | instid1(VALU_DEP_1)
	v_cvt_f32_f64_e32 v8, v[8:9]
	v_max_f32_e32 v9, v174, v174
	v_add_co_u32 v23, vcc_lo, v11, v6
	v_add_co_ci_u32_e32 v24, vcc_lo, v12, v7, vcc_lo
	v_add_nc_u32_e32 v13, 16, v10
	v_mad_i64_i32 v[19:20], null, v13, s3, 0
	s_delay_alu instid0(VALU_DEP_1) | instskip(SKIP_1) | instid1(VALU_DEP_1)
	v_lshlrev_b64 v[19:20], 3, v[19:20]
	v_min_f32_e32 v8, v8, v9
	v_cvt_f64_f32_e32 v[17:18], v8
	v_mad_i64_i32 v[8:9], null, v13, s8, 0
	s_delay_alu instid0(VALU_DEP_1) | instskip(SKIP_1) | instid1(VALU_DEP_2)
	v_lshlrev_b64 v[21:22], 3, v[8:9]
	v_max_f32_e32 v8, v173, v173
	v_add_co_u32 v11, vcc_lo, s9, v21
	s_delay_alu instid0(VALU_DEP_3)
	v_add_co_ci_u32_e32 v12, vcc_lo, s10, v22, vcc_lo
	v_add_co_u32 v13, vcc_lo, s4, v19
	v_add_co_ci_u32_e32 v16, vcc_lo, s5, v20, vcc_lo
	s_mov_b32 vcc_lo, s2
	global_store_b64 v[23:24], v[17:18], off
	s_cbranch_vccz .LBB113_67
; %bb.65:
	v_min_f32_e32 v9, 0, v8
	v_add_co_u32 v19, vcc_lo, v11, v0
	v_add_co_ci_u32_e32 v20, vcc_lo, v12, v1, vcc_lo
	s_delay_alu instid0(VALU_DEP_3)
	v_cvt_f64_f32_e32 v[17:18], v9
	s_mov_b64 s[0:1], 0
	global_store_b64 v[19:20], v[17:18], off
	s_cbranch_execz .LBB113_68
; %bb.66:
	v_dual_mov_b32 v9, s1 :: v_dual_mov_b32 v8, s0
	s_branch .LBB113_69
.LBB113_67:
                                        ; implicit-def: $sgpr0_sgpr1
.LBB113_68:
	v_add_co_u32 v17, vcc_lo, v13, v0
	v_add_co_ci_u32_e32 v18, vcc_lo, v16, v1, vcc_lo
	flat_load_b64 v[17:18], v[17:18]
	s_waitcnt vmcnt(0) lgkmcnt(0)
	v_mul_f64 v[17:18], v[17:18], s[6:7]
	s_delay_alu instid0(VALU_DEP_1)
	v_cvt_f32_f64_e32 v9, v[17:18]
	v_add_co_u32 v17, vcc_lo, v11, v0
	v_add_co_ci_u32_e32 v18, vcc_lo, v12, v1, vcc_lo
	v_add_co_u32 v19, vcc_lo, v13, v2
	v_add_co_ci_u32_e32 v20, vcc_lo, v16, v3, vcc_lo
	v_min_f32_e32 v8, v9, v8
	s_delay_alu instid0(VALU_DEP_1)
	v_cvt_f64_f32_e32 v[8:9], v8
	global_store_b64 v[17:18], v[8:9], off
	flat_load_b64 v[8:9], v[19:20]
	s_waitcnt vmcnt(0) lgkmcnt(0)
	v_mul_f64 v[8:9], v[8:9], s[6:7]
.LBB113_69:
	s_delay_alu instid0(VALU_DEP_1) | instskip(SKIP_4) | instid1(VALU_DEP_3)
	v_cvt_f32_f64_e32 v8, v[8:9]
	v_max_f32_e32 v9, v172, v172
	v_add_co_u32 v19, vcc_lo, v11, v2
	v_add_co_ci_u32_e32 v20, vcc_lo, v12, v3, vcc_lo
	s_mov_b32 vcc_lo, s2
	v_min_f32_e32 v8, v8, v9
	s_delay_alu instid0(VALU_DEP_1)
	v_cvt_f64_f32_e32 v[17:18], v8
	v_max_f32_e32 v8, v171, v171
	global_store_b64 v[19:20], v[17:18], off
	s_cbranch_vccz .LBB113_72
; %bb.70:
	v_min_f32_e32 v9, 0, v8
	v_add_co_u32 v19, vcc_lo, v11, v4
	v_add_co_ci_u32_e32 v20, vcc_lo, v12, v5, vcc_lo
	s_delay_alu instid0(VALU_DEP_3)
	v_cvt_f64_f32_e32 v[17:18], v9
	s_mov_b64 s[0:1], 0
	global_store_b64 v[19:20], v[17:18], off
	s_cbranch_execz .LBB113_73
; %bb.71:
	v_dual_mov_b32 v9, s1 :: v_dual_mov_b32 v8, s0
	s_branch .LBB113_74
.LBB113_72:
                                        ; implicit-def: $sgpr0_sgpr1
.LBB113_73:
	v_add_co_u32 v17, vcc_lo, v13, v4
	v_add_co_ci_u32_e32 v18, vcc_lo, v16, v5, vcc_lo
	flat_load_b64 v[17:18], v[17:18]
	s_waitcnt vmcnt(0) lgkmcnt(0)
	v_mul_f64 v[17:18], v[17:18], s[6:7]
	s_delay_alu instid0(VALU_DEP_1)
	v_cvt_f32_f64_e32 v9, v[17:18]
	v_add_co_u32 v17, vcc_lo, v11, v4
	v_add_co_ci_u32_e32 v18, vcc_lo, v12, v5, vcc_lo
	v_add_co_u32 v19, vcc_lo, v13, v6
	v_add_co_ci_u32_e32 v20, vcc_lo, v16, v7, vcc_lo
	v_min_f32_e32 v8, v9, v8
	s_delay_alu instid0(VALU_DEP_1)
	v_cvt_f64_f32_e32 v[8:9], v8
	global_store_b64 v[17:18], v[8:9], off
	flat_load_b64 v[8:9], v[19:20]
	s_waitcnt vmcnt(0) lgkmcnt(0)
	v_mul_f64 v[8:9], v[8:9], s[6:7]
.LBB113_74:
	s_delay_alu instid0(VALU_DEP_1) | instskip(SKIP_4) | instid1(VALU_DEP_1)
	v_cvt_f32_f64_e32 v8, v[8:9]
	v_max_f32_e32 v9, v170, v170
	v_add_co_u32 v23, vcc_lo, v11, v6
	v_add_co_ci_u32_e32 v24, vcc_lo, v12, v7, vcc_lo
	v_add_nc_u32_e32 v13, 24, v10
	v_mad_i64_i32 v[19:20], null, v13, s3, 0
	s_delay_alu instid0(VALU_DEP_1) | instskip(SKIP_1) | instid1(VALU_DEP_1)
	v_lshlrev_b64 v[19:20], 3, v[19:20]
	v_min_f32_e32 v8, v8, v9
	v_cvt_f64_f32_e32 v[17:18], v8
	v_mad_i64_i32 v[8:9], null, v13, s8, 0
	s_delay_alu instid0(VALU_DEP_1) | instskip(SKIP_1) | instid1(VALU_DEP_2)
	v_lshlrev_b64 v[21:22], 3, v[8:9]
	v_max_f32_e32 v8, v169, v169
	v_add_co_u32 v11, vcc_lo, s9, v21
	s_delay_alu instid0(VALU_DEP_3)
	v_add_co_ci_u32_e32 v12, vcc_lo, s10, v22, vcc_lo
	v_add_co_u32 v13, vcc_lo, s4, v19
	v_add_co_ci_u32_e32 v16, vcc_lo, s5, v20, vcc_lo
	s_mov_b32 vcc_lo, s2
	global_store_b64 v[23:24], v[17:18], off
	s_cbranch_vccz .LBB113_77
; %bb.75:
	v_min_f32_e32 v9, 0, v8
	v_add_co_u32 v19, vcc_lo, v11, v0
	v_add_co_ci_u32_e32 v20, vcc_lo, v12, v1, vcc_lo
	s_delay_alu instid0(VALU_DEP_3)
	v_cvt_f64_f32_e32 v[17:18], v9
	s_mov_b64 s[0:1], 0
	global_store_b64 v[19:20], v[17:18], off
	s_cbranch_execz .LBB113_78
; %bb.76:
	v_dual_mov_b32 v9, s1 :: v_dual_mov_b32 v8, s0
	s_branch .LBB113_79
.LBB113_77:
                                        ; implicit-def: $sgpr0_sgpr1
.LBB113_78:
	v_add_co_u32 v17, vcc_lo, v13, v0
	v_add_co_ci_u32_e32 v18, vcc_lo, v16, v1, vcc_lo
	flat_load_b64 v[17:18], v[17:18]
	s_waitcnt vmcnt(0) lgkmcnt(0)
	v_mul_f64 v[17:18], v[17:18], s[6:7]
	s_delay_alu instid0(VALU_DEP_1)
	v_cvt_f32_f64_e32 v9, v[17:18]
	v_add_co_u32 v17, vcc_lo, v11, v0
	v_add_co_ci_u32_e32 v18, vcc_lo, v12, v1, vcc_lo
	v_add_co_u32 v19, vcc_lo, v13, v2
	v_add_co_ci_u32_e32 v20, vcc_lo, v16, v3, vcc_lo
	v_min_f32_e32 v8, v9, v8
	s_delay_alu instid0(VALU_DEP_1)
	v_cvt_f64_f32_e32 v[8:9], v8
	global_store_b64 v[17:18], v[8:9], off
	flat_load_b64 v[8:9], v[19:20]
	s_waitcnt vmcnt(0) lgkmcnt(0)
	v_mul_f64 v[8:9], v[8:9], s[6:7]
.LBB113_79:
	s_delay_alu instid0(VALU_DEP_1) | instskip(SKIP_4) | instid1(VALU_DEP_3)
	v_cvt_f32_f64_e32 v8, v[8:9]
	v_max_f32_e32 v9, v168, v168
	v_add_co_u32 v19, vcc_lo, v11, v2
	v_add_co_ci_u32_e32 v20, vcc_lo, v12, v3, vcc_lo
	s_mov_b32 vcc_lo, s2
	v_min_f32_e32 v8, v8, v9
	s_delay_alu instid0(VALU_DEP_1)
	v_cvt_f64_f32_e32 v[17:18], v8
	v_max_f32_e32 v8, v167, v167
	global_store_b64 v[19:20], v[17:18], off
	s_cbranch_vccz .LBB113_82
; %bb.80:
	v_min_f32_e32 v9, 0, v8
	v_add_co_u32 v19, vcc_lo, v11, v4
	v_add_co_ci_u32_e32 v20, vcc_lo, v12, v5, vcc_lo
	s_delay_alu instid0(VALU_DEP_3)
	v_cvt_f64_f32_e32 v[17:18], v9
	s_mov_b64 s[0:1], 0
	global_store_b64 v[19:20], v[17:18], off
	s_cbranch_execz .LBB113_83
; %bb.81:
	v_dual_mov_b32 v9, s1 :: v_dual_mov_b32 v8, s0
	s_branch .LBB113_84
.LBB113_82:
                                        ; implicit-def: $sgpr0_sgpr1
.LBB113_83:
	v_add_co_u32 v17, vcc_lo, v13, v4
	v_add_co_ci_u32_e32 v18, vcc_lo, v16, v5, vcc_lo
	flat_load_b64 v[17:18], v[17:18]
	s_waitcnt vmcnt(0) lgkmcnt(0)
	v_mul_f64 v[17:18], v[17:18], s[6:7]
	s_delay_alu instid0(VALU_DEP_1)
	v_cvt_f32_f64_e32 v9, v[17:18]
	v_add_co_u32 v17, vcc_lo, v11, v4
	v_add_co_ci_u32_e32 v18, vcc_lo, v12, v5, vcc_lo
	v_add_co_u32 v19, vcc_lo, v13, v6
	v_add_co_ci_u32_e32 v20, vcc_lo, v16, v7, vcc_lo
	v_min_f32_e32 v8, v9, v8
	s_delay_alu instid0(VALU_DEP_1)
	v_cvt_f64_f32_e32 v[8:9], v8
	global_store_b64 v[17:18], v[8:9], off
	flat_load_b64 v[8:9], v[19:20]
	s_waitcnt vmcnt(0) lgkmcnt(0)
	v_mul_f64 v[8:9], v[8:9], s[6:7]
.LBB113_84:
	s_delay_alu instid0(VALU_DEP_1) | instskip(SKIP_4) | instid1(VALU_DEP_1)
	v_cvt_f32_f64_e32 v8, v[8:9]
	v_max_f32_e32 v9, v166, v166
	v_add_co_u32 v23, vcc_lo, v11, v6
	v_add_co_ci_u32_e32 v24, vcc_lo, v12, v7, vcc_lo
	v_add_nc_u32_e32 v13, 32, v10
	v_mad_i64_i32 v[19:20], null, v13, s3, 0
	s_delay_alu instid0(VALU_DEP_1) | instskip(SKIP_1) | instid1(VALU_DEP_1)
	v_lshlrev_b64 v[19:20], 3, v[19:20]
	v_min_f32_e32 v8, v8, v9
	v_cvt_f64_f32_e32 v[17:18], v8
	v_mad_i64_i32 v[8:9], null, v13, s8, 0
	s_delay_alu instid0(VALU_DEP_1) | instskip(SKIP_1) | instid1(VALU_DEP_2)
	v_lshlrev_b64 v[21:22], 3, v[8:9]
	v_max_f32_e32 v8, v165, v165
	v_add_co_u32 v11, vcc_lo, s9, v21
	s_delay_alu instid0(VALU_DEP_3)
	v_add_co_ci_u32_e32 v12, vcc_lo, s10, v22, vcc_lo
	v_add_co_u32 v13, vcc_lo, s4, v19
	v_add_co_ci_u32_e32 v16, vcc_lo, s5, v20, vcc_lo
	s_mov_b32 vcc_lo, s2
	global_store_b64 v[23:24], v[17:18], off
	s_cbranch_vccz .LBB113_87
; %bb.85:
	v_min_f32_e32 v9, 0, v8
	v_add_co_u32 v19, vcc_lo, v11, v0
	v_add_co_ci_u32_e32 v20, vcc_lo, v12, v1, vcc_lo
	s_delay_alu instid0(VALU_DEP_3)
	v_cvt_f64_f32_e32 v[17:18], v9
	s_mov_b64 s[0:1], 0
	global_store_b64 v[19:20], v[17:18], off
	s_cbranch_execz .LBB113_88
; %bb.86:
	v_dual_mov_b32 v9, s1 :: v_dual_mov_b32 v8, s0
	s_branch .LBB113_89
.LBB113_87:
                                        ; implicit-def: $sgpr0_sgpr1
.LBB113_88:
	v_add_co_u32 v17, vcc_lo, v13, v0
	v_add_co_ci_u32_e32 v18, vcc_lo, v16, v1, vcc_lo
	flat_load_b64 v[17:18], v[17:18]
	s_waitcnt vmcnt(0) lgkmcnt(0)
	v_mul_f64 v[17:18], v[17:18], s[6:7]
	s_delay_alu instid0(VALU_DEP_1)
	v_cvt_f32_f64_e32 v9, v[17:18]
	v_add_co_u32 v17, vcc_lo, v11, v0
	v_add_co_ci_u32_e32 v18, vcc_lo, v12, v1, vcc_lo
	v_add_co_u32 v19, vcc_lo, v13, v2
	v_add_co_ci_u32_e32 v20, vcc_lo, v16, v3, vcc_lo
	v_min_f32_e32 v8, v9, v8
	s_delay_alu instid0(VALU_DEP_1)
	v_cvt_f64_f32_e32 v[8:9], v8
	global_store_b64 v[17:18], v[8:9], off
	flat_load_b64 v[8:9], v[19:20]
	s_waitcnt vmcnt(0) lgkmcnt(0)
	v_mul_f64 v[8:9], v[8:9], s[6:7]
.LBB113_89:
	s_delay_alu instid0(VALU_DEP_1) | instskip(SKIP_4) | instid1(VALU_DEP_3)
	v_cvt_f32_f64_e32 v8, v[8:9]
	v_max_f32_e32 v9, v164, v164
	v_add_co_u32 v19, vcc_lo, v11, v2
	v_add_co_ci_u32_e32 v20, vcc_lo, v12, v3, vcc_lo
	s_mov_b32 vcc_lo, s2
	v_min_f32_e32 v8, v8, v9
	s_delay_alu instid0(VALU_DEP_1)
	v_cvt_f64_f32_e32 v[17:18], v8
	v_max_f32_e32 v8, v232, v232
	global_store_b64 v[19:20], v[17:18], off
	s_cbranch_vccz .LBB113_92
; %bb.90:
	v_min_f32_e32 v9, 0, v8
	v_add_co_u32 v19, vcc_lo, v11, v4
	v_add_co_ci_u32_e32 v20, vcc_lo, v12, v5, vcc_lo
	s_delay_alu instid0(VALU_DEP_3)
	v_cvt_f64_f32_e32 v[17:18], v9
	s_mov_b64 s[0:1], 0
	global_store_b64 v[19:20], v[17:18], off
	s_cbranch_execz .LBB113_93
; %bb.91:
	v_dual_mov_b32 v9, s1 :: v_dual_mov_b32 v8, s0
	s_branch .LBB113_94
.LBB113_92:
                                        ; implicit-def: $sgpr0_sgpr1
.LBB113_93:
	v_add_co_u32 v17, vcc_lo, v13, v4
	v_add_co_ci_u32_e32 v18, vcc_lo, v16, v5, vcc_lo
	flat_load_b64 v[17:18], v[17:18]
	s_waitcnt vmcnt(0) lgkmcnt(0)
	v_mul_f64 v[17:18], v[17:18], s[6:7]
	s_delay_alu instid0(VALU_DEP_1)
	v_cvt_f32_f64_e32 v9, v[17:18]
	v_add_co_u32 v17, vcc_lo, v11, v4
	v_add_co_ci_u32_e32 v18, vcc_lo, v12, v5, vcc_lo
	v_add_co_u32 v19, vcc_lo, v13, v6
	v_add_co_ci_u32_e32 v20, vcc_lo, v16, v7, vcc_lo
	v_min_f32_e32 v8, v9, v8
	s_delay_alu instid0(VALU_DEP_1)
	v_cvt_f64_f32_e32 v[8:9], v8
	global_store_b64 v[17:18], v[8:9], off
	flat_load_b64 v[8:9], v[19:20]
	s_waitcnt vmcnt(0) lgkmcnt(0)
	v_mul_f64 v[8:9], v[8:9], s[6:7]
.LBB113_94:
	s_delay_alu instid0(VALU_DEP_1) | instskip(SKIP_4) | instid1(VALU_DEP_1)
	v_cvt_f32_f64_e32 v8, v[8:9]
	v_max_f32_e32 v9, v231, v231
	v_add_co_u32 v23, vcc_lo, v11, v6
	v_add_co_ci_u32_e32 v24, vcc_lo, v12, v7, vcc_lo
	v_add_nc_u32_e32 v13, 40, v10
	v_mad_i64_i32 v[19:20], null, v13, s3, 0
	s_delay_alu instid0(VALU_DEP_1) | instskip(SKIP_1) | instid1(VALU_DEP_1)
	v_lshlrev_b64 v[19:20], 3, v[19:20]
	v_min_f32_e32 v8, v8, v9
	v_cvt_f64_f32_e32 v[17:18], v8
	v_mad_i64_i32 v[8:9], null, v13, s8, 0
	s_delay_alu instid0(VALU_DEP_1) | instskip(SKIP_1) | instid1(VALU_DEP_2)
	v_lshlrev_b64 v[21:22], 3, v[8:9]
	v_max_f32_e32 v8, v212, v212
	v_add_co_u32 v11, vcc_lo, s9, v21
	s_delay_alu instid0(VALU_DEP_3)
	v_add_co_ci_u32_e32 v12, vcc_lo, s10, v22, vcc_lo
	v_add_co_u32 v13, vcc_lo, s4, v19
	v_add_co_ci_u32_e32 v16, vcc_lo, s5, v20, vcc_lo
	s_mov_b32 vcc_lo, s2
	global_store_b64 v[23:24], v[17:18], off
	s_cbranch_vccz .LBB113_97
; %bb.95:
	v_min_f32_e32 v9, 0, v8
	v_add_co_u32 v19, vcc_lo, v11, v0
	v_add_co_ci_u32_e32 v20, vcc_lo, v12, v1, vcc_lo
	s_delay_alu instid0(VALU_DEP_3)
	v_cvt_f64_f32_e32 v[17:18], v9
	s_mov_b64 s[0:1], 0
	global_store_b64 v[19:20], v[17:18], off
	s_cbranch_execz .LBB113_98
; %bb.96:
	v_dual_mov_b32 v9, s1 :: v_dual_mov_b32 v8, s0
	s_branch .LBB113_99
.LBB113_97:
                                        ; implicit-def: $sgpr0_sgpr1
.LBB113_98:
	v_add_co_u32 v17, vcc_lo, v13, v0
	v_add_co_ci_u32_e32 v18, vcc_lo, v16, v1, vcc_lo
	flat_load_b64 v[17:18], v[17:18]
	s_waitcnt vmcnt(0) lgkmcnt(0)
	v_mul_f64 v[17:18], v[17:18], s[6:7]
	s_delay_alu instid0(VALU_DEP_1)
	v_cvt_f32_f64_e32 v9, v[17:18]
	v_add_co_u32 v17, vcc_lo, v11, v0
	v_add_co_ci_u32_e32 v18, vcc_lo, v12, v1, vcc_lo
	v_add_co_u32 v19, vcc_lo, v13, v2
	v_add_co_ci_u32_e32 v20, vcc_lo, v16, v3, vcc_lo
	v_min_f32_e32 v8, v9, v8
	s_delay_alu instid0(VALU_DEP_1)
	v_cvt_f64_f32_e32 v[8:9], v8
	global_store_b64 v[17:18], v[8:9], off
	flat_load_b64 v[8:9], v[19:20]
	s_waitcnt vmcnt(0) lgkmcnt(0)
	v_mul_f64 v[8:9], v[8:9], s[6:7]
.LBB113_99:
	s_delay_alu instid0(VALU_DEP_1) | instskip(SKIP_4) | instid1(VALU_DEP_3)
	v_cvt_f32_f64_e32 v8, v[8:9]
	v_max_f32_e32 v9, v188, v188
	v_add_co_u32 v19, vcc_lo, v11, v2
	v_add_co_ci_u32_e32 v20, vcc_lo, v12, v3, vcc_lo
	s_mov_b32 vcc_lo, s2
	v_min_f32_e32 v8, v8, v9
	s_delay_alu instid0(VALU_DEP_1)
	v_cvt_f64_f32_e32 v[17:18], v8
	v_max_f32_e32 v8, v229, v229
	global_store_b64 v[19:20], v[17:18], off
	s_cbranch_vccz .LBB113_102
; %bb.100:
	v_min_f32_e32 v9, 0, v8
	v_add_co_u32 v19, vcc_lo, v11, v4
	v_add_co_ci_u32_e32 v20, vcc_lo, v12, v5, vcc_lo
	s_delay_alu instid0(VALU_DEP_3)
	v_cvt_f64_f32_e32 v[17:18], v9
	s_mov_b64 s[0:1], 0
	global_store_b64 v[19:20], v[17:18], off
	s_cbranch_execz .LBB113_103
; %bb.101:
	v_dual_mov_b32 v9, s1 :: v_dual_mov_b32 v8, s0
	s_branch .LBB113_104
.LBB113_102:
                                        ; implicit-def: $sgpr0_sgpr1
.LBB113_103:
	v_add_co_u32 v17, vcc_lo, v13, v4
	v_add_co_ci_u32_e32 v18, vcc_lo, v16, v5, vcc_lo
	flat_load_b64 v[17:18], v[17:18]
	s_waitcnt vmcnt(0) lgkmcnt(0)
	v_mul_f64 v[17:18], v[17:18], s[6:7]
	s_delay_alu instid0(VALU_DEP_1)
	v_cvt_f32_f64_e32 v9, v[17:18]
	v_add_co_u32 v17, vcc_lo, v11, v4
	v_add_co_ci_u32_e32 v18, vcc_lo, v12, v5, vcc_lo
	v_add_co_u32 v19, vcc_lo, v13, v6
	v_add_co_ci_u32_e32 v20, vcc_lo, v16, v7, vcc_lo
	v_min_f32_e32 v8, v9, v8
	s_delay_alu instid0(VALU_DEP_1)
	v_cvt_f64_f32_e32 v[8:9], v8
	global_store_b64 v[17:18], v[8:9], off
	flat_load_b64 v[8:9], v[19:20]
	s_waitcnt vmcnt(0) lgkmcnt(0)
	v_mul_f64 v[8:9], v[8:9], s[6:7]
.LBB113_104:
	s_delay_alu instid0(VALU_DEP_1) | instskip(SKIP_4) | instid1(VALU_DEP_1)
	v_cvt_f32_f64_e32 v8, v[8:9]
	v_max_f32_e32 v9, v216, v216
	v_add_co_u32 v22, vcc_lo, v11, v6
	v_add_co_ci_u32_e32 v23, vcc_lo, v12, v7, vcc_lo
	v_add_nc_u32_e32 v13, 48, v10
	v_mad_i64_i32 v[18:19], null, v13, s3, 0
	v_min_f32_e32 v8, v8, v9
	s_delay_alu instid0(VALU_DEP_1) | instskip(SKIP_1) | instid1(VALU_DEP_4)
	v_cvt_f64_f32_e32 v[16:17], v8
	v_mad_i64_i32 v[8:9], null, v13, s8, 0
	v_lshlrev_b64 v[13:14], 3, v[18:19]
	s_delay_alu instid0(VALU_DEP_2) | instskip(SKIP_1) | instid1(VALU_DEP_2)
	v_lshlrev_b64 v[20:21], 3, v[8:9]
	v_max_f32_e32 v8, v227, v227
	v_add_co_u32 v11, vcc_lo, s9, v20
	s_delay_alu instid0(VALU_DEP_3)
	v_add_co_ci_u32_e32 v12, vcc_lo, s10, v21, vcc_lo
	v_add_co_u32 v13, vcc_lo, s4, v13
	v_add_co_ci_u32_e32 v14, vcc_lo, s5, v14, vcc_lo
	s_mov_b32 vcc_lo, s2
	global_store_b64 v[22:23], v[16:17], off
	s_cbranch_vccz .LBB113_107
; %bb.105:
	v_min_f32_e32 v9, 0, v8
	v_add_co_u32 v18, vcc_lo, v11, v0
	v_add_co_ci_u32_e32 v19, vcc_lo, v12, v1, vcc_lo
	s_delay_alu instid0(VALU_DEP_3)
	v_cvt_f64_f32_e32 v[16:17], v9
	s_mov_b64 s[0:1], 0
	global_store_b64 v[18:19], v[16:17], off
	s_cbranch_execz .LBB113_108
; %bb.106:
	v_dual_mov_b32 v9, s1 :: v_dual_mov_b32 v8, s0
	s_branch .LBB113_109
.LBB113_107:
                                        ; implicit-def: $sgpr0_sgpr1
.LBB113_108:
	v_add_co_u32 v16, vcc_lo, v13, v0
	v_add_co_ci_u32_e32 v17, vcc_lo, v14, v1, vcc_lo
	flat_load_b64 v[16:17], v[16:17]
	s_waitcnt vmcnt(0) lgkmcnt(0)
	v_mul_f64 v[16:17], v[16:17], s[6:7]
	s_delay_alu instid0(VALU_DEP_1)
	v_cvt_f32_f64_e32 v9, v[16:17]
	v_add_co_u32 v16, vcc_lo, v11, v0
	v_add_co_ci_u32_e32 v17, vcc_lo, v12, v1, vcc_lo
	v_add_co_u32 v18, vcc_lo, v13, v2
	v_add_co_ci_u32_e32 v19, vcc_lo, v14, v3, vcc_lo
	v_min_f32_e32 v8, v9, v8
	s_delay_alu instid0(VALU_DEP_1)
	v_cvt_f64_f32_e32 v[8:9], v8
	global_store_b64 v[16:17], v[8:9], off
	flat_load_b64 v[8:9], v[18:19]
	s_waitcnt vmcnt(0) lgkmcnt(0)
	v_mul_f64 v[8:9], v[8:9], s[6:7]
.LBB113_109:
	s_delay_alu instid0(VALU_DEP_1) | instskip(SKIP_4) | instid1(VALU_DEP_3)
	v_cvt_f32_f64_e32 v8, v[8:9]
	v_max_f32_e32 v9, v114, v114
	v_add_co_u32 v17, vcc_lo, v11, v2
	v_add_co_ci_u32_e32 v18, vcc_lo, v12, v3, vcc_lo
	s_mov_b32 vcc_lo, s2
	v_min_f32_e32 v8, v8, v9
	s_delay_alu instid0(VALU_DEP_1)
	v_cvt_f64_f32_e32 v[15:16], v8
	v_max_f32_e32 v8, v115, v115
	global_store_b64 v[17:18], v[15:16], off
	s_cbranch_vccz .LBB113_112
; %bb.110:
	v_min_f32_e32 v9, 0, v8
	v_add_co_u32 v17, vcc_lo, v11, v4
	v_add_co_ci_u32_e32 v18, vcc_lo, v12, v5, vcc_lo
	s_delay_alu instid0(VALU_DEP_3)
	v_cvt_f64_f32_e32 v[15:16], v9
	s_mov_b64 s[0:1], 0
	global_store_b64 v[17:18], v[15:16], off
	s_cbranch_execz .LBB113_113
; %bb.111:
	v_dual_mov_b32 v9, s1 :: v_dual_mov_b32 v8, s0
	s_branch .LBB113_114
.LBB113_112:
                                        ; implicit-def: $sgpr0_sgpr1
.LBB113_113:
	v_add_co_u32 v15, vcc_lo, v13, v4
	v_add_co_ci_u32_e32 v16, vcc_lo, v14, v5, vcc_lo
	flat_load_b64 v[15:16], v[15:16]
	s_waitcnt vmcnt(0) lgkmcnt(0)
	v_mul_f64 v[15:16], v[15:16], s[6:7]
	s_delay_alu instid0(VALU_DEP_1)
	v_cvt_f32_f64_e32 v9, v[15:16]
	v_add_co_u32 v15, vcc_lo, v11, v4
	v_add_co_ci_u32_e32 v16, vcc_lo, v12, v5, vcc_lo
	v_add_co_u32 v13, vcc_lo, v13, v6
	v_add_co_ci_u32_e32 v14, vcc_lo, v14, v7, vcc_lo
	v_min_f32_e32 v8, v9, v8
	s_delay_alu instid0(VALU_DEP_1)
	v_cvt_f64_f32_e32 v[8:9], v8
	global_store_b64 v[15:16], v[8:9], off
	flat_load_b64 v[8:9], v[13:14]
	s_waitcnt vmcnt(0) lgkmcnt(0)
	v_mul_f64 v[8:9], v[8:9], s[6:7]
.LBB113_114:
	s_delay_alu instid0(VALU_DEP_1) | instskip(SKIP_4) | instid1(VALU_DEP_1)
	v_cvt_f32_f64_e32 v8, v[8:9]
	v_max_f32_e32 v9, v80, v80
	v_add_co_u32 v19, vcc_lo, v11, v6
	v_add_co_ci_u32_e32 v20, vcc_lo, v12, v7, vcc_lo
	v_add_nc_u32_e32 v17, 56, v10
	v_mad_i64_i32 v[13:14], null, v17, s3, 0
	s_delay_alu instid0(VALU_DEP_1) | instskip(SKIP_1) | instid1(VALU_DEP_1)
	v_lshlrev_b64 v[13:14], 3, v[13:14]
	v_min_f32_e32 v8, v8, v9
	v_cvt_f64_f32_e32 v[15:16], v8
	v_mad_i64_i32 v[8:9], null, v17, s8, 0
	s_delay_alu instid0(VALU_DEP_1) | instskip(SKIP_1) | instid1(VALU_DEP_2)
	v_lshlrev_b64 v[17:18], 3, v[8:9]
	v_max_f32_e32 v8, v113, v113
	v_add_co_u32 v11, vcc_lo, s9, v17
	s_delay_alu instid0(VALU_DEP_3)
	v_add_co_ci_u32_e32 v12, vcc_lo, s10, v18, vcc_lo
	v_add_co_u32 v13, vcc_lo, s4, v13
	v_add_co_ci_u32_e32 v14, vcc_lo, s5, v14, vcc_lo
	s_mov_b32 vcc_lo, s2
	global_store_b64 v[19:20], v[15:16], off
	s_cbranch_vccz .LBB113_117
; %bb.115:
	v_min_f32_e32 v9, 0, v8
	v_add_co_u32 v17, vcc_lo, v11, v0
	v_add_co_ci_u32_e32 v18, vcc_lo, v12, v1, vcc_lo
	s_delay_alu instid0(VALU_DEP_3)
	v_cvt_f64_f32_e32 v[15:16], v9
	s_mov_b64 s[0:1], 0
	global_store_b64 v[17:18], v[15:16], off
	s_cbranch_execz .LBB113_118
; %bb.116:
	v_dual_mov_b32 v9, s1 :: v_dual_mov_b32 v8, s0
	s_branch .LBB113_119
.LBB113_117:
                                        ; implicit-def: $sgpr0_sgpr1
.LBB113_118:
	v_add_co_u32 v15, vcc_lo, v13, v0
	v_add_co_ci_u32_e32 v16, vcc_lo, v14, v1, vcc_lo
	flat_load_b64 v[15:16], v[15:16]
	s_waitcnt vmcnt(0) lgkmcnt(0)
	v_mul_f64 v[15:16], v[15:16], s[6:7]
	s_delay_alu instid0(VALU_DEP_1)
	v_cvt_f32_f64_e32 v9, v[15:16]
	v_add_co_u32 v15, vcc_lo, v11, v0
	v_add_co_ci_u32_e32 v16, vcc_lo, v12, v1, vcc_lo
	v_add_co_u32 v17, vcc_lo, v13, v2
	v_add_co_ci_u32_e32 v18, vcc_lo, v14, v3, vcc_lo
	v_min_f32_e32 v8, v9, v8
	s_delay_alu instid0(VALU_DEP_1)
	v_cvt_f64_f32_e32 v[8:9], v8
	global_store_b64 v[15:16], v[8:9], off
	flat_load_b64 v[8:9], v[17:18]
	s_waitcnt vmcnt(0) lgkmcnt(0)
	v_mul_f64 v[8:9], v[8:9], s[6:7]
.LBB113_119:
	s_delay_alu instid0(VALU_DEP_1) | instskip(SKIP_4) | instid1(VALU_DEP_3)
	v_cvt_f32_f64_e32 v8, v[8:9]
	v_max_f32_e32 v9, v88, v88
	v_add_co_u32 v17, vcc_lo, v11, v2
	v_add_co_ci_u32_e32 v18, vcc_lo, v12, v3, vcc_lo
	s_mov_b32 vcc_lo, s2
	v_min_f32_e32 v8, v8, v9
	s_delay_alu instid0(VALU_DEP_1)
	v_cvt_f64_f32_e32 v[15:16], v8
	v_max_f32_e32 v8, v78, v78
	global_store_b64 v[17:18], v[15:16], off
	s_cbranch_vccz .LBB113_122
; %bb.120:
	v_min_f32_e32 v9, 0, v8
	v_add_co_u32 v17, vcc_lo, v11, v4
	v_add_co_ci_u32_e32 v18, vcc_lo, v12, v5, vcc_lo
	s_delay_alu instid0(VALU_DEP_3)
	v_cvt_f64_f32_e32 v[15:16], v9
	s_mov_b64 s[0:1], 0
	global_store_b64 v[17:18], v[15:16], off
	s_cbranch_execz .LBB113_123
; %bb.121:
	v_dual_mov_b32 v9, s1 :: v_dual_mov_b32 v8, s0
	s_branch .LBB113_124
.LBB113_122:
                                        ; implicit-def: $sgpr0_sgpr1
.LBB113_123:
	v_add_co_u32 v15, vcc_lo, v13, v4
	v_add_co_ci_u32_e32 v16, vcc_lo, v14, v5, vcc_lo
	flat_load_b64 v[15:16], v[15:16]
	s_waitcnt vmcnt(0) lgkmcnt(0)
	v_mul_f64 v[15:16], v[15:16], s[6:7]
	s_delay_alu instid0(VALU_DEP_1)
	v_cvt_f32_f64_e32 v9, v[15:16]
	v_add_co_u32 v15, vcc_lo, v11, v4
	v_add_co_ci_u32_e32 v16, vcc_lo, v12, v5, vcc_lo
	v_add_co_u32 v13, vcc_lo, v13, v6
	v_add_co_ci_u32_e32 v14, vcc_lo, v14, v7, vcc_lo
	v_min_f32_e32 v8, v9, v8
	s_delay_alu instid0(VALU_DEP_1)
	v_cvt_f64_f32_e32 v[8:9], v8
	global_store_b64 v[15:16], v[8:9], off
	flat_load_b64 v[8:9], v[13:14]
	s_waitcnt vmcnt(0) lgkmcnt(0)
	v_mul_f64 v[8:9], v[8:9], s[6:7]
.LBB113_124:
	s_delay_alu instid0(VALU_DEP_1) | instskip(SKIP_4) | instid1(VALU_DEP_1)
	v_cvt_f32_f64_e32 v8, v[8:9]
	v_max_f32_e32 v9, v76, v76
	v_add_co_u32 v19, vcc_lo, v11, v6
	v_add_co_ci_u32_e32 v20, vcc_lo, v12, v7, vcc_lo
	v_add_nc_u32_e32 v17, 64, v10
	v_mad_i64_i32 v[13:14], null, v17, s3, 0
	s_delay_alu instid0(VALU_DEP_1) | instskip(SKIP_1) | instid1(VALU_DEP_1)
	v_lshlrev_b64 v[13:14], 3, v[13:14]
	v_min_f32_e32 v8, v8, v9
	v_cvt_f64_f32_e32 v[15:16], v8
	v_mad_i64_i32 v[8:9], null, v17, s8, 0
	s_delay_alu instid0(VALU_DEP_1) | instskip(SKIP_1) | instid1(VALU_DEP_2)
	v_lshlrev_b64 v[17:18], 3, v[8:9]
	v_max_f32_e32 v8, v33, v33
	v_add_co_u32 v11, vcc_lo, s9, v17
	s_delay_alu instid0(VALU_DEP_3)
	v_add_co_ci_u32_e32 v12, vcc_lo, s10, v18, vcc_lo
	v_add_co_u32 v13, vcc_lo, s4, v13
	v_add_co_ci_u32_e32 v14, vcc_lo, s5, v14, vcc_lo
	s_mov_b32 vcc_lo, s2
	global_store_b64 v[19:20], v[15:16], off
	s_cbranch_vccz .LBB113_127
; %bb.125:
	v_min_f32_e32 v9, 0, v8
	v_add_co_u32 v17, vcc_lo, v11, v0
	v_add_co_ci_u32_e32 v18, vcc_lo, v12, v1, vcc_lo
	s_delay_alu instid0(VALU_DEP_3)
	v_cvt_f64_f32_e32 v[15:16], v9
	s_mov_b64 s[0:1], 0
	global_store_b64 v[17:18], v[15:16], off
	s_cbranch_execz .LBB113_128
; %bb.126:
	v_dual_mov_b32 v9, s1 :: v_dual_mov_b32 v8, s0
	s_branch .LBB113_129
.LBB113_127:
                                        ; implicit-def: $sgpr0_sgpr1
.LBB113_128:
	v_add_co_u32 v15, vcc_lo, v13, v0
	v_add_co_ci_u32_e32 v16, vcc_lo, v14, v1, vcc_lo
	flat_load_b64 v[15:16], v[15:16]
	s_waitcnt vmcnt(0) lgkmcnt(0)
	v_mul_f64 v[15:16], v[15:16], s[6:7]
	s_delay_alu instid0(VALU_DEP_1)
	v_cvt_f32_f64_e32 v9, v[15:16]
	v_add_co_u32 v15, vcc_lo, v11, v0
	v_add_co_ci_u32_e32 v16, vcc_lo, v12, v1, vcc_lo
	v_add_co_u32 v17, vcc_lo, v13, v2
	v_add_co_ci_u32_e32 v18, vcc_lo, v14, v3, vcc_lo
	v_min_f32_e32 v8, v9, v8
	s_delay_alu instid0(VALU_DEP_1)
	v_cvt_f64_f32_e32 v[8:9], v8
	global_store_b64 v[15:16], v[8:9], off
	flat_load_b64 v[8:9], v[17:18]
	s_waitcnt vmcnt(0) lgkmcnt(0)
	v_mul_f64 v[8:9], v[8:9], s[6:7]
.LBB113_129:
	s_delay_alu instid0(VALU_DEP_1) | instskip(SKIP_4) | instid1(VALU_DEP_3)
	v_cvt_f32_f64_e32 v8, v[8:9]
	v_max_f32_e32 v9, v74, v74
	v_add_co_u32 v17, vcc_lo, v11, v2
	v_add_co_ci_u32_e32 v18, vcc_lo, v12, v3, vcc_lo
	s_mov_b32 vcc_lo, s2
	v_min_f32_e32 v8, v8, v9
	s_delay_alu instid0(VALU_DEP_1)
	v_cvt_f64_f32_e32 v[15:16], v8
	v_max_f32_e32 v8, v31, v31
	global_store_b64 v[17:18], v[15:16], off
	s_cbranch_vccz .LBB113_132
; %bb.130:
	v_min_f32_e32 v9, 0, v8
	v_add_co_u32 v17, vcc_lo, v11, v4
	v_add_co_ci_u32_e32 v18, vcc_lo, v12, v5, vcc_lo
	s_delay_alu instid0(VALU_DEP_3)
	v_cvt_f64_f32_e32 v[15:16], v9
	s_mov_b64 s[0:1], 0
	global_store_b64 v[17:18], v[15:16], off
	s_cbranch_execz .LBB113_133
; %bb.131:
	v_dual_mov_b32 v9, s1 :: v_dual_mov_b32 v8, s0
	s_branch .LBB113_134
.LBB113_132:
                                        ; implicit-def: $sgpr0_sgpr1
.LBB113_133:
	v_add_co_u32 v15, vcc_lo, v13, v4
	v_add_co_ci_u32_e32 v16, vcc_lo, v14, v5, vcc_lo
	flat_load_b64 v[15:16], v[15:16]
	s_waitcnt vmcnt(0) lgkmcnt(0)
	v_mul_f64 v[15:16], v[15:16], s[6:7]
	s_delay_alu instid0(VALU_DEP_1)
	v_cvt_f32_f64_e32 v9, v[15:16]
	v_add_co_u32 v15, vcc_lo, v11, v4
	v_add_co_ci_u32_e32 v16, vcc_lo, v12, v5, vcc_lo
	v_add_co_u32 v13, vcc_lo, v13, v6
	v_add_co_ci_u32_e32 v14, vcc_lo, v14, v7, vcc_lo
	v_min_f32_e32 v8, v9, v8
	s_delay_alu instid0(VALU_DEP_1)
	v_cvt_f64_f32_e32 v[8:9], v8
	global_store_b64 v[15:16], v[8:9], off
	flat_load_b64 v[8:9], v[13:14]
	s_waitcnt vmcnt(0) lgkmcnt(0)
	v_mul_f64 v[8:9], v[8:9], s[6:7]
.LBB113_134:
	s_delay_alu instid0(VALU_DEP_1) | instskip(SKIP_4) | instid1(VALU_DEP_1)
	v_cvt_f32_f64_e32 v8, v[8:9]
	v_max_f32_e32 v9, v72, v72
	v_add_co_u32 v19, vcc_lo, v11, v6
	v_add_co_ci_u32_e32 v20, vcc_lo, v12, v7, vcc_lo
	v_add_nc_u32_e32 v17, 0x48, v10
	v_mad_i64_i32 v[13:14], null, v17, s3, 0
	s_delay_alu instid0(VALU_DEP_1) | instskip(SKIP_1) | instid1(VALU_DEP_1)
	v_lshlrev_b64 v[13:14], 3, v[13:14]
	v_min_f32_e32 v8, v8, v9
	v_cvt_f64_f32_e32 v[15:16], v8
	v_mad_i64_i32 v[8:9], null, v17, s8, 0
	s_delay_alu instid0(VALU_DEP_1) | instskip(SKIP_1) | instid1(VALU_DEP_2)
	v_lshlrev_b64 v[17:18], 3, v[8:9]
	v_max_f32_e32 v8, v71, v71
	v_add_co_u32 v11, vcc_lo, s9, v17
	s_delay_alu instid0(VALU_DEP_3)
	v_add_co_ci_u32_e32 v12, vcc_lo, s10, v18, vcc_lo
	v_add_co_u32 v13, vcc_lo, s4, v13
	v_add_co_ci_u32_e32 v14, vcc_lo, s5, v14, vcc_lo
	s_mov_b32 vcc_lo, s2
	global_store_b64 v[19:20], v[15:16], off
	s_cbranch_vccz .LBB113_137
; %bb.135:
	v_min_f32_e32 v9, 0, v8
	v_add_co_u32 v17, vcc_lo, v11, v0
	v_add_co_ci_u32_e32 v18, vcc_lo, v12, v1, vcc_lo
	s_delay_alu instid0(VALU_DEP_3)
	v_cvt_f64_f32_e32 v[15:16], v9
	s_mov_b64 s[0:1], 0
	global_store_b64 v[17:18], v[15:16], off
	s_cbranch_execz .LBB113_138
; %bb.136:
	v_dual_mov_b32 v9, s1 :: v_dual_mov_b32 v8, s0
	s_branch .LBB113_139
.LBB113_137:
                                        ; implicit-def: $sgpr0_sgpr1
.LBB113_138:
	v_add_co_u32 v15, vcc_lo, v13, v0
	v_add_co_ci_u32_e32 v16, vcc_lo, v14, v1, vcc_lo
	flat_load_b64 v[15:16], v[15:16]
	s_waitcnt vmcnt(0) lgkmcnt(0)
	v_mul_f64 v[15:16], v[15:16], s[6:7]
	s_delay_alu instid0(VALU_DEP_1)
	v_cvt_f32_f64_e32 v9, v[15:16]
	v_add_co_u32 v15, vcc_lo, v11, v0
	v_add_co_ci_u32_e32 v16, vcc_lo, v12, v1, vcc_lo
	v_add_co_u32 v17, vcc_lo, v13, v2
	v_add_co_ci_u32_e32 v18, vcc_lo, v14, v3, vcc_lo
	v_min_f32_e32 v8, v9, v8
	s_delay_alu instid0(VALU_DEP_1)
	v_cvt_f64_f32_e32 v[8:9], v8
	global_store_b64 v[15:16], v[8:9], off
	flat_load_b64 v[8:9], v[17:18]
	s_waitcnt vmcnt(0) lgkmcnt(0)
	v_mul_f64 v[8:9], v[8:9], s[6:7]
.LBB113_139:
	s_delay_alu instid0(VALU_DEP_1) | instskip(SKIP_4) | instid1(VALU_DEP_3)
	v_cvt_f32_f64_e32 v8, v[8:9]
	v_max_f32_e32 v9, v70, v70
	v_add_co_u32 v17, vcc_lo, v11, v2
	v_add_co_ci_u32_e32 v18, vcc_lo, v12, v3, vcc_lo
	s_mov_b32 vcc_lo, s2
	v_min_f32_e32 v8, v8, v9
	s_delay_alu instid0(VALU_DEP_1)
	v_cvt_f64_f32_e32 v[15:16], v8
	v_max_f32_e32 v8, v28, v28
	global_store_b64 v[17:18], v[15:16], off
	s_cbranch_vccz .LBB113_142
; %bb.140:
	v_min_f32_e32 v9, 0, v8
	v_add_co_u32 v17, vcc_lo, v11, v4
	v_add_co_ci_u32_e32 v18, vcc_lo, v12, v5, vcc_lo
	s_delay_alu instid0(VALU_DEP_3)
	v_cvt_f64_f32_e32 v[15:16], v9
	s_mov_b64 s[0:1], 0
	global_store_b64 v[17:18], v[15:16], off
	s_cbranch_execz .LBB113_143
; %bb.141:
	v_dual_mov_b32 v9, s1 :: v_dual_mov_b32 v8, s0
	s_branch .LBB113_144
.LBB113_142:
                                        ; implicit-def: $sgpr0_sgpr1
.LBB113_143:
	v_add_co_u32 v15, vcc_lo, v13, v4
	v_add_co_ci_u32_e32 v16, vcc_lo, v14, v5, vcc_lo
	flat_load_b64 v[15:16], v[15:16]
	s_waitcnt vmcnt(0) lgkmcnt(0)
	v_mul_f64 v[15:16], v[15:16], s[6:7]
	s_delay_alu instid0(VALU_DEP_1)
	v_cvt_f32_f64_e32 v9, v[15:16]
	v_add_co_u32 v15, vcc_lo, v11, v4
	v_add_co_ci_u32_e32 v16, vcc_lo, v12, v5, vcc_lo
	v_add_co_u32 v13, vcc_lo, v13, v6
	v_add_co_ci_u32_e32 v14, vcc_lo, v14, v7, vcc_lo
	v_min_f32_e32 v8, v9, v8
	s_delay_alu instid0(VALU_DEP_1)
	v_cvt_f64_f32_e32 v[8:9], v8
	global_store_b64 v[15:16], v[8:9], off
	flat_load_b64 v[8:9], v[13:14]
	s_waitcnt vmcnt(0) lgkmcnt(0)
	v_mul_f64 v[8:9], v[8:9], s[6:7]
.LBB113_144:
	s_delay_alu instid0(VALU_DEP_1) | instskip(SKIP_4) | instid1(VALU_DEP_1)
	v_cvt_f32_f64_e32 v8, v[8:9]
	v_max_f32_e32 v9, v69, v69
	v_add_co_u32 v19, vcc_lo, v11, v6
	v_add_co_ci_u32_e32 v20, vcc_lo, v12, v7, vcc_lo
	v_add_nc_u32_e32 v17, 0x50, v10
	v_mad_i64_i32 v[13:14], null, v17, s3, 0
	s_delay_alu instid0(VALU_DEP_1) | instskip(SKIP_1) | instid1(VALU_DEP_1)
	v_lshlrev_b64 v[13:14], 3, v[13:14]
	v_min_f32_e32 v8, v8, v9
	v_cvt_f64_f32_e32 v[15:16], v8
	v_mad_i64_i32 v[8:9], null, v17, s8, 0
	s_delay_alu instid0(VALU_DEP_1) | instskip(SKIP_1) | instid1(VALU_DEP_2)
	v_lshlrev_b64 v[17:18], 3, v[8:9]
	v_max_f32_e32 v8, v77, v77
	v_add_co_u32 v11, vcc_lo, s9, v17
	s_delay_alu instid0(VALU_DEP_3)
	v_add_co_ci_u32_e32 v12, vcc_lo, s10, v18, vcc_lo
	v_add_co_u32 v13, vcc_lo, s4, v13
	v_add_co_ci_u32_e32 v14, vcc_lo, s5, v14, vcc_lo
	s_mov_b32 vcc_lo, s2
	global_store_b64 v[19:20], v[15:16], off
	s_cbranch_vccz .LBB113_147
; %bb.145:
	v_min_f32_e32 v9, 0, v8
	v_add_co_u32 v17, vcc_lo, v11, v0
	v_add_co_ci_u32_e32 v18, vcc_lo, v12, v1, vcc_lo
	s_delay_alu instid0(VALU_DEP_3)
	v_cvt_f64_f32_e32 v[15:16], v9
	s_mov_b64 s[0:1], 0
	global_store_b64 v[17:18], v[15:16], off
	s_cbranch_execz .LBB113_148
; %bb.146:
	v_dual_mov_b32 v9, s1 :: v_dual_mov_b32 v8, s0
	s_branch .LBB113_149
.LBB113_147:
                                        ; implicit-def: $sgpr0_sgpr1
.LBB113_148:
	v_add_co_u32 v15, vcc_lo, v13, v0
	v_add_co_ci_u32_e32 v16, vcc_lo, v14, v1, vcc_lo
	flat_load_b64 v[15:16], v[15:16]
	s_waitcnt vmcnt(0) lgkmcnt(0)
	v_mul_f64 v[15:16], v[15:16], s[6:7]
	s_delay_alu instid0(VALU_DEP_1)
	v_cvt_f32_f64_e32 v9, v[15:16]
	v_add_co_u32 v15, vcc_lo, v11, v0
	v_add_co_ci_u32_e32 v16, vcc_lo, v12, v1, vcc_lo
	v_add_co_u32 v17, vcc_lo, v13, v2
	v_add_co_ci_u32_e32 v18, vcc_lo, v14, v3, vcc_lo
	v_min_f32_e32 v8, v9, v8
	s_delay_alu instid0(VALU_DEP_1)
	v_cvt_f64_f32_e32 v[8:9], v8
	global_store_b64 v[15:16], v[8:9], off
	flat_load_b64 v[8:9], v[17:18]
	s_waitcnt vmcnt(0) lgkmcnt(0)
	v_mul_f64 v[8:9], v[8:9], s[6:7]
.LBB113_149:
	s_delay_alu instid0(VALU_DEP_1) | instskip(SKIP_4) | instid1(VALU_DEP_3)
	v_cvt_f32_f64_e32 v8, v[8:9]
	v_max_f32_e32 v9, v226, v226
	v_add_co_u32 v17, vcc_lo, v11, v2
	v_add_co_ci_u32_e32 v18, vcc_lo, v12, v3, vcc_lo
	s_mov_b32 vcc_lo, s2
	v_min_f32_e32 v8, v8, v9
	s_delay_alu instid0(VALU_DEP_1)
	v_cvt_f64_f32_e32 v[15:16], v8
	v_max_f32_e32 v8, v155, v155
	global_store_b64 v[17:18], v[15:16], off
	s_cbranch_vccz .LBB113_152
; %bb.150:
	v_min_f32_e32 v9, 0, v8
	v_add_co_u32 v17, vcc_lo, v11, v4
	v_add_co_ci_u32_e32 v18, vcc_lo, v12, v5, vcc_lo
	s_delay_alu instid0(VALU_DEP_3)
	v_cvt_f64_f32_e32 v[15:16], v9
	s_mov_b32 s0, 0
	global_store_b64 v[17:18], v[15:16], off
	s_cbranch_execz .LBB113_153
; %bb.151:
	v_mov_b32_e32 v8, s0
	s_branch .LBB113_154
.LBB113_152:
	s_mov_b32 s0, -1
.LBB113_153:
	v_add_co_u32 v15, vcc_lo, v13, v4
	v_add_co_ci_u32_e32 v16, vcc_lo, v14, v5, vcc_lo
	flat_load_b64 v[15:16], v[15:16]
	s_waitcnt vmcnt(0) lgkmcnt(0)
	v_mul_f64 v[15:16], v[15:16], s[6:7]
	s_delay_alu instid0(VALU_DEP_1)
	v_cvt_f32_f64_e32 v9, v[15:16]
	v_add_co_u32 v15, vcc_lo, v11, v4
	v_add_co_ci_u32_e32 v16, vcc_lo, v12, v5, vcc_lo
	v_add_co_u32 v13, vcc_lo, v13, v6
	v_add_co_ci_u32_e32 v14, vcc_lo, v14, v7, vcc_lo
	v_min_f32_e32 v8, v9, v8
	s_delay_alu instid0(VALU_DEP_1) | instskip(SKIP_4) | instid1(VALU_DEP_1)
	v_cvt_f64_f32_e32 v[8:9], v8
	global_store_b64 v[15:16], v[8:9], off
	flat_load_b64 v[8:9], v[13:14]
	s_waitcnt vmcnt(0) lgkmcnt(0)
	v_mul_f64 v[8:9], v[8:9], s[6:7]
	v_cvt_f32_f64_e32 v8, v[8:9]
.LBB113_154:
	v_max_f32_e32 v9, v100, v100
	s_delay_alu instid0(VALU_DEP_2) | instskip(SKIP_2) | instid1(VALU_DEP_3)
	v_dual_max_f32 v8, v8, v8 :: v_dual_add_nc_u32 v13, 0x58, v10
	v_add_co_u32 v18, vcc_lo, v11, v6
	v_add_co_ci_u32_e32 v19, vcc_lo, v12, v7, vcc_lo
	v_min_f32_e32 v8, v8, v9
	s_delay_alu instid0(VALU_DEP_4) | instskip(NEXT) | instid1(VALU_DEP_2)
	v_mad_i64_i32 v[16:17], null, v13, s3, 0
	v_cvt_f64_f32_e32 v[14:15], v8
	v_mad_i64_i32 v[8:9], null, v13, s8, 0
	v_max_f32_e32 v13, v99, v99
	s_delay_alu instid0(VALU_DEP_4) | instskip(NEXT) | instid1(VALU_DEP_3)
	v_lshlrev_b64 v[11:12], 3, v[16:17]
	v_lshlrev_b64 v[8:9], 3, v[8:9]
	s_delay_alu instid0(VALU_DEP_1) | instskip(NEXT) | instid1(VALU_DEP_2)
	v_add_co_u32 v8, vcc_lo, s9, v8
	v_add_co_ci_u32_e32 v9, vcc_lo, s10, v9, vcc_lo
	s_delay_alu instid0(VALU_DEP_4)
	v_add_co_u32 v11, vcc_lo, s4, v11
	v_add_co_ci_u32_e32 v12, vcc_lo, s5, v12, vcc_lo
	s_mov_b32 vcc_lo, s2
	global_store_b64 v[18:19], v[14:15], off
	s_cbranch_vccz .LBB113_157
; %bb.155:
	v_min_f32_e32 v14, 0, v13
	v_add_co_u32 v16, vcc_lo, v8, v0
	v_add_co_ci_u32_e32 v17, vcc_lo, v9, v1, vcc_lo
	s_delay_alu instid0(VALU_DEP_3)
	v_cvt_f64_f32_e32 v[14:15], v14
	s_mov_b32 s0, 0
	global_store_b64 v[16:17], v[14:15], off
	s_cbranch_execz .LBB113_158
; %bb.156:
	v_mov_b32_e32 v13, s0
	s_branch .LBB113_159
.LBB113_157:
	s_mov_b32 s0, -1
.LBB113_158:
	v_add_co_u32 v14, vcc_lo, v11, v0
	v_add_co_ci_u32_e32 v15, vcc_lo, v12, v1, vcc_lo
	flat_load_b64 v[14:15], v[14:15]
	s_waitcnt vmcnt(0) lgkmcnt(0)
	v_mul_f64 v[14:15], v[14:15], s[6:7]
	s_delay_alu instid0(VALU_DEP_1)
	v_cvt_f32_f64_e32 v14, v[14:15]
	v_add_co_u32 v15, vcc_lo, v8, v0
	v_add_co_ci_u32_e32 v16, vcc_lo, v9, v1, vcc_lo
	v_add_co_u32 v17, vcc_lo, v11, v2
	v_add_co_ci_u32_e32 v18, vcc_lo, v12, v3, vcc_lo
	v_min_f32_e32 v13, v14, v13
	s_delay_alu instid0(VALU_DEP_1) | instskip(SKIP_4) | instid1(VALU_DEP_1)
	v_cvt_f64_f32_e32 v[13:14], v13
	global_store_b64 v[15:16], v[13:14], off
	flat_load_b64 v[13:14], v[17:18]
	s_waitcnt vmcnt(0) lgkmcnt(0)
	v_mul_f64 v[13:14], v[13:14], s[6:7]
	v_cvt_f32_f64_e32 v13, v[13:14]
.LBB113_159:
	v_max_f32_e32 v14, v25, v25
	s_delay_alu instid0(VALU_DEP_2) | instskip(SKIP_2) | instid1(VALU_DEP_3)
	v_max_f32_e32 v13, v13, v13
	v_add_co_u32 v16, vcc_lo, v8, v2
	v_add_co_ci_u32_e32 v17, vcc_lo, v9, v3, vcc_lo
	v_min_f32_e32 v13, v13, v14
	s_mov_b32 vcc_lo, s2
	s_delay_alu instid0(VALU_DEP_1)
	v_cvt_f64_f32_e32 v[14:15], v13
	v_max_f32_e32 v13, v236, v236
	global_store_b64 v[16:17], v[14:15], off
	s_cbranch_vccz .LBB113_162
; %bb.160:
	v_min_f32_e32 v14, 0, v13
	v_add_co_u32 v16, vcc_lo, v8, v4
	v_add_co_ci_u32_e32 v17, vcc_lo, v9, v5, vcc_lo
	s_delay_alu instid0(VALU_DEP_3)
	v_cvt_f64_f32_e32 v[14:15], v14
	s_mov_b32 s0, 0
	global_store_b64 v[16:17], v[14:15], off
	s_cbranch_execz .LBB113_163
; %bb.161:
	v_mov_b32_e32 v11, s0
	s_branch .LBB113_164
.LBB113_162:
	s_mov_b32 s0, -1
.LBB113_163:
	v_add_co_u32 v14, vcc_lo, v11, v4
	v_add_co_ci_u32_e32 v15, vcc_lo, v12, v5, vcc_lo
	flat_load_b64 v[14:15], v[14:15]
	s_waitcnt vmcnt(0) lgkmcnt(0)
	v_mul_f64 v[14:15], v[14:15], s[6:7]
	s_delay_alu instid0(VALU_DEP_1)
	v_cvt_f32_f64_e32 v14, v[14:15]
	v_add_co_u32 v15, vcc_lo, v8, v4
	v_add_co_ci_u32_e32 v16, vcc_lo, v9, v5, vcc_lo
	v_add_co_u32 v11, vcc_lo, v11, v6
	v_add_co_ci_u32_e32 v12, vcc_lo, v12, v7, vcc_lo
	v_min_f32_e32 v13, v14, v13
	s_delay_alu instid0(VALU_DEP_1) | instskip(SKIP_4) | instid1(VALU_DEP_1)
	v_cvt_f64_f32_e32 v[13:14], v13
	global_store_b64 v[15:16], v[13:14], off
	flat_load_b64 v[11:12], v[11:12]
	s_waitcnt vmcnt(0) lgkmcnt(0)
	v_mul_f64 v[11:12], v[11:12], s[6:7]
	v_cvt_f32_f64_e32 v11, v[11:12]
.LBB113_164:
	s_delay_alu instid0(VALU_DEP_1) | instskip(SKIP_3) | instid1(VALU_DEP_4)
	v_dual_max_f32 v12, v234, v234 :: v_dual_max_f32 v11, v11, v11
	v_add_nc_u32_e32 v13, 0x60, v10
	v_add_co_u32 v18, vcc_lo, v8, v6
	v_add_co_ci_u32_e32 v19, vcc_lo, v9, v7, vcc_lo
	v_min_f32_e32 v11, v11, v12
	s_delay_alu instid0(VALU_DEP_4) | instskip(NEXT) | instid1(VALU_DEP_2)
	v_mad_i64_i32 v[16:17], null, v13, s3, 0
	v_cvt_f64_f32_e32 v[14:15], v11
	v_mad_i64_i32 v[11:12], null, v13, s8, 0
	v_max_f32_e32 v13, v233, v233
	s_delay_alu instid0(VALU_DEP_4) | instskip(NEXT) | instid1(VALU_DEP_3)
	v_lshlrev_b64 v[16:17], 3, v[16:17]
	v_lshlrev_b64 v[11:12], 3, v[11:12]
	s_delay_alu instid0(VALU_DEP_1) | instskip(NEXT) | instid1(VALU_DEP_2)
	v_add_co_u32 v8, vcc_lo, s9, v11
	v_add_co_ci_u32_e32 v9, vcc_lo, s10, v12, vcc_lo
	s_delay_alu instid0(VALU_DEP_4)
	v_add_co_u32 v11, vcc_lo, s4, v16
	v_add_co_ci_u32_e32 v12, vcc_lo, s5, v17, vcc_lo
	s_mov_b32 vcc_lo, s2
	global_store_b64 v[18:19], v[14:15], off
	s_cbranch_vccz .LBB113_167
; %bb.165:
	v_min_f32_e32 v14, 0, v13
	v_add_co_u32 v16, vcc_lo, v8, v0
	v_add_co_ci_u32_e32 v17, vcc_lo, v9, v1, vcc_lo
	s_delay_alu instid0(VALU_DEP_3)
	v_cvt_f64_f32_e32 v[14:15], v14
	s_mov_b32 s0, 0
	global_store_b64 v[16:17], v[14:15], off
	s_cbranch_execz .LBB113_168
; %bb.166:
	v_mov_b32_e32 v13, s0
	s_branch .LBB113_169
.LBB113_167:
	s_mov_b32 s0, -1
.LBB113_168:
	v_add_co_u32 v14, vcc_lo, v11, v0
	v_add_co_ci_u32_e32 v15, vcc_lo, v12, v1, vcc_lo
	flat_load_b64 v[14:15], v[14:15]
	s_waitcnt vmcnt(0) lgkmcnt(0)
	v_mul_f64 v[14:15], v[14:15], s[6:7]
	s_delay_alu instid0(VALU_DEP_1)
	v_cvt_f32_f64_e32 v14, v[14:15]
	v_add_co_u32 v15, vcc_lo, v8, v0
	v_add_co_ci_u32_e32 v16, vcc_lo, v9, v1, vcc_lo
	v_add_co_u32 v17, vcc_lo, v11, v2
	v_add_co_ci_u32_e32 v18, vcc_lo, v12, v3, vcc_lo
	v_min_f32_e32 v13, v14, v13
	s_delay_alu instid0(VALU_DEP_1) | instskip(SKIP_4) | instid1(VALU_DEP_1)
	v_cvt_f64_f32_e32 v[13:14], v13
	global_store_b64 v[15:16], v[13:14], off
	flat_load_b64 v[13:14], v[17:18]
	s_waitcnt vmcnt(0) lgkmcnt(0)
	v_mul_f64 v[13:14], v[13:14], s[6:7]
	v_cvt_f32_f64_e32 v13, v[13:14]
.LBB113_169:
	v_max_f32_e32 v14, v149, v149
	s_delay_alu instid0(VALU_DEP_2) | instskip(SKIP_2) | instid1(VALU_DEP_3)
	v_max_f32_e32 v13, v13, v13
	v_add_co_u32 v16, vcc_lo, v8, v2
	v_add_co_ci_u32_e32 v17, vcc_lo, v9, v3, vcc_lo
	v_min_f32_e32 v13, v13, v14
	s_mov_b32 vcc_lo, s2
	s_delay_alu instid0(VALU_DEP_1)
	v_cvt_f64_f32_e32 v[14:15], v13
	v_max_f32_e32 v13, v225, v225
	global_store_b64 v[16:17], v[14:15], off
	s_cbranch_vccz .LBB113_172
; %bb.170:
	v_min_f32_e32 v14, 0, v13
	v_add_co_u32 v16, vcc_lo, v8, v4
	v_add_co_ci_u32_e32 v17, vcc_lo, v9, v5, vcc_lo
	s_delay_alu instid0(VALU_DEP_3)
	v_cvt_f64_f32_e32 v[14:15], v14
	s_mov_b32 s0, 0
	global_store_b64 v[16:17], v[14:15], off
	s_cbranch_execz .LBB113_173
; %bb.171:
	v_mov_b32_e32 v11, s0
	s_branch .LBB113_174
.LBB113_172:
	s_mov_b32 s0, -1
.LBB113_173:
	v_add_co_u32 v14, vcc_lo, v11, v4
	v_add_co_ci_u32_e32 v15, vcc_lo, v12, v5, vcc_lo
	flat_load_b64 v[14:15], v[14:15]
	s_waitcnt vmcnt(0) lgkmcnt(0)
	v_mul_f64 v[14:15], v[14:15], s[6:7]
	s_delay_alu instid0(VALU_DEP_1)
	v_cvt_f32_f64_e32 v14, v[14:15]
	v_add_co_u32 v15, vcc_lo, v8, v4
	v_add_co_ci_u32_e32 v16, vcc_lo, v9, v5, vcc_lo
	v_add_co_u32 v11, vcc_lo, v11, v6
	v_add_co_ci_u32_e32 v12, vcc_lo, v12, v7, vcc_lo
	v_min_f32_e32 v13, v14, v13
	s_delay_alu instid0(VALU_DEP_1) | instskip(SKIP_4) | instid1(VALU_DEP_1)
	v_cvt_f64_f32_e32 v[13:14], v13
	global_store_b64 v[15:16], v[13:14], off
	flat_load_b64 v[11:12], v[11:12]
	s_waitcnt vmcnt(0) lgkmcnt(0)
	v_mul_f64 v[11:12], v[11:12], s[6:7]
	v_cvt_f32_f64_e32 v11, v[11:12]
.LBB113_174:
	s_delay_alu instid0(VALU_DEP_1) | instskip(SKIP_3) | instid1(VALU_DEP_4)
	v_dual_max_f32 v12, v224, v224 :: v_dual_max_f32 v11, v11, v11
	v_add_nc_u32_e32 v13, 0x68, v10
	v_add_co_u32 v18, vcc_lo, v8, v6
	v_add_co_ci_u32_e32 v19, vcc_lo, v9, v7, vcc_lo
	v_min_f32_e32 v11, v11, v12
	s_delay_alu instid0(VALU_DEP_4) | instskip(NEXT) | instid1(VALU_DEP_2)
	v_mad_i64_i32 v[16:17], null, v13, s3, 0
	v_cvt_f64_f32_e32 v[14:15], v11
	v_mad_i64_i32 v[11:12], null, v13, s8, 0
	v_max_f32_e32 v13, v223, v223
	s_delay_alu instid0(VALU_DEP_4) | instskip(NEXT) | instid1(VALU_DEP_3)
	v_lshlrev_b64 v[16:17], 3, v[16:17]
	v_lshlrev_b64 v[11:12], 3, v[11:12]
	s_delay_alu instid0(VALU_DEP_1) | instskip(NEXT) | instid1(VALU_DEP_2)
	v_add_co_u32 v8, vcc_lo, s9, v11
	v_add_co_ci_u32_e32 v9, vcc_lo, s10, v12, vcc_lo
	s_delay_alu instid0(VALU_DEP_4)
	v_add_co_u32 v11, vcc_lo, s4, v16
	v_add_co_ci_u32_e32 v12, vcc_lo, s5, v17, vcc_lo
	s_mov_b32 vcc_lo, s2
	global_store_b64 v[18:19], v[14:15], off
	s_cbranch_vccz .LBB113_177
; %bb.175:
	v_min_f32_e32 v14, 0, v13
	v_add_co_u32 v16, vcc_lo, v8, v0
	v_add_co_ci_u32_e32 v17, vcc_lo, v9, v1, vcc_lo
	s_delay_alu instid0(VALU_DEP_3)
	v_cvt_f64_f32_e32 v[14:15], v14
	s_mov_b32 s0, 0
	global_store_b64 v[16:17], v[14:15], off
	s_cbranch_execz .LBB113_178
; %bb.176:
	v_mov_b32_e32 v13, s0
	s_branch .LBB113_179
.LBB113_177:
	s_mov_b32 s0, -1
.LBB113_178:
	v_add_co_u32 v14, vcc_lo, v11, v0
	v_add_co_ci_u32_e32 v15, vcc_lo, v12, v1, vcc_lo
	flat_load_b64 v[14:15], v[14:15]
	s_waitcnt vmcnt(0) lgkmcnt(0)
	v_mul_f64 v[14:15], v[14:15], s[6:7]
	s_delay_alu instid0(VALU_DEP_1)
	v_cvt_f32_f64_e32 v14, v[14:15]
	v_add_co_u32 v15, vcc_lo, v8, v0
	v_add_co_ci_u32_e32 v16, vcc_lo, v9, v1, vcc_lo
	v_add_co_u32 v17, vcc_lo, v11, v2
	v_add_co_ci_u32_e32 v18, vcc_lo, v12, v3, vcc_lo
	v_min_f32_e32 v13, v14, v13
	s_delay_alu instid0(VALU_DEP_1) | instskip(SKIP_4) | instid1(VALU_DEP_1)
	v_cvt_f64_f32_e32 v[13:14], v13
	global_store_b64 v[15:16], v[13:14], off
	flat_load_b64 v[13:14], v[17:18]
	s_waitcnt vmcnt(0) lgkmcnt(0)
	v_mul_f64 v[13:14], v[13:14], s[6:7]
	v_cvt_f32_f64_e32 v13, v[13:14]
.LBB113_179:
	s_delay_alu instid0(VALU_DEP_1) | instskip(SKIP_2) | instid1(VALU_DEP_3)
	v_dual_max_f32 v14, v82, v82 :: v_dual_max_f32 v13, v13, v13
	v_add_co_u32 v16, vcc_lo, v8, v2
	v_add_co_ci_u32_e32 v17, vcc_lo, v9, v3, vcc_lo
	v_min_f32_e32 v13, v13, v14
	s_mov_b32 vcc_lo, s2
	s_delay_alu instid0(VALU_DEP_1)
	v_cvt_f64_f32_e32 v[14:15], v13
	v_max_f32_e32 v13, v161, v161
	global_store_b64 v[16:17], v[14:15], off
	s_cbranch_vccz .LBB113_182
; %bb.180:
	v_min_f32_e32 v14, 0, v13
	v_add_co_u32 v16, vcc_lo, v8, v4
	v_add_co_ci_u32_e32 v17, vcc_lo, v9, v5, vcc_lo
	s_delay_alu instid0(VALU_DEP_3)
	v_cvt_f64_f32_e32 v[14:15], v14
	s_mov_b32 s0, 0
	global_store_b64 v[16:17], v[14:15], off
	s_cbranch_execz .LBB113_183
; %bb.181:
	v_mov_b32_e32 v11, s0
	s_branch .LBB113_184
.LBB113_182:
	s_mov_b32 s0, -1
.LBB113_183:
	v_add_co_u32 v14, vcc_lo, v11, v4
	v_add_co_ci_u32_e32 v15, vcc_lo, v12, v5, vcc_lo
	flat_load_b64 v[14:15], v[14:15]
	s_waitcnt vmcnt(0) lgkmcnt(0)
	v_mul_f64 v[14:15], v[14:15], s[6:7]
	s_delay_alu instid0(VALU_DEP_1)
	v_cvt_f32_f64_e32 v14, v[14:15]
	v_add_co_u32 v15, vcc_lo, v8, v4
	v_add_co_ci_u32_e32 v16, vcc_lo, v9, v5, vcc_lo
	v_add_co_u32 v11, vcc_lo, v11, v6
	v_add_co_ci_u32_e32 v12, vcc_lo, v12, v7, vcc_lo
	v_min_f32_e32 v13, v14, v13
	s_delay_alu instid0(VALU_DEP_1) | instskip(SKIP_4) | instid1(VALU_DEP_1)
	v_cvt_f64_f32_e32 v[13:14], v13
	global_store_b64 v[15:16], v[13:14], off
	flat_load_b64 v[11:12], v[11:12]
	s_waitcnt vmcnt(0) lgkmcnt(0)
	v_mul_f64 v[11:12], v[11:12], s[6:7]
	v_cvt_f32_f64_e32 v11, v[11:12]
.LBB113_184:
	s_delay_alu instid0(VALU_DEP_1) | instskip(SKIP_3) | instid1(VALU_DEP_4)
	v_dual_max_f32 v12, v237, v237 :: v_dual_max_f32 v11, v11, v11
	v_add_nc_u32_e32 v13, 0x70, v10
	v_add_co_u32 v18, vcc_lo, v8, v6
	v_add_co_ci_u32_e32 v19, vcc_lo, v9, v7, vcc_lo
	v_min_f32_e32 v11, v11, v12
	s_delay_alu instid0(VALU_DEP_4) | instskip(NEXT) | instid1(VALU_DEP_2)
	v_mad_i64_i32 v[16:17], null, v13, s3, 0
	v_cvt_f64_f32_e32 v[14:15], v11
	v_mad_i64_i32 v[11:12], null, v13, s8, 0
	v_max_f32_e32 v13, v217, v217
	s_delay_alu instid0(VALU_DEP_4) | instskip(NEXT) | instid1(VALU_DEP_3)
	v_lshlrev_b64 v[16:17], 3, v[16:17]
	v_lshlrev_b64 v[11:12], 3, v[11:12]
	s_delay_alu instid0(VALU_DEP_1) | instskip(NEXT) | instid1(VALU_DEP_2)
	v_add_co_u32 v8, vcc_lo, s9, v11
	v_add_co_ci_u32_e32 v9, vcc_lo, s10, v12, vcc_lo
	s_delay_alu instid0(VALU_DEP_4)
	v_add_co_u32 v11, vcc_lo, s4, v16
	v_add_co_ci_u32_e32 v12, vcc_lo, s5, v17, vcc_lo
	s_mov_b32 vcc_lo, s2
	global_store_b64 v[18:19], v[14:15], off
	s_cbranch_vccz .LBB113_187
; %bb.185:
	v_min_f32_e32 v14, 0, v13
	v_add_co_u32 v16, vcc_lo, v8, v0
	v_add_co_ci_u32_e32 v17, vcc_lo, v9, v1, vcc_lo
	s_delay_alu instid0(VALU_DEP_3)
	v_cvt_f64_f32_e32 v[14:15], v14
	s_mov_b32 s0, 0
	global_store_b64 v[16:17], v[14:15], off
	s_cbranch_execz .LBB113_188
; %bb.186:
	v_mov_b32_e32 v13, s0
	s_branch .LBB113_189
.LBB113_187:
	s_mov_b32 s0, -1
.LBB113_188:
	v_add_co_u32 v14, vcc_lo, v11, v0
	v_add_co_ci_u32_e32 v15, vcc_lo, v12, v1, vcc_lo
	flat_load_b64 v[14:15], v[14:15]
	s_waitcnt vmcnt(0) lgkmcnt(0)
	v_mul_f64 v[14:15], v[14:15], s[6:7]
	s_delay_alu instid0(VALU_DEP_1)
	v_cvt_f32_f64_e32 v14, v[14:15]
	v_add_co_u32 v15, vcc_lo, v8, v0
	v_add_co_ci_u32_e32 v16, vcc_lo, v9, v1, vcc_lo
	v_add_co_u32 v17, vcc_lo, v11, v2
	v_add_co_ci_u32_e32 v18, vcc_lo, v12, v3, vcc_lo
	v_min_f32_e32 v13, v14, v13
	s_delay_alu instid0(VALU_DEP_1) | instskip(SKIP_4) | instid1(VALU_DEP_1)
	v_cvt_f64_f32_e32 v[13:14], v13
	global_store_b64 v[15:16], v[13:14], off
	flat_load_b64 v[13:14], v[17:18]
	s_waitcnt vmcnt(0) lgkmcnt(0)
	v_mul_f64 v[13:14], v[13:14], s[6:7]
	v_cvt_f32_f64_e32 v13, v[13:14]
.LBB113_189:
	s_delay_alu instid0(VALU_DEP_1) | instskip(SKIP_2) | instid1(VALU_DEP_3)
	v_dual_max_f32 v14, v230, v230 :: v_dual_max_f32 v13, v13, v13
	v_add_co_u32 v16, vcc_lo, v8, v2
	v_add_co_ci_u32_e32 v17, vcc_lo, v9, v3, vcc_lo
	v_min_f32_e32 v13, v13, v14
	s_mov_b32 vcc_lo, s2
	s_delay_alu instid0(VALU_DEP_1)
	v_cvt_f64_f32_e32 v[14:15], v13
	v_max_f32_e32 v13, v215, v215
	global_store_b64 v[16:17], v[14:15], off
	s_cbranch_vccz .LBB113_192
; %bb.190:
	v_min_f32_e32 v14, 0, v13
	v_add_co_u32 v16, vcc_lo, v8, v4
	v_add_co_ci_u32_e32 v17, vcc_lo, v9, v5, vcc_lo
	s_delay_alu instid0(VALU_DEP_3)
	v_cvt_f64_f32_e32 v[14:15], v14
	s_mov_b32 s0, 0
	global_store_b64 v[16:17], v[14:15], off
	s_cbranch_execz .LBB113_193
; %bb.191:
	v_mov_b32_e32 v11, s0
	s_branch .LBB113_194
.LBB113_192:
	s_mov_b32 s0, -1
.LBB113_193:
	v_add_co_u32 v14, vcc_lo, v11, v4
	v_add_co_ci_u32_e32 v15, vcc_lo, v12, v5, vcc_lo
	flat_load_b64 v[14:15], v[14:15]
	s_waitcnt vmcnt(0) lgkmcnt(0)
	v_mul_f64 v[14:15], v[14:15], s[6:7]
	s_delay_alu instid0(VALU_DEP_1)
	v_cvt_f32_f64_e32 v14, v[14:15]
	v_add_co_u32 v15, vcc_lo, v8, v4
	v_add_co_ci_u32_e32 v16, vcc_lo, v9, v5, vcc_lo
	v_add_co_u32 v11, vcc_lo, v11, v6
	v_add_co_ci_u32_e32 v12, vcc_lo, v12, v7, vcc_lo
	v_min_f32_e32 v13, v14, v13
	s_delay_alu instid0(VALU_DEP_1) | instskip(SKIP_4) | instid1(VALU_DEP_1)
	v_cvt_f64_f32_e32 v[13:14], v13
	global_store_b64 v[15:16], v[13:14], off
	flat_load_b64 v[11:12], v[11:12]
	s_waitcnt vmcnt(0) lgkmcnt(0)
	v_mul_f64 v[11:12], v[11:12], s[6:7]
	v_cvt_f32_f64_e32 v11, v[11:12]
.LBB113_194:
	s_delay_alu instid0(VALU_DEP_1) | instskip(SKIP_2) | instid1(VALU_DEP_3)
	v_dual_max_f32 v12, v214, v214 :: v_dual_max_f32 v11, v11, v11
	v_add_co_u32 v17, vcc_lo, v8, v6
	v_add_co_ci_u32_e32 v18, vcc_lo, v9, v7, vcc_lo
	v_dual_min_f32 v11, v11, v12 :: v_dual_add_nc_u32 v12, 0x78, v10
	s_delay_alu instid0(VALU_DEP_1) | instskip(NEXT) | instid1(VALU_DEP_2)
	v_cvt_f64_f32_e32 v[13:14], v11
	v_mad_i64_i32 v[10:11], null, v12, s8, 0
	v_mad_i64_i32 v[15:16], null, v12, s3, 0
	v_max_f32_e32 v12, v213, v213
	s_delay_alu instid0(VALU_DEP_3) | instskip(NEXT) | instid1(VALU_DEP_3)
	v_lshlrev_b64 v[10:11], 3, v[10:11]
	v_lshlrev_b64 v[15:16], 3, v[15:16]
	s_delay_alu instid0(VALU_DEP_2) | instskip(NEXT) | instid1(VALU_DEP_3)
	v_add_co_u32 v8, vcc_lo, s9, v10
	v_add_co_ci_u32_e32 v9, vcc_lo, s10, v11, vcc_lo
	s_delay_alu instid0(VALU_DEP_3) | instskip(NEXT) | instid1(VALU_DEP_4)
	v_add_co_u32 v10, vcc_lo, s4, v15
	v_add_co_ci_u32_e32 v11, vcc_lo, s5, v16, vcc_lo
	s_mov_b32 vcc_lo, s2
	global_store_b64 v[17:18], v[13:14], off
	s_cbranch_vccz .LBB113_197
; %bb.195:
	v_min_f32_e32 v13, 0, v12
	v_add_co_u32 v15, vcc_lo, v8, v0
	v_add_co_ci_u32_e32 v16, vcc_lo, v9, v1, vcc_lo
	s_delay_alu instid0(VALU_DEP_3)
	v_cvt_f64_f32_e32 v[13:14], v13
	s_mov_b32 s0, 0
	global_store_b64 v[15:16], v[13:14], off
	s_cbranch_execz .LBB113_198
; %bb.196:
	v_mov_b32_e32 v0, s0
	s_branch .LBB113_199
.LBB113_197:
	s_mov_b32 s0, -1
.LBB113_198:
	v_add_co_u32 v13, vcc_lo, v10, v0
	v_add_co_ci_u32_e32 v14, vcc_lo, v11, v1, vcc_lo
	v_add_co_u32 v0, vcc_lo, v8, v0
	v_add_co_ci_u32_e32 v1, vcc_lo, v9, v1, vcc_lo
	flat_load_b64 v[13:14], v[13:14]
	s_waitcnt vmcnt(0) lgkmcnt(0)
	v_mul_f64 v[13:14], v[13:14], s[6:7]
	s_delay_alu instid0(VALU_DEP_1) | instskip(SKIP_2) | instid1(VALU_DEP_3)
	v_cvt_f32_f64_e32 v13, v[13:14]
	v_add_co_u32 v14, vcc_lo, v10, v2
	v_add_co_ci_u32_e32 v15, vcc_lo, v11, v3, vcc_lo
	v_min_f32_e32 v12, v13, v12
	s_delay_alu instid0(VALU_DEP_1) | instskip(SKIP_4) | instid1(VALU_DEP_1)
	v_cvt_f64_f32_e32 v[12:13], v12
	global_store_b64 v[0:1], v[12:13], off
	flat_load_b64 v[0:1], v[14:15]
	s_waitcnt vmcnt(0) lgkmcnt(0)
	v_mul_f64 v[0:1], v[0:1], s[6:7]
	v_cvt_f32_f64_e32 v0, v[0:1]
.LBB113_199:
	v_max_f32_e32 v1, v228, v228
	s_delay_alu instid0(VALU_DEP_2) | instskip(NEXT) | instid1(VALU_DEP_1)
	v_max_f32_e32 v0, v0, v0
	v_min_f32_e32 v0, v0, v1
	v_add_co_u32 v1, vcc_lo, v8, v2
	v_add_co_ci_u32_e32 v2, vcc_lo, v9, v3, vcc_lo
	s_delay_alu instid0(VALU_DEP_3)
	v_cvt_f64_f32_e32 v[12:13], v0
	v_max_f32_e32 v0, v211, v211
	s_mov_b32 vcc_lo, s2
	global_store_b64 v[1:2], v[12:13], off
	s_cbranch_vccz .LBB113_202
; %bb.200:
	v_min_f32_e32 v1, 0, v0
	v_add_co_u32 v12, vcc_lo, v8, v4
	v_add_co_ci_u32_e32 v13, vcc_lo, v9, v5, vcc_lo
	s_delay_alu instid0(VALU_DEP_3)
	v_cvt_f64_f32_e32 v[1:2], v1
	s_mov_b32 s0, 0
	global_store_b64 v[12:13], v[1:2], off
	s_cbranch_execz .LBB113_203
; %bb.201:
	v_mov_b32_e32 v0, s0
	s_branch .LBB113_204
.LBB113_202:
	s_mov_b32 s0, -1
.LBB113_203:
	v_add_co_u32 v1, vcc_lo, v10, v4
	v_add_co_ci_u32_e32 v2, vcc_lo, v11, v5, vcc_lo
	flat_load_b64 v[1:2], v[1:2]
	s_waitcnt vmcnt(0) lgkmcnt(0)
	v_mul_f64 v[1:2], v[1:2], s[6:7]
	s_delay_alu instid0(VALU_DEP_1)
	v_cvt_f32_f64_e32 v1, v[1:2]
	v_add_co_u32 v2, vcc_lo, v8, v4
	v_add_co_ci_u32_e32 v3, vcc_lo, v9, v5, vcc_lo
	v_add_co_u32 v4, vcc_lo, v10, v6
	v_add_co_ci_u32_e32 v5, vcc_lo, v11, v7, vcc_lo
	v_min_f32_e32 v0, v1, v0
	s_delay_alu instid0(VALU_DEP_1) | instskip(SKIP_4) | instid1(VALU_DEP_1)
	v_cvt_f64_f32_e32 v[0:1], v0
	global_store_b64 v[2:3], v[0:1], off
	flat_load_b64 v[0:1], v[4:5]
	s_waitcnt vmcnt(0) lgkmcnt(0)
	v_mul_f64 v[0:1], v[0:1], s[6:7]
	v_cvt_f32_f64_e32 v0, v[0:1]
.LBB113_204:
	s_delay_alu instid0(VALU_DEP_1) | instskip(SKIP_2) | instid1(VALU_DEP_3)
	v_dual_max_f32 v1, v255, v255 :: v_dual_max_f32 v0, v0, v0
	v_add_co_u32 v2, vcc_lo, v8, v6
	v_add_co_ci_u32_e32 v3, vcc_lo, v9, v7, vcc_lo
	v_min_f32_e32 v0, v0, v1
	s_delay_alu instid0(VALU_DEP_1)
	v_cvt_f64_f32_e32 v[0:1], v0
	global_store_b64 v[2:3], v[0:1], off
	s_endpgm
	.section	.rodata,"a",@progbits
	.p2align	6, 0x0
	.amdhsa_kernel _ZN12_GLOBAL__N_120geam_min_plus_kernelId15HIP_vector_typeIdLj2EEdLi32ELi8ELi128ELi128ELi4ELi4ELi64ELi4ELi64ELc84ELc78ELb0ELb0ELb1EdKPKdKPdEEviiiT16_PT17_ilSA_ilS8_SA_ilPT18_ili26rocblas_geam_ex_operation_
		.amdhsa_group_segment_fixed_size 16384
		.amdhsa_private_segment_fixed_size 400
		.amdhsa_kernarg_size 136
		.amdhsa_user_sgpr_count 14
		.amdhsa_user_sgpr_dispatch_ptr 0
		.amdhsa_user_sgpr_queue_ptr 0
		.amdhsa_user_sgpr_kernarg_segment_ptr 1
		.amdhsa_user_sgpr_dispatch_id 0
		.amdhsa_user_sgpr_private_segment_size 0
		.amdhsa_wavefront_size32 1
		.amdhsa_uses_dynamic_stack 0
		.amdhsa_enable_private_segment 1
		.amdhsa_system_sgpr_workgroup_id_x 1
		.amdhsa_system_sgpr_workgroup_id_y 0
		.amdhsa_system_sgpr_workgroup_id_z 1
		.amdhsa_system_sgpr_workgroup_info 0
		.amdhsa_system_vgpr_workitem_id 1
		.amdhsa_next_free_vgpr 256
		.amdhsa_next_free_sgpr 24
		.amdhsa_reserve_vcc 1
		.amdhsa_float_round_mode_32 0
		.amdhsa_float_round_mode_16_64 0
		.amdhsa_float_denorm_mode_32 3
		.amdhsa_float_denorm_mode_16_64 3
		.amdhsa_dx10_clamp 1
		.amdhsa_ieee_mode 1
		.amdhsa_fp16_overflow 0
		.amdhsa_workgroup_processor_mode 1
		.amdhsa_memory_ordered 1
		.amdhsa_forward_progress 0
		.amdhsa_shared_vgpr_count 0
		.amdhsa_exception_fp_ieee_invalid_op 0
		.amdhsa_exception_fp_denorm_src 0
		.amdhsa_exception_fp_ieee_div_zero 0
		.amdhsa_exception_fp_ieee_overflow 0
		.amdhsa_exception_fp_ieee_underflow 0
		.amdhsa_exception_fp_ieee_inexact 0
		.amdhsa_exception_int_div_zero 0
	.end_amdhsa_kernel
	.section	.text._ZN12_GLOBAL__N_120geam_min_plus_kernelId15HIP_vector_typeIdLj2EEdLi32ELi8ELi128ELi128ELi4ELi4ELi64ELi4ELi64ELc84ELc78ELb0ELb0ELb1EdKPKdKPdEEviiiT16_PT17_ilSA_ilS8_SA_ilPT18_ili26rocblas_geam_ex_operation_,"axG",@progbits,_ZN12_GLOBAL__N_120geam_min_plus_kernelId15HIP_vector_typeIdLj2EEdLi32ELi8ELi128ELi128ELi4ELi4ELi64ELi4ELi64ELc84ELc78ELb0ELb0ELb1EdKPKdKPdEEviiiT16_PT17_ilSA_ilS8_SA_ilPT18_ili26rocblas_geam_ex_operation_,comdat
.Lfunc_end113:
	.size	_ZN12_GLOBAL__N_120geam_min_plus_kernelId15HIP_vector_typeIdLj2EEdLi32ELi8ELi128ELi128ELi4ELi4ELi64ELi4ELi64ELc84ELc78ELb0ELb0ELb1EdKPKdKPdEEviiiT16_PT17_ilSA_ilS8_SA_ilPT18_ili26rocblas_geam_ex_operation_, .Lfunc_end113-_ZN12_GLOBAL__N_120geam_min_plus_kernelId15HIP_vector_typeIdLj2EEdLi32ELi8ELi128ELi128ELi4ELi4ELi64ELi4ELi64ELc84ELc78ELb0ELb0ELb1EdKPKdKPdEEviiiT16_PT17_ilSA_ilS8_SA_ilPT18_ili26rocblas_geam_ex_operation_
                                        ; -- End function
	.section	.AMDGPU.csdata,"",@progbits
; Kernel info:
; codeLenInByte = 24500
; NumSgprs: 26
; NumVgprs: 256
; ScratchSize: 400
; MemoryBound: 0
; FloatMode: 240
; IeeeMode: 1
; LDSByteSize: 16384 bytes/workgroup (compile time only)
; SGPRBlocks: 3
; VGPRBlocks: 31
; NumSGPRsForWavesPerEU: 26
; NumVGPRsForWavesPerEU: 256
; Occupancy: 5
; WaveLimiterHint : 1
; COMPUTE_PGM_RSRC2:SCRATCH_EN: 1
; COMPUTE_PGM_RSRC2:USER_SGPR: 14
; COMPUTE_PGM_RSRC2:TRAP_HANDLER: 0
; COMPUTE_PGM_RSRC2:TGID_X_EN: 1
; COMPUTE_PGM_RSRC2:TGID_Y_EN: 0
; COMPUTE_PGM_RSRC2:TGID_Z_EN: 1
; COMPUTE_PGM_RSRC2:TIDIG_COMP_CNT: 1
	.section	.text._ZN12_GLOBAL__N_120geam_min_plus_kernelId15HIP_vector_typeIdLj2EEdLi32ELi8ELi128ELi128ELi4ELi4ELi64ELi4ELi64ELc84ELc78ELb0ELb1ELb1EPKdKS4_KPdEEviiiT16_PT17_ilSA_ilS8_SA_ilPT18_ili26rocblas_geam_ex_operation_,"axG",@progbits,_ZN12_GLOBAL__N_120geam_min_plus_kernelId15HIP_vector_typeIdLj2EEdLi32ELi8ELi128ELi128ELi4ELi4ELi64ELi4ELi64ELc84ELc78ELb0ELb1ELb1EPKdKS4_KPdEEviiiT16_PT17_ilSA_ilS8_SA_ilPT18_ili26rocblas_geam_ex_operation_,comdat
	.globl	_ZN12_GLOBAL__N_120geam_min_plus_kernelId15HIP_vector_typeIdLj2EEdLi32ELi8ELi128ELi128ELi4ELi4ELi64ELi4ELi64ELc84ELc78ELb0ELb1ELb1EPKdKS4_KPdEEviiiT16_PT17_ilSA_ilS8_SA_ilPT18_ili26rocblas_geam_ex_operation_ ; -- Begin function _ZN12_GLOBAL__N_120geam_min_plus_kernelId15HIP_vector_typeIdLj2EEdLi32ELi8ELi128ELi128ELi4ELi4ELi64ELi4ELi64ELc84ELc78ELb0ELb1ELb1EPKdKS4_KPdEEviiiT16_PT17_ilSA_ilS8_SA_ilPT18_ili26rocblas_geam_ex_operation_
	.p2align	8
	.type	_ZN12_GLOBAL__N_120geam_min_plus_kernelId15HIP_vector_typeIdLj2EEdLi32ELi8ELi128ELi128ELi4ELi4ELi64ELi4ELi64ELc84ELc78ELb0ELb1ELb1EPKdKS4_KPdEEviiiT16_PT17_ilSA_ilS8_SA_ilPT18_ili26rocblas_geam_ex_operation_,@function
_ZN12_GLOBAL__N_120geam_min_plus_kernelId15HIP_vector_typeIdLj2EEdLi32ELi8ELi128ELi128ELi4ELi4ELi64ELi4ELi64ELc84ELc78ELb0ELb1ELb1EPKdKS4_KPdEEviiiT16_PT17_ilSA_ilS8_SA_ilPT18_ili26rocblas_geam_ex_operation_: ; @_ZN12_GLOBAL__N_120geam_min_plus_kernelId15HIP_vector_typeIdLj2EEdLi32ELi8ELi128ELi128ELi4ELi4ELi64ELi4ELi64ELc84ELc78ELb0ELb1ELb1EPKdKS4_KPdEEviiiT16_PT17_ilSA_ilS8_SA_ilPT18_ili26rocblas_geam_ex_operation_
; %bb.0:
	s_clause 0x1
	s_load_b128 s[16:19], s[0:1], 0x10
	s_load_b128 s[4:7], s[0:1], 0x28
	s_mov_b32 s2, s15
	s_mov_b32 s3, 0
	s_mov_b64 s[22:23], 0
	s_lshl_b64 s[2:3], s[2:3], 3
	s_mov_b64 s[24:25], 0
	s_waitcnt lgkmcnt(0)
	s_add_u32 s8, s16, s2
	s_addc_u32 s9, s17, s3
	s_load_b64 s[20:21], s[8:9], 0x0
	s_clause 0x1
	s_load_b128 s[8:11], s[0:1], 0x40
	s_load_b64 s[26:27], s[0:1], 0x50
	s_waitcnt lgkmcnt(0)
	s_add_u32 s10, s10, s2
	v_cmp_eq_f64_e64 s12, s[20:21], 0
	v_cmp_neq_f64_e64 s15, s[20:21], 0
	s_addc_u32 s11, s11, s3
	s_delay_alu instid0(VALU_DEP_2)
	s_and_b32 vcc_lo, exec_lo, s12
	s_cbranch_vccnz .LBB114_2
; %bb.1:
	s_add_u32 s12, s18, s2
	s_addc_u32 s13, s19, s3
	s_lshl_b64 s[4:5], s[4:5], 3
	s_load_b64 s[12:13], s[12:13], 0x0
	s_waitcnt lgkmcnt(0)
	s_add_u32 s24, s12, s4
	s_addc_u32 s25, s13, s5
.LBB114_2:
	s_load_b64 s[12:13], s[10:11], 0x0
	s_delay_alu instid0(VALU_DEP_1)
	s_and_not1_b32 vcc_lo, exec_lo, s15
	s_cbranch_vccnz .LBB114_4
; %bb.3:
	s_add_u32 s4, s6, s2
	s_addc_u32 s5, s7, s3
	s_lshl_b64 s[6:7], s[8:9], 3
	s_load_b64 s[4:5], s[4:5], 0x0
	s_waitcnt lgkmcnt(0)
	s_add_u32 s22, s4, s6
	s_addc_u32 s23, s5, s7
.LBB114_4:
	s_waitcnt lgkmcnt(0)
	v_cmp_eq_f64_e64 s8, s[12:13], 0
	v_cmp_neq_f64_e64 s18, s[12:13], 0
	s_load_b128 s[4:7], s[0:1], 0x60
	s_mov_b64 s[16:17], 0
	s_delay_alu instid0(VALU_DEP_2)
	s_and_b32 vcc_lo, exec_lo, s8
	s_cbranch_vccnz .LBB114_6
; %bb.5:
	s_add_u32 s8, s26, s2
	s_addc_u32 s9, s27, s3
	s_waitcnt lgkmcnt(0)
	s_lshl_b64 s[4:5], s[4:5], 3
	s_load_b64 s[8:9], s[8:9], 0x0
	s_waitcnt lgkmcnt(0)
	s_add_u32 s16, s8, s4
	s_addc_u32 s17, s9, s5
.LBB114_6:
	s_clause 0x1
	s_load_b128 s[8:11], s[0:1], 0x0
	s_load_b32 s28, s[0:1], 0x20
	s_waitcnt lgkmcnt(0)
	s_add_u32 s2, s6, s2
	s_addc_u32 s3, s7, s3
	v_and_b32_e32 v91, 0x3ff, v0
	v_cmp_eq_f64_e64 s19, s[20:21], 0
	v_bfe_u32 v16, v0, 10, 10
	s_delay_alu instid0(VALU_DEP_3) | instskip(SKIP_4) | instid1(SALU_CYCLE_1)
	v_and_b32_e32 v2, 3, v91
	scratch_store_b32 off, v2, off offset:364 ; 4-byte Folded Spill
	s_add_i32 s4, s8, -1
	v_cmp_le_i32_e32 vcc_lo, s10, v2
	s_ashr_i32 s5, s4, 31
	s_lshr_b32 s5, s5, 25
	s_delay_alu instid0(SALU_CYCLE_1) | instskip(NEXT) | instid1(SALU_CYCLE_1)
	s_add_i32 s4, s4, s5
	s_ashr_i32 s4, s4, 7
	s_delay_alu instid0(SALU_CYCLE_1) | instskip(SKIP_2) | instid1(VALU_DEP_1)
	s_add_i32 s6, s4, 1
	s_not_b32 s4, s4
	v_cvt_f32_u32_e32 v1, s6
	v_rcp_iflag_f32_e32 v1, v1
	s_waitcnt_depctr 0xfff
	v_mul_f32_e32 v1, 0x4f7ffffe, v1
	s_delay_alu instid0(VALU_DEP_1) | instskip(NEXT) | instid1(VALU_DEP_1)
	v_cvt_u32_f32_e32 v1, v1
	v_readfirstlane_b32 s5, v1
	v_lshl_add_u32 v1, v16, 5, v91
	s_delay_alu instid0(VALU_DEP_2) | instskip(NEXT) | instid1(VALU_DEP_1)
	s_mul_i32 s4, s4, s5
	v_lshrrev_b32_e32 v20, 2, v1
	s_mul_hi_u32 s4, s5, s4
	s_delay_alu instid0(SALU_CYCLE_1) | instskip(NEXT) | instid1(SALU_CYCLE_1)
	s_add_i32 s5, s5, s4
	s_mul_hi_u32 s4, s14, s5
	s_delay_alu instid0(SALU_CYCLE_1) | instskip(SKIP_2) | instid1(SALU_CYCLE_1)
	s_mul_i32 s5, s4, s6
	s_add_i32 s7, s4, 1
	s_sub_i32 s5, s14, s5
	s_sub_i32 s11, s5, s6
	s_cmp_ge_u32 s5, s6
	s_cselect_b32 s4, s7, s4
	s_cselect_b32 s5, s11, s5
	s_add_i32 s7, s4, 1
	s_cmp_ge_u32 s5, s6
	s_cselect_b32 s5, s7, s4
	s_add_i32 s26, s10, -1
	s_mul_i32 s4, s5, s6
	v_min_i32_e32 v0, s26, v2
	s_sub_i32 s4, s14, s4
	s_load_b64 s[14:15], s[2:3], 0x0
	s_lshl_b32 s7, s4, 7
	s_delay_alu instid0(VALU_DEP_1) | instskip(SKIP_1) | instid1(VALU_DEP_2)
	v_ashrrev_i32_e32 v1, 31, v0
	v_add_nc_u32_e32 v227, s7, v20
	v_lshlrev_b64 v[4:5], 3, v[0:1]
	s_delay_alu instid0(VALU_DEP_2) | instskip(NEXT) | instid1(VALU_DEP_2)
	v_cmp_le_i32_e64 s2, s8, v227
	v_add_co_u32 v6, s3, s24, v4
	s_delay_alu instid0(VALU_DEP_1) | instskip(NEXT) | instid1(VALU_DEP_3)
	v_add_co_ci_u32_e64 v7, s3, s25, v5, s3
	s_or_b32 s3, vcc_lo, s2
	s_delay_alu instid0(SALU_CYCLE_1) | instskip(SKIP_2) | instid1(SALU_CYCLE_1)
	v_cndmask_b32_e64 v1, 0, 0x7fefffff, s3
	v_cndmask_b32_e64 v0, 0, -1, s3
	s_or_b32 s3, s19, s3
	s_xor_b32 s3, s3, -1
	s_delay_alu instid0(SALU_CYCLE_1)
	s_and_saveexec_b32 s4, s3
	s_cbranch_execz .LBB114_8
; %bb.7:
	v_mad_i64_i32 v[0:1], null, v227, s28, 0
	s_delay_alu instid0(VALU_DEP_1) | instskip(NEXT) | instid1(VALU_DEP_1)
	v_lshlrev_b64 v[0:1], 3, v[0:1]
	v_add_co_u32 v0, s3, v6, v0
	s_delay_alu instid0(VALU_DEP_1)
	v_add_co_ci_u32_e64 v1, s3, v7, v1, s3
	flat_load_b64 v[0:1], v[0:1]
	s_waitcnt vmcnt(0) lgkmcnt(0)
	v_mul_f64 v[0:1], s[20:21], v[0:1]
.LBB114_8:
	s_or_b32 exec_lo, exec_lo, s4
	v_add_nc_u32_e32 v229, 64, v227
	s_delay_alu instid0(VALU_DEP_1) | instskip(NEXT) | instid1(VALU_DEP_1)
	v_cmp_le_i32_e64 s3, s8, v229
	s_or_b32 s4, vcc_lo, s3
	s_delay_alu instid0(SALU_CYCLE_1) | instskip(SKIP_2) | instid1(SALU_CYCLE_1)
	v_cndmask_b32_e64 v3, 0, 0x7fefffff, s4
	v_cndmask_b32_e64 v2, 0, -1, s4
	s_or_b32 s4, s19, s4
	s_xor_b32 s4, s4, -1
	s_delay_alu instid0(SALU_CYCLE_1)
	s_and_saveexec_b32 s6, s4
	s_cbranch_execz .LBB114_10
; %bb.9:
	v_mad_i64_i32 v[2:3], null, v229, s28, 0
	s_delay_alu instid0(VALU_DEP_1) | instskip(NEXT) | instid1(VALU_DEP_1)
	v_lshlrev_b64 v[2:3], 3, v[2:3]
	v_add_co_u32 v2, s4, v6, v2
	s_delay_alu instid0(VALU_DEP_1)
	v_add_co_ci_u32_e64 v3, s4, v7, v3, s4
	flat_load_b64 v[2:3], v[2:3]
	s_waitcnt vmcnt(0) lgkmcnt(0)
	v_mul_f64 v[2:3], s[20:21], v[2:3]
.LBB114_10:
	s_or_b32 exec_lo, exec_lo, s6
	s_load_b32 s29, s[0:1], 0x38
	s_lshl_b32 s11, s5, 7
	v_add_co_u32 v8, s5, s22, v4
	v_add_nc_u32_e32 v97, s11, v20
	v_add_co_ci_u32_e64 v9, s5, s23, v5, s5
	s_delay_alu instid0(VALU_DEP_2) | instskip(NEXT) | instid1(VALU_DEP_1)
	v_cmp_le_i32_e64 s4, s9, v97
	s_or_b32 s5, vcc_lo, s4
	s_delay_alu instid0(SALU_CYCLE_1) | instskip(SKIP_2) | instid1(SALU_CYCLE_1)
	v_cndmask_b32_e64 v5, 0, 0x7fefffff, s5
	v_cndmask_b32_e64 v4, 0, -1, s5
	s_or_b32 s5, s19, s5
	s_xor_b32 s5, s5, -1
	s_delay_alu instid0(SALU_CYCLE_1)
	s_and_saveexec_b32 s6, s5
	s_cbranch_execz .LBB114_12
; %bb.11:
	s_waitcnt lgkmcnt(0)
	v_mad_i64_i32 v[4:5], null, v97, s29, 0
	s_delay_alu instid0(VALU_DEP_1) | instskip(NEXT) | instid1(VALU_DEP_1)
	v_lshlrev_b64 v[4:5], 3, v[4:5]
	v_add_co_u32 v4, s5, v8, v4
	s_delay_alu instid0(VALU_DEP_1)
	v_add_co_ci_u32_e64 v5, s5, v9, v5, s5
	flat_load_b64 v[4:5], v[4:5]
	s_waitcnt vmcnt(0) lgkmcnt(0)
	v_mul_f64 v[4:5], s[20:21], v[4:5]
.LBB114_12:
	s_or_b32 exec_lo, exec_lo, s6
	v_add_nc_u32_e32 v231, 64, v97
	s_delay_alu instid0(VALU_DEP_1) | instskip(NEXT) | instid1(VALU_DEP_1)
	v_cmp_le_i32_e64 s5, s9, v231
	s_or_b32 s6, vcc_lo, s5
	s_delay_alu instid0(SALU_CYCLE_1) | instskip(SKIP_2) | instid1(SALU_CYCLE_1)
	v_cndmask_b32_e64 v7, 0, 0x7fefffff, s6
	v_cndmask_b32_e64 v6, 0, -1, s6
	s_or_b32 s6, s19, s6
	s_xor_b32 s27, s6, -1
	s_delay_alu instid0(SALU_CYCLE_1)
	s_and_saveexec_b32 s6, s27
	s_cbranch_execz .LBB114_14
; %bb.13:
	s_waitcnt lgkmcnt(0)
	v_mad_i64_i32 v[6:7], null, v231, s29, 0
	s_delay_alu instid0(VALU_DEP_1) | instskip(NEXT) | instid1(VALU_DEP_1)
	v_lshlrev_b64 v[6:7], 3, v[6:7]
	v_add_co_u32 v6, vcc_lo, v8, v6
	s_delay_alu instid0(VALU_DEP_2)
	v_add_co_ci_u32_e32 v7, vcc_lo, v9, v7, vcc_lo
	flat_load_b64 v[6:7], v[6:7]
	s_waitcnt vmcnt(0) lgkmcnt(0)
	v_mul_f64 v[6:7], s[20:21], v[6:7]
.LBB114_14:
	s_or_b32 exec_lo, exec_lo, s6
	v_and_b32_e32 v8, 3, v91
	s_delay_alu instid0(VALU_DEP_1) | instskip(NEXT) | instid1(VALU_DEP_1)
	v_or_b32_e32 v10, 4, v8
	v_min_i32_e32 v8, s26, v10
	v_cmp_le_i32_e32 vcc_lo, s10, v10
	s_delay_alu instid0(VALU_DEP_2) | instskip(SKIP_1) | instid1(VALU_DEP_1)
	v_ashrrev_i32_e32 v9, 31, v8
	s_or_b32 s27, vcc_lo, s2
	v_lshlrev_b64 v[12:13], 3, v[8:9]
	v_cndmask_b32_e64 v9, 0, 0x7fefffff, s27
	v_cndmask_b32_e64 v8, 0, -1, s27
	s_delay_alu instid0(VALU_DEP_3) | instskip(NEXT) | instid1(VALU_DEP_1)
	v_add_co_u32 v14, s6, s24, v12
	v_add_co_ci_u32_e64 v15, s6, s25, v13, s6
	s_or_b32 s6, s19, s27
	s_delay_alu instid0(SALU_CYCLE_1) | instskip(NEXT) | instid1(SALU_CYCLE_1)
	s_xor_b32 s6, s6, -1
	s_and_saveexec_b32 s27, s6
	s_cbranch_execz .LBB114_16
; %bb.15:
	v_mad_i64_i32 v[8:9], null, v227, s28, 0
	s_delay_alu instid0(VALU_DEP_1) | instskip(NEXT) | instid1(VALU_DEP_1)
	v_lshlrev_b64 v[8:9], 3, v[8:9]
	v_add_co_u32 v8, s6, v14, v8
	s_delay_alu instid0(VALU_DEP_1)
	v_add_co_ci_u32_e64 v9, s6, v15, v9, s6
	flat_load_b64 v[8:9], v[8:9]
	s_waitcnt vmcnt(0) lgkmcnt(0)
	v_mul_f64 v[8:9], s[20:21], v[8:9]
.LBB114_16:
	s_or_b32 exec_lo, exec_lo, s27
	s_or_b32 s6, vcc_lo, s3
	scratch_store_b64 off, v[8:9], off offset:300 ; 8-byte Folded Spill
	v_cndmask_b32_e64 v9, 0, 0x7fefffff, s6
	v_cndmask_b32_e64 v8, 0, -1, s6
	s_or_b32 s6, s19, s6
	s_delay_alu instid0(SALU_CYCLE_1) | instskip(NEXT) | instid1(SALU_CYCLE_1)
	s_xor_b32 s6, s6, -1
	s_and_saveexec_b32 s27, s6
	s_cbranch_execz .LBB114_18
; %bb.17:
	v_mad_i64_i32 v[10:11], null, v229, s28, 0
	s_delay_alu instid0(VALU_DEP_1) | instskip(NEXT) | instid1(VALU_DEP_1)
	v_lshlrev_b64 v[10:11], 3, v[10:11]
	v_add_co_u32 v10, s6, v14, v10
	s_delay_alu instid0(VALU_DEP_1)
	v_add_co_ci_u32_e64 v11, s6, v15, v11, s6
	flat_load_b64 v[10:11], v[10:11]
	s_waitcnt vmcnt(0) lgkmcnt(0)
	v_mul_f64 v[8:9], s[20:21], v[10:11]
.LBB114_18:
	s_or_b32 exec_lo, exec_lo, s27
	v_add_co_u32 v21, s6, s22, v12
	s_delay_alu instid0(VALU_DEP_1) | instskip(SKIP_1) | instid1(SALU_CYCLE_1)
	v_add_co_ci_u32_e64 v22, s6, s23, v13, s6
	s_or_b32 s6, vcc_lo, s4
	v_cndmask_b32_e64 v11, 0, 0x7fefffff, s6
	v_cndmask_b32_e64 v10, 0, -1, s6
	s_or_b32 s6, s19, s6
	s_delay_alu instid0(SALU_CYCLE_1) | instskip(NEXT) | instid1(SALU_CYCLE_1)
	s_xor_b32 s6, s6, -1
	s_and_saveexec_b32 s27, s6
	s_cbranch_execz .LBB114_20
; %bb.19:
	s_waitcnt lgkmcnt(0)
	v_mad_i64_i32 v[12:13], null, v97, s29, 0
	s_delay_alu instid0(VALU_DEP_1) | instskip(NEXT) | instid1(VALU_DEP_1)
	v_lshlrev_b64 v[12:13], 3, v[12:13]
	v_add_co_u32 v12, s6, v21, v12
	s_delay_alu instid0(VALU_DEP_1)
	v_add_co_ci_u32_e64 v13, s6, v22, v13, s6
	flat_load_b64 v[12:13], v[12:13]
	s_waitcnt vmcnt(0) lgkmcnt(0)
	v_mul_f64 v[10:11], s[20:21], v[12:13]
.LBB114_20:
	s_or_b32 exec_lo, exec_lo, s27
	s_or_b32 s6, vcc_lo, s5
	s_clause 0x1
	scratch_store_b64 off, v[10:11], off offset:320
	scratch_store_b64 off, v[8:9], off offset:308
	v_cndmask_b32_e64 v9, 0, 0x7fefffff, s6
	v_cndmask_b32_e64 v8, 0, -1, s6
	s_or_b32 s27, s19, s6
	s_mov_b32 s6, -1
	s_xor_b32 s30, s27, -1
	s_delay_alu instid0(SALU_CYCLE_1)
	s_and_saveexec_b32 s27, s30
	s_cbranch_execz .LBB114_22
; %bb.21:
	s_waitcnt lgkmcnt(0)
	v_mad_i64_i32 v[14:15], null, v231, s29, 0
	s_delay_alu instid0(VALU_DEP_1) | instskip(NEXT) | instid1(VALU_DEP_1)
	v_lshlrev_b64 v[14:15], 3, v[14:15]
	v_add_co_u32 v14, vcc_lo, v21, v14
	s_delay_alu instid0(VALU_DEP_2)
	v_add_co_ci_u32_e32 v15, vcc_lo, v22, v15, vcc_lo
	flat_load_b64 v[14:15], v[14:15]
	s_waitcnt vmcnt(0) lgkmcnt(0)
	v_mul_f64 v[8:9], s[20:21], v[14:15]
.LBB114_22:
	s_or_b32 exec_lo, exec_lo, s27
	scratch_store_b64 off, v[8:9], off offset:328 ; 8-byte Folded Spill
	v_dual_mov_b32 v205, 0x7f800000 :: v_dual_and_b32 v8, 3, v91
	v_dual_mov_b32 v206, 0x7f800000 :: v_dual_mov_b32 v209, 0x7f800000
	s_delay_alu instid0(VALU_DEP_2) | instskip(SKIP_2) | instid1(VALU_DEP_3)
	v_dual_mov_b32 v207, 0x7f800000 :: v_dual_lshlrev_b32 v8, 3, v8
	v_dual_mov_b32 v208, 0x7f800000 :: v_dual_mov_b32 v213, 0x7f800000
	v_dual_mov_b32 v210, 0x7f800000 :: v_dual_mov_b32 v211, 0x7f800000
	v_lshl_or_b32 v8, v20, 5, v8
	v_dual_mov_b32 v212, 0x7f800000 :: v_dual_mov_b32 v223, 0x7f800000
	v_dual_mov_b32 v228, 0x7f800000 :: v_dual_mov_b32 v255, 0x7f800000
	ds_store_2addr_stride64_b64 v8, v[0:1], v[2:3] offset1:4
	v_add_nc_u32_e32 v0, 0x2000, v8
	v_dual_mov_b32 v233, 0x7f800000 :: v_dual_mov_b32 v218, 0x7f800000
	v_dual_mov_b32 v253, 0x7f800000 :: v_dual_mov_b32 v222, 0x7f800000
	;; [unrolled: 1-line block ×24, first 2 shown]
	v_mov_b32_e32 v170, 0x7f800000
	v_mov_b32_e32 v176, 0x7f800000
	;; [unrolled: 1-line block ×4, first 2 shown]
	s_mov_b32 s27, 0
	s_clause 0x1
	scratch_store_b32 off, v0, off offset:368
	scratch_store_b32 off, v8, off offset:360
	ds_store_2addr_stride64_b64 v8, v[4:5], v[6:7] offset0:16 offset1:20
	s_waitcnt lgkmcnt(0)
	s_waitcnt_vscnt null, 0x0
	s_barrier
	buffer_gl0_inv
	s_clause 0x1
	scratch_store_b32 off, v91, off offset:316
	scratch_store_b32 off, v16, off
.LBB114_23:                             ; =>This Inner Loop Header: Depth=1
	s_lshl_b32 s27, s27, 3
	v_dual_mov_b32 v225, v219 :: v_dual_mov_b32 v98, v233
	v_lshl_add_u32 v20, v16, 5, s27
	v_lshl_add_u32 v8, v91, 5, s27
	v_mov_b32_e32 v219, v111
	s_mov_b32 s27, 2
	ds_load_b128 v[21:24], v20 offset:8192
	ds_load_b128 v[0:3], v8
	ds_load_b128 v[4:7], v8 offset:1024
	ds_load_b128 v[25:28], v20 offset:8448
	s_and_not1_b32 vcc_lo, exec_lo, s6
	s_mov_b32 s6, 0
	s_waitcnt lgkmcnt(2)
	v_add_f64 v[9:10], v[2:3], v[23:24]
	scratch_store_b64 off, v[9:10], off offset:20 ; 8-byte Folded Spill
	v_add_f64 v[9:10], v[0:1], v[21:22]
	scratch_store_b64 off, v[9:10], off offset:52 ; 8-byte Folded Spill
	s_waitcnt lgkmcnt(1)
	v_add_f64 v[9:10], v[6:7], v[23:24]
	scratch_store_b64 off, v[9:10], off offset:4 ; 8-byte Folded Spill
	v_add_f64 v[9:10], v[4:5], v[21:22]
	scratch_store_b64 off, v[9:10], off offset:36 ; 8-byte Folded Spill
	ds_load_b128 v[29:32], v8 offset:2048
	ds_load_b128 v[33:36], v8 offset:3072
	s_waitcnt lgkmcnt(1)
	v_add_f64 v[8:9], v[31:32], v[23:24]
	scratch_store_b64 off, v[8:9], off offset:28 ; 8-byte Folded Spill
	v_add_f64 v[8:9], v[29:30], v[21:22]
	scratch_store_b64 off, v[8:9], off offset:60 ; 8-byte Folded Spill
	s_waitcnt lgkmcnt(0)
	v_add_f64 v[8:9], v[35:36], v[23:24]
	scratch_store_b64 off, v[8:9], off offset:12 ; 8-byte Folded Spill
	v_add_f64 v[8:9], v[33:34], v[21:22]
	scratch_store_b64 off, v[8:9], off offset:44 ; 8-byte Folded Spill
	;; [unrolled: 2-line block ×10, first 2 shown]
	ds_load_b128 v[21:24], v20 offset:8704
	ds_load_b128 v[25:28], v20 offset:8960
	s_waitcnt lgkmcnt(1)
	v_add_f64 v[8:9], v[2:3], v[23:24]
	scratch_store_b64 off, v[8:9], off offset:164 ; 8-byte Folded Spill
	v_add_f64 v[8:9], v[0:1], v[21:22]
	scratch_store_b64 off, v[8:9], off offset:188 ; 8-byte Folded Spill
	;; [unrolled: 2-line block ×8, first 2 shown]
	s_waitcnt lgkmcnt(0)
	v_add_f64 v[8:9], v[2:3], v[27:28]
	scratch_store_b64 off, v[8:9], off offset:196 ; 8-byte Folded Spill
	v_add_f64 v[8:9], v[0:1], v[25:26]
	scratch_store_b64 off, v[8:9], off offset:204 ; 8-byte Folded Spill
	;; [unrolled: 2-line block ×8, first 2 shown]
	ds_load_b128 v[21:24], v20 offset:9216
	ds_load_b128 v[25:28], v20 offset:9472
	s_waitcnt lgkmcnt(1)
	v_add_f64 v[8:9], v[2:3], v[23:24]
	v_add_f64 v[111:112], v[0:1], v[21:22]
	;; [unrolled: 1-line block ×4, first 2 shown]
	s_waitcnt lgkmcnt(0)
	v_add_f64 v[187:188], v[2:3], v[27:28]
	v_add_f64 v[189:190], v[0:1], v[25:26]
	;; [unrolled: 1-line block ×8, first 2 shown]
	scratch_store_b64 off, v[8:9], off offset:292 ; 8-byte Folded Spill
	v_add_f64 v[8:9], v[6:7], v[23:24]
	scratch_store_b64 off, v[8:9], off offset:276 ; 8-byte Folded Spill
	v_add_f64 v[8:9], v[31:32], v[23:24]
	;; [unrolled: 2-line block ×4, first 2 shown]
	scratch_store_b64 off, v[8:9], off offset:284 ; 8-byte Folded Spill
	ds_load_b128 v[21:24], v20 offset:9728
	ds_load_b128 v[25:28], v20 offset:9984
	s_waitcnt lgkmcnt(1)
	v_add_f64 v[203:204], v[2:3], v[23:24]
	v_add_f64 v[126:127], v[0:1], v[21:22]
	;; [unrolled: 1-line block ×8, first 2 shown]
	s_waitcnt lgkmcnt(0)
	v_add_f64 v[134:135], v[2:3], v[27:28]
	v_add_f64 v[10:11], v[0:1], v[25:26]
	;; [unrolled: 1-line block ×8, first 2 shown]
	ds_load_b128 v[21:24], v20 offset:10240
	ds_load_b128 v[25:28], v20 offset:10496
	s_waitcnt lgkmcnt(1)
	v_add_f64 v[235:236], v[2:3], v[23:24]
	v_add_f64 v[237:238], v[0:1], v[21:22]
	;; [unrolled: 1-line block ×8, first 2 shown]
	s_waitcnt lgkmcnt(0)
	v_add_f64 v[251:252], v[2:3], v[27:28]
	v_add_f64 v[148:149], v[0:1], v[25:26]
	;; [unrolled: 1-line block ×8, first 2 shown]
	ds_load_b128 v[21:24], v20 offset:10752
	ds_load_b128 v[25:28], v20 offset:11008
	v_cvt_f32_f64_e32 v10, v[10:11]
	v_cvt_f32_f64_e32 v11, v[134:135]
	s_waitcnt lgkmcnt(1)
	v_add_f64 v[87:88], v[2:3], v[23:24]
	v_add_f64 v[85:86], v[0:1], v[21:22]
	;; [unrolled: 1-line block ×8, first 2 shown]
	s_waitcnt lgkmcnt(0)
	v_add_f64 v[83:84], v[2:3], v[27:28]
	v_add_f64 v[77:78], v[0:1], v[25:26]
	;; [unrolled: 1-line block ×8, first 2 shown]
	ds_load_b128 v[21:24], v20 offset:11264
	ds_load_b128 v[25:28], v20 offset:11520
	v_min3_f32 v164, v10, v11, v164
	v_cvt_f32_f64_e32 v10, v[140:141]
	v_cvt_f32_f64_e32 v11, v[136:137]
	s_waitcnt lgkmcnt(1)
	v_add_f64 v[39:40], v[2:3], v[23:24]
	v_add_f64 v[37:38], v[0:1], v[21:22]
	;; [unrolled: 1-line block ×8, first 2 shown]
	s_waitcnt lgkmcnt(0)
	v_add_f64 v[67:68], v[2:3], v[27:28]
	v_add_f64 v[65:66], v[0:1], v[25:26]
	;; [unrolled: 1-line block ×8, first 2 shown]
	ds_load_b128 v[21:24], v20 offset:11776
	ds_load_b128 v[25:28], v20 offset:12032
	v_min3_f32 v163, v10, v11, v163
	v_cvt_f32_f64_e32 v10, v[144:145]
	v_cvt_f32_f64_e32 v11, v[142:143]
	s_waitcnt lgkmcnt(1)
	v_add_f64 v[8:9], v[0:1], v[21:22]
	v_add_f64 v[132:133], v[4:5], v[21:22]
	;; [unrolled: 1-line block ×4, first 2 shown]
	s_waitcnt lgkmcnt(0)
	v_add_f64 v[0:1], v[0:1], v[25:26]
	v_add_f64 v[4:5], v[4:5], v[25:26]
	;; [unrolled: 1-line block ×4, first 2 shown]
	scratch_load_b64 v[33:34], off, off offset:52 ; 8-byte Folded Reload
	v_add_f64 v[138:139], v[2:3], v[23:24]
	v_add_f64 v[16:17], v[6:7], v[23:24]
	;; [unrolled: 1-line block ×8, first 2 shown]
	v_min3_f32 v162, v10, v11, v162
	v_cvt_f32_f64_e32 v10, v[233:234]
	v_cvt_f32_f64_e32 v11, v[146:147]
	v_mov_b32_e32 v233, v98
	v_cvt_f32_f64_e32 v8, v[8:9]
	v_cvt_f32_f64_e32 v0, v[0:1]
	;; [unrolled: 1-line block ×4, first 2 shown]
	v_min3_f32 v161, v10, v11, v161
	v_cvt_f32_f64_e32 v10, v[237:238]
	v_cvt_f32_f64_e32 v11, v[235:236]
	v_min3_f32 v213, v8, v9, v213
	v_cvt_f32_f64_e32 v9, v[16:17]
	v_cvt_f32_f64_e32 v8, v[132:133]
	;; [unrolled: 3-line block ×10, first 2 shown]
	v_min3_f32 v209, v8, v9, v209
	v_min3_f32 v205, v0, v1, v205
	s_delay_alu instid0(VALU_DEP_3) | instskip(SKIP_2) | instid1(VALU_DEP_1)
	v_min3_f32 v157, v10, v11, v157
	v_cvt_f32_f64_e32 v10, v[148:149]
	v_cvt_f32_f64_e32 v11, v[251:252]
	v_min3_f32 v156, v10, v11, v156
	v_cvt_f32_f64_e32 v10, v[107:108]
	v_cvt_f32_f64_e32 v11, v[109:110]
	s_delay_alu instid0(VALU_DEP_1)
	v_min3_f32 v155, v10, v11, v155
	v_cvt_f32_f64_e32 v10, v[105:106]
	v_cvt_f32_f64_e32 v11, v[182:183]
	s_waitcnt vmcnt(0)
	v_cvt_f32_f64_e32 v13, v[33:34]
	scratch_load_b64 v[33:34], off, off offset:20 ; 8-byte Folded Reload
	v_min3_f32 v154, v10, v11, v154
	v_cvt_f32_f64_e32 v10, v[101:102]
	v_cvt_f32_f64_e32 v11, v[103:104]
	s_delay_alu instid0(VALU_DEP_1) | instskip(SKIP_2) | instid1(VALU_DEP_1)
	v_min3_f32 v153, v10, v11, v153
	v_cvt_f32_f64_e32 v10, v[85:86]
	v_cvt_f32_f64_e32 v11, v[87:88]
	v_min3_f32 v152, v10, v11, v152
	v_cvt_f32_f64_e32 v10, v[79:80]
	v_cvt_f32_f64_e32 v11, v[89:90]
	s_delay_alu instid0(VALU_DEP_1) | instskip(SKIP_2) | instid1(VALU_DEP_1)
	v_min3_f32 v151, v10, v11, v151
	v_cvt_f32_f64_e32 v10, v[81:82]
	v_cvt_f32_f64_e32 v11, v[93:94]
	v_min3_f32 v150, v10, v11, v150
	v_cvt_f32_f64_e32 v10, v[91:92]
	v_cvt_f32_f64_e32 v11, v[99:100]
	s_clause 0x1
	scratch_load_b32 v91, off, off offset:316
	scratch_load_b32 v16, off, off
	v_min3_f32 v115, v10, v11, v115
	v_cvt_f32_f64_e32 v10, v[77:78]
	v_cvt_f32_f64_e32 v11, v[83:84]
	s_delay_alu instid0(VALU_DEP_1)
	v_min3_f32 v226, v10, v11, v226
	v_cvt_f32_f64_e32 v10, v[73:74]
	v_cvt_f32_f64_e32 v11, v[75:76]
	s_waitcnt vmcnt(2)
	v_cvt_f32_f64_e32 v22, v[33:34]
	scratch_load_b64 v[33:34], off, off offset:36 ; 8-byte Folded Reload
	v_min3_f32 v181, v13, v22, v181
	s_waitcnt vmcnt(0)
	v_cvt_f32_f64_e32 v13, v[33:34]
	scratch_load_b64 v[33:34], off, off offset:4 ; 8-byte Folded Reload
	s_waitcnt vmcnt(0)
	v_cvt_f32_f64_e32 v22, v[33:34]
	scratch_load_b64 v[33:34], off, off offset:60 ; 8-byte Folded Reload
	v_min3_f32 v180, v13, v22, v180
	s_waitcnt vmcnt(0)
	v_cvt_f32_f64_e32 v13, v[33:34]
	scratch_load_b64 v[33:34], off, off offset:28 ; 8-byte Folded Reload
	;; [unrolled: 7-line block ×15, first 2 shown]
	s_waitcnt vmcnt(0)
	v_cvt_f32_f64_e32 v22, v[33:34]
	scratch_load_b64 v[33:34], off, off offset:292 ; 8-byte Folded Reload
	v_min3_f32 v224, v13, v22, v224
	v_cvt_f32_f64_e32 v13, v[111:112]
	v_mov_b32_e32 v111, v219
	v_mov_b32_e32 v219, v225
	s_delay_alu instid0(VALU_DEP_1) | instskip(SKIP_2) | instid1(VALU_DEP_1)
	v_min3_f32 v219, v10, v11, v219
	v_cvt_f32_f64_e32 v10, v[71:72]
	v_cvt_f32_f64_e32 v11, v[63:64]
	v_min3_f32 v222, v10, v11, v222
	v_cvt_f32_f64_e32 v10, v[69:70]
	v_cvt_f32_f64_e32 v11, v[61:62]
	s_delay_alu instid0(VALU_DEP_1) | instskip(SKIP_2) | instid1(VALU_DEP_1)
	v_min3_f32 v218, v10, v11, v218
	v_cvt_f32_f64_e32 v10, v[37:38]
	v_cvt_f32_f64_e32 v11, v[39:40]
	v_min3_f32 v111, v10, v11, v111
	v_cvt_f32_f64_e32 v10, v[116:117]
	v_cvt_f32_f64_e32 v11, v[43:44]
	;; [unrolled: 7-line block ×3, first 2 shown]
	s_delay_alu instid0(VALU_DEP_1)
	v_min3_f32 v233, v10, v11, v233
	v_cvt_f32_f64_e32 v10, v[65:66]
	v_cvt_f32_f64_e32 v11, v[67:68]
	s_waitcnt vmcnt(0)
	v_cvt_f32_f64_e32 v22, v[33:34]
	scratch_load_b64 v[33:34], off, off offset:276 ; 8-byte Folded Reload
	v_min3_f32 v255, v10, v11, v255
	v_cvt_f32_f64_e32 v10, v[57:58]
	v_cvt_f32_f64_e32 v11, v[59:60]
	v_min3_f32 v220, v13, v22, v220
	v_cvt_f32_f64_e32 v13, v[95:96]
	s_delay_alu instid0(VALU_DEP_3) | instskip(SKIP_2) | instid1(VALU_DEP_1)
	v_min3_f32 v228, v10, v11, v228
	v_cvt_f32_f64_e32 v10, v[47:48]
	v_cvt_f32_f64_e32 v11, v[55:56]
	v_min3_f32 v223, v10, v11, v223
	v_cvt_f32_f64_e32 v10, v[53:54]
	v_cvt_f32_f64_e32 v11, v[118:119]
	s_delay_alu instid0(VALU_DEP_1)
	v_min3_f32 v211, v10, v11, v211
	s_waitcnt vmcnt(0)
	v_cvt_f32_f64_e32 v22, v[33:34]
	scratch_load_b64 v[33:34], off, off offset:268 ; 8-byte Folded Reload
	v_min3_f32 v12, v13, v22, v12
	v_cvt_f32_f64_e32 v13, v[184:185]
	s_waitcnt vmcnt(0)
	v_cvt_f32_f64_e32 v22, v[33:34]
	scratch_load_b64 v[33:34], off, off offset:284 ; 8-byte Folded Reload
	v_min3_f32 v172, v13, v22, v172
	s_waitcnt vmcnt(0)
	v_cvt_f32_f64_e32 v13, v[33:34]
	scratch_load_b64 v[33:34], off, off offset:260 ; 8-byte Folded Reload
	s_waitcnt vmcnt(0)
	v_cvt_f32_f64_e32 v22, v[33:34]
	s_delay_alu instid0(VALU_DEP_1) | instskip(SKIP_2) | instid1(VALU_DEP_1)
	v_min3_f32 v174, v13, v22, v174
	v_cvt_f32_f64_e32 v13, v[189:190]
	v_cvt_f32_f64_e32 v22, v[187:188]
	v_min3_f32 v217, v13, v22, v217
	v_cvt_f32_f64_e32 v13, v[193:194]
	v_cvt_f32_f64_e32 v22, v[191:192]
	s_delay_alu instid0(VALU_DEP_1) | instskip(SKIP_2) | instid1(VALU_DEP_1)
	v_min3_f32 v216, v13, v22, v216
	v_cvt_f32_f64_e32 v13, v[197:198]
	v_cvt_f32_f64_e32 v22, v[195:196]
	v_min3_f32 v215, v13, v22, v215
	v_cvt_f32_f64_e32 v13, v[201:202]
	;; [unrolled: 7-line block ×4, first 2 shown]
	v_cvt_f32_f64_e32 v22, v[120:121]
	s_delay_alu instid0(VALU_DEP_1)
	v_min3_f32 v165, v13, v22, v165
	s_cbranch_vccz .LBB114_23
; %bb.24:
	v_dual_mov_b32 v75, v159 :: v_dual_mov_b32 v182, v150
	s_clause 0x2
	scratch_load_b32 v159, off, off offset:360
	scratch_load_b64 v[0:1], off, off offset:300
	scratch_load_b64 v[2:3], off, off offset:308
	v_dual_mov_b32 v83, v217 :: v_dual_mov_b32 v106, v216
	v_dual_mov_b32 v99, v215 :: v_dual_mov_b32 v90, v186
	;; [unrolled: 1-line block ×8, first 2 shown]
	v_mov_b32_e32 v73, v155
	v_mov_b32_e32 v29, v152
	s_cmp_gt_i32 s10, 8
	s_mov_b32 s27, 8
	s_waitcnt vmcnt(0)
	ds_store_2addr_stride64_b64 v159, v[0:1], v[2:3] offset0:8 offset1:12
	s_clause 0x1
	scratch_load_b64 v[0:1], off, off offset:320
	scratch_load_b64 v[2:3], off, off offset:328
	s_waitcnt vmcnt(0)
	ds_store_2addr_stride64_b64 v159, v[0:1], v[2:3] offset0:24 offset1:28
	s_waitcnt lgkmcnt(0)
	s_waitcnt_vscnt null, 0x0
	s_barrier
	buffer_gl0_inv
	s_cbranch_scc0 .LBB114_48
; %bb.25:
	v_mad_i64_i32 v[0:1], null, v227, s28, 0
	v_mad_i64_i32 v[2:3], null, v229, s28, 0
	v_dual_mov_b32 v13, v222 :: v_dual_add_nc_u32 v8, 0x1000, v159
	v_mad_i64_i32 v[4:5], null, v97, s29, 0
	s_delay_alu instid0(VALU_DEP_4)
	v_lshlrev_b64 v[0:1], 3, v[0:1]
	scratch_store_b32 off, v8, off offset:372 ; 4-byte Folded Spill
	v_mad_i64_i32 v[6:7], null, v231, s29, 0
	v_mov_b32_e32 v86, v74
	v_mov_b32_e32 v158, v226
	scratch_store_b64 off, v[0:1], off offset:376 ; 8-byte Folded Spill
	v_lshlrev_b64 v[0:1], 3, v[2:3]
	s_add_i32 s28, s10, -8
	s_mov_b32 s29, 0
	scratch_store_b64 off, v[0:1], off offset:384 ; 8-byte Folded Spill
	v_lshlrev_b64 v[0:1], 3, v[4:5]
	scratch_store_b64 off, v[0:1], off offset:392 ; 8-byte Folded Spill
	v_lshlrev_b64 v[0:1], 3, v[6:7]
	scratch_store_b64 off, v[0:1], off offset:400 ; 8-byte Folded Spill
	v_add_nc_u32_e32 v0, 0x3000, v159
	scratch_store_b32 off, v0, off offset:408 ; 4-byte Folded Spill
.LBB114_26:                             ; =>This Loop Header: Depth=1
                                        ;     Child Loop BB114_35 Depth 2
                                        ;     Child Loop BB114_45 Depth 2
	scratch_load_b32 v0, off, off offset:364 ; 4-byte Folded Reload
	s_waitcnt vmcnt(0)
	v_or_b32_e32 v2, s27, v0
	s_delay_alu instid0(VALU_DEP_1) | instskip(SKIP_4) | instid1(SALU_CYCLE_1)
	v_min_i32_e32 v0, s26, v2
	v_cmp_le_i32_e32 vcc_lo, s10, v2
	scratch_store_b32 off, v2, off offset:320 ; 4-byte Folded Spill
	v_ashrrev_i32_e32 v1, 31, v0
	s_or_b32 s30, s2, vcc_lo
	v_cndmask_b32_e64 v5, 0, 0x7fefffff, s30
	v_cndmask_b32_e64 v4, 0, -1, s30
	s_delay_alu instid0(VALU_DEP_3) | instskip(NEXT) | instid1(VALU_DEP_1)
	v_lshlrev_b64 v[0:1], 3, v[0:1]
	v_add_co_u32 v2, s6, s24, v0
	s_delay_alu instid0(VALU_DEP_1) | instskip(SKIP_1) | instid1(SALU_CYCLE_1)
	v_add_co_ci_u32_e64 v3, s6, s25, v1, s6
	s_or_b32 s6, s19, s30
	s_xor_b32 s6, s6, -1
	s_mov_b32 s30, exec_lo
	v_mov_b32_e32 v109, v106
	s_and_b32 s6, s30, s6
	s_delay_alu instid0(SALU_CYCLE_1)
	s_mov_b32 exec_lo, s6
	s_cbranch_execz .LBB114_28
; %bb.27:                               ;   in Loop: Header=BB114_26 Depth=1
	scratch_load_b64 v[4:5], off, off offset:376 ; 8-byte Folded Reload
	s_waitcnt vmcnt(0)
	v_add_co_u32 v4, s6, v2, v4
	s_delay_alu instid0(VALU_DEP_1)
	v_add_co_ci_u32_e64 v5, s6, v3, v5, s6
	flat_load_b64 v[4:5], v[4:5]
	s_waitcnt vmcnt(0) lgkmcnt(0)
	v_mul_f64 v[4:5], s[20:21], v[4:5]
.LBB114_28:                             ;   in Loop: Header=BB114_26 Depth=1
	s_or_b32 exec_lo, exec_lo, s30
	s_or_b32 s6, s3, vcc_lo
	scratch_store_b64 off, v[4:5], off offset:328 ; 8-byte Folded Spill
	v_cndmask_b32_e64 v5, 0, 0x7fefffff, s6
	v_cndmask_b32_e64 v4, 0, -1, s6
	s_or_b32 s6, s19, s6
	s_delay_alu instid0(SALU_CYCLE_1) | instskip(NEXT) | instid1(SALU_CYCLE_1)
	s_xor_b32 s6, s6, -1
	s_and_saveexec_b32 s30, s6
	s_cbranch_execz .LBB114_30
; %bb.29:                               ;   in Loop: Header=BB114_26 Depth=1
	scratch_load_b64 v[4:5], off, off offset:384 ; 8-byte Folded Reload
	s_waitcnt vmcnt(0)
	v_add_co_u32 v2, s6, v2, v4
	s_delay_alu instid0(VALU_DEP_1)
	v_add_co_ci_u32_e64 v3, s6, v3, v5, s6
	flat_load_b64 v[2:3], v[2:3]
	s_waitcnt vmcnt(0) lgkmcnt(0)
	v_mul_f64 v[4:5], s[20:21], v[2:3]
.LBB114_30:                             ;   in Loop: Header=BB114_26 Depth=1
	s_or_b32 exec_lo, exec_lo, s30
	v_add_co_u32 v0, s6, s22, v0
	s_delay_alu instid0(VALU_DEP_1) | instskip(SKIP_1) | instid1(SALU_CYCLE_1)
	v_add_co_ci_u32_e64 v1, s6, s23, v1, s6
	s_or_b32 s6, s4, vcc_lo
	v_cndmask_b32_e64 v3, 0, 0x7fefffff, s6
	v_cndmask_b32_e64 v2, 0, -1, s6
	s_or_b32 s6, s19, s6
	s_delay_alu instid0(SALU_CYCLE_1) | instskip(NEXT) | instid1(SALU_CYCLE_1)
	s_xor_b32 s6, s6, -1
	s_and_saveexec_b32 s30, s6
	s_cbranch_execz .LBB114_32
; %bb.31:                               ;   in Loop: Header=BB114_26 Depth=1
	scratch_load_b64 v[2:3], off, off offset:392 ; 8-byte Folded Reload
	s_waitcnt vmcnt(0)
	v_add_co_u32 v2, s6, v0, v2
	s_delay_alu instid0(VALU_DEP_1)
	v_add_co_ci_u32_e64 v3, s6, v1, v3, s6
	flat_load_b64 v[2:3], v[2:3]
	s_waitcnt vmcnt(0) lgkmcnt(0)
	v_mul_f64 v[2:3], s[20:21], v[2:3]
.LBB114_32:                             ;   in Loop: Header=BB114_26 Depth=1
	s_or_b32 exec_lo, exec_lo, s30
	s_or_b32 s6, s5, vcc_lo
	s_clause 0x1
	scratch_store_b64 off, v[2:3], off offset:344
	scratch_store_b64 off, v[4:5], off offset:336
	v_dual_mov_b32 v25, v172 :: v_dual_mov_b32 v110, v174
	v_dual_mov_b32 v108, v99 :: v_dual_mov_b32 v35, v165
	;; [unrolled: 1-line block ×3, first 2 shown]
	v_mov_b32_e32 v225, v73
	v_cndmask_b32_e64 v3, 0, 0x7fefffff, s6
	v_cndmask_b32_e64 v2, 0, -1, s6
	s_or_b32 s6, s19, s6
	s_delay_alu instid0(SALU_CYCLE_1) | instskip(NEXT) | instid1(SALU_CYCLE_1)
	s_xor_b32 s30, s6, -1
	s_and_saveexec_b32 s6, s30
	s_cbranch_execz .LBB114_34
; %bb.33:                               ;   in Loop: Header=BB114_26 Depth=1
	scratch_load_b64 v[2:3], off, off offset:400 ; 8-byte Folded Reload
	s_waitcnt vmcnt(0)
	v_add_co_u32 v0, vcc_lo, v0, v2
	v_add_co_ci_u32_e32 v1, vcc_lo, v1, v3, vcc_lo
	flat_load_b64 v[0:1], v[0:1]
	s_waitcnt vmcnt(0) lgkmcnt(0)
	v_mul_f64 v[2:3], s[20:21], v[0:1]
.LBB114_34:                             ;   in Loop: Header=BB114_26 Depth=1
	s_or_b32 exec_lo, exec_lo, s6
	v_dual_mov_b32 v226, v64 :: v_dual_mov_b32 v229, v75
	v_dual_mov_b32 v222, v182 :: v_dual_mov_b32 v231, v72
	;; [unrolled: 1-line block ×4, first 2 shown]
	s_mov_b32 s30, 0
	s_mov_b32 s6, -1
	scratch_store_b64 off, v[2:3], off offset:352 ; 8-byte Folded Spill
.LBB114_35:                             ;   Parent Loop BB114_26 Depth=1
                                        ; =>  This Inner Loop Header: Depth=2
	s_lshl_b32 s30, s30, 3
	s_and_not1_b32 vcc_lo, exec_lo, s6
	v_lshl_add_u32 v188, v16, 5, s30
	s_waitcnt vmcnt(0)
	v_lshl_add_u32 v8, v91, 5, s30
	s_mov_b32 s30, 2
	s_mov_b32 s6, 0
	ds_load_b128 v[36:39], v188 offset:12288
	ds_load_b128 v[0:3], v8 offset:4096
	;; [unrolled: 1-line block ×4, first 2 shown]
	s_waitcnt lgkmcnt(2)
	v_add_f64 v[182:183], v[2:3], v[38:39]
	s_waitcnt lgkmcnt(1)
	v_add_f64 v[14:15], v[6:7], v[38:39]
	v_add_f64 v[10:11], v[0:1], v[36:37]
	s_delay_alu instid0(VALU_DEP_3)
	v_cvt_f32_f64_e32 v150, v[182:183]
	scratch_store_b64 off, v[14:15], off offset:4 ; 8-byte Folded Spill
	v_add_f64 v[14:15], v[4:5], v[36:37]
	scratch_store_b64 off, v[14:15], off offset:28 ; 8-byte Folded Spill
	ds_load_b128 v[189:192], v8 offset:6144
	ds_load_b128 v[193:196], v8 offset:7168
	;; [unrolled: 1-line block ×3, first 2 shown]
	s_waitcnt lgkmcnt(2)
	v_add_f64 v[8:9], v[191:192], v[38:39]
	scratch_store_b64 off, v[8:9], off offset:20 ; 8-byte Folded Spill
	v_add_f64 v[8:9], v[189:190], v[36:37]
	scratch_store_b64 off, v[8:9], off offset:44 ; 8-byte Folded Spill
	s_waitcnt lgkmcnt(1)
	v_add_f64 v[8:9], v[195:196], v[38:39]
	scratch_store_b64 off, v[8:9], off offset:12 ; 8-byte Folded Spill
	v_add_f64 v[8:9], v[193:194], v[36:37]
	scratch_store_b64 off, v[8:9], off offset:36 ; 8-byte Folded Spill
	;; [unrolled: 2-line block ×10, first 2 shown]
	v_mov_b32_e32 v8, v83
	ds_load_b128 v[82:85], v188 offset:13056
	s_waitcnt lgkmcnt(1)
	v_add_f64 v[14:15], v[2:3], v[70:71]
	v_mov_b32_e32 v174, v221
	v_mov_b32_e32 v221, v233
	v_mov_b32_e32 v172, v13
	v_cvt_f32_f64_e32 v13, v[10:11]
	scratch_store_b64 off, v[14:15], off offset:148 ; 8-byte Folded Spill
	v_add_f64 v[14:15], v[0:1], v[68:69]
	v_min3_f32 v181, v13, v150, v181
	scratch_store_b64 off, v[14:15], off offset:172 ; 8-byte Folded Spill
	v_add_f64 v[14:15], v[6:7], v[70:71]
	scratch_store_b64 off, v[14:15], off offset:132 ; 8-byte Folded Spill
	v_add_f64 v[14:15], v[4:5], v[68:69]
	;; [unrolled: 2-line block ×5, first 2 shown]
	s_waitcnt lgkmcnt(0)
	v_add_f64 v[70:71], v[0:1], v[82:83]
	scratch_store_b64 off, v[14:15], off offset:116 ; 8-byte Folded Spill
	v_add_f64 v[14:15], v[193:194], v[68:69]
	scratch_store_b64 off, v[14:15], off offset:140 ; 8-byte Folded Spill
	;; [unrolled: 2-line block ×9, first 2 shown]
	ds_load_b128 v[100:103], v188 offset:13312
	ds_load_b128 v[197:200], v188 offset:13568
	s_waitcnt lgkmcnt(1)
	v_add_f64 v[14:15], v[2:3], v[102:103]
	v_add_f64 v[82:83], v[0:1], v[100:101]
	s_waitcnt lgkmcnt(0)
	v_add_f64 v[68:69], v[189:190], v[197:198]
	v_add_f64 v[84:85], v[195:196], v[199:200]
	;; [unrolled: 1-line block ×3, first 2 shown]
	scratch_store_b64 off, v[14:15], off offset:268 ; 8-byte Folded Spill
	v_add_f64 v[14:15], v[6:7], v[102:103]
	v_cvt_f32_f64_e32 v24, v[84:85]
	scratch_store_b64 off, v[14:15], off offset:252 ; 8-byte Folded Spill
	v_add_f64 v[14:15], v[4:5], v[100:101]
	scratch_store_b64 off, v[14:15], off offset:284 ; 8-byte Folded Spill
	v_add_f64 v[14:15], v[191:192], v[102:103]
	;; [unrolled: 2-line block ×4, first 2 shown]
	v_add_f64 v[102:103], v[4:5], v[197:198]
	scratch_store_b64 off, v[14:15], off offset:236 ; 8-byte Folded Spill
	v_add_f64 v[14:15], v[193:194], v[100:101]
	v_add_f64 v[100:101], v[191:192], v[199:200]
	scratch_store_b64 off, v[14:15], off offset:260 ; 8-byte Folded Spill
	v_add_f64 v[14:15], v[2:3], v[199:200]
	scratch_store_b64 off, v[14:15], off offset:292 ; 8-byte Folded Spill
	;; [unrolled: 2-line block ×4, first 2 shown]
	ds_load_b128 v[197:200], v188 offset:13824
	ds_load_b128 v[201:204], v188 offset:14080
	s_waitcnt lgkmcnt(1)
	v_add_f64 v[152:153], v[2:3], v[199:200]
	v_add_f64 v[146:147], v[0:1], v[197:198]
	v_add_f64 v[148:149], v[6:7], v[199:200]
	v_add_f64 v[142:143], v[4:5], v[197:198]
	v_add_f64 v[144:145], v[191:192], v[199:200]
	v_add_f64 v[154:155], v[189:190], v[197:198]
	v_add_f64 v[38:39], v[195:196], v[199:200]
	v_add_f64 v[36:37], v[193:194], v[197:198]
	s_waitcnt lgkmcnt(0)
	v_add_f64 v[160:161], v[2:3], v[203:204]
	v_add_f64 v[164:165], v[0:1], v[201:202]
	v_add_f64 v[214:215], v[6:7], v[203:204]
	v_add_f64 v[216:217], v[4:5], v[201:202]
	v_add_f64 v[166:167], v[191:192], v[203:204]
	v_add_f64 v[233:234], v[189:190], v[201:202]
	v_add_f64 v[235:236], v[195:196], v[203:204]
	v_add_f64 v[237:238], v[193:194], v[201:202]
	ds_load_b128 v[197:200], v188 offset:14336
	ds_load_b128 v[201:204], v188 offset:14592
	s_waitcnt lgkmcnt(1)
	v_add_f64 v[239:240], v[2:3], v[199:200]
	v_add_f64 v[241:242], v[0:1], v[197:198]
	v_add_f64 v[243:244], v[6:7], v[199:200]
	v_add_f64 v[245:246], v[4:5], v[197:198]
	v_add_f64 v[247:248], v[191:192], v[199:200]
	v_add_f64 v[249:250], v[189:190], v[197:198]
	v_add_f64 v[251:252], v[195:196], v[199:200]
	v_add_f64 v[30:31], v[193:194], v[197:198]
	s_waitcnt lgkmcnt(0)
	v_add_f64 v[184:185], v[2:3], v[203:204]
	v_add_f64 v[27:28], v[0:1], v[201:202]
	v_add_f64 v[156:157], v[6:7], v[203:204]
	v_add_f64 v[162:163], v[4:5], v[201:202]
	v_add_f64 v[14:15], v[191:192], v[203:204]
	v_add_f64 v[186:187], v[189:190], v[201:202]
	v_add_f64 v[16:17], v[195:196], v[203:204]
	v_add_f64 v[18:19], v[193:194], v[201:202]
	;; [unrolled: 20-line block ×3, first 2 shown]
	ds_load_b128 v[197:200], v188 offset:15360
	ds_load_b128 v[201:204], v188 offset:15616
	v_cvt_f32_f64_e32 v9, v[184:185]
	s_waitcnt lgkmcnt(1)
	v_add_f64 v[64:65], v[2:3], v[199:200]
	v_add_f64 v[126:127], v[0:1], v[197:198]
	;; [unrolled: 1-line block ×8, first 2 shown]
	s_waitcnt lgkmcnt(0)
	v_add_f64 v[130:131], v[2:3], v[203:204]
	v_add_f64 v[132:133], v[0:1], v[201:202]
	;; [unrolled: 1-line block ×8, first 2 shown]
	ds_load_b128 v[197:200], v188 offset:15872
	ds_load_b128 v[201:204], v188 offset:16128
	scratch_load_b64 v[10:11], off, off offset:28 ; 8-byte Folded Reload
	s_waitcnt lgkmcnt(1)
	v_add_f64 v[96:97], v[2:3], v[199:200]
	v_add_f64 v[98:99], v[0:1], v[197:198]
	s_waitcnt lgkmcnt(0)
	v_add_f64 v[2:3], v[2:3], v[203:204]
	v_add_f64 v[0:1], v[0:1], v[201:202]
	v_add_f64 v[138:139], v[6:7], v[199:200]
	v_add_f64 v[140:141], v[4:5], v[197:198]
	v_add_f64 v[6:7], v[6:7], v[203:204]
	v_add_f64 v[4:5], v[4:5], v[201:202]
	v_add_f64 v[112:113], v[191:192], v[199:200]
	v_add_f64 v[114:115], v[189:190], v[197:198]
	v_add_f64 v[191:192], v[191:192], v[203:204]
	v_add_f64 v[188:189], v[189:190], v[201:202]
	v_add_f64 v[199:200], v[195:196], v[199:200]
	v_add_f64 v[197:198], v[193:194], v[197:198]
	v_add_f64 v[195:196], v[195:196], v[203:204]
	v_add_f64 v[193:194], v[193:194], v[201:202]
	v_cvt_f32_f64_e32 v0, v[0:1]
	v_cvt_f32_f64_e32 v1, v[2:3]
	s_delay_alu instid0(VALU_DEP_1) | instskip(SKIP_2) | instid1(VALU_DEP_1)
	v_min3_f32 v208, v0, v1, v208
	v_cvt_f32_f64_e32 v0, v[4:5]
	v_cvt_f32_f64_e32 v1, v[6:7]
	v_min3_f32 v207, v0, v1, v207
	v_cvt_f32_f64_e32 v0, v[188:189]
	v_cvt_f32_f64_e32 v1, v[191:192]
	s_delay_alu instid0(VALU_DEP_1) | instskip(SKIP_2) | instid1(VALU_DEP_1)
	v_min3_f32 v206, v0, v1, v206
	v_cvt_f32_f64_e32 v0, v[193:194]
	v_cvt_f32_f64_e32 v1, v[195:196]
	v_min3_f32 v205, v0, v1, v205
	s_waitcnt vmcnt(0)
	v_cvt_f32_f64_e32 v13, v[10:11]
	scratch_load_b64 v[10:11], off, off offset:4 ; 8-byte Folded Reload
	s_waitcnt vmcnt(0)
	v_cvt_f32_f64_e32 v150, v[10:11]
	scratch_load_b64 v[10:11], off, off offset:44 ; 8-byte Folded Reload
	v_min3_f32 v180, v13, v150, v180
	s_waitcnt vmcnt(0)
	v_cvt_f32_f64_e32 v13, v[10:11]
	scratch_load_b64 v[10:11], off, off offset:20 ; 8-byte Folded Reload
	s_waitcnt vmcnt(0)
	v_cvt_f32_f64_e32 v150, v[10:11]
	scratch_load_b64 v[10:11], off, off offset:36 ; 8-byte Folded Reload
	v_min3_f32 v179, v13, v150, v179
	s_waitcnt vmcnt(0)
	v_cvt_f32_f64_e32 v13, v[10:11]
	scratch_load_b64 v[10:11], off, off offset:12 ; 8-byte Folded Reload
	s_waitcnt vmcnt(0)
	v_cvt_f32_f64_e32 v150, v[10:11]
	scratch_load_b64 v[10:11], off, off offset:60 ; 8-byte Folded Reload
	v_min3_f32 v178, v13, v150, v178
	s_waitcnt vmcnt(0)
	v_cvt_f32_f64_e32 v13, v[10:11]
	scratch_load_b64 v[10:11], off, off offset:52 ; 8-byte Folded Reload
	s_waitcnt vmcnt(0)
	v_cvt_f32_f64_e32 v150, v[10:11]
	scratch_load_b64 v[10:11], off, off offset:76 ; 8-byte Folded Reload
	v_min3_f32 v177, v13, v150, v177
	s_waitcnt vmcnt(0)
	v_cvt_f32_f64_e32 v13, v[10:11]
	scratch_load_b64 v[10:11], off, off offset:68 ; 8-byte Folded Reload
	s_waitcnt vmcnt(0)
	v_cvt_f32_f64_e32 v150, v[10:11]
	scratch_load_b64 v[10:11], off, off offset:92 ; 8-byte Folded Reload
	v_min3_f32 v176, v13, v150, v176
	s_waitcnt vmcnt(0)
	v_cvt_f32_f64_e32 v13, v[10:11]
	scratch_load_b64 v[10:11], off, off offset:84 ; 8-byte Folded Reload
	s_waitcnt vmcnt(0)
	v_cvt_f32_f64_e32 v150, v[10:11]
	scratch_load_b64 v[10:11], off, off offset:108 ; 8-byte Folded Reload
	v_min3_f32 v175, v13, v150, v175
	s_waitcnt vmcnt(0)
	v_cvt_f32_f64_e32 v13, v[10:11]
	scratch_load_b64 v[10:11], off, off offset:100 ; 8-byte Folded Reload
	s_waitcnt vmcnt(0)
	v_cvt_f32_f64_e32 v150, v[10:11]
	scratch_load_b64 v[10:11], off, off offset:172 ; 8-byte Folded Reload
	v_min3_f32 v173, v13, v150, v173
	s_waitcnt vmcnt(0)
	v_cvt_f32_f64_e32 v13, v[10:11]
	scratch_load_b64 v[10:11], off, off offset:148 ; 8-byte Folded Reload
	s_waitcnt vmcnt(0)
	v_cvt_f32_f64_e32 v150, v[10:11]
	scratch_load_b64 v[10:11], off, off offset:164 ; 8-byte Folded Reload
	v_min3_f32 v171, v13, v150, v171
	s_waitcnt vmcnt(0)
	v_cvt_f32_f64_e32 v13, v[10:11]
	scratch_load_b64 v[10:11], off, off offset:132 ; 8-byte Folded Reload
	s_waitcnt vmcnt(0)
	v_cvt_f32_f64_e32 v150, v[10:11]
	scratch_load_b64 v[10:11], off, off offset:156 ; 8-byte Folded Reload
	v_min3_f32 v170, v13, v150, v170
	s_waitcnt vmcnt(0)
	v_cvt_f32_f64_e32 v13, v[10:11]
	scratch_load_b64 v[10:11], off, off offset:124 ; 8-byte Folded Reload
	s_waitcnt vmcnt(0)
	v_cvt_f32_f64_e32 v150, v[10:11]
	scratch_load_b64 v[10:11], off, off offset:140 ; 8-byte Folded Reload
	v_min3_f32 v169, v13, v150, v169
	s_waitcnt vmcnt(0)
	v_cvt_f32_f64_e32 v13, v[10:11]
	scratch_load_b64 v[10:11], off, off offset:116 ; 8-byte Folded Reload
	s_waitcnt vmcnt(0)
	v_cvt_f32_f64_e32 v150, v[10:11]
	scratch_load_b64 v[10:11], off, off offset:180 ; 8-byte Folded Reload
	v_min3_f32 v168, v13, v150, v168
	v_cvt_f32_f64_e32 v13, v[70:71]
	s_waitcnt vmcnt(0)
	v_cvt_f32_f64_e32 v70, v[10:11]
	scratch_load_b64 v[10:11], off, off offset:196 ; 8-byte Folded Reload
	v_min3_f32 v232, v13, v70, v232
	s_waitcnt vmcnt(0)
	v_cvt_f32_f64_e32 v13, v[10:11]
	scratch_load_b64 v[10:11], off, off offset:188 ; 8-byte Folded Reload
	s_waitcnt vmcnt(0)
	v_cvt_f32_f64_e32 v54, v[10:11]
	scratch_load_b64 v[10:11], off, off offset:212 ; 8-byte Folded Reload
	v_min3_f32 v254, v13, v54, v254
	s_waitcnt vmcnt(0)
	v_cvt_f32_f64_e32 v13, v[10:11]
	scratch_load_b64 v[10:11], off, off offset:204 ; 8-byte Folded Reload
	s_waitcnt vmcnt(0)
	v_cvt_f32_f64_e32 v50, v[10:11]
	scratch_load_b64 v[10:11], off, off offset:228 ; 8-byte Folded Reload
	v_min3_f32 v230, v13, v50, v230
	s_waitcnt vmcnt(0)
	v_cvt_f32_f64_e32 v13, v[10:11]
	scratch_load_b64 v[10:11], off, off offset:220 ; 8-byte Folded Reload
	s_waitcnt vmcnt(0)
	v_cvt_f32_f64_e32 v50, v[10:11]
	scratch_load_b64 v[10:11], off, off offset:268 ; 8-byte Folded Reload
	v_min3_f32 v224, v13, v50, v224
	v_cvt_f32_f64_e32 v13, v[82:83]
	v_mov_b32_e32 v83, v8
	v_cvt_f32_f64_e32 v8, v[27:28]
	s_delay_alu instid0(VALU_DEP_1) | instskip(SKIP_2) | instid1(VALU_DEP_1)
	v_min3_f32 v227, v8, v9, v227
	v_cvt_f32_f64_e32 v8, v[162:163]
	v_cvt_f32_f64_e32 v9, v[156:157]
	v_min3_f32 v225, v8, v9, v225
	v_cvt_f32_f64_e32 v8, v[186:187]
	v_cvt_f32_f64_e32 v9, v[14:15]
	s_delay_alu instid0(VALU_DEP_1)
	v_min3_f32 v231, v8, v9, v231
	v_cvt_f32_f64_e32 v9, v[16:17]
	v_cvt_f32_f64_e32 v8, v[18:19]
	scratch_load_b32 v16, off, off          ; 4-byte Folded Reload
	v_min3_f32 v32, v8, v9, v32
	v_cvt_f32_f64_e32 v8, v[22:23]
	v_cvt_f32_f64_e32 v9, v[20:21]
	s_delay_alu instid0(VALU_DEP_1) | instskip(SKIP_2) | instid1(VALU_DEP_1)
	v_min3_f32 v29, v8, v9, v29
	v_cvt_f32_f64_e32 v8, v[118:119]
	v_cvt_f32_f64_e32 v9, v[116:117]
	v_min3_f32 v151, v8, v9, v151
	v_cvt_f32_f64_e32 v8, v[42:43]
	v_cvt_f32_f64_e32 v9, v[40:41]
	s_delay_alu instid0(VALU_DEP_1)
	v_min3_f32 v222, v8, v9, v222
	v_cvt_f32_f64_e32 v8, v[46:47]
	s_waitcnt vmcnt(1)
	v_cvt_f32_f64_e32 v26, v[10:11]
	scratch_load_b64 v[10:11], off, off offset:284 ; 8-byte Folded Reload
	v_cvt_f32_f64_e32 v9, v[44:45]
	v_min3_f32 v220, v13, v26, v220
	s_delay_alu instid0(VALU_DEP_2) | instskip(SKIP_2) | instid1(VALU_DEP_1)
	v_min3_f32 v226, v8, v9, v226
	v_cvt_f32_f64_e32 v8, v[120:121]
	v_cvt_f32_f64_e32 v9, v[48:49]
	v_min3_f32 v158, v8, v9, v158
	v_cvt_f32_f64_e32 v8, v[124:125]
	v_cvt_f32_f64_e32 v9, v[122:123]
	s_delay_alu instid0(VALU_DEP_1)
	v_min3_f32 v219, v8, v9, v219
	v_cvt_f32_f64_e32 v8, v[58:59]
	v_cvt_f32_f64_e32 v9, v[56:57]
	s_waitcnt vmcnt(0)
	v_cvt_f32_f64_e32 v13, v[10:11]
	scratch_load_b64 v[10:11], off, off offset:252 ; 8-byte Folded Reload
	s_waitcnt vmcnt(0)
	v_cvt_f32_f64_e32 v26, v[10:11]
	scratch_load_b64 v[10:11], off, off offset:276 ; 8-byte Folded Reload
	v_min3_f32 v12, v13, v26, v12
	s_waitcnt vmcnt(0)
	v_cvt_f32_f64_e32 v13, v[10:11]
	scratch_load_b64 v[10:11], off, off offset:244 ; 8-byte Folded Reload
	s_waitcnt vmcnt(0)
	v_cvt_f32_f64_e32 v26, v[10:11]
	scratch_load_b64 v[10:11], off, off offset:260 ; 8-byte Folded Reload
	v_min3_f32 v25, v13, v26, v25
	s_waitcnt vmcnt(0)
	v_cvt_f32_f64_e32 v13, v[10:11]
	scratch_load_b64 v[10:11], off, off offset:236 ; 8-byte Folded Reload
	s_waitcnt vmcnt(0)
	v_cvt_f32_f64_e32 v26, v[10:11]
	scratch_load_b64 v[10:11], off, off offset:300 ; 8-byte Folded Reload
	v_min3_f32 v110, v13, v26, v110
	s_waitcnt vmcnt(0)
	v_cvt_f32_f64_e32 v13, v[10:11]
	scratch_load_b64 v[10:11], off, off offset:292 ; 8-byte Folded Reload
	s_waitcnt vmcnt(0)
	v_cvt_f32_f64_e32 v26, v[10:11]
	scratch_load_b64 v[10:11], off, off offset:308 ; 8-byte Folded Reload
	v_min3_f32 v83, v13, v26, v83
	v_cvt_f32_f64_e32 v13, v[102:103]
	s_waitcnt vmcnt(0)
	v_cvt_f32_f64_e32 v26, v[10:11]
	v_cvt_f32_f64_e32 v10, v[36:37]
	;; [unrolled: 1-line block ×3, first 2 shown]
	s_delay_alu instid0(VALU_DEP_3) | instskip(SKIP_2) | instid1(VALU_DEP_4)
	v_min3_f32 v109, v13, v26, v109
	v_cvt_f32_f64_e32 v13, v[68:69]
	v_cvt_f32_f64_e32 v26, v[100:101]
	v_min3_f32 v35, v10, v11, v35
	v_cvt_f32_f64_e32 v10, v[164:165]
	v_cvt_f32_f64_e32 v11, v[160:161]
	s_delay_alu instid0(VALU_DEP_4) | instskip(SKIP_1) | instid1(VALU_DEP_3)
	v_min3_f32 v108, v13, v26, v108
	v_cvt_f32_f64_e32 v13, v[51:52]
	v_min3_f32 v34, v10, v11, v34
	v_cvt_f32_f64_e32 v10, v[216:217]
	v_cvt_f32_f64_e32 v11, v[214:215]
	s_delay_alu instid0(VALU_DEP_4) | instskip(SKIP_2) | instid1(VALU_DEP_4)
	v_min3_f32 v107, v13, v24, v107
	v_cvt_f32_f64_e32 v13, v[146:147]
	v_cvt_f32_f64_e32 v24, v[152:153]
	v_min3_f32 v33, v10, v11, v33
	v_cvt_f32_f64_e32 v10, v[233:234]
	v_mov_b32_e32 v233, v221
	v_mov_b32_e32 v221, v174
	v_cvt_f32_f64_e32 v11, v[166:167]
	v_min3_f32 v106, v13, v24, v106
	v_cvt_f32_f64_e32 v13, v[142:143]
	v_cvt_f32_f64_e32 v24, v[148:149]
	s_delay_alu instid0(VALU_DEP_4) | instskip(SKIP_2) | instid1(VALU_DEP_4)
	v_min3_f32 v67, v10, v11, v67
	v_cvt_f32_f64_e32 v10, v[237:238]
	v_cvt_f32_f64_e32 v11, v[235:236]
	v_min3_f32 v105, v13, v24, v105
	v_cvt_f32_f64_e32 v13, v[154:155]
	v_cvt_f32_f64_e32 v24, v[144:145]
	s_delay_alu instid0(VALU_DEP_4) | instskip(SKIP_2) | instid1(VALU_DEP_4)
	v_min3_f32 v66, v10, v11, v66
	v_cvt_f32_f64_e32 v10, v[241:242]
	v_cvt_f32_f64_e32 v11, v[239:240]
	v_min3_f32 v104, v13, v24, v104
	v_mov_b32_e32 v13, v172
	s_delay_alu instid0(VALU_DEP_1)
	v_min3_f32 v13, v8, v9, v13
	v_cvt_f32_f64_e32 v8, v[62:63]
	v_cvt_f32_f64_e32 v9, v[60:61]
	v_min3_f32 v55, v10, v11, v55
	v_cvt_f32_f64_e32 v10, v[245:246]
	v_cvt_f32_f64_e32 v11, v[243:244]
	s_delay_alu instid0(VALU_DEP_4) | instskip(SKIP_2) | instid1(VALU_DEP_4)
	v_min3_f32 v218, v8, v9, v218
	v_cvt_f32_f64_e32 v8, v[126:127]
	v_cvt_f32_f64_e32 v9, v[64:65]
	v_min3_f32 v229, v10, v11, v229
	v_cvt_f32_f64_e32 v10, v[249:250]
	v_cvt_f32_f64_e32 v11, v[247:248]
	s_delay_alu instid0(VALU_DEP_4) | instskip(SKIP_2) | instid1(VALU_DEP_4)
	;; [unrolled: 7-line block ×3, first 2 shown]
	v_min3_f32 v221, v8, v9, v221
	v_cvt_f32_f64_e32 v8, v[76:77]
	v_cvt_f32_f64_e32 v9, v[74:75]
	v_min3_f32 v87, v10, v11, v87
	s_delay_alu instid0(VALU_DEP_2) | instskip(SKIP_2) | instid1(VALU_DEP_1)
	v_min3_f32 v253, v8, v9, v253
	v_cvt_f32_f64_e32 v8, v[80:81]
	v_cvt_f32_f64_e32 v9, v[78:79]
	v_min3_f32 v233, v8, v9, v233
	v_cvt_f32_f64_e32 v8, v[132:133]
	v_cvt_f32_f64_e32 v9, v[130:131]
	s_delay_alu instid0(VALU_DEP_1) | instskip(SKIP_2) | instid1(VALU_DEP_1)
	v_min3_f32 v255, v8, v9, v255
	v_cvt_f32_f64_e32 v8, v[136:137]
	v_cvt_f32_f64_e32 v9, v[134:135]
	v_min3_f32 v228, v8, v9, v228
	v_cvt_f32_f64_e32 v8, v[90:91]
	scratch_load_b32 v91, off, off offset:316 ; 4-byte Folded Reload
	v_cvt_f32_f64_e32 v9, v[88:89]
	s_delay_alu instid0(VALU_DEP_1) | instskip(SKIP_2) | instid1(VALU_DEP_1)
	v_min3_f32 v223, v8, v9, v223
	v_cvt_f32_f64_e32 v8, v[94:95]
	v_cvt_f32_f64_e32 v9, v[92:93]
	v_min3_f32 v211, v8, v9, v211
	v_cvt_f32_f64_e32 v8, v[98:99]
	v_cvt_f32_f64_e32 v9, v[96:97]
	s_delay_alu instid0(VALU_DEP_1) | instskip(SKIP_2) | instid1(VALU_DEP_1)
	v_min3_f32 v213, v8, v9, v213
	v_cvt_f32_f64_e32 v8, v[140:141]
	v_cvt_f32_f64_e32 v9, v[138:139]
	v_min3_f32 v212, v8, v9, v212
	v_cvt_f32_f64_e32 v8, v[114:115]
	v_cvt_f32_f64_e32 v9, v[112:113]
	s_delay_alu instid0(VALU_DEP_1) | instskip(SKIP_2) | instid1(VALU_DEP_1)
	v_min3_f32 v210, v8, v9, v210
	v_cvt_f32_f64_e32 v8, v[197:198]
	v_cvt_f32_f64_e32 v9, v[199:200]
	v_min3_f32 v209, v8, v9, v209
	s_cbranch_vccz .LBB114_35
; %bb.36:                               ;   in Loop: Header=BB114_26 Depth=1
	scratch_load_b32 v0, off, off offset:320 ; 4-byte Folded Reload
	v_dual_mov_b32 v90, v106 :: v_dual_mov_b32 v79, v33
	v_dual_mov_b32 v78, v67 :: v_dual_mov_b32 v77, v66
	;; [unrolled: 1-line block ×3, first 2 shown]
	v_mov_b32_e32 v86, v227
	v_mov_b32_e32 v72, v231
	;; [unrolled: 1-line block ×3, first 2 shown]
	s_waitcnt vmcnt(0)
	v_or_b32_e32 v2, 4, v0
	s_delay_alu instid0(VALU_DEP_1)
	v_min_i32_e32 v0, s26, v2
	v_cmp_le_i32_e32 vcc_lo, s10, v2
	s_clause 0x1
	scratch_load_b64 v[2:3], off, off offset:328
	scratch_load_b64 v[4:5], off, off offset:336
	v_ashrrev_i32_e32 v1, 31, v0
	s_or_b32 s30, s2, vcc_lo
	s_delay_alu instid0(VALU_DEP_1)
	v_lshlrev_b64 v[0:1], 3, v[0:1]
	s_waitcnt vmcnt(0)
	ds_store_2addr_stride64_b64 v159, v[2:3], v[4:5] offset1:4
	s_clause 0x2
	scratch_load_b32 v2, off, off offset:368
	scratch_load_b64 v[3:4], off, off offset:344
	scratch_load_b64 v[5:6], off, off offset:352
	s_waitcnt vmcnt(0)
	ds_store_2addr_stride64_b64 v2, v[3:4], v[5:6] offset1:4
	v_add_co_u32 v2, s6, s24, v0
	v_cndmask_b32_e64 v5, 0, 0x7fefffff, s30
	v_add_co_ci_u32_e64 v3, s6, s25, v1, s6
	v_cndmask_b32_e64 v4, 0, -1, s30
	s_or_b32 s6, s19, s30
	s_waitcnt lgkmcnt(0)
	s_waitcnt_vscnt null, 0x0
	s_xor_b32 s6, s6, -1
	s_barrier
	buffer_gl0_inv
	s_and_saveexec_b32 s30, s6
	s_cbranch_execz .LBB114_38
; %bb.37:                               ;   in Loop: Header=BB114_26 Depth=1
	scratch_load_b64 v[4:5], off, off offset:376 ; 8-byte Folded Reload
	s_waitcnt vmcnt(0)
	v_add_co_u32 v4, s6, v2, v4
	s_delay_alu instid0(VALU_DEP_1)
	v_add_co_ci_u32_e64 v5, s6, v3, v5, s6
	flat_load_b64 v[4:5], v[4:5]
	s_waitcnt vmcnt(0) lgkmcnt(0)
	v_mul_f64 v[4:5], s[20:21], v[4:5]
.LBB114_38:                             ;   in Loop: Header=BB114_26 Depth=1
	s_or_b32 exec_lo, exec_lo, s30
	s_or_b32 s6, s3, vcc_lo
	scratch_store_b64 off, v[4:5], off offset:300 ; 8-byte Folded Spill
	v_cndmask_b32_e64 v5, 0, 0x7fefffff, s6
	v_cndmask_b32_e64 v4, 0, -1, s6
	s_or_b32 s6, s19, s6
	s_delay_alu instid0(SALU_CYCLE_1) | instskip(SKIP_4) | instid1(SALU_CYCLE_1)
	s_xor_b32 s6, s6, -1
	s_mov_b32 s30, exec_lo
	v_dual_mov_b32 v73, v225 :: v_dual_mov_b32 v174, v110
	v_dual_mov_b32 v99, v108 :: v_dual_mov_b32 v172, v25
	s_and_b32 s6, s30, s6
	s_mov_b32 exec_lo, s6
	s_cbranch_execz .LBB114_40
; %bb.39:                               ;   in Loop: Header=BB114_26 Depth=1
	scratch_load_b64 v[4:5], off, off offset:384 ; 8-byte Folded Reload
	s_waitcnt vmcnt(0)
	v_add_co_u32 v2, s6, v2, v4
	s_delay_alu instid0(VALU_DEP_1)
	v_add_co_ci_u32_e64 v3, s6, v3, v5, s6
	flat_load_b64 v[2:3], v[2:3]
	s_waitcnt vmcnt(0) lgkmcnt(0)
	v_mul_f64 v[4:5], s[20:21], v[2:3]
.LBB114_40:                             ;   in Loop: Header=BB114_26 Depth=1
	s_or_b32 exec_lo, exec_lo, s30
	v_add_co_u32 v0, s6, s22, v0
	s_delay_alu instid0(VALU_DEP_1) | instskip(SKIP_1) | instid1(SALU_CYCLE_1)
	v_add_co_ci_u32_e64 v1, s6, s23, v1, s6
	s_or_b32 s6, s4, vcc_lo
	v_cndmask_b32_e64 v3, 0, 0x7fefffff, s6
	v_cndmask_b32_e64 v2, 0, -1, s6
	s_or_b32 s6, s19, s6
	s_delay_alu instid0(SALU_CYCLE_1) | instskip(NEXT) | instid1(SALU_CYCLE_1)
	s_xor_b32 s6, s6, -1
	s_and_saveexec_b32 s30, s6
	s_cbranch_execz .LBB114_42
; %bb.41:                               ;   in Loop: Header=BB114_26 Depth=1
	scratch_load_b64 v[2:3], off, off offset:392 ; 8-byte Folded Reload
	s_waitcnt vmcnt(0)
	v_add_co_u32 v2, s6, v0, v2
	s_delay_alu instid0(VALU_DEP_1)
	v_add_co_ci_u32_e64 v3, s6, v1, v3, s6
	flat_load_b64 v[2:3], v[2:3]
	s_waitcnt vmcnt(0) lgkmcnt(0)
	v_mul_f64 v[2:3], s[20:21], v[2:3]
.LBB114_42:                             ;   in Loop: Header=BB114_26 Depth=1
	s_or_b32 exec_lo, exec_lo, s30
	s_or_b32 s6, s5, vcc_lo
	s_clause 0x1
	scratch_store_b64 off, v[2:3], off offset:320
	scratch_store_b64 off, v[4:5], off offset:308
	v_dual_mov_b32 v227, v13 :: v_dual_mov_b32 v62, v218
	v_dual_mov_b32 v45, v111 :: v_dual_mov_b32 v222, v221
	v_cndmask_b32_e64 v3, 0, 0x7fefffff, s6
	v_cndmask_b32_e64 v2, 0, -1, s6
	s_or_b32 s6, s19, s6
	s_delay_alu instid0(SALU_CYCLE_1) | instskip(NEXT) | instid1(SALU_CYCLE_1)
	s_xor_b32 s30, s6, -1
	s_and_saveexec_b32 s6, s30
	s_cbranch_execz .LBB114_44
; %bb.43:                               ;   in Loop: Header=BB114_26 Depth=1
	scratch_load_b64 v[2:3], off, off offset:400 ; 8-byte Folded Reload
	s_waitcnt vmcnt(0)
	v_add_co_u32 v0, vcc_lo, v0, v2
	v_add_co_ci_u32_e32 v1, vcc_lo, v1, v3, vcc_lo
	flat_load_b64 v[0:1], v[0:1]
	s_waitcnt vmcnt(0) lgkmcnt(0)
	v_mul_f64 v[2:3], s[20:21], v[0:1]
.LBB114_44:                             ;   in Loop: Header=BB114_26 Depth=1
	s_or_b32 exec_lo, exec_lo, s6
	v_dual_mov_b32 v252, v222 :: v_dual_mov_b32 v63, v227
	v_dual_mov_b32 v66, v219 :: v_dual_mov_b32 v67, v158
	;; [unrolled: 1-line block ×3, first 2 shown]
	v_mov_b32_e32 v76, v55
	v_dual_mov_b32 v80, v34 :: v_dual_mov_b32 v81, v35
	v_mov_b32_e32 v88, v104
	v_mov_b32_e32 v106, v109
	s_mov_b32 s30, 0
	s_mov_b32 s6, -1
	scratch_store_b64 off, v[2:3], off offset:328 ; 8-byte Folded Spill
.LBB114_45:                             ;   Parent Loop BB114_26 Depth=1
                                        ; =>  This Inner Loop Header: Depth=2
	s_lshl_b32 s30, s30, 3
	v_dual_mov_b32 v89, v83 :: v_dual_mov_b32 v24, v105
	s_waitcnt vmcnt(0)
	v_lshl_add_u32 v187, v16, 5, s30
	v_lshl_add_u32 v8, v91, 5, s30
	v_dual_mov_b32 v42, v99 :: v_dual_mov_b32 v231, v228
	ds_load_b128 v[36:39], v187 offset:8192
	ds_load_b128 v[0:3], v8
	ds_load_b128 v[4:7], v8 offset:1024
	ds_load_b128 v[50:53], v187 offset:8448
	v_mov_b32_e32 v55, v208
	s_mov_b32 s30, 2
	s_and_not1_b32 vcc_lo, exec_lo, s6
	s_mov_b32 s6, 0
	v_mov_b32_e32 v204, v209
	s_waitcnt lgkmcnt(2)
	v_add_f64 v[96:97], v[2:3], v[38:39]
	s_waitcnt lgkmcnt(1)
	v_add_f64 v[9:10], v[6:7], v[38:39]
	v_add_f64 v[98:99], v[0:1], v[36:37]
	s_delay_alu instid0(VALU_DEP_3)
	v_cvt_f32_f64_e32 v96, v[96:97]
	scratch_store_b64 off, v[9:10], off offset:4 ; 8-byte Folded Spill
	v_add_f64 v[9:10], v[4:5], v[36:37]
	v_cvt_f32_f64_e32 v15, v[98:99]
	v_mov_b32_e32 v99, v42
	scratch_store_b64 off, v[9:10], off offset:28 ; 8-byte Folded Spill
	ds_load_b128 v[188:191], v8 offset:2048
	ds_load_b128 v[192:195], v8 offset:3072
	;; [unrolled: 1-line block ×4, first 2 shown]
	v_min3_f32 v181, v15, v96, v181
	s_waitcnt lgkmcnt(3)
	v_add_f64 v[8:9], v[190:191], v[38:39]
	scratch_store_b64 off, v[8:9], off offset:20 ; 8-byte Folded Spill
	v_add_f64 v[8:9], v[188:189], v[36:37]
	scratch_store_b64 off, v[8:9], off offset:44 ; 8-byte Folded Spill
	s_waitcnt lgkmcnt(2)
	v_add_f64 v[8:9], v[194:195], v[38:39]
	scratch_store_b64 off, v[8:9], off offset:12 ; 8-byte Folded Spill
	v_add_f64 v[8:9], v[192:193], v[36:37]
	v_mov_b32_e32 v37, v206
	v_mov_b32_e32 v49, v207
	scratch_store_b64 off, v[8:9], off offset:36 ; 8-byte Folded Spill
	v_add_f64 v[8:9], v[2:3], v[52:53]
	scratch_store_b64 off, v[8:9], off offset:52 ; 8-byte Folded Spill
	v_add_f64 v[8:9], v[0:1], v[50:51]
	scratch_store_b64 off, v[8:9], off offset:60 ; 8-byte Folded Spill
	v_add_f64 v[8:9], v[6:7], v[52:53]
	scratch_store_b64 off, v[8:9], off offset:68 ; 8-byte Folded Spill
	v_add_f64 v[8:9], v[4:5], v[50:51]
	scratch_store_b64 off, v[8:9], off offset:76 ; 8-byte Folded Spill
	v_add_f64 v[8:9], v[190:191], v[52:53]
	scratch_store_b64 off, v[8:9], off offset:84 ; 8-byte Folded Spill
	v_add_f64 v[8:9], v[188:189], v[50:51]
	scratch_store_b64 off, v[8:9], off offset:92 ; 8-byte Folded Spill
	v_add_f64 v[8:9], v[194:195], v[52:53]
	scratch_store_b64 off, v[8:9], off offset:100 ; 8-byte Folded Spill
	v_add_f64 v[8:9], v[192:193], v[50:51]
	scratch_store_b64 off, v[8:9], off offset:108 ; 8-byte Folded Spill
	s_waitcnt lgkmcnt(1)
	v_add_f64 v[8:9], v[2:3], v[70:71]
	scratch_store_b64 off, v[8:9], off offset:148 ; 8-byte Folded Spill
	v_add_f64 v[8:9], v[0:1], v[68:69]
	scratch_store_b64 off, v[8:9], off offset:172 ; 8-byte Folded Spill
	;; [unrolled: 2-line block ×8, first 2 shown]
	s_waitcnt lgkmcnt(0)
	v_add_f64 v[8:9], v[2:3], v[84:85]
	scratch_store_b64 off, v[8:9], off offset:180 ; 8-byte Folded Spill
	v_add_f64 v[8:9], v[0:1], v[82:83]
	scratch_store_b64 off, v[8:9], off offset:188 ; 8-byte Folded Spill
	;; [unrolled: 2-line block ×8, first 2 shown]
	ds_load_b128 v[100:103], v187 offset:9216
	ds_load_b128 v[196:199], v187 offset:9472
	s_waitcnt lgkmcnt(1)
	v_add_f64 v[8:9], v[2:3], v[102:103]
	v_add_f64 v[82:83], v[0:1], v[100:101]
	s_waitcnt lgkmcnt(0)
	v_add_f64 v[104:105], v[6:7], v[198:199]
	v_add_f64 v[84:85], v[4:5], v[196:197]
	;; [unrolled: 1-line block ×6, first 2 shown]
	scratch_store_b64 off, v[8:9], off offset:276 ; 8-byte Folded Spill
	v_add_f64 v[8:9], v[6:7], v[102:103]
	scratch_store_b64 off, v[8:9], off offset:260 ; 8-byte Folded Spill
	v_add_f64 v[8:9], v[4:5], v[100:101]
	;; [unrolled: 2-line block ×5, first 2 shown]
	v_add_f64 v[102:103], v[0:1], v[196:197]
	scratch_store_b64 off, v[8:9], off offset:244 ; 8-byte Folded Spill
	v_add_f64 v[8:9], v[192:193], v[100:101]
	v_add_f64 v[100:101], v[2:3], v[198:199]
	scratch_store_b64 off, v[8:9], off offset:268 ; 8-byte Folded Spill
	ds_load_b128 v[196:199], v187 offset:9728
	ds_load_b128 v[200:203], v187 offset:9984
	s_waitcnt lgkmcnt(1)
	v_add_f64 v[112:113], v[2:3], v[198:199]
	v_add_f64 v[114:115], v[0:1], v[196:197]
	v_add_f64 v[116:117], v[6:7], v[198:199]
	v_add_f64 v[118:119], v[4:5], v[196:197]
	v_add_f64 v[120:121], v[190:191], v[198:199]
	v_add_f64 v[122:123], v[188:189], v[196:197]
	v_add_f64 v[124:125], v[194:195], v[198:199]
	v_add_f64 v[126:127], v[192:193], v[196:197]
	s_waitcnt lgkmcnt(0)
	v_add_f64 v[128:129], v[2:3], v[202:203]
	v_add_f64 v[130:131], v[0:1], v[200:201]
	v_add_f64 v[132:133], v[6:7], v[202:203]
	v_add_f64 v[134:135], v[4:5], v[200:201]
	v_add_f64 v[136:137], v[190:191], v[202:203]
	v_add_f64 v[138:139], v[188:189], v[200:201]
	v_add_f64 v[140:141], v[194:195], v[202:203]
	v_add_f64 v[70:71], v[192:193], v[200:201]
	ds_load_b128 v[196:199], v187 offset:10240
	ds_load_b128 v[200:203], v187 offset:10496
	s_waitcnt lgkmcnt(1)
	v_add_f64 v[184:185], v[2:3], v[198:199]
	v_add_f64 v[27:28], v[0:1], v[196:197]
	v_add_f64 v[58:59], v[6:7], v[198:199]
	v_add_f64 v[47:48], v[4:5], v[196:197]
	v_add_f64 v[60:61], v[190:191], v[198:199]
	v_add_f64 v[53:54], v[188:189], v[196:197]
	v_add_f64 v[68:69], v[194:195], v[198:199]
	v_add_f64 v[56:57], v[192:193], v[196:197]
	s_waitcnt lgkmcnt(0)
	v_add_f64 v[43:44], v[2:3], v[202:203]
	v_add_f64 v[51:52], v[0:1], v[200:201]
	v_add_f64 v[40:41], v[6:7], v[202:203]
	v_add_f64 v[13:14], v[4:5], v[200:201]
	v_add_f64 v[38:39], v[190:191], v[202:203]
	v_add_f64 v[35:36], v[188:189], v[200:201]
	v_add_f64 v[33:34], v[194:195], v[202:203]
	v_add_f64 v[30:31], v[192:193], v[200:201]
	;; [unrolled: 20-line block ×4, first 2 shown]
	ds_load_b128 v[196:199], v187 offset:11776
	ds_load_b128 v[200:203], v187 offset:12032
	scratch_load_b64 v[96:97], off, off offset:28 ; 8-byte Folded Reload
	v_cvt_f32_f64_e32 v8, v[8:9]
	s_waitcnt lgkmcnt(1)
	v_add_f64 v[186:187], v[2:3], v[198:199]
	v_add_f64 v[218:219], v[0:1], v[196:197]
	s_waitcnt lgkmcnt(0)
	v_add_f64 v[2:3], v[2:3], v[202:203]
	v_cvt_f32_f64_e32 v9, v[142:143]
	v_add_f64 v[0:1], v[0:1], v[200:201]
	v_add_f64 v[160:161], v[6:7], v[198:199]
	;; [unrolled: 1-line block ×13, first 2 shown]
	v_cvt_f32_f64_e32 v0, v[0:1]
	v_cvt_f32_f64_e32 v1, v[2:3]
	s_waitcnt vmcnt(0)
	v_cvt_f32_f64_e32 v15, v[96:97]
	scratch_load_b64 v[96:97], off, off offset:4 ; 8-byte Folded Reload
	s_waitcnt vmcnt(0)
	v_cvt_f32_f64_e32 v96, v[96:97]
	s_delay_alu instid0(VALU_DEP_1)
	v_min3_f32 v180, v15, v96, v180
	scratch_load_b64 v[96:97], off, off offset:44 ; 8-byte Folded Reload
	s_waitcnt vmcnt(0)
	v_cvt_f32_f64_e32 v15, v[96:97]
	scratch_load_b64 v[96:97], off, off offset:20 ; 8-byte Folded Reload
	s_waitcnt vmcnt(0)
	v_cvt_f32_f64_e32 v96, v[96:97]
	s_delay_alu instid0(VALU_DEP_1)
	v_min3_f32 v179, v15, v96, v179
	scratch_load_b64 v[96:97], off, off offset:36 ; 8-byte Folded Reload
	;; [unrolled: 8-line block ×6, first 2 shown]
	s_waitcnt vmcnt(0)
	v_cvt_f32_f64_e32 v15, v[96:97]
	scratch_load_b64 v[96:97], off, off offset:100 ; 8-byte Folded Reload
	s_waitcnt vmcnt(0)
	v_cvt_f32_f64_e32 v50, v[96:97]
	scratch_load_b64 v[96:97], off, off offset:172 ; 8-byte Folded Reload
	v_min3_f32 v173, v15, v50, v173
	s_waitcnt vmcnt(0)
	v_cvt_f32_f64_e32 v15, v[96:97]
	scratch_load_b64 v[96:97], off, off offset:148 ; 8-byte Folded Reload
	s_waitcnt vmcnt(0)
	v_cvt_f32_f64_e32 v46, v[96:97]
	scratch_load_b64 v[96:97], off, off offset:164 ; 8-byte Folded Reload
	v_min3_f32 v171, v15, v46, v171
	;; [unrolled: 7-line block ×9, first 2 shown]
	v_cvt_f32_f64_e32 v15, v[82:83]
	scratch_load_b64 v[82:83], off, off offset:276 ; 8-byte Folded Reload
	s_waitcnt vmcnt(0)
	v_cvt_f32_f64_e32 v42, v[82:83]
	scratch_load_b64 v[82:83], off, off offset:292 ; 8-byte Folded Reload
	v_min3_f32 v220, v15, v42, v220
	v_cvt_f32_f64_e32 v42, v[96:97]
	scratch_load_b64 v[96:97], off, off offset:284 ; 8-byte Folded Reload
	s_waitcnt vmcnt(1)
	v_cvt_f32_f64_e32 v15, v[82:83]
	v_mov_b32_e32 v83, v89
	s_delay_alu instid0(VALU_DEP_2)
	v_min3_f32 v12, v15, v42, v12
	s_waitcnt vmcnt(0)
	v_cvt_f32_f64_e32 v15, v[96:97]
	scratch_load_b64 v[96:97], off, off offset:252 ; 8-byte Folded Reload
	s_waitcnt vmcnt(0)
	v_cvt_f32_f64_e32 v42, v[96:97]
	scratch_load_b64 v[96:97], off, off offset:268 ; 8-byte Folded Reload
	v_min3_f32 v172, v15, v42, v172
	s_waitcnt vmcnt(0)
	v_cvt_f32_f64_e32 v15, v[96:97]
	scratch_load_b64 v[96:97], off, off offset:244 ; 8-byte Folded Reload
	s_waitcnt vmcnt(0)
	v_cvt_f32_f64_e32 v42, v[96:97]
	s_delay_alu instid0(VALU_DEP_1) | instskip(SKIP_2) | instid1(VALU_DEP_1)
	v_min3_f32 v174, v15, v42, v174
	v_cvt_f32_f64_e32 v15, v[102:103]
	v_cvt_f32_f64_e32 v42, v[100:101]
	v_min3_f32 v83, v15, v42, v83
	v_cvt_f32_f64_e32 v15, v[84:85]
	v_cvt_f32_f64_e32 v42, v[104:105]
	v_mov_b32_e32 v105, v24
	v_cvt_f32_f64_e32 v24, v[43:44]
	s_delay_alu instid0(VALU_DEP_3) | instskip(SKIP_2) | instid1(VALU_DEP_1)
	v_min3_f32 v106, v15, v42, v106
	v_cvt_f32_f64_e32 v15, v[110:111]
	v_cvt_f32_f64_e32 v42, v[108:109]
	v_min3_f32 v99, v15, v42, v99
	v_cvt_f32_f64_e32 v15, v[94:95]
	v_cvt_f32_f64_e32 v42, v[92:93]
	s_delay_alu instid0(VALU_DEP_1) | instskip(SKIP_2) | instid1(VALU_DEP_1)
	v_min3_f32 v107, v15, v42, v107
	v_cvt_f32_f64_e32 v15, v[114:115]
	v_cvt_f32_f64_e32 v42, v[112:113]
	v_min3_f32 v90, v15, v42, v90
	v_cvt_f32_f64_e32 v15, v[118:119]
	v_cvt_f32_f64_e32 v42, v[116:117]
	s_delay_alu instid0(VALU_DEP_1) | instskip(SKIP_2) | instid1(VALU_DEP_1)
	;; [unrolled: 7-line block ×6, first 2 shown]
	v_min3_f32 v75, v15, v28, v75
	v_cvt_f32_f64_e32 v15, v[53:54]
	v_cvt_f32_f64_e32 v28, v[60:61]
	v_min3_f32 v74, v15, v28, v74
	v_cvt_f32_f64_e32 v15, v[56:57]
	v_cvt_f32_f64_e32 v28, v[68:69]
	s_delay_alu instid0(VALU_DEP_1) | instskip(SKIP_1) | instid1(VALU_DEP_1)
	v_min3_f32 v87, v15, v28, v87
	v_cvt_f32_f64_e32 v15, v[51:52]
	v_min3_f32 v86, v15, v24, v86
	v_cvt_f32_f64_e32 v15, v[13:14]
	v_cvt_f32_f64_e32 v13, v[40:41]
	;; [unrolled: 1-line block ×3, first 2 shown]
	s_delay_alu instid0(VALU_DEP_2) | instskip(SKIP_1) | instid1(VALU_DEP_1)
	v_min3_f32 v73, v15, v13, v73
	v_cvt_f32_f64_e32 v13, v[35:36]
	v_min3_f32 v72, v13, v14, v72
	v_cvt_f32_f64_e32 v13, v[30:31]
	v_cvt_f32_f64_e32 v14, v[33:34]
	s_delay_alu instid0(VALU_DEP_1) | instskip(SKIP_2) | instid1(VALU_DEP_1)
	v_min3_f32 v32, v13, v14, v32
	v_cvt_f32_f64_e32 v13, v[236:237]
	v_cvt_f32_f64_e32 v14, v[234:235]
	v_min3_f32 v29, v13, v14, v29
	v_cvt_f32_f64_e32 v13, v[240:241]
	v_cvt_f32_f64_e32 v14, v[238:239]
	s_delay_alu instid0(VALU_DEP_1) | instskip(SKIP_2) | instid1(VALU_DEP_1)
	v_min3_f32 v65, v13, v14, v65
	v_cvt_f32_f64_e32 v13, v[244:245]
	;; [unrolled: 7-line block ×3, first 2 shown]
	v_cvt_f32_f64_e32 v14, v[250:251]
	v_min3_f32 v67, v13, v14, v67
	v_cvt_f32_f64_e32 v13, v[18:19]
	v_cvt_f32_f64_e32 v14, v[16:17]
	scratch_load_b32 v16, off, off          ; 4-byte Folded Reload
	v_min3_f32 v66, v13, v14, v66
	v_cvt_f32_f64_e32 v13, v[22:23]
	v_cvt_f32_f64_e32 v14, v[20:21]
	s_delay_alu instid0(VALU_DEP_1) | instskip(SKIP_1) | instid1(VALU_DEP_1)
	v_min3_f32 v63, v13, v14, v63
	v_cvt_f32_f64_e32 v13, v[166:167]
	v_min3_f32 v62, v13, v8, v62
	v_cvt_f32_f64_e32 v8, v[144:145]
	s_delay_alu instid0(VALU_DEP_1) | instskip(SKIP_2) | instid1(VALU_DEP_1)
	v_min3_f32 v45, v8, v9, v45
	v_cvt_f32_f64_e32 v8, v[148:149]
	v_cvt_f32_f64_e32 v9, v[146:147]
	v_min3_f32 v252, v8, v9, v252
	v_cvt_f32_f64_e32 v8, v[152:153]
	v_cvt_f32_f64_e32 v9, v[150:151]
	s_delay_alu instid0(VALU_DEP_1) | instskip(SKIP_2) | instid1(VALU_DEP_1)
	v_min3_f32 v253, v8, v9, v253
	v_cvt_f32_f64_e32 v8, v[156:157]
	v_cvt_f32_f64_e32 v9, v[154:155]
	v_min3_f32 v233, v8, v9, v233
	v_cvt_f32_f64_e32 v8, v[214:215]
	v_cvt_f32_f64_e32 v9, v[158:159]
	s_delay_alu instid0(VALU_DEP_1)
	v_min3_f32 v255, v8, v9, v255
	v_cvt_f32_f64_e32 v8, v[206:207]
	v_cvt_f32_f64_e32 v9, v[228:229]
	v_mov_b32_e32 v228, v231
	v_mov_b32_e32 v206, v37
	;; [unrolled: 1-line block ×3, first 2 shown]
	s_delay_alu instid0(VALU_DEP_3) | instskip(SKIP_2) | instid1(VALU_DEP_1)
	v_min3_f32 v228, v8, v9, v228
	v_cvt_f32_f64_e32 v8, v[225:226]
	v_cvt_f32_f64_e32 v9, v[216:217]
	v_min3_f32 v223, v8, v9, v223
	v_cvt_f32_f64_e32 v8, v[164:165]
	v_cvt_f32_f64_e32 v9, v[208:209]
	v_dual_mov_b32 v208, v55 :: v_dual_mov_b32 v209, v204
	s_delay_alu instid0(VALU_DEP_1)
	v_min3_f32 v208, v0, v1, v208
	v_cvt_f32_f64_e32 v0, v[4:5]
	v_cvt_f32_f64_e32 v1, v[6:7]
	v_min3_f32 v211, v8, v9, v211
	v_cvt_f32_f64_e32 v8, v[218:219]
	v_cvt_f32_f64_e32 v9, v[186:187]
	s_delay_alu instid0(VALU_DEP_4) | instskip(SKIP_2) | instid1(VALU_DEP_4)
	v_min3_f32 v207, v0, v1, v207
	v_cvt_f32_f64_e32 v0, v[188:189]
	v_cvt_f32_f64_e32 v1, v[190:191]
	v_min3_f32 v213, v8, v9, v213
	v_cvt_f32_f64_e32 v8, v[162:163]
	v_cvt_f32_f64_e32 v9, v[160:161]
	s_delay_alu instid0(VALU_DEP_4) | instskip(SKIP_2) | instid1(VALU_DEP_4)
	v_min3_f32 v206, v0, v1, v206
	v_cvt_f32_f64_e32 v0, v[192:193]
	v_cvt_f32_f64_e32 v1, v[194:195]
	v_min3_f32 v212, v8, v9, v212
	v_cvt_f32_f64_e32 v8, v[221:222]
	v_cvt_f32_f64_e32 v9, v[10:11]
	s_delay_alu instid0(VALU_DEP_4) | instskip(NEXT) | instid1(VALU_DEP_2)
	v_min3_f32 v205, v0, v1, v205
	v_min3_f32 v210, v8, v9, v210
	v_cvt_f32_f64_e32 v8, v[196:197]
	v_cvt_f32_f64_e32 v9, v[198:199]
	s_delay_alu instid0(VALU_DEP_1)
	v_min3_f32 v209, v8, v9, v209
	s_cbranch_vccz .LBB114_45
; %bb.46:                               ;   in Loop: Header=BB114_26 Depth=1
	s_clause 0x2
	scratch_load_b32 v0, off, off offset:372
	scratch_load_b64 v[1:2], off, off offset:300
	scratch_load_b64 v[3:4], off, off offset:308
	v_dual_mov_b32 v34, v80 :: v_dual_mov_b32 v151, v65
	v_dual_mov_b32 v55, v76 :: v_dual_mov_b32 v218, v62
	v_mov_b32_e32 v219, v66
	v_mov_b32_e32 v221, v252
	;; [unrolled: 1-line block ×3, first 2 shown]
	s_add_i32 s29, s29, 8
	s_add_i32 s27, s27, 8
	s_cmp_ge_i32 s29, s28
	s_waitcnt vmcnt(0)
	ds_store_2addr_stride64_b64 v0, v[1:2], v[3:4] offset1:4
	s_clause 0x2
	scratch_load_b32 v0, off, off offset:408
	scratch_load_b64 v[1:2], off, off offset:320
	scratch_load_b64 v[3:4], off, off offset:328
	s_waitcnt vmcnt(0)
	ds_store_2addr_stride64_b64 v0, v[1:2], v[3:4] offset1:4
	s_waitcnt lgkmcnt(0)
	s_waitcnt_vscnt null, 0x0
	s_barrier
	buffer_gl0_inv
	s_cbranch_scc1 .LBB114_49
; %bb.47:                               ;   in Loop: Header=BB114_26 Depth=1
	scratch_load_b32 v159, off, off offset:360 ; 4-byte Folded Reload
	v_dual_mov_b32 v13, v63 :: v_dual_mov_b32 v156, v86
	v_dual_mov_b32 v158, v67 :: v_dual_mov_b32 v165, v81
	v_mov_b32_e32 v86, v74
	v_mov_b32_e32 v166, v88
	s_branch .LBB114_26
.LBB114_48:
	v_mov_b32_e32 v227, v222
	v_mov_b32_e32 v58, v226
	s_branch .LBB114_50
.LBB114_49:
	v_dual_mov_b32 v227, v63 :: v_dual_mov_b32 v156, v86
	v_dual_mov_b32 v58, v67 :: v_dual_mov_b32 v165, v81
	v_mov_b32_e32 v166, v88
.LBB114_50:
	s_delay_alu instid0(VALU_DEP_1) | instskip(NEXT) | instid1(VALU_DEP_3)
	v_dual_mov_b32 v63, v111 :: v_dual_mov_b32 v70, v166
	v_dual_mov_b32 v24, v165 :: v_dual_mov_b32 v11, v64
	;; [unrolled: 1-line block ×3, first 2 shown]
	v_mov_b32_e32 v152, v29
	v_dual_mov_b32 v42, v74 :: v_dual_mov_b32 v71, v105
	v_mov_b32_e32 v74, v55
	v_mov_b32_e32 v76, v78
	;; [unrolled: 1-line block ×5, first 2 shown]
	s_mov_b32 s3, 0
	s_mov_b32 s2, -1
.LBB114_51:                             ; =>This Inner Loop Header: Depth=1
	s_lshl_b32 s3, s3, 3
	v_dual_mov_b32 v226, v182 :: v_dual_mov_b32 v225, v156
	s_waitcnt vmcnt(1)
	v_lshl_add_u32 v100, v16, 5, s3
	s_waitcnt vmcnt(0)
	v_lshl_add_u32 v8, v91, 5, s3
	v_mov_b32_e32 v163, v205
	v_dual_mov_b32 v229, v219 :: v_dual_mov_b32 v114, v221
	ds_load_b128 v[20:23], v100 offset:12288
	ds_load_b128 v[0:3], v8 offset:4096
	;; [unrolled: 1-line block ×4, first 2 shown]
	v_mov_b32_e32 v91, v218
	s_mov_b32 s3, 2
	s_and_not1_b32 vcc_lo, exec_lo, s2
	s_mov_b32 s2, 0
	s_waitcnt lgkmcnt(2)
	v_add_f64 v[115:116], v[2:3], v[22:23]
	s_waitcnt lgkmcnt(1)
	v_add_f64 v[9:10], v[6:7], v[22:23]
	v_add_f64 v[117:118], v[0:1], v[20:21]
	scratch_store_b64 off, v[9:10], off offset:4 ; 8-byte Folded Spill
	v_add_f64 v[9:10], v[4:5], v[20:21]
	scratch_store_b64 off, v[9:10], off offset:28 ; 8-byte Folded Spill
	ds_load_b128 v[101:104], v8 offset:6144
	ds_load_b128 v[105:108], v8 offset:7168
	v_mov_b32_e32 v10, v42
	s_waitcnt lgkmcnt(1)
	v_add_f64 v[8:9], v[103:104], v[22:23]
	scratch_store_b64 off, v[8:9], off offset:20 ; 8-byte Folded Spill
	v_add_f64 v[8:9], v[101:102], v[20:21]
	scratch_store_b64 off, v[8:9], off offset:44 ; 8-byte Folded Spill
	s_waitcnt lgkmcnt(0)
	v_add_f64 v[8:9], v[107:108], v[22:23]
	scratch_store_b64 off, v[8:9], off offset:12 ; 8-byte Folded Spill
	v_add_f64 v[8:9], v[105:106], v[20:21]
	scratch_store_b64 off, v[8:9], off offset:36 ; 8-byte Folded Spill
	;; [unrolled: 2-line block ×8, first 2 shown]
	v_add_f64 v[8:9], v[107:108], v[36:37]
	v_cvt_f32_f64_e32 v37, v[117:118]
	scratch_store_b64 off, v[8:9], off offset:100 ; 8-byte Folded Spill
	v_add_f64 v[8:9], v[105:106], v[34:35]
	scratch_store_b64 off, v[8:9], off offset:108 ; 8-byte Folded Spill
	ds_load_b128 v[52:55], v100 offset:12800
	ds_load_b128 v[66:69], v100 offset:13056
	s_waitcnt lgkmcnt(1)
	v_add_f64 v[8:9], v[2:3], v[54:55]
	scratch_store_b64 off, v[8:9], off offset:148 ; 8-byte Folded Spill
	v_add_f64 v[8:9], v[0:1], v[52:53]
	scratch_store_b64 off, v[8:9], off offset:172 ; 8-byte Folded Spill
	;; [unrolled: 2-line block ×8, first 2 shown]
	s_waitcnt lgkmcnt(0)
	v_add_f64 v[8:9], v[2:3], v[68:69]
	scratch_store_b64 off, v[8:9], off offset:180 ; 8-byte Folded Spill
	v_add_f64 v[8:9], v[0:1], v[66:67]
	scratch_store_b64 off, v[8:9], off offset:188 ; 8-byte Folded Spill
	v_add_f64 v[8:9], v[6:7], v[68:69]
	scratch_store_b64 off, v[8:9], off offset:196 ; 8-byte Folded Spill
	v_add_f64 v[8:9], v[4:5], v[66:67]
	scratch_store_b64 off, v[8:9], off offset:204 ; 8-byte Folded Spill
	v_add_f64 v[8:9], v[103:104], v[68:69]
	scratch_store_b64 off, v[8:9], off offset:212 ; 8-byte Folded Spill
	v_add_f64 v[8:9], v[101:102], v[66:67]
	scratch_store_b64 off, v[8:9], off offset:220 ; 8-byte Folded Spill
	v_add_f64 v[8:9], v[107:108], v[68:69]
	scratch_store_b64 off, v[8:9], off offset:228 ; 8-byte Folded Spill
	v_add_f64 v[8:9], v[105:106], v[66:67]
	scratch_store_b64 off, v[8:9], off offset:236 ; 8-byte Folded Spill
	v_mov_b32_e32 v9, v87
	ds_load_b128 v[84:87], v100 offset:13312
	ds_load_b128 v[109:112], v100 offset:13568
	v_mov_b32_e32 v8, v58
	s_waitcnt lgkmcnt(1)
	v_add_f64 v[13:14], v[2:3], v[86:87]
	s_waitcnt lgkmcnt(0)
	v_add_f64 v[80:81], v[6:7], v[111:112]
	v_add_f64 v[88:89], v[4:5], v[109:110]
	;; [unrolled: 1-line block ×6, first 2 shown]
	scratch_store_b64 off, v[13:14], off offset:276 ; 8-byte Folded Spill
	v_add_f64 v[13:14], v[0:1], v[84:85]
	scratch_store_b64 off, v[13:14], off offset:300 ; 8-byte Folded Spill
	v_add_f64 v[13:14], v[6:7], v[86:87]
	;; [unrolled: 2-line block ×6, first 2 shown]
	v_add_f64 v[86:87], v[0:1], v[109:110]
	scratch_store_b64 off, v[13:14], off offset:244 ; 8-byte Folded Spill
	v_add_f64 v[13:14], v[105:106], v[84:85]
	v_add_f64 v[84:85], v[2:3], v[111:112]
	scratch_store_b64 off, v[13:14], off offset:268 ; 8-byte Folded Spill
	ds_load_b128 v[109:112], v100 offset:13824
	ds_load_b128 v[182:185], v100 offset:14080
	s_waitcnt lgkmcnt(1)
	v_add_f64 v[119:120], v[2:3], v[111:112]
	v_add_f64 v[121:122], v[0:1], v[109:110]
	v_add_f64 v[123:124], v[6:7], v[111:112]
	v_add_f64 v[125:126], v[4:5], v[109:110]
	v_add_f64 v[127:128], v[103:104], v[111:112]
	v_add_f64 v[129:130], v[101:102], v[109:110]
	v_add_f64 v[131:132], v[107:108], v[111:112]
	v_add_f64 v[133:134], v[105:106], v[109:110]
	s_waitcnt lgkmcnt(0)
	v_add_f64 v[135:136], v[2:3], v[184:185]
	v_add_f64 v[137:138], v[0:1], v[182:183]
	v_add_f64 v[139:140], v[6:7], v[184:185]
	v_add_f64 v[141:142], v[4:5], v[182:183]
	v_add_f64 v[143:144], v[103:104], v[184:185]
	v_add_f64 v[145:146], v[101:102], v[182:183]
	v_add_f64 v[147:148], v[107:108], v[184:185]
	v_add_f64 v[149:150], v[105:106], v[182:183]
	ds_load_b128 v[109:112], v100 offset:14336
	ds_load_b128 v[182:185], v100 offset:14592
	s_waitcnt lgkmcnt(1)
	v_add_f64 v[66:67], v[2:3], v[111:112]
	v_add_f64 v[153:154], v[0:1], v[109:110]
	v_add_f64 v[155:156], v[6:7], v[111:112]
	v_add_f64 v[157:158], v[4:5], v[109:110]
	v_add_f64 v[159:160], v[103:104], v[111:112]
	v_add_f64 v[161:162], v[101:102], v[109:110]
	v_add_f64 v[186:187], v[107:108], v[111:112]
	v_add_f64 v[188:189], v[105:106], v[109:110]
	s_waitcnt lgkmcnt(0)
	v_add_f64 v[190:191], v[2:3], v[184:185]
	v_add_f64 v[192:193], v[0:1], v[182:183]
	v_add_f64 v[194:195], v[6:7], v[184:185]
	v_add_f64 v[196:197], v[4:5], v[182:183]
	v_add_f64 v[198:199], v[103:104], v[184:185]
	v_add_f64 v[200:201], v[101:102], v[182:183]
	v_add_f64 v[202:203], v[107:108], v[184:185]
	v_add_f64 v[204:205], v[105:106], v[182:183]
	;; [unrolled: 20-line block ×4, first 2 shown]
	ds_load_b128 v[109:112], v100 offset:15872
	ds_load_b128 v[182:185], v100 offset:16128
	s_waitcnt lgkmcnt(1)
	v_add_f64 v[19:20], v[101:102], v[109:110]
	s_waitcnt lgkmcnt(0)
	v_add_f64 v[100:101], v[101:102], v[182:183]
	v_cvt_f32_f64_e32 v102, v[115:116]
	scratch_load_b64 v[115:116], off, off offset:4 ; 8-byte Folded Reload
	v_add_f64 v[13:14], v[0:1], v[109:110]
	v_add_f64 v[15:16], v[4:5], v[109:110]
	;; [unrolled: 1-line block ×6, first 2 shown]
	v_mov_b32_e32 v182, v226
	v_add_f64 v[17:18], v[2:3], v[111:112]
	v_add_f64 v[2:3], v[2:3], v[184:185]
	;; [unrolled: 1-line block ×8, first 2 shown]
	v_cvt_f32_f64_e32 v33, v[33:34]
	v_cvt_f32_f64_e32 v34, v[46:47]
	;; [unrolled: 1-line block ×8, first 2 shown]
	v_min3_f32 v181, v37, v102, v181
	scratch_load_b64 v[37:38], off, off offset:28 ; 8-byte Folded Reload
	v_cvt_f32_f64_e32 v0, v[0:1]
	v_cvt_f32_f64_e32 v1, v[2:3]
	v_min3_f32 v255, v33, v34, v255
	v_min3_f32 v228, v29, v30, v228
	;; [unrolled: 1-line block ×5, first 2 shown]
	v_cvt_f32_f64_e32 v0, v[4:5]
	v_cvt_f32_f64_e32 v1, v[6:7]
	s_delay_alu instid0(VALU_DEP_1) | instskip(SKIP_2) | instid1(VALU_DEP_1)
	v_min3_f32 v207, v0, v1, v207
	v_cvt_f32_f64_e32 v0, v[100:101]
	v_cvt_f32_f64_e32 v1, v[103:104]
	v_min3_f32 v206, v0, v1, v206
	v_cvt_f32_f64_e32 v0, v[105:106]
	v_cvt_f32_f64_e32 v1, v[107:108]
	s_waitcnt vmcnt(1)
	v_cvt_f32_f64_e32 v102, v[115:116]
	scratch_load_b64 v[115:116], off, off offset:20 ; 8-byte Folded Reload
	s_waitcnt vmcnt(1)
	v_cvt_f32_f64_e32 v37, v[37:38]
	s_delay_alu instid0(VALU_DEP_1)
	v_min3_f32 v180, v37, v102, v180
	scratch_load_b64 v[37:38], off, off offset:44 ; 8-byte Folded Reload
	s_waitcnt vmcnt(1)
	v_cvt_f32_f64_e32 v102, v[115:116]
	scratch_load_b64 v[115:116], off, off offset:12 ; 8-byte Folded Reload
	s_waitcnt vmcnt(1)
	v_cvt_f32_f64_e32 v37, v[37:38]
	s_delay_alu instid0(VALU_DEP_1)
	v_min3_f32 v179, v37, v102, v179
	scratch_load_b64 v[37:38], off, off offset:36 ; 8-byte Folded Reload
	;; [unrolled: 8-line block ×9, first 2 shown]
	v_mov_b32_e32 v42, v10
	s_waitcnt vmcnt(0)
	v_cvt_f32_f64_e32 v37, v[37:38]
	v_cvt_f32_f64_e32 v38, v[115:116]
	scratch_load_b64 v[115:116], off, off offset:116 ; 8-byte Folded Reload
	v_min3_f32 v169, v37, v38, v169
	scratch_load_b64 v[37:38], off, off offset:140 ; 8-byte Folded Reload
	s_waitcnt vmcnt(0)
	v_cvt_f32_f64_e32 v37, v[37:38]
	v_cvt_f32_f64_e32 v38, v[115:116]
	scratch_load_b64 v[115:116], off, off offset:180 ; 8-byte Folded Reload
	v_min3_f32 v168, v37, v38, v168
	scratch_load_b64 v[37:38], off, off offset:188 ; 8-byte Folded Reload
	;; [unrolled: 6-line block ×9, first 2 shown]
	s_waitcnt vmcnt(0)
	v_cvt_f32_f64_e32 v37, v[37:38]
	v_cvt_f32_f64_e32 v38, v[115:116]
	s_delay_alu instid0(VALU_DEP_1) | instskip(SKIP_4) | instid1(VALU_DEP_3)
	v_min3_f32 v174, v37, v38, v174
	v_cvt_f32_f64_e32 v37, v[86:87]
	v_cvt_f32_f64_e32 v38, v[84:85]
	v_mov_b32_e32 v87, v9
	v_cvt_f32_f64_e32 v9, v[17:18]
	v_min3_f32 v83, v37, v38, v83
	v_cvt_f32_f64_e32 v37, v[88:89]
	v_cvt_f32_f64_e32 v38, v[80:81]
	s_delay_alu instid0(VALU_DEP_1) | instskip(SKIP_2) | instid1(VALU_DEP_1)
	v_min3_f32 v82, v37, v38, v82
	v_cvt_f32_f64_e32 v37, v[92:93]
	v_cvt_f32_f64_e32 v38, v[68:69]
	v_min3_f32 v99, v37, v38, v99
	v_cvt_f32_f64_e32 v37, v[96:97]
	v_cvt_f32_f64_e32 v38, v[94:95]
	s_delay_alu instid0(VALU_DEP_1) | instskip(SKIP_2) | instid1(VALU_DEP_1)
	v_min3_f32 v98, v37, v38, v98
	v_cvt_f32_f64_e32 v37, v[121:122]
	;; [unrolled: 7-line block ×6, first 2 shown]
	v_cvt_f32_f64_e32 v38, v[66:67]
	v_min3_f32 v74, v37, v38, v74
	v_cvt_f32_f64_e32 v37, v[157:158]
	v_cvt_f32_f64_e32 v38, v[155:156]
	v_mov_b32_e32 v156, v225
	s_delay_alu instid0(VALU_DEP_2) | instskip(SKIP_2) | instid1(VALU_DEP_1)
	v_min3_f32 v75, v37, v38, v75
	v_cvt_f32_f64_e32 v37, v[161:162]
	v_cvt_f32_f64_e32 v38, v[159:160]
	v_min3_f32 v42, v37, v38, v42
	v_cvt_f32_f64_e32 v37, v[188:189]
	v_cvt_f32_f64_e32 v38, v[186:187]
	s_delay_alu instid0(VALU_DEP_1) | instskip(SKIP_2) | instid1(VALU_DEP_1)
	v_min3_f32 v87, v37, v38, v87
	v_cvt_f32_f64_e32 v37, v[192:193]
	v_cvt_f32_f64_e32 v38, v[190:191]
	v_min3_f32 v156, v37, v38, v156
	v_cvt_f32_f64_e32 v37, v[196:197]
	v_cvt_f32_f64_e32 v38, v[194:195]
	s_delay_alu instid0(VALU_DEP_1) | instskip(SKIP_2) | instid1(VALU_DEP_1)
	v_min3_f32 v73, v37, v38, v73
	v_cvt_f32_f64_e32 v37, v[200:201]
	v_cvt_f32_f64_e32 v38, v[198:199]
	v_min3_f32 v72, v37, v38, v72
	v_cvt_f32_f64_e32 v37, v[204:205]
	v_cvt_f32_f64_e32 v38, v[202:203]
	v_mov_b32_e32 v205, v163
	s_delay_alu instid0(VALU_DEP_1) | instskip(NEXT) | instid1(VALU_DEP_3)
	v_min3_f32 v205, v0, v1, v205
	v_min3_f32 v62, v37, v38, v62
	v_cvt_f32_f64_e32 v37, v[56:57]
	v_cvt_f32_f64_e32 v38, v[60:61]
	s_delay_alu instid0(VALU_DEP_1) | instskip(SKIP_4) | instid1(VALU_DEP_3)
	v_min3_f32 v152, v37, v38, v152
	v_cvt_f32_f64_e32 v37, v[58:59]
	v_cvt_f32_f64_e32 v38, v[64:65]
	v_mov_b32_e32 v58, v8
	v_cvt_f32_f64_e32 v8, v[13:14]
	v_min3_f32 v151, v37, v38, v151
	v_cvt_f32_f64_e32 v37, v[216:217]
	v_cvt_f32_f64_e32 v38, v[214:215]
	s_delay_alu instid0(VALU_DEP_4)
	v_min3_f32 v213, v8, v9, v213
	v_cvt_f32_f64_e32 v8, v[15:16]
	scratch_load_b32 v16, off, off          ; 4-byte Folded Reload
	v_cvt_f32_f64_e32 v9, v[27:28]
	v_min3_f32 v182, v37, v38, v182
	v_cvt_f32_f64_e32 v37, v[221:222]
	v_mov_b32_e32 v221, v114
	v_cvt_f32_f64_e32 v38, v[218:219]
	v_dual_mov_b32 v219, v229 :: v_dual_mov_b32 v218, v91
	scratch_load_b32 v91, off, off offset:316 ; 4-byte Folded Reload
	v_min3_f32 v212, v8, v9, v212
	v_cvt_f32_f64_e32 v8, v[19:20]
	v_cvt_f32_f64_e32 v9, v[31:32]
	v_min3_f32 v11, v37, v38, v11
	v_cvt_f32_f64_e32 v37, v[54:55]
	v_cvt_f32_f64_e32 v38, v[164:165]
	s_delay_alu instid0(VALU_DEP_4) | instskip(SKIP_2) | instid1(VALU_DEP_4)
	v_min3_f32 v210, v8, v9, v210
	v_cvt_f32_f64_e32 v8, v[109:110]
	v_cvt_f32_f64_e32 v9, v[111:112]
	v_min3_f32 v58, v37, v38, v58
	v_cvt_f32_f64_e32 v37, v[50:51]
	v_cvt_f32_f64_e32 v38, v[52:53]
	s_delay_alu instid0(VALU_DEP_4) | instskip(NEXT) | instid1(VALU_DEP_2)
	v_min3_f32 v209, v8, v9, v209
	v_min3_f32 v219, v37, v38, v219
	v_cvt_f32_f64_e32 v37, v[234:235]
	v_cvt_f32_f64_e32 v38, v[166:167]
	s_delay_alu instid0(VALU_DEP_1) | instskip(SKIP_2) | instid1(VALU_DEP_1)
	v_min3_f32 v227, v37, v38, v227
	v_cvt_f32_f64_e32 v37, v[238:239]
	v_cvt_f32_f64_e32 v38, v[236:237]
	v_min3_f32 v218, v37, v38, v218
	v_cvt_f32_f64_e32 v37, v[242:243]
	v_cvt_f32_f64_e32 v38, v[240:241]
	s_delay_alu instid0(VALU_DEP_1) | instskip(SKIP_2) | instid1(VALU_DEP_1)
	v_min3_f32 v63, v37, v38, v63
	v_cvt_f32_f64_e32 v37, v[246:247]
	v_cvt_f32_f64_e32 v38, v[244:245]
	;; [unrolled: 7-line block ×3, first 2 shown]
	v_min3_f32 v233, v37, v38, v233
	s_cbranch_vccz .LBB114_51
; %bb.52:
	s_clause 0x2
	s_load_b32 s6, s[0:1], 0x58
	s_load_b32 s5, s[0:1], 0x70
	s_load_b64 s[2:3], s[0:1], 0x78
	s_waitcnt vmcnt(1)
	v_add_nc_u32_e32 v17, s11, v16
	s_waitcnt vmcnt(0)
	v_add_nc_u32_e32 v0, s7, v91
	v_cndmask_b32_e64 v16, 0, 1, s18
	s_delay_alu instid0(VALU_DEP_3) | instskip(NEXT) | instid1(VALU_DEP_3)
	v_cmp_gt_i32_e64 s4, s9, v17
	v_cmp_gt_i32_e64 s0, s8, v0
	v_ashrrev_i32_e32 v1, 31, v0
	s_waitcnt lgkmcnt(0)
	v_mad_i64_i32 v[2:3], null, v17, s6, 0
	v_mad_i64_i32 v[4:5], null, v17, s5, 0
	s_lshl_b64 s[2:3], s[2:3], 3
	s_delay_alu instid0(SALU_CYCLE_1) | instskip(SKIP_1) | instid1(VALU_DEP_2)
	s_add_u32 s7, s14, s2
	s_addc_u32 s10, s15, s3
	v_lshlrev_b64 v[2:3], 3, v[2:3]
	s_and_b32 s2, s0, s4
	s_delay_alu instid0(VALU_DEP_2) | instskip(NEXT) | instid1(VALU_DEP_2)
	v_lshlrev_b64 v[4:5], 3, v[4:5]
	v_add_co_u32 v8, vcc_lo, s16, v2
	s_delay_alu instid0(VALU_DEP_3) | instskip(NEXT) | instid1(VALU_DEP_3)
	v_add_co_ci_u32_e32 v9, vcc_lo, s17, v3, vcc_lo
	v_add_co_u32 v10, vcc_lo, s7, v4
	s_delay_alu instid0(VALU_DEP_4) | instskip(SKIP_4) | instid1(SALU_CYCLE_1)
	v_add_co_ci_u32_e32 v13, vcc_lo, s10, v5, vcc_lo
	s_mov_b32 s1, exec_lo
	v_mov_b32_e32 v22, v152
	v_mov_b32_e32 v26, v71
	s_and_b32 s2, s1, s2
	s_mov_b32 exec_lo, s2
	s_cbranch_execz .LBB114_57
; %bb.53:
	s_and_not1_b32 vcc_lo, exec_lo, s18
	s_cbranch_vccnz .LBB114_55
; %bb.54:
	v_lshlrev_b64 v[2:3], 3, v[0:1]
	s_delay_alu instid0(VALU_DEP_1) | instskip(NEXT) | instid1(VALU_DEP_2)
	v_add_co_u32 v2, vcc_lo, v8, v2
	v_add_co_ci_u32_e32 v3, vcc_lo, v9, v3, vcc_lo
	flat_load_b64 v[2:3], v[2:3]
	s_waitcnt vmcnt(0) lgkmcnt(0)
	v_mul_f64 v[2:3], s[12:13], v[2:3]
	s_branch .LBB114_56
.LBB114_55:
	v_mov_b32_e32 v2, 0
	v_mov_b32_e32 v3, 0
.LBB114_56:
	s_delay_alu instid0(VALU_DEP_1) | instskip(SKIP_2) | instid1(VALU_DEP_1)
	v_cvt_f32_f64_e32 v2, v[2:3]
	v_max_f32_e32 v3, v181, v181
	v_lshlrev_b64 v[4:5], 3, v[0:1]
	v_add_co_u32 v4, vcc_lo, v10, v4
	s_delay_alu instid0(VALU_DEP_2) | instskip(NEXT) | instid1(VALU_DEP_4)
	v_add_co_ci_u32_e32 v5, vcc_lo, v13, v5, vcc_lo
	v_min_f32_e32 v2, v2, v3
	s_delay_alu instid0(VALU_DEP_1)
	v_cvt_f64_f32_e32 v[2:3], v2
	global_store_b64 v[4:5], v[2:3], off
.LBB114_57:
	s_or_b32 exec_lo, exec_lo, s1
	v_add_nc_u32_e32 v2, 32, v0
	s_delay_alu instid0(VALU_DEP_1) | instskip(SKIP_1) | instid1(VALU_DEP_2)
	v_cmp_gt_i32_e64 s1, s8, v2
	v_ashrrev_i32_e32 v3, 31, v2
	s_and_b32 s3, s1, s4
	s_delay_alu instid0(SALU_CYCLE_1)
	s_and_saveexec_b32 s2, s3
	s_cbranch_execz .LBB114_62
; %bb.58:
	v_cmp_ne_u32_e32 vcc_lo, 1, v16
	s_cbranch_vccnz .LBB114_60
; %bb.59:
	v_lshlrev_b64 v[4:5], 3, v[2:3]
	s_delay_alu instid0(VALU_DEP_1) | instskip(NEXT) | instid1(VALU_DEP_2)
	v_add_co_u32 v4, vcc_lo, v8, v4
	v_add_co_ci_u32_e32 v5, vcc_lo, v9, v5, vcc_lo
	flat_load_b64 v[4:5], v[4:5]
	s_waitcnt vmcnt(0) lgkmcnt(0)
	v_mul_f64 v[4:5], s[12:13], v[4:5]
	s_branch .LBB114_61
.LBB114_60:
	v_mov_b32_e32 v4, 0
	v_mov_b32_e32 v5, 0
.LBB114_61:
	s_delay_alu instid0(VALU_DEP_1) | instskip(SKIP_2) | instid1(VALU_DEP_1)
	v_cvt_f32_f64_e32 v4, v[4:5]
	v_max_f32_e32 v5, v180, v180
	v_lshlrev_b64 v[6:7], 3, v[2:3]
	v_add_co_u32 v6, vcc_lo, v10, v6
	s_delay_alu instid0(VALU_DEP_2) | instskip(NEXT) | instid1(VALU_DEP_4)
	v_add_co_ci_u32_e32 v7, vcc_lo, v13, v7, vcc_lo
	v_min_f32_e32 v4, v4, v5
	s_delay_alu instid0(VALU_DEP_1)
	v_cvt_f64_f32_e32 v[4:5], v4
	global_store_b64 v[6:7], v[4:5], off
.LBB114_62:
	s_or_b32 exec_lo, exec_lo, s2
	v_add_nc_u32_e32 v4, 64, v0
	s_delay_alu instid0(VALU_DEP_1) | instskip(SKIP_1) | instid1(VALU_DEP_2)
	v_cmp_gt_i32_e64 s2, s8, v4
	v_ashrrev_i32_e32 v5, 31, v4
	s_and_b32 s11, s2, s4
	s_delay_alu instid0(SALU_CYCLE_1)
	s_and_saveexec_b32 s3, s11
	s_cbranch_execz .LBB114_67
; %bb.63:
	v_cmp_ne_u32_e32 vcc_lo, 1, v16
	s_cbranch_vccnz .LBB114_65
; %bb.64:
	v_lshlrev_b64 v[6:7], 3, v[4:5]
	s_delay_alu instid0(VALU_DEP_1) | instskip(NEXT) | instid1(VALU_DEP_2)
	v_add_co_u32 v6, vcc_lo, v8, v6
	v_add_co_ci_u32_e32 v7, vcc_lo, v9, v7, vcc_lo
	flat_load_b64 v[6:7], v[6:7]
	s_waitcnt vmcnt(0) lgkmcnt(0)
	v_mul_f64 v[6:7], s[12:13], v[6:7]
	s_branch .LBB114_66
.LBB114_65:
	v_mov_b32_e32 v6, 0
	v_mov_b32_e32 v7, 0
.LBB114_66:
	s_delay_alu instid0(VALU_DEP_1) | instskip(SKIP_2) | instid1(VALU_DEP_1)
	v_cvt_f32_f64_e32 v6, v[6:7]
	v_max_f32_e32 v7, v179, v179
	v_lshlrev_b64 v[14:15], 3, v[4:5]
	v_add_co_u32 v14, vcc_lo, v10, v14
	s_delay_alu instid0(VALU_DEP_2) | instskip(NEXT) | instid1(VALU_DEP_4)
	v_add_co_ci_u32_e32 v15, vcc_lo, v13, v15, vcc_lo
	v_min_f32_e32 v6, v6, v7
	s_delay_alu instid0(VALU_DEP_1)
	v_cvt_f64_f32_e32 v[6:7], v6
	global_store_b64 v[14:15], v[6:7], off
.LBB114_67:
	s_or_b32 exec_lo, exec_lo, s3
	v_add_nc_u32_e32 v6, 0x60, v0
	s_delay_alu instid0(VALU_DEP_1) | instskip(SKIP_1) | instid1(VALU_DEP_2)
	v_cmp_gt_i32_e64 s3, s8, v6
	v_ashrrev_i32_e32 v7, 31, v6
	s_and_b32 s8, s3, s4
	s_delay_alu instid0(SALU_CYCLE_1)
	s_and_saveexec_b32 s4, s8
	s_cbranch_execz .LBB114_72
; %bb.68:
	v_cmp_ne_u32_e32 vcc_lo, 1, v16
	v_mov_b32_e32 v18, v11
	s_cbranch_vccnz .LBB114_70
; %bb.69:
	v_lshlrev_b64 v[14:15], 3, v[6:7]
	s_delay_alu instid0(VALU_DEP_1) | instskip(NEXT) | instid1(VALU_DEP_2)
	v_add_co_u32 v8, vcc_lo, v8, v14
	v_add_co_ci_u32_e32 v9, vcc_lo, v9, v15, vcc_lo
	flat_load_b64 v[8:9], v[8:9]
	s_waitcnt vmcnt(0) lgkmcnt(0)
	v_mul_f64 v[8:9], s[12:13], v[8:9]
	s_branch .LBB114_71
.LBB114_70:
	v_mov_b32_e32 v8, 0
	v_mov_b32_e32 v9, 0
.LBB114_71:
	s_delay_alu instid0(VALU_DEP_1) | instskip(SKIP_2) | instid1(VALU_DEP_1)
	v_cvt_f32_f64_e32 v8, v[8:9]
	v_max_f32_e32 v9, v178, v178
	v_lshlrev_b64 v[14:15], 3, v[6:7]
	v_add_co_u32 v10, vcc_lo, v10, v14
	s_delay_alu instid0(VALU_DEP_2) | instskip(NEXT) | instid1(VALU_DEP_4)
	v_add_co_ci_u32_e32 v11, vcc_lo, v13, v15, vcc_lo
	v_min_f32_e32 v8, v8, v9
	s_delay_alu instid0(VALU_DEP_1)
	v_cvt_f64_f32_e32 v[8:9], v8
	global_store_b64 v[10:11], v[8:9], off
	v_mov_b32_e32 v11, v18
.LBB114_72:
	s_or_b32 exec_lo, exec_lo, s4
	v_add_nc_u32_e32 v13, 8, v17
	s_delay_alu instid0(VALU_DEP_2) | instskip(NEXT) | instid1(VALU_DEP_2)
	v_mov_b32_e32 v21, v11
	v_mad_i64_i32 v[8:9], null, v13, s6, 0
	v_mad_i64_i32 v[10:11], null, v13, s5, 0
	v_cmp_gt_i32_e64 s4, s9, v13
	s_delay_alu instid0(VALU_DEP_3) | instskip(NEXT) | instid1(VALU_DEP_2)
	v_lshlrev_b64 v[8:9], 3, v[8:9]
	s_and_b32 s11, s0, s4
	s_delay_alu instid0(VALU_DEP_3) | instskip(NEXT) | instid1(VALU_DEP_2)
	v_lshlrev_b64 v[10:11], 3, v[10:11]
	v_add_co_u32 v14, vcc_lo, s16, v8
	s_delay_alu instid0(VALU_DEP_3) | instskip(NEXT) | instid1(VALU_DEP_3)
	v_add_co_ci_u32_e32 v15, vcc_lo, s17, v9, vcc_lo
	v_add_co_u32 v10, vcc_lo, s7, v10
	s_delay_alu instid0(VALU_DEP_4)
	v_add_co_ci_u32_e32 v13, vcc_lo, s10, v11, vcc_lo
	s_and_saveexec_b32 s8, s11
	s_cbranch_execnz .LBB114_76
; %bb.73:
	s_or_b32 exec_lo, exec_lo, s8
	s_and_b32 s11, s1, s4
	s_delay_alu instid0(SALU_CYCLE_1)
	s_and_saveexec_b32 s8, s11
	s_cbranch_execnz .LBB114_80
.LBB114_74:
	s_or_b32 exec_lo, exec_lo, s8
	s_and_b32 s11, s2, s4
	s_delay_alu instid0(SALU_CYCLE_1)
	s_and_saveexec_b32 s8, s11
	s_cbranch_execnz .LBB114_84
.LBB114_75:
	s_or_b32 exec_lo, exec_lo, s8
	s_and_b32 s8, s3, s4
	s_delay_alu instid0(SALU_CYCLE_1)
	s_and_saveexec_b32 s4, s8
	s_cbranch_execnz .LBB114_88
	s_branch .LBB114_92
.LBB114_76:
	v_cmp_ne_u32_e32 vcc_lo, 1, v16
	s_cbranch_vccnz .LBB114_78
; %bb.77:
	v_lshlrev_b64 v[8:9], 3, v[0:1]
	s_delay_alu instid0(VALU_DEP_1) | instskip(NEXT) | instid1(VALU_DEP_2)
	v_add_co_u32 v8, vcc_lo, v14, v8
	v_add_co_ci_u32_e32 v9, vcc_lo, v15, v9, vcc_lo
	flat_load_b64 v[8:9], v[8:9]
	s_waitcnt vmcnt(0) lgkmcnt(0)
	v_mul_f64 v[8:9], s[12:13], v[8:9]
	s_branch .LBB114_79
.LBB114_78:
	v_mov_b32_e32 v8, 0
	v_mov_b32_e32 v9, 0
.LBB114_79:
	s_delay_alu instid0(VALU_DEP_1) | instskip(SKIP_2) | instid1(VALU_DEP_1)
	v_cvt_f32_f64_e32 v8, v[8:9]
	v_max_f32_e32 v9, v177, v177
	v_lshlrev_b64 v[18:19], 3, v[0:1]
	v_add_co_u32 v18, vcc_lo, v10, v18
	s_delay_alu instid0(VALU_DEP_2) | instskip(NEXT) | instid1(VALU_DEP_4)
	v_add_co_ci_u32_e32 v19, vcc_lo, v13, v19, vcc_lo
	v_min_f32_e32 v8, v8, v9
	s_delay_alu instid0(VALU_DEP_1) | instskip(SKIP_3) | instid1(SALU_CYCLE_1)
	v_cvt_f64_f32_e32 v[8:9], v8
	global_store_b64 v[18:19], v[8:9], off
	s_or_b32 exec_lo, exec_lo, s8
	s_and_b32 s11, s1, s4
	s_and_saveexec_b32 s8, s11
	s_cbranch_execz .LBB114_74
.LBB114_80:
	v_cmp_ne_u32_e32 vcc_lo, 1, v16
	s_cbranch_vccnz .LBB114_82
; %bb.81:
	v_lshlrev_b64 v[8:9], 3, v[2:3]
	s_delay_alu instid0(VALU_DEP_1) | instskip(NEXT) | instid1(VALU_DEP_2)
	v_add_co_u32 v8, vcc_lo, v14, v8
	v_add_co_ci_u32_e32 v9, vcc_lo, v15, v9, vcc_lo
	flat_load_b64 v[8:9], v[8:9]
	s_waitcnt vmcnt(0) lgkmcnt(0)
	v_mul_f64 v[8:9], s[12:13], v[8:9]
	s_branch .LBB114_83
.LBB114_82:
	v_mov_b32_e32 v8, 0
	v_mov_b32_e32 v9, 0
.LBB114_83:
	s_delay_alu instid0(VALU_DEP_1) | instskip(SKIP_2) | instid1(VALU_DEP_1)
	v_cvt_f32_f64_e32 v8, v[8:9]
	v_max_f32_e32 v9, v176, v176
	v_lshlrev_b64 v[18:19], 3, v[2:3]
	v_add_co_u32 v18, vcc_lo, v10, v18
	s_delay_alu instid0(VALU_DEP_2) | instskip(NEXT) | instid1(VALU_DEP_4)
	v_add_co_ci_u32_e32 v19, vcc_lo, v13, v19, vcc_lo
	v_min_f32_e32 v8, v8, v9
	s_delay_alu instid0(VALU_DEP_1) | instskip(SKIP_3) | instid1(SALU_CYCLE_1)
	v_cvt_f64_f32_e32 v[8:9], v8
	global_store_b64 v[18:19], v[8:9], off
	s_or_b32 exec_lo, exec_lo, s8
	s_and_b32 s11, s2, s4
	s_and_saveexec_b32 s8, s11
	s_cbranch_execz .LBB114_75
.LBB114_84:
	v_cmp_ne_u32_e32 vcc_lo, 1, v16
	s_cbranch_vccnz .LBB114_86
; %bb.85:
	v_lshlrev_b64 v[8:9], 3, v[4:5]
	s_delay_alu instid0(VALU_DEP_1) | instskip(NEXT) | instid1(VALU_DEP_2)
	v_add_co_u32 v8, vcc_lo, v14, v8
	v_add_co_ci_u32_e32 v9, vcc_lo, v15, v9, vcc_lo
	flat_load_b64 v[8:9], v[8:9]
	s_waitcnt vmcnt(0) lgkmcnt(0)
	v_mul_f64 v[8:9], s[12:13], v[8:9]
	s_branch .LBB114_87
.LBB114_86:
	v_mov_b32_e32 v8, 0
	v_mov_b32_e32 v9, 0
.LBB114_87:
	s_delay_alu instid0(VALU_DEP_1) | instskip(SKIP_2) | instid1(VALU_DEP_1)
	v_cvt_f32_f64_e32 v8, v[8:9]
	v_max_f32_e32 v9, v175, v175
	v_lshlrev_b64 v[18:19], 3, v[4:5]
	v_add_co_u32 v18, vcc_lo, v10, v18
	s_delay_alu instid0(VALU_DEP_2) | instskip(NEXT) | instid1(VALU_DEP_4)
	v_add_co_ci_u32_e32 v19, vcc_lo, v13, v19, vcc_lo
	v_min_f32_e32 v8, v8, v9
	s_delay_alu instid0(VALU_DEP_1) | instskip(SKIP_3) | instid1(SALU_CYCLE_1)
	v_cvt_f64_f32_e32 v[8:9], v8
	global_store_b64 v[18:19], v[8:9], off
	s_or_b32 exec_lo, exec_lo, s8
	s_and_b32 s8, s3, s4
	s_and_saveexec_b32 s4, s8
	s_cbranch_execz .LBB114_92
.LBB114_88:
	v_cmp_ne_u32_e32 vcc_lo, 1, v16
	s_cbranch_vccnz .LBB114_90
; %bb.89:
	v_lshlrev_b64 v[8:9], 3, v[6:7]
	s_delay_alu instid0(VALU_DEP_1) | instskip(NEXT) | instid1(VALU_DEP_2)
	v_add_co_u32 v8, vcc_lo, v14, v8
	v_add_co_ci_u32_e32 v9, vcc_lo, v15, v9, vcc_lo
	flat_load_b64 v[8:9], v[8:9]
	s_waitcnt vmcnt(0) lgkmcnt(0)
	v_mul_f64 v[8:9], s[12:13], v[8:9]
	s_branch .LBB114_91
.LBB114_90:
	v_mov_b32_e32 v8, 0
	v_mov_b32_e32 v9, 0
.LBB114_91:
	s_delay_alu instid0(VALU_DEP_1) | instskip(SKIP_2) | instid1(VALU_DEP_1)
	v_cvt_f32_f64_e32 v8, v[8:9]
	v_max_f32_e32 v9, v173, v173
	v_lshlrev_b64 v[14:15], 3, v[6:7]
	v_add_co_u32 v10, vcc_lo, v10, v14
	s_delay_alu instid0(VALU_DEP_2) | instskip(NEXT) | instid1(VALU_DEP_4)
	v_add_co_ci_u32_e32 v11, vcc_lo, v13, v15, vcc_lo
	v_min_f32_e32 v8, v8, v9
	s_delay_alu instid0(VALU_DEP_1)
	v_cvt_f64_f32_e32 v[8:9], v8
	global_store_b64 v[10:11], v[8:9], off
.LBB114_92:
	s_or_b32 exec_lo, exec_lo, s4
	v_add_nc_u32_e32 v13, 16, v17
	s_delay_alu instid0(VALU_DEP_1) | instskip(SKIP_2) | instid1(VALU_DEP_3)
	v_mad_i64_i32 v[8:9], null, v13, s6, 0
	v_mad_i64_i32 v[10:11], null, v13, s5, 0
	v_cmp_gt_i32_e64 s4, s9, v13
	v_lshlrev_b64 v[8:9], 3, v[8:9]
	s_delay_alu instid0(VALU_DEP_2) | instskip(NEXT) | instid1(VALU_DEP_3)
	s_and_b32 s11, s0, s4
	v_lshlrev_b64 v[10:11], 3, v[10:11]
	s_delay_alu instid0(VALU_DEP_2) | instskip(NEXT) | instid1(VALU_DEP_3)
	v_add_co_u32 v14, vcc_lo, s16, v8
	v_add_co_ci_u32_e32 v15, vcc_lo, s17, v9, vcc_lo
	s_delay_alu instid0(VALU_DEP_3) | instskip(NEXT) | instid1(VALU_DEP_4)
	v_add_co_u32 v10, vcc_lo, s7, v10
	v_add_co_ci_u32_e32 v13, vcc_lo, s10, v11, vcc_lo
	s_and_saveexec_b32 s8, s11
	s_cbranch_execnz .LBB114_96
; %bb.93:
	s_or_b32 exec_lo, exec_lo, s8
	s_and_b32 s11, s1, s4
	s_delay_alu instid0(SALU_CYCLE_1)
	s_and_saveexec_b32 s8, s11
	s_cbranch_execnz .LBB114_100
.LBB114_94:
	s_or_b32 exec_lo, exec_lo, s8
	s_and_b32 s11, s2, s4
	s_delay_alu instid0(SALU_CYCLE_1)
	s_and_saveexec_b32 s8, s11
	s_cbranch_execnz .LBB114_104
.LBB114_95:
	s_or_b32 exec_lo, exec_lo, s8
	s_and_b32 s8, s3, s4
	s_delay_alu instid0(SALU_CYCLE_1)
	s_and_saveexec_b32 s4, s8
	s_cbranch_execnz .LBB114_108
	s_branch .LBB114_112
.LBB114_96:
	v_cmp_ne_u32_e32 vcc_lo, 1, v16
	s_cbranch_vccnz .LBB114_98
; %bb.97:
	v_lshlrev_b64 v[8:9], 3, v[0:1]
	s_delay_alu instid0(VALU_DEP_1) | instskip(NEXT) | instid1(VALU_DEP_2)
	v_add_co_u32 v8, vcc_lo, v14, v8
	v_add_co_ci_u32_e32 v9, vcc_lo, v15, v9, vcc_lo
	flat_load_b64 v[8:9], v[8:9]
	s_waitcnt vmcnt(0) lgkmcnt(0)
	v_mul_f64 v[8:9], s[12:13], v[8:9]
	s_branch .LBB114_99
.LBB114_98:
	v_mov_b32_e32 v8, 0
	v_mov_b32_e32 v9, 0
.LBB114_99:
	s_delay_alu instid0(VALU_DEP_1) | instskip(SKIP_2) | instid1(VALU_DEP_1)
	v_cvt_f32_f64_e32 v8, v[8:9]
	v_max_f32_e32 v9, v171, v171
	v_lshlrev_b64 v[18:19], 3, v[0:1]
	v_add_co_u32 v18, vcc_lo, v10, v18
	s_delay_alu instid0(VALU_DEP_2) | instskip(NEXT) | instid1(VALU_DEP_4)
	v_add_co_ci_u32_e32 v19, vcc_lo, v13, v19, vcc_lo
	v_min_f32_e32 v8, v8, v9
	s_delay_alu instid0(VALU_DEP_1) | instskip(SKIP_3) | instid1(SALU_CYCLE_1)
	v_cvt_f64_f32_e32 v[8:9], v8
	global_store_b64 v[18:19], v[8:9], off
	s_or_b32 exec_lo, exec_lo, s8
	s_and_b32 s11, s1, s4
	s_and_saveexec_b32 s8, s11
	s_cbranch_execz .LBB114_94
.LBB114_100:
	v_cmp_ne_u32_e32 vcc_lo, 1, v16
	s_cbranch_vccnz .LBB114_102
; %bb.101:
	v_lshlrev_b64 v[8:9], 3, v[2:3]
	s_delay_alu instid0(VALU_DEP_1) | instskip(NEXT) | instid1(VALU_DEP_2)
	v_add_co_u32 v8, vcc_lo, v14, v8
	v_add_co_ci_u32_e32 v9, vcc_lo, v15, v9, vcc_lo
	flat_load_b64 v[8:9], v[8:9]
	s_waitcnt vmcnt(0) lgkmcnt(0)
	v_mul_f64 v[8:9], s[12:13], v[8:9]
	s_branch .LBB114_103
.LBB114_102:
	v_mov_b32_e32 v8, 0
	v_mov_b32_e32 v9, 0
.LBB114_103:
	s_delay_alu instid0(VALU_DEP_1) | instskip(SKIP_2) | instid1(VALU_DEP_1)
	v_cvt_f32_f64_e32 v8, v[8:9]
	v_max_f32_e32 v9, v170, v170
	v_lshlrev_b64 v[18:19], 3, v[2:3]
	v_add_co_u32 v18, vcc_lo, v10, v18
	s_delay_alu instid0(VALU_DEP_2) | instskip(NEXT) | instid1(VALU_DEP_4)
	v_add_co_ci_u32_e32 v19, vcc_lo, v13, v19, vcc_lo
	v_min_f32_e32 v8, v8, v9
	s_delay_alu instid0(VALU_DEP_1) | instskip(SKIP_3) | instid1(SALU_CYCLE_1)
	v_cvt_f64_f32_e32 v[8:9], v8
	global_store_b64 v[18:19], v[8:9], off
	s_or_b32 exec_lo, exec_lo, s8
	s_and_b32 s11, s2, s4
	s_and_saveexec_b32 s8, s11
	s_cbranch_execz .LBB114_95
.LBB114_104:
	v_cmp_ne_u32_e32 vcc_lo, 1, v16
	s_cbranch_vccnz .LBB114_106
; %bb.105:
	v_lshlrev_b64 v[8:9], 3, v[4:5]
	s_delay_alu instid0(VALU_DEP_1) | instskip(NEXT) | instid1(VALU_DEP_2)
	v_add_co_u32 v8, vcc_lo, v14, v8
	v_add_co_ci_u32_e32 v9, vcc_lo, v15, v9, vcc_lo
	flat_load_b64 v[8:9], v[8:9]
	s_waitcnt vmcnt(0) lgkmcnt(0)
	v_mul_f64 v[8:9], s[12:13], v[8:9]
	s_branch .LBB114_107
.LBB114_106:
	v_mov_b32_e32 v8, 0
	v_mov_b32_e32 v9, 0
.LBB114_107:
	s_delay_alu instid0(VALU_DEP_1) | instskip(SKIP_2) | instid1(VALU_DEP_1)
	v_cvt_f32_f64_e32 v8, v[8:9]
	v_max_f32_e32 v9, v169, v169
	v_lshlrev_b64 v[18:19], 3, v[4:5]
	v_add_co_u32 v18, vcc_lo, v10, v18
	s_delay_alu instid0(VALU_DEP_2) | instskip(NEXT) | instid1(VALU_DEP_4)
	v_add_co_ci_u32_e32 v19, vcc_lo, v13, v19, vcc_lo
	v_min_f32_e32 v8, v8, v9
	s_delay_alu instid0(VALU_DEP_1) | instskip(SKIP_3) | instid1(SALU_CYCLE_1)
	v_cvt_f64_f32_e32 v[8:9], v8
	global_store_b64 v[18:19], v[8:9], off
	s_or_b32 exec_lo, exec_lo, s8
	s_and_b32 s8, s3, s4
	s_and_saveexec_b32 s4, s8
	s_cbranch_execz .LBB114_112
.LBB114_108:
	v_cmp_ne_u32_e32 vcc_lo, 1, v16
	s_cbranch_vccnz .LBB114_110
; %bb.109:
	v_lshlrev_b64 v[8:9], 3, v[6:7]
	s_delay_alu instid0(VALU_DEP_1) | instskip(NEXT) | instid1(VALU_DEP_2)
	v_add_co_u32 v8, vcc_lo, v14, v8
	v_add_co_ci_u32_e32 v9, vcc_lo, v15, v9, vcc_lo
	flat_load_b64 v[8:9], v[8:9]
	s_waitcnt vmcnt(0) lgkmcnt(0)
	v_mul_f64 v[8:9], s[12:13], v[8:9]
	s_branch .LBB114_111
.LBB114_110:
	v_mov_b32_e32 v8, 0
	v_mov_b32_e32 v9, 0
.LBB114_111:
	s_delay_alu instid0(VALU_DEP_1) | instskip(SKIP_2) | instid1(VALU_DEP_1)
	v_cvt_f32_f64_e32 v8, v[8:9]
	v_max_f32_e32 v9, v168, v168
	v_lshlrev_b64 v[14:15], 3, v[6:7]
	v_add_co_u32 v10, vcc_lo, v10, v14
	s_delay_alu instid0(VALU_DEP_2) | instskip(NEXT) | instid1(VALU_DEP_4)
	v_add_co_ci_u32_e32 v11, vcc_lo, v13, v15, vcc_lo
	v_min_f32_e32 v8, v8, v9
	s_delay_alu instid0(VALU_DEP_1)
	v_cvt_f64_f32_e32 v[8:9], v8
	global_store_b64 v[10:11], v[8:9], off
.LBB114_112:
	s_or_b32 exec_lo, exec_lo, s4
	v_add_nc_u32_e32 v13, 24, v17
	s_delay_alu instid0(VALU_DEP_1) | instskip(SKIP_2) | instid1(VALU_DEP_3)
	v_mad_i64_i32 v[8:9], null, v13, s6, 0
	v_mad_i64_i32 v[10:11], null, v13, s5, 0
	v_cmp_gt_i32_e64 s4, s9, v13
	v_lshlrev_b64 v[8:9], 3, v[8:9]
	s_delay_alu instid0(VALU_DEP_2) | instskip(NEXT) | instid1(VALU_DEP_3)
	s_and_b32 s11, s0, s4
	v_lshlrev_b64 v[10:11], 3, v[10:11]
	s_delay_alu instid0(VALU_DEP_2) | instskip(NEXT) | instid1(VALU_DEP_3)
	v_add_co_u32 v14, vcc_lo, s16, v8
	v_add_co_ci_u32_e32 v15, vcc_lo, s17, v9, vcc_lo
	s_delay_alu instid0(VALU_DEP_3) | instskip(NEXT) | instid1(VALU_DEP_4)
	v_add_co_u32 v10, vcc_lo, s7, v10
	v_add_co_ci_u32_e32 v13, vcc_lo, s10, v11, vcc_lo
	s_and_saveexec_b32 s8, s11
	s_cbranch_execnz .LBB114_116
; %bb.113:
	s_or_b32 exec_lo, exec_lo, s8
	s_and_b32 s11, s1, s4
	s_delay_alu instid0(SALU_CYCLE_1)
	s_and_saveexec_b32 s8, s11
	s_cbranch_execnz .LBB114_120
.LBB114_114:
	s_or_b32 exec_lo, exec_lo, s8
	s_and_b32 s11, s2, s4
	s_delay_alu instid0(SALU_CYCLE_1)
	s_and_saveexec_b32 s8, s11
	s_cbranch_execnz .LBB114_124
.LBB114_115:
	s_or_b32 exec_lo, exec_lo, s8
	s_and_b32 s8, s3, s4
	s_delay_alu instid0(SALU_CYCLE_1)
	s_and_saveexec_b32 s4, s8
	s_cbranch_execnz .LBB114_128
	s_branch .LBB114_132
.LBB114_116:
	v_cmp_ne_u32_e32 vcc_lo, 1, v16
	s_cbranch_vccnz .LBB114_118
; %bb.117:
	v_lshlrev_b64 v[8:9], 3, v[0:1]
	s_delay_alu instid0(VALU_DEP_1) | instskip(NEXT) | instid1(VALU_DEP_2)
	v_add_co_u32 v8, vcc_lo, v14, v8
	v_add_co_ci_u32_e32 v9, vcc_lo, v15, v9, vcc_lo
	flat_load_b64 v[8:9], v[8:9]
	s_waitcnt vmcnt(0) lgkmcnt(0)
	v_mul_f64 v[8:9], s[12:13], v[8:9]
	s_branch .LBB114_119
.LBB114_118:
	v_mov_b32_e32 v8, 0
	v_mov_b32_e32 v9, 0
.LBB114_119:
	s_delay_alu instid0(VALU_DEP_1) | instskip(SKIP_2) | instid1(VALU_DEP_1)
	v_cvt_f32_f64_e32 v8, v[8:9]
	v_max_f32_e32 v9, v232, v232
	v_lshlrev_b64 v[18:19], 3, v[0:1]
	v_add_co_u32 v18, vcc_lo, v10, v18
	s_delay_alu instid0(VALU_DEP_2) | instskip(NEXT) | instid1(VALU_DEP_4)
	v_add_co_ci_u32_e32 v19, vcc_lo, v13, v19, vcc_lo
	v_min_f32_e32 v8, v8, v9
	s_delay_alu instid0(VALU_DEP_1) | instskip(SKIP_3) | instid1(SALU_CYCLE_1)
	v_cvt_f64_f32_e32 v[8:9], v8
	global_store_b64 v[18:19], v[8:9], off
	s_or_b32 exec_lo, exec_lo, s8
	s_and_b32 s11, s1, s4
	s_and_saveexec_b32 s8, s11
	s_cbranch_execz .LBB114_114
.LBB114_120:
	v_cmp_ne_u32_e32 vcc_lo, 1, v16
	s_cbranch_vccnz .LBB114_122
; %bb.121:
	v_lshlrev_b64 v[8:9], 3, v[2:3]
	s_delay_alu instid0(VALU_DEP_1) | instskip(NEXT) | instid1(VALU_DEP_2)
	v_add_co_u32 v8, vcc_lo, v14, v8
	v_add_co_ci_u32_e32 v9, vcc_lo, v15, v9, vcc_lo
	flat_load_b64 v[8:9], v[8:9]
	s_waitcnt vmcnt(0) lgkmcnt(0)
	v_mul_f64 v[8:9], s[12:13], v[8:9]
	s_branch .LBB114_123
.LBB114_122:
	v_mov_b32_e32 v8, 0
	v_mov_b32_e32 v9, 0
.LBB114_123:
	s_delay_alu instid0(VALU_DEP_1) | instskip(SKIP_2) | instid1(VALU_DEP_1)
	v_cvt_f32_f64_e32 v8, v[8:9]
	v_max_f32_e32 v9, v254, v254
	v_lshlrev_b64 v[18:19], 3, v[2:3]
	v_add_co_u32 v18, vcc_lo, v10, v18
	s_delay_alu instid0(VALU_DEP_2) | instskip(NEXT) | instid1(VALU_DEP_4)
	v_add_co_ci_u32_e32 v19, vcc_lo, v13, v19, vcc_lo
	v_min_f32_e32 v8, v8, v9
	s_delay_alu instid0(VALU_DEP_1) | instskip(SKIP_3) | instid1(SALU_CYCLE_1)
	v_cvt_f64_f32_e32 v[8:9], v8
	global_store_b64 v[18:19], v[8:9], off
	s_or_b32 exec_lo, exec_lo, s8
	s_and_b32 s11, s2, s4
	s_and_saveexec_b32 s8, s11
	s_cbranch_execz .LBB114_115
.LBB114_124:
	v_cmp_ne_u32_e32 vcc_lo, 1, v16
	s_cbranch_vccnz .LBB114_126
; %bb.125:
	v_lshlrev_b64 v[8:9], 3, v[4:5]
	s_delay_alu instid0(VALU_DEP_1) | instskip(NEXT) | instid1(VALU_DEP_2)
	v_add_co_u32 v8, vcc_lo, v14, v8
	v_add_co_ci_u32_e32 v9, vcc_lo, v15, v9, vcc_lo
	flat_load_b64 v[8:9], v[8:9]
	s_waitcnt vmcnt(0) lgkmcnt(0)
	v_mul_f64 v[8:9], s[12:13], v[8:9]
	s_branch .LBB114_127
.LBB114_126:
	v_mov_b32_e32 v8, 0
	v_mov_b32_e32 v9, 0
.LBB114_127:
	s_delay_alu instid0(VALU_DEP_1) | instskip(SKIP_2) | instid1(VALU_DEP_1)
	v_cvt_f32_f64_e32 v8, v[8:9]
	v_max_f32_e32 v9, v230, v230
	v_lshlrev_b64 v[18:19], 3, v[4:5]
	v_add_co_u32 v18, vcc_lo, v10, v18
	s_delay_alu instid0(VALU_DEP_2) | instskip(NEXT) | instid1(VALU_DEP_4)
	v_add_co_ci_u32_e32 v19, vcc_lo, v13, v19, vcc_lo
	v_min_f32_e32 v8, v8, v9
	s_delay_alu instid0(VALU_DEP_1) | instskip(SKIP_3) | instid1(SALU_CYCLE_1)
	v_cvt_f64_f32_e32 v[8:9], v8
	global_store_b64 v[18:19], v[8:9], off
	s_or_b32 exec_lo, exec_lo, s8
	s_and_b32 s8, s3, s4
	s_and_saveexec_b32 s4, s8
	s_cbranch_execz .LBB114_132
.LBB114_128:
	v_cmp_ne_u32_e32 vcc_lo, 1, v16
	s_cbranch_vccnz .LBB114_130
; %bb.129:
	v_lshlrev_b64 v[8:9], 3, v[6:7]
	s_delay_alu instid0(VALU_DEP_1) | instskip(NEXT) | instid1(VALU_DEP_2)
	v_add_co_u32 v8, vcc_lo, v14, v8
	v_add_co_ci_u32_e32 v9, vcc_lo, v15, v9, vcc_lo
	flat_load_b64 v[8:9], v[8:9]
	s_waitcnt vmcnt(0) lgkmcnt(0)
	v_mul_f64 v[8:9], s[12:13], v[8:9]
	s_branch .LBB114_131
.LBB114_130:
	v_mov_b32_e32 v8, 0
	v_mov_b32_e32 v9, 0
.LBB114_131:
	s_delay_alu instid0(VALU_DEP_1) | instskip(SKIP_2) | instid1(VALU_DEP_1)
	v_cvt_f32_f64_e32 v8, v[8:9]
	v_max_f32_e32 v9, v224, v224
	v_lshlrev_b64 v[14:15], 3, v[6:7]
	v_add_co_u32 v10, vcc_lo, v10, v14
	s_delay_alu instid0(VALU_DEP_2) | instskip(NEXT) | instid1(VALU_DEP_4)
	v_add_co_ci_u32_e32 v11, vcc_lo, v13, v15, vcc_lo
	v_min_f32_e32 v8, v8, v9
	s_delay_alu instid0(VALU_DEP_1)
	v_cvt_f64_f32_e32 v[8:9], v8
	global_store_b64 v[10:11], v[8:9], off
.LBB114_132:
	s_or_b32 exec_lo, exec_lo, s4
	v_add_nc_u32_e32 v13, 32, v17
	s_delay_alu instid0(VALU_DEP_1) | instskip(SKIP_2) | instid1(VALU_DEP_3)
	v_mad_i64_i32 v[8:9], null, v13, s6, 0
	v_mad_i64_i32 v[10:11], null, v13, s5, 0
	v_cmp_gt_i32_e64 s4, s9, v13
	v_lshlrev_b64 v[8:9], 3, v[8:9]
	s_delay_alu instid0(VALU_DEP_2) | instskip(NEXT) | instid1(VALU_DEP_3)
	s_and_b32 s11, s0, s4
	v_lshlrev_b64 v[10:11], 3, v[10:11]
	s_delay_alu instid0(VALU_DEP_2) | instskip(NEXT) | instid1(VALU_DEP_3)
	v_add_co_u32 v14, vcc_lo, s16, v8
	v_add_co_ci_u32_e32 v15, vcc_lo, s17, v9, vcc_lo
	s_delay_alu instid0(VALU_DEP_3) | instskip(NEXT) | instid1(VALU_DEP_4)
	v_add_co_u32 v10, vcc_lo, s7, v10
	v_add_co_ci_u32_e32 v13, vcc_lo, s10, v11, vcc_lo
	s_and_saveexec_b32 s8, s11
	s_cbranch_execnz .LBB114_136
; %bb.133:
	s_or_b32 exec_lo, exec_lo, s8
	s_and_b32 s11, s1, s4
	s_delay_alu instid0(SALU_CYCLE_1)
	s_and_saveexec_b32 s8, s11
	s_cbranch_execnz .LBB114_140
.LBB114_134:
	s_or_b32 exec_lo, exec_lo, s8
	s_and_b32 s11, s2, s4
	s_delay_alu instid0(SALU_CYCLE_1)
	s_and_saveexec_b32 s8, s11
	s_cbranch_execnz .LBB114_144
.LBB114_135:
	s_or_b32 exec_lo, exec_lo, s8
	s_and_b32 s8, s3, s4
	s_delay_alu instid0(SALU_CYCLE_1)
	s_and_saveexec_b32 s4, s8
	s_cbranch_execnz .LBB114_148
	s_branch .LBB114_152
.LBB114_136:
	v_cmp_ne_u32_e32 vcc_lo, 1, v16
	s_cbranch_vccnz .LBB114_138
; %bb.137:
	v_lshlrev_b64 v[8:9], 3, v[0:1]
	s_delay_alu instid0(VALU_DEP_1) | instskip(NEXT) | instid1(VALU_DEP_2)
	v_add_co_u32 v8, vcc_lo, v14, v8
	v_add_co_ci_u32_e32 v9, vcc_lo, v15, v9, vcc_lo
	flat_load_b64 v[8:9], v[8:9]
	s_waitcnt vmcnt(0) lgkmcnt(0)
	v_mul_f64 v[8:9], s[12:13], v[8:9]
	s_branch .LBB114_139
.LBB114_138:
	v_mov_b32_e32 v8, 0
	v_mov_b32_e32 v9, 0
.LBB114_139:
	s_delay_alu instid0(VALU_DEP_1) | instskip(SKIP_2) | instid1(VALU_DEP_1)
	v_cvt_f32_f64_e32 v8, v[8:9]
	v_max_f32_e32 v9, v220, v220
	v_lshlrev_b64 v[18:19], 3, v[0:1]
	v_add_co_u32 v18, vcc_lo, v10, v18
	s_delay_alu instid0(VALU_DEP_2) | instskip(NEXT) | instid1(VALU_DEP_4)
	v_add_co_ci_u32_e32 v19, vcc_lo, v13, v19, vcc_lo
	v_min_f32_e32 v8, v8, v9
	s_delay_alu instid0(VALU_DEP_1) | instskip(SKIP_3) | instid1(SALU_CYCLE_1)
	v_cvt_f64_f32_e32 v[8:9], v8
	global_store_b64 v[18:19], v[8:9], off
	s_or_b32 exec_lo, exec_lo, s8
	s_and_b32 s11, s1, s4
	s_and_saveexec_b32 s8, s11
	s_cbranch_execz .LBB114_134
.LBB114_140:
	v_cmp_ne_u32_e32 vcc_lo, 1, v16
	s_cbranch_vccnz .LBB114_142
; %bb.141:
	v_lshlrev_b64 v[8:9], 3, v[2:3]
	s_delay_alu instid0(VALU_DEP_1) | instskip(NEXT) | instid1(VALU_DEP_2)
	v_add_co_u32 v8, vcc_lo, v14, v8
	v_add_co_ci_u32_e32 v9, vcc_lo, v15, v9, vcc_lo
	flat_load_b64 v[8:9], v[8:9]
	s_waitcnt vmcnt(0) lgkmcnt(0)
	v_mul_f64 v[8:9], s[12:13], v[8:9]
	s_branch .LBB114_143
.LBB114_142:
	v_mov_b32_e32 v8, 0
	v_mov_b32_e32 v9, 0
.LBB114_143:
	s_delay_alu instid0(VALU_DEP_1) | instskip(SKIP_2) | instid1(VALU_DEP_1)
	v_cvt_f32_f64_e32 v8, v[8:9]
	v_max_f32_e32 v9, v12, v12
	v_lshlrev_b64 v[11:12], 3, v[2:3]
	v_add_co_u32 v11, vcc_lo, v10, v11
	s_delay_alu instid0(VALU_DEP_2) | instskip(NEXT) | instid1(VALU_DEP_4)
	v_add_co_ci_u32_e32 v12, vcc_lo, v13, v12, vcc_lo
	v_min_f32_e32 v8, v8, v9
	s_delay_alu instid0(VALU_DEP_1) | instskip(SKIP_3) | instid1(SALU_CYCLE_1)
	v_cvt_f64_f32_e32 v[8:9], v8
	global_store_b64 v[11:12], v[8:9], off
	s_or_b32 exec_lo, exec_lo, s8
	s_and_b32 s11, s2, s4
	s_and_saveexec_b32 s8, s11
	s_cbranch_execz .LBB114_135
.LBB114_144:
	v_cmp_ne_u32_e32 vcc_lo, 1, v16
	s_cbranch_vccnz .LBB114_146
; %bb.145:
	v_lshlrev_b64 v[8:9], 3, v[4:5]
	s_delay_alu instid0(VALU_DEP_1) | instskip(NEXT) | instid1(VALU_DEP_2)
	v_add_co_u32 v8, vcc_lo, v14, v8
	v_add_co_ci_u32_e32 v9, vcc_lo, v15, v9, vcc_lo
	flat_load_b64 v[8:9], v[8:9]
	s_waitcnt vmcnt(0) lgkmcnt(0)
	v_mul_f64 v[8:9], s[12:13], v[8:9]
	s_branch .LBB114_147
.LBB114_146:
	v_mov_b32_e32 v8, 0
	v_mov_b32_e32 v9, 0
.LBB114_147:
	s_delay_alu instid0(VALU_DEP_1) | instskip(SKIP_2) | instid1(VALU_DEP_1)
	v_cvt_f32_f64_e32 v8, v[8:9]
	v_max_f32_e32 v9, v172, v172
	v_lshlrev_b64 v[11:12], 3, v[4:5]
	v_add_co_u32 v11, vcc_lo, v10, v11
	s_delay_alu instid0(VALU_DEP_2) | instskip(NEXT) | instid1(VALU_DEP_4)
	v_add_co_ci_u32_e32 v12, vcc_lo, v13, v12, vcc_lo
	v_min_f32_e32 v8, v8, v9
	s_delay_alu instid0(VALU_DEP_1) | instskip(SKIP_3) | instid1(SALU_CYCLE_1)
	v_cvt_f64_f32_e32 v[8:9], v8
	global_store_b64 v[11:12], v[8:9], off
	s_or_b32 exec_lo, exec_lo, s8
	s_and_b32 s8, s3, s4
	s_and_saveexec_b32 s4, s8
	s_cbranch_execz .LBB114_152
.LBB114_148:
	v_cmp_ne_u32_e32 vcc_lo, 1, v16
	s_cbranch_vccnz .LBB114_150
; %bb.149:
	v_lshlrev_b64 v[8:9], 3, v[6:7]
	s_delay_alu instid0(VALU_DEP_1) | instskip(NEXT) | instid1(VALU_DEP_2)
	v_add_co_u32 v8, vcc_lo, v14, v8
	v_add_co_ci_u32_e32 v9, vcc_lo, v15, v9, vcc_lo
	flat_load_b64 v[8:9], v[8:9]
	s_waitcnt vmcnt(0) lgkmcnt(0)
	v_mul_f64 v[8:9], s[12:13], v[8:9]
	s_branch .LBB114_151
.LBB114_150:
	v_mov_b32_e32 v8, 0
	v_mov_b32_e32 v9, 0
.LBB114_151:
	s_delay_alu instid0(VALU_DEP_1) | instskip(SKIP_2) | instid1(VALU_DEP_1)
	v_cvt_f32_f64_e32 v8, v[8:9]
	v_max_f32_e32 v9, v174, v174
	v_lshlrev_b64 v[11:12], 3, v[6:7]
	v_add_co_u32 v10, vcc_lo, v10, v11
	s_delay_alu instid0(VALU_DEP_2) | instskip(NEXT) | instid1(VALU_DEP_4)
	v_add_co_ci_u32_e32 v11, vcc_lo, v13, v12, vcc_lo
	v_min_f32_e32 v8, v8, v9
	s_delay_alu instid0(VALU_DEP_1)
	v_cvt_f64_f32_e32 v[8:9], v8
	global_store_b64 v[10:11], v[8:9], off
.LBB114_152:
	s_or_b32 exec_lo, exec_lo, s4
	v_add_nc_u32_e32 v12, 40, v17
	s_delay_alu instid0(VALU_DEP_1) | instskip(SKIP_2) | instid1(VALU_DEP_3)
	v_mad_i64_i32 v[8:9], null, v12, s6, 0
	v_mad_i64_i32 v[10:11], null, v12, s5, 0
	v_cmp_gt_i32_e64 s4, s9, v12
	v_lshlrev_b64 v[8:9], 3, v[8:9]
	s_delay_alu instid0(VALU_DEP_2) | instskip(NEXT) | instid1(VALU_DEP_3)
	s_and_b32 s11, s0, s4
	v_lshlrev_b64 v[10:11], 3, v[10:11]
	s_delay_alu instid0(VALU_DEP_2) | instskip(NEXT) | instid1(VALU_DEP_3)
	v_add_co_u32 v14, vcc_lo, s16, v8
	v_add_co_ci_u32_e32 v15, vcc_lo, s17, v9, vcc_lo
	s_delay_alu instid0(VALU_DEP_3) | instskip(NEXT) | instid1(VALU_DEP_4)
	v_add_co_u32 v12, vcc_lo, s7, v10
	v_add_co_ci_u32_e32 v13, vcc_lo, s10, v11, vcc_lo
	s_and_saveexec_b32 s8, s11
	s_cbranch_execnz .LBB114_156
; %bb.153:
	s_or_b32 exec_lo, exec_lo, s8
	s_and_b32 s11, s1, s4
	s_delay_alu instid0(SALU_CYCLE_1)
	s_and_saveexec_b32 s8, s11
	s_cbranch_execnz .LBB114_160
.LBB114_154:
	s_or_b32 exec_lo, exec_lo, s8
	s_and_b32 s11, s2, s4
	s_delay_alu instid0(SALU_CYCLE_1)
	s_and_saveexec_b32 s8, s11
	s_cbranch_execnz .LBB114_164
.LBB114_155:
	s_or_b32 exec_lo, exec_lo, s8
	s_and_b32 s8, s3, s4
	s_delay_alu instid0(SALU_CYCLE_1)
	s_and_saveexec_b32 s4, s8
	s_cbranch_execnz .LBB114_168
	s_branch .LBB114_172
.LBB114_156:
	v_cmp_ne_u32_e32 vcc_lo, 1, v16
	s_cbranch_vccnz .LBB114_158
; %bb.157:
	v_lshlrev_b64 v[8:9], 3, v[0:1]
	s_delay_alu instid0(VALU_DEP_1) | instskip(NEXT) | instid1(VALU_DEP_2)
	v_add_co_u32 v8, vcc_lo, v14, v8
	v_add_co_ci_u32_e32 v9, vcc_lo, v15, v9, vcc_lo
	flat_load_b64 v[8:9], v[8:9]
	s_waitcnt vmcnt(0) lgkmcnt(0)
	v_mul_f64 v[8:9], s[12:13], v[8:9]
	s_branch .LBB114_159
.LBB114_158:
	v_mov_b32_e32 v8, 0
	v_mov_b32_e32 v9, 0
.LBB114_159:
	s_delay_alu instid0(VALU_DEP_1) | instskip(SKIP_2) | instid1(VALU_DEP_1)
	v_cvt_f32_f64_e32 v8, v[8:9]
	v_max_f32_e32 v9, v83, v83
	v_lshlrev_b64 v[10:11], 3, v[0:1]
	v_add_co_u32 v10, vcc_lo, v12, v10
	s_delay_alu instid0(VALU_DEP_2) | instskip(NEXT) | instid1(VALU_DEP_4)
	v_add_co_ci_u32_e32 v11, vcc_lo, v13, v11, vcc_lo
	v_min_f32_e32 v8, v8, v9
	s_delay_alu instid0(VALU_DEP_1) | instskip(SKIP_3) | instid1(SALU_CYCLE_1)
	v_cvt_f64_f32_e32 v[8:9], v8
	global_store_b64 v[10:11], v[8:9], off
	s_or_b32 exec_lo, exec_lo, s8
	s_and_b32 s11, s1, s4
	s_and_saveexec_b32 s8, s11
	s_cbranch_execz .LBB114_154
.LBB114_160:
	v_cmp_ne_u32_e32 vcc_lo, 1, v16
	s_cbranch_vccnz .LBB114_162
; %bb.161:
	v_lshlrev_b64 v[8:9], 3, v[2:3]
	s_delay_alu instid0(VALU_DEP_1) | instskip(NEXT) | instid1(VALU_DEP_2)
	v_add_co_u32 v8, vcc_lo, v14, v8
	v_add_co_ci_u32_e32 v9, vcc_lo, v15, v9, vcc_lo
	flat_load_b64 v[8:9], v[8:9]
	s_waitcnt vmcnt(0) lgkmcnt(0)
	v_mul_f64 v[8:9], s[12:13], v[8:9]
	s_branch .LBB114_163
.LBB114_162:
	v_mov_b32_e32 v8, 0
	v_mov_b32_e32 v9, 0
.LBB114_163:
	s_delay_alu instid0(VALU_DEP_1) | instskip(SKIP_2) | instid1(VALU_DEP_1)
	v_cvt_f32_f64_e32 v8, v[8:9]
	v_max_f32_e32 v9, v82, v82
	v_lshlrev_b64 v[10:11], 3, v[2:3]
	v_add_co_u32 v10, vcc_lo, v12, v10
	s_delay_alu instid0(VALU_DEP_2) | instskip(NEXT) | instid1(VALU_DEP_4)
	v_add_co_ci_u32_e32 v11, vcc_lo, v13, v11, vcc_lo
	v_min_f32_e32 v8, v8, v9
	s_delay_alu instid0(VALU_DEP_1) | instskip(SKIP_3) | instid1(SALU_CYCLE_1)
	v_cvt_f64_f32_e32 v[8:9], v8
	global_store_b64 v[10:11], v[8:9], off
	s_or_b32 exec_lo, exec_lo, s8
	s_and_b32 s11, s2, s4
	s_and_saveexec_b32 s8, s11
	s_cbranch_execz .LBB114_155
.LBB114_164:
	v_cmp_ne_u32_e32 vcc_lo, 1, v16
	s_cbranch_vccnz .LBB114_166
; %bb.165:
	v_lshlrev_b64 v[8:9], 3, v[4:5]
	s_delay_alu instid0(VALU_DEP_1) | instskip(NEXT) | instid1(VALU_DEP_2)
	v_add_co_u32 v8, vcc_lo, v14, v8
	v_add_co_ci_u32_e32 v9, vcc_lo, v15, v9, vcc_lo
	flat_load_b64 v[8:9], v[8:9]
	s_waitcnt vmcnt(0) lgkmcnt(0)
	v_mul_f64 v[8:9], s[12:13], v[8:9]
	s_branch .LBB114_167
.LBB114_166:
	v_mov_b32_e32 v8, 0
	v_mov_b32_e32 v9, 0
.LBB114_167:
	s_delay_alu instid0(VALU_DEP_1) | instskip(SKIP_2) | instid1(VALU_DEP_1)
	v_cvt_f32_f64_e32 v8, v[8:9]
	v_max_f32_e32 v9, v99, v99
	v_lshlrev_b64 v[10:11], 3, v[4:5]
	v_add_co_u32 v10, vcc_lo, v12, v10
	s_delay_alu instid0(VALU_DEP_2) | instskip(NEXT) | instid1(VALU_DEP_4)
	v_add_co_ci_u32_e32 v11, vcc_lo, v13, v11, vcc_lo
	v_min_f32_e32 v8, v8, v9
	s_delay_alu instid0(VALU_DEP_1) | instskip(SKIP_3) | instid1(SALU_CYCLE_1)
	v_cvt_f64_f32_e32 v[8:9], v8
	global_store_b64 v[10:11], v[8:9], off
	s_or_b32 exec_lo, exec_lo, s8
	s_and_b32 s8, s3, s4
	s_and_saveexec_b32 s4, s8
	s_cbranch_execz .LBB114_172
.LBB114_168:
	v_cmp_ne_u32_e32 vcc_lo, 1, v16
	s_cbranch_vccnz .LBB114_170
; %bb.169:
	v_lshlrev_b64 v[8:9], 3, v[6:7]
	s_delay_alu instid0(VALU_DEP_1) | instskip(NEXT) | instid1(VALU_DEP_2)
	v_add_co_u32 v8, vcc_lo, v14, v8
	v_add_co_ci_u32_e32 v9, vcc_lo, v15, v9, vcc_lo
	flat_load_b64 v[8:9], v[8:9]
	s_waitcnt vmcnt(0) lgkmcnt(0)
	v_mul_f64 v[8:9], s[12:13], v[8:9]
	s_branch .LBB114_171
.LBB114_170:
	v_mov_b32_e32 v8, 0
	v_mov_b32_e32 v9, 0
.LBB114_171:
	s_delay_alu instid0(VALU_DEP_1) | instskip(SKIP_2) | instid1(VALU_DEP_1)
	v_cvt_f32_f64_e32 v8, v[8:9]
	v_max_f32_e32 v9, v98, v98
	v_lshlrev_b64 v[10:11], 3, v[6:7]
	v_add_co_u32 v10, vcc_lo, v12, v10
	s_delay_alu instid0(VALU_DEP_2) | instskip(NEXT) | instid1(VALU_DEP_4)
	v_add_co_ci_u32_e32 v11, vcc_lo, v13, v11, vcc_lo
	v_min_f32_e32 v8, v8, v9
	s_delay_alu instid0(VALU_DEP_1)
	v_cvt_f64_f32_e32 v[8:9], v8
	global_store_b64 v[10:11], v[8:9], off
.LBB114_172:
	s_or_b32 exec_lo, exec_lo, s4
	v_add_nc_u32_e32 v12, 48, v17
	s_delay_alu instid0(VALU_DEP_1) | instskip(SKIP_2) | instid1(VALU_DEP_3)
	v_mad_i64_i32 v[8:9], null, v12, s6, 0
	v_mad_i64_i32 v[10:11], null, v12, s5, 0
	v_cmp_gt_i32_e64 s4, s9, v12
	v_lshlrev_b64 v[8:9], 3, v[8:9]
	s_delay_alu instid0(VALU_DEP_2) | instskip(NEXT) | instid1(VALU_DEP_3)
	s_and_b32 s11, s0, s4
	v_lshlrev_b64 v[10:11], 3, v[10:11]
	s_delay_alu instid0(VALU_DEP_2) | instskip(NEXT) | instid1(VALU_DEP_3)
	v_add_co_u32 v14, vcc_lo, s16, v8
	v_add_co_ci_u32_e32 v15, vcc_lo, s17, v9, vcc_lo
	s_delay_alu instid0(VALU_DEP_3) | instskip(NEXT) | instid1(VALU_DEP_4)
	v_add_co_u32 v12, vcc_lo, s7, v10
	v_add_co_ci_u32_e32 v13, vcc_lo, s10, v11, vcc_lo
	s_and_saveexec_b32 s8, s11
	s_cbranch_execnz .LBB114_176
; %bb.173:
	s_or_b32 exec_lo, exec_lo, s8
	s_and_b32 s11, s1, s4
	s_delay_alu instid0(SALU_CYCLE_1)
	s_and_saveexec_b32 s8, s11
	s_cbranch_execnz .LBB114_180
.LBB114_174:
	s_or_b32 exec_lo, exec_lo, s8
	s_and_b32 s11, s2, s4
	s_delay_alu instid0(SALU_CYCLE_1)
	s_and_saveexec_b32 s8, s11
	s_cbranch_execnz .LBB114_184
.LBB114_175:
	s_or_b32 exec_lo, exec_lo, s8
	s_and_b32 s8, s3, s4
	s_delay_alu instid0(SALU_CYCLE_1)
	s_and_saveexec_b32 s4, s8
	s_cbranch_execnz .LBB114_188
	s_branch .LBB114_192
.LBB114_176:
	v_cmp_ne_u32_e32 vcc_lo, 1, v16
	s_cbranch_vccnz .LBB114_178
; %bb.177:
	v_lshlrev_b64 v[8:9], 3, v[0:1]
	s_delay_alu instid0(VALU_DEP_1) | instskip(NEXT) | instid1(VALU_DEP_2)
	v_add_co_u32 v8, vcc_lo, v14, v8
	v_add_co_ci_u32_e32 v9, vcc_lo, v15, v9, vcc_lo
	flat_load_b64 v[8:9], v[8:9]
	s_waitcnt vmcnt(0) lgkmcnt(0)
	v_mul_f64 v[8:9], s[12:13], v[8:9]
	s_branch .LBB114_179
.LBB114_178:
	v_mov_b32_e32 v8, 0
	v_mov_b32_e32 v9, 0
.LBB114_179:
	s_delay_alu instid0(VALU_DEP_1) | instskip(SKIP_2) | instid1(VALU_DEP_1)
	v_cvt_f32_f64_e32 v8, v[8:9]
	v_max_f32_e32 v9, v90, v90
	v_lshlrev_b64 v[10:11], 3, v[0:1]
	v_add_co_u32 v10, vcc_lo, v12, v10
	s_delay_alu instid0(VALU_DEP_2) | instskip(NEXT) | instid1(VALU_DEP_4)
	v_add_co_ci_u32_e32 v11, vcc_lo, v13, v11, vcc_lo
	v_min_f32_e32 v8, v8, v9
	s_delay_alu instid0(VALU_DEP_1) | instskip(SKIP_3) | instid1(SALU_CYCLE_1)
	v_cvt_f64_f32_e32 v[8:9], v8
	global_store_b64 v[10:11], v[8:9], off
	s_or_b32 exec_lo, exec_lo, s8
	s_and_b32 s11, s1, s4
	s_and_saveexec_b32 s8, s11
	s_cbranch_execz .LBB114_174
.LBB114_180:
	v_cmp_ne_u32_e32 vcc_lo, 1, v16
	s_cbranch_vccnz .LBB114_182
; %bb.181:
	v_lshlrev_b64 v[8:9], 3, v[2:3]
	s_delay_alu instid0(VALU_DEP_1) | instskip(NEXT) | instid1(VALU_DEP_2)
	v_add_co_u32 v8, vcc_lo, v14, v8
	v_add_co_ci_u32_e32 v9, vcc_lo, v15, v9, vcc_lo
	flat_load_b64 v[8:9], v[8:9]
	s_waitcnt vmcnt(0) lgkmcnt(0)
	v_mul_f64 v[8:9], s[12:13], v[8:9]
	s_branch .LBB114_183
.LBB114_182:
	v_mov_b32_e32 v8, 0
	v_mov_b32_e32 v9, 0
.LBB114_183:
	s_delay_alu instid0(VALU_DEP_1) | instskip(SKIP_2) | instid1(VALU_DEP_1)
	v_cvt_f32_f64_e32 v8, v[8:9]
	v_max_f32_e32 v9, v26, v26
	v_lshlrev_b64 v[10:11], 3, v[2:3]
	v_add_co_u32 v10, vcc_lo, v12, v10
	s_delay_alu instid0(VALU_DEP_2) | instskip(NEXT) | instid1(VALU_DEP_4)
	v_add_co_ci_u32_e32 v11, vcc_lo, v13, v11, vcc_lo
	v_min_f32_e32 v8, v8, v9
	s_delay_alu instid0(VALU_DEP_1) | instskip(SKIP_3) | instid1(SALU_CYCLE_1)
	v_cvt_f64_f32_e32 v[8:9], v8
	global_store_b64 v[10:11], v[8:9], off
	s_or_b32 exec_lo, exec_lo, s8
	s_and_b32 s11, s2, s4
	s_and_saveexec_b32 s8, s11
	s_cbranch_execz .LBB114_175
.LBB114_184:
	v_cmp_ne_u32_e32 vcc_lo, 1, v16
	s_cbranch_vccnz .LBB114_186
; %bb.185:
	v_lshlrev_b64 v[8:9], 3, v[4:5]
	s_delay_alu instid0(VALU_DEP_1) | instskip(NEXT) | instid1(VALU_DEP_2)
	v_add_co_u32 v8, vcc_lo, v14, v8
	v_add_co_ci_u32_e32 v9, vcc_lo, v15, v9, vcc_lo
	flat_load_b64 v[8:9], v[8:9]
	s_waitcnt vmcnt(0) lgkmcnt(0)
	v_mul_f64 v[8:9], s[12:13], v[8:9]
	s_branch .LBB114_187
.LBB114_186:
	v_mov_b32_e32 v8, 0
	v_mov_b32_e32 v9, 0
.LBB114_187:
	s_delay_alu instid0(VALU_DEP_1) | instskip(SKIP_2) | instid1(VALU_DEP_1)
	v_cvt_f32_f64_e32 v8, v[8:9]
	v_max_f32_e32 v9, v70, v70
	v_lshlrev_b64 v[10:11], 3, v[4:5]
	v_add_co_u32 v10, vcc_lo, v12, v10
	s_delay_alu instid0(VALU_DEP_2) | instskip(NEXT) | instid1(VALU_DEP_4)
	v_add_co_ci_u32_e32 v11, vcc_lo, v13, v11, vcc_lo
	v_min_f32_e32 v8, v8, v9
	s_delay_alu instid0(VALU_DEP_1) | instskip(SKIP_3) | instid1(SALU_CYCLE_1)
	v_cvt_f64_f32_e32 v[8:9], v8
	global_store_b64 v[10:11], v[8:9], off
	s_or_b32 exec_lo, exec_lo, s8
	s_and_b32 s8, s3, s4
	s_and_saveexec_b32 s4, s8
	s_cbranch_execz .LBB114_192
.LBB114_188:
	v_cmp_ne_u32_e32 vcc_lo, 1, v16
	s_cbranch_vccnz .LBB114_190
; %bb.189:
	v_lshlrev_b64 v[8:9], 3, v[6:7]
	s_delay_alu instid0(VALU_DEP_1) | instskip(NEXT) | instid1(VALU_DEP_2)
	v_add_co_u32 v8, vcc_lo, v14, v8
	v_add_co_ci_u32_e32 v9, vcc_lo, v15, v9, vcc_lo
	flat_load_b64 v[8:9], v[8:9]
	s_waitcnt vmcnt(0) lgkmcnt(0)
	v_mul_f64 v[8:9], s[12:13], v[8:9]
	s_branch .LBB114_191
.LBB114_190:
	v_mov_b32_e32 v8, 0
	v_mov_b32_e32 v9, 0
.LBB114_191:
	s_delay_alu instid0(VALU_DEP_1) | instskip(SKIP_2) | instid1(VALU_DEP_1)
	v_cvt_f32_f64_e32 v8, v[8:9]
	v_max_f32_e32 v9, v24, v24
	v_lshlrev_b64 v[10:11], 3, v[6:7]
	v_add_co_u32 v10, vcc_lo, v12, v10
	s_delay_alu instid0(VALU_DEP_2) | instskip(NEXT) | instid1(VALU_DEP_4)
	v_add_co_ci_u32_e32 v11, vcc_lo, v13, v11, vcc_lo
	v_min_f32_e32 v8, v8, v9
	s_delay_alu instid0(VALU_DEP_1)
	v_cvt_f64_f32_e32 v[8:9], v8
	global_store_b64 v[10:11], v[8:9], off
.LBB114_192:
	s_or_b32 exec_lo, exec_lo, s4
	v_add_nc_u32_e32 v12, 56, v17
	s_delay_alu instid0(VALU_DEP_1) | instskip(SKIP_2) | instid1(VALU_DEP_3)
	v_mad_i64_i32 v[8:9], null, v12, s6, 0
	v_mad_i64_i32 v[10:11], null, v12, s5, 0
	v_cmp_gt_i32_e64 s4, s9, v12
	v_lshlrev_b64 v[8:9], 3, v[8:9]
	s_delay_alu instid0(VALU_DEP_2) | instskip(NEXT) | instid1(VALU_DEP_3)
	s_and_b32 s11, s0, s4
	v_lshlrev_b64 v[10:11], 3, v[10:11]
	s_delay_alu instid0(VALU_DEP_2) | instskip(NEXT) | instid1(VALU_DEP_3)
	v_add_co_u32 v14, vcc_lo, s16, v8
	v_add_co_ci_u32_e32 v15, vcc_lo, s17, v9, vcc_lo
	s_delay_alu instid0(VALU_DEP_3) | instskip(NEXT) | instid1(VALU_DEP_4)
	v_add_co_u32 v12, vcc_lo, s7, v10
	v_add_co_ci_u32_e32 v13, vcc_lo, s10, v11, vcc_lo
	s_and_saveexec_b32 s8, s11
	s_cbranch_execnz .LBB114_196
; %bb.193:
	s_or_b32 exec_lo, exec_lo, s8
	s_and_b32 s11, s1, s4
	s_delay_alu instid0(SALU_CYCLE_1)
	s_and_saveexec_b32 s8, s11
	s_cbranch_execnz .LBB114_200
.LBB114_194:
	s_or_b32 exec_lo, exec_lo, s8
	s_and_b32 s11, s2, s4
	s_delay_alu instid0(SALU_CYCLE_1)
	s_and_saveexec_b32 s8, s11
	s_cbranch_execnz .LBB114_204
.LBB114_195:
	s_or_b32 exec_lo, exec_lo, s8
	s_and_b32 s8, s3, s4
	s_delay_alu instid0(SALU_CYCLE_1)
	s_and_saveexec_b32 s4, s8
	s_cbranch_execnz .LBB114_208
	s_branch .LBB114_212
.LBB114_196:
	v_cmp_ne_u32_e32 vcc_lo, 1, v16
	s_cbranch_vccnz .LBB114_198
; %bb.197:
	v_lshlrev_b64 v[8:9], 3, v[0:1]
	s_delay_alu instid0(VALU_DEP_1) | instskip(NEXT) | instid1(VALU_DEP_2)
	v_add_co_u32 v8, vcc_lo, v14, v8
	v_add_co_ci_u32_e32 v9, vcc_lo, v15, v9, vcc_lo
	flat_load_b64 v[8:9], v[8:9]
	s_waitcnt vmcnt(0) lgkmcnt(0)
	v_mul_f64 v[8:9], s[12:13], v[8:9]
	s_branch .LBB114_199
.LBB114_198:
	v_mov_b32_e32 v8, 0
	v_mov_b32_e32 v9, 0
.LBB114_199:
	s_delay_alu instid0(VALU_DEP_1) | instskip(SKIP_2) | instid1(VALU_DEP_1)
	v_cvt_f32_f64_e32 v8, v[8:9]
	v_max_f32_e32 v9, v78, v78
	v_lshlrev_b64 v[10:11], 3, v[0:1]
	v_add_co_u32 v10, vcc_lo, v12, v10
	s_delay_alu instid0(VALU_DEP_2) | instskip(NEXT) | instid1(VALU_DEP_4)
	v_add_co_ci_u32_e32 v11, vcc_lo, v13, v11, vcc_lo
	v_min_f32_e32 v8, v8, v9
	s_delay_alu instid0(VALU_DEP_1) | instskip(SKIP_3) | instid1(SALU_CYCLE_1)
	v_cvt_f64_f32_e32 v[8:9], v8
	global_store_b64 v[10:11], v[8:9], off
	s_or_b32 exec_lo, exec_lo, s8
	s_and_b32 s11, s1, s4
	s_and_saveexec_b32 s8, s11
	s_cbranch_execz .LBB114_194
.LBB114_200:
	v_cmp_ne_u32_e32 vcc_lo, 1, v16
	s_cbranch_vccnz .LBB114_202
; %bb.201:
	v_lshlrev_b64 v[8:9], 3, v[2:3]
	s_delay_alu instid0(VALU_DEP_1) | instskip(NEXT) | instid1(VALU_DEP_2)
	v_add_co_u32 v8, vcc_lo, v14, v8
	v_add_co_ci_u32_e32 v9, vcc_lo, v15, v9, vcc_lo
	flat_load_b64 v[8:9], v[8:9]
	s_waitcnt vmcnt(0) lgkmcnt(0)
	v_mul_f64 v[8:9], s[12:13], v[8:9]
	s_branch .LBB114_203
.LBB114_202:
	v_mov_b32_e32 v8, 0
	v_mov_b32_e32 v9, 0
.LBB114_203:
	s_delay_alu instid0(VALU_DEP_1) | instskip(SKIP_2) | instid1(VALU_DEP_1)
	v_cvt_f32_f64_e32 v8, v[8:9]
	v_max_f32_e32 v9, v79, v79
	v_lshlrev_b64 v[10:11], 3, v[2:3]
	v_add_co_u32 v10, vcc_lo, v12, v10
	s_delay_alu instid0(VALU_DEP_2) | instskip(NEXT) | instid1(VALU_DEP_4)
	v_add_co_ci_u32_e32 v11, vcc_lo, v13, v11, vcc_lo
	v_min_f32_e32 v8, v8, v9
	s_delay_alu instid0(VALU_DEP_1) | instskip(SKIP_3) | instid1(SALU_CYCLE_1)
	v_cvt_f64_f32_e32 v[8:9], v8
	global_store_b64 v[10:11], v[8:9], off
	s_or_b32 exec_lo, exec_lo, s8
	s_and_b32 s11, s2, s4
	s_and_saveexec_b32 s8, s11
	s_cbranch_execz .LBB114_195
.LBB114_204:
	v_cmp_ne_u32_e32 vcc_lo, 1, v16
	s_cbranch_vccnz .LBB114_206
; %bb.205:
	v_lshlrev_b64 v[8:9], 3, v[4:5]
	s_delay_alu instid0(VALU_DEP_1) | instskip(NEXT) | instid1(VALU_DEP_2)
	v_add_co_u32 v8, vcc_lo, v14, v8
	v_add_co_ci_u32_e32 v9, vcc_lo, v15, v9, vcc_lo
	flat_load_b64 v[8:9], v[8:9]
	s_waitcnt vmcnt(0) lgkmcnt(0)
	v_mul_f64 v[8:9], s[12:13], v[8:9]
	s_branch .LBB114_207
.LBB114_206:
	v_mov_b32_e32 v8, 0
	v_mov_b32_e32 v9, 0
.LBB114_207:
	s_delay_alu instid0(VALU_DEP_1) | instskip(SKIP_2) | instid1(VALU_DEP_1)
	v_cvt_f32_f64_e32 v8, v[8:9]
	v_max_f32_e32 v9, v76, v76
	v_lshlrev_b64 v[10:11], 3, v[4:5]
	v_add_co_u32 v10, vcc_lo, v12, v10
	s_delay_alu instid0(VALU_DEP_2) | instskip(NEXT) | instid1(VALU_DEP_4)
	v_add_co_ci_u32_e32 v11, vcc_lo, v13, v11, vcc_lo
	v_min_f32_e32 v8, v8, v9
	s_delay_alu instid0(VALU_DEP_1) | instskip(SKIP_3) | instid1(SALU_CYCLE_1)
	v_cvt_f64_f32_e32 v[8:9], v8
	global_store_b64 v[10:11], v[8:9], off
	s_or_b32 exec_lo, exec_lo, s8
	s_and_b32 s8, s3, s4
	s_and_saveexec_b32 s4, s8
	s_cbranch_execz .LBB114_212
.LBB114_208:
	v_cmp_ne_u32_e32 vcc_lo, 1, v16
	s_cbranch_vccnz .LBB114_210
; %bb.209:
	v_lshlrev_b64 v[8:9], 3, v[6:7]
	s_delay_alu instid0(VALU_DEP_1) | instskip(NEXT) | instid1(VALU_DEP_2)
	v_add_co_u32 v8, vcc_lo, v14, v8
	v_add_co_ci_u32_e32 v9, vcc_lo, v15, v9, vcc_lo
	flat_load_b64 v[8:9], v[8:9]
	s_waitcnt vmcnt(0) lgkmcnt(0)
	v_mul_f64 v[8:9], s[12:13], v[8:9]
	s_branch .LBB114_211
.LBB114_210:
	v_mov_b32_e32 v8, 0
	v_mov_b32_e32 v9, 0
.LBB114_211:
	s_delay_alu instid0(VALU_DEP_1) | instskip(SKIP_2) | instid1(VALU_DEP_1)
	v_cvt_f32_f64_e32 v8, v[8:9]
	v_max_f32_e32 v9, v77, v77
	v_lshlrev_b64 v[10:11], 3, v[6:7]
	v_add_co_u32 v10, vcc_lo, v12, v10
	s_delay_alu instid0(VALU_DEP_2) | instskip(NEXT) | instid1(VALU_DEP_4)
	v_add_co_ci_u32_e32 v11, vcc_lo, v13, v11, vcc_lo
	v_min_f32_e32 v8, v8, v9
	s_delay_alu instid0(VALU_DEP_1)
	v_cvt_f64_f32_e32 v[8:9], v8
	global_store_b64 v[10:11], v[8:9], off
.LBB114_212:
	s_or_b32 exec_lo, exec_lo, s4
	v_add_nc_u32_e32 v12, 64, v17
	s_delay_alu instid0(VALU_DEP_1) | instskip(SKIP_2) | instid1(VALU_DEP_3)
	v_mad_i64_i32 v[8:9], null, v12, s6, 0
	v_mad_i64_i32 v[10:11], null, v12, s5, 0
	v_cmp_gt_i32_e64 s4, s9, v12
	v_lshlrev_b64 v[8:9], 3, v[8:9]
	s_delay_alu instid0(VALU_DEP_2) | instskip(NEXT) | instid1(VALU_DEP_3)
	s_and_b32 s11, s0, s4
	v_lshlrev_b64 v[10:11], 3, v[10:11]
	s_delay_alu instid0(VALU_DEP_2) | instskip(NEXT) | instid1(VALU_DEP_3)
	v_add_co_u32 v14, vcc_lo, s16, v8
	v_add_co_ci_u32_e32 v15, vcc_lo, s17, v9, vcc_lo
	s_delay_alu instid0(VALU_DEP_3) | instskip(NEXT) | instid1(VALU_DEP_4)
	v_add_co_u32 v12, vcc_lo, s7, v10
	v_add_co_ci_u32_e32 v13, vcc_lo, s10, v11, vcc_lo
	s_and_saveexec_b32 s8, s11
	s_cbranch_execnz .LBB114_216
; %bb.213:
	s_or_b32 exec_lo, exec_lo, s8
	s_and_b32 s11, s1, s4
	s_delay_alu instid0(SALU_CYCLE_1)
	s_and_saveexec_b32 s8, s11
	s_cbranch_execnz .LBB114_220
.LBB114_214:
	s_or_b32 exec_lo, exec_lo, s8
	s_and_b32 s11, s2, s4
	s_delay_alu instid0(SALU_CYCLE_1)
	s_and_saveexec_b32 s8, s11
	s_cbranch_execnz .LBB114_224
.LBB114_215:
	s_or_b32 exec_lo, exec_lo, s8
	s_and_b32 s8, s3, s4
	s_delay_alu instid0(SALU_CYCLE_1)
	s_and_saveexec_b32 s4, s8
	s_cbranch_execnz .LBB114_228
	s_branch .LBB114_232
.LBB114_216:
	v_cmp_ne_u32_e32 vcc_lo, 1, v16
	s_cbranch_vccnz .LBB114_218
; %bb.217:
	v_lshlrev_b64 v[8:9], 3, v[0:1]
	s_delay_alu instid0(VALU_DEP_1) | instskip(NEXT) | instid1(VALU_DEP_2)
	v_add_co_u32 v8, vcc_lo, v14, v8
	v_add_co_ci_u32_e32 v9, vcc_lo, v15, v9, vcc_lo
	flat_load_b64 v[8:9], v[8:9]
	s_waitcnt vmcnt(0) lgkmcnt(0)
	v_mul_f64 v[8:9], s[12:13], v[8:9]
	s_branch .LBB114_219
.LBB114_218:
	v_mov_b32_e32 v8, 0
	v_mov_b32_e32 v9, 0
.LBB114_219:
	s_delay_alu instid0(VALU_DEP_1) | instskip(SKIP_2) | instid1(VALU_DEP_1)
	v_cvt_f32_f64_e32 v8, v[8:9]
	v_max_f32_e32 v9, v74, v74
	v_lshlrev_b64 v[10:11], 3, v[0:1]
	v_add_co_u32 v10, vcc_lo, v12, v10
	s_delay_alu instid0(VALU_DEP_2) | instskip(NEXT) | instid1(VALU_DEP_4)
	v_add_co_ci_u32_e32 v11, vcc_lo, v13, v11, vcc_lo
	v_min_f32_e32 v8, v8, v9
	s_delay_alu instid0(VALU_DEP_1) | instskip(SKIP_3) | instid1(SALU_CYCLE_1)
	v_cvt_f64_f32_e32 v[8:9], v8
	global_store_b64 v[10:11], v[8:9], off
	s_or_b32 exec_lo, exec_lo, s8
	s_and_b32 s11, s1, s4
	s_and_saveexec_b32 s8, s11
	s_cbranch_execz .LBB114_214
.LBB114_220:
	v_cmp_ne_u32_e32 vcc_lo, 1, v16
	s_cbranch_vccnz .LBB114_222
; %bb.221:
	v_lshlrev_b64 v[8:9], 3, v[2:3]
	s_delay_alu instid0(VALU_DEP_1) | instskip(NEXT) | instid1(VALU_DEP_2)
	v_add_co_u32 v8, vcc_lo, v14, v8
	v_add_co_ci_u32_e32 v9, vcc_lo, v15, v9, vcc_lo
	flat_load_b64 v[8:9], v[8:9]
	s_waitcnt vmcnt(0) lgkmcnt(0)
	v_mul_f64 v[8:9], s[12:13], v[8:9]
	s_branch .LBB114_223
.LBB114_222:
	v_mov_b32_e32 v8, 0
	v_mov_b32_e32 v9, 0
.LBB114_223:
	s_delay_alu instid0(VALU_DEP_1) | instskip(SKIP_2) | instid1(VALU_DEP_1)
	v_cvt_f32_f64_e32 v8, v[8:9]
	v_max_f32_e32 v9, v75, v75
	v_lshlrev_b64 v[10:11], 3, v[2:3]
	v_add_co_u32 v10, vcc_lo, v12, v10
	s_delay_alu instid0(VALU_DEP_2) | instskip(NEXT) | instid1(VALU_DEP_4)
	v_add_co_ci_u32_e32 v11, vcc_lo, v13, v11, vcc_lo
	v_min_f32_e32 v8, v8, v9
	s_delay_alu instid0(VALU_DEP_1) | instskip(SKIP_3) | instid1(SALU_CYCLE_1)
	v_cvt_f64_f32_e32 v[8:9], v8
	global_store_b64 v[10:11], v[8:9], off
	s_or_b32 exec_lo, exec_lo, s8
	s_and_b32 s11, s2, s4
	s_and_saveexec_b32 s8, s11
	s_cbranch_execz .LBB114_215
.LBB114_224:
	v_cmp_ne_u32_e32 vcc_lo, 1, v16
	s_cbranch_vccnz .LBB114_226
; %bb.225:
	v_lshlrev_b64 v[8:9], 3, v[4:5]
	s_delay_alu instid0(VALU_DEP_1) | instskip(NEXT) | instid1(VALU_DEP_2)
	v_add_co_u32 v8, vcc_lo, v14, v8
	v_add_co_ci_u32_e32 v9, vcc_lo, v15, v9, vcc_lo
	flat_load_b64 v[8:9], v[8:9]
	s_waitcnt vmcnt(0) lgkmcnt(0)
	v_mul_f64 v[8:9], s[12:13], v[8:9]
	s_branch .LBB114_227
.LBB114_226:
	v_mov_b32_e32 v8, 0
	v_mov_b32_e32 v9, 0
.LBB114_227:
	s_delay_alu instid0(VALU_DEP_1) | instskip(SKIP_2) | instid1(VALU_DEP_1)
	v_cvt_f32_f64_e32 v8, v[8:9]
	v_max_f32_e32 v9, v42, v42
	v_lshlrev_b64 v[10:11], 3, v[4:5]
	v_add_co_u32 v10, vcc_lo, v12, v10
	s_delay_alu instid0(VALU_DEP_2) | instskip(NEXT) | instid1(VALU_DEP_4)
	v_add_co_ci_u32_e32 v11, vcc_lo, v13, v11, vcc_lo
	v_min_f32_e32 v8, v8, v9
	s_delay_alu instid0(VALU_DEP_1) | instskip(SKIP_3) | instid1(SALU_CYCLE_1)
	v_cvt_f64_f32_e32 v[8:9], v8
	global_store_b64 v[10:11], v[8:9], off
	s_or_b32 exec_lo, exec_lo, s8
	s_and_b32 s8, s3, s4
	s_and_saveexec_b32 s4, s8
	s_cbranch_execz .LBB114_232
.LBB114_228:
	v_cmp_ne_u32_e32 vcc_lo, 1, v16
	s_cbranch_vccnz .LBB114_230
; %bb.229:
	v_lshlrev_b64 v[8:9], 3, v[6:7]
	s_delay_alu instid0(VALU_DEP_1) | instskip(NEXT) | instid1(VALU_DEP_2)
	v_add_co_u32 v8, vcc_lo, v14, v8
	v_add_co_ci_u32_e32 v9, vcc_lo, v15, v9, vcc_lo
	flat_load_b64 v[8:9], v[8:9]
	s_waitcnt vmcnt(0) lgkmcnt(0)
	v_mul_f64 v[8:9], s[12:13], v[8:9]
	s_branch .LBB114_231
.LBB114_230:
	v_mov_b32_e32 v8, 0
	v_mov_b32_e32 v9, 0
.LBB114_231:
	s_delay_alu instid0(VALU_DEP_1) | instskip(SKIP_2) | instid1(VALU_DEP_1)
	v_cvt_f32_f64_e32 v8, v[8:9]
	v_max_f32_e32 v9, v87, v87
	v_lshlrev_b64 v[10:11], 3, v[6:7]
	v_add_co_u32 v10, vcc_lo, v12, v10
	s_delay_alu instid0(VALU_DEP_2) | instskip(NEXT) | instid1(VALU_DEP_4)
	v_add_co_ci_u32_e32 v11, vcc_lo, v13, v11, vcc_lo
	v_min_f32_e32 v8, v8, v9
	s_delay_alu instid0(VALU_DEP_1)
	v_cvt_f64_f32_e32 v[8:9], v8
	global_store_b64 v[10:11], v[8:9], off
.LBB114_232:
	s_or_b32 exec_lo, exec_lo, s4
	v_add_nc_u32_e32 v12, 0x48, v17
	s_delay_alu instid0(VALU_DEP_1) | instskip(SKIP_2) | instid1(VALU_DEP_3)
	v_mad_i64_i32 v[8:9], null, v12, s6, 0
	v_mad_i64_i32 v[10:11], null, v12, s5, 0
	v_cmp_gt_i32_e64 s4, s9, v12
	v_lshlrev_b64 v[8:9], 3, v[8:9]
	s_delay_alu instid0(VALU_DEP_2) | instskip(NEXT) | instid1(VALU_DEP_3)
	s_and_b32 s11, s0, s4
	v_lshlrev_b64 v[10:11], 3, v[10:11]
	s_delay_alu instid0(VALU_DEP_2) | instskip(NEXT) | instid1(VALU_DEP_3)
	v_add_co_u32 v14, vcc_lo, s16, v8
	v_add_co_ci_u32_e32 v15, vcc_lo, s17, v9, vcc_lo
	s_delay_alu instid0(VALU_DEP_3) | instskip(NEXT) | instid1(VALU_DEP_4)
	v_add_co_u32 v12, vcc_lo, s7, v10
	v_add_co_ci_u32_e32 v13, vcc_lo, s10, v11, vcc_lo
	s_and_saveexec_b32 s8, s11
	s_cbranch_execnz .LBB114_236
; %bb.233:
	s_or_b32 exec_lo, exec_lo, s8
	s_and_b32 s11, s1, s4
	s_delay_alu instid0(SALU_CYCLE_1)
	s_and_saveexec_b32 s8, s11
	s_cbranch_execnz .LBB114_240
.LBB114_234:
	s_or_b32 exec_lo, exec_lo, s8
	s_and_b32 s11, s2, s4
	s_delay_alu instid0(SALU_CYCLE_1)
	s_and_saveexec_b32 s8, s11
	s_cbranch_execnz .LBB114_244
.LBB114_235:
	s_or_b32 exec_lo, exec_lo, s8
	s_and_b32 s8, s3, s4
	s_delay_alu instid0(SALU_CYCLE_1)
	s_and_saveexec_b32 s4, s8
	s_cbranch_execnz .LBB114_248
	s_branch .LBB114_252
.LBB114_236:
	v_cmp_ne_u32_e32 vcc_lo, 1, v16
	s_cbranch_vccnz .LBB114_238
; %bb.237:
	v_lshlrev_b64 v[8:9], 3, v[0:1]
	s_delay_alu instid0(VALU_DEP_1) | instskip(NEXT) | instid1(VALU_DEP_2)
	v_add_co_u32 v8, vcc_lo, v14, v8
	v_add_co_ci_u32_e32 v9, vcc_lo, v15, v9, vcc_lo
	flat_load_b64 v[8:9], v[8:9]
	s_waitcnt vmcnt(0) lgkmcnt(0)
	v_mul_f64 v[8:9], s[12:13], v[8:9]
	s_branch .LBB114_239
.LBB114_238:
	v_mov_b32_e32 v8, 0
	v_mov_b32_e32 v9, 0
.LBB114_239:
	s_delay_alu instid0(VALU_DEP_1) | instskip(SKIP_2) | instid1(VALU_DEP_1)
	v_cvt_f32_f64_e32 v8, v[8:9]
	v_max_f32_e32 v9, v156, v156
	v_lshlrev_b64 v[10:11], 3, v[0:1]
	v_add_co_u32 v10, vcc_lo, v12, v10
	s_delay_alu instid0(VALU_DEP_2) | instskip(NEXT) | instid1(VALU_DEP_4)
	v_add_co_ci_u32_e32 v11, vcc_lo, v13, v11, vcc_lo
	v_min_f32_e32 v8, v8, v9
	s_delay_alu instid0(VALU_DEP_1) | instskip(SKIP_3) | instid1(SALU_CYCLE_1)
	v_cvt_f64_f32_e32 v[8:9], v8
	global_store_b64 v[10:11], v[8:9], off
	s_or_b32 exec_lo, exec_lo, s8
	s_and_b32 s11, s1, s4
	s_and_saveexec_b32 s8, s11
	s_cbranch_execz .LBB114_234
.LBB114_240:
	v_cmp_ne_u32_e32 vcc_lo, 1, v16
	s_cbranch_vccnz .LBB114_242
; %bb.241:
	v_lshlrev_b64 v[8:9], 3, v[2:3]
	s_delay_alu instid0(VALU_DEP_1) | instskip(NEXT) | instid1(VALU_DEP_2)
	v_add_co_u32 v8, vcc_lo, v14, v8
	v_add_co_ci_u32_e32 v9, vcc_lo, v15, v9, vcc_lo
	flat_load_b64 v[8:9], v[8:9]
	s_waitcnt vmcnt(0) lgkmcnt(0)
	v_mul_f64 v[8:9], s[12:13], v[8:9]
	s_branch .LBB114_243
.LBB114_242:
	v_mov_b32_e32 v8, 0
	v_mov_b32_e32 v9, 0
.LBB114_243:
	s_delay_alu instid0(VALU_DEP_1) | instskip(SKIP_2) | instid1(VALU_DEP_1)
	v_cvt_f32_f64_e32 v8, v[8:9]
	v_max_f32_e32 v9, v73, v73
	v_lshlrev_b64 v[10:11], 3, v[2:3]
	v_add_co_u32 v10, vcc_lo, v12, v10
	s_delay_alu instid0(VALU_DEP_2) | instskip(NEXT) | instid1(VALU_DEP_4)
	v_add_co_ci_u32_e32 v11, vcc_lo, v13, v11, vcc_lo
	v_min_f32_e32 v8, v8, v9
	s_delay_alu instid0(VALU_DEP_1) | instskip(SKIP_3) | instid1(SALU_CYCLE_1)
	v_cvt_f64_f32_e32 v[8:9], v8
	global_store_b64 v[10:11], v[8:9], off
	s_or_b32 exec_lo, exec_lo, s8
	s_and_b32 s11, s2, s4
	s_and_saveexec_b32 s8, s11
	s_cbranch_execz .LBB114_235
.LBB114_244:
	v_cmp_ne_u32_e32 vcc_lo, 1, v16
	s_cbranch_vccnz .LBB114_246
; %bb.245:
	v_lshlrev_b64 v[8:9], 3, v[4:5]
	s_delay_alu instid0(VALU_DEP_1) | instskip(NEXT) | instid1(VALU_DEP_2)
	v_add_co_u32 v8, vcc_lo, v14, v8
	v_add_co_ci_u32_e32 v9, vcc_lo, v15, v9, vcc_lo
	flat_load_b64 v[8:9], v[8:9]
	s_waitcnt vmcnt(0) lgkmcnt(0)
	v_mul_f64 v[8:9], s[12:13], v[8:9]
	s_branch .LBB114_247
.LBB114_246:
	v_mov_b32_e32 v8, 0
	v_mov_b32_e32 v9, 0
.LBB114_247:
	s_delay_alu instid0(VALU_DEP_1) | instskip(SKIP_2) | instid1(VALU_DEP_1)
	v_cvt_f32_f64_e32 v8, v[8:9]
	v_max_f32_e32 v9, v72, v72
	v_lshlrev_b64 v[10:11], 3, v[4:5]
	v_add_co_u32 v10, vcc_lo, v12, v10
	s_delay_alu instid0(VALU_DEP_2) | instskip(NEXT) | instid1(VALU_DEP_4)
	v_add_co_ci_u32_e32 v11, vcc_lo, v13, v11, vcc_lo
	v_min_f32_e32 v8, v8, v9
	s_delay_alu instid0(VALU_DEP_1) | instskip(SKIP_3) | instid1(SALU_CYCLE_1)
	v_cvt_f64_f32_e32 v[8:9], v8
	global_store_b64 v[10:11], v[8:9], off
	s_or_b32 exec_lo, exec_lo, s8
	s_and_b32 s8, s3, s4
	s_and_saveexec_b32 s4, s8
	s_cbranch_execz .LBB114_252
.LBB114_248:
	v_cmp_ne_u32_e32 vcc_lo, 1, v16
	s_cbranch_vccnz .LBB114_250
; %bb.249:
	v_lshlrev_b64 v[8:9], 3, v[6:7]
	s_delay_alu instid0(VALU_DEP_1) | instskip(NEXT) | instid1(VALU_DEP_2)
	v_add_co_u32 v8, vcc_lo, v14, v8
	v_add_co_ci_u32_e32 v9, vcc_lo, v15, v9, vcc_lo
	flat_load_b64 v[8:9], v[8:9]
	s_waitcnt vmcnt(0) lgkmcnt(0)
	v_mul_f64 v[8:9], s[12:13], v[8:9]
	s_branch .LBB114_251
.LBB114_250:
	v_mov_b32_e32 v8, 0
	v_mov_b32_e32 v9, 0
.LBB114_251:
	s_delay_alu instid0(VALU_DEP_1) | instskip(SKIP_2) | instid1(VALU_DEP_1)
	v_cvt_f32_f64_e32 v8, v[8:9]
	v_max_f32_e32 v9, v62, v62
	v_lshlrev_b64 v[10:11], 3, v[6:7]
	v_add_co_u32 v10, vcc_lo, v12, v10
	s_delay_alu instid0(VALU_DEP_2) | instskip(NEXT) | instid1(VALU_DEP_4)
	v_add_co_ci_u32_e32 v11, vcc_lo, v13, v11, vcc_lo
	v_min_f32_e32 v8, v8, v9
	s_delay_alu instid0(VALU_DEP_1)
	v_cvt_f64_f32_e32 v[8:9], v8
	global_store_b64 v[10:11], v[8:9], off
.LBB114_252:
	s_or_b32 exec_lo, exec_lo, s4
	v_add_nc_u32_e32 v12, 0x50, v17
	s_delay_alu instid0(VALU_DEP_1) | instskip(SKIP_2) | instid1(VALU_DEP_3)
	v_mad_i64_i32 v[8:9], null, v12, s6, 0
	v_mad_i64_i32 v[10:11], null, v12, s5, 0
	v_cmp_gt_i32_e64 s4, s9, v12
	v_lshlrev_b64 v[8:9], 3, v[8:9]
	s_delay_alu instid0(VALU_DEP_2) | instskip(NEXT) | instid1(VALU_DEP_3)
	s_and_b32 s11, s0, s4
	v_lshlrev_b64 v[10:11], 3, v[10:11]
	s_delay_alu instid0(VALU_DEP_2) | instskip(NEXT) | instid1(VALU_DEP_3)
	v_add_co_u32 v14, vcc_lo, s16, v8
	v_add_co_ci_u32_e32 v15, vcc_lo, s17, v9, vcc_lo
	s_delay_alu instid0(VALU_DEP_3) | instskip(NEXT) | instid1(VALU_DEP_4)
	v_add_co_u32 v12, vcc_lo, s7, v10
	v_add_co_ci_u32_e32 v13, vcc_lo, s10, v11, vcc_lo
	s_and_saveexec_b32 s8, s11
	s_cbranch_execz .LBB114_257
; %bb.253:
	v_cmp_ne_u32_e32 vcc_lo, 1, v16
	s_cbranch_vccnz .LBB114_255
; %bb.254:
	v_lshlrev_b64 v[8:9], 3, v[0:1]
	s_delay_alu instid0(VALU_DEP_1) | instskip(NEXT) | instid1(VALU_DEP_2)
	v_add_co_u32 v8, vcc_lo, v14, v8
	v_add_co_ci_u32_e32 v9, vcc_lo, v15, v9, vcc_lo
	flat_load_b64 v[8:9], v[8:9]
	s_waitcnt vmcnt(0) lgkmcnt(0)
	v_mul_f64 v[8:9], s[12:13], v[8:9]
	s_branch .LBB114_256
.LBB114_255:
	v_mov_b32_e32 v8, 0
	v_mov_b32_e32 v9, 0
.LBB114_256:
	s_delay_alu instid0(VALU_DEP_1) | instskip(SKIP_2) | instid1(VALU_DEP_1)
	v_cvt_f32_f64_e32 v8, v[8:9]
	v_max_f32_e32 v9, v22, v22
	v_lshlrev_b64 v[10:11], 3, v[0:1]
	v_add_co_u32 v10, vcc_lo, v12, v10
	s_delay_alu instid0(VALU_DEP_2) | instskip(NEXT) | instid1(VALU_DEP_4)
	v_add_co_ci_u32_e32 v11, vcc_lo, v13, v11, vcc_lo
	v_min_f32_e32 v8, v8, v9
	s_delay_alu instid0(VALU_DEP_1)
	v_cvt_f64_f32_e32 v[8:9], v8
	global_store_b64 v[10:11], v[8:9], off
.LBB114_257:
	s_or_b32 exec_lo, exec_lo, s8
	v_mov_b32_e32 v10, v21
	s_and_b32 s11, s1, s4
	s_delay_alu instid0(SALU_CYCLE_1)
	s_and_saveexec_b32 s8, s11
	s_cbranch_execnz .LBB114_260
; %bb.258:
	s_or_b32 exec_lo, exec_lo, s8
	s_and_b32 s11, s2, s4
	s_delay_alu instid0(SALU_CYCLE_1)
	s_and_saveexec_b32 s8, s11
	s_cbranch_execnz .LBB114_264
.LBB114_259:
	s_or_b32 exec_lo, exec_lo, s8
	s_and_b32 s8, s3, s4
	s_delay_alu instid0(SALU_CYCLE_1)
	s_and_saveexec_b32 s4, s8
	s_cbranch_execnz .LBB114_268
	s_branch .LBB114_272
.LBB114_260:
	v_cmp_ne_u32_e32 vcc_lo, 1, v16
	s_cbranch_vccnz .LBB114_262
; %bb.261:
	v_lshlrev_b64 v[8:9], 3, v[2:3]
	s_delay_alu instid0(VALU_DEP_1) | instskip(NEXT) | instid1(VALU_DEP_2)
	v_add_co_u32 v8, vcc_lo, v14, v8
	v_add_co_ci_u32_e32 v9, vcc_lo, v15, v9, vcc_lo
	flat_load_b64 v[8:9], v[8:9]
	s_waitcnt vmcnt(0) lgkmcnt(0)
	v_mul_f64 v[8:9], s[12:13], v[8:9]
	s_branch .LBB114_263
.LBB114_262:
	v_mov_b32_e32 v8, 0
	v_mov_b32_e32 v9, 0
.LBB114_263:
	s_delay_alu instid0(VALU_DEP_1) | instskip(SKIP_2) | instid1(VALU_DEP_1)
	v_cvt_f32_f64_e32 v8, v[8:9]
	v_max_f32_e32 v9, v151, v151
	v_lshlrev_b64 v[10:11], 3, v[2:3]
	v_add_co_u32 v10, vcc_lo, v12, v10
	s_delay_alu instid0(VALU_DEP_2) | instskip(NEXT) | instid1(VALU_DEP_4)
	v_add_co_ci_u32_e32 v11, vcc_lo, v13, v11, vcc_lo
	v_min_f32_e32 v8, v8, v9
	s_delay_alu instid0(VALU_DEP_1) | instskip(SKIP_4) | instid1(SALU_CYCLE_1)
	v_cvt_f64_f32_e32 v[8:9], v8
	global_store_b64 v[10:11], v[8:9], off
	v_mov_b32_e32 v10, v21
	s_or_b32 exec_lo, exec_lo, s8
	s_and_b32 s11, s2, s4
	s_and_saveexec_b32 s8, s11
	s_cbranch_execz .LBB114_259
.LBB114_264:
	v_cmp_ne_u32_e32 vcc_lo, 1, v16
	s_cbranch_vccnz .LBB114_266
; %bb.265:
	v_lshlrev_b64 v[8:9], 3, v[4:5]
	s_delay_alu instid0(VALU_DEP_1) | instskip(NEXT) | instid1(VALU_DEP_2)
	v_add_co_u32 v8, vcc_lo, v14, v8
	v_add_co_ci_u32_e32 v9, vcc_lo, v15, v9, vcc_lo
	flat_load_b64 v[8:9], v[8:9]
	s_waitcnt vmcnt(0) lgkmcnt(0)
	v_mul_f64 v[8:9], s[12:13], v[8:9]
	s_branch .LBB114_267
.LBB114_266:
	v_mov_b32_e32 v8, 0
	v_mov_b32_e32 v9, 0
.LBB114_267:
	s_delay_alu instid0(VALU_DEP_1) | instskip(SKIP_2) | instid1(VALU_DEP_1)
	v_cvt_f32_f64_e32 v8, v[8:9]
	v_max_f32_e32 v9, v182, v182
	v_lshlrev_b64 v[10:11], 3, v[4:5]
	v_add_co_u32 v10, vcc_lo, v12, v10
	s_delay_alu instid0(VALU_DEP_2) | instskip(NEXT) | instid1(VALU_DEP_4)
	v_add_co_ci_u32_e32 v11, vcc_lo, v13, v11, vcc_lo
	v_min_f32_e32 v8, v8, v9
	s_delay_alu instid0(VALU_DEP_1) | instskip(SKIP_4) | instid1(SALU_CYCLE_1)
	v_cvt_f64_f32_e32 v[8:9], v8
	global_store_b64 v[10:11], v[8:9], off
	v_mov_b32_e32 v10, v21
	s_or_b32 exec_lo, exec_lo, s8
	s_and_b32 s8, s3, s4
	s_and_saveexec_b32 s4, s8
	s_cbranch_execz .LBB114_272
.LBB114_268:
	v_cmp_ne_u32_e32 vcc_lo, 1, v16
	s_cbranch_vccnz .LBB114_270
; %bb.269:
	v_lshlrev_b64 v[8:9], 3, v[6:7]
	s_delay_alu instid0(VALU_DEP_1) | instskip(NEXT) | instid1(VALU_DEP_2)
	v_add_co_u32 v8, vcc_lo, v14, v8
	v_add_co_ci_u32_e32 v9, vcc_lo, v15, v9, vcc_lo
	flat_load_b64 v[8:9], v[8:9]
	s_waitcnt vmcnt(0) lgkmcnt(0)
	v_mul_f64 v[8:9], s[12:13], v[8:9]
	s_branch .LBB114_271
.LBB114_270:
	v_mov_b32_e32 v8, 0
	v_mov_b32_e32 v9, 0
.LBB114_271:
	s_delay_alu instid0(VALU_DEP_1) | instskip(SKIP_2) | instid1(VALU_DEP_1)
	v_cvt_f32_f64_e32 v8, v[8:9]
	v_max_f32_e32 v9, v10, v10
	v_lshlrev_b64 v[10:11], 3, v[6:7]
	v_add_co_u32 v10, vcc_lo, v12, v10
	s_delay_alu instid0(VALU_DEP_2) | instskip(NEXT) | instid1(VALU_DEP_4)
	v_add_co_ci_u32_e32 v11, vcc_lo, v13, v11, vcc_lo
	v_min_f32_e32 v8, v8, v9
	s_delay_alu instid0(VALU_DEP_1)
	v_cvt_f64_f32_e32 v[8:9], v8
	global_store_b64 v[10:11], v[8:9], off
.LBB114_272:
	s_or_b32 exec_lo, exec_lo, s4
	v_add_nc_u32_e32 v12, 0x58, v17
	s_delay_alu instid0(VALU_DEP_1) | instskip(SKIP_2) | instid1(VALU_DEP_3)
	v_mad_i64_i32 v[8:9], null, v12, s6, 0
	v_mad_i64_i32 v[10:11], null, v12, s5, 0
	v_cmp_gt_i32_e64 s4, s9, v12
	v_lshlrev_b64 v[8:9], 3, v[8:9]
	s_delay_alu instid0(VALU_DEP_2) | instskip(NEXT) | instid1(VALU_DEP_3)
	s_and_b32 s11, s0, s4
	v_lshlrev_b64 v[10:11], 3, v[10:11]
	s_delay_alu instid0(VALU_DEP_2) | instskip(NEXT) | instid1(VALU_DEP_3)
	v_add_co_u32 v14, vcc_lo, s16, v8
	v_add_co_ci_u32_e32 v15, vcc_lo, s17, v9, vcc_lo
	s_delay_alu instid0(VALU_DEP_3) | instskip(NEXT) | instid1(VALU_DEP_4)
	v_add_co_u32 v12, vcc_lo, s7, v10
	v_add_co_ci_u32_e32 v13, vcc_lo, s10, v11, vcc_lo
	s_and_saveexec_b32 s8, s11
	s_cbranch_execnz .LBB114_276
; %bb.273:
	s_or_b32 exec_lo, exec_lo, s8
	s_and_b32 s11, s1, s4
	s_delay_alu instid0(SALU_CYCLE_1)
	s_and_saveexec_b32 s8, s11
	s_cbranch_execnz .LBB114_280
.LBB114_274:
	s_or_b32 exec_lo, exec_lo, s8
	s_and_b32 s11, s2, s4
	s_delay_alu instid0(SALU_CYCLE_1)
	s_and_saveexec_b32 s8, s11
	s_cbranch_execnz .LBB114_284
.LBB114_275:
	s_or_b32 exec_lo, exec_lo, s8
	s_and_b32 s8, s3, s4
	s_delay_alu instid0(SALU_CYCLE_1)
	s_and_saveexec_b32 s4, s8
	s_cbranch_execnz .LBB114_288
	s_branch .LBB114_292
.LBB114_276:
	v_cmp_ne_u32_e32 vcc_lo, 1, v16
	s_cbranch_vccnz .LBB114_278
; %bb.277:
	v_lshlrev_b64 v[8:9], 3, v[0:1]
	s_delay_alu instid0(VALU_DEP_1) | instskip(NEXT) | instid1(VALU_DEP_2)
	v_add_co_u32 v8, vcc_lo, v14, v8
	v_add_co_ci_u32_e32 v9, vcc_lo, v15, v9, vcc_lo
	flat_load_b64 v[8:9], v[8:9]
	s_waitcnt vmcnt(0) lgkmcnt(0)
	v_mul_f64 v[8:9], s[12:13], v[8:9]
	s_branch .LBB114_279
.LBB114_278:
	v_mov_b32_e32 v8, 0
	v_mov_b32_e32 v9, 0
.LBB114_279:
	s_delay_alu instid0(VALU_DEP_1) | instskip(SKIP_2) | instid1(VALU_DEP_1)
	v_cvt_f32_f64_e32 v8, v[8:9]
	v_max_f32_e32 v9, v58, v58
	v_lshlrev_b64 v[10:11], 3, v[0:1]
	v_add_co_u32 v10, vcc_lo, v12, v10
	s_delay_alu instid0(VALU_DEP_2) | instskip(NEXT) | instid1(VALU_DEP_4)
	v_add_co_ci_u32_e32 v11, vcc_lo, v13, v11, vcc_lo
	v_min_f32_e32 v8, v8, v9
	s_delay_alu instid0(VALU_DEP_1) | instskip(SKIP_3) | instid1(SALU_CYCLE_1)
	v_cvt_f64_f32_e32 v[8:9], v8
	global_store_b64 v[10:11], v[8:9], off
	s_or_b32 exec_lo, exec_lo, s8
	s_and_b32 s11, s1, s4
	s_and_saveexec_b32 s8, s11
	s_cbranch_execz .LBB114_274
.LBB114_280:
	v_cmp_ne_u32_e32 vcc_lo, 1, v16
	s_cbranch_vccnz .LBB114_282
; %bb.281:
	v_lshlrev_b64 v[8:9], 3, v[2:3]
	s_delay_alu instid0(VALU_DEP_1) | instskip(NEXT) | instid1(VALU_DEP_2)
	v_add_co_u32 v8, vcc_lo, v14, v8
	v_add_co_ci_u32_e32 v9, vcc_lo, v15, v9, vcc_lo
	flat_load_b64 v[8:9], v[8:9]
	s_waitcnt vmcnt(0) lgkmcnt(0)
	v_mul_f64 v[8:9], s[12:13], v[8:9]
	s_branch .LBB114_283
.LBB114_282:
	v_mov_b32_e32 v8, 0
	v_mov_b32_e32 v9, 0
.LBB114_283:
	s_delay_alu instid0(VALU_DEP_1) | instskip(SKIP_2) | instid1(VALU_DEP_1)
	v_cvt_f32_f64_e32 v8, v[8:9]
	v_max_f32_e32 v9, v219, v219
	v_lshlrev_b64 v[10:11], 3, v[2:3]
	v_add_co_u32 v10, vcc_lo, v12, v10
	s_delay_alu instid0(VALU_DEP_2) | instskip(NEXT) | instid1(VALU_DEP_4)
	v_add_co_ci_u32_e32 v11, vcc_lo, v13, v11, vcc_lo
	v_min_f32_e32 v8, v8, v9
	s_delay_alu instid0(VALU_DEP_1) | instskip(SKIP_3) | instid1(SALU_CYCLE_1)
	v_cvt_f64_f32_e32 v[8:9], v8
	global_store_b64 v[10:11], v[8:9], off
	s_or_b32 exec_lo, exec_lo, s8
	s_and_b32 s11, s2, s4
	s_and_saveexec_b32 s8, s11
	s_cbranch_execz .LBB114_275
.LBB114_284:
	v_cmp_ne_u32_e32 vcc_lo, 1, v16
	s_cbranch_vccnz .LBB114_286
; %bb.285:
	v_lshlrev_b64 v[8:9], 3, v[4:5]
	s_delay_alu instid0(VALU_DEP_1) | instskip(NEXT) | instid1(VALU_DEP_2)
	v_add_co_u32 v8, vcc_lo, v14, v8
	v_add_co_ci_u32_e32 v9, vcc_lo, v15, v9, vcc_lo
	flat_load_b64 v[8:9], v[8:9]
	s_waitcnt vmcnt(0) lgkmcnt(0)
	v_mul_f64 v[8:9], s[12:13], v[8:9]
	s_branch .LBB114_287
.LBB114_286:
	v_mov_b32_e32 v8, 0
	v_mov_b32_e32 v9, 0
.LBB114_287:
	s_delay_alu instid0(VALU_DEP_1) | instskip(SKIP_2) | instid1(VALU_DEP_1)
	v_cvt_f32_f64_e32 v8, v[8:9]
	v_max_f32_e32 v9, v227, v227
	v_lshlrev_b64 v[10:11], 3, v[4:5]
	v_add_co_u32 v10, vcc_lo, v12, v10
	s_delay_alu instid0(VALU_DEP_2) | instskip(NEXT) | instid1(VALU_DEP_4)
	v_add_co_ci_u32_e32 v11, vcc_lo, v13, v11, vcc_lo
	v_min_f32_e32 v8, v8, v9
	s_delay_alu instid0(VALU_DEP_1) | instskip(SKIP_3) | instid1(SALU_CYCLE_1)
	v_cvt_f64_f32_e32 v[8:9], v8
	global_store_b64 v[10:11], v[8:9], off
	s_or_b32 exec_lo, exec_lo, s8
	s_and_b32 s8, s3, s4
	s_and_saveexec_b32 s4, s8
	s_cbranch_execz .LBB114_292
.LBB114_288:
	v_cmp_ne_u32_e32 vcc_lo, 1, v16
	s_cbranch_vccnz .LBB114_290
; %bb.289:
	v_lshlrev_b64 v[8:9], 3, v[6:7]
	s_delay_alu instid0(VALU_DEP_1) | instskip(NEXT) | instid1(VALU_DEP_2)
	v_add_co_u32 v8, vcc_lo, v14, v8
	v_add_co_ci_u32_e32 v9, vcc_lo, v15, v9, vcc_lo
	flat_load_b64 v[8:9], v[8:9]
	s_waitcnt vmcnt(0) lgkmcnt(0)
	v_mul_f64 v[8:9], s[12:13], v[8:9]
	s_branch .LBB114_291
.LBB114_290:
	v_mov_b32_e32 v8, 0
	v_mov_b32_e32 v9, 0
.LBB114_291:
	s_delay_alu instid0(VALU_DEP_1) | instskip(SKIP_2) | instid1(VALU_DEP_1)
	v_cvt_f32_f64_e32 v8, v[8:9]
	v_max_f32_e32 v9, v218, v218
	v_lshlrev_b64 v[10:11], 3, v[6:7]
	v_add_co_u32 v10, vcc_lo, v12, v10
	s_delay_alu instid0(VALU_DEP_2) | instskip(NEXT) | instid1(VALU_DEP_4)
	v_add_co_ci_u32_e32 v11, vcc_lo, v13, v11, vcc_lo
	v_min_f32_e32 v8, v8, v9
	s_delay_alu instid0(VALU_DEP_1)
	v_cvt_f64_f32_e32 v[8:9], v8
	global_store_b64 v[10:11], v[8:9], off
.LBB114_292:
	s_or_b32 exec_lo, exec_lo, s4
	v_add_nc_u32_e32 v12, 0x60, v17
	s_delay_alu instid0(VALU_DEP_1) | instskip(SKIP_2) | instid1(VALU_DEP_3)
	v_mad_i64_i32 v[8:9], null, v12, s6, 0
	v_mad_i64_i32 v[10:11], null, v12, s5, 0
	v_cmp_gt_i32_e64 s4, s9, v12
	v_lshlrev_b64 v[8:9], 3, v[8:9]
	s_delay_alu instid0(VALU_DEP_2) | instskip(NEXT) | instid1(VALU_DEP_3)
	s_and_b32 s11, s0, s4
	v_lshlrev_b64 v[10:11], 3, v[10:11]
	s_delay_alu instid0(VALU_DEP_2) | instskip(NEXT) | instid1(VALU_DEP_3)
	v_add_co_u32 v14, vcc_lo, s16, v8
	v_add_co_ci_u32_e32 v15, vcc_lo, s17, v9, vcc_lo
	s_delay_alu instid0(VALU_DEP_3) | instskip(NEXT) | instid1(VALU_DEP_4)
	v_add_co_u32 v12, vcc_lo, s7, v10
	v_add_co_ci_u32_e32 v13, vcc_lo, s10, v11, vcc_lo
	s_and_saveexec_b32 s8, s11
	s_cbranch_execnz .LBB114_296
; %bb.293:
	s_or_b32 exec_lo, exec_lo, s8
	s_and_b32 s11, s1, s4
	s_delay_alu instid0(SALU_CYCLE_1)
	s_and_saveexec_b32 s8, s11
	s_cbranch_execnz .LBB114_300
.LBB114_294:
	s_or_b32 exec_lo, exec_lo, s8
	s_and_b32 s11, s2, s4
	s_delay_alu instid0(SALU_CYCLE_1)
	s_and_saveexec_b32 s8, s11
	s_cbranch_execnz .LBB114_304
.LBB114_295:
	s_or_b32 exec_lo, exec_lo, s8
	s_and_b32 s8, s3, s4
	s_delay_alu instid0(SALU_CYCLE_1)
	s_and_saveexec_b32 s4, s8
	s_cbranch_execnz .LBB114_308
	s_branch .LBB114_312
.LBB114_296:
	v_cmp_ne_u32_e32 vcc_lo, 1, v16
	s_cbranch_vccnz .LBB114_298
; %bb.297:
	v_lshlrev_b64 v[8:9], 3, v[0:1]
	s_delay_alu instid0(VALU_DEP_1) | instskip(NEXT) | instid1(VALU_DEP_2)
	v_add_co_u32 v8, vcc_lo, v14, v8
	v_add_co_ci_u32_e32 v9, vcc_lo, v15, v9, vcc_lo
	flat_load_b64 v[8:9], v[8:9]
	s_waitcnt vmcnt(0) lgkmcnt(0)
	v_mul_f64 v[8:9], s[12:13], v[8:9]
	s_branch .LBB114_299
.LBB114_298:
	v_mov_b32_e32 v8, 0
	v_mov_b32_e32 v9, 0
.LBB114_299:
	s_delay_alu instid0(VALU_DEP_1) | instskip(SKIP_2) | instid1(VALU_DEP_1)
	v_cvt_f32_f64_e32 v8, v[8:9]
	v_max_f32_e32 v9, v63, v63
	v_lshlrev_b64 v[10:11], 3, v[0:1]
	v_add_co_u32 v10, vcc_lo, v12, v10
	s_delay_alu instid0(VALU_DEP_2) | instskip(NEXT) | instid1(VALU_DEP_4)
	v_add_co_ci_u32_e32 v11, vcc_lo, v13, v11, vcc_lo
	v_min_f32_e32 v8, v8, v9
	s_delay_alu instid0(VALU_DEP_1) | instskip(SKIP_3) | instid1(SALU_CYCLE_1)
	v_cvt_f64_f32_e32 v[8:9], v8
	global_store_b64 v[10:11], v[8:9], off
	s_or_b32 exec_lo, exec_lo, s8
	s_and_b32 s11, s1, s4
	s_and_saveexec_b32 s8, s11
	s_cbranch_execz .LBB114_294
.LBB114_300:
	v_cmp_ne_u32_e32 vcc_lo, 1, v16
	s_cbranch_vccnz .LBB114_302
; %bb.301:
	v_lshlrev_b64 v[8:9], 3, v[2:3]
	s_delay_alu instid0(VALU_DEP_1) | instskip(NEXT) | instid1(VALU_DEP_2)
	v_add_co_u32 v8, vcc_lo, v14, v8
	v_add_co_ci_u32_e32 v9, vcc_lo, v15, v9, vcc_lo
	flat_load_b64 v[8:9], v[8:9]
	s_waitcnt vmcnt(0) lgkmcnt(0)
	v_mul_f64 v[8:9], s[12:13], v[8:9]
	s_branch .LBB114_303
.LBB114_302:
	v_mov_b32_e32 v8, 0
	v_mov_b32_e32 v9, 0
.LBB114_303:
	s_delay_alu instid0(VALU_DEP_1) | instskip(SKIP_2) | instid1(VALU_DEP_1)
	v_cvt_f32_f64_e32 v8, v[8:9]
	v_max_f32_e32 v9, v221, v221
	v_lshlrev_b64 v[10:11], 3, v[2:3]
	v_add_co_u32 v10, vcc_lo, v12, v10
	s_delay_alu instid0(VALU_DEP_2) | instskip(NEXT) | instid1(VALU_DEP_4)
	v_add_co_ci_u32_e32 v11, vcc_lo, v13, v11, vcc_lo
	v_min_f32_e32 v8, v8, v9
	s_delay_alu instid0(VALU_DEP_1) | instskip(SKIP_3) | instid1(SALU_CYCLE_1)
	v_cvt_f64_f32_e32 v[8:9], v8
	global_store_b64 v[10:11], v[8:9], off
	s_or_b32 exec_lo, exec_lo, s8
	s_and_b32 s11, s2, s4
	s_and_saveexec_b32 s8, s11
	s_cbranch_execz .LBB114_295
.LBB114_304:
	v_cmp_ne_u32_e32 vcc_lo, 1, v16
	s_cbranch_vccnz .LBB114_306
; %bb.305:
	v_lshlrev_b64 v[8:9], 3, v[4:5]
	s_delay_alu instid0(VALU_DEP_1) | instskip(NEXT) | instid1(VALU_DEP_2)
	v_add_co_u32 v8, vcc_lo, v14, v8
	v_add_co_ci_u32_e32 v9, vcc_lo, v15, v9, vcc_lo
	flat_load_b64 v[8:9], v[8:9]
	s_waitcnt vmcnt(0) lgkmcnt(0)
	v_mul_f64 v[8:9], s[12:13], v[8:9]
	s_branch .LBB114_307
.LBB114_306:
	v_mov_b32_e32 v8, 0
	v_mov_b32_e32 v9, 0
.LBB114_307:
	s_delay_alu instid0(VALU_DEP_1) | instskip(SKIP_2) | instid1(VALU_DEP_1)
	v_cvt_f32_f64_e32 v8, v[8:9]
	v_max_f32_e32 v9, v113, v113
	v_lshlrev_b64 v[10:11], 3, v[4:5]
	v_add_co_u32 v10, vcc_lo, v12, v10
	s_delay_alu instid0(VALU_DEP_2) | instskip(NEXT) | instid1(VALU_DEP_4)
	v_add_co_ci_u32_e32 v11, vcc_lo, v13, v11, vcc_lo
	v_min_f32_e32 v8, v8, v9
	s_delay_alu instid0(VALU_DEP_1) | instskip(SKIP_3) | instid1(SALU_CYCLE_1)
	v_cvt_f64_f32_e32 v[8:9], v8
	global_store_b64 v[10:11], v[8:9], off
	s_or_b32 exec_lo, exec_lo, s8
	s_and_b32 s8, s3, s4
	s_and_saveexec_b32 s4, s8
	s_cbranch_execz .LBB114_312
.LBB114_308:
	v_cmp_ne_u32_e32 vcc_lo, 1, v16
	s_cbranch_vccnz .LBB114_310
; %bb.309:
	v_lshlrev_b64 v[8:9], 3, v[6:7]
	s_delay_alu instid0(VALU_DEP_1) | instskip(NEXT) | instid1(VALU_DEP_2)
	v_add_co_u32 v8, vcc_lo, v14, v8
	v_add_co_ci_u32_e32 v9, vcc_lo, v15, v9, vcc_lo
	flat_load_b64 v[8:9], v[8:9]
	s_waitcnt vmcnt(0) lgkmcnt(0)
	v_mul_f64 v[8:9], s[12:13], v[8:9]
	s_branch .LBB114_311
.LBB114_310:
	v_mov_b32_e32 v8, 0
	v_mov_b32_e32 v9, 0
.LBB114_311:
	s_delay_alu instid0(VALU_DEP_1) | instskip(SKIP_2) | instid1(VALU_DEP_1)
	v_cvt_f32_f64_e32 v8, v[8:9]
	v_max_f32_e32 v9, v233, v233
	v_lshlrev_b64 v[10:11], 3, v[6:7]
	v_add_co_u32 v10, vcc_lo, v12, v10
	s_delay_alu instid0(VALU_DEP_2) | instskip(NEXT) | instid1(VALU_DEP_4)
	v_add_co_ci_u32_e32 v11, vcc_lo, v13, v11, vcc_lo
	v_min_f32_e32 v8, v8, v9
	s_delay_alu instid0(VALU_DEP_1)
	v_cvt_f64_f32_e32 v[8:9], v8
	global_store_b64 v[10:11], v[8:9], off
.LBB114_312:
	s_or_b32 exec_lo, exec_lo, s4
	v_add_nc_u32_e32 v12, 0x68, v17
	s_delay_alu instid0(VALU_DEP_1) | instskip(SKIP_2) | instid1(VALU_DEP_3)
	v_mad_i64_i32 v[8:9], null, v12, s6, 0
	v_mad_i64_i32 v[10:11], null, v12, s5, 0
	v_cmp_gt_i32_e64 s4, s9, v12
	v_lshlrev_b64 v[8:9], 3, v[8:9]
	s_delay_alu instid0(VALU_DEP_2) | instskip(NEXT) | instid1(VALU_DEP_3)
	s_and_b32 s11, s0, s4
	v_lshlrev_b64 v[10:11], 3, v[10:11]
	s_delay_alu instid0(VALU_DEP_2) | instskip(NEXT) | instid1(VALU_DEP_3)
	v_add_co_u32 v14, vcc_lo, s16, v8
	v_add_co_ci_u32_e32 v15, vcc_lo, s17, v9, vcc_lo
	s_delay_alu instid0(VALU_DEP_3) | instskip(NEXT) | instid1(VALU_DEP_4)
	v_add_co_u32 v12, vcc_lo, s7, v10
	v_add_co_ci_u32_e32 v13, vcc_lo, s10, v11, vcc_lo
	s_and_saveexec_b32 s8, s11
	s_cbranch_execnz .LBB114_316
; %bb.313:
	s_or_b32 exec_lo, exec_lo, s8
	s_and_b32 s11, s1, s4
	s_delay_alu instid0(SALU_CYCLE_1)
	s_and_saveexec_b32 s8, s11
	s_cbranch_execnz .LBB114_320
.LBB114_314:
	s_or_b32 exec_lo, exec_lo, s8
	s_and_b32 s11, s2, s4
	s_delay_alu instid0(SALU_CYCLE_1)
	s_and_saveexec_b32 s8, s11
	s_cbranch_execnz .LBB114_324
.LBB114_315:
	s_or_b32 exec_lo, exec_lo, s8
	s_and_b32 s8, s3, s4
	s_delay_alu instid0(SALU_CYCLE_1)
	s_and_saveexec_b32 s4, s8
	s_cbranch_execnz .LBB114_328
	s_branch .LBB114_332
.LBB114_316:
	v_cmp_ne_u32_e32 vcc_lo, 1, v16
	s_cbranch_vccnz .LBB114_318
; %bb.317:
	v_lshlrev_b64 v[8:9], 3, v[0:1]
	s_delay_alu instid0(VALU_DEP_1) | instskip(NEXT) | instid1(VALU_DEP_2)
	v_add_co_u32 v8, vcc_lo, v14, v8
	v_add_co_ci_u32_e32 v9, vcc_lo, v15, v9, vcc_lo
	flat_load_b64 v[8:9], v[8:9]
	s_waitcnt vmcnt(0) lgkmcnt(0)
	v_mul_f64 v[8:9], s[12:13], v[8:9]
	s_branch .LBB114_319
.LBB114_318:
	v_mov_b32_e32 v8, 0
	v_mov_b32_e32 v9, 0
.LBB114_319:
	s_delay_alu instid0(VALU_DEP_1) | instskip(SKIP_2) | instid1(VALU_DEP_1)
	v_cvt_f32_f64_e32 v8, v[8:9]
	v_max_f32_e32 v9, v255, v255
	v_lshlrev_b64 v[10:11], 3, v[0:1]
	v_add_co_u32 v10, vcc_lo, v12, v10
	s_delay_alu instid0(VALU_DEP_2) | instskip(NEXT) | instid1(VALU_DEP_4)
	v_add_co_ci_u32_e32 v11, vcc_lo, v13, v11, vcc_lo
	v_min_f32_e32 v8, v8, v9
	s_delay_alu instid0(VALU_DEP_1) | instskip(SKIP_3) | instid1(SALU_CYCLE_1)
	v_cvt_f64_f32_e32 v[8:9], v8
	global_store_b64 v[10:11], v[8:9], off
	s_or_b32 exec_lo, exec_lo, s8
	s_and_b32 s11, s1, s4
	s_and_saveexec_b32 s8, s11
	s_cbranch_execz .LBB114_314
.LBB114_320:
	v_cmp_ne_u32_e32 vcc_lo, 1, v16
	s_cbranch_vccnz .LBB114_322
; %bb.321:
	v_lshlrev_b64 v[8:9], 3, v[2:3]
	s_delay_alu instid0(VALU_DEP_1) | instskip(NEXT) | instid1(VALU_DEP_2)
	v_add_co_u32 v8, vcc_lo, v14, v8
	v_add_co_ci_u32_e32 v9, vcc_lo, v15, v9, vcc_lo
	flat_load_b64 v[8:9], v[8:9]
	s_waitcnt vmcnt(0) lgkmcnt(0)
	v_mul_f64 v[8:9], s[12:13], v[8:9]
	s_branch .LBB114_323
.LBB114_322:
	v_mov_b32_e32 v8, 0
	v_mov_b32_e32 v9, 0
.LBB114_323:
	s_delay_alu instid0(VALU_DEP_1) | instskip(SKIP_2) | instid1(VALU_DEP_1)
	v_cvt_f32_f64_e32 v8, v[8:9]
	v_max_f32_e32 v9, v228, v228
	v_lshlrev_b64 v[10:11], 3, v[2:3]
	v_add_co_u32 v10, vcc_lo, v12, v10
	s_delay_alu instid0(VALU_DEP_2) | instskip(NEXT) | instid1(VALU_DEP_4)
	v_add_co_ci_u32_e32 v11, vcc_lo, v13, v11, vcc_lo
	v_min_f32_e32 v8, v8, v9
	s_delay_alu instid0(VALU_DEP_1) | instskip(SKIP_3) | instid1(SALU_CYCLE_1)
	v_cvt_f64_f32_e32 v[8:9], v8
	global_store_b64 v[10:11], v[8:9], off
	s_or_b32 exec_lo, exec_lo, s8
	s_and_b32 s11, s2, s4
	s_and_saveexec_b32 s8, s11
	s_cbranch_execz .LBB114_315
.LBB114_324:
	v_cmp_ne_u32_e32 vcc_lo, 1, v16
	s_cbranch_vccnz .LBB114_326
; %bb.325:
	v_lshlrev_b64 v[8:9], 3, v[4:5]
	s_delay_alu instid0(VALU_DEP_1) | instskip(NEXT) | instid1(VALU_DEP_2)
	v_add_co_u32 v8, vcc_lo, v14, v8
	v_add_co_ci_u32_e32 v9, vcc_lo, v15, v9, vcc_lo
	flat_load_b64 v[8:9], v[8:9]
	s_waitcnt vmcnt(0) lgkmcnt(0)
	v_mul_f64 v[8:9], s[12:13], v[8:9]
	s_branch .LBB114_327
.LBB114_326:
	v_mov_b32_e32 v8, 0
	v_mov_b32_e32 v9, 0
.LBB114_327:
	s_delay_alu instid0(VALU_DEP_1) | instskip(SKIP_2) | instid1(VALU_DEP_1)
	v_cvt_f32_f64_e32 v8, v[8:9]
	v_max_f32_e32 v9, v223, v223
	v_lshlrev_b64 v[10:11], 3, v[4:5]
	v_add_co_u32 v10, vcc_lo, v12, v10
	s_delay_alu instid0(VALU_DEP_2) | instskip(NEXT) | instid1(VALU_DEP_4)
	v_add_co_ci_u32_e32 v11, vcc_lo, v13, v11, vcc_lo
	v_min_f32_e32 v8, v8, v9
	s_delay_alu instid0(VALU_DEP_1) | instskip(SKIP_3) | instid1(SALU_CYCLE_1)
	v_cvt_f64_f32_e32 v[8:9], v8
	global_store_b64 v[10:11], v[8:9], off
	s_or_b32 exec_lo, exec_lo, s8
	s_and_b32 s8, s3, s4
	s_and_saveexec_b32 s4, s8
	s_cbranch_execz .LBB114_332
.LBB114_328:
	v_cmp_ne_u32_e32 vcc_lo, 1, v16
	s_cbranch_vccnz .LBB114_330
; %bb.329:
	v_lshlrev_b64 v[8:9], 3, v[6:7]
	s_delay_alu instid0(VALU_DEP_1) | instskip(NEXT) | instid1(VALU_DEP_2)
	v_add_co_u32 v8, vcc_lo, v14, v8
	v_add_co_ci_u32_e32 v9, vcc_lo, v15, v9, vcc_lo
	flat_load_b64 v[8:9], v[8:9]
	s_waitcnt vmcnt(0) lgkmcnt(0)
	v_mul_f64 v[8:9], s[12:13], v[8:9]
	s_branch .LBB114_331
.LBB114_330:
	v_mov_b32_e32 v8, 0
	v_mov_b32_e32 v9, 0
.LBB114_331:
	s_delay_alu instid0(VALU_DEP_1) | instskip(SKIP_2) | instid1(VALU_DEP_1)
	v_cvt_f32_f64_e32 v8, v[8:9]
	v_max_f32_e32 v9, v211, v211
	v_lshlrev_b64 v[10:11], 3, v[6:7]
	v_add_co_u32 v10, vcc_lo, v12, v10
	s_delay_alu instid0(VALU_DEP_2) | instskip(NEXT) | instid1(VALU_DEP_4)
	v_add_co_ci_u32_e32 v11, vcc_lo, v13, v11, vcc_lo
	v_min_f32_e32 v8, v8, v9
	s_delay_alu instid0(VALU_DEP_1)
	v_cvt_f64_f32_e32 v[8:9], v8
	global_store_b64 v[10:11], v[8:9], off
.LBB114_332:
	s_or_b32 exec_lo, exec_lo, s4
	v_add_nc_u32_e32 v12, 0x70, v17
	s_delay_alu instid0(VALU_DEP_1) | instskip(SKIP_2) | instid1(VALU_DEP_3)
	v_mad_i64_i32 v[8:9], null, v12, s6, 0
	v_mad_i64_i32 v[10:11], null, v12, s5, 0
	v_cmp_gt_i32_e64 s4, s9, v12
	v_lshlrev_b64 v[8:9], 3, v[8:9]
	s_delay_alu instid0(VALU_DEP_2) | instskip(NEXT) | instid1(VALU_DEP_3)
	s_and_b32 s11, s0, s4
	v_lshlrev_b64 v[10:11], 3, v[10:11]
	s_delay_alu instid0(VALU_DEP_2) | instskip(NEXT) | instid1(VALU_DEP_3)
	v_add_co_u32 v12, vcc_lo, s16, v8
	v_add_co_ci_u32_e32 v13, vcc_lo, s17, v9, vcc_lo
	s_delay_alu instid0(VALU_DEP_3) | instskip(NEXT) | instid1(VALU_DEP_4)
	v_add_co_u32 v8, vcc_lo, s7, v10
	v_add_co_ci_u32_e32 v9, vcc_lo, s10, v11, vcc_lo
	s_and_saveexec_b32 s8, s11
	s_cbranch_execnz .LBB114_336
; %bb.333:
	s_or_b32 exec_lo, exec_lo, s8
	s_and_b32 s11, s1, s4
	s_delay_alu instid0(SALU_CYCLE_1)
	s_and_saveexec_b32 s8, s11
	s_cbranch_execnz .LBB114_340
.LBB114_334:
	s_or_b32 exec_lo, exec_lo, s8
	s_and_b32 s11, s2, s4
	s_delay_alu instid0(SALU_CYCLE_1)
	s_and_saveexec_b32 s8, s11
	s_cbranch_execnz .LBB114_344
.LBB114_335:
	s_or_b32 exec_lo, exec_lo, s8
	s_and_b32 s8, s3, s4
	s_delay_alu instid0(SALU_CYCLE_1)
	s_and_saveexec_b32 s4, s8
	s_cbranch_execnz .LBB114_348
	s_branch .LBB114_352
.LBB114_336:
	v_cmp_ne_u32_e32 vcc_lo, 1, v16
	s_cbranch_vccnz .LBB114_338
; %bb.337:
	v_lshlrev_b64 v[10:11], 3, v[0:1]
	s_delay_alu instid0(VALU_DEP_1) | instskip(NEXT) | instid1(VALU_DEP_2)
	v_add_co_u32 v10, vcc_lo, v12, v10
	v_add_co_ci_u32_e32 v11, vcc_lo, v13, v11, vcc_lo
	flat_load_b64 v[10:11], v[10:11]
	s_waitcnt vmcnt(0) lgkmcnt(0)
	v_mul_f64 v[10:11], s[12:13], v[10:11]
	s_delay_alu instid0(VALU_DEP_1)
	v_cvt_f32_f64_e32 v14, v[10:11]
	s_branch .LBB114_339
.LBB114_338:
	v_mov_b32_e32 v14, 0
.LBB114_339:
	s_delay_alu instid0(VALU_DEP_1) | instskip(SKIP_1) | instid1(VALU_DEP_2)
	v_dual_max_f32 v10, v213, v213 :: v_dual_max_f32 v11, v14, v14
	v_lshlrev_b64 v[14:15], 3, v[0:1]
	v_min_f32_e32 v10, v11, v10
	s_delay_alu instid0(VALU_DEP_2) | instskip(NEXT) | instid1(VALU_DEP_3)
	v_add_co_u32 v14, vcc_lo, v8, v14
	v_add_co_ci_u32_e32 v15, vcc_lo, v9, v15, vcc_lo
	s_delay_alu instid0(VALU_DEP_3) | instskip(SKIP_3) | instid1(SALU_CYCLE_1)
	v_cvt_f64_f32_e32 v[10:11], v10
	global_store_b64 v[14:15], v[10:11], off
	s_or_b32 exec_lo, exec_lo, s8
	s_and_b32 s11, s1, s4
	s_and_saveexec_b32 s8, s11
	s_cbranch_execz .LBB114_334
.LBB114_340:
	v_cmp_ne_u32_e32 vcc_lo, 1, v16
	s_cbranch_vccnz .LBB114_342
; %bb.341:
	v_lshlrev_b64 v[10:11], 3, v[2:3]
	s_delay_alu instid0(VALU_DEP_1) | instskip(NEXT) | instid1(VALU_DEP_2)
	v_add_co_u32 v10, vcc_lo, v12, v10
	v_add_co_ci_u32_e32 v11, vcc_lo, v13, v11, vcc_lo
	flat_load_b64 v[10:11], v[10:11]
	s_waitcnt vmcnt(0) lgkmcnt(0)
	v_mul_f64 v[10:11], s[12:13], v[10:11]
	s_delay_alu instid0(VALU_DEP_1)
	v_cvt_f32_f64_e32 v14, v[10:11]
	s_branch .LBB114_343
.LBB114_342:
	v_mov_b32_e32 v14, 0
.LBB114_343:
	s_delay_alu instid0(VALU_DEP_1) | instskip(SKIP_1) | instid1(VALU_DEP_2)
	v_dual_max_f32 v10, v212, v212 :: v_dual_max_f32 v11, v14, v14
	v_lshlrev_b64 v[14:15], 3, v[2:3]
	v_min_f32_e32 v10, v11, v10
	s_delay_alu instid0(VALU_DEP_2) | instskip(NEXT) | instid1(VALU_DEP_3)
	v_add_co_u32 v14, vcc_lo, v8, v14
	v_add_co_ci_u32_e32 v15, vcc_lo, v9, v15, vcc_lo
	s_delay_alu instid0(VALU_DEP_3) | instskip(SKIP_3) | instid1(SALU_CYCLE_1)
	v_cvt_f64_f32_e32 v[10:11], v10
	global_store_b64 v[14:15], v[10:11], off
	s_or_b32 exec_lo, exec_lo, s8
	s_and_b32 s11, s2, s4
	s_and_saveexec_b32 s8, s11
	s_cbranch_execz .LBB114_335
.LBB114_344:
	v_cmp_ne_u32_e32 vcc_lo, 1, v16
	s_cbranch_vccnz .LBB114_346
; %bb.345:
	v_lshlrev_b64 v[10:11], 3, v[4:5]
	s_delay_alu instid0(VALU_DEP_1) | instskip(NEXT) | instid1(VALU_DEP_2)
	v_add_co_u32 v10, vcc_lo, v12, v10
	v_add_co_ci_u32_e32 v11, vcc_lo, v13, v11, vcc_lo
	flat_load_b64 v[10:11], v[10:11]
	s_waitcnt vmcnt(0) lgkmcnt(0)
	v_mul_f64 v[10:11], s[12:13], v[10:11]
	s_delay_alu instid0(VALU_DEP_1)
	v_cvt_f32_f64_e32 v14, v[10:11]
	s_branch .LBB114_347
.LBB114_346:
	v_mov_b32_e32 v14, 0
.LBB114_347:
	v_max_f32_e32 v10, v210, v210
	s_delay_alu instid0(VALU_DEP_2) | instskip(SKIP_1) | instid1(VALU_DEP_2)
	v_max_f32_e32 v11, v14, v14
	v_lshlrev_b64 v[14:15], 3, v[4:5]
	v_min_f32_e32 v10, v11, v10
	s_delay_alu instid0(VALU_DEP_2) | instskip(NEXT) | instid1(VALU_DEP_3)
	v_add_co_u32 v14, vcc_lo, v8, v14
	v_add_co_ci_u32_e32 v15, vcc_lo, v9, v15, vcc_lo
	s_delay_alu instid0(VALU_DEP_3) | instskip(SKIP_3) | instid1(SALU_CYCLE_1)
	v_cvt_f64_f32_e32 v[10:11], v10
	global_store_b64 v[14:15], v[10:11], off
	s_or_b32 exec_lo, exec_lo, s8
	s_and_b32 s8, s3, s4
	s_and_saveexec_b32 s4, s8
	s_cbranch_execz .LBB114_352
.LBB114_348:
	v_cmp_ne_u32_e32 vcc_lo, 1, v16
	s_cbranch_vccnz .LBB114_350
; %bb.349:
	v_lshlrev_b64 v[10:11], 3, v[6:7]
	s_delay_alu instid0(VALU_DEP_1) | instskip(NEXT) | instid1(VALU_DEP_2)
	v_add_co_u32 v10, vcc_lo, v12, v10
	v_add_co_ci_u32_e32 v11, vcc_lo, v13, v11, vcc_lo
	flat_load_b64 v[10:11], v[10:11]
	s_waitcnt vmcnt(0) lgkmcnt(0)
	v_mul_f64 v[10:11], s[12:13], v[10:11]
	s_delay_alu instid0(VALU_DEP_1)
	v_cvt_f32_f64_e32 v12, v[10:11]
	s_branch .LBB114_351
.LBB114_350:
	v_mov_b32_e32 v12, 0
.LBB114_351:
	s_delay_alu instid0(VALU_DEP_1) | instskip(SKIP_1) | instid1(VALU_DEP_2)
	v_dual_max_f32 v10, v209, v209 :: v_dual_max_f32 v11, v12, v12
	v_lshlrev_b64 v[12:13], 3, v[6:7]
	v_min_f32_e32 v10, v11, v10
	s_delay_alu instid0(VALU_DEP_2) | instskip(NEXT) | instid1(VALU_DEP_3)
	v_add_co_u32 v8, vcc_lo, v8, v12
	v_add_co_ci_u32_e32 v9, vcc_lo, v9, v13, vcc_lo
	s_delay_alu instid0(VALU_DEP_3)
	v_cvt_f64_f32_e32 v[10:11], v10
	global_store_b64 v[8:9], v[10:11], off
.LBB114_352:
	s_or_b32 exec_lo, exec_lo, s4
	v_add_nc_u32_e32 v12, 0x78, v17
	s_delay_alu instid0(VALU_DEP_1) | instskip(SKIP_2) | instid1(VALU_DEP_3)
	v_mad_i64_i32 v[8:9], null, v12, s6, 0
	v_mad_i64_i32 v[10:11], null, v12, s5, 0
	v_cmp_gt_i32_e64 s4, s9, v12
	v_lshlrev_b64 v[8:9], 3, v[8:9]
	s_delay_alu instid0(VALU_DEP_2) | instskip(NEXT) | instid1(VALU_DEP_3)
	s_and_b32 s5, s0, s4
	v_lshlrev_b64 v[13:14], 3, v[10:11]
	s_delay_alu instid0(VALU_DEP_2) | instskip(NEXT) | instid1(VALU_DEP_3)
	v_add_co_u32 v11, vcc_lo, s16, v8
	v_add_co_ci_u32_e32 v12, vcc_lo, s17, v9, vcc_lo
	s_delay_alu instid0(VALU_DEP_3) | instskip(NEXT) | instid1(VALU_DEP_4)
	v_add_co_u32 v8, vcc_lo, s7, v13
	v_add_co_ci_u32_e32 v9, vcc_lo, s10, v14, vcc_lo
	s_and_saveexec_b32 s0, s5
	s_cbranch_execnz .LBB114_357
; %bb.353:
	s_or_b32 exec_lo, exec_lo, s0
	s_and_b32 s1, s1, s4
	s_delay_alu instid0(SALU_CYCLE_1)
	s_and_saveexec_b32 s0, s1
	s_cbranch_execnz .LBB114_361
.LBB114_354:
	s_or_b32 exec_lo, exec_lo, s0
	s_and_b32 s1, s2, s4
	s_delay_alu instid0(SALU_CYCLE_1)
	s_and_saveexec_b32 s0, s1
	s_cbranch_execnz .LBB114_365
.LBB114_355:
	s_or_b32 exec_lo, exec_lo, s0
	s_and_b32 s0, s3, s4
	s_delay_alu instid0(SALU_CYCLE_1)
	s_and_saveexec_b32 s1, s0
	s_cbranch_execnz .LBB114_369
.LBB114_356:
	s_endpgm
.LBB114_357:
	v_cmp_ne_u32_e32 vcc_lo, 1, v16
	v_lshlrev_b64 v[0:1], 3, v[0:1]
	s_cbranch_vccnz .LBB114_359
; %bb.358:
	s_delay_alu instid0(VALU_DEP_1) | instskip(NEXT) | instid1(VALU_DEP_2)
	v_add_co_u32 v13, vcc_lo, v11, v0
	v_add_co_ci_u32_e32 v14, vcc_lo, v12, v1, vcc_lo
	flat_load_b64 v[13:14], v[13:14]
	s_waitcnt vmcnt(0) lgkmcnt(0)
	v_mul_f64 v[13:14], s[12:13], v[13:14]
	s_delay_alu instid0(VALU_DEP_1)
	v_cvt_f32_f64_e32 v13, v[13:14]
	s_branch .LBB114_360
.LBB114_359:
	v_mov_b32_e32 v13, 0
.LBB114_360:
	s_delay_alu instid0(VALU_DEP_1) | instskip(NEXT) | instid1(VALU_DEP_3)
	v_dual_max_f32 v10, v208, v208 :: v_dual_max_f32 v13, v13, v13
	v_add_co_u32 v0, vcc_lo, v8, v0
	s_delay_alu instid0(VALU_DEP_4) | instskip(NEXT) | instid1(VALU_DEP_3)
	v_add_co_ci_u32_e32 v1, vcc_lo, v9, v1, vcc_lo
	v_min_f32_e32 v10, v13, v10
	s_delay_alu instid0(VALU_DEP_1) | instskip(SKIP_3) | instid1(SALU_CYCLE_1)
	v_cvt_f64_f32_e32 v[13:14], v10
	global_store_b64 v[0:1], v[13:14], off
	s_or_b32 exec_lo, exec_lo, s0
	s_and_b32 s1, s1, s4
	s_and_saveexec_b32 s0, s1
	s_cbranch_execz .LBB114_354
.LBB114_361:
	v_cmp_ne_u32_e32 vcc_lo, 1, v16
	v_lshlrev_b64 v[0:1], 3, v[2:3]
	s_cbranch_vccnz .LBB114_363
; %bb.362:
	s_delay_alu instid0(VALU_DEP_1) | instskip(NEXT) | instid1(VALU_DEP_2)
	v_add_co_u32 v2, vcc_lo, v11, v0
	v_add_co_ci_u32_e32 v3, vcc_lo, v12, v1, vcc_lo
	flat_load_b64 v[2:3], v[2:3]
	s_waitcnt vmcnt(0) lgkmcnt(0)
	v_mul_f64 v[2:3], s[12:13], v[2:3]
	s_delay_alu instid0(VALU_DEP_1)
	v_cvt_f32_f64_e32 v2, v[2:3]
	s_branch .LBB114_364
.LBB114_363:
	v_mov_b32_e32 v2, 0
.LBB114_364:
	s_delay_alu instid0(VALU_DEP_1) | instskip(NEXT) | instid1(VALU_DEP_3)
	v_dual_max_f32 v3, v207, v207 :: v_dual_max_f32 v2, v2, v2
	v_add_co_u32 v0, vcc_lo, v8, v0
	s_delay_alu instid0(VALU_DEP_4) | instskip(NEXT) | instid1(VALU_DEP_3)
	v_add_co_ci_u32_e32 v1, vcc_lo, v9, v1, vcc_lo
	v_min_f32_e32 v2, v2, v3
	s_delay_alu instid0(VALU_DEP_1) | instskip(SKIP_3) | instid1(SALU_CYCLE_1)
	v_cvt_f64_f32_e32 v[2:3], v2
	global_store_b64 v[0:1], v[2:3], off
	s_or_b32 exec_lo, exec_lo, s0
	s_and_b32 s1, s2, s4
	s_and_saveexec_b32 s0, s1
	s_cbranch_execz .LBB114_355
.LBB114_365:
	v_cmp_ne_u32_e32 vcc_lo, 1, v16
	v_lshlrev_b64 v[0:1], 3, v[4:5]
	s_cbranch_vccnz .LBB114_367
; %bb.366:
	s_delay_alu instid0(VALU_DEP_1) | instskip(NEXT) | instid1(VALU_DEP_2)
	v_add_co_u32 v2, vcc_lo, v11, v0
	v_add_co_ci_u32_e32 v3, vcc_lo, v12, v1, vcc_lo
	flat_load_b64 v[2:3], v[2:3]
	s_waitcnt vmcnt(0) lgkmcnt(0)
	v_mul_f64 v[2:3], s[12:13], v[2:3]
	s_delay_alu instid0(VALU_DEP_1)
	v_cvt_f32_f64_e32 v2, v[2:3]
	s_branch .LBB114_368
.LBB114_367:
	v_mov_b32_e32 v2, 0
.LBB114_368:
	v_max_f32_e32 v3, v206, v206
	s_delay_alu instid0(VALU_DEP_2) | instskip(NEXT) | instid1(VALU_DEP_4)
	v_max_f32_e32 v2, v2, v2
	v_add_co_u32 v0, vcc_lo, v8, v0
	v_add_co_ci_u32_e32 v1, vcc_lo, v9, v1, vcc_lo
	s_delay_alu instid0(VALU_DEP_3) | instskip(NEXT) | instid1(VALU_DEP_1)
	v_min_f32_e32 v2, v2, v3
	v_cvt_f64_f32_e32 v[2:3], v2
	global_store_b64 v[0:1], v[2:3], off
	s_or_b32 exec_lo, exec_lo, s0
	s_and_b32 s0, s3, s4
	s_delay_alu instid0(SALU_CYCLE_1)
	s_and_saveexec_b32 s1, s0
	s_cbranch_execz .LBB114_356
.LBB114_369:
	v_cmp_ne_u32_e32 vcc_lo, 1, v16
	v_lshlrev_b64 v[0:1], 3, v[6:7]
	s_cbranch_vccnz .LBB114_371
; %bb.370:
	s_delay_alu instid0(VALU_DEP_1) | instskip(NEXT) | instid1(VALU_DEP_2)
	v_add_co_u32 v2, vcc_lo, v11, v0
	v_add_co_ci_u32_e32 v3, vcc_lo, v12, v1, vcc_lo
	flat_load_b64 v[2:3], v[2:3]
	s_waitcnt vmcnt(0) lgkmcnt(0)
	v_mul_f64 v[2:3], s[12:13], v[2:3]
	s_delay_alu instid0(VALU_DEP_1)
	v_cvt_f32_f64_e32 v2, v[2:3]
	s_branch .LBB114_372
.LBB114_371:
	v_mov_b32_e32 v2, 0
.LBB114_372:
	s_delay_alu instid0(VALU_DEP_1) | instskip(NEXT) | instid1(VALU_DEP_3)
	v_dual_max_f32 v3, v205, v205 :: v_dual_max_f32 v2, v2, v2
	v_add_co_u32 v0, vcc_lo, v8, v0
	s_delay_alu instid0(VALU_DEP_4) | instskip(NEXT) | instid1(VALU_DEP_3)
	v_add_co_ci_u32_e32 v1, vcc_lo, v9, v1, vcc_lo
	v_min_f32_e32 v2, v2, v3
	s_delay_alu instid0(VALU_DEP_1)
	v_cvt_f64_f32_e32 v[2:3], v2
	global_store_b64 v[0:1], v[2:3], off
	s_endpgm
	.section	.rodata,"a",@progbits
	.p2align	6, 0x0
	.amdhsa_kernel _ZN12_GLOBAL__N_120geam_min_plus_kernelId15HIP_vector_typeIdLj2EEdLi32ELi8ELi128ELi128ELi4ELi4ELi64ELi4ELi64ELc84ELc78ELb0ELb1ELb1EPKdKS4_KPdEEviiiT16_PT17_ilSA_ilS8_SA_ilPT18_ili26rocblas_geam_ex_operation_
		.amdhsa_group_segment_fixed_size 16384
		.amdhsa_private_segment_fixed_size 416
		.amdhsa_kernarg_size 136
		.amdhsa_user_sgpr_count 14
		.amdhsa_user_sgpr_dispatch_ptr 0
		.amdhsa_user_sgpr_queue_ptr 0
		.amdhsa_user_sgpr_kernarg_segment_ptr 1
		.amdhsa_user_sgpr_dispatch_id 0
		.amdhsa_user_sgpr_private_segment_size 0
		.amdhsa_wavefront_size32 1
		.amdhsa_uses_dynamic_stack 0
		.amdhsa_enable_private_segment 1
		.amdhsa_system_sgpr_workgroup_id_x 1
		.amdhsa_system_sgpr_workgroup_id_y 0
		.amdhsa_system_sgpr_workgroup_id_z 1
		.amdhsa_system_sgpr_workgroup_info 0
		.amdhsa_system_vgpr_workitem_id 1
		.amdhsa_next_free_vgpr 256
		.amdhsa_next_free_sgpr 31
		.amdhsa_reserve_vcc 1
		.amdhsa_float_round_mode_32 0
		.amdhsa_float_round_mode_16_64 0
		.amdhsa_float_denorm_mode_32 3
		.amdhsa_float_denorm_mode_16_64 3
		.amdhsa_dx10_clamp 1
		.amdhsa_ieee_mode 1
		.amdhsa_fp16_overflow 0
		.amdhsa_workgroup_processor_mode 1
		.amdhsa_memory_ordered 1
		.amdhsa_forward_progress 0
		.amdhsa_shared_vgpr_count 0
		.amdhsa_exception_fp_ieee_invalid_op 0
		.amdhsa_exception_fp_denorm_src 0
		.amdhsa_exception_fp_ieee_div_zero 0
		.amdhsa_exception_fp_ieee_overflow 0
		.amdhsa_exception_fp_ieee_underflow 0
		.amdhsa_exception_fp_ieee_inexact 0
		.amdhsa_exception_int_div_zero 0
	.end_amdhsa_kernel
	.section	.text._ZN12_GLOBAL__N_120geam_min_plus_kernelId15HIP_vector_typeIdLj2EEdLi32ELi8ELi128ELi128ELi4ELi4ELi64ELi4ELi64ELc84ELc78ELb0ELb1ELb1EPKdKS4_KPdEEviiiT16_PT17_ilSA_ilS8_SA_ilPT18_ili26rocblas_geam_ex_operation_,"axG",@progbits,_ZN12_GLOBAL__N_120geam_min_plus_kernelId15HIP_vector_typeIdLj2EEdLi32ELi8ELi128ELi128ELi4ELi4ELi64ELi4ELi64ELc84ELc78ELb0ELb1ELb1EPKdKS4_KPdEEviiiT16_PT17_ilSA_ilS8_SA_ilPT18_ili26rocblas_geam_ex_operation_,comdat
.Lfunc_end114:
	.size	_ZN12_GLOBAL__N_120geam_min_plus_kernelId15HIP_vector_typeIdLj2EEdLi32ELi8ELi128ELi128ELi4ELi4ELi64ELi4ELi64ELc84ELc78ELb0ELb1ELb1EPKdKS4_KPdEEviiiT16_PT17_ilSA_ilS8_SA_ilPT18_ili26rocblas_geam_ex_operation_, .Lfunc_end114-_ZN12_GLOBAL__N_120geam_min_plus_kernelId15HIP_vector_typeIdLj2EEdLi32ELi8ELi128ELi128ELi4ELi4ELi64ELi4ELi64ELc84ELc78ELb0ELb1ELb1EPKdKS4_KPdEEviiiT16_PT17_ilSA_ilS8_SA_ilPT18_ili26rocblas_geam_ex_operation_
                                        ; -- End function
	.section	.AMDGPU.csdata,"",@progbits
; Kernel info:
; codeLenInByte = 28232
; NumSgprs: 33
; NumVgprs: 256
; ScratchSize: 416
; MemoryBound: 0
; FloatMode: 240
; IeeeMode: 1
; LDSByteSize: 16384 bytes/workgroup (compile time only)
; SGPRBlocks: 4
; VGPRBlocks: 31
; NumSGPRsForWavesPerEU: 33
; NumVGPRsForWavesPerEU: 256
; Occupancy: 5
; WaveLimiterHint : 1
; COMPUTE_PGM_RSRC2:SCRATCH_EN: 1
; COMPUTE_PGM_RSRC2:USER_SGPR: 14
; COMPUTE_PGM_RSRC2:TRAP_HANDLER: 0
; COMPUTE_PGM_RSRC2:TGID_X_EN: 1
; COMPUTE_PGM_RSRC2:TGID_Y_EN: 0
; COMPUTE_PGM_RSRC2:TGID_Z_EN: 1
; COMPUTE_PGM_RSRC2:TIDIG_COMP_CNT: 1
	.section	.text._ZN12_GLOBAL__N_120geam_min_plus_kernelId15HIP_vector_typeIdLj2EEdLi32ELi8ELi128ELi128ELi4ELi4ELi64ELi4ELi64ELc84ELc78ELb1ELb1ELb1EdKPKdKPdEEviiiT16_PT17_ilSA_ilS8_SA_ilPT18_ili26rocblas_geam_ex_operation_,"axG",@progbits,_ZN12_GLOBAL__N_120geam_min_plus_kernelId15HIP_vector_typeIdLj2EEdLi32ELi8ELi128ELi128ELi4ELi4ELi64ELi4ELi64ELc84ELc78ELb1ELb1ELb1EdKPKdKPdEEviiiT16_PT17_ilSA_ilS8_SA_ilPT18_ili26rocblas_geam_ex_operation_,comdat
	.globl	_ZN12_GLOBAL__N_120geam_min_plus_kernelId15HIP_vector_typeIdLj2EEdLi32ELi8ELi128ELi128ELi4ELi4ELi64ELi4ELi64ELc84ELc78ELb1ELb1ELb1EdKPKdKPdEEviiiT16_PT17_ilSA_ilS8_SA_ilPT18_ili26rocblas_geam_ex_operation_ ; -- Begin function _ZN12_GLOBAL__N_120geam_min_plus_kernelId15HIP_vector_typeIdLj2EEdLi32ELi8ELi128ELi128ELi4ELi4ELi64ELi4ELi64ELc84ELc78ELb1ELb1ELb1EdKPKdKPdEEviiiT16_PT17_ilSA_ilS8_SA_ilPT18_ili26rocblas_geam_ex_operation_
	.p2align	8
	.type	_ZN12_GLOBAL__N_120geam_min_plus_kernelId15HIP_vector_typeIdLj2EEdLi32ELi8ELi128ELi128ELi4ELi4ELi64ELi4ELi64ELc84ELc78ELb1ELb1ELb1EdKPKdKPdEEviiiT16_PT17_ilSA_ilS8_SA_ilPT18_ili26rocblas_geam_ex_operation_,@function
_ZN12_GLOBAL__N_120geam_min_plus_kernelId15HIP_vector_typeIdLj2EEdLi32ELi8ELi128ELi128ELi4ELi4ELi64ELi4ELi64ELc84ELc78ELb1ELb1ELb1EdKPKdKPdEEviiiT16_PT17_ilSA_ilS8_SA_ilPT18_ili26rocblas_geam_ex_operation_: ; @_ZN12_GLOBAL__N_120geam_min_plus_kernelId15HIP_vector_typeIdLj2EEdLi32ELi8ELi128ELi128ELi4ELi4ELi64ELi4ELi64ELc84ELc78ELb1ELb1ELb1EdKPKdKPdEEviiiT16_PT17_ilSA_ilS8_SA_ilPT18_ili26rocblas_geam_ex_operation_
; %bb.0:
	s_clause 0x1
	s_load_b128 s[8:11], s[0:1], 0x10
	s_load_b128 s[4:7], s[0:1], 0x28
	s_mov_b32 s2, s15
	s_mov_b64 s[20:21], 0
	s_waitcnt lgkmcnt(0)
	v_cmp_eq_f64_e64 s15, s[8:9], 0
	s_delay_alu instid0(VALU_DEP_1)
	s_and_b32 vcc_lo, exec_lo, s15
	s_cbranch_vccnz .LBB115_2
; %bb.1:
	s_mov_b32 s3, 0
	s_delay_alu instid0(SALU_CYCLE_1) | instskip(NEXT) | instid1(SALU_CYCLE_1)
	s_lshl_b64 s[8:9], s[2:3], 3
	s_add_u32 s8, s10, s8
	s_addc_u32 s9, s11, s9
	s_lshl_b64 s[4:5], s[4:5], 3
	s_load_b64 s[8:9], s[8:9], 0x0
	s_waitcnt lgkmcnt(0)
	s_add_u32 s20, s8, s4
	s_addc_u32 s21, s9, s5
.LBB115_2:
	s_clause 0x1
	s_load_b128 s[8:11], s[0:1], 0x40
	s_load_b64 s[12:13], s[0:1], 0x50
	s_and_not1_b32 vcc_lo, exec_lo, s15
	s_cbranch_vccnz .LBB115_4
; %bb.3:
	s_mov_b32 s3, 0
	s_mov_b64 s[22:23], 0
	s_cbranch_execz .LBB115_5
	s_branch .LBB115_6
.LBB115_4:
	s_mov_b32 s3, -1
                                        ; implicit-def: $sgpr22_sgpr23
.LBB115_5:
	s_mov_b32 s3, 0
	s_delay_alu instid0(SALU_CYCLE_1) | instskip(NEXT) | instid1(SALU_CYCLE_1)
	s_lshl_b64 s[4:5], s[2:3], 3
	s_add_u32 s4, s6, s4
	s_addc_u32 s5, s7, s5
	s_waitcnt lgkmcnt(0)
	s_lshl_b64 s[6:7], s[8:9], 3
	s_load_b64 s[4:5], s[4:5], 0x0
	s_waitcnt lgkmcnt(0)
	s_add_u32 s22, s4, s6
	s_addc_u32 s23, s5, s7
.LBB115_6:
	s_waitcnt lgkmcnt(0)
	v_cmp_eq_f64_e64 s8, s[10:11], 0
	v_cmp_neq_f64_e64 s24, s[10:11], 0
	s_load_b128 s[4:7], s[0:1], 0x60
	s_delay_alu instid0(VALU_DEP_2)
	s_and_b32 vcc_lo, exec_lo, s8
	s_mov_b64 s[8:9], 0
	s_cbranch_vccnz .LBB115_8
; %bb.7:
	s_lshl_b64 s[8:9], s[2:3], 3
	s_delay_alu instid0(SALU_CYCLE_1)
	s_add_u32 s8, s12, s8
	s_addc_u32 s9, s13, s9
	s_waitcnt lgkmcnt(0)
	s_lshl_b64 s[4:5], s[4:5], 3
	s_load_b64 s[8:9], s[8:9], 0x0
	s_waitcnt lgkmcnt(0)
	s_add_u32 s8, s8, s4
	s_addc_u32 s9, s9, s5
.LBB115_8:
	s_clause 0x1
	s_load_b128 s[16:19], s[0:1], 0x0
	s_load_b32 s26, s[0:1], 0x20
	s_lshl_b64 s[2:3], s[2:3], 3
	v_and_b32_e32 v51, 0x3ff, v0
	s_waitcnt lgkmcnt(0)
	s_add_u32 s2, s6, s2
	s_addc_u32 s3, s7, s3
	v_bfe_u32 v97, v0, 10, 10
	s_delay_alu instid0(VALU_DEP_1) | instskip(NEXT) | instid1(VALU_DEP_1)
	v_lshl_add_u32 v0, v97, 5, v51
	v_lshrrev_b32_e32 v20, 2, v0
	s_add_i32 s4, s16, -1
	s_delay_alu instid0(SALU_CYCLE_1) | instskip(NEXT) | instid1(SALU_CYCLE_1)
	s_ashr_i32 s5, s4, 31
	s_lshr_b32 s5, s5, 25
	s_delay_alu instid0(SALU_CYCLE_1) | instskip(NEXT) | instid1(SALU_CYCLE_1)
	s_add_i32 s4, s4, s5
	s_ashr_i32 s4, s4, 7
	s_delay_alu instid0(SALU_CYCLE_1) | instskip(SKIP_2) | instid1(VALU_DEP_1)
	s_add_i32 s5, s4, 1
	s_not_b32 s4, s4
	v_cvt_f32_u32_e32 v1, s5
	v_rcp_iflag_f32_e32 v1, v1
	s_waitcnt_depctr 0xfff
	v_mul_f32_e32 v1, 0x4f7ffffe, v1
	s_delay_alu instid0(VALU_DEP_1) | instskip(NEXT) | instid1(VALU_DEP_1)
	v_cvt_u32_f32_e32 v1, v1
	v_readfirstlane_b32 s6, v1
	v_and_b32_e32 v1, 3, v51
	s_delay_alu instid0(VALU_DEP_2) | instskip(NEXT) | instid1(VALU_DEP_1)
	s_mul_i32 s4, s4, s6
	v_lshlrev_b32_e32 v21, 3, v1
	s_mul_hi_u32 s4, s6, s4
	v_cmp_le_i32_e32 vcc_lo, s18, v1
	s_add_i32 s6, s6, s4
	scratch_store_b32 off, v1, off offset:372 ; 4-byte Folded Spill
	s_mul_hi_u32 s4, s14, s6
	s_delay_alu instid0(SALU_CYCLE_1) | instskip(SKIP_2) | instid1(SALU_CYCLE_1)
	s_mul_i32 s6, s4, s5
	s_add_i32 s7, s4, 1
	s_sub_i32 s6, s14, s6
	s_sub_i32 s12, s6, s5
	s_cmp_ge_u32 s6, s5
	s_cselect_b32 s4, s7, s4
	s_cselect_b32 s6, s12, s6
	s_add_i32 s7, s4, 1
	s_cmp_ge_u32 s6, s5
	s_load_b64 s[12:13], s[2:3], 0x0
	s_cselect_b32 s6, s7, s4
	v_add_co_u32 v12, s3, s20, v21
	s_mul_i32 s2, s6, s5
	s_mov_b32 s4, -1
	s_sub_i32 s2, s14, s2
	s_mov_b32 s5, 0x7fefffff
	s_lshl_b32 s19, s2, 7
	v_mov_b32_e32 v0, s4
	v_add_nc_u32_e32 v14, s19, v20
	v_add_co_ci_u32_e64 v13, null, s21, 0, s3
	v_mov_b32_e32 v1, s5
	s_delay_alu instid0(VALU_DEP_3) | instskip(NEXT) | instid1(VALU_DEP_1)
	v_cmp_le_i32_e64 s2, s16, v14
	s_or_b32 s3, vcc_lo, s2
	s_delay_alu instid0(SALU_CYCLE_1) | instskip(NEXT) | instid1(SALU_CYCLE_1)
	s_xor_b32 s3, s3, -1
	s_and_saveexec_b32 s7, s3
	s_cbranch_execz .LBB115_10
; %bb.9:
	v_mad_i64_i32 v[0:1], null, v14, s26, 0
	s_delay_alu instid0(VALU_DEP_1) | instskip(NEXT) | instid1(VALU_DEP_1)
	v_lshlrev_b64 v[0:1], 3, v[0:1]
	v_add_co_u32 v0, s3, v12, v0
	s_delay_alu instid0(VALU_DEP_1)
	v_add_co_ci_u32_e64 v1, s3, v13, v1, s3
	flat_load_b64 v[0:1], v[0:1]
.LBB115_10:
	s_or_b32 exec_lo, exec_lo, s7
	v_dual_mov_b32 v2, s4 :: v_dual_add_nc_u32 v15, 64, v14
	v_mov_b32_e32 v3, s5
	s_delay_alu instid0(VALU_DEP_2) | instskip(NEXT) | instid1(VALU_DEP_1)
	v_cmp_le_i32_e64 s3, s16, v15
	s_or_b32 s4, vcc_lo, s3
	s_delay_alu instid0(SALU_CYCLE_1) | instskip(NEXT) | instid1(SALU_CYCLE_1)
	s_xor_b32 s4, s4, -1
	s_and_saveexec_b32 s5, s4
	s_cbranch_execz .LBB115_12
; %bb.11:
	v_mad_i64_i32 v[2:3], null, v15, s26, 0
	s_delay_alu instid0(VALU_DEP_1) | instskip(NEXT) | instid1(VALU_DEP_1)
	v_lshlrev_b64 v[2:3], 3, v[2:3]
	v_add_co_u32 v2, s4, v12, v2
	s_delay_alu instid0(VALU_DEP_1)
	v_add_co_ci_u32_e64 v3, s4, v13, v3, s4
	flat_load_b64 v[2:3], v[2:3]
.LBB115_12:
	s_or_b32 exec_lo, exec_lo, s5
	s_load_b32 s27, s[0:1], 0x38
	s_lshl_b32 s25, s6, 7
	s_mov_b32 s6, -1
	s_mov_b32 s7, 0x7fefffff
	v_dual_mov_b32 v4, s6 :: v_dual_add_nc_u32 v17, s25, v20
	v_add_co_u32 v22, s5, s22, v21
	s_delay_alu instid0(VALU_DEP_1) | instskip(NEXT) | instid1(VALU_DEP_3)
	v_add_co_ci_u32_e64 v23, null, s23, 0, s5
	v_cmp_le_i32_e64 s4, s17, v17
	v_mov_b32_e32 v5, s7
	s_delay_alu instid0(VALU_DEP_2) | instskip(NEXT) | instid1(SALU_CYCLE_1)
	s_or_b32 s5, vcc_lo, s4
	s_xor_b32 s5, s5, -1
	s_delay_alu instid0(SALU_CYCLE_1)
	s_and_saveexec_b32 s14, s5
	s_cbranch_execz .LBB115_14
; %bb.13:
	s_waitcnt lgkmcnt(0)
	v_mad_i64_i32 v[4:5], null, v17, s27, 0
	s_delay_alu instid0(VALU_DEP_1) | instskip(NEXT) | instid1(VALU_DEP_1)
	v_lshlrev_b64 v[4:5], 3, v[4:5]
	v_add_co_u32 v4, s5, v22, v4
	s_delay_alu instid0(VALU_DEP_1)
	v_add_co_ci_u32_e64 v5, s5, v23, v5, s5
	flat_load_b64 v[4:5], v[4:5]
.LBB115_14:
	s_or_b32 exec_lo, exec_lo, s14
	v_add_nc_u32_e32 v16, 64, v17
	v_dual_mov_b32 v6, s6 :: v_dual_mov_b32 v7, s7
	s_delay_alu instid0(VALU_DEP_2) | instskip(NEXT) | instid1(VALU_DEP_1)
	v_cmp_le_i32_e64 s5, s17, v16
	s_or_b32 s6, vcc_lo, s5
	s_delay_alu instid0(SALU_CYCLE_1) | instskip(NEXT) | instid1(SALU_CYCLE_1)
	s_xor_b32 s7, s6, -1
	s_and_saveexec_b32 s6, s7
	s_cbranch_execz .LBB115_16
; %bb.15:
	s_waitcnt lgkmcnt(0)
	v_mad_i64_i32 v[6:7], null, v16, s27, 0
	s_delay_alu instid0(VALU_DEP_1) | instskip(NEXT) | instid1(VALU_DEP_1)
	v_lshlrev_b64 v[6:7], 3, v[6:7]
	v_add_co_u32 v6, vcc_lo, v22, v6
	s_delay_alu instid0(VALU_DEP_2)
	v_add_co_ci_u32_e32 v7, vcc_lo, v23, v7, vcc_lo
	flat_load_b64 v[6:7], v[6:7]
.LBB115_16:
	s_or_b32 exec_lo, exec_lo, s6
	s_mov_b32 s14, -1
	s_mov_b32 s15, 0x7fefffff
	v_and_b32_e32 v8, 3, v51
	s_delay_alu instid0(VALU_DEP_1) | instskip(NEXT) | instid1(VALU_DEP_1)
	v_or_b32_e32 v8, 4, v8
	v_cmp_le_i32_e32 vcc_lo, s18, v8
	v_dual_mov_b32 v8, s14 :: v_dual_mov_b32 v9, s15
	s_or_b32 s6, vcc_lo, s2
	s_delay_alu instid0(SALU_CYCLE_1) | instskip(NEXT) | instid1(SALU_CYCLE_1)
	s_xor_b32 s6, s6, -1
	s_and_saveexec_b32 s7, s6
	s_cbranch_execz .LBB115_18
; %bb.17:
	v_mad_i64_i32 v[8:9], null, v14, s26, 0
	s_delay_alu instid0(VALU_DEP_1) | instskip(NEXT) | instid1(VALU_DEP_1)
	v_lshlrev_b64 v[8:9], 3, v[8:9]
	v_add_co_u32 v8, s6, v12, v8
	s_delay_alu instid0(VALU_DEP_1)
	v_add_co_ci_u32_e64 v9, s6, v13, v9, s6
	flat_load_b64 v[8:9], v[8:9] offset:32
.LBB115_18:
	s_or_b32 exec_lo, exec_lo, s7
	s_waitcnt vmcnt(0) lgkmcnt(0)
	scratch_store_b64 off, v[8:9], off offset:288 ; 8-byte Folded Spill
	v_dual_mov_b32 v8, s14 :: v_dual_mov_b32 v9, s15
	s_or_b32 s6, vcc_lo, s3
	s_delay_alu instid0(SALU_CYCLE_1) | instskip(NEXT) | instid1(SALU_CYCLE_1)
	s_xor_b32 s6, s6, -1
	s_and_saveexec_b32 s7, s6
	s_cbranch_execz .LBB115_20
; %bb.19:
	v_mad_i64_i32 v[10:11], null, v15, s26, 0
	s_delay_alu instid0(VALU_DEP_1) | instskip(NEXT) | instid1(VALU_DEP_1)
	v_lshlrev_b64 v[10:11], 3, v[10:11]
	v_add_co_u32 v10, s6, v12, v10
	s_delay_alu instid0(VALU_DEP_1)
	v_add_co_ci_u32_e64 v11, s6, v13, v11, s6
	flat_load_b64 v[8:9], v[10:11] offset:32
.LBB115_20:
	s_or_b32 exec_lo, exec_lo, s7
	v_dual_mov_b32 v10, s14 :: v_dual_mov_b32 v11, s15
	s_or_b32 s6, vcc_lo, s4
	scratch_store_b32 off, v14, off offset:324 ; 4-byte Folded Spill
	s_xor_b32 s6, s6, -1
	s_delay_alu instid0(SALU_CYCLE_1)
	s_and_saveexec_b32 s7, s6
	s_cbranch_execz .LBB115_22
; %bb.21:
	v_mad_i64_i32 v[12:13], null, v17, s27, 0
	s_delay_alu instid0(VALU_DEP_1) | instskip(NEXT) | instid1(VALU_DEP_1)
	v_lshlrev_b64 v[12:13], 3, v[12:13]
	v_add_co_u32 v12, s6, v22, v12
	s_delay_alu instid0(VALU_DEP_1)
	v_add_co_ci_u32_e64 v13, s6, v23, v13, s6
	flat_load_b64 v[10:11], v[12:13] offset:32
.LBB115_22:
	s_or_b32 exec_lo, exec_lo, s7
	scratch_store_b32 off, v17, off offset:336 ; 4-byte Folded Spill
	s_waitcnt vmcnt(0) lgkmcnt(0)
	s_clause 0x2
	scratch_store_b64 off, v[10:11], off offset:308
	scratch_store_b64 off, v[8:9], off offset:296
	scratch_store_b32 off, v15, off offset:328
	v_dual_mov_b32 v8, s14 :: v_dual_mov_b32 v9, s15
	s_or_b32 s6, vcc_lo, s5
	s_delay_alu instid0(SALU_CYCLE_1) | instskip(NEXT) | instid1(SALU_CYCLE_1)
	s_xor_b32 s7, s6, -1
	s_and_saveexec_b32 s6, s7
	s_cbranch_execz .LBB115_24
; %bb.23:
	v_mad_i64_i32 v[14:15], null, v16, s27, 0
	s_delay_alu instid0(VALU_DEP_1) | instskip(NEXT) | instid1(VALU_DEP_1)
	v_lshlrev_b64 v[14:15], 3, v[14:15]
	v_add_co_u32 v14, vcc_lo, v22, v14
	s_delay_alu instid0(VALU_DEP_2)
	v_add_co_ci_u32_e32 v15, vcc_lo, v23, v15, vcc_lo
	flat_load_b64 v[8:9], v[14:15] offset:32
.LBB115_24:
	s_or_b32 exec_lo, exec_lo, s6
	s_waitcnt vmcnt(0) lgkmcnt(0)
	s_clause 0x1
	scratch_store_b64 off, v[8:9], off offset:316
	scratch_store_b32 off, v16, off offset:332
	v_lshl_or_b32 v8, v20, 5, v21
	v_dual_mov_b32 v255, 0x7f800000 :: v_dual_mov_b32 v176, 0x7f800000
	v_dual_mov_b32 v177, 0x7f800000 :: v_dual_mov_b32 v188, 0x7f800000
	ds_store_2addr_stride64_b64 v8, v[0:1], v[2:3] offset1:4
	v_add_nc_u32_e32 v0, 0x2000, v8
	v_dual_mov_b32 v210, 0x7f800000 :: v_dual_mov_b32 v211, 0x7f800000
	v_dual_mov_b32 v215, 0x7f800000 :: v_dual_mov_b32 v226, 0x7f800000
	;; [unrolled: 1-line block ×29, first 2 shown]
	v_mov_b32_e32 v181, 0x7f800000
	v_mov_b32_e32 v183, 0x7f800000
	s_mov_b32 s7, 0
	s_mov_b32 s6, -1
	s_clause 0x1
	scratch_store_b32 off, v0, off offset:376
	scratch_store_b32 off, v8, off offset:368
	ds_store_2addr_stride64_b64 v8, v[4:5], v[6:7] offset0:16 offset1:20
	s_waitcnt lgkmcnt(0)
	s_waitcnt_vscnt null, 0x0
	s_barrier
	buffer_gl0_inv
	scratch_store_b32 off, v51, off offset:304 ; 4-byte Folded Spill
.LBB115_25:                             ; =>This Inner Loop Header: Depth=1
	s_lshl_b32 s7, s7, 3
	v_dual_mov_b32 v57, v34 :: v_dual_mov_b32 v218, v167
	v_lshl_add_u32 v20, v97, 5, s7
	v_lshl_add_u32 v8, v51, 5, s7
	v_mov_b32_e32 v15, v35
	v_dual_mov_b32 v167, v109 :: v_dual_mov_b32 v186, v111
	ds_load_b128 v[21:24], v20 offset:8192
	ds_load_b128 v[0:3], v8
	ds_load_b128 v[4:7], v8 offset:1024
	ds_load_b128 v[25:28], v20 offset:8448
	;; [unrolled: 1-line block ×4, first 2 shown]
	v_mov_b32_e32 v209, v223
	s_mov_b32 s7, 2
	s_and_not1_b32 vcc_lo, exec_lo, s6
	s_mov_b32 s6, 0
	s_waitcnt lgkmcnt(4)
	v_add_f64 v[9:10], v[2:3], v[23:24]
	scratch_store_b64 off, v[9:10], off offset:16 ; 8-byte Folded Spill
	v_add_f64 v[9:10], v[0:1], v[21:22]
	scratch_store_b64 off, v[9:10], off offset:48 ; 8-byte Folded Spill
	s_waitcnt lgkmcnt(3)
	v_add_f64 v[9:10], v[6:7], v[23:24]
	scratch_store_b64 off, v[9:10], off     ; 8-byte Folded Spill
	v_add_f64 v[9:10], v[4:5], v[21:22]
	scratch_store_b64 off, v[9:10], off offset:32 ; 8-byte Folded Spill
	s_waitcnt lgkmcnt(1)
	v_add_f64 v[8:9], v[31:32], v[23:24]
	scratch_store_b64 off, v[8:9], off offset:24 ; 8-byte Folded Spill
	v_add_f64 v[8:9], v[29:30], v[21:22]
	scratch_store_b64 off, v[8:9], off offset:56 ; 8-byte Folded Spill
	s_waitcnt lgkmcnt(0)
	v_add_f64 v[8:9], v[35:36], v[23:24]
	scratch_store_b64 off, v[8:9], off offset:8 ; 8-byte Folded Spill
	v_add_f64 v[8:9], v[33:34], v[21:22]
	scratch_store_b64 off, v[8:9], off offset:40 ; 8-byte Folded Spill
	;; [unrolled: 2-line block ×10, first 2 shown]
	ds_load_b128 v[21:24], v20 offset:8704
	ds_load_b128 v[25:28], v20 offset:8960
	s_waitcnt lgkmcnt(1)
	v_add_f64 v[8:9], v[2:3], v[23:24]
	scratch_store_b64 off, v[8:9], off offset:160 ; 8-byte Folded Spill
	v_add_f64 v[8:9], v[0:1], v[21:22]
	scratch_store_b64 off, v[8:9], off offset:184 ; 8-byte Folded Spill
	;; [unrolled: 2-line block ×8, first 2 shown]
	s_waitcnt lgkmcnt(0)
	v_add_f64 v[8:9], v[2:3], v[27:28]
	scratch_store_b64 off, v[8:9], off offset:192 ; 8-byte Folded Spill
	v_add_f64 v[8:9], v[0:1], v[25:26]
	scratch_store_b64 off, v[8:9], off offset:200 ; 8-byte Folded Spill
	;; [unrolled: 2-line block ×8, first 2 shown]
	ds_load_b128 v[21:24], v20 offset:9216
	ds_load_b128 v[25:28], v20 offset:9472
	s_waitcnt lgkmcnt(1)
	v_add_f64 v[8:9], v[6:7], v[23:24]
	v_add_f64 v[113:114], v[2:3], v[23:24]
	;; [unrolled: 1-line block ×5, first 2 shown]
	s_waitcnt lgkmcnt(0)
	v_add_f64 v[130:131], v[2:3], v[27:28]
	v_add_f64 v[189:190], v[0:1], v[25:26]
	;; [unrolled: 1-line block ×8, first 2 shown]
	scratch_store_b64 off, v[8:9], off offset:272 ; 8-byte Folded Spill
	v_add_f64 v[8:9], v[31:32], v[23:24]
	scratch_store_b64 off, v[8:9], off offset:264 ; 8-byte Folded Spill
	v_add_f64 v[8:9], v[35:36], v[23:24]
	;; [unrolled: 2-line block ×3, first 2 shown]
	scratch_store_b64 off, v[8:9], off offset:280 ; 8-byte Folded Spill
	ds_load_b128 v[21:24], v20 offset:9728
	ds_load_b128 v[25:28], v20 offset:9984
	s_waitcnt lgkmcnt(1)
	v_add_f64 v[203:204], v[2:3], v[23:24]
	v_add_f64 v[205:206], v[0:1], v[21:22]
	;; [unrolled: 1-line block ×8, first 2 shown]
	s_waitcnt lgkmcnt(0)
	v_add_f64 v[138:139], v[2:3], v[27:28]
	v_add_f64 v[12:13], v[0:1], v[25:26]
	;; [unrolled: 1-line block ×8, first 2 shown]
	ds_load_b128 v[21:24], v20 offset:10240
	ds_load_b128 v[25:28], v20 offset:10496
	s_waitcnt lgkmcnt(1)
	v_add_f64 v[235:236], v[2:3], v[23:24]
	v_add_f64 v[237:238], v[0:1], v[21:22]
	;; [unrolled: 1-line block ×8, first 2 shown]
	s_waitcnt lgkmcnt(0)
	v_add_f64 v[251:252], v[2:3], v[27:28]
	v_add_f64 v[253:254], v[0:1], v[25:26]
	;; [unrolled: 1-line block ×8, first 2 shown]
	ds_load_b128 v[21:24], v20 offset:10752
	ds_load_b128 v[25:28], v20 offset:11008
	v_cvt_f32_f64_e32 v12, v[12:13]
	v_cvt_f32_f64_e32 v13, v[138:139]
	s_waitcnt lgkmcnt(1)
	v_add_f64 v[122:123], v[2:3], v[23:24]
	v_add_f64 v[83:84], v[0:1], v[21:22]
	;; [unrolled: 1-line block ×8, first 2 shown]
	s_waitcnt lgkmcnt(0)
	v_add_f64 v[77:78], v[2:3], v[27:28]
	v_add_f64 v[98:99], v[0:1], v[25:26]
	;; [unrolled: 1-line block ×8, first 2 shown]
	ds_load_b128 v[21:24], v20 offset:11264
	ds_load_b128 v[25:28], v20 offset:11520
	v_min3_f32 v163, v12, v13, v163
	v_cvt_f32_f64_e32 v12, v[144:145]
	v_cvt_f32_f64_e32 v13, v[142:143]
	s_waitcnt lgkmcnt(1)
	v_add_f64 v[118:119], v[2:3], v[23:24]
	v_add_f64 v[37:38], v[0:1], v[21:22]
	;; [unrolled: 1-line block ×8, first 2 shown]
	s_waitcnt lgkmcnt(0)
	v_add_f64 v[67:68], v[2:3], v[27:28]
	v_add_f64 v[61:62], v[0:1], v[25:26]
	;; [unrolled: 1-line block ×8, first 2 shown]
	ds_load_b128 v[21:24], v20 offset:11776
	ds_load_b128 v[25:28], v20 offset:12032
	scratch_load_b64 v[223:224], off, off offset:48 ; 8-byte Folded Reload
	v_min3_f32 v162, v12, v13, v162
	v_cvt_f32_f64_e32 v12, v[229:230]
	v_cvt_f32_f64_e32 v13, v[146:147]
	s_waitcnt lgkmcnt(1)
	v_add_f64 v[140:141], v[2:3], v[23:24]
	v_add_f64 v[8:9], v[0:1], v[21:22]
	;; [unrolled: 1-line block ×8, first 2 shown]
	s_waitcnt lgkmcnt(0)
	v_add_f64 v[2:3], v[2:3], v[27:28]
	v_add_f64 v[0:1], v[0:1], v[25:26]
	;; [unrolled: 1-line block ×8, first 2 shown]
	v_dual_mov_b32 v34, v57 :: v_dual_mov_b32 v35, v15
	v_min3_f32 v161, v12, v13, v161
	v_cvt_f32_f64_e32 v12, v[233:234]
	v_cvt_f32_f64_e32 v13, v[231:232]
	;; [unrolled: 1-line block ×6, first 2 shown]
	v_min3_f32 v160, v12, v13, v160
	v_cvt_f32_f64_e32 v12, v[237:238]
	v_cvt_f32_f64_e32 v13, v[235:236]
	v_min3_f32 v213, v8, v9, v213
	v_cvt_f32_f64_e32 v8, v[136:137]
	v_cvt_f32_f64_e32 v9, v[16:17]
	;; [unrolled: 3-line block ×10, first 2 shown]
	v_min3_f32 v210, v8, v9, v210
	v_min3_f32 v255, v0, v1, v255
	s_delay_alu instid0(VALU_DEP_3) | instskip(SKIP_2) | instid1(VALU_DEP_1)
	v_min3_f32 v156, v12, v13, v156
	v_cvt_f32_f64_e32 v12, v[253:254]
	v_cvt_f32_f64_e32 v13, v[251:252]
	v_min3_f32 v155, v12, v13, v155
	v_cvt_f32_f64_e32 v12, v[103:104]
	v_cvt_f32_f64_e32 v13, v[107:108]
	s_waitcnt vmcnt(0)
	v_cvt_f32_f64_e32 v15, v[223:224]
	scratch_load_b64 v[223:224], off, off offset:16 ; 8-byte Folded Reload
	v_min3_f32 v154, v12, v13, v154
	v_cvt_f32_f64_e32 v12, v[101:102]
	v_cvt_f32_f64_e32 v13, v[105:106]
	s_delay_alu instid0(VALU_DEP_1) | instskip(SKIP_2) | instid1(VALU_DEP_1)
	v_min3_f32 v153, v12, v13, v153
	v_cvt_f32_f64_e32 v12, v[93:94]
	v_cvt_f32_f64_e32 v13, v[95:96]
	v_min3_f32 v152, v12, v13, v152
	v_cvt_f32_f64_e32 v12, v[83:84]
	v_cvt_f32_f64_e32 v13, v[122:123]
	s_delay_alu instid0(VALU_DEP_1) | instskip(SKIP_2) | instid1(VALU_DEP_1)
	v_min3_f32 v151, v12, v13, v151
	v_cvt_f32_f64_e32 v12, v[85:86]
	v_cvt_f32_f64_e32 v13, v[87:88]
	v_min3_f32 v58, v12, v13, v58
	v_cvt_f32_f64_e32 v12, v[79:80]
	v_cvt_f32_f64_e32 v13, v[89:90]
	s_delay_alu instid0(VALU_DEP_1) | instskip(SKIP_2) | instid1(VALU_DEP_1)
	v_min3_f32 v150, v12, v13, v150
	v_cvt_f32_f64_e32 v12, v[81:82]
	v_cvt_f32_f64_e32 v13, v[91:92]
	v_min3_f32 v117, v12, v13, v117
	v_cvt_f32_f64_e32 v12, v[98:99]
	v_cvt_f32_f64_e32 v13, v[77:78]
	s_delay_alu instid0(VALU_DEP_1)
	v_min3_f32 v34, v12, v13, v34
	v_cvt_f32_f64_e32 v12, v[73:74]
	v_cvt_f32_f64_e32 v13, v[75:76]
	s_waitcnt vmcnt(0)
	v_cvt_f32_f64_e32 v22, v[223:224]
	scratch_load_b64 v[223:224], off, off offset:32 ; 8-byte Folded Reload
	v_min3_f32 v35, v12, v13, v35
	v_cvt_f32_f64_e32 v12, v[63:64]
	v_cvt_f32_f64_e32 v13, v[65:66]
	v_min3_f32 v183, v15, v22, v183
	s_delay_alu instid0(VALU_DEP_2)
	v_min3_f32 v100, v12, v13, v100
	v_cvt_f32_f64_e32 v12, v[69:70]
	v_cvt_f32_f64_e32 v13, v[71:72]
	s_waitcnt vmcnt(0)
	v_cvt_f32_f64_e32 v15, v[223:224]
	scratch_load_b64 v[223:224], off, off   ; 8-byte Folded Reload
	s_waitcnt vmcnt(0)
	v_cvt_f32_f64_e32 v22, v[223:224]
	scratch_load_b64 v[223:224], off, off offset:56 ; 8-byte Folded Reload
	v_min3_f32 v182, v15, v22, v182
	s_waitcnt vmcnt(0)
	v_cvt_f32_f64_e32 v15, v[223:224]
	scratch_load_b64 v[223:224], off, off offset:24 ; 8-byte Folded Reload
	s_waitcnt vmcnt(0)
	v_cvt_f32_f64_e32 v22, v[223:224]
	scratch_load_b64 v[223:224], off, off offset:40 ; 8-byte Folded Reload
	v_min3_f32 v181, v15, v22, v181
	s_waitcnt vmcnt(0)
	v_cvt_f32_f64_e32 v15, v[223:224]
	scratch_load_b64 v[223:224], off, off offset:8 ; 8-byte Folded Reload
	;; [unrolled: 7-line block ×14, first 2 shown]
	s_waitcnt vmcnt(0)
	v_cvt_f32_f64_e32 v22, v[223:224]
	v_mov_b32_e32 v223, v209
	s_delay_alu instid0(VALU_DEP_1)
	v_min3_f32 v223, v12, v13, v223
	v_cvt_f32_f64_e32 v12, v[37:38]
	v_cvt_f32_f64_e32 v13, v[118:119]
	v_min3_f32 v222, v15, v22, v222
	v_cvt_f32_f64_e32 v15, v[109:110]
	v_cvt_f32_f64_e32 v22, v[113:114]
	v_mov_b32_e32 v109, v167
	v_mov_b32_e32 v167, v218
	v_min3_f32 v220, v12, v13, v220
	v_cvt_f32_f64_e32 v12, v[39:40]
	v_cvt_f32_f64_e32 v13, v[43:44]
	v_min3_f32 v225, v15, v22, v225
	v_cvt_f32_f64_e32 v15, v[111:112]
	scratch_load_b64 v[112:113], off, off offset:272 ; 8-byte Folded Reload
	v_mov_b32_e32 v111, v186
	v_min3_f32 v219, v12, v13, v219
	v_cvt_f32_f64_e32 v12, v[41:42]
	v_cvt_f32_f64_e32 v13, v[47:48]
	s_delay_alu instid0(VALU_DEP_1)
	v_min3_f32 v167, v12, v13, v167
	v_cvt_f32_f64_e32 v13, v[51:52]
	v_cvt_f32_f64_e32 v12, v[45:46]
	scratch_load_b32 v51, off, off offset:304 ; 4-byte Folded Reload
	v_min3_f32 v217, v12, v13, v217
	v_cvt_f32_f64_e32 v12, v[61:62]
	v_cvt_f32_f64_e32 v13, v[67:68]
	s_delay_alu instid0(VALU_DEP_1) | instskip(SKIP_2) | instid1(VALU_DEP_1)
	v_min3_f32 v228, v12, v13, v228
	v_cvt_f32_f64_e32 v12, v[120:121]
	v_cvt_f32_f64_e32 v13, v[59:60]
	v_min3_f32 v221, v12, v13, v221
	v_cvt_f32_f64_e32 v12, v[55:56]
	v_cvt_f32_f64_e32 v13, v[148:149]
	s_delay_alu instid0(VALU_DEP_1) | instskip(SKIP_2) | instid1(VALU_DEP_1)
	v_min3_f32 v165, v12, v13, v165
	v_cvt_f32_f64_e32 v12, v[53:54]
	v_cvt_f32_f64_e32 v13, v[49:50]
	v_min3_f32 v226, v12, v13, v226
	s_waitcnt vmcnt(1)
	v_cvt_f32_f64_e32 v22, v[112:113]
	scratch_load_b64 v[112:113], off, off offset:264 ; 8-byte Folded Reload
	v_min3_f32 v216, v15, v22, v216
	v_cvt_f32_f64_e32 v15, v[115:116]
	s_waitcnt vmcnt(0)
	v_cvt_f32_f64_e32 v22, v[112:113]
	scratch_load_b64 v[112:113], off, off offset:280 ; 8-byte Folded Reload
	v_min3_f32 v212, v15, v22, v212
	s_waitcnt vmcnt(0)
	v_cvt_f32_f64_e32 v15, v[112:113]
	scratch_load_b64 v[112:113], off, off offset:256 ; 8-byte Folded Reload
	s_waitcnt vmcnt(0)
	v_cvt_f32_f64_e32 v22, v[112:113]
	s_delay_alu instid0(VALU_DEP_1) | instskip(SKIP_2) | instid1(VALU_DEP_1)
	v_min3_f32 v214, v15, v22, v214
	v_cvt_f32_f64_e32 v15, v[189:190]
	v_cvt_f32_f64_e32 v22, v[130:131]
	v_min3_f32 v14, v15, v22, v14
	v_cvt_f32_f64_e32 v15, v[193:194]
	v_cvt_f32_f64_e32 v22, v[191:192]
	s_delay_alu instid0(VALU_DEP_1) | instskip(SKIP_2) | instid1(VALU_DEP_1)
	v_min3_f32 v184, v15, v22, v184
	v_cvt_f32_f64_e32 v15, v[197:198]
	v_cvt_f32_f64_e32 v22, v[195:196]
	v_min3_f32 v187, v15, v22, v187
	v_cvt_f32_f64_e32 v15, v[201:202]
	;; [unrolled: 7-line block ×4, first 2 shown]
	v_cvt_f32_f64_e32 v22, v[124:125]
	s_delay_alu instid0(VALU_DEP_1)
	v_min3_f32 v164, v15, v22, v164
	s_cbranch_vccz .LBB115_25
; %bb.26:
	scratch_store_b32 off, v97, off         ; 4-byte Folded Spill
	s_clause 0x2
	scratch_load_b32 v8, off, off offset:368
	scratch_load_b64 v[0:1], off, off offset:288
	scratch_load_b64 v[2:3], off, off offset:296
	v_dual_mov_b32 v50, v220 :: v_dual_mov_b32 v33, v162
	v_dual_mov_b32 v112, v187 :: v_dual_mov_b32 v107, v164
	;; [unrolled: 1-line block ×10, first 2 shown]
	v_mov_b32_e32 v118, v117
	s_cmp_gt_i32 s18, 8
	s_mov_b32 s7, 8
	s_waitcnt vmcnt(0)
	ds_store_2addr_stride64_b64 v8, v[0:1], v[2:3] offset0:8 offset1:12
	s_clause 0x1
	scratch_load_b64 v[0:1], off, off offset:308
	scratch_load_b64 v[2:3], off, off offset:316
	s_waitcnt vmcnt(0)
	ds_store_2addr_stride64_b64 v8, v[0:1], v[2:3] offset0:24 offset1:28
	s_waitcnt lgkmcnt(0)
	s_waitcnt_vscnt null, 0x0
	s_barrier
	buffer_gl0_inv
	s_cbranch_scc0 .LBB115_50
; %bb.27:
	s_clause 0x3
	scratch_load_b32 v2, off, off offset:324
	scratch_load_b32 v4, off, off offset:328
	;; [unrolled: 1-line block ×4, first 2 shown]
	v_mov_b32_e32 v201, v63
	v_mov_b32_e32 v113, v219
	s_mov_b32 s14, -1
	s_mov_b32 s15, 0x7fefffff
	s_waitcnt vmcnt(3)
	v_mad_i64_i32 v[0:1], null, v2, s26, 0
	s_waitcnt vmcnt(2)
	v_mad_i64_i32 v[2:3], null, v4, s26, 0
	;; [unrolled: 2-line block ×3, first 2 shown]
	v_mad_i64_i32 v[6:7], null, v9, s27, 0
	s_delay_alu instid0(VALU_DEP_4)
	v_lshlrev_b64 v[0:1], 3, v[0:1]
	v_add_nc_u32_e32 v9, 0x1000, v8
	v_add_nc_u32_e32 v8, 0x3000, v8
	s_add_i32 s26, s18, -8
	s_mov_b32 s27, 0
	scratch_store_b64 off, v[0:1], off offset:388 ; 8-byte Folded Spill
	v_lshlrev_b64 v[0:1], 3, v[2:3]
	scratch_store_b64 off, v[0:1], off offset:396 ; 8-byte Folded Spill
	v_lshlrev_b64 v[0:1], 3, v[4:5]
	;; [unrolled: 2-line block ×3, first 2 shown]
	scratch_store_b64 off, v[0:1], off offset:412 ; 8-byte Folded Spill
	v_mov_b32_e32 v1, 0
	s_clause 0x2
	scratch_store_b32 off, v9, off offset:380
	scratch_store_b32 off, v8, off offset:384
	scratch_store_b64 off, v[0:1], off offset:308
.LBB115_28:                             ; =>This Loop Header: Depth=1
                                        ;     Child Loop BB115_37 Depth 2
                                        ;     Child Loop BB115_47 Depth 2
	s_clause 0x1
	scratch_load_b32 v0, off, off offset:372
	scratch_load_b64 v[1:2], off, off offset:308
	v_dual_mov_b32 v6, s14 :: v_dual_mov_b32 v7, s15
	s_waitcnt vmcnt(0)
	v_mov_b32_e32 v3, v2
	v_or_b32_e32 v2, s7, v0
	s_delay_alu instid0(VALU_DEP_1) | instskip(SKIP_3) | instid1(VALU_DEP_1)
	v_lshlrev_b64 v[0:1], 3, v[2:3]
	v_cmp_le_i32_e32 vcc_lo, s18, v2
	scratch_store_b64 off, v[2:3], off offset:308 ; 8-byte Folded Spill
	v_add_co_u32 v4, s6, s20, v0
	v_add_co_ci_u32_e64 v5, s6, s21, v1, s6
	s_or_b32 s6, s2, vcc_lo
	s_delay_alu instid0(SALU_CYCLE_1) | instskip(SKIP_3) | instid1(SALU_CYCLE_1)
	s_xor_b32 s6, s6, -1
	s_mov_b32 s28, exec_lo
	v_dual_mov_b32 v37, v79 :: v_dual_mov_b32 v32, v81
	s_and_b32 s6, s28, s6
	s_mov_b32 exec_lo, s6
	s_cbranch_execz .LBB115_30
; %bb.29:                               ;   in Loop: Header=BB115_28 Depth=1
	scratch_load_b64 v[2:3], off, off offset:388 ; 8-byte Folded Reload
	s_waitcnt vmcnt(0)
	v_add_co_u32 v2, s6, v4, v2
	s_delay_alu instid0(VALU_DEP_1)
	v_add_co_ci_u32_e64 v3, s6, v5, v3, s6
	flat_load_b64 v[6:7], v[2:3]
.LBB115_30:                             ;   in Loop: Header=BB115_28 Depth=1
	s_or_b32 exec_lo, exec_lo, s28
	v_dual_mov_b32 v8, s14 :: v_dual_mov_b32 v9, s15
	s_or_b32 s6, s3, vcc_lo
	s_delay_alu instid0(SALU_CYCLE_1) | instskip(NEXT) | instid1(SALU_CYCLE_1)
	s_xor_b32 s6, s6, -1
	s_and_saveexec_b32 s28, s6
	s_cbranch_execz .LBB115_32
; %bb.31:                               ;   in Loop: Header=BB115_28 Depth=1
	scratch_load_b64 v[2:3], off, off offset:396 ; 8-byte Folded Reload
	s_waitcnt vmcnt(0)
	v_add_co_u32 v2, s6, v4, v2
	s_delay_alu instid0(VALU_DEP_1)
	v_add_co_ci_u32_e64 v3, s6, v5, v3, s6
	flat_load_b64 v[8:9], v[2:3]
.LBB115_32:                             ;   in Loop: Header=BB115_28 Depth=1
	s_or_b32 exec_lo, exec_lo, s28
	v_add_co_u32 v2, s6, s22, v0
	s_delay_alu instid0(VALU_DEP_1)
	v_add_co_ci_u32_e64 v3, s6, s23, v1, s6
	v_dual_mov_b32 v0, s14 :: v_dual_mov_b32 v1, s15
	s_or_b32 s6, s4, vcc_lo
	s_waitcnt vmcnt(0) lgkmcnt(0)
	scratch_store_b64 off, v[6:7], off offset:336 ; 8-byte Folded Spill
	s_xor_b32 s6, s6, -1
	s_delay_alu instid0(SALU_CYCLE_1)
	s_and_saveexec_b32 s28, s6
	s_cbranch_execz .LBB115_34
; %bb.33:                               ;   in Loop: Header=BB115_28 Depth=1
	scratch_load_b64 v[0:1], off, off offset:404 ; 8-byte Folded Reload
	s_waitcnt vmcnt(0)
	v_add_co_u32 v0, s6, v2, v0
	s_delay_alu instid0(VALU_DEP_1)
	v_add_co_ci_u32_e64 v1, s6, v3, v1, s6
	flat_load_b64 v[0:1], v[0:1]
.LBB115_34:                             ;   in Loop: Header=BB115_28 Depth=1
	s_or_b32 exec_lo, exec_lo, s28
	s_waitcnt vmcnt(0) lgkmcnt(0)
	s_clause 0x3
	scratch_store_b64 off, v[0:1], off offset:352
	scratch_store_b64 off, v[8:9], off offset:344
	scratch_store_b32 off, v5, off offset:324
	scratch_store_b32 off, v4, off offset:316
	v_mov_b32_e32 v0, s14
	v_dual_mov_b32 v58, v201 :: v_dual_mov_b32 v1, s15
	s_or_b32 s6, s5, vcc_lo
	s_delay_alu instid0(SALU_CYCLE_1) | instskip(NEXT) | instid1(SALU_CYCLE_1)
	s_xor_b32 s28, s6, -1
	s_and_saveexec_b32 s6, s28
	s_cbranch_execz .LBB115_36
; %bb.35:                               ;   in Loop: Header=BB115_28 Depth=1
	scratch_load_b64 v[0:1], off, off offset:412 ; 8-byte Folded Reload
	s_waitcnt vmcnt(0)
	v_add_co_u32 v0, vcc_lo, v2, v0
	v_add_co_ci_u32_e32 v1, vcc_lo, v3, v1, vcc_lo
	flat_load_b64 v[0:1], v[0:1]
.LBB115_36:                             ;   in Loop: Header=BB115_28 Depth=1
	s_or_b32 exec_lo, exec_lo, s6
	v_dual_mov_b32 v219, v65 :: v_dual_mov_b32 v220, v74
	v_dual_mov_b32 v69, v75 :: v_dual_mov_b32 v68, v77
	v_mov_b32_e32 v67, v76
	s_mov_b32 s28, 0
	s_mov_b32 s6, -1
	s_waitcnt vmcnt(0) lgkmcnt(0)
	s_clause 0x2
	scratch_store_b64 off, v[0:1], off offset:360
	scratch_store_b32 off, v3, off offset:332
	scratch_store_b32 off, v2, off offset:328
.LBB115_37:                             ;   Parent Loop BB115_28 Depth=1
                                        ; =>  This Inner Loop Header: Depth=2
	scratch_load_b32 v0, off, off           ; 4-byte Folded Reload
	s_lshl_b32 s28, s28, 3
	v_mov_b32_e32 v164, v226
	v_lshl_add_u32 v8, v51, 5, s28
	s_and_not1_b32 vcc_lo, exec_lo, s6
	s_mov_b32 s6, 0
	v_dual_mov_b32 v226, v167 :: v_dual_mov_b32 v187, v176
	v_mov_b32_e32 v176, v255
	s_waitcnt vmcnt(0)
	v_lshl_add_u32 v193, v0, 5, s28
	ds_load_b128 v[38:41], v193 offset:12288
	ds_load_b128 v[0:3], v8 offset:4096
	;; [unrolled: 1-line block ×4, first 2 shown]
	s_mov_b32 s28, 2
	s_waitcnt lgkmcnt(2)
	v_add_f64 v[142:143], v[2:3], v[40:41]
	s_waitcnt lgkmcnt(1)
	v_add_f64 v[9:10], v[6:7], v[40:41]
	v_add_f64 v[144:145], v[0:1], v[38:39]
	s_delay_alu instid0(VALU_DEP_3)
	v_cvt_f32_f64_e32 v142, v[142:143]
	scratch_store_b64 off, v[9:10], off offset:8 ; 8-byte Folded Spill
	v_add_f64 v[9:10], v[4:5], v[38:39]
	v_cvt_f32_f64_e32 v15, v[144:145]
	scratch_store_b64 off, v[9:10], off offset:32 ; 8-byte Folded Spill
	ds_load_b128 v[194:197], v8 offset:6144
	ds_load_b128 v[198:201], v8 offset:7168
	v_min3_f32 v183, v15, v142, v183
	s_waitcnt lgkmcnt(1)
	v_add_f64 v[8:9], v[196:197], v[40:41]
	scratch_store_b64 off, v[8:9], off offset:24 ; 8-byte Folded Spill
	v_add_f64 v[8:9], v[194:195], v[38:39]
	scratch_store_b64 off, v[8:9], off offset:48 ; 8-byte Folded Spill
	s_waitcnt lgkmcnt(0)
	v_add_f64 v[8:9], v[200:201], v[40:41]
	scratch_store_b64 off, v[8:9], off offset:16 ; 8-byte Folded Spill
	v_add_f64 v[8:9], v[198:199], v[38:39]
	scratch_store_b64 off, v[8:9], off offset:40 ; 8-byte Folded Spill
	;; [unrolled: 2-line block ×8, first 2 shown]
	v_add_f64 v[8:9], v[200:201], v[54:55]
	v_mov_b32_e32 v55, v118
	scratch_store_b64 off, v[8:9], off offset:104 ; 8-byte Folded Spill
	v_add_f64 v[8:9], v[198:199], v[52:53]
	scratch_store_b64 off, v[8:9], off offset:112 ; 8-byte Folded Spill
	ds_load_b128 v[70:73], v193 offset:12800
	ds_load_b128 v[84:87], v193 offset:13056
	s_waitcnt lgkmcnt(1)
	v_add_f64 v[8:9], v[2:3], v[72:73]
	scratch_store_b64 off, v[8:9], off offset:152 ; 8-byte Folded Spill
	v_add_f64 v[8:9], v[0:1], v[70:71]
	scratch_store_b64 off, v[8:9], off offset:176 ; 8-byte Folded Spill
	;; [unrolled: 2-line block ×6, first 2 shown]
	v_add_f64 v[8:9], v[200:201], v[72:73]
	s_waitcnt lgkmcnt(0)
	v_add_f64 v[72:73], v[0:1], v[84:85]
	scratch_store_b64 off, v[8:9], off offset:120 ; 8-byte Folded Spill
	v_add_f64 v[8:9], v[198:199], v[70:71]
	v_dual_mov_b32 v71, v150 :: v_dual_mov_b32 v70, v217
	v_mov_b32_e32 v217, v228
	scratch_store_b64 off, v[8:9], off offset:144 ; 8-byte Folded Spill
	v_add_f64 v[8:9], v[2:3], v[86:87]
	scratch_store_b64 off, v[8:9], off offset:184 ; 8-byte Folded Spill
	v_add_f64 v[8:9], v[6:7], v[86:87]
	;; [unrolled: 2-line block ×7, first 2 shown]
	scratch_store_b64 off, v[8:9], off offset:232 ; 8-byte Folded Spill
	ds_load_b128 v[102:105], v193 offset:13312
	ds_load_b128 v[202:205], v193 offset:13568
	s_waitcnt lgkmcnt(1)
	v_add_f64 v[8:9], v[2:3], v[104:105]
	s_waitcnt lgkmcnt(0)
	v_add_f64 v[86:87], v[6:7], v[204:205]
	v_add_f64 v[53:54], v[4:5], v[202:203]
	;; [unrolled: 1-line block ×6, first 2 shown]
	scratch_store_b64 off, v[8:9], off offset:272 ; 8-byte Folded Spill
	v_add_f64 v[8:9], v[0:1], v[102:103]
	scratch_store_b64 off, v[8:9], off offset:296 ; 8-byte Folded Spill
	v_add_f64 v[8:9], v[6:7], v[104:105]
	;; [unrolled: 2-line block ×6, first 2 shown]
	v_add_f64 v[104:105], v[0:1], v[202:203]
	scratch_store_b64 off, v[8:9], off offset:240 ; 8-byte Folded Spill
	v_add_f64 v[8:9], v[198:199], v[102:103]
	v_add_f64 v[102:103], v[2:3], v[204:205]
	scratch_store_b64 off, v[8:9], off offset:264 ; 8-byte Folded Spill
	ds_load_b128 v[202:205], v193 offset:13824
	ds_load_b128 v[206:209], v193 offset:14080
	s_waitcnt lgkmcnt(1)
	v_add_f64 v[148:149], v[2:3], v[204:205]
	v_add_f64 v[150:151], v[0:1], v[202:203]
	;; [unrolled: 1-line block ×8, first 2 shown]
	s_waitcnt lgkmcnt(0)
	v_add_f64 v[166:167], v[2:3], v[208:209]
	v_add_f64 v[228:229], v[0:1], v[206:207]
	;; [unrolled: 1-line block ×8, first 2 shown]
	ds_load_b128 v[202:205], v193 offset:14336
	ds_load_b128 v[206:209], v193 offset:14592
	s_waitcnt lgkmcnt(1)
	v_add_f64 v[242:243], v[2:3], v[204:205]
	v_add_f64 v[244:245], v[0:1], v[202:203]
	;; [unrolled: 1-line block ×8, first 2 shown]
	s_waitcnt lgkmcnt(0)
	v_add_f64 v[158:159], v[2:3], v[208:209]
	v_add_f64 v[162:163], v[0:1], v[206:207]
	;; [unrolled: 1-line block ×8, first 2 shown]
	ds_load_b128 v[202:205], v193 offset:14848
	ds_load_b128 v[206:209], v193 offset:15104
	v_cvt_f32_f64_e32 v10, v[10:11]
	v_cvt_f32_f64_e32 v11, v[154:155]
	s_waitcnt lgkmcnt(1)
	v_add_f64 v[189:190], v[2:3], v[204:205]
	v_add_f64 v[191:192], v[0:1], v[202:203]
	;; [unrolled: 1-line block ×8, first 2 shown]
	s_waitcnt lgkmcnt(0)
	v_add_f64 v[16:17], v[2:3], v[208:209]
	v_add_f64 v[120:121], v[0:1], v[206:207]
	;; [unrolled: 1-line block ×8, first 2 shown]
	ds_load_b128 v[202:205], v193 offset:15360
	ds_load_b128 v[206:209], v193 offset:15616
	v_cvt_f32_f64_e32 v8, v[8:9]
	v_cvt_f32_f64_e32 v9, v[156:157]
	v_min3_f32 v108, v10, v11, v108
	v_cvt_f32_f64_e32 v10, v[185:186]
	v_cvt_f32_f64_e32 v11, v[38:39]
	s_waitcnt lgkmcnt(1)
	v_add_f64 v[64:65], v[2:3], v[204:205]
	v_add_f64 v[74:75], v[0:1], v[202:203]
	;; [unrolled: 1-line block ×8, first 2 shown]
	s_waitcnt lgkmcnt(0)
	v_add_f64 v[130:131], v[2:3], v[208:209]
	v_add_f64 v[132:133], v[0:1], v[206:207]
	;; [unrolled: 1-line block ×8, first 2 shown]
	ds_load_b128 v[202:205], v193 offset:15872
	ds_load_b128 v[206:209], v193 offset:16128
	scratch_load_b64 v[142:143], off, off offset:32 ; 8-byte Folded Reload
	v_min3_f32 v67, v8, v9, v67
	v_cvt_f32_f64_e32 v8, v[162:163]
	v_cvt_f32_f64_e32 v9, v[158:159]
	v_min3_f32 v107, v10, v11, v107
	v_cvt_f32_f64_e32 v10, v[228:229]
	v_mov_b32_e32 v228, v217
	v_cvt_f32_f64_e32 v11, v[166:167]
	v_dual_mov_b32 v167, v226 :: v_dual_mov_b32 v226, v164
	v_mov_b32_e32 v217, v70
	s_waitcnt lgkmcnt(1)
	v_add_f64 v[98:99], v[2:3], v[204:205]
	v_add_f64 v[136:137], v[0:1], v[202:203]
	s_waitcnt lgkmcnt(0)
	v_add_f64 v[2:3], v[2:3], v[208:209]
	v_add_f64 v[0:1], v[0:1], v[206:207]
	;; [unrolled: 1-line block ×14, first 2 shown]
	v_min3_f32 v69, v8, v9, v69
	v_cvt_f32_f64_e32 v8, v[29:30]
	v_cvt_f32_f64_e32 v9, v[160:161]
	v_min3_f32 v106, v10, v11, v106
	v_cvt_f32_f64_e32 v10, v[232:233]
	v_cvt_f32_f64_e32 v11, v[230:231]
	;; [unrolled: 1-line block ×4, first 2 shown]
	v_min3_f32 v220, v8, v9, v220
	v_cvt_f32_f64_e32 v8, v[20:21]
	v_cvt_f32_f64_e32 v9, v[18:19]
	v_min3_f32 v33, v10, v11, v33
	v_cvt_f32_f64_e32 v10, v[236:237]
	v_cvt_f32_f64_e32 v11, v[234:235]
	;; [unrolled: 3-line block ×5, first 2 shown]
	s_delay_alu instid0(VALU_DEP_4) | instskip(SKIP_2) | instid1(VALU_DEP_4)
	v_min3_f32 v218, v8, v9, v218
	v_cvt_f32_f64_e32 v8, v[191:192]
	v_cvt_f32_f64_e32 v9, v[189:190]
	v_min3_f32 v31, v10, v11, v31
	v_cvt_f32_f64_e32 v10, v[244:245]
	v_cvt_f32_f64_e32 v11, v[242:243]
	s_delay_alu instid0(VALU_DEP_4)
	v_min3_f32 v224, v8, v9, v224
	v_cvt_f32_f64_e32 v8, v[118:119]
	v_cvt_f32_f64_e32 v9, v[254:255]
	v_dual_mov_b32 v118, v55 :: v_dual_mov_b32 v255, v176
	v_mov_b32_e32 v176, v187
	v_min3_f32 v37, v10, v11, v37
	v_cvt_f32_f64_e32 v10, v[248:249]
	v_cvt_f32_f64_e32 v11, v[246:247]
	s_delay_alu instid0(VALU_DEP_4)
	v_min3_f32 v176, v0, v1, v176
	v_cvt_f32_f64_e32 v0, v[193:194]
	v_cvt_f32_f64_e32 v1, v[196:197]
	v_min3_f32 v58, v8, v9, v58
	v_cvt_f32_f64_e32 v8, v[44:45]
	v_cvt_f32_f64_e32 v9, v[42:43]
	;; [unrolled: 3-line block ×4, first 2 shown]
	s_delay_alu instid0(VALU_DEP_4) | instskip(NEXT) | instid1(VALU_DEP_2)
	v_min3_f32 v68, v10, v11, v68
	v_min3_f32 v255, v0, v1, v255
	s_waitcnt vmcnt(0)
	v_cvt_f32_f64_e32 v15, v[142:143]
	scratch_load_b64 v[142:143], off, off offset:8 ; 8-byte Folded Reload
	s_waitcnt vmcnt(0)
	v_cvt_f32_f64_e32 v142, v[142:143]
	s_delay_alu instid0(VALU_DEP_1)
	v_min3_f32 v182, v15, v142, v182
	scratch_load_b64 v[142:143], off, off offset:48 ; 8-byte Folded Reload
	s_waitcnt vmcnt(0)
	v_cvt_f32_f64_e32 v15, v[142:143]
	scratch_load_b64 v[142:143], off, off offset:24 ; 8-byte Folded Reload
	s_waitcnt vmcnt(0)
	v_cvt_f32_f64_e32 v142, v[142:143]
	s_delay_alu instid0(VALU_DEP_1)
	v_min3_f32 v181, v15, v142, v181
	scratch_load_b64 v[142:143], off, off offset:40 ; 8-byte Folded Reload
	;; [unrolled: 8-line block ×10, first 2 shown]
	s_waitcnt vmcnt(0)
	v_cvt_f32_f64_e32 v15, v[142:143]
	scratch_load_b64 v[142:143], off, off offset:120 ; 8-byte Folded Reload
	s_waitcnt vmcnt(0)
	v_cvt_f32_f64_e32 v142, v[142:143]
	s_delay_alu instid0(VALU_DEP_1) | instskip(SKIP_4) | instid1(VALU_DEP_1)
	v_min3_f32 v170, v15, v142, v170
	v_cvt_f32_f64_e32 v15, v[72:73]
	scratch_load_b64 v[72:73], off, off offset:184 ; 8-byte Folded Reload
	s_waitcnt vmcnt(0)
	v_cvt_f32_f64_e32 v72, v[72:73]
	v_min3_f32 v169, v15, v72, v169
	scratch_load_b64 v[72:73], off, off offset:200 ; 8-byte Folded Reload
	s_waitcnt vmcnt(0)
	v_cvt_f32_f64_e32 v15, v[72:73]
	scratch_load_b64 v[72:73], off, off offset:192 ; 8-byte Folded Reload
	s_waitcnt vmcnt(0)
	v_cvt_f32_f64_e32 v66, v[72:73]
	scratch_load_b64 v[72:73], off, off offset:216 ; 8-byte Folded Reload
	v_min3_f32 v168, v15, v66, v168
	s_waitcnt vmcnt(0)
	v_cvt_f32_f64_e32 v15, v[72:73]
	scratch_load_b64 v[72:73], off, off offset:208 ; 8-byte Folded Reload
	s_waitcnt vmcnt(0)
	v_cvt_f32_f64_e32 v52, v[72:73]
	scratch_load_b64 v[72:73], off, off offset:232 ; 8-byte Folded Reload
	v_min3_f32 v227, v15, v52, v227
	;; [unrolled: 7-line block ×6, first 2 shown]
	s_waitcnt vmcnt(0)
	v_cvt_f32_f64_e32 v15, v[72:73]
	scratch_load_b64 v[72:73], off, off offset:240 ; 8-byte Folded Reload
	s_waitcnt vmcnt(0)
	v_cvt_f32_f64_e32 v28, v[72:73]
	s_delay_alu instid0(VALU_DEP_1) | instskip(SKIP_2) | instid1(VALU_DEP_1)
	v_min3_f32 v214, v15, v28, v214
	v_cvt_f32_f64_e32 v15, v[104:105]
	v_cvt_f32_f64_e32 v28, v[102:103]
	v_min3_f32 v14, v15, v28, v14
	v_cvt_f32_f64_e32 v15, v[53:54]
	v_cvt_f32_f64_e32 v28, v[86:87]
	s_delay_alu instid0(VALU_DEP_1) | instskip(SKIP_2) | instid1(VALU_DEP_1)
	v_min3_f32 v184, v15, v28, v184
	v_cvt_f32_f64_e32 v15, v[40:41]
	v_cvt_f32_f64_e32 v28, v[84:85]
	v_min3_f32 v112, v15, v28, v112
	v_cvt_f32_f64_e32 v15, v[26:27]
	v_cvt_f32_f64_e32 v26, v[114:115]
	s_delay_alu instid0(VALU_DEP_1) | instskip(SKIP_3) | instid1(VALU_DEP_2)
	v_min3_f32 v111, v15, v26, v111
	v_cvt_f32_f64_e32 v15, v[150:151]
	v_mov_b32_e32 v150, v71
	v_cvt_f32_f64_e32 v26, v[148:149]
	v_min3_f32 v150, v8, v9, v150
	v_cvt_f32_f64_e32 v8, v[48:49]
	v_cvt_f32_f64_e32 v9, v[46:47]
	s_delay_alu instid0(VALU_DEP_4) | instskip(SKIP_2) | instid1(VALU_DEP_4)
	v_min3_f32 v110, v15, v26, v110
	v_cvt_f32_f64_e32 v15, v[152:153]
	v_cvt_f32_f64_e32 v26, v[146:147]
	v_min3_f32 v118, v8, v9, v118
	v_cvt_f32_f64_e32 v8, v[120:121]
	v_cvt_f32_f64_e32 v9, v[16:17]
	s_delay_alu instid0(VALU_DEP_4) | instskip(NEXT) | instid1(VALU_DEP_2)
	v_min3_f32 v109, v15, v26, v109
	v_min3_f32 v34, v8, v9, v34
	v_cvt_f32_f64_e32 v8, v[56:57]
	v_cvt_f32_f64_e32 v9, v[122:123]
	s_delay_alu instid0(VALU_DEP_1) | instskip(SKIP_2) | instid1(VALU_DEP_1)
	v_min3_f32 v35, v8, v9, v35
	v_cvt_f32_f64_e32 v8, v[60:61]
	v_cvt_f32_f64_e32 v9, v[12:13]
	v_min3_f32 v59, v8, v9, v59
	v_cvt_f32_f64_e32 v8, v[62:63]
	v_cvt_f32_f64_e32 v9, v[124:125]
	s_delay_alu instid0(VALU_DEP_1) | instskip(SKIP_2) | instid1(VALU_DEP_1)
	v_min3_f32 v223, v8, v9, v223
	v_cvt_f32_f64_e32 v8, v[74:75]
	v_cvt_f32_f64_e32 v9, v[64:65]
	;; [unrolled: 7-line block ×7, first 2 shown]
	v_min3_f32 v211, v8, v9, v211
	v_cvt_f32_f64_e32 v8, v[202:203]
	v_cvt_f32_f64_e32 v9, v[204:205]
	s_delay_alu instid0(VALU_DEP_1)
	v_min3_f32 v210, v8, v9, v210
	s_cbranch_vccz .LBB115_37
; %bb.38:                               ;   in Loop: Header=BB115_28 Depth=1
	scratch_load_b64 v[0:1], off, off offset:308 ; 8-byte Folded Reload
	v_mov_b32_e32 v65, v219
	v_dual_mov_b32 v77, v68 :: v_dual_mov_b32 v76, v67
	v_dual_mov_b32 v75, v69 :: v_dual_mov_b32 v74, v220
	s_waitcnt vmcnt(0)
	v_or_b32_e32 v0, 4, v0
	s_delay_alu instid0(VALU_DEP_1)
	v_cmp_le_i32_e32 vcc_lo, s18, v0
	s_clause 0x2
	scratch_load_b32 v0, off, off offset:368
	scratch_load_b64 v[1:2], off, off offset:336
	scratch_load_b64 v[3:4], off, off offset:344
	s_or_b32 s6, s2, vcc_lo
	s_delay_alu instid0(SALU_CYCLE_1)
	s_xor_b32 s6, s6, -1
	s_waitcnt vmcnt(0)
	ds_store_2addr_stride64_b64 v0, v[1:2], v[3:4] offset1:4
	s_clause 0x2
	scratch_load_b32 v0, off, off offset:376
	scratch_load_b64 v[1:2], off, off offset:352
	scratch_load_b64 v[3:4], off, off offset:360
	s_waitcnt vmcnt(0)
	ds_store_2addr_stride64_b64 v0, v[1:2], v[3:4] offset1:4
	v_dual_mov_b32 v0, s14 :: v_dual_mov_b32 v1, s15
	s_waitcnt lgkmcnt(0)
	s_waitcnt_vscnt null, 0x0
	s_barrier
	buffer_gl0_inv
	s_mov_b32 s28, exec_lo
	s_clause 0x1
	scratch_load_b32 v2, off, off offset:316
	scratch_load_b32 v3, off, off offset:324
	s_and_b32 s6, s28, s6
	s_delay_alu instid0(SALU_CYCLE_1)
	s_mov_b32 exec_lo, s6
	s_cbranch_execz .LBB115_40
; %bb.39:                               ;   in Loop: Header=BB115_28 Depth=1
	scratch_load_b64 v[0:1], off, off offset:388 ; 8-byte Folded Reload
	s_waitcnt vmcnt(0)
	v_add_co_u32 v0, s6, v2, v0
	s_delay_alu instid0(VALU_DEP_1)
	v_add_co_ci_u32_e64 v1, s6, v3, v1, s6
	flat_load_b64 v[0:1], v[0:1] offset:32
.LBB115_40:                             ;   in Loop: Header=BB115_28 Depth=1
	s_or_b32 exec_lo, exec_lo, s28
	s_waitcnt vmcnt(0) lgkmcnt(0)
	scratch_store_b64 off, v[0:1], off offset:280 ; 8-byte Folded Spill
	v_dual_mov_b32 v0, s14 :: v_dual_mov_b32 v1, s15
	s_or_b32 s6, s3, vcc_lo
	s_delay_alu instid0(SALU_CYCLE_1)
	s_xor_b32 s6, s6, -1
	s_mov_b32 s28, exec_lo
	s_clause 0x1
	scratch_load_b32 v4, off, off offset:328
	scratch_load_b32 v5, off, off offset:332
	v_mov_b32_e32 v201, v58
	s_and_b32 s6, s28, s6
	s_delay_alu instid0(SALU_CYCLE_1)
	s_mov_b32 exec_lo, s6
	s_cbranch_execz .LBB115_42
; %bb.41:                               ;   in Loop: Header=BB115_28 Depth=1
	scratch_load_b64 v[0:1], off, off offset:396 ; 8-byte Folded Reload
	s_waitcnt vmcnt(0)
	v_add_co_u32 v0, s6, v2, v0
	s_delay_alu instid0(VALU_DEP_1)
	v_add_co_ci_u32_e64 v1, s6, v3, v1, s6
	flat_load_b64 v[0:1], v[0:1] offset:32
.LBB115_42:                             ;   in Loop: Header=BB115_28 Depth=1
	s_or_b32 exec_lo, exec_lo, s28
	s_waitcnt vmcnt(0) lgkmcnt(0)
	scratch_store_b64 off, v[0:1], off offset:288 ; 8-byte Folded Spill
	v_dual_mov_b32 v0, s14 :: v_dual_mov_b32 v1, s15
	s_or_b32 s6, s4, vcc_lo
	s_delay_alu instid0(SALU_CYCLE_1) | instskip(NEXT) | instid1(SALU_CYCLE_1)
	s_xor_b32 s6, s6, -1
	s_and_saveexec_b32 s28, s6
	s_cbranch_execz .LBB115_44
; %bb.43:                               ;   in Loop: Header=BB115_28 Depth=1
	scratch_load_b64 v[0:1], off, off offset:404 ; 8-byte Folded Reload
	s_waitcnt vmcnt(0)
	v_add_co_u32 v0, s6, v4, v0
	s_delay_alu instid0(VALU_DEP_1)
	v_add_co_ci_u32_e64 v1, s6, v5, v1, s6
	flat_load_b64 v[0:1], v[0:1] offset:32
.LBB115_44:                             ;   in Loop: Header=BB115_28 Depth=1
	s_or_b32 exec_lo, exec_lo, s28
	s_waitcnt vmcnt(0) lgkmcnt(0)
	scratch_store_b64 off, v[0:1], off offset:296 ; 8-byte Folded Spill
	v_mov_b32_e32 v0, s14
	v_dual_mov_b32 v58, v223 :: v_dual_mov_b32 v1, s15
	v_dual_mov_b32 v219, v167 :: v_dual_mov_b32 v66, v217
	s_or_b32 s6, s5, vcc_lo
	s_delay_alu instid0(SALU_CYCLE_1) | instskip(NEXT) | instid1(SALU_CYCLE_1)
	s_xor_b32 s28, s6, -1
	s_and_saveexec_b32 s6, s28
	s_cbranch_execz .LBB115_46
; %bb.45:                               ;   in Loop: Header=BB115_28 Depth=1
	scratch_load_b64 v[0:1], off, off offset:412 ; 8-byte Folded Reload
	s_waitcnt vmcnt(0)
	v_add_co_u32 v0, vcc_lo, v4, v0
	v_add_co_ci_u32_e32 v1, vcc_lo, v5, v1, vcc_lo
	flat_load_b64 v[0:1], v[0:1] offset:32
.LBB115_46:                             ;   in Loop: Header=BB115_28 Depth=1
	s_or_b32 exec_lo, exec_lo, s6
	v_dual_mov_b32 v67, v219 :: v_dual_mov_b32 v68, v113
	v_dual_mov_b32 v69, v50 :: v_dual_mov_b32 v78, v36
	;; [unrolled: 1-line block ×6, first 2 shown]
	v_mov_b32_e32 v106, v108
	v_mov_b32_e32 v108, v110
	;; [unrolled: 1-line block ×3, first 2 shown]
	s_mov_b32 s28, 0
	s_mov_b32 s6, -1
	s_waitcnt vmcnt(0) lgkmcnt(0)
	scratch_store_b64 off, v[0:1], off offset:316 ; 8-byte Folded Spill
.LBB115_47:                             ;   Parent Loop BB115_28 Depth=1
                                        ; =>  This Inner Loop Header: Depth=2
	scratch_load_b32 v0, off, off           ; 4-byte Folded Reload
	s_lshl_b32 s28, s28, 3
	v_dual_mov_b32 v50, v201 :: v_dual_mov_b32 v31, v118
	v_lshl_add_u32 v8, v51, 5, s28
	v_mov_b32_e32 v49, v210
	s_and_not1_b32 vcc_lo, exec_lo, s6
	s_mov_b32 s6, 0
	s_waitcnt vmcnt(0)
	v_lshl_add_u32 v16, v0, 5, s28
	s_mov_b32 s28, 2
	ds_load_b128 v[38:41], v16 offset:8192
	ds_load_b128 v[0:3], v8
	ds_load_b128 v[4:7], v8 offset:1024
	ds_load_b128 v[52:55], v16 offset:8448
	s_waitcnt lgkmcnt(2)
	v_add_f64 v[96:97], v[2:3], v[40:41]
	s_waitcnt lgkmcnt(1)
	v_add_f64 v[9:10], v[6:7], v[40:41]
	v_add_f64 v[45:46], v[0:1], v[38:39]
	s_delay_alu instid0(VALU_DEP_3)
	v_cvt_f32_f64_e32 v96, v[96:97]
	scratch_store_b64 off, v[9:10], off offset:8 ; 8-byte Folded Spill
	v_add_f64 v[9:10], v[4:5], v[38:39]
	v_cvt_f32_f64_e32 v45, v[45:46]
	scratch_store_b64 off, v[9:10], off offset:32 ; 8-byte Folded Spill
	ds_load_b128 v[189:192], v8 offset:2048
	ds_load_b128 v[193:196], v8 offset:3072
	v_min3_f32 v183, v45, v96, v183
	s_waitcnt lgkmcnt(1)
	v_add_f64 v[8:9], v[191:192], v[40:41]
	scratch_store_b64 off, v[8:9], off offset:24 ; 8-byte Folded Spill
	v_add_f64 v[8:9], v[189:190], v[38:39]
	scratch_store_b64 off, v[8:9], off offset:48 ; 8-byte Folded Spill
	s_waitcnt lgkmcnt(0)
	v_add_f64 v[8:9], v[195:196], v[40:41]
	v_mov_b32_e32 v40, v188
	scratch_store_b64 off, v[8:9], off offset:16 ; 8-byte Folded Spill
	v_add_f64 v[8:9], v[193:194], v[38:39]
	scratch_store_b64 off, v[8:9], off offset:40 ; 8-byte Folded Spill
	v_add_f64 v[8:9], v[2:3], v[54:55]
	;; [unrolled: 2-line block ×8, first 2 shown]
	v_mov_b32_e32 v55, v165
	scratch_store_b64 off, v[8:9], off offset:104 ; 8-byte Folded Spill
	v_add_f64 v[8:9], v[193:194], v[52:53]
	scratch_store_b64 off, v[8:9], off offset:112 ; 8-byte Folded Spill
	ds_load_b128 v[70:73], v16 offset:8704
	ds_load_b128 v[84:87], v16 offset:8960
	s_waitcnt lgkmcnt(1)
	v_add_f64 v[8:9], v[2:3], v[72:73]
	scratch_store_b64 off, v[8:9], off offset:152 ; 8-byte Folded Spill
	v_add_f64 v[8:9], v[0:1], v[70:71]
	scratch_store_b64 off, v[8:9], off offset:176 ; 8-byte Folded Spill
	;; [unrolled: 2-line block ×8, first 2 shown]
	s_waitcnt lgkmcnt(0)
	v_add_f64 v[8:9], v[2:3], v[86:87]
	scratch_store_b64 off, v[8:9], off offset:184 ; 8-byte Folded Spill
	v_add_f64 v[8:9], v[0:1], v[84:85]
	scratch_store_b64 off, v[8:9], off offset:192 ; 8-byte Folded Spill
	;; [unrolled: 2-line block ×8, first 2 shown]
	ds_load_b128 v[102:105], v16 offset:9216
	ds_load_b128 v[197:200], v16 offset:9472
	;; [unrolled: 1-line block ×3, first 2 shown]
	s_waitcnt lgkmcnt(2)
	v_add_f64 v[8:9], v[6:7], v[104:105]
	v_add_f64 v[86:87], v[2:3], v[104:105]
	;; [unrolled: 1-line block ×5, first 2 shown]
	s_waitcnt lgkmcnt(1)
	v_add_f64 v[84:85], v[6:7], v[199:200]
	v_add_f64 v[70:71], v[4:5], v[197:198]
	;; [unrolled: 1-line block ×6, first 2 shown]
	s_waitcnt lgkmcnt(0)
	v_add_f64 v[130:131], v[2:3], v[203:204]
	v_add_f64 v[132:133], v[0:1], v[201:202]
	;; [unrolled: 1-line block ×8, first 2 shown]
	scratch_store_b64 off, v[8:9], off offset:264 ; 8-byte Folded Spill
	v_add_f64 v[8:9], v[191:192], v[104:105]
	v_cvt_f32_f64_e32 v41, v[41:42]
	v_cvt_f32_f64_e32 v42, v[60:61]
	scratch_store_b64 off, v[8:9], off offset:256 ; 8-byte Folded Spill
	v_add_f64 v[8:9], v[195:196], v[104:105]
	v_add_f64 v[104:105], v[0:1], v[197:198]
	v_min3_f32 v80, v41, v42, v80
	scratch_store_b64 off, v[8:9], off offset:248 ; 8-byte Folded Spill
	v_add_f64 v[8:9], v[193:194], v[102:103]
	v_add_f64 v[102:103], v[2:3], v[199:200]
	ds_load_b128 v[197:200], v16 offset:9728
	s_waitcnt lgkmcnt(0)
	v_add_f64 v[100:101], v[2:3], v[199:200]
	v_add_f64 v[116:117], v[0:1], v[197:198]
	;; [unrolled: 1-line block ×8, first 2 shown]
	scratch_store_b64 off, v[8:9], off offset:272 ; 8-byte Folded Spill
	ds_load_b128 v[197:200], v16 offset:10240
	ds_load_b128 v[201:204], v16 offset:10496
	s_waitcnt lgkmcnt(1)
	v_add_f64 v[207:208], v[6:7], v[199:200]
	v_add_f64 v[29:30], v[4:5], v[197:198]
	;; [unrolled: 1-line block ×8, first 2 shown]
	s_waitcnt lgkmcnt(0)
	v_add_f64 v[38:39], v[2:3], v[203:204]
	v_add_f64 v[25:26], v[0:1], v[201:202]
	;; [unrolled: 1-line block ×8, first 2 shown]
	ds_load_b128 v[197:200], v16 offset:10752
	ds_load_b128 v[201:204], v16 offset:11008
	s_waitcnt lgkmcnt(1)
	v_add_f64 v[235:236], v[2:3], v[199:200]
	v_add_f64 v[237:238], v[0:1], v[197:198]
	;; [unrolled: 1-line block ×4, first 2 shown]
	v_cvt_f32_f64_e32 v29, v[29:30]
	v_cvt_f32_f64_e32 v30, v[207:208]
	v_add_f64 v[243:244], v[191:192], v[199:200]
	v_add_f64 v[245:246], v[189:190], v[197:198]
	;; [unrolled: 1-line block ×4, first 2 shown]
	s_waitcnt lgkmcnt(0)
	v_add_f64 v[251:252], v[2:3], v[203:204]
	v_add_f64 v[253:254], v[0:1], v[201:202]
	;; [unrolled: 1-line block ×8, first 2 shown]
	ds_load_b128 v[197:200], v16 offset:11264
	ds_load_b128 v[201:204], v16 offset:11520
	v_cvt_f32_f64_e32 v25, v[25:26]
	v_cvt_f32_f64_e32 v26, v[38:39]
	;; [unrolled: 1-line block ×3, first 2 shown]
	s_waitcnt lgkmcnt(1)
	v_add_f64 v[144:145], v[2:3], v[199:200]
	v_add_f64 v[146:147], v[0:1], v[197:198]
	;; [unrolled: 1-line block ×8, first 2 shown]
	s_waitcnt lgkmcnt(0)
	v_add_f64 v[156:157], v[2:3], v[203:204]
	v_add_f64 v[164:165], v[0:1], v[201:202]
	;; [unrolled: 1-line block ×8, first 2 shown]
	ds_load_b128 v[197:200], v16 offset:11776
	ds_load_b128 v[201:204], v16 offset:12032
	scratch_load_b64 v[45:46], off, off offset:32 ; 8-byte Folded Reload
	v_min3_f32 v78, v29, v30, v78
	v_cvt_f32_f64_e32 v30, v[51:52]
	s_clause 0x1
	scratch_load_b32 v51, off, off offset:304
	scratch_load_b64 v[96:97], off, off offset:8
	v_cvt_f32_f64_e32 v19, v[19:20]
	v_cvt_f32_f64_e32 v17, v[17:18]
	;; [unrolled: 1-line block ×4, first 2 shown]
	v_min3_f32 v75, v25, v26, v75
	v_cvt_f32_f64_e32 v25, v[27:28]
	v_cvt_f32_f64_e32 v26, v[36:37]
	;; [unrolled: 1-line block ×3, first 2 shown]
	s_waitcnt lgkmcnt(1)
	v_add_f64 v[10:11], v[0:1], v[197:198]
	v_add_f64 v[15:16], v[4:5], v[197:198]
	;; [unrolled: 1-line block ×4, first 2 shown]
	s_waitcnt lgkmcnt(0)
	v_add_f64 v[0:1], v[0:1], v[201:202]
	v_add_f64 v[4:5], v[4:5], v[201:202]
	;; [unrolled: 1-line block ×4, first 2 shown]
	v_mov_b32_e32 v201, v50
	v_cvt_f32_f64_e32 v9, v[144:145]
	v_add_f64 v[160:161], v[2:3], v[199:200]
	v_add_f64 v[2:3], v[2:3], v[203:204]
	;; [unrolled: 1-line block ×8, first 2 shown]
	v_min3_f32 v35, v19, v17, v35
	v_cvt_f32_f64_e32 v17, v[23:24]
	v_min3_f32 v74, v25, v26, v74
	v_cvt_f32_f64_e32 v25, v[229:230]
	v_cvt_f32_f64_e32 v26, v[32:33]
	v_min3_f32 v77, v29, v30, v77
	v_cvt_f32_f64_e32 v29, v[56:57]
	v_cvt_f32_f64_e32 v30, v[53:54]
	;; [unrolled: 1-line block ×4, first 2 shown]
	v_min3_f32 v59, v17, v18, v59
	v_cvt_f32_f64_e32 v17, v[142:143]
	v_min3_f32 v65, v25, v26, v65
	v_cvt_f32_f64_e32 v25, v[233:234]
	v_cvt_f32_f64_e32 v26, v[231:232]
	v_min3_f32 v76, v29, v30, v76
	v_min3_f32 v58, v17, v8, v58
	v_cvt_f32_f64_e32 v8, v[146:147]
	s_delay_alu instid0(VALU_DEP_4) | instskip(SKIP_2) | instid1(VALU_DEP_4)
	v_min3_f32 v64, v25, v26, v64
	v_cvt_f32_f64_e32 v25, v[237:238]
	v_cvt_f32_f64_e32 v26, v[235:236]
	v_min3_f32 v69, v8, v9, v69
	v_cvt_f32_f64_e32 v8, v[166:167]
	v_cvt_f32_f64_e32 v9, v[148:149]
	s_delay_alu instid0(VALU_DEP_4) | instskip(SKIP_2) | instid1(VALU_DEP_4)
	v_min3_f32 v63, v25, v26, v63
	v_cvt_f32_f64_e32 v25, v[241:242]
	v_cvt_f32_f64_e32 v26, v[239:240]
	v_min3_f32 v68, v8, v9, v68
	v_cvt_f32_f64_e32 v8, v[185:186]
	v_cvt_f32_f64_e32 v9, v[150:151]
	s_delay_alu instid0(VALU_DEP_1) | instskip(SKIP_2) | instid1(VALU_DEP_1)
	v_min3_f32 v67, v8, v9, v67
	v_cvt_f32_f64_e32 v8, v[154:155]
	v_cvt_f32_f64_e32 v9, v[152:153]
	v_min3_f32 v66, v8, v9, v66
	v_cvt_f32_f64_e32 v8, v[164:165]
	v_cvt_f32_f64_e32 v9, v[156:157]
	s_waitcnt vmcnt(2)
	v_cvt_f32_f64_e32 v45, v[45:46]
	s_delay_alu instid0(VALU_DEP_2) | instskip(SKIP_4) | instid1(VALU_DEP_2)
	v_min3_f32 v228, v8, v9, v228
	v_cvt_f32_f64_e32 v8, v[98:99]
	v_cvt_f32_f64_e32 v9, v[158:159]
	s_waitcnt vmcnt(0)
	v_cvt_f32_f64_e32 v96, v[96:97]
	v_min3_f32 v221, v8, v9, v221
	s_delay_alu instid0(VALU_DEP_2)
	v_min3_f32 v182, v45, v96, v182
	s_clause 0x1
	scratch_load_b64 v[45:46], off, off offset:48
	scratch_load_b64 v[96:97], off, off offset:24
	v_cvt_f32_f64_e32 v8, v[187:188]
	v_cvt_f32_f64_e32 v9, v[217:218]
	v_mov_b32_e32 v188, v40
	v_min3_f32 v201, v25, v26, v201
	v_cvt_f32_f64_e32 v25, v[245:246]
	v_cvt_f32_f64_e32 v26, v[243:244]
	s_delay_alu instid0(VALU_DEP_4) | instskip(SKIP_2) | instid1(VALU_DEP_4)
	v_min3_f32 v188, v0, v1, v188
	v_cvt_f32_f64_e32 v0, v[4:5]
	v_cvt_f32_f64_e32 v1, v[6:7]
	v_min3_f32 v62, v25, v26, v62
	v_cvt_f32_f64_e32 v25, v[249:250]
	v_cvt_f32_f64_e32 v26, v[247:248]
	s_delay_alu instid0(VALU_DEP_4) | instskip(SKIP_2) | instid1(VALU_DEP_1)
	v_min3_f32 v176, v0, v1, v176
	v_cvt_f32_f64_e32 v0, v[189:190]
	v_cvt_f32_f64_e32 v1, v[191:192]
	v_min3_f32 v177, v0, v1, v177
	v_cvt_f32_f64_e32 v0, v[193:194]
	v_cvt_f32_f64_e32 v1, v[195:196]
	s_delay_alu instid0(VALU_DEP_1) | instskip(SKIP_4) | instid1(VALU_DEP_1)
	v_min3_f32 v255, v0, v1, v255
	s_waitcnt vmcnt(1)
	v_cvt_f32_f64_e32 v45, v[45:46]
	s_waitcnt vmcnt(0)
	v_cvt_f32_f64_e32 v96, v[96:97]
	v_min3_f32 v181, v45, v96, v181
	s_clause 0x1
	scratch_load_b64 v[45:46], off, off offset:40
	scratch_load_b64 v[96:97], off, off offset:16
	s_waitcnt vmcnt(1)
	v_cvt_f32_f64_e32 v45, v[45:46]
	s_waitcnt vmcnt(0)
	v_cvt_f32_f64_e32 v96, v[96:97]
	s_delay_alu instid0(VALU_DEP_1)
	v_min3_f32 v180, v45, v96, v180
	s_clause 0x1
	scratch_load_b64 v[45:46], off, off offset:64
	scratch_load_b64 v[96:97], off, off offset:56
	s_waitcnt vmcnt(1)
	v_cvt_f32_f64_e32 v45, v[45:46]
	s_waitcnt vmcnt(0)
	v_cvt_f32_f64_e32 v96, v[96:97]
	s_delay_alu instid0(VALU_DEP_1)
	;; [unrolled: 9-line block ×5, first 2 shown]
	v_min3_f32 v174, v45, v96, v174
	s_clause 0x1
	scratch_load_b64 v[45:46], off, off offset:176
	scratch_load_b64 v[96:97], off, off offset:152
	s_waitcnt vmcnt(1)
	v_cvt_f32_f64_e32 v45, v[45:46]
	s_waitcnt vmcnt(0)
	v_cvt_f32_f64_e32 v50, v[96:97]
	scratch_load_b64 v[96:97], off, off offset:136 ; 8-byte Folded Reload
	v_min3_f32 v173, v45, v50, v173
	scratch_load_b64 v[45:46], off, off offset:168 ; 8-byte Folded Reload
	s_waitcnt vmcnt(0)
	v_cvt_f32_f64_e32 v45, v[45:46]
	v_cvt_f32_f64_e32 v46, v[96:97]
	scratch_load_b64 v[96:97], off, off offset:128 ; 8-byte Folded Reload
	v_min3_f32 v172, v45, v46, v172
	scratch_load_b64 v[45:46], off, off offset:160 ; 8-byte Folded Reload
	s_waitcnt vmcnt(0)
	v_cvt_f32_f64_e32 v45, v[45:46]
	;; [unrolled: 6-line block ×7, first 2 shown]
	v_cvt_f32_f64_e32 v46, v[96:97]
	s_delay_alu instid0(VALU_DEP_1) | instskip(SKIP_3) | instid1(VALU_DEP_1)
	v_min3_f32 v222, v45, v46, v222
	v_cvt_f32_f64_e32 v46, v[86:87]
	scratch_load_b64 v[86:87], off, off offset:264 ; 8-byte Folded Reload
	v_cvt_f32_f64_e32 v45, v[92:93]
	v_min3_f32 v225, v45, v46, v225
	v_cvt_f32_f64_e32 v45, v[90:91]
	s_waitcnt vmcnt(0)
	v_cvt_f32_f64_e32 v46, v[86:87]
	scratch_load_b64 v[86:87], off, off offset:256 ; 8-byte Folded Reload
	v_min3_f32 v216, v45, v46, v216
	v_cvt_f32_f64_e32 v45, v[88:89]
	s_waitcnt vmcnt(0)
	v_cvt_f32_f64_e32 v46, v[86:87]
	scratch_load_b64 v[86:87], off, off offset:248 ; 8-byte Folded Reload
	v_min3_f32 v212, v45, v46, v212
	scratch_load_b64 v[45:46], off, off offset:272 ; 8-byte Folded Reload
	s_waitcnt vmcnt(0)
	v_cvt_f32_f64_e32 v45, v[45:46]
	v_cvt_f32_f64_e32 v46, v[86:87]
	s_delay_alu instid0(VALU_DEP_1) | instskip(SKIP_2) | instid1(VALU_DEP_1)
	v_min3_f32 v214, v45, v46, v214
	v_cvt_f32_f64_e32 v45, v[104:105]
	v_cvt_f32_f64_e32 v46, v[102:103]
	v_min3_f32 v14, v45, v46, v14
	v_cvt_f32_f64_e32 v45, v[70:71]
	v_cvt_f32_f64_e32 v46, v[84:85]
	s_delay_alu instid0(VALU_DEP_1) | instskip(SKIP_2) | instid1(VALU_DEP_1)
	v_min3_f32 v184, v45, v46, v184
	v_cvt_f32_f64_e32 v45, v[112:113]
	v_cvt_f32_f64_e32 v46, v[72:73]
	v_min3_f32 v110, v45, v46, v110
	;; [unrolled: 7-line block ×3, first 2 shown]
	v_cvt_f32_f64_e32 v45, v[120:121]
	v_cvt_f32_f64_e32 v46, v[118:119]
	v_mov_b32_e32 v118, v31
	v_mov_b32_e32 v165, v55
	v_cvt_f32_f64_e32 v31, v[47:48]
	s_delay_alu instid0(VALU_DEP_3) | instskip(NEXT) | instid1(VALU_DEP_3)
	v_min3_f32 v118, v25, v26, v118
	v_min3_f32 v165, v8, v9, v165
	v_cvt_f32_f64_e32 v8, v[209:210]
	v_mov_b32_e32 v210, v49
	v_cvt_f32_f64_e32 v9, v[223:224]
	v_cvt_f32_f64_e32 v25, v[253:254]
	;; [unrolled: 1-line block ×3, first 2 shown]
	v_min3_f32 v109, v45, v46, v109
	v_cvt_f32_f64_e32 v45, v[124:125]
	v_cvt_f32_f64_e32 v46, v[122:123]
	v_min3_f32 v79, v41, v31, v79
	v_min3_f32 v226, v8, v9, v226
	v_cvt_f32_f64_e32 v8, v[10:11]
	v_cvt_f32_f64_e32 v9, v[160:161]
	v_min3_f32 v34, v25, v26, v34
	;; [unrolled: 4-line block ×3, first 2 shown]
	v_cvt_f32_f64_e32 v8, v[15:16]
	v_cvt_f32_f64_e32 v9, v[219:220]
	s_delay_alu instid0(VALU_DEP_4) | instskip(SKIP_2) | instid1(VALU_DEP_4)
	v_min3_f32 v107, v45, v46, v107
	v_cvt_f32_f64_e32 v45, v[132:133]
	v_cvt_f32_f64_e32 v46, v[130:131]
	v_min3_f32 v215, v8, v9, v215
	v_cvt_f32_f64_e32 v8, v[12:13]
	v_cvt_f32_f64_e32 v9, v[162:163]
	s_delay_alu instid0(VALU_DEP_4) | instskip(SKIP_2) | instid1(VALU_DEP_4)
	v_min3_f32 v83, v45, v46, v83
	v_cvt_f32_f64_e32 v45, v[136:137]
	v_cvt_f32_f64_e32 v46, v[134:135]
	v_min3_f32 v211, v8, v9, v211
	;; [unrolled: 7-line block ×3, first 2 shown]
	s_delay_alu instid0(VALU_DEP_2)
	v_min3_f32 v81, v45, v46, v81
	s_cbranch_vccz .LBB115_47
; %bb.48:                               ;   in Loop: Header=BB115_28 Depth=1
	s_clause 0x2
	scratch_load_b32 v1, off, off offset:380
	scratch_load_b64 v[2:3], off, off offset:280
	scratch_load_b64 v[4:5], off, off offset:288
	v_dual_mov_b32 v112, v110 :: v_dual_mov_b32 v31, v80
	v_dual_mov_b32 v110, v108 :: v_dual_mov_b32 v33, v82
	;; [unrolled: 1-line block ×4, first 2 shown]
	v_mov_b32_e32 v36, v78
	v_dual_mov_b32 v218, v64 :: v_dual_mov_b32 v217, v66
	v_mov_b32_e32 v224, v63
	v_mov_b32_e32 v150, v62
	s_add_i32 s27, s27, 8
	s_add_i32 s7, s7, 8
	s_cmp_ge_i32 s27, s26
	s_waitcnt vmcnt(0)
	ds_store_2addr_stride64_b64 v1, v[2:3], v[4:5] offset1:4
	s_clause 0x2
	scratch_load_b32 v1, off, off offset:384
	scratch_load_b64 v[2:3], off, off offset:296
	scratch_load_b64 v[4:5], off, off offset:316
	s_waitcnt vmcnt(0)
	ds_store_2addr_stride64_b64 v1, v[2:3], v[4:5] offset1:4
	s_waitcnt lgkmcnt(0)
	s_waitcnt_vscnt null, 0x0
	s_barrier
	buffer_gl0_inv
	s_cbranch_scc1 .LBB115_51
; %bb.49:                               ;   in Loop: Header=BB115_28 Depth=1
	v_dual_mov_b32 v113, v68 :: v_dual_mov_b32 v50, v69
	s_branch .LBB115_28
.LBB115_50:
	v_dual_mov_b32 v201, v63 :: v_dual_mov_b32 v100, v50
	v_mov_b32_e32 v220, v219
	s_branch .LBB115_52
.LBB115_51:
	v_mov_b32_e32 v220, v68
	v_mov_b32_e32 v100, v69
.LBB115_52:
	v_mov_b32_e32 v117, v34
	v_dual_mov_b32 v149, v224 :: v_dual_mov_b32 v224, v218
	v_dual_mov_b32 v219, v35 :: v_dual_mov_b32 v64, v74
	v_mov_b32_e32 v74, v76
	v_dual_mov_b32 v76, v36 :: v_dual_mov_b32 v119, v79
	v_dual_mov_b32 v120, v31 :: v_dual_mov_b32 v27, v81
	;; [unrolled: 1-line block ×6, first 2 shown]
	s_mov_b32 s3, 0
	s_mov_b32 s2, -1
.LBB115_53:                             ; =>This Inner Loop Header: Depth=1
	scratch_load_b32 v0, off, off           ; 4-byte Folded Reload
	s_lshl_b32 s3, s3, 3
	v_dual_mov_b32 v58, v201 :: v_dual_mov_b32 v187, v210
	s_waitcnt vmcnt(1)
	v_lshl_add_u32 v8, v51, 5, s3
	v_dual_mov_b32 v218, v217 :: v_dual_mov_b32 v217, v167
	s_and_not1_b32 vcc_lo, exec_lo, s2
	s_mov_b32 s2, 0
	s_waitcnt vmcnt(0)
	v_lshl_add_u32 v98, v0, 5, s3
	s_mov_b32 s3, 2
	ds_load_b128 v[20:23], v98 offset:12288
	ds_load_b128 v[0:3], v8 offset:4096
	;; [unrolled: 1-line block ×4, first 2 shown]
	s_waitcnt lgkmcnt(2)
	v_add_f64 v[39:40], v[2:3], v[22:23]
	s_waitcnt lgkmcnt(1)
	v_add_f64 v[9:10], v[6:7], v[22:23]
	v_add_f64 v[121:122], v[0:1], v[20:21]
	s_delay_alu instid0(VALU_DEP_3)
	v_cvt_f32_f64_e32 v39, v[39:40]
	scratch_store_b64 off, v[9:10], off offset:8 ; 8-byte Folded Spill
	v_add_f64 v[9:10], v[4:5], v[20:21]
	v_cvt_f32_f64_e32 v41, v[121:122]
	scratch_store_b64 off, v[9:10], off offset:32 ; 8-byte Folded Spill
	ds_load_b128 v[101:104], v8 offset:6144
	ds_load_b128 v[105:108], v8 offset:7168
	v_min3_f32 v183, v41, v39, v183
	s_waitcnt lgkmcnt(1)
	v_add_f64 v[8:9], v[103:104], v[22:23]
	scratch_store_b64 off, v[8:9], off offset:24 ; 8-byte Folded Spill
	v_add_f64 v[8:9], v[101:102], v[20:21]
	scratch_store_b64 off, v[8:9], off offset:48 ; 8-byte Folded Spill
	s_waitcnt lgkmcnt(0)
	v_add_f64 v[8:9], v[107:108], v[22:23]
	scratch_store_b64 off, v[8:9], off offset:16 ; 8-byte Folded Spill
	v_add_f64 v[8:9], v[105:106], v[20:21]
	scratch_store_b64 off, v[8:9], off offset:40 ; 8-byte Folded Spill
	;; [unrolled: 2-line block ×10, first 2 shown]
	ds_load_b128 v[52:55], v98 offset:12800
	ds_load_b128 v[66:69], v98 offset:13056
	s_waitcnt lgkmcnt(1)
	v_add_f64 v[8:9], v[2:3], v[54:55]
	scratch_store_b64 off, v[8:9], off offset:152 ; 8-byte Folded Spill
	v_add_f64 v[8:9], v[0:1], v[52:53]
	scratch_store_b64 off, v[8:9], off offset:176 ; 8-byte Folded Spill
	;; [unrolled: 2-line block ×8, first 2 shown]
	s_waitcnt lgkmcnt(0)
	v_add_f64 v[8:9], v[2:3], v[68:69]
	scratch_store_b64 off, v[8:9], off offset:184 ; 8-byte Folded Spill
	v_add_f64 v[8:9], v[0:1], v[66:67]
	scratch_store_b64 off, v[8:9], off offset:192 ; 8-byte Folded Spill
	;; [unrolled: 2-line block ×8, first 2 shown]
	ds_load_b128 v[84:87], v98 offset:13312
	ds_load_b128 v[109:112], v98 offset:13568
	s_waitcnt lgkmcnt(1)
	v_add_f64 v[8:9], v[2:3], v[86:87]
	v_add_f64 v[80:81], v[0:1], v[84:85]
	;; [unrolled: 1-line block ×3, first 2 shown]
	s_waitcnt lgkmcnt(0)
	v_add_f64 v[82:83], v[6:7], v[111:112]
	v_add_f64 v[88:89], v[4:5], v[109:110]
	v_add_f64 v[90:91], v[103:104], v[111:112]
	v_add_f64 v[92:93], v[101:102], v[109:110]
	v_add_f64 v[94:95], v[107:108], v[111:112]
	v_add_f64 v[96:97], v[105:106], v[109:110]
	scratch_store_b64 off, v[8:9], off offset:280 ; 8-byte Folded Spill
	v_add_f64 v[8:9], v[6:7], v[86:87]
	scratch_store_b64 off, v[8:9], off offset:264 ; 8-byte Folded Spill
	v_add_f64 v[8:9], v[103:104], v[86:87]
	scratch_store_b64 off, v[8:9], off offset:256 ; 8-byte Folded Spill
	v_add_f64 v[8:9], v[101:102], v[84:85]
	scratch_store_b64 off, v[8:9], off offset:288 ; 8-byte Folded Spill
	v_add_f64 v[8:9], v[107:108], v[86:87]
	v_add_f64 v[86:87], v[0:1], v[109:110]
	scratch_store_b64 off, v[8:9], off offset:248 ; 8-byte Folded Spill
	v_add_f64 v[8:9], v[105:106], v[84:85]
	v_add_f64 v[84:85], v[2:3], v[111:112]
	scratch_store_b64 off, v[8:9], off offset:272 ; 8-byte Folded Spill
	ds_load_b128 v[109:112], v98 offset:13824
	ds_load_b128 v[113:116], v98 offset:14080
	s_waitcnt lgkmcnt(1)
	v_add_f64 v[123:124], v[2:3], v[111:112]
	v_add_f64 v[125:126], v[0:1], v[109:110]
	v_add_f64 v[127:128], v[6:7], v[111:112]
	v_add_f64 v[129:130], v[4:5], v[109:110]
	v_add_f64 v[131:132], v[103:104], v[111:112]
	v_add_f64 v[133:134], v[101:102], v[109:110]
	v_add_f64 v[135:136], v[107:108], v[111:112]
	v_add_f64 v[137:138], v[105:106], v[109:110]
	s_waitcnt lgkmcnt(0)
	v_add_f64 v[139:140], v[2:3], v[115:116]
	v_add_f64 v[141:142], v[0:1], v[113:114]
	v_add_f64 v[143:144], v[6:7], v[115:116]
	v_add_f64 v[145:146], v[4:5], v[113:114]
	v_add_f64 v[147:148], v[103:104], v[115:116]
	v_add_f64 v[68:69], v[101:102], v[113:114]
	v_add_f64 v[151:152], v[107:108], v[115:116]
	v_add_f64 v[153:154], v[105:106], v[113:114]
	ds_load_b128 v[109:112], v98 offset:14336
	ds_load_b128 v[113:116], v98 offset:14592
	s_waitcnt lgkmcnt(1)
	v_add_f64 v[155:156], v[2:3], v[111:112]
	v_add_f64 v[157:158], v[0:1], v[109:110]
	v_add_f64 v[159:160], v[6:7], v[111:112]
	v_add_f64 v[161:162], v[4:5], v[109:110]
	v_add_f64 v[62:63], v[103:104], v[111:112]
	v_add_f64 v[185:186], v[101:102], v[109:110]
	v_add_f64 v[66:67], v[107:108], v[111:112]
	v_add_f64 v[189:190], v[105:106], v[109:110]
	s_waitcnt lgkmcnt(0)
	v_add_f64 v[191:192], v[2:3], v[115:116]
	v_add_f64 v[193:194], v[0:1], v[113:114]
	v_add_f64 v[195:196], v[6:7], v[115:116]
	v_add_f64 v[197:198], v[4:5], v[113:114]
	v_add_f64 v[199:200], v[103:104], v[115:116]
	v_add_f64 v[201:202], v[101:102], v[113:114]
	v_add_f64 v[203:204], v[107:108], v[115:116]
	v_add_f64 v[205:206], v[105:106], v[113:114]
	;; [unrolled: 20-line block ×4, first 2 shown]
	ds_load_b128 v[109:112], v98 offset:15872
	ds_load_b128 v[113:116], v98 offset:16128
	scratch_load_b64 v[39:40], off, off offset:32 ; 8-byte Folded Reload
	s_waitcnt lgkmcnt(1)
	v_add_f64 v[12:13], v[2:3], v[111:112]
	v_add_f64 v[8:9], v[0:1], v[109:110]
	s_waitcnt lgkmcnt(0)
	v_add_f64 v[2:3], v[2:3], v[115:116]
	v_add_f64 v[0:1], v[0:1], v[113:114]
	;; [unrolled: 1-line block ×14, first 2 shown]
	v_cvt_f32_f64_e32 v37, v[37:38]
	v_cvt_f32_f64_e32 v38, v[253:254]
	;; [unrolled: 1-line block ×14, first 2 shown]
	v_min3_f32 v228, v33, v34, v228
	v_min3_f32 v221, v29, v30, v221
	;; [unrolled: 1-line block ×5, first 2 shown]
	v_cvt_f32_f64_e32 v8, v[10:11]
	v_cvt_f32_f64_e32 v9, v[17:18]
	v_min3_f32 v188, v0, v1, v188
	v_cvt_f32_f64_e32 v0, v[4:5]
	v_cvt_f32_f64_e32 v1, v[6:7]
	s_delay_alu instid0(VALU_DEP_4) | instskip(SKIP_2) | instid1(VALU_DEP_4)
	v_min3_f32 v215, v8, v9, v215
	v_cvt_f32_f64_e32 v8, v[15:16]
	v_cvt_f32_f64_e32 v9, v[19:20]
	v_min3_f32 v176, v0, v1, v176
	v_cvt_f32_f64_e32 v0, v[101:102]
	v_cvt_f32_f64_e32 v1, v[103:104]
	s_delay_alu instid0(VALU_DEP_4) | instskip(SKIP_2) | instid1(VALU_DEP_4)
	v_min3_f32 v211, v8, v9, v211
	v_cvt_f32_f64_e32 v8, v[109:110]
	v_cvt_f32_f64_e32 v9, v[111:112]
	v_min3_f32 v177, v0, v1, v177
	v_cvt_f32_f64_e32 v0, v[105:106]
	v_cvt_f32_f64_e32 v1, v[107:108]
	s_delay_alu instid0(VALU_DEP_1)
	v_min3_f32 v255, v0, v1, v255
	s_waitcnt vmcnt(0)
	v_cvt_f32_f64_e32 v39, v[39:40]
	scratch_load_b64 v[40:41], off, off offset:8 ; 8-byte Folded Reload
	s_waitcnt vmcnt(0)
	v_cvt_f32_f64_e32 v40, v[40:41]
	s_delay_alu instid0(VALU_DEP_1)
	v_min3_f32 v182, v39, v40, v182
	scratch_load_b64 v[39:40], off, off offset:48 ; 8-byte Folded Reload
	s_waitcnt vmcnt(0)
	v_cvt_f32_f64_e32 v39, v[39:40]
	scratch_load_b64 v[40:41], off, off offset:24 ; 8-byte Folded Reload
	s_waitcnt vmcnt(0)
	v_cvt_f32_f64_e32 v40, v[40:41]
	s_delay_alu instid0(VALU_DEP_1)
	v_min3_f32 v181, v39, v40, v181
	scratch_load_b64 v[39:40], off, off offset:40 ; 8-byte Folded Reload
	;; [unrolled: 8-line block ×14, first 2 shown]
	s_waitcnt vmcnt(0)
	v_cvt_f32_f64_e32 v39, v[39:40]
	scratch_load_b64 v[40:41], off, off offset:232 ; 8-byte Folded Reload
	s_waitcnt vmcnt(0)
	v_cvt_f32_f64_e32 v40, v[40:41]
	s_delay_alu instid0(VALU_DEP_1) | instskip(SKIP_4) | instid1(VALU_DEP_1)
	v_min3_f32 v222, v39, v40, v222
	scratch_load_b64 v[40:41], off, off offset:280 ; 8-byte Folded Reload
	v_cvt_f32_f64_e32 v39, v[80:81]
	s_waitcnt vmcnt(0)
	v_cvt_f32_f64_e32 v40, v[40:41]
	v_min3_f32 v225, v39, v40, v225
	scratch_load_b64 v[40:41], off, off offset:264 ; 8-byte Folded Reload
	v_cvt_f32_f64_e32 v39, v[78:79]
	s_waitcnt vmcnt(0)
	v_cvt_f32_f64_e32 v40, v[40:41]
	s_delay_alu instid0(VALU_DEP_1)
	v_min3_f32 v216, v39, v40, v216
	scratch_load_b64 v[39:40], off, off offset:288 ; 8-byte Folded Reload
	s_waitcnt vmcnt(0)
	v_cvt_f32_f64_e32 v39, v[39:40]
	scratch_load_b64 v[40:41], off, off offset:256 ; 8-byte Folded Reload
	s_waitcnt vmcnt(0)
	v_cvt_f32_f64_e32 v40, v[40:41]
	s_delay_alu instid0(VALU_DEP_1)
	v_min3_f32 v212, v39, v40, v212
	scratch_load_b64 v[39:40], off, off offset:272 ; 8-byte Folded Reload
	s_waitcnt vmcnt(0)
	v_cvt_f32_f64_e32 v39, v[39:40]
	scratch_load_b64 v[40:41], off, off offset:248 ; 8-byte Folded Reload
	s_waitcnt vmcnt(0)
	v_cvt_f32_f64_e32 v40, v[40:41]
	s_delay_alu instid0(VALU_DEP_1) | instskip(SKIP_2) | instid1(VALU_DEP_1)
	v_min3_f32 v214, v39, v40, v214
	v_cvt_f32_f64_e32 v39, v[86:87]
	v_cvt_f32_f64_e32 v40, v[84:85]
	v_min3_f32 v14, v39, v40, v14
	v_cvt_f32_f64_e32 v39, v[88:89]
	v_cvt_f32_f64_e32 v40, v[82:83]
	s_delay_alu instid0(VALU_DEP_1) | instskip(SKIP_2) | instid1(VALU_DEP_1)
	v_min3_f32 v184, v39, v40, v184
	v_cvt_f32_f64_e32 v39, v[92:93]
	v_cvt_f32_f64_e32 v40, v[90:91]
	v_min3_f32 v99, v39, v40, v99
	v_cvt_f32_f64_e32 v39, v[96:97]
	;; [unrolled: 7-line block ×9, first 2 shown]
	v_cvt_f32_f64_e32 v40, v[195:196]
	s_delay_alu instid0(VALU_DEP_1) | instskip(SKIP_3) | instid1(VALU_DEP_2)
	v_min3_f32 v64, v39, v40, v64
	v_cvt_f32_f64_e32 v39, v[201:202]
	v_cvt_f32_f64_e32 v40, v[199:200]
	v_mov_b32_e32 v201, v58
	v_min3_f32 v65, v39, v40, v65
	v_cvt_f32_f64_e32 v39, v[205:206]
	v_cvt_f32_f64_e32 v40, v[203:204]
	s_delay_alu instid0(VALU_DEP_1) | instskip(SKIP_3) | instid1(VALU_DEP_2)
	v_min3_f32 v224, v39, v40, v224
	v_cvt_f32_f64_e32 v39, v[209:210]
	v_mov_b32_e32 v210, v187
	v_cvt_f32_f64_e32 v40, v[207:208]
	v_min3_f32 v210, v8, v9, v210
	s_delay_alu instid0(VALU_DEP_2)
	v_min3_f32 v149, v39, v40, v149
	v_cvt_f32_f64_e32 v39, v[50:51]
	v_cvt_f32_f64_e32 v40, v[54:55]
	scratch_load_b32 v51, off, off offset:304 ; 4-byte Folded Reload
	v_min3_f32 v201, v39, v40, v201
	v_cvt_f32_f64_e32 v39, v[52:53]
	v_cvt_f32_f64_e32 v40, v[56:57]
	s_delay_alu instid0(VALU_DEP_1) | instskip(SKIP_4) | instid1(VALU_DEP_1)
	v_min3_f32 v150, v39, v40, v150
	v_cvt_f32_f64_e32 v39, v[166:167]
	v_cvt_f32_f64_e32 v40, v[60:61]
	v_mov_b32_e32 v167, v217
	v_mov_b32_e32 v217, v218
	v_min3_f32 v217, v37, v38, v217
	s_delay_alu instid0(VALU_DEP_4) | instskip(SKIP_2) | instid1(VALU_DEP_1)
	v_min3_f32 v118, v39, v40, v118
	v_cvt_f32_f64_e32 v39, v[46:47]
	v_cvt_f32_f64_e32 v40, v[48:49]
	v_min3_f32 v117, v39, v40, v117
	v_cvt_f32_f64_e32 v39, v[231:232]
	v_cvt_f32_f64_e32 v40, v[229:230]
	s_delay_alu instid0(VALU_DEP_1) | instskip(SKIP_2) | instid1(VALU_DEP_1)
	v_min3_f32 v219, v39, v40, v219
	v_cvt_f32_f64_e32 v39, v[235:236]
	v_cvt_f32_f64_e32 v40, v[233:234]
	v_min3_f32 v59, v39, v40, v59
	v_cvt_f32_f64_e32 v39, v[239:240]
	v_cvt_f32_f64_e32 v40, v[237:238]
	s_delay_alu instid0(VALU_DEP_1) | instskip(SKIP_2) | instid1(VALU_DEP_1)
	;; [unrolled: 7-line block ×3, first 2 shown]
	v_min3_f32 v220, v39, v40, v220
	v_cvt_f32_f64_e32 v39, v[251:252]
	v_cvt_f32_f64_e32 v40, v[249:250]
	v_min3_f32 v167, v39, v40, v167
	s_cbranch_vccz .LBB115_53
; %bb.54:
	s_clause 0x2
	s_load_b32 s6, s[0:1], 0x58
	s_load_b32 s5, s[0:1], 0x70
	s_load_b64 s[2:3], s[0:1], 0x78
	scratch_load_b32 v0, off, off           ; 4-byte Folded Reload
	v_mov_b32_e32 v24, v76
	v_dual_mov_b32 v26, v120 :: v_dual_mov_b32 v23, v74
	v_mov_b32_e32 v22, v64
	v_cndmask_b32_e64 v16, 0, 1, s24
	s_waitcnt lgkmcnt(0)
	s_lshl_b64 s[2:3], s[2:3], 3
	s_delay_alu instid0(SALU_CYCLE_1) | instskip(SKIP_4) | instid1(VALU_DEP_2)
	s_add_u32 s7, s12, s2
	s_addc_u32 s12, s13, s3
	s_waitcnt vmcnt(0)
	v_add_nc_u32_e32 v17, s25, v0
	v_add_nc_u32_e32 v0, s19, v51
	v_mad_i64_i32 v[2:3], null, v17, s6, 0
	v_mad_i64_i32 v[4:5], null, v17, s5, 0
	s_delay_alu instid0(VALU_DEP_3) | instskip(SKIP_4) | instid1(VALU_DEP_3)
	v_cmp_gt_i32_e64 s0, s16, v0
	v_ashrrev_i32_e32 v1, 31, v0
	v_cmp_gt_i32_e64 s4, s17, v17
	v_lshlrev_b64 v[2:3], 3, v[2:3]
	v_lshlrev_b64 v[4:5], 3, v[4:5]
	s_and_b32 s2, s0, s4
	s_delay_alu instid0(VALU_DEP_2) | instskip(NEXT) | instid1(VALU_DEP_3)
	v_add_co_u32 v8, vcc_lo, s8, v2
	v_add_co_ci_u32_e32 v9, vcc_lo, s9, v3, vcc_lo
	s_delay_alu instid0(VALU_DEP_3) | instskip(NEXT) | instid1(VALU_DEP_4)
	v_add_co_u32 v10, vcc_lo, s7, v4
	v_add_co_ci_u32_e32 v11, vcc_lo, s12, v5, vcc_lo
	s_mov_b32 s1, exec_lo
	v_mov_b32_e32 v20, v219
	v_mov_b32_e32 v30, v73
	s_and_b32 s2, s1, s2
	s_delay_alu instid0(SALU_CYCLE_1)
	s_mov_b32 exec_lo, s2
	s_cbranch_execz .LBB115_59
; %bb.55:
	s_and_not1_b32 vcc_lo, exec_lo, s24
	s_cbranch_vccnz .LBB115_57
; %bb.56:
	v_lshlrev_b64 v[2:3], 3, v[0:1]
	s_delay_alu instid0(VALU_DEP_1) | instskip(NEXT) | instid1(VALU_DEP_2)
	v_add_co_u32 v2, vcc_lo, v8, v2
	v_add_co_ci_u32_e32 v3, vcc_lo, v9, v3, vcc_lo
	flat_load_b64 v[2:3], v[2:3]
	s_waitcnt vmcnt(0) lgkmcnt(0)
	v_mul_f64 v[2:3], v[2:3], s[10:11]
	s_branch .LBB115_58
.LBB115_57:
	v_mov_b32_e32 v2, 0
	v_mov_b32_e32 v3, 0
.LBB115_58:
	s_delay_alu instid0(VALU_DEP_1) | instskip(SKIP_2) | instid1(VALU_DEP_1)
	v_cvt_f32_f64_e32 v2, v[2:3]
	v_max_f32_e32 v3, v183, v183
	v_lshlrev_b64 v[4:5], 3, v[0:1]
	v_add_co_u32 v4, vcc_lo, v10, v4
	s_delay_alu instid0(VALU_DEP_2) | instskip(NEXT) | instid1(VALU_DEP_4)
	v_add_co_ci_u32_e32 v5, vcc_lo, v11, v5, vcc_lo
	v_min_f32_e32 v2, v2, v3
	s_delay_alu instid0(VALU_DEP_1)
	v_cvt_f64_f32_e32 v[2:3], v2
	global_store_b64 v[4:5], v[2:3], off
.LBB115_59:
	s_or_b32 exec_lo, exec_lo, s1
	v_add_nc_u32_e32 v2, 32, v0
	s_delay_alu instid0(VALU_DEP_1) | instskip(SKIP_1) | instid1(VALU_DEP_2)
	v_cmp_gt_i32_e64 s1, s16, v2
	v_ashrrev_i32_e32 v3, 31, v2
	s_and_b32 s3, s1, s4
	s_delay_alu instid0(SALU_CYCLE_1)
	s_and_saveexec_b32 s2, s3
	s_cbranch_execz .LBB115_64
; %bb.60:
	v_cmp_ne_u32_e32 vcc_lo, 1, v16
	s_cbranch_vccnz .LBB115_62
; %bb.61:
	v_lshlrev_b64 v[4:5], 3, v[2:3]
	s_delay_alu instid0(VALU_DEP_1) | instskip(NEXT) | instid1(VALU_DEP_2)
	v_add_co_u32 v4, vcc_lo, v8, v4
	v_add_co_ci_u32_e32 v5, vcc_lo, v9, v5, vcc_lo
	flat_load_b64 v[4:5], v[4:5]
	s_waitcnt vmcnt(0) lgkmcnt(0)
	v_mul_f64 v[4:5], v[4:5], s[10:11]
	s_branch .LBB115_63
.LBB115_62:
	v_mov_b32_e32 v4, 0
	v_mov_b32_e32 v5, 0
.LBB115_63:
	s_delay_alu instid0(VALU_DEP_1) | instskip(SKIP_2) | instid1(VALU_DEP_1)
	v_cvt_f32_f64_e32 v4, v[4:5]
	v_max_f32_e32 v5, v182, v182
	v_lshlrev_b64 v[6:7], 3, v[2:3]
	v_add_co_u32 v6, vcc_lo, v10, v6
	s_delay_alu instid0(VALU_DEP_2) | instskip(NEXT) | instid1(VALU_DEP_4)
	v_add_co_ci_u32_e32 v7, vcc_lo, v11, v7, vcc_lo
	v_min_f32_e32 v4, v4, v5
	s_delay_alu instid0(VALU_DEP_1)
	v_cvt_f64_f32_e32 v[4:5], v4
	global_store_b64 v[6:7], v[4:5], off
.LBB115_64:
	s_or_b32 exec_lo, exec_lo, s2
	v_add_nc_u32_e32 v4, 64, v0
	s_delay_alu instid0(VALU_DEP_1) | instskip(SKIP_1) | instid1(VALU_DEP_2)
	v_cmp_gt_i32_e64 s2, s16, v4
	v_ashrrev_i32_e32 v5, 31, v4
	s_and_b32 s13, s2, s4
	s_delay_alu instid0(SALU_CYCLE_1)
	s_and_saveexec_b32 s3, s13
	s_cbranch_execz .LBB115_69
; %bb.65:
	v_cmp_ne_u32_e32 vcc_lo, 1, v16
	s_cbranch_vccnz .LBB115_67
; %bb.66:
	v_lshlrev_b64 v[6:7], 3, v[4:5]
	s_delay_alu instid0(VALU_DEP_1) | instskip(NEXT) | instid1(VALU_DEP_2)
	v_add_co_u32 v6, vcc_lo, v8, v6
	v_add_co_ci_u32_e32 v7, vcc_lo, v9, v7, vcc_lo
	flat_load_b64 v[6:7], v[6:7]
	s_waitcnt vmcnt(0) lgkmcnt(0)
	v_mul_f64 v[6:7], v[6:7], s[10:11]
	s_branch .LBB115_68
.LBB115_67:
	v_mov_b32_e32 v6, 0
	v_mov_b32_e32 v7, 0
.LBB115_68:
	s_delay_alu instid0(VALU_DEP_1) | instskip(SKIP_2) | instid1(VALU_DEP_1)
	v_cvt_f32_f64_e32 v6, v[6:7]
	v_max_f32_e32 v7, v181, v181
	v_lshlrev_b64 v[12:13], 3, v[4:5]
	v_add_co_u32 v12, vcc_lo, v10, v12
	s_delay_alu instid0(VALU_DEP_2) | instskip(NEXT) | instid1(VALU_DEP_4)
	v_add_co_ci_u32_e32 v13, vcc_lo, v11, v13, vcc_lo
	v_min_f32_e32 v6, v6, v7
	s_delay_alu instid0(VALU_DEP_1)
	v_cvt_f64_f32_e32 v[6:7], v6
	global_store_b64 v[12:13], v[6:7], off
.LBB115_69:
	;; [unrolled: 37-line block ×3, first 2 shown]
	s_or_b32 exec_lo, exec_lo, s4
	v_add_nc_u32_e32 v12, 8, v17
	s_delay_alu instid0(VALU_DEP_1) | instskip(SKIP_2) | instid1(VALU_DEP_3)
	v_mad_i64_i32 v[8:9], null, v12, s6, 0
	v_mad_i64_i32 v[10:11], null, v12, s5, 0
	v_cmp_gt_i32_e64 s4, s17, v12
	v_lshlrev_b64 v[8:9], 3, v[8:9]
	s_delay_alu instid0(VALU_DEP_2) | instskip(NEXT) | instid1(VALU_DEP_3)
	s_and_b32 s14, s0, s4
	v_lshlrev_b64 v[11:12], 3, v[10:11]
	s_delay_alu instid0(VALU_DEP_2) | instskip(NEXT) | instid1(VALU_DEP_3)
	v_add_co_u32 v10, vcc_lo, s8, v8
	v_add_co_ci_u32_e32 v15, vcc_lo, s9, v9, vcc_lo
	s_delay_alu instid0(VALU_DEP_3) | instskip(NEXT) | instid1(VALU_DEP_4)
	v_add_co_u32 v11, vcc_lo, s7, v11
	v_add_co_ci_u32_e32 v18, vcc_lo, s12, v12, vcc_lo
	s_and_saveexec_b32 s13, s14
	s_cbranch_execnz .LBB115_78
; %bb.75:
	s_or_b32 exec_lo, exec_lo, s13
	s_and_b32 s14, s1, s4
	s_delay_alu instid0(SALU_CYCLE_1)
	s_and_saveexec_b32 s13, s14
	s_cbranch_execnz .LBB115_82
.LBB115_76:
	s_or_b32 exec_lo, exec_lo, s13
	s_and_b32 s14, s2, s4
	s_delay_alu instid0(SALU_CYCLE_1)
	s_and_saveexec_b32 s13, s14
	s_cbranch_execnz .LBB115_86
.LBB115_77:
	s_or_b32 exec_lo, exec_lo, s13
	s_and_b32 s13, s3, s4
	s_delay_alu instid0(SALU_CYCLE_1)
	s_and_saveexec_b32 s4, s13
	s_cbranch_execnz .LBB115_90
	s_branch .LBB115_94
.LBB115_78:
	v_cmp_ne_u32_e32 vcc_lo, 1, v16
	s_cbranch_vccnz .LBB115_80
; %bb.79:
	v_lshlrev_b64 v[8:9], 3, v[0:1]
	s_delay_alu instid0(VALU_DEP_1) | instskip(NEXT) | instid1(VALU_DEP_2)
	v_add_co_u32 v8, vcc_lo, v10, v8
	v_add_co_ci_u32_e32 v9, vcc_lo, v15, v9, vcc_lo
	flat_load_b64 v[8:9], v[8:9]
	s_waitcnt vmcnt(0) lgkmcnt(0)
	v_mul_f64 v[8:9], v[8:9], s[10:11]
	s_branch .LBB115_81
.LBB115_80:
	v_mov_b32_e32 v8, 0
	v_mov_b32_e32 v9, 0
.LBB115_81:
	s_delay_alu instid0(VALU_DEP_1) | instskip(SKIP_2) | instid1(VALU_DEP_1)
	v_cvt_f32_f64_e32 v8, v[8:9]
	v_max_f32_e32 v9, v179, v179
	v_lshlrev_b64 v[12:13], 3, v[0:1]
	v_add_co_u32 v12, vcc_lo, v11, v12
	s_delay_alu instid0(VALU_DEP_2) | instskip(NEXT) | instid1(VALU_DEP_4)
	v_add_co_ci_u32_e32 v13, vcc_lo, v18, v13, vcc_lo
	v_min_f32_e32 v8, v8, v9
	s_delay_alu instid0(VALU_DEP_1) | instskip(SKIP_3) | instid1(SALU_CYCLE_1)
	v_cvt_f64_f32_e32 v[8:9], v8
	global_store_b64 v[12:13], v[8:9], off
	s_or_b32 exec_lo, exec_lo, s13
	s_and_b32 s14, s1, s4
	s_and_saveexec_b32 s13, s14
	s_cbranch_execz .LBB115_76
.LBB115_82:
	v_cmp_ne_u32_e32 vcc_lo, 1, v16
	s_cbranch_vccnz .LBB115_84
; %bb.83:
	v_lshlrev_b64 v[8:9], 3, v[2:3]
	s_delay_alu instid0(VALU_DEP_1) | instskip(NEXT) | instid1(VALU_DEP_2)
	v_add_co_u32 v8, vcc_lo, v10, v8
	v_add_co_ci_u32_e32 v9, vcc_lo, v15, v9, vcc_lo
	flat_load_b64 v[8:9], v[8:9]
	s_waitcnt vmcnt(0) lgkmcnt(0)
	v_mul_f64 v[8:9], v[8:9], s[10:11]
	s_branch .LBB115_85
.LBB115_84:
	v_mov_b32_e32 v8, 0
	v_mov_b32_e32 v9, 0
.LBB115_85:
	s_delay_alu instid0(VALU_DEP_1) | instskip(SKIP_2) | instid1(VALU_DEP_1)
	v_cvt_f32_f64_e32 v8, v[8:9]
	v_max_f32_e32 v9, v178, v178
	v_lshlrev_b64 v[12:13], 3, v[2:3]
	v_add_co_u32 v12, vcc_lo, v11, v12
	s_delay_alu instid0(VALU_DEP_2) | instskip(NEXT) | instid1(VALU_DEP_4)
	v_add_co_ci_u32_e32 v13, vcc_lo, v18, v13, vcc_lo
	v_min_f32_e32 v8, v8, v9
	s_delay_alu instid0(VALU_DEP_1) | instskip(SKIP_3) | instid1(SALU_CYCLE_1)
	v_cvt_f64_f32_e32 v[8:9], v8
	global_store_b64 v[12:13], v[8:9], off
	s_or_b32 exec_lo, exec_lo, s13
	s_and_b32 s14, s2, s4
	s_and_saveexec_b32 s13, s14
	s_cbranch_execz .LBB115_77
.LBB115_86:
	v_cmp_ne_u32_e32 vcc_lo, 1, v16
	s_cbranch_vccnz .LBB115_88
; %bb.87:
	v_lshlrev_b64 v[8:9], 3, v[4:5]
	s_delay_alu instid0(VALU_DEP_1) | instskip(NEXT) | instid1(VALU_DEP_2)
	v_add_co_u32 v8, vcc_lo, v10, v8
	v_add_co_ci_u32_e32 v9, vcc_lo, v15, v9, vcc_lo
	flat_load_b64 v[8:9], v[8:9]
	s_waitcnt vmcnt(0) lgkmcnt(0)
	v_mul_f64 v[8:9], v[8:9], s[10:11]
	s_branch .LBB115_89
.LBB115_88:
	v_mov_b32_e32 v8, 0
	v_mov_b32_e32 v9, 0
.LBB115_89:
	s_delay_alu instid0(VALU_DEP_1) | instskip(SKIP_2) | instid1(VALU_DEP_1)
	v_cvt_f32_f64_e32 v8, v[8:9]
	v_max_f32_e32 v9, v175, v175
	v_lshlrev_b64 v[12:13], 3, v[4:5]
	v_add_co_u32 v12, vcc_lo, v11, v12
	s_delay_alu instid0(VALU_DEP_2) | instskip(NEXT) | instid1(VALU_DEP_4)
	v_add_co_ci_u32_e32 v13, vcc_lo, v18, v13, vcc_lo
	v_min_f32_e32 v8, v8, v9
	s_delay_alu instid0(VALU_DEP_1) | instskip(SKIP_3) | instid1(SALU_CYCLE_1)
	v_cvt_f64_f32_e32 v[8:9], v8
	global_store_b64 v[12:13], v[8:9], off
	s_or_b32 exec_lo, exec_lo, s13
	s_and_b32 s13, s3, s4
	s_and_saveexec_b32 s4, s13
	s_cbranch_execz .LBB115_94
.LBB115_90:
	v_cmp_ne_u32_e32 vcc_lo, 1, v16
	s_cbranch_vccnz .LBB115_92
; %bb.91:
	v_lshlrev_b64 v[8:9], 3, v[6:7]
	s_delay_alu instid0(VALU_DEP_1) | instskip(NEXT) | instid1(VALU_DEP_2)
	v_add_co_u32 v8, vcc_lo, v10, v8
	v_add_co_ci_u32_e32 v9, vcc_lo, v15, v9, vcc_lo
	flat_load_b64 v[8:9], v[8:9]
	s_waitcnt vmcnt(0) lgkmcnt(0)
	v_mul_f64 v[8:9], v[8:9], s[10:11]
	s_branch .LBB115_93
.LBB115_92:
	v_mov_b32_e32 v8, 0
	v_mov_b32_e32 v9, 0
.LBB115_93:
	s_delay_alu instid0(VALU_DEP_1) | instskip(SKIP_2) | instid1(VALU_DEP_1)
	v_cvt_f32_f64_e32 v8, v[8:9]
	v_max_f32_e32 v9, v174, v174
	v_lshlrev_b64 v[12:13], 3, v[6:7]
	v_add_co_u32 v10, vcc_lo, v11, v12
	s_delay_alu instid0(VALU_DEP_2) | instskip(NEXT) | instid1(VALU_DEP_4)
	v_add_co_ci_u32_e32 v11, vcc_lo, v18, v13, vcc_lo
	v_min_f32_e32 v8, v8, v9
	s_delay_alu instid0(VALU_DEP_1)
	v_cvt_f64_f32_e32 v[8:9], v8
	global_store_b64 v[10:11], v[8:9], off
.LBB115_94:
	s_or_b32 exec_lo, exec_lo, s4
	v_add_nc_u32_e32 v12, 16, v17
	s_delay_alu instid0(VALU_DEP_1) | instskip(SKIP_2) | instid1(VALU_DEP_3)
	v_mad_i64_i32 v[8:9], null, v12, s6, 0
	v_mad_i64_i32 v[10:11], null, v12, s5, 0
	v_cmp_gt_i32_e64 s4, s17, v12
	v_lshlrev_b64 v[8:9], 3, v[8:9]
	s_delay_alu instid0(VALU_DEP_2) | instskip(NEXT) | instid1(VALU_DEP_3)
	s_and_b32 s14, s0, s4
	v_lshlrev_b64 v[11:12], 3, v[10:11]
	s_delay_alu instid0(VALU_DEP_2) | instskip(NEXT) | instid1(VALU_DEP_3)
	v_add_co_u32 v10, vcc_lo, s8, v8
	v_add_co_ci_u32_e32 v15, vcc_lo, s9, v9, vcc_lo
	s_delay_alu instid0(VALU_DEP_3) | instskip(NEXT) | instid1(VALU_DEP_4)
	v_add_co_u32 v11, vcc_lo, s7, v11
	v_add_co_ci_u32_e32 v18, vcc_lo, s12, v12, vcc_lo
	s_and_saveexec_b32 s13, s14
	s_cbranch_execnz .LBB115_98
; %bb.95:
	s_or_b32 exec_lo, exec_lo, s13
	s_and_b32 s14, s1, s4
	s_delay_alu instid0(SALU_CYCLE_1)
	s_and_saveexec_b32 s13, s14
	s_cbranch_execnz .LBB115_102
.LBB115_96:
	s_or_b32 exec_lo, exec_lo, s13
	s_and_b32 s14, s2, s4
	s_delay_alu instid0(SALU_CYCLE_1)
	s_and_saveexec_b32 s13, s14
	s_cbranch_execnz .LBB115_106
.LBB115_97:
	s_or_b32 exec_lo, exec_lo, s13
	s_and_b32 s13, s3, s4
	s_delay_alu instid0(SALU_CYCLE_1)
	s_and_saveexec_b32 s4, s13
	s_cbranch_execnz .LBB115_110
	s_branch .LBB115_114
.LBB115_98:
	v_cmp_ne_u32_e32 vcc_lo, 1, v16
	s_cbranch_vccnz .LBB115_100
; %bb.99:
	v_lshlrev_b64 v[8:9], 3, v[0:1]
	s_delay_alu instid0(VALU_DEP_1) | instskip(NEXT) | instid1(VALU_DEP_2)
	v_add_co_u32 v8, vcc_lo, v10, v8
	v_add_co_ci_u32_e32 v9, vcc_lo, v15, v9, vcc_lo
	flat_load_b64 v[8:9], v[8:9]
	s_waitcnt vmcnt(0) lgkmcnt(0)
	v_mul_f64 v[8:9], v[8:9], s[10:11]
	s_branch .LBB115_101
.LBB115_100:
	v_mov_b32_e32 v8, 0
	v_mov_b32_e32 v9, 0
.LBB115_101:
	s_delay_alu instid0(VALU_DEP_1) | instskip(SKIP_2) | instid1(VALU_DEP_1)
	v_cvt_f32_f64_e32 v8, v[8:9]
	v_max_f32_e32 v9, v173, v173
	v_lshlrev_b64 v[12:13], 3, v[0:1]
	v_add_co_u32 v12, vcc_lo, v11, v12
	s_delay_alu instid0(VALU_DEP_2) | instskip(NEXT) | instid1(VALU_DEP_4)
	v_add_co_ci_u32_e32 v13, vcc_lo, v18, v13, vcc_lo
	v_min_f32_e32 v8, v8, v9
	s_delay_alu instid0(VALU_DEP_1) | instskip(SKIP_3) | instid1(SALU_CYCLE_1)
	v_cvt_f64_f32_e32 v[8:9], v8
	global_store_b64 v[12:13], v[8:9], off
	s_or_b32 exec_lo, exec_lo, s13
	s_and_b32 s14, s1, s4
	s_and_saveexec_b32 s13, s14
	s_cbranch_execz .LBB115_96
.LBB115_102:
	v_cmp_ne_u32_e32 vcc_lo, 1, v16
	s_cbranch_vccnz .LBB115_104
; %bb.103:
	v_lshlrev_b64 v[8:9], 3, v[2:3]
	s_delay_alu instid0(VALU_DEP_1) | instskip(NEXT) | instid1(VALU_DEP_2)
	v_add_co_u32 v8, vcc_lo, v10, v8
	v_add_co_ci_u32_e32 v9, vcc_lo, v15, v9, vcc_lo
	flat_load_b64 v[8:9], v[8:9]
	s_waitcnt vmcnt(0) lgkmcnt(0)
	v_mul_f64 v[8:9], v[8:9], s[10:11]
	s_branch .LBB115_105
.LBB115_104:
	v_mov_b32_e32 v8, 0
	v_mov_b32_e32 v9, 0
.LBB115_105:
	s_delay_alu instid0(VALU_DEP_1) | instskip(SKIP_2) | instid1(VALU_DEP_1)
	v_cvt_f32_f64_e32 v8, v[8:9]
	v_max_f32_e32 v9, v172, v172
	v_lshlrev_b64 v[12:13], 3, v[2:3]
	v_add_co_u32 v12, vcc_lo, v11, v12
	s_delay_alu instid0(VALU_DEP_2) | instskip(NEXT) | instid1(VALU_DEP_4)
	v_add_co_ci_u32_e32 v13, vcc_lo, v18, v13, vcc_lo
	v_min_f32_e32 v8, v8, v9
	s_delay_alu instid0(VALU_DEP_1) | instskip(SKIP_3) | instid1(SALU_CYCLE_1)
	v_cvt_f64_f32_e32 v[8:9], v8
	global_store_b64 v[12:13], v[8:9], off
	s_or_b32 exec_lo, exec_lo, s13
	s_and_b32 s14, s2, s4
	s_and_saveexec_b32 s13, s14
	s_cbranch_execz .LBB115_97
.LBB115_106:
	v_cmp_ne_u32_e32 vcc_lo, 1, v16
	s_cbranch_vccnz .LBB115_108
; %bb.107:
	v_lshlrev_b64 v[8:9], 3, v[4:5]
	s_delay_alu instid0(VALU_DEP_1) | instskip(NEXT) | instid1(VALU_DEP_2)
	v_add_co_u32 v8, vcc_lo, v10, v8
	v_add_co_ci_u32_e32 v9, vcc_lo, v15, v9, vcc_lo
	flat_load_b64 v[8:9], v[8:9]
	s_waitcnt vmcnt(0) lgkmcnt(0)
	v_mul_f64 v[8:9], v[8:9], s[10:11]
	s_branch .LBB115_109
.LBB115_108:
	v_mov_b32_e32 v8, 0
	v_mov_b32_e32 v9, 0
.LBB115_109:
	s_delay_alu instid0(VALU_DEP_1) | instskip(SKIP_2) | instid1(VALU_DEP_1)
	v_cvt_f32_f64_e32 v8, v[8:9]
	v_max_f32_e32 v9, v171, v171
	v_lshlrev_b64 v[12:13], 3, v[4:5]
	v_add_co_u32 v12, vcc_lo, v11, v12
	s_delay_alu instid0(VALU_DEP_2) | instskip(NEXT) | instid1(VALU_DEP_4)
	v_add_co_ci_u32_e32 v13, vcc_lo, v18, v13, vcc_lo
	v_min_f32_e32 v8, v8, v9
	s_delay_alu instid0(VALU_DEP_1) | instskip(SKIP_3) | instid1(SALU_CYCLE_1)
	v_cvt_f64_f32_e32 v[8:9], v8
	global_store_b64 v[12:13], v[8:9], off
	s_or_b32 exec_lo, exec_lo, s13
	s_and_b32 s13, s3, s4
	s_and_saveexec_b32 s4, s13
	s_cbranch_execz .LBB115_114
.LBB115_110:
	v_cmp_ne_u32_e32 vcc_lo, 1, v16
	s_cbranch_vccnz .LBB115_112
; %bb.111:
	v_lshlrev_b64 v[8:9], 3, v[6:7]
	s_delay_alu instid0(VALU_DEP_1) | instskip(NEXT) | instid1(VALU_DEP_2)
	v_add_co_u32 v8, vcc_lo, v10, v8
	v_add_co_ci_u32_e32 v9, vcc_lo, v15, v9, vcc_lo
	flat_load_b64 v[8:9], v[8:9]
	s_waitcnt vmcnt(0) lgkmcnt(0)
	v_mul_f64 v[8:9], v[8:9], s[10:11]
	s_branch .LBB115_113
.LBB115_112:
	v_mov_b32_e32 v8, 0
	v_mov_b32_e32 v9, 0
.LBB115_113:
	s_delay_alu instid0(VALU_DEP_1) | instskip(SKIP_2) | instid1(VALU_DEP_1)
	v_cvt_f32_f64_e32 v8, v[8:9]
	v_max_f32_e32 v9, v170, v170
	v_lshlrev_b64 v[12:13], 3, v[6:7]
	v_add_co_u32 v10, vcc_lo, v11, v12
	s_delay_alu instid0(VALU_DEP_2) | instskip(NEXT) | instid1(VALU_DEP_4)
	v_add_co_ci_u32_e32 v11, vcc_lo, v18, v13, vcc_lo
	v_min_f32_e32 v8, v8, v9
	s_delay_alu instid0(VALU_DEP_1)
	v_cvt_f64_f32_e32 v[8:9], v8
	global_store_b64 v[10:11], v[8:9], off
.LBB115_114:
	s_or_b32 exec_lo, exec_lo, s4
	v_add_nc_u32_e32 v12, 24, v17
	s_delay_alu instid0(VALU_DEP_1) | instskip(SKIP_2) | instid1(VALU_DEP_3)
	v_mad_i64_i32 v[8:9], null, v12, s6, 0
	v_mad_i64_i32 v[10:11], null, v12, s5, 0
	v_cmp_gt_i32_e64 s4, s17, v12
	v_lshlrev_b64 v[8:9], 3, v[8:9]
	s_delay_alu instid0(VALU_DEP_2) | instskip(NEXT) | instid1(VALU_DEP_3)
	s_and_b32 s14, s0, s4
	v_lshlrev_b64 v[11:12], 3, v[10:11]
	s_delay_alu instid0(VALU_DEP_2) | instskip(NEXT) | instid1(VALU_DEP_3)
	v_add_co_u32 v10, vcc_lo, s8, v8
	v_add_co_ci_u32_e32 v15, vcc_lo, s9, v9, vcc_lo
	s_delay_alu instid0(VALU_DEP_3) | instskip(NEXT) | instid1(VALU_DEP_4)
	v_add_co_u32 v11, vcc_lo, s7, v11
	v_add_co_ci_u32_e32 v18, vcc_lo, s12, v12, vcc_lo
	s_and_saveexec_b32 s13, s14
	s_cbranch_execnz .LBB115_118
; %bb.115:
	s_or_b32 exec_lo, exec_lo, s13
	s_and_b32 s14, s1, s4
	s_delay_alu instid0(SALU_CYCLE_1)
	s_and_saveexec_b32 s13, s14
	s_cbranch_execnz .LBB115_122
.LBB115_116:
	s_or_b32 exec_lo, exec_lo, s13
	s_and_b32 s14, s2, s4
	s_delay_alu instid0(SALU_CYCLE_1)
	s_and_saveexec_b32 s13, s14
	s_cbranch_execnz .LBB115_126
.LBB115_117:
	s_or_b32 exec_lo, exec_lo, s13
	s_and_b32 s13, s3, s4
	s_delay_alu instid0(SALU_CYCLE_1)
	s_and_saveexec_b32 s4, s13
	s_cbranch_execnz .LBB115_130
	s_branch .LBB115_134
.LBB115_118:
	v_cmp_ne_u32_e32 vcc_lo, 1, v16
	s_cbranch_vccnz .LBB115_120
; %bb.119:
	v_lshlrev_b64 v[8:9], 3, v[0:1]
	s_delay_alu instid0(VALU_DEP_1) | instskip(NEXT) | instid1(VALU_DEP_2)
	v_add_co_u32 v8, vcc_lo, v10, v8
	v_add_co_ci_u32_e32 v9, vcc_lo, v15, v9, vcc_lo
	flat_load_b64 v[8:9], v[8:9]
	s_waitcnt vmcnt(0) lgkmcnt(0)
	v_mul_f64 v[8:9], v[8:9], s[10:11]
	s_branch .LBB115_121
.LBB115_120:
	v_mov_b32_e32 v8, 0
	v_mov_b32_e32 v9, 0
.LBB115_121:
	s_delay_alu instid0(VALU_DEP_1) | instskip(SKIP_2) | instid1(VALU_DEP_1)
	v_cvt_f32_f64_e32 v8, v[8:9]
	v_max_f32_e32 v9, v169, v169
	v_lshlrev_b64 v[12:13], 3, v[0:1]
	v_add_co_u32 v12, vcc_lo, v11, v12
	s_delay_alu instid0(VALU_DEP_2) | instskip(NEXT) | instid1(VALU_DEP_4)
	v_add_co_ci_u32_e32 v13, vcc_lo, v18, v13, vcc_lo
	v_min_f32_e32 v8, v8, v9
	s_delay_alu instid0(VALU_DEP_1) | instskip(SKIP_3) | instid1(SALU_CYCLE_1)
	v_cvt_f64_f32_e32 v[8:9], v8
	global_store_b64 v[12:13], v[8:9], off
	s_or_b32 exec_lo, exec_lo, s13
	s_and_b32 s14, s1, s4
	s_and_saveexec_b32 s13, s14
	s_cbranch_execz .LBB115_116
.LBB115_122:
	v_cmp_ne_u32_e32 vcc_lo, 1, v16
	s_cbranch_vccnz .LBB115_124
; %bb.123:
	v_lshlrev_b64 v[8:9], 3, v[2:3]
	s_delay_alu instid0(VALU_DEP_1) | instskip(NEXT) | instid1(VALU_DEP_2)
	v_add_co_u32 v8, vcc_lo, v10, v8
	v_add_co_ci_u32_e32 v9, vcc_lo, v15, v9, vcc_lo
	flat_load_b64 v[8:9], v[8:9]
	s_waitcnt vmcnt(0) lgkmcnt(0)
	v_mul_f64 v[8:9], v[8:9], s[10:11]
	s_branch .LBB115_125
.LBB115_124:
	v_mov_b32_e32 v8, 0
	v_mov_b32_e32 v9, 0
.LBB115_125:
	s_delay_alu instid0(VALU_DEP_1) | instskip(SKIP_2) | instid1(VALU_DEP_1)
	v_cvt_f32_f64_e32 v8, v[8:9]
	v_max_f32_e32 v9, v168, v168
	v_lshlrev_b64 v[12:13], 3, v[2:3]
	v_add_co_u32 v12, vcc_lo, v11, v12
	s_delay_alu instid0(VALU_DEP_2) | instskip(NEXT) | instid1(VALU_DEP_4)
	v_add_co_ci_u32_e32 v13, vcc_lo, v18, v13, vcc_lo
	v_min_f32_e32 v8, v8, v9
	s_delay_alu instid0(VALU_DEP_1) | instskip(SKIP_3) | instid1(SALU_CYCLE_1)
	v_cvt_f64_f32_e32 v[8:9], v8
	global_store_b64 v[12:13], v[8:9], off
	s_or_b32 exec_lo, exec_lo, s13
	s_and_b32 s14, s2, s4
	s_and_saveexec_b32 s13, s14
	s_cbranch_execz .LBB115_117
.LBB115_126:
	v_cmp_ne_u32_e32 vcc_lo, 1, v16
	s_cbranch_vccnz .LBB115_128
; %bb.127:
	v_lshlrev_b64 v[8:9], 3, v[4:5]
	s_delay_alu instid0(VALU_DEP_1) | instskip(NEXT) | instid1(VALU_DEP_2)
	v_add_co_u32 v8, vcc_lo, v10, v8
	v_add_co_ci_u32_e32 v9, vcc_lo, v15, v9, vcc_lo
	flat_load_b64 v[8:9], v[8:9]
	s_waitcnt vmcnt(0) lgkmcnt(0)
	v_mul_f64 v[8:9], v[8:9], s[10:11]
	s_branch .LBB115_129
.LBB115_128:
	v_mov_b32_e32 v8, 0
	v_mov_b32_e32 v9, 0
.LBB115_129:
	s_delay_alu instid0(VALU_DEP_1) | instskip(SKIP_2) | instid1(VALU_DEP_1)
	v_cvt_f32_f64_e32 v8, v[8:9]
	v_max_f32_e32 v9, v227, v227
	v_lshlrev_b64 v[12:13], 3, v[4:5]
	v_add_co_u32 v12, vcc_lo, v11, v12
	s_delay_alu instid0(VALU_DEP_2) | instskip(NEXT) | instid1(VALU_DEP_4)
	v_add_co_ci_u32_e32 v13, vcc_lo, v18, v13, vcc_lo
	v_min_f32_e32 v8, v8, v9
	s_delay_alu instid0(VALU_DEP_1) | instskip(SKIP_3) | instid1(SALU_CYCLE_1)
	v_cvt_f64_f32_e32 v[8:9], v8
	global_store_b64 v[12:13], v[8:9], off
	s_or_b32 exec_lo, exec_lo, s13
	s_and_b32 s13, s3, s4
	s_and_saveexec_b32 s4, s13
	s_cbranch_execz .LBB115_134
.LBB115_130:
	v_cmp_ne_u32_e32 vcc_lo, 1, v16
	s_cbranch_vccnz .LBB115_132
; %bb.131:
	v_lshlrev_b64 v[8:9], 3, v[6:7]
	s_delay_alu instid0(VALU_DEP_1) | instskip(NEXT) | instid1(VALU_DEP_2)
	v_add_co_u32 v8, vcc_lo, v10, v8
	v_add_co_ci_u32_e32 v9, vcc_lo, v15, v9, vcc_lo
	flat_load_b64 v[8:9], v[8:9]
	s_waitcnt vmcnt(0) lgkmcnt(0)
	v_mul_f64 v[8:9], v[8:9], s[10:11]
	s_branch .LBB115_133
.LBB115_132:
	v_mov_b32_e32 v8, 0
	v_mov_b32_e32 v9, 0
.LBB115_133:
	s_delay_alu instid0(VALU_DEP_1) | instskip(SKIP_2) | instid1(VALU_DEP_1)
	v_cvt_f32_f64_e32 v8, v[8:9]
	v_max_f32_e32 v9, v222, v222
	v_lshlrev_b64 v[12:13], 3, v[6:7]
	v_add_co_u32 v10, vcc_lo, v11, v12
	s_delay_alu instid0(VALU_DEP_2) | instskip(NEXT) | instid1(VALU_DEP_4)
	v_add_co_ci_u32_e32 v11, vcc_lo, v18, v13, vcc_lo
	v_min_f32_e32 v8, v8, v9
	s_delay_alu instid0(VALU_DEP_1)
	v_cvt_f64_f32_e32 v[8:9], v8
	global_store_b64 v[10:11], v[8:9], off
.LBB115_134:
	s_or_b32 exec_lo, exec_lo, s4
	v_add_nc_u32_e32 v12, 32, v17
	s_delay_alu instid0(VALU_DEP_1) | instskip(SKIP_2) | instid1(VALU_DEP_3)
	v_mad_i64_i32 v[8:9], null, v12, s6, 0
	v_mad_i64_i32 v[10:11], null, v12, s5, 0
	v_cmp_gt_i32_e64 s4, s17, v12
	v_lshlrev_b64 v[8:9], 3, v[8:9]
	s_delay_alu instid0(VALU_DEP_2) | instskip(NEXT) | instid1(VALU_DEP_3)
	s_and_b32 s14, s0, s4
	v_lshlrev_b64 v[11:12], 3, v[10:11]
	s_delay_alu instid0(VALU_DEP_2) | instskip(NEXT) | instid1(VALU_DEP_3)
	v_add_co_u32 v10, vcc_lo, s8, v8
	v_add_co_ci_u32_e32 v15, vcc_lo, s9, v9, vcc_lo
	s_delay_alu instid0(VALU_DEP_3) | instskip(NEXT) | instid1(VALU_DEP_4)
	v_add_co_u32 v11, vcc_lo, s7, v11
	v_add_co_ci_u32_e32 v18, vcc_lo, s12, v12, vcc_lo
	s_and_saveexec_b32 s13, s14
	s_cbranch_execnz .LBB115_138
; %bb.135:
	s_or_b32 exec_lo, exec_lo, s13
	s_and_b32 s14, s1, s4
	s_delay_alu instid0(SALU_CYCLE_1)
	s_and_saveexec_b32 s13, s14
	s_cbranch_execnz .LBB115_142
.LBB115_136:
	s_or_b32 exec_lo, exec_lo, s13
	s_and_b32 s14, s2, s4
	s_delay_alu instid0(SALU_CYCLE_1)
	s_and_saveexec_b32 s13, s14
	s_cbranch_execnz .LBB115_146
.LBB115_137:
	s_or_b32 exec_lo, exec_lo, s13
	s_and_b32 s13, s3, s4
	s_delay_alu instid0(SALU_CYCLE_1)
	s_and_saveexec_b32 s4, s13
	s_cbranch_execnz .LBB115_150
	s_branch .LBB115_154
.LBB115_138:
	v_cmp_ne_u32_e32 vcc_lo, 1, v16
	s_cbranch_vccnz .LBB115_140
; %bb.139:
	v_lshlrev_b64 v[8:9], 3, v[0:1]
	s_delay_alu instid0(VALU_DEP_1) | instskip(NEXT) | instid1(VALU_DEP_2)
	v_add_co_u32 v8, vcc_lo, v10, v8
	v_add_co_ci_u32_e32 v9, vcc_lo, v15, v9, vcc_lo
	flat_load_b64 v[8:9], v[8:9]
	s_waitcnt vmcnt(0) lgkmcnt(0)
	v_mul_f64 v[8:9], v[8:9], s[10:11]
	s_branch .LBB115_141
.LBB115_140:
	v_mov_b32_e32 v8, 0
	v_mov_b32_e32 v9, 0
.LBB115_141:
	s_delay_alu instid0(VALU_DEP_1) | instskip(SKIP_2) | instid1(VALU_DEP_1)
	v_cvt_f32_f64_e32 v8, v[8:9]
	v_max_f32_e32 v9, v225, v225
	v_lshlrev_b64 v[12:13], 3, v[0:1]
	v_add_co_u32 v12, vcc_lo, v11, v12
	s_delay_alu instid0(VALU_DEP_2) | instskip(NEXT) | instid1(VALU_DEP_4)
	v_add_co_ci_u32_e32 v13, vcc_lo, v18, v13, vcc_lo
	v_min_f32_e32 v8, v8, v9
	s_delay_alu instid0(VALU_DEP_1) | instskip(SKIP_3) | instid1(SALU_CYCLE_1)
	v_cvt_f64_f32_e32 v[8:9], v8
	global_store_b64 v[12:13], v[8:9], off
	s_or_b32 exec_lo, exec_lo, s13
	s_and_b32 s14, s1, s4
	s_and_saveexec_b32 s13, s14
	s_cbranch_execz .LBB115_136
.LBB115_142:
	v_cmp_ne_u32_e32 vcc_lo, 1, v16
	s_cbranch_vccnz .LBB115_144
; %bb.143:
	v_lshlrev_b64 v[8:9], 3, v[2:3]
	s_delay_alu instid0(VALU_DEP_1) | instskip(NEXT) | instid1(VALU_DEP_2)
	v_add_co_u32 v8, vcc_lo, v10, v8
	v_add_co_ci_u32_e32 v9, vcc_lo, v15, v9, vcc_lo
	flat_load_b64 v[8:9], v[8:9]
	s_waitcnt vmcnt(0) lgkmcnt(0)
	v_mul_f64 v[8:9], v[8:9], s[10:11]
	s_branch .LBB115_145
.LBB115_144:
	v_mov_b32_e32 v8, 0
	v_mov_b32_e32 v9, 0
.LBB115_145:
	s_delay_alu instid0(VALU_DEP_1) | instskip(SKIP_2) | instid1(VALU_DEP_1)
	v_cvt_f32_f64_e32 v8, v[8:9]
	v_max_f32_e32 v9, v216, v216
	v_lshlrev_b64 v[12:13], 3, v[2:3]
	v_add_co_u32 v12, vcc_lo, v11, v12
	s_delay_alu instid0(VALU_DEP_2) | instskip(NEXT) | instid1(VALU_DEP_4)
	v_add_co_ci_u32_e32 v13, vcc_lo, v18, v13, vcc_lo
	v_min_f32_e32 v8, v8, v9
	s_delay_alu instid0(VALU_DEP_1) | instskip(SKIP_3) | instid1(SALU_CYCLE_1)
	v_cvt_f64_f32_e32 v[8:9], v8
	global_store_b64 v[12:13], v[8:9], off
	s_or_b32 exec_lo, exec_lo, s13
	s_and_b32 s14, s2, s4
	s_and_saveexec_b32 s13, s14
	s_cbranch_execz .LBB115_137
.LBB115_146:
	v_cmp_ne_u32_e32 vcc_lo, 1, v16
	s_cbranch_vccnz .LBB115_148
; %bb.147:
	v_lshlrev_b64 v[8:9], 3, v[4:5]
	s_delay_alu instid0(VALU_DEP_1) | instskip(NEXT) | instid1(VALU_DEP_2)
	v_add_co_u32 v8, vcc_lo, v10, v8
	v_add_co_ci_u32_e32 v9, vcc_lo, v15, v9, vcc_lo
	flat_load_b64 v[8:9], v[8:9]
	s_waitcnt vmcnt(0) lgkmcnt(0)
	v_mul_f64 v[8:9], v[8:9], s[10:11]
	s_branch .LBB115_149
.LBB115_148:
	v_mov_b32_e32 v8, 0
	v_mov_b32_e32 v9, 0
.LBB115_149:
	s_delay_alu instid0(VALU_DEP_1) | instskip(SKIP_2) | instid1(VALU_DEP_1)
	v_cvt_f32_f64_e32 v8, v[8:9]
	v_max_f32_e32 v9, v212, v212
	v_lshlrev_b64 v[12:13], 3, v[4:5]
	v_add_co_u32 v12, vcc_lo, v11, v12
	s_delay_alu instid0(VALU_DEP_2) | instskip(NEXT) | instid1(VALU_DEP_4)
	v_add_co_ci_u32_e32 v13, vcc_lo, v18, v13, vcc_lo
	v_min_f32_e32 v8, v8, v9
	s_delay_alu instid0(VALU_DEP_1) | instskip(SKIP_3) | instid1(SALU_CYCLE_1)
	v_cvt_f64_f32_e32 v[8:9], v8
	global_store_b64 v[12:13], v[8:9], off
	s_or_b32 exec_lo, exec_lo, s13
	s_and_b32 s13, s3, s4
	s_and_saveexec_b32 s4, s13
	s_cbranch_execz .LBB115_154
.LBB115_150:
	v_cmp_ne_u32_e32 vcc_lo, 1, v16
	s_cbranch_vccnz .LBB115_152
; %bb.151:
	v_lshlrev_b64 v[8:9], 3, v[6:7]
	s_delay_alu instid0(VALU_DEP_1) | instskip(NEXT) | instid1(VALU_DEP_2)
	v_add_co_u32 v8, vcc_lo, v10, v8
	v_add_co_ci_u32_e32 v9, vcc_lo, v15, v9, vcc_lo
	flat_load_b64 v[8:9], v[8:9]
	s_waitcnt vmcnt(0) lgkmcnt(0)
	v_mul_f64 v[8:9], v[8:9], s[10:11]
	s_branch .LBB115_153
.LBB115_152:
	v_mov_b32_e32 v8, 0
	v_mov_b32_e32 v9, 0
.LBB115_153:
	s_delay_alu instid0(VALU_DEP_1) | instskip(SKIP_2) | instid1(VALU_DEP_1)
	v_cvt_f32_f64_e32 v8, v[8:9]
	v_max_f32_e32 v9, v214, v214
	v_lshlrev_b64 v[12:13], 3, v[6:7]
	v_add_co_u32 v10, vcc_lo, v11, v12
	s_delay_alu instid0(VALU_DEP_2) | instskip(NEXT) | instid1(VALU_DEP_4)
	v_add_co_ci_u32_e32 v11, vcc_lo, v18, v13, vcc_lo
	v_min_f32_e32 v8, v8, v9
	s_delay_alu instid0(VALU_DEP_1)
	v_cvt_f64_f32_e32 v[8:9], v8
	global_store_b64 v[10:11], v[8:9], off
.LBB115_154:
	s_or_b32 exec_lo, exec_lo, s4
	v_add_nc_u32_e32 v12, 40, v17
	s_delay_alu instid0(VALU_DEP_1) | instskip(SKIP_2) | instid1(VALU_DEP_3)
	v_mad_i64_i32 v[8:9], null, v12, s6, 0
	v_mad_i64_i32 v[10:11], null, v12, s5, 0
	v_cmp_gt_i32_e64 s4, s17, v12
	v_lshlrev_b64 v[8:9], 3, v[8:9]
	s_delay_alu instid0(VALU_DEP_2) | instskip(NEXT) | instid1(VALU_DEP_3)
	s_and_b32 s14, s0, s4
	v_lshlrev_b64 v[12:13], 3, v[10:11]
	s_delay_alu instid0(VALU_DEP_2) | instskip(NEXT) | instid1(VALU_DEP_3)
	v_add_co_u32 v10, vcc_lo, s8, v8
	v_add_co_ci_u32_e32 v15, vcc_lo, s9, v9, vcc_lo
	s_delay_alu instid0(VALU_DEP_3) | instskip(NEXT) | instid1(VALU_DEP_4)
	v_add_co_u32 v12, vcc_lo, s7, v12
	v_add_co_ci_u32_e32 v13, vcc_lo, s12, v13, vcc_lo
	s_and_saveexec_b32 s13, s14
	s_cbranch_execnz .LBB115_158
; %bb.155:
	s_or_b32 exec_lo, exec_lo, s13
	s_and_b32 s14, s1, s4
	s_delay_alu instid0(SALU_CYCLE_1)
	s_and_saveexec_b32 s13, s14
	s_cbranch_execnz .LBB115_162
.LBB115_156:
	s_or_b32 exec_lo, exec_lo, s13
	s_and_b32 s14, s2, s4
	s_delay_alu instid0(SALU_CYCLE_1)
	s_and_saveexec_b32 s13, s14
	s_cbranch_execnz .LBB115_166
.LBB115_157:
	s_or_b32 exec_lo, exec_lo, s13
	s_and_b32 s13, s3, s4
	s_delay_alu instid0(SALU_CYCLE_1)
	s_and_saveexec_b32 s4, s13
	s_cbranch_execnz .LBB115_170
	s_branch .LBB115_174
.LBB115_158:
	v_cmp_ne_u32_e32 vcc_lo, 1, v16
	s_cbranch_vccnz .LBB115_160
; %bb.159:
	v_lshlrev_b64 v[8:9], 3, v[0:1]
	s_delay_alu instid0(VALU_DEP_1) | instskip(NEXT) | instid1(VALU_DEP_2)
	v_add_co_u32 v8, vcc_lo, v10, v8
	v_add_co_ci_u32_e32 v9, vcc_lo, v15, v9, vcc_lo
	flat_load_b64 v[8:9], v[8:9]
	s_waitcnt vmcnt(0) lgkmcnt(0)
	v_mul_f64 v[8:9], v[8:9], s[10:11]
	s_branch .LBB115_161
.LBB115_160:
	v_mov_b32_e32 v8, 0
	v_mov_b32_e32 v9, 0
.LBB115_161:
	s_delay_alu instid0(VALU_DEP_1) | instskip(SKIP_2) | instid1(VALU_DEP_1)
	v_cvt_f32_f64_e32 v8, v[8:9]
	v_max_f32_e32 v9, v14, v14
	v_lshlrev_b64 v[18:19], 3, v[0:1]
	v_add_co_u32 v18, vcc_lo, v12, v18
	s_delay_alu instid0(VALU_DEP_2) | instskip(NEXT) | instid1(VALU_DEP_4)
	v_add_co_ci_u32_e32 v19, vcc_lo, v13, v19, vcc_lo
	v_min_f32_e32 v8, v8, v9
	s_delay_alu instid0(VALU_DEP_1) | instskip(SKIP_3) | instid1(SALU_CYCLE_1)
	v_cvt_f64_f32_e32 v[8:9], v8
	global_store_b64 v[18:19], v[8:9], off
	s_or_b32 exec_lo, exec_lo, s13
	s_and_b32 s14, s1, s4
	s_and_saveexec_b32 s13, s14
	s_cbranch_execz .LBB115_156
.LBB115_162:
	v_cmp_ne_u32_e32 vcc_lo, 1, v16
	s_cbranch_vccnz .LBB115_164
; %bb.163:
	v_lshlrev_b64 v[8:9], 3, v[2:3]
	s_delay_alu instid0(VALU_DEP_1) | instskip(NEXT) | instid1(VALU_DEP_2)
	v_add_co_u32 v8, vcc_lo, v10, v8
	v_add_co_ci_u32_e32 v9, vcc_lo, v15, v9, vcc_lo
	flat_load_b64 v[8:9], v[8:9]
	s_waitcnt vmcnt(0) lgkmcnt(0)
	v_mul_f64 v[8:9], v[8:9], s[10:11]
	s_branch .LBB115_165
.LBB115_164:
	v_mov_b32_e32 v8, 0
	v_mov_b32_e32 v9, 0
.LBB115_165:
	s_delay_alu instid0(VALU_DEP_1) | instskip(SKIP_2) | instid1(VALU_DEP_1)
	v_cvt_f32_f64_e32 v8, v[8:9]
	v_max_f32_e32 v9, v184, v184
	v_lshlrev_b64 v[18:19], 3, v[2:3]
	v_add_co_u32 v18, vcc_lo, v12, v18
	s_delay_alu instid0(VALU_DEP_2) | instskip(NEXT) | instid1(VALU_DEP_4)
	v_add_co_ci_u32_e32 v19, vcc_lo, v13, v19, vcc_lo
	v_min_f32_e32 v8, v8, v9
	s_delay_alu instid0(VALU_DEP_1) | instskip(SKIP_3) | instid1(SALU_CYCLE_1)
	v_cvt_f64_f32_e32 v[8:9], v8
	global_store_b64 v[18:19], v[8:9], off
	s_or_b32 exec_lo, exec_lo, s13
	s_and_b32 s14, s2, s4
	s_and_saveexec_b32 s13, s14
	s_cbranch_execz .LBB115_157
.LBB115_166:
	v_cmp_ne_u32_e32 vcc_lo, 1, v16
	s_cbranch_vccnz .LBB115_168
; %bb.167:
	v_lshlrev_b64 v[8:9], 3, v[4:5]
	s_delay_alu instid0(VALU_DEP_1) | instskip(NEXT) | instid1(VALU_DEP_2)
	v_add_co_u32 v8, vcc_lo, v10, v8
	v_add_co_ci_u32_e32 v9, vcc_lo, v15, v9, vcc_lo
	flat_load_b64 v[8:9], v[8:9]
	s_waitcnt vmcnt(0) lgkmcnt(0)
	v_mul_f64 v[8:9], v[8:9], s[10:11]
	s_branch .LBB115_169
.LBB115_168:
	v_mov_b32_e32 v8, 0
	v_mov_b32_e32 v9, 0
.LBB115_169:
	s_delay_alu instid0(VALU_DEP_1) | instskip(SKIP_2) | instid1(VALU_DEP_1)
	v_cvt_f32_f64_e32 v8, v[8:9]
	v_max_f32_e32 v9, v99, v99
	v_lshlrev_b64 v[18:19], 3, v[4:5]
	v_add_co_u32 v18, vcc_lo, v12, v18
	s_delay_alu instid0(VALU_DEP_2) | instskip(NEXT) | instid1(VALU_DEP_4)
	v_add_co_ci_u32_e32 v19, vcc_lo, v13, v19, vcc_lo
	v_min_f32_e32 v8, v8, v9
	s_delay_alu instid0(VALU_DEP_1) | instskip(SKIP_3) | instid1(SALU_CYCLE_1)
	v_cvt_f64_f32_e32 v[8:9], v8
	global_store_b64 v[18:19], v[8:9], off
	s_or_b32 exec_lo, exec_lo, s13
	s_and_b32 s13, s3, s4
	s_and_saveexec_b32 s4, s13
	s_cbranch_execz .LBB115_174
.LBB115_170:
	v_cmp_ne_u32_e32 vcc_lo, 1, v16
	s_cbranch_vccnz .LBB115_172
; %bb.171:
	v_lshlrev_b64 v[8:9], 3, v[6:7]
	s_delay_alu instid0(VALU_DEP_1) | instskip(NEXT) | instid1(VALU_DEP_2)
	v_add_co_u32 v8, vcc_lo, v10, v8
	v_add_co_ci_u32_e32 v9, vcc_lo, v15, v9, vcc_lo
	flat_load_b64 v[8:9], v[8:9]
	s_waitcnt vmcnt(0) lgkmcnt(0)
	v_mul_f64 v[8:9], v[8:9], s[10:11]
	s_branch .LBB115_173
.LBB115_172:
	v_mov_b32_e32 v8, 0
	v_mov_b32_e32 v9, 0
.LBB115_173:
	s_delay_alu instid0(VALU_DEP_1) | instskip(SKIP_2) | instid1(VALU_DEP_1)
	v_cvt_f32_f64_e32 v8, v[8:9]
	v_max_f32_e32 v9, v71, v71
	v_lshlrev_b64 v[10:11], 3, v[6:7]
	v_add_co_u32 v10, vcc_lo, v12, v10
	s_delay_alu instid0(VALU_DEP_2) | instskip(NEXT) | instid1(VALU_DEP_4)
	v_add_co_ci_u32_e32 v11, vcc_lo, v13, v11, vcc_lo
	v_min_f32_e32 v8, v8, v9
	s_delay_alu instid0(VALU_DEP_1)
	v_cvt_f64_f32_e32 v[8:9], v8
	global_store_b64 v[10:11], v[8:9], off
.LBB115_174:
	s_or_b32 exec_lo, exec_lo, s4
	v_add_nc_u32_e32 v12, 48, v17
	s_delay_alu instid0(VALU_DEP_1) | instskip(SKIP_2) | instid1(VALU_DEP_3)
	v_mad_i64_i32 v[8:9], null, v12, s6, 0
	v_mad_i64_i32 v[10:11], null, v12, s5, 0
	v_cmp_gt_i32_e64 s4, s17, v12
	v_lshlrev_b64 v[8:9], 3, v[8:9]
	s_delay_alu instid0(VALU_DEP_2) | instskip(NEXT) | instid1(VALU_DEP_3)
	s_and_b32 s14, s0, s4
	v_lshlrev_b64 v[10:11], 3, v[10:11]
	s_delay_alu instid0(VALU_DEP_2) | instskip(NEXT) | instid1(VALU_DEP_3)
	v_add_co_u32 v14, vcc_lo, s8, v8
	v_add_co_ci_u32_e32 v15, vcc_lo, s9, v9, vcc_lo
	s_delay_alu instid0(VALU_DEP_3) | instskip(NEXT) | instid1(VALU_DEP_4)
	v_add_co_u32 v12, vcc_lo, s7, v10
	v_add_co_ci_u32_e32 v13, vcc_lo, s12, v11, vcc_lo
	s_and_saveexec_b32 s13, s14
	s_cbranch_execnz .LBB115_178
; %bb.175:
	s_or_b32 exec_lo, exec_lo, s13
	s_and_b32 s14, s1, s4
	s_delay_alu instid0(SALU_CYCLE_1)
	s_and_saveexec_b32 s13, s14
	s_cbranch_execnz .LBB115_182
.LBB115_176:
	s_or_b32 exec_lo, exec_lo, s13
	s_and_b32 s14, s2, s4
	s_delay_alu instid0(SALU_CYCLE_1)
	s_and_saveexec_b32 s13, s14
	s_cbranch_execnz .LBB115_186
.LBB115_177:
	s_or_b32 exec_lo, exec_lo, s13
	s_and_b32 s13, s3, s4
	s_delay_alu instid0(SALU_CYCLE_1)
	s_and_saveexec_b32 s4, s13
	s_cbranch_execnz .LBB115_190
	s_branch .LBB115_194
.LBB115_178:
	v_cmp_ne_u32_e32 vcc_lo, 1, v16
	s_cbranch_vccnz .LBB115_180
; %bb.179:
	v_lshlrev_b64 v[8:9], 3, v[0:1]
	s_delay_alu instid0(VALU_DEP_1) | instskip(NEXT) | instid1(VALU_DEP_2)
	v_add_co_u32 v8, vcc_lo, v14, v8
	v_add_co_ci_u32_e32 v9, vcc_lo, v15, v9, vcc_lo
	flat_load_b64 v[8:9], v[8:9]
	s_waitcnt vmcnt(0) lgkmcnt(0)
	v_mul_f64 v[8:9], v[8:9], s[10:11]
	s_branch .LBB115_181
.LBB115_180:
	v_mov_b32_e32 v8, 0
	v_mov_b32_e32 v9, 0
.LBB115_181:
	s_delay_alu instid0(VALU_DEP_1) | instskip(SKIP_2) | instid1(VALU_DEP_1)
	v_cvt_f32_f64_e32 v8, v[8:9]
	v_max_f32_e32 v9, v70, v70
	v_lshlrev_b64 v[10:11], 3, v[0:1]
	v_add_co_u32 v10, vcc_lo, v12, v10
	s_delay_alu instid0(VALU_DEP_2) | instskip(NEXT) | instid1(VALU_DEP_4)
	v_add_co_ci_u32_e32 v11, vcc_lo, v13, v11, vcc_lo
	v_min_f32_e32 v8, v8, v9
	s_delay_alu instid0(VALU_DEP_1) | instskip(SKIP_3) | instid1(SALU_CYCLE_1)
	v_cvt_f64_f32_e32 v[8:9], v8
	global_store_b64 v[10:11], v[8:9], off
	s_or_b32 exec_lo, exec_lo, s13
	s_and_b32 s14, s1, s4
	s_and_saveexec_b32 s13, s14
	s_cbranch_execz .LBB115_176
.LBB115_182:
	v_cmp_ne_u32_e32 vcc_lo, 1, v16
	s_cbranch_vccnz .LBB115_184
; %bb.183:
	v_lshlrev_b64 v[8:9], 3, v[2:3]
	s_delay_alu instid0(VALU_DEP_1) | instskip(NEXT) | instid1(VALU_DEP_2)
	v_add_co_u32 v8, vcc_lo, v14, v8
	v_add_co_ci_u32_e32 v9, vcc_lo, v15, v9, vcc_lo
	flat_load_b64 v[8:9], v[8:9]
	s_waitcnt vmcnt(0) lgkmcnt(0)
	v_mul_f64 v[8:9], v[8:9], s[10:11]
	s_branch .LBB115_185
.LBB115_184:
	v_mov_b32_e32 v8, 0
	v_mov_b32_e32 v9, 0
.LBB115_185:
	s_delay_alu instid0(VALU_DEP_1) | instskip(SKIP_2) | instid1(VALU_DEP_1)
	v_cvt_f32_f64_e32 v8, v[8:9]
	v_max_f32_e32 v9, v32, v32
	v_lshlrev_b64 v[10:11], 3, v[2:3]
	v_add_co_u32 v10, vcc_lo, v12, v10
	s_delay_alu instid0(VALU_DEP_2) | instskip(NEXT) | instid1(VALU_DEP_4)
	v_add_co_ci_u32_e32 v11, vcc_lo, v13, v11, vcc_lo
	v_min_f32_e32 v8, v8, v9
	s_delay_alu instid0(VALU_DEP_1) | instskip(SKIP_3) | instid1(SALU_CYCLE_1)
	v_cvt_f64_f32_e32 v[8:9], v8
	global_store_b64 v[10:11], v[8:9], off
	s_or_b32 exec_lo, exec_lo, s13
	s_and_b32 s14, s2, s4
	s_and_saveexec_b32 s13, s14
	s_cbranch_execz .LBB115_177
.LBB115_186:
	v_cmp_ne_u32_e32 vcc_lo, 1, v16
	s_cbranch_vccnz .LBB115_188
; %bb.187:
	v_lshlrev_b64 v[8:9], 3, v[4:5]
	s_delay_alu instid0(VALU_DEP_1) | instskip(NEXT) | instid1(VALU_DEP_2)
	v_add_co_u32 v8, vcc_lo, v14, v8
	v_add_co_ci_u32_e32 v9, vcc_lo, v15, v9, vcc_lo
	flat_load_b64 v[8:9], v[8:9]
	s_waitcnt vmcnt(0) lgkmcnt(0)
	v_mul_f64 v[8:9], v[8:9], s[10:11]
	s_branch .LBB115_189
.LBB115_188:
	v_mov_b32_e32 v8, 0
	v_mov_b32_e32 v9, 0
.LBB115_189:
	s_delay_alu instid0(VALU_DEP_1) | instskip(SKIP_2) | instid1(VALU_DEP_1)
	v_cvt_f32_f64_e32 v8, v[8:9]
	v_max_f32_e32 v9, v31, v31
	v_lshlrev_b64 v[10:11], 3, v[4:5]
	v_add_co_u32 v10, vcc_lo, v12, v10
	s_delay_alu instid0(VALU_DEP_2) | instskip(NEXT) | instid1(VALU_DEP_4)
	v_add_co_ci_u32_e32 v11, vcc_lo, v13, v11, vcc_lo
	v_min_f32_e32 v8, v8, v9
	s_delay_alu instid0(VALU_DEP_1) | instskip(SKIP_3) | instid1(SALU_CYCLE_1)
	v_cvt_f64_f32_e32 v[8:9], v8
	global_store_b64 v[10:11], v[8:9], off
	s_or_b32 exec_lo, exec_lo, s13
	s_and_b32 s13, s3, s4
	s_and_saveexec_b32 s4, s13
	s_cbranch_execz .LBB115_194
.LBB115_190:
	v_cmp_ne_u32_e32 vcc_lo, 1, v16
	s_cbranch_vccnz .LBB115_192
; %bb.191:
	v_lshlrev_b64 v[8:9], 3, v[6:7]
	s_delay_alu instid0(VALU_DEP_1) | instskip(NEXT) | instid1(VALU_DEP_2)
	v_add_co_u32 v8, vcc_lo, v14, v8
	v_add_co_ci_u32_e32 v9, vcc_lo, v15, v9, vcc_lo
	flat_load_b64 v[8:9], v[8:9]
	s_waitcnt vmcnt(0) lgkmcnt(0)
	v_mul_f64 v[8:9], v[8:9], s[10:11]
	s_branch .LBB115_193
.LBB115_192:
	v_mov_b32_e32 v8, 0
	v_mov_b32_e32 v9, 0
.LBB115_193:
	s_delay_alu instid0(VALU_DEP_1) | instskip(SKIP_2) | instid1(VALU_DEP_1)
	v_cvt_f32_f64_e32 v8, v[8:9]
	v_max_f32_e32 v9, v30, v30
	v_lshlrev_b64 v[10:11], 3, v[6:7]
	v_add_co_u32 v10, vcc_lo, v12, v10
	s_delay_alu instid0(VALU_DEP_2) | instskip(NEXT) | instid1(VALU_DEP_4)
	v_add_co_ci_u32_e32 v11, vcc_lo, v13, v11, vcc_lo
	v_min_f32_e32 v8, v8, v9
	s_delay_alu instid0(VALU_DEP_1)
	v_cvt_f64_f32_e32 v[8:9], v8
	global_store_b64 v[10:11], v[8:9], off
.LBB115_194:
	s_or_b32 exec_lo, exec_lo, s4
	v_add_nc_u32_e32 v12, 56, v17
	s_delay_alu instid0(VALU_DEP_1) | instskip(SKIP_2) | instid1(VALU_DEP_3)
	v_mad_i64_i32 v[8:9], null, v12, s6, 0
	v_mad_i64_i32 v[10:11], null, v12, s5, 0
	v_cmp_gt_i32_e64 s4, s17, v12
	v_lshlrev_b64 v[8:9], 3, v[8:9]
	s_delay_alu instid0(VALU_DEP_2) | instskip(NEXT) | instid1(VALU_DEP_3)
	s_and_b32 s14, s0, s4
	v_lshlrev_b64 v[10:11], 3, v[10:11]
	s_delay_alu instid0(VALU_DEP_2) | instskip(NEXT) | instid1(VALU_DEP_3)
	v_add_co_u32 v14, vcc_lo, s8, v8
	v_add_co_ci_u32_e32 v15, vcc_lo, s9, v9, vcc_lo
	s_delay_alu instid0(VALU_DEP_3) | instskip(NEXT) | instid1(VALU_DEP_4)
	v_add_co_u32 v12, vcc_lo, s7, v10
	v_add_co_ci_u32_e32 v13, vcc_lo, s12, v11, vcc_lo
	s_and_saveexec_b32 s13, s14
	s_cbranch_execnz .LBB115_198
; %bb.195:
	s_or_b32 exec_lo, exec_lo, s13
	s_and_b32 s14, s1, s4
	s_delay_alu instid0(SALU_CYCLE_1)
	s_and_saveexec_b32 s13, s14
	s_cbranch_execnz .LBB115_202
.LBB115_196:
	s_or_b32 exec_lo, exec_lo, s13
	s_and_b32 s14, s2, s4
	s_delay_alu instid0(SALU_CYCLE_1)
	s_and_saveexec_b32 s13, s14
	s_cbranch_execnz .LBB115_206
.LBB115_197:
	s_or_b32 exec_lo, exec_lo, s13
	s_and_b32 s13, s3, s4
	s_delay_alu instid0(SALU_CYCLE_1)
	s_and_saveexec_b32 s4, s13
	s_cbranch_execnz .LBB115_210
	s_branch .LBB115_214
.LBB115_198:
	v_cmp_ne_u32_e32 vcc_lo, 1, v16
	s_cbranch_vccnz .LBB115_200
; %bb.199:
	v_lshlrev_b64 v[8:9], 3, v[0:1]
	s_delay_alu instid0(VALU_DEP_1) | instskip(NEXT) | instid1(VALU_DEP_2)
	v_add_co_u32 v8, vcc_lo, v14, v8
	v_add_co_ci_u32_e32 v9, vcc_lo, v15, v9, vcc_lo
	flat_load_b64 v[8:9], v[8:9]
	s_waitcnt vmcnt(0) lgkmcnt(0)
	v_mul_f64 v[8:9], v[8:9], s[10:11]
	s_branch .LBB115_201
.LBB115_200:
	v_mov_b32_e32 v8, 0
	v_mov_b32_e32 v9, 0
.LBB115_201:
	s_delay_alu instid0(VALU_DEP_1) | instskip(SKIP_2) | instid1(VALU_DEP_1)
	v_cvt_f32_f64_e32 v8, v[8:9]
	v_max_f32_e32 v9, v72, v72
	v_lshlrev_b64 v[10:11], 3, v[0:1]
	v_add_co_u32 v10, vcc_lo, v12, v10
	s_delay_alu instid0(VALU_DEP_2) | instskip(NEXT) | instid1(VALU_DEP_4)
	v_add_co_ci_u32_e32 v11, vcc_lo, v13, v11, vcc_lo
	v_min_f32_e32 v8, v8, v9
	s_delay_alu instid0(VALU_DEP_1) | instskip(SKIP_3) | instid1(SALU_CYCLE_1)
	v_cvt_f64_f32_e32 v[8:9], v8
	global_store_b64 v[10:11], v[8:9], off
	s_or_b32 exec_lo, exec_lo, s13
	s_and_b32 s14, s1, s4
	s_and_saveexec_b32 s13, s14
	s_cbranch_execz .LBB115_196
.LBB115_202:
	v_cmp_ne_u32_e32 vcc_lo, 1, v16
	s_cbranch_vccnz .LBB115_204
; %bb.203:
	v_lshlrev_b64 v[8:9], 3, v[2:3]
	s_delay_alu instid0(VALU_DEP_1) | instskip(NEXT) | instid1(VALU_DEP_2)
	v_add_co_u32 v8, vcc_lo, v14, v8
	v_add_co_ci_u32_e32 v9, vcc_lo, v15, v9, vcc_lo
	flat_load_b64 v[8:9], v[8:9]
	s_waitcnt vmcnt(0) lgkmcnt(0)
	v_mul_f64 v[8:9], v[8:9], s[10:11]
	s_branch .LBB115_205
.LBB115_204:
	v_mov_b32_e32 v8, 0
	v_mov_b32_e32 v9, 0
.LBB115_205:
	s_delay_alu instid0(VALU_DEP_1) | instskip(SKIP_2) | instid1(VALU_DEP_1)
	v_cvt_f32_f64_e32 v8, v[8:9]
	v_max_f32_e32 v9, v28, v28
	v_lshlrev_b64 v[10:11], 3, v[2:3]
	v_add_co_u32 v10, vcc_lo, v12, v10
	s_delay_alu instid0(VALU_DEP_2) | instskip(NEXT) | instid1(VALU_DEP_4)
	v_add_co_ci_u32_e32 v11, vcc_lo, v13, v11, vcc_lo
	v_min_f32_e32 v8, v8, v9
	s_delay_alu instid0(VALU_DEP_1) | instskip(SKIP_3) | instid1(SALU_CYCLE_1)
	v_cvt_f64_f32_e32 v[8:9], v8
	global_store_b64 v[10:11], v[8:9], off
	s_or_b32 exec_lo, exec_lo, s13
	s_and_b32 s14, s2, s4
	s_and_saveexec_b32 s13, s14
	s_cbranch_execz .LBB115_197
.LBB115_206:
	v_cmp_ne_u32_e32 vcc_lo, 1, v16
	s_cbranch_vccnz .LBB115_208
; %bb.207:
	v_lshlrev_b64 v[8:9], 3, v[4:5]
	s_delay_alu instid0(VALU_DEP_1) | instskip(NEXT) | instid1(VALU_DEP_2)
	v_add_co_u32 v8, vcc_lo, v14, v8
	v_add_co_ci_u32_e32 v9, vcc_lo, v15, v9, vcc_lo
	flat_load_b64 v[8:9], v[8:9]
	s_waitcnt vmcnt(0) lgkmcnt(0)
	v_mul_f64 v[8:9], v[8:9], s[10:11]
	s_branch .LBB115_209
.LBB115_208:
	v_mov_b32_e32 v8, 0
	v_mov_b32_e32 v9, 0
.LBB115_209:
	s_delay_alu instid0(VALU_DEP_1) | instskip(SKIP_2) | instid1(VALU_DEP_1)
	v_cvt_f32_f64_e32 v8, v[8:9]
	v_max_f32_e32 v9, v27, v27
	v_lshlrev_b64 v[10:11], 3, v[4:5]
	v_add_co_u32 v10, vcc_lo, v12, v10
	s_delay_alu instid0(VALU_DEP_2) | instskip(NEXT) | instid1(VALU_DEP_4)
	v_add_co_ci_u32_e32 v11, vcc_lo, v13, v11, vcc_lo
	v_min_f32_e32 v8, v8, v9
	s_delay_alu instid0(VALU_DEP_1) | instskip(SKIP_3) | instid1(SALU_CYCLE_1)
	v_cvt_f64_f32_e32 v[8:9], v8
	global_store_b64 v[10:11], v[8:9], off
	s_or_b32 exec_lo, exec_lo, s13
	s_and_b32 s13, s3, s4
	s_and_saveexec_b32 s4, s13
	s_cbranch_execz .LBB115_214
.LBB115_210:
	v_cmp_ne_u32_e32 vcc_lo, 1, v16
	s_cbranch_vccnz .LBB115_212
; %bb.211:
	v_lshlrev_b64 v[8:9], 3, v[6:7]
	s_delay_alu instid0(VALU_DEP_1) | instskip(NEXT) | instid1(VALU_DEP_2)
	v_add_co_u32 v8, vcc_lo, v14, v8
	v_add_co_ci_u32_e32 v9, vcc_lo, v15, v9, vcc_lo
	flat_load_b64 v[8:9], v[8:9]
	s_waitcnt vmcnt(0) lgkmcnt(0)
	v_mul_f64 v[8:9], v[8:9], s[10:11]
	s_branch .LBB115_213
.LBB115_212:
	v_mov_b32_e32 v8, 0
	v_mov_b32_e32 v9, 0
.LBB115_213:
	s_delay_alu instid0(VALU_DEP_1) | instskip(SKIP_2) | instid1(VALU_DEP_1)
	v_cvt_f32_f64_e32 v8, v[8:9]
	v_max_f32_e32 v9, v26, v26
	v_lshlrev_b64 v[10:11], 3, v[6:7]
	v_add_co_u32 v10, vcc_lo, v12, v10
	s_delay_alu instid0(VALU_DEP_2) | instskip(NEXT) | instid1(VALU_DEP_4)
	v_add_co_ci_u32_e32 v11, vcc_lo, v13, v11, vcc_lo
	v_min_f32_e32 v8, v8, v9
	s_delay_alu instid0(VALU_DEP_1)
	v_cvt_f64_f32_e32 v[8:9], v8
	global_store_b64 v[10:11], v[8:9], off
.LBB115_214:
	s_or_b32 exec_lo, exec_lo, s4
	v_add_nc_u32_e32 v12, 64, v17
	s_delay_alu instid0(VALU_DEP_1) | instskip(SKIP_2) | instid1(VALU_DEP_3)
	v_mad_i64_i32 v[8:9], null, v12, s6, 0
	v_mad_i64_i32 v[10:11], null, v12, s5, 0
	v_cmp_gt_i32_e64 s4, s17, v12
	v_lshlrev_b64 v[8:9], 3, v[8:9]
	s_delay_alu instid0(VALU_DEP_2) | instskip(NEXT) | instid1(VALU_DEP_3)
	s_and_b32 s14, s0, s4
	v_lshlrev_b64 v[10:11], 3, v[10:11]
	s_delay_alu instid0(VALU_DEP_2) | instskip(NEXT) | instid1(VALU_DEP_3)
	v_add_co_u32 v14, vcc_lo, s8, v8
	v_add_co_ci_u32_e32 v15, vcc_lo, s9, v9, vcc_lo
	s_delay_alu instid0(VALU_DEP_3) | instskip(NEXT) | instid1(VALU_DEP_4)
	v_add_co_u32 v12, vcc_lo, s7, v10
	v_add_co_ci_u32_e32 v13, vcc_lo, s12, v11, vcc_lo
	s_and_saveexec_b32 s13, s14
	s_cbranch_execnz .LBB115_218
; %bb.215:
	s_or_b32 exec_lo, exec_lo, s13
	s_and_b32 s14, s1, s4
	s_delay_alu instid0(SALU_CYCLE_1)
	s_and_saveexec_b32 s13, s14
	s_cbranch_execnz .LBB115_222
.LBB115_216:
	s_or_b32 exec_lo, exec_lo, s13
	s_and_b32 s14, s2, s4
	s_delay_alu instid0(SALU_CYCLE_1)
	s_and_saveexec_b32 s13, s14
	s_cbranch_execnz .LBB115_226
.LBB115_217:
	s_or_b32 exec_lo, exec_lo, s13
	s_and_b32 s13, s3, s4
	s_delay_alu instid0(SALU_CYCLE_1)
	s_and_saveexec_b32 s4, s13
	s_cbranch_execnz .LBB115_230
	s_branch .LBB115_234
.LBB115_218:
	v_cmp_ne_u32_e32 vcc_lo, 1, v16
	s_cbranch_vccnz .LBB115_220
; %bb.219:
	v_lshlrev_b64 v[8:9], 3, v[0:1]
	s_delay_alu instid0(VALU_DEP_1) | instskip(NEXT) | instid1(VALU_DEP_2)
	v_add_co_u32 v8, vcc_lo, v14, v8
	v_add_co_ci_u32_e32 v9, vcc_lo, v15, v9, vcc_lo
	flat_load_b64 v[8:9], v[8:9]
	s_waitcnt vmcnt(0) lgkmcnt(0)
	v_mul_f64 v[8:9], v[8:9], s[10:11]
	s_branch .LBB115_221
.LBB115_220:
	v_mov_b32_e32 v8, 0
	v_mov_b32_e32 v9, 0
.LBB115_221:
	s_delay_alu instid0(VALU_DEP_1) | instskip(SKIP_2) | instid1(VALU_DEP_1)
	v_cvt_f32_f64_e32 v8, v[8:9]
	v_max_f32_e32 v9, v119, v119
	v_lshlrev_b64 v[10:11], 3, v[0:1]
	v_add_co_u32 v10, vcc_lo, v12, v10
	s_delay_alu instid0(VALU_DEP_2) | instskip(NEXT) | instid1(VALU_DEP_4)
	v_add_co_ci_u32_e32 v11, vcc_lo, v13, v11, vcc_lo
	v_min_f32_e32 v8, v8, v9
	s_delay_alu instid0(VALU_DEP_1) | instskip(SKIP_3) | instid1(SALU_CYCLE_1)
	v_cvt_f64_f32_e32 v[8:9], v8
	global_store_b64 v[10:11], v[8:9], off
	s_or_b32 exec_lo, exec_lo, s13
	s_and_b32 s14, s1, s4
	s_and_saveexec_b32 s13, s14
	s_cbranch_execz .LBB115_216
.LBB115_222:
	v_cmp_ne_u32_e32 vcc_lo, 1, v16
	s_cbranch_vccnz .LBB115_224
; %bb.223:
	v_lshlrev_b64 v[8:9], 3, v[2:3]
	s_delay_alu instid0(VALU_DEP_1) | instskip(NEXT) | instid1(VALU_DEP_2)
	v_add_co_u32 v8, vcc_lo, v14, v8
	v_add_co_ci_u32_e32 v9, vcc_lo, v15, v9, vcc_lo
	flat_load_b64 v[8:9], v[8:9]
	s_waitcnt vmcnt(0) lgkmcnt(0)
	v_mul_f64 v[8:9], v[8:9], s[10:11]
	s_branch .LBB115_225
.LBB115_224:
	v_mov_b32_e32 v8, 0
	v_mov_b32_e32 v9, 0
.LBB115_225:
	s_delay_alu instid0(VALU_DEP_1) | instskip(SKIP_2) | instid1(VALU_DEP_1)
	v_cvt_f32_f64_e32 v8, v[8:9]
	v_max_f32_e32 v9, v24, v24
	v_lshlrev_b64 v[10:11], 3, v[2:3]
	v_add_co_u32 v10, vcc_lo, v12, v10
	s_delay_alu instid0(VALU_DEP_2) | instskip(NEXT) | instid1(VALU_DEP_4)
	v_add_co_ci_u32_e32 v11, vcc_lo, v13, v11, vcc_lo
	v_min_f32_e32 v8, v8, v9
	s_delay_alu instid0(VALU_DEP_1) | instskip(SKIP_3) | instid1(SALU_CYCLE_1)
	v_cvt_f64_f32_e32 v[8:9], v8
	global_store_b64 v[10:11], v[8:9], off
	s_or_b32 exec_lo, exec_lo, s13
	s_and_b32 s14, s2, s4
	s_and_saveexec_b32 s13, s14
	s_cbranch_execz .LBB115_217
.LBB115_226:
	v_cmp_ne_u32_e32 vcc_lo, 1, v16
	s_cbranch_vccnz .LBB115_228
; %bb.227:
	v_lshlrev_b64 v[8:9], 3, v[4:5]
	s_delay_alu instid0(VALU_DEP_1) | instskip(NEXT) | instid1(VALU_DEP_2)
	v_add_co_u32 v8, vcc_lo, v14, v8
	v_add_co_ci_u32_e32 v9, vcc_lo, v15, v9, vcc_lo
	flat_load_b64 v[8:9], v[8:9]
	s_waitcnt vmcnt(0) lgkmcnt(0)
	v_mul_f64 v[8:9], v[8:9], s[10:11]
	s_branch .LBB115_229
.LBB115_228:
	v_mov_b32_e32 v8, 0
	v_mov_b32_e32 v9, 0
.LBB115_229:
	s_delay_alu instid0(VALU_DEP_1) | instskip(SKIP_2) | instid1(VALU_DEP_1)
	v_cvt_f32_f64_e32 v8, v[8:9]
	v_max_f32_e32 v9, v77, v77
	v_lshlrev_b64 v[10:11], 3, v[4:5]
	v_add_co_u32 v10, vcc_lo, v12, v10
	s_delay_alu instid0(VALU_DEP_2) | instskip(NEXT) | instid1(VALU_DEP_4)
	v_add_co_ci_u32_e32 v11, vcc_lo, v13, v11, vcc_lo
	v_min_f32_e32 v8, v8, v9
	s_delay_alu instid0(VALU_DEP_1) | instskip(SKIP_3) | instid1(SALU_CYCLE_1)
	v_cvt_f64_f32_e32 v[8:9], v8
	global_store_b64 v[10:11], v[8:9], off
	s_or_b32 exec_lo, exec_lo, s13
	s_and_b32 s13, s3, s4
	s_and_saveexec_b32 s4, s13
	s_cbranch_execz .LBB115_234
.LBB115_230:
	v_cmp_ne_u32_e32 vcc_lo, 1, v16
	s_cbranch_vccnz .LBB115_232
; %bb.231:
	v_lshlrev_b64 v[8:9], 3, v[6:7]
	s_delay_alu instid0(VALU_DEP_1) | instskip(NEXT) | instid1(VALU_DEP_2)
	v_add_co_u32 v8, vcc_lo, v14, v8
	v_add_co_ci_u32_e32 v9, vcc_lo, v15, v9, vcc_lo
	flat_load_b64 v[8:9], v[8:9]
	s_waitcnt vmcnt(0) lgkmcnt(0)
	v_mul_f64 v[8:9], v[8:9], s[10:11]
	s_branch .LBB115_233
.LBB115_232:
	v_mov_b32_e32 v8, 0
	v_mov_b32_e32 v9, 0
.LBB115_233:
	s_delay_alu instid0(VALU_DEP_1) | instskip(SKIP_2) | instid1(VALU_DEP_1)
	v_cvt_f32_f64_e32 v8, v[8:9]
	v_max_f32_e32 v9, v23, v23
	v_lshlrev_b64 v[10:11], 3, v[6:7]
	v_add_co_u32 v10, vcc_lo, v12, v10
	s_delay_alu instid0(VALU_DEP_2) | instskip(NEXT) | instid1(VALU_DEP_4)
	v_add_co_ci_u32_e32 v11, vcc_lo, v13, v11, vcc_lo
	v_min_f32_e32 v8, v8, v9
	s_delay_alu instid0(VALU_DEP_1)
	v_cvt_f64_f32_e32 v[8:9], v8
	global_store_b64 v[10:11], v[8:9], off
.LBB115_234:
	s_or_b32 exec_lo, exec_lo, s4
	v_add_nc_u32_e32 v12, 0x48, v17
	s_delay_alu instid0(VALU_DEP_1) | instskip(SKIP_2) | instid1(VALU_DEP_3)
	v_mad_i64_i32 v[8:9], null, v12, s6, 0
	v_mad_i64_i32 v[10:11], null, v12, s5, 0
	v_cmp_gt_i32_e64 s4, s17, v12
	v_lshlrev_b64 v[8:9], 3, v[8:9]
	s_delay_alu instid0(VALU_DEP_2) | instskip(NEXT) | instid1(VALU_DEP_3)
	s_and_b32 s14, s0, s4
	v_lshlrev_b64 v[10:11], 3, v[10:11]
	s_delay_alu instid0(VALU_DEP_2) | instskip(NEXT) | instid1(VALU_DEP_3)
	v_add_co_u32 v14, vcc_lo, s8, v8
	v_add_co_ci_u32_e32 v15, vcc_lo, s9, v9, vcc_lo
	s_delay_alu instid0(VALU_DEP_3) | instskip(NEXT) | instid1(VALU_DEP_4)
	v_add_co_u32 v12, vcc_lo, s7, v10
	v_add_co_ci_u32_e32 v13, vcc_lo, s12, v11, vcc_lo
	s_and_saveexec_b32 s13, s14
	s_cbranch_execnz .LBB115_238
; %bb.235:
	s_or_b32 exec_lo, exec_lo, s13
	s_and_b32 s14, s1, s4
	s_delay_alu instid0(SALU_CYCLE_1)
	s_and_saveexec_b32 s13, s14
	s_cbranch_execnz .LBB115_242
.LBB115_236:
	s_or_b32 exec_lo, exec_lo, s13
	s_and_b32 s14, s2, s4
	s_delay_alu instid0(SALU_CYCLE_1)
	s_and_saveexec_b32 s13, s14
	s_cbranch_execnz .LBB115_246
.LBB115_237:
	s_or_b32 exec_lo, exec_lo, s13
	s_and_b32 s13, s3, s4
	s_delay_alu instid0(SALU_CYCLE_1)
	s_and_saveexec_b32 s4, s13
	s_cbranch_execnz .LBB115_250
	s_branch .LBB115_254
.LBB115_238:
	v_cmp_ne_u32_e32 vcc_lo, 1, v16
	s_cbranch_vccnz .LBB115_240
; %bb.239:
	v_lshlrev_b64 v[8:9], 3, v[0:1]
	s_delay_alu instid0(VALU_DEP_1) | instskip(NEXT) | instid1(VALU_DEP_2)
	v_add_co_u32 v8, vcc_lo, v14, v8
	v_add_co_ci_u32_e32 v9, vcc_lo, v15, v9, vcc_lo
	flat_load_b64 v[8:9], v[8:9]
	s_waitcnt vmcnt(0) lgkmcnt(0)
	v_mul_f64 v[8:9], v[8:9], s[10:11]
	s_branch .LBB115_241
.LBB115_240:
	v_mov_b32_e32 v8, 0
	v_mov_b32_e32 v9, 0
.LBB115_241:
	s_delay_alu instid0(VALU_DEP_1) | instskip(SKIP_2) | instid1(VALU_DEP_1)
	v_cvt_f32_f64_e32 v8, v[8:9]
	v_max_f32_e32 v9, v75, v75
	v_lshlrev_b64 v[10:11], 3, v[0:1]
	v_add_co_u32 v10, vcc_lo, v12, v10
	s_delay_alu instid0(VALU_DEP_2) | instskip(NEXT) | instid1(VALU_DEP_4)
	v_add_co_ci_u32_e32 v11, vcc_lo, v13, v11, vcc_lo
	v_min_f32_e32 v8, v8, v9
	s_delay_alu instid0(VALU_DEP_1) | instskip(SKIP_3) | instid1(SALU_CYCLE_1)
	v_cvt_f64_f32_e32 v[8:9], v8
	global_store_b64 v[10:11], v[8:9], off
	s_or_b32 exec_lo, exec_lo, s13
	s_and_b32 s14, s1, s4
	s_and_saveexec_b32 s13, s14
	s_cbranch_execz .LBB115_236
.LBB115_242:
	v_cmp_ne_u32_e32 vcc_lo, 1, v16
	s_cbranch_vccnz .LBB115_244
; %bb.243:
	v_lshlrev_b64 v[8:9], 3, v[2:3]
	s_delay_alu instid0(VALU_DEP_1) | instskip(NEXT) | instid1(VALU_DEP_2)
	v_add_co_u32 v8, vcc_lo, v14, v8
	v_add_co_ci_u32_e32 v9, vcc_lo, v15, v9, vcc_lo
	flat_load_b64 v[8:9], v[8:9]
	s_waitcnt vmcnt(0) lgkmcnt(0)
	v_mul_f64 v[8:9], v[8:9], s[10:11]
	s_branch .LBB115_245
.LBB115_244:
	v_mov_b32_e32 v8, 0
	v_mov_b32_e32 v9, 0
.LBB115_245:
	s_delay_alu instid0(VALU_DEP_1) | instskip(SKIP_2) | instid1(VALU_DEP_1)
	v_cvt_f32_f64_e32 v8, v[8:9]
	v_max_f32_e32 v9, v22, v22
	v_lshlrev_b64 v[10:11], 3, v[2:3]
	v_add_co_u32 v10, vcc_lo, v12, v10
	s_delay_alu instid0(VALU_DEP_2) | instskip(NEXT) | instid1(VALU_DEP_4)
	v_add_co_ci_u32_e32 v11, vcc_lo, v13, v11, vcc_lo
	v_min_f32_e32 v8, v8, v9
	s_delay_alu instid0(VALU_DEP_1) | instskip(SKIP_3) | instid1(SALU_CYCLE_1)
	v_cvt_f64_f32_e32 v[8:9], v8
	global_store_b64 v[10:11], v[8:9], off
	s_or_b32 exec_lo, exec_lo, s13
	s_and_b32 s14, s2, s4
	s_and_saveexec_b32 s13, s14
	s_cbranch_execz .LBB115_237
.LBB115_246:
	v_cmp_ne_u32_e32 vcc_lo, 1, v16
	s_cbranch_vccnz .LBB115_248
; %bb.247:
	v_lshlrev_b64 v[8:9], 3, v[4:5]
	s_delay_alu instid0(VALU_DEP_1) | instskip(NEXT) | instid1(VALU_DEP_2)
	v_add_co_u32 v8, vcc_lo, v14, v8
	v_add_co_ci_u32_e32 v9, vcc_lo, v15, v9, vcc_lo
	flat_load_b64 v[8:9], v[8:9]
	s_waitcnt vmcnt(0) lgkmcnt(0)
	v_mul_f64 v[8:9], v[8:9], s[10:11]
	s_branch .LBB115_249
.LBB115_248:
	v_mov_b32_e32 v8, 0
	v_mov_b32_e32 v9, 0
.LBB115_249:
	s_delay_alu instid0(VALU_DEP_1) | instskip(SKIP_2) | instid1(VALU_DEP_1)
	v_cvt_f32_f64_e32 v8, v[8:9]
	v_max_f32_e32 v9, v65, v65
	v_lshlrev_b64 v[10:11], 3, v[4:5]
	v_add_co_u32 v10, vcc_lo, v12, v10
	s_delay_alu instid0(VALU_DEP_2) | instskip(NEXT) | instid1(VALU_DEP_4)
	v_add_co_ci_u32_e32 v11, vcc_lo, v13, v11, vcc_lo
	v_min_f32_e32 v8, v8, v9
	s_delay_alu instid0(VALU_DEP_1) | instskip(SKIP_3) | instid1(SALU_CYCLE_1)
	v_cvt_f64_f32_e32 v[8:9], v8
	global_store_b64 v[10:11], v[8:9], off
	s_or_b32 exec_lo, exec_lo, s13
	s_and_b32 s13, s3, s4
	s_and_saveexec_b32 s4, s13
	s_cbranch_execz .LBB115_254
.LBB115_250:
	v_cmp_ne_u32_e32 vcc_lo, 1, v16
	s_cbranch_vccnz .LBB115_252
; %bb.251:
	v_lshlrev_b64 v[8:9], 3, v[6:7]
	s_delay_alu instid0(VALU_DEP_1) | instskip(NEXT) | instid1(VALU_DEP_2)
	v_add_co_u32 v8, vcc_lo, v14, v8
	v_add_co_ci_u32_e32 v9, vcc_lo, v15, v9, vcc_lo
	flat_load_b64 v[8:9], v[8:9]
	s_waitcnt vmcnt(0) lgkmcnt(0)
	v_mul_f64 v[8:9], v[8:9], s[10:11]
	s_branch .LBB115_253
.LBB115_252:
	v_mov_b32_e32 v8, 0
	v_mov_b32_e32 v9, 0
.LBB115_253:
	s_delay_alu instid0(VALU_DEP_1) | instskip(SKIP_2) | instid1(VALU_DEP_1)
	v_cvt_f32_f64_e32 v8, v[8:9]
	v_max_f32_e32 v9, v224, v224
	v_lshlrev_b64 v[10:11], 3, v[6:7]
	v_add_co_u32 v10, vcc_lo, v12, v10
	s_delay_alu instid0(VALU_DEP_2) | instskip(NEXT) | instid1(VALU_DEP_4)
	v_add_co_ci_u32_e32 v11, vcc_lo, v13, v11, vcc_lo
	v_min_f32_e32 v8, v8, v9
	s_delay_alu instid0(VALU_DEP_1)
	v_cvt_f64_f32_e32 v[8:9], v8
	global_store_b64 v[10:11], v[8:9], off
.LBB115_254:
	s_or_b32 exec_lo, exec_lo, s4
	v_add_nc_u32_e32 v12, 0x50, v17
	s_delay_alu instid0(VALU_DEP_1) | instskip(SKIP_2) | instid1(VALU_DEP_3)
	v_mad_i64_i32 v[8:9], null, v12, s6, 0
	v_mad_i64_i32 v[10:11], null, v12, s5, 0
	v_cmp_gt_i32_e64 s4, s17, v12
	v_lshlrev_b64 v[8:9], 3, v[8:9]
	s_delay_alu instid0(VALU_DEP_2) | instskip(NEXT) | instid1(VALU_DEP_3)
	s_and_b32 s14, s0, s4
	v_lshlrev_b64 v[10:11], 3, v[10:11]
	s_delay_alu instid0(VALU_DEP_2) | instskip(NEXT) | instid1(VALU_DEP_3)
	v_add_co_u32 v14, vcc_lo, s8, v8
	v_add_co_ci_u32_e32 v15, vcc_lo, s9, v9, vcc_lo
	s_delay_alu instid0(VALU_DEP_3) | instskip(NEXT) | instid1(VALU_DEP_4)
	v_add_co_u32 v12, vcc_lo, s7, v10
	v_add_co_ci_u32_e32 v13, vcc_lo, s12, v11, vcc_lo
	s_and_saveexec_b32 s13, s14
	s_cbranch_execnz .LBB115_258
; %bb.255:
	s_or_b32 exec_lo, exec_lo, s13
	s_and_b32 s14, s1, s4
	s_delay_alu instid0(SALU_CYCLE_1)
	s_and_saveexec_b32 s13, s14
	s_cbranch_execnz .LBB115_262
.LBB115_256:
	s_or_b32 exec_lo, exec_lo, s13
	s_and_b32 s14, s2, s4
	s_delay_alu instid0(SALU_CYCLE_1)
	s_and_saveexec_b32 s13, s14
	s_cbranch_execnz .LBB115_266
.LBB115_257:
	s_or_b32 exec_lo, exec_lo, s13
	s_and_b32 s13, s3, s4
	s_delay_alu instid0(SALU_CYCLE_1)
	s_and_saveexec_b32 s4, s13
	s_cbranch_execnz .LBB115_270
	s_branch .LBB115_274
.LBB115_258:
	v_cmp_ne_u32_e32 vcc_lo, 1, v16
	s_cbranch_vccnz .LBB115_260
; %bb.259:
	v_lshlrev_b64 v[8:9], 3, v[0:1]
	s_delay_alu instid0(VALU_DEP_1) | instskip(NEXT) | instid1(VALU_DEP_2)
	v_add_co_u32 v8, vcc_lo, v14, v8
	v_add_co_ci_u32_e32 v9, vcc_lo, v15, v9, vcc_lo
	flat_load_b64 v[8:9], v[8:9]
	s_waitcnt vmcnt(0) lgkmcnt(0)
	v_mul_f64 v[8:9], v[8:9], s[10:11]
	s_branch .LBB115_261
.LBB115_260:
	v_mov_b32_e32 v8, 0
	v_mov_b32_e32 v9, 0
.LBB115_261:
	s_delay_alu instid0(VALU_DEP_1) | instskip(SKIP_2) | instid1(VALU_DEP_1)
	v_cvt_f32_f64_e32 v8, v[8:9]
	v_max_f32_e32 v9, v149, v149
	v_lshlrev_b64 v[10:11], 3, v[0:1]
	v_add_co_u32 v10, vcc_lo, v12, v10
	s_delay_alu instid0(VALU_DEP_2) | instskip(NEXT) | instid1(VALU_DEP_4)
	v_add_co_ci_u32_e32 v11, vcc_lo, v13, v11, vcc_lo
	v_min_f32_e32 v8, v8, v9
	s_delay_alu instid0(VALU_DEP_1) | instskip(SKIP_3) | instid1(SALU_CYCLE_1)
	v_cvt_f64_f32_e32 v[8:9], v8
	global_store_b64 v[10:11], v[8:9], off
	s_or_b32 exec_lo, exec_lo, s13
	s_and_b32 s14, s1, s4
	s_and_saveexec_b32 s13, s14
	s_cbranch_execz .LBB115_256
.LBB115_262:
	v_cmp_ne_u32_e32 vcc_lo, 1, v16
	s_cbranch_vccnz .LBB115_264
; %bb.263:
	v_lshlrev_b64 v[8:9], 3, v[2:3]
	s_delay_alu instid0(VALU_DEP_1) | instskip(NEXT) | instid1(VALU_DEP_2)
	v_add_co_u32 v8, vcc_lo, v14, v8
	v_add_co_ci_u32_e32 v9, vcc_lo, v15, v9, vcc_lo
	flat_load_b64 v[8:9], v[8:9]
	s_waitcnt vmcnt(0) lgkmcnt(0)
	v_mul_f64 v[8:9], v[8:9], s[10:11]
	s_branch .LBB115_265
.LBB115_264:
	v_mov_b32_e32 v8, 0
	v_mov_b32_e32 v9, 0
.LBB115_265:
	s_delay_alu instid0(VALU_DEP_1) | instskip(SKIP_2) | instid1(VALU_DEP_1)
	v_cvt_f32_f64_e32 v8, v[8:9]
	v_max_f32_e32 v9, v201, v201
	v_lshlrev_b64 v[10:11], 3, v[2:3]
	v_add_co_u32 v10, vcc_lo, v12, v10
	s_delay_alu instid0(VALU_DEP_2) | instskip(NEXT) | instid1(VALU_DEP_4)
	v_add_co_ci_u32_e32 v11, vcc_lo, v13, v11, vcc_lo
	v_min_f32_e32 v8, v8, v9
	s_delay_alu instid0(VALU_DEP_1) | instskip(SKIP_3) | instid1(SALU_CYCLE_1)
	v_cvt_f64_f32_e32 v[8:9], v8
	global_store_b64 v[10:11], v[8:9], off
	s_or_b32 exec_lo, exec_lo, s13
	s_and_b32 s14, s2, s4
	s_and_saveexec_b32 s13, s14
	s_cbranch_execz .LBB115_257
.LBB115_266:
	v_cmp_ne_u32_e32 vcc_lo, 1, v16
	s_cbranch_vccnz .LBB115_268
; %bb.267:
	v_lshlrev_b64 v[8:9], 3, v[4:5]
	s_delay_alu instid0(VALU_DEP_1) | instskip(NEXT) | instid1(VALU_DEP_2)
	v_add_co_u32 v8, vcc_lo, v14, v8
	v_add_co_ci_u32_e32 v9, vcc_lo, v15, v9, vcc_lo
	flat_load_b64 v[8:9], v[8:9]
	s_waitcnt vmcnt(0) lgkmcnt(0)
	v_mul_f64 v[8:9], v[8:9], s[10:11]
	s_branch .LBB115_269
.LBB115_268:
	v_mov_b32_e32 v8, 0
	v_mov_b32_e32 v9, 0
.LBB115_269:
	s_delay_alu instid0(VALU_DEP_1) | instskip(SKIP_2) | instid1(VALU_DEP_1)
	v_cvt_f32_f64_e32 v8, v[8:9]
	v_max_f32_e32 v9, v150, v150
	v_lshlrev_b64 v[10:11], 3, v[4:5]
	v_add_co_u32 v10, vcc_lo, v12, v10
	s_delay_alu instid0(VALU_DEP_2) | instskip(NEXT) | instid1(VALU_DEP_4)
	v_add_co_ci_u32_e32 v11, vcc_lo, v13, v11, vcc_lo
	v_min_f32_e32 v8, v8, v9
	s_delay_alu instid0(VALU_DEP_1) | instskip(SKIP_3) | instid1(SALU_CYCLE_1)
	v_cvt_f64_f32_e32 v[8:9], v8
	global_store_b64 v[10:11], v[8:9], off
	s_or_b32 exec_lo, exec_lo, s13
	s_and_b32 s13, s3, s4
	s_and_saveexec_b32 s4, s13
	s_cbranch_execz .LBB115_274
.LBB115_270:
	v_cmp_ne_u32_e32 vcc_lo, 1, v16
	s_cbranch_vccnz .LBB115_272
; %bb.271:
	v_lshlrev_b64 v[8:9], 3, v[6:7]
	s_delay_alu instid0(VALU_DEP_1) | instskip(NEXT) | instid1(VALU_DEP_2)
	v_add_co_u32 v8, vcc_lo, v14, v8
	v_add_co_ci_u32_e32 v9, vcc_lo, v15, v9, vcc_lo
	flat_load_b64 v[8:9], v[8:9]
	s_waitcnt vmcnt(0) lgkmcnt(0)
	v_mul_f64 v[8:9], v[8:9], s[10:11]
	s_branch .LBB115_273
.LBB115_272:
	v_mov_b32_e32 v8, 0
	v_mov_b32_e32 v9, 0
.LBB115_273:
	s_delay_alu instid0(VALU_DEP_1) | instskip(SKIP_2) | instid1(VALU_DEP_1)
	v_cvt_f32_f64_e32 v8, v[8:9]
	v_max_f32_e32 v9, v118, v118
	v_lshlrev_b64 v[10:11], 3, v[6:7]
	v_add_co_u32 v10, vcc_lo, v12, v10
	s_delay_alu instid0(VALU_DEP_2) | instskip(NEXT) | instid1(VALU_DEP_4)
	v_add_co_ci_u32_e32 v11, vcc_lo, v13, v11, vcc_lo
	v_min_f32_e32 v8, v8, v9
	s_delay_alu instid0(VALU_DEP_1)
	v_cvt_f64_f32_e32 v[8:9], v8
	global_store_b64 v[10:11], v[8:9], off
.LBB115_274:
	s_or_b32 exec_lo, exec_lo, s4
	v_add_nc_u32_e32 v12, 0x58, v17
	s_delay_alu instid0(VALU_DEP_1) | instskip(SKIP_2) | instid1(VALU_DEP_3)
	v_mad_i64_i32 v[8:9], null, v12, s6, 0
	v_mad_i64_i32 v[10:11], null, v12, s5, 0
	v_cmp_gt_i32_e64 s4, s17, v12
	v_lshlrev_b64 v[8:9], 3, v[8:9]
	s_delay_alu instid0(VALU_DEP_2) | instskip(NEXT) | instid1(VALU_DEP_3)
	s_and_b32 s14, s0, s4
	v_lshlrev_b64 v[10:11], 3, v[10:11]
	s_delay_alu instid0(VALU_DEP_2) | instskip(NEXT) | instid1(VALU_DEP_3)
	v_add_co_u32 v14, vcc_lo, s8, v8
	v_add_co_ci_u32_e32 v15, vcc_lo, s9, v9, vcc_lo
	s_delay_alu instid0(VALU_DEP_3) | instskip(NEXT) | instid1(VALU_DEP_4)
	v_add_co_u32 v12, vcc_lo, s7, v10
	v_add_co_ci_u32_e32 v13, vcc_lo, s12, v11, vcc_lo
	s_and_saveexec_b32 s13, s14
	s_cbranch_execnz .LBB115_278
; %bb.275:
	s_or_b32 exec_lo, exec_lo, s13
	s_and_b32 s14, s1, s4
	s_delay_alu instid0(SALU_CYCLE_1)
	s_and_saveexec_b32 s13, s14
	s_cbranch_execnz .LBB115_282
.LBB115_276:
	s_or_b32 exec_lo, exec_lo, s13
	s_and_b32 s14, s2, s4
	s_delay_alu instid0(SALU_CYCLE_1)
	s_and_saveexec_b32 s13, s14
	s_cbranch_execnz .LBB115_286
.LBB115_277:
	s_or_b32 exec_lo, exec_lo, s13
	s_and_b32 s13, s3, s4
	s_delay_alu instid0(SALU_CYCLE_1)
	s_and_saveexec_b32 s4, s13
	s_cbranch_execnz .LBB115_290
	s_branch .LBB115_294
.LBB115_278:
	v_cmp_ne_u32_e32 vcc_lo, 1, v16
	s_cbranch_vccnz .LBB115_280
; %bb.279:
	v_lshlrev_b64 v[8:9], 3, v[0:1]
	s_delay_alu instid0(VALU_DEP_1) | instskip(NEXT) | instid1(VALU_DEP_2)
	v_add_co_u32 v8, vcc_lo, v14, v8
	v_add_co_ci_u32_e32 v9, vcc_lo, v15, v9, vcc_lo
	flat_load_b64 v[8:9], v[8:9]
	s_waitcnt vmcnt(0) lgkmcnt(0)
	v_mul_f64 v[8:9], v[8:9], s[10:11]
	s_branch .LBB115_281
.LBB115_280:
	v_mov_b32_e32 v8, 0
	v_mov_b32_e32 v9, 0
.LBB115_281:
	s_delay_alu instid0(VALU_DEP_1) | instskip(SKIP_2) | instid1(VALU_DEP_1)
	v_cvt_f32_f64_e32 v8, v[8:9]
	v_max_f32_e32 v9, v117, v117
	v_lshlrev_b64 v[10:11], 3, v[0:1]
	v_add_co_u32 v10, vcc_lo, v12, v10
	s_delay_alu instid0(VALU_DEP_2) | instskip(NEXT) | instid1(VALU_DEP_4)
	v_add_co_ci_u32_e32 v11, vcc_lo, v13, v11, vcc_lo
	v_min_f32_e32 v8, v8, v9
	s_delay_alu instid0(VALU_DEP_1) | instskip(SKIP_3) | instid1(SALU_CYCLE_1)
	v_cvt_f64_f32_e32 v[8:9], v8
	global_store_b64 v[10:11], v[8:9], off
	s_or_b32 exec_lo, exec_lo, s13
	s_and_b32 s14, s1, s4
	s_and_saveexec_b32 s13, s14
	s_cbranch_execz .LBB115_276
.LBB115_282:
	v_cmp_ne_u32_e32 vcc_lo, 1, v16
	s_cbranch_vccnz .LBB115_284
; %bb.283:
	v_lshlrev_b64 v[8:9], 3, v[2:3]
	s_delay_alu instid0(VALU_DEP_1) | instskip(NEXT) | instid1(VALU_DEP_2)
	v_add_co_u32 v8, vcc_lo, v14, v8
	v_add_co_ci_u32_e32 v9, vcc_lo, v15, v9, vcc_lo
	flat_load_b64 v[8:9], v[8:9]
	s_waitcnt vmcnt(0) lgkmcnt(0)
	v_mul_f64 v[8:9], v[8:9], s[10:11]
	s_branch .LBB115_285
.LBB115_284:
	v_mov_b32_e32 v8, 0
	v_mov_b32_e32 v9, 0
.LBB115_285:
	s_delay_alu instid0(VALU_DEP_1) | instskip(SKIP_2) | instid1(VALU_DEP_1)
	v_cvt_f32_f64_e32 v8, v[8:9]
	v_max_f32_e32 v9, v20, v20
	v_lshlrev_b64 v[10:11], 3, v[2:3]
	v_add_co_u32 v10, vcc_lo, v12, v10
	s_delay_alu instid0(VALU_DEP_2) | instskip(NEXT) | instid1(VALU_DEP_4)
	v_add_co_ci_u32_e32 v11, vcc_lo, v13, v11, vcc_lo
	v_min_f32_e32 v8, v8, v9
	s_delay_alu instid0(VALU_DEP_1) | instskip(SKIP_3) | instid1(SALU_CYCLE_1)
	v_cvt_f64_f32_e32 v[8:9], v8
	global_store_b64 v[10:11], v[8:9], off
	s_or_b32 exec_lo, exec_lo, s13
	s_and_b32 s14, s2, s4
	s_and_saveexec_b32 s13, s14
	s_cbranch_execz .LBB115_277
.LBB115_286:
	v_cmp_ne_u32_e32 vcc_lo, 1, v16
	s_cbranch_vccnz .LBB115_288
; %bb.287:
	v_lshlrev_b64 v[8:9], 3, v[4:5]
	s_delay_alu instid0(VALU_DEP_1) | instskip(NEXT) | instid1(VALU_DEP_2)
	v_add_co_u32 v8, vcc_lo, v14, v8
	v_add_co_ci_u32_e32 v9, vcc_lo, v15, v9, vcc_lo
	flat_load_b64 v[8:9], v[8:9]
	s_waitcnt vmcnt(0) lgkmcnt(0)
	v_mul_f64 v[8:9], v[8:9], s[10:11]
	s_branch .LBB115_289
.LBB115_288:
	v_mov_b32_e32 v8, 0
	v_mov_b32_e32 v9, 0
.LBB115_289:
	s_delay_alu instid0(VALU_DEP_1) | instskip(SKIP_2) | instid1(VALU_DEP_1)
	v_cvt_f32_f64_e32 v8, v[8:9]
	v_max_f32_e32 v9, v59, v59
	v_lshlrev_b64 v[10:11], 3, v[4:5]
	v_add_co_u32 v10, vcc_lo, v12, v10
	s_delay_alu instid0(VALU_DEP_2) | instskip(NEXT) | instid1(VALU_DEP_4)
	v_add_co_ci_u32_e32 v11, vcc_lo, v13, v11, vcc_lo
	v_min_f32_e32 v8, v8, v9
	s_delay_alu instid0(VALU_DEP_1) | instskip(SKIP_3) | instid1(SALU_CYCLE_1)
	v_cvt_f64_f32_e32 v[8:9], v8
	global_store_b64 v[10:11], v[8:9], off
	s_or_b32 exec_lo, exec_lo, s13
	s_and_b32 s13, s3, s4
	s_and_saveexec_b32 s4, s13
	s_cbranch_execz .LBB115_294
.LBB115_290:
	v_cmp_ne_u32_e32 vcc_lo, 1, v16
	s_cbranch_vccnz .LBB115_292
; %bb.291:
	v_lshlrev_b64 v[8:9], 3, v[6:7]
	s_delay_alu instid0(VALU_DEP_1) | instskip(NEXT) | instid1(VALU_DEP_2)
	v_add_co_u32 v8, vcc_lo, v14, v8
	v_add_co_ci_u32_e32 v9, vcc_lo, v15, v9, vcc_lo
	flat_load_b64 v[8:9], v[8:9]
	s_waitcnt vmcnt(0) lgkmcnt(0)
	v_mul_f64 v[8:9], v[8:9], s[10:11]
	s_branch .LBB115_293
.LBB115_292:
	v_mov_b32_e32 v8, 0
	v_mov_b32_e32 v9, 0
.LBB115_293:
	s_delay_alu instid0(VALU_DEP_1) | instskip(SKIP_2) | instid1(VALU_DEP_1)
	v_cvt_f32_f64_e32 v8, v[8:9]
	v_max_f32_e32 v9, v223, v223
	v_lshlrev_b64 v[10:11], 3, v[6:7]
	v_add_co_u32 v10, vcc_lo, v12, v10
	s_delay_alu instid0(VALU_DEP_2) | instskip(NEXT) | instid1(VALU_DEP_4)
	v_add_co_ci_u32_e32 v11, vcc_lo, v13, v11, vcc_lo
	v_min_f32_e32 v8, v8, v9
	s_delay_alu instid0(VALU_DEP_1)
	v_cvt_f64_f32_e32 v[8:9], v8
	global_store_b64 v[10:11], v[8:9], off
.LBB115_294:
	s_or_b32 exec_lo, exec_lo, s4
	v_add_nc_u32_e32 v12, 0x60, v17
	s_delay_alu instid0(VALU_DEP_1) | instskip(SKIP_2) | instid1(VALU_DEP_3)
	v_mad_i64_i32 v[8:9], null, v12, s6, 0
	v_mad_i64_i32 v[10:11], null, v12, s5, 0
	v_cmp_gt_i32_e64 s4, s17, v12
	v_lshlrev_b64 v[8:9], 3, v[8:9]
	s_delay_alu instid0(VALU_DEP_2) | instskip(NEXT) | instid1(VALU_DEP_3)
	s_and_b32 s14, s0, s4
	v_lshlrev_b64 v[10:11], 3, v[10:11]
	s_delay_alu instid0(VALU_DEP_2) | instskip(NEXT) | instid1(VALU_DEP_3)
	v_add_co_u32 v14, vcc_lo, s8, v8
	v_add_co_ci_u32_e32 v15, vcc_lo, s9, v9, vcc_lo
	s_delay_alu instid0(VALU_DEP_3) | instskip(NEXT) | instid1(VALU_DEP_4)
	v_add_co_u32 v12, vcc_lo, s7, v10
	v_add_co_ci_u32_e32 v13, vcc_lo, s12, v11, vcc_lo
	s_and_saveexec_b32 s13, s14
	s_cbranch_execnz .LBB115_298
; %bb.295:
	s_or_b32 exec_lo, exec_lo, s13
	s_and_b32 s14, s1, s4
	s_delay_alu instid0(SALU_CYCLE_1)
	s_and_saveexec_b32 s13, s14
	s_cbranch_execnz .LBB115_302
.LBB115_296:
	s_or_b32 exec_lo, exec_lo, s13
	s_and_b32 s14, s2, s4
	s_delay_alu instid0(SALU_CYCLE_1)
	s_and_saveexec_b32 s13, s14
	s_cbranch_execnz .LBB115_306
.LBB115_297:
	s_or_b32 exec_lo, exec_lo, s13
	s_and_b32 s13, s3, s4
	s_delay_alu instid0(SALU_CYCLE_1)
	s_and_saveexec_b32 s4, s13
	s_cbranch_execnz .LBB115_310
	s_branch .LBB115_314
.LBB115_298:
	v_cmp_ne_u32_e32 vcc_lo, 1, v16
	s_cbranch_vccnz .LBB115_300
; %bb.299:
	v_lshlrev_b64 v[8:9], 3, v[0:1]
	s_delay_alu instid0(VALU_DEP_1) | instskip(NEXT) | instid1(VALU_DEP_2)
	v_add_co_u32 v8, vcc_lo, v14, v8
	v_add_co_ci_u32_e32 v9, vcc_lo, v15, v9, vcc_lo
	flat_load_b64 v[8:9], v[8:9]
	s_waitcnt vmcnt(0) lgkmcnt(0)
	v_mul_f64 v[8:9], v[8:9], s[10:11]
	s_branch .LBB115_301
.LBB115_300:
	v_mov_b32_e32 v8, 0
	v_mov_b32_e32 v9, 0
.LBB115_301:
	s_delay_alu instid0(VALU_DEP_1) | instskip(SKIP_2) | instid1(VALU_DEP_1)
	v_cvt_f32_f64_e32 v8, v[8:9]
	v_max_f32_e32 v9, v100, v100
	v_lshlrev_b64 v[10:11], 3, v[0:1]
	v_add_co_u32 v10, vcc_lo, v12, v10
	s_delay_alu instid0(VALU_DEP_2) | instskip(NEXT) | instid1(VALU_DEP_4)
	v_add_co_ci_u32_e32 v11, vcc_lo, v13, v11, vcc_lo
	v_min_f32_e32 v8, v8, v9
	s_delay_alu instid0(VALU_DEP_1) | instskip(SKIP_3) | instid1(SALU_CYCLE_1)
	v_cvt_f64_f32_e32 v[8:9], v8
	global_store_b64 v[10:11], v[8:9], off
	s_or_b32 exec_lo, exec_lo, s13
	s_and_b32 s14, s1, s4
	s_and_saveexec_b32 s13, s14
	s_cbranch_execz .LBB115_296
.LBB115_302:
	v_cmp_ne_u32_e32 vcc_lo, 1, v16
	s_cbranch_vccnz .LBB115_304
; %bb.303:
	v_lshlrev_b64 v[8:9], 3, v[2:3]
	s_delay_alu instid0(VALU_DEP_1) | instskip(NEXT) | instid1(VALU_DEP_2)
	v_add_co_u32 v8, vcc_lo, v14, v8
	v_add_co_ci_u32_e32 v9, vcc_lo, v15, v9, vcc_lo
	flat_load_b64 v[8:9], v[8:9]
	s_waitcnt vmcnt(0) lgkmcnt(0)
	v_mul_f64 v[8:9], v[8:9], s[10:11]
	s_branch .LBB115_305
.LBB115_304:
	v_mov_b32_e32 v8, 0
	v_mov_b32_e32 v9, 0
.LBB115_305:
	s_delay_alu instid0(VALU_DEP_1) | instskip(SKIP_2) | instid1(VALU_DEP_1)
	v_cvt_f32_f64_e32 v8, v[8:9]
	v_max_f32_e32 v9, v220, v220
	v_lshlrev_b64 v[10:11], 3, v[2:3]
	v_add_co_u32 v10, vcc_lo, v12, v10
	s_delay_alu instid0(VALU_DEP_2) | instskip(NEXT) | instid1(VALU_DEP_4)
	v_add_co_ci_u32_e32 v11, vcc_lo, v13, v11, vcc_lo
	v_min_f32_e32 v8, v8, v9
	s_delay_alu instid0(VALU_DEP_1) | instskip(SKIP_3) | instid1(SALU_CYCLE_1)
	v_cvt_f64_f32_e32 v[8:9], v8
	global_store_b64 v[10:11], v[8:9], off
	s_or_b32 exec_lo, exec_lo, s13
	s_and_b32 s14, s2, s4
	s_and_saveexec_b32 s13, s14
	s_cbranch_execz .LBB115_297
.LBB115_306:
	v_cmp_ne_u32_e32 vcc_lo, 1, v16
	s_cbranch_vccnz .LBB115_308
; %bb.307:
	v_lshlrev_b64 v[8:9], 3, v[4:5]
	s_delay_alu instid0(VALU_DEP_1) | instskip(NEXT) | instid1(VALU_DEP_2)
	v_add_co_u32 v8, vcc_lo, v14, v8
	v_add_co_ci_u32_e32 v9, vcc_lo, v15, v9, vcc_lo
	flat_load_b64 v[8:9], v[8:9]
	s_waitcnt vmcnt(0) lgkmcnt(0)
	v_mul_f64 v[8:9], v[8:9], s[10:11]
	s_branch .LBB115_309
.LBB115_308:
	v_mov_b32_e32 v8, 0
	v_mov_b32_e32 v9, 0
.LBB115_309:
	s_delay_alu instid0(VALU_DEP_1) | instskip(SKIP_2) | instid1(VALU_DEP_1)
	v_cvt_f32_f64_e32 v8, v[8:9]
	v_max_f32_e32 v9, v167, v167
	v_lshlrev_b64 v[10:11], 3, v[4:5]
	v_add_co_u32 v10, vcc_lo, v12, v10
	s_delay_alu instid0(VALU_DEP_2) | instskip(NEXT) | instid1(VALU_DEP_4)
	v_add_co_ci_u32_e32 v11, vcc_lo, v13, v11, vcc_lo
	v_min_f32_e32 v8, v8, v9
	s_delay_alu instid0(VALU_DEP_1) | instskip(SKIP_3) | instid1(SALU_CYCLE_1)
	v_cvt_f64_f32_e32 v[8:9], v8
	global_store_b64 v[10:11], v[8:9], off
	s_or_b32 exec_lo, exec_lo, s13
	s_and_b32 s13, s3, s4
	s_and_saveexec_b32 s4, s13
	s_cbranch_execz .LBB115_314
.LBB115_310:
	v_cmp_ne_u32_e32 vcc_lo, 1, v16
	s_cbranch_vccnz .LBB115_312
; %bb.311:
	v_lshlrev_b64 v[8:9], 3, v[6:7]
	s_delay_alu instid0(VALU_DEP_1) | instskip(NEXT) | instid1(VALU_DEP_2)
	v_add_co_u32 v8, vcc_lo, v14, v8
	v_add_co_ci_u32_e32 v9, vcc_lo, v15, v9, vcc_lo
	flat_load_b64 v[8:9], v[8:9]
	s_waitcnt vmcnt(0) lgkmcnt(0)
	v_mul_f64 v[8:9], v[8:9], s[10:11]
	s_branch .LBB115_313
.LBB115_312:
	v_mov_b32_e32 v8, 0
	v_mov_b32_e32 v9, 0
.LBB115_313:
	s_delay_alu instid0(VALU_DEP_1) | instskip(SKIP_2) | instid1(VALU_DEP_1)
	v_cvt_f32_f64_e32 v8, v[8:9]
	v_max_f32_e32 v9, v217, v217
	v_lshlrev_b64 v[10:11], 3, v[6:7]
	v_add_co_u32 v10, vcc_lo, v12, v10
	s_delay_alu instid0(VALU_DEP_2) | instskip(NEXT) | instid1(VALU_DEP_4)
	v_add_co_ci_u32_e32 v11, vcc_lo, v13, v11, vcc_lo
	v_min_f32_e32 v8, v8, v9
	s_delay_alu instid0(VALU_DEP_1)
	v_cvt_f64_f32_e32 v[8:9], v8
	global_store_b64 v[10:11], v[8:9], off
.LBB115_314:
	s_or_b32 exec_lo, exec_lo, s4
	v_add_nc_u32_e32 v12, 0x68, v17
	s_delay_alu instid0(VALU_DEP_1) | instskip(SKIP_2) | instid1(VALU_DEP_3)
	v_mad_i64_i32 v[8:9], null, v12, s6, 0
	v_mad_i64_i32 v[10:11], null, v12, s5, 0
	v_cmp_gt_i32_e64 s4, s17, v12
	v_lshlrev_b64 v[8:9], 3, v[8:9]
	s_delay_alu instid0(VALU_DEP_2) | instskip(NEXT) | instid1(VALU_DEP_3)
	s_and_b32 s14, s0, s4
	v_lshlrev_b64 v[10:11], 3, v[10:11]
	s_delay_alu instid0(VALU_DEP_2) | instskip(NEXT) | instid1(VALU_DEP_3)
	v_add_co_u32 v14, vcc_lo, s8, v8
	v_add_co_ci_u32_e32 v15, vcc_lo, s9, v9, vcc_lo
	s_delay_alu instid0(VALU_DEP_3) | instskip(NEXT) | instid1(VALU_DEP_4)
	v_add_co_u32 v12, vcc_lo, s7, v10
	v_add_co_ci_u32_e32 v13, vcc_lo, s12, v11, vcc_lo
	s_and_saveexec_b32 s13, s14
	s_cbranch_execnz .LBB115_318
; %bb.315:
	s_or_b32 exec_lo, exec_lo, s13
	s_and_b32 s14, s1, s4
	s_delay_alu instid0(SALU_CYCLE_1)
	s_and_saveexec_b32 s13, s14
	s_cbranch_execnz .LBB115_322
.LBB115_316:
	s_or_b32 exec_lo, exec_lo, s13
	s_and_b32 s14, s2, s4
	s_delay_alu instid0(SALU_CYCLE_1)
	s_and_saveexec_b32 s13, s14
	s_cbranch_execnz .LBB115_326
.LBB115_317:
	s_or_b32 exec_lo, exec_lo, s13
	s_and_b32 s13, s3, s4
	s_delay_alu instid0(SALU_CYCLE_1)
	s_and_saveexec_b32 s4, s13
	s_cbranch_execnz .LBB115_330
	s_branch .LBB115_334
.LBB115_318:
	v_cmp_ne_u32_e32 vcc_lo, 1, v16
	s_cbranch_vccnz .LBB115_320
; %bb.319:
	v_lshlrev_b64 v[8:9], 3, v[0:1]
	s_delay_alu instid0(VALU_DEP_1) | instskip(NEXT) | instid1(VALU_DEP_2)
	v_add_co_u32 v8, vcc_lo, v14, v8
	v_add_co_ci_u32_e32 v9, vcc_lo, v15, v9, vcc_lo
	flat_load_b64 v[8:9], v[8:9]
	s_waitcnt vmcnt(0) lgkmcnt(0)
	v_mul_f64 v[8:9], v[8:9], s[10:11]
	s_branch .LBB115_321
.LBB115_320:
	v_mov_b32_e32 v8, 0
	v_mov_b32_e32 v9, 0
.LBB115_321:
	s_delay_alu instid0(VALU_DEP_1) | instskip(SKIP_2) | instid1(VALU_DEP_1)
	v_cvt_f32_f64_e32 v8, v[8:9]
	v_max_f32_e32 v9, v228, v228
	v_lshlrev_b64 v[10:11], 3, v[0:1]
	v_add_co_u32 v10, vcc_lo, v12, v10
	s_delay_alu instid0(VALU_DEP_2) | instskip(NEXT) | instid1(VALU_DEP_4)
	v_add_co_ci_u32_e32 v11, vcc_lo, v13, v11, vcc_lo
	v_min_f32_e32 v8, v8, v9
	s_delay_alu instid0(VALU_DEP_1) | instskip(SKIP_3) | instid1(SALU_CYCLE_1)
	v_cvt_f64_f32_e32 v[8:9], v8
	global_store_b64 v[10:11], v[8:9], off
	s_or_b32 exec_lo, exec_lo, s13
	s_and_b32 s14, s1, s4
	s_and_saveexec_b32 s13, s14
	s_cbranch_execz .LBB115_316
.LBB115_322:
	v_cmp_ne_u32_e32 vcc_lo, 1, v16
	s_cbranch_vccnz .LBB115_324
; %bb.323:
	v_lshlrev_b64 v[8:9], 3, v[2:3]
	s_delay_alu instid0(VALU_DEP_1) | instskip(NEXT) | instid1(VALU_DEP_2)
	v_add_co_u32 v8, vcc_lo, v14, v8
	v_add_co_ci_u32_e32 v9, vcc_lo, v15, v9, vcc_lo
	flat_load_b64 v[8:9], v[8:9]
	s_waitcnt vmcnt(0) lgkmcnt(0)
	v_mul_f64 v[8:9], v[8:9], s[10:11]
	s_branch .LBB115_325
.LBB115_324:
	v_mov_b32_e32 v8, 0
	v_mov_b32_e32 v9, 0
.LBB115_325:
	s_delay_alu instid0(VALU_DEP_1) | instskip(SKIP_2) | instid1(VALU_DEP_1)
	v_cvt_f32_f64_e32 v8, v[8:9]
	v_max_f32_e32 v9, v221, v221
	v_lshlrev_b64 v[10:11], 3, v[2:3]
	v_add_co_u32 v10, vcc_lo, v12, v10
	s_delay_alu instid0(VALU_DEP_2) | instskip(NEXT) | instid1(VALU_DEP_4)
	v_add_co_ci_u32_e32 v11, vcc_lo, v13, v11, vcc_lo
	v_min_f32_e32 v8, v8, v9
	s_delay_alu instid0(VALU_DEP_1) | instskip(SKIP_3) | instid1(SALU_CYCLE_1)
	v_cvt_f64_f32_e32 v[8:9], v8
	global_store_b64 v[10:11], v[8:9], off
	s_or_b32 exec_lo, exec_lo, s13
	s_and_b32 s14, s2, s4
	s_and_saveexec_b32 s13, s14
	s_cbranch_execz .LBB115_317
.LBB115_326:
	v_cmp_ne_u32_e32 vcc_lo, 1, v16
	s_cbranch_vccnz .LBB115_328
; %bb.327:
	v_lshlrev_b64 v[8:9], 3, v[4:5]
	s_delay_alu instid0(VALU_DEP_1) | instskip(NEXT) | instid1(VALU_DEP_2)
	v_add_co_u32 v8, vcc_lo, v14, v8
	v_add_co_ci_u32_e32 v9, vcc_lo, v15, v9, vcc_lo
	flat_load_b64 v[8:9], v[8:9]
	s_waitcnt vmcnt(0) lgkmcnt(0)
	v_mul_f64 v[8:9], v[8:9], s[10:11]
	s_branch .LBB115_329
.LBB115_328:
	v_mov_b32_e32 v8, 0
	v_mov_b32_e32 v9, 0
.LBB115_329:
	s_delay_alu instid0(VALU_DEP_1) | instskip(SKIP_2) | instid1(VALU_DEP_1)
	v_cvt_f32_f64_e32 v8, v[8:9]
	v_max_f32_e32 v9, v165, v165
	v_lshlrev_b64 v[10:11], 3, v[4:5]
	v_add_co_u32 v10, vcc_lo, v12, v10
	s_delay_alu instid0(VALU_DEP_2) | instskip(NEXT) | instid1(VALU_DEP_4)
	v_add_co_ci_u32_e32 v11, vcc_lo, v13, v11, vcc_lo
	v_min_f32_e32 v8, v8, v9
	s_delay_alu instid0(VALU_DEP_1) | instskip(SKIP_3) | instid1(SALU_CYCLE_1)
	v_cvt_f64_f32_e32 v[8:9], v8
	global_store_b64 v[10:11], v[8:9], off
	s_or_b32 exec_lo, exec_lo, s13
	s_and_b32 s13, s3, s4
	s_and_saveexec_b32 s4, s13
	s_cbranch_execz .LBB115_334
.LBB115_330:
	v_cmp_ne_u32_e32 vcc_lo, 1, v16
	s_cbranch_vccnz .LBB115_332
; %bb.331:
	v_lshlrev_b64 v[8:9], 3, v[6:7]
	s_delay_alu instid0(VALU_DEP_1) | instskip(NEXT) | instid1(VALU_DEP_2)
	v_add_co_u32 v8, vcc_lo, v14, v8
	v_add_co_ci_u32_e32 v9, vcc_lo, v15, v9, vcc_lo
	flat_load_b64 v[8:9], v[8:9]
	s_waitcnt vmcnt(0) lgkmcnt(0)
	v_mul_f64 v[8:9], v[8:9], s[10:11]
	s_branch .LBB115_333
.LBB115_332:
	v_mov_b32_e32 v8, 0
	v_mov_b32_e32 v9, 0
.LBB115_333:
	s_delay_alu instid0(VALU_DEP_1) | instskip(SKIP_2) | instid1(VALU_DEP_1)
	v_cvt_f32_f64_e32 v8, v[8:9]
	v_max_f32_e32 v9, v226, v226
	v_lshlrev_b64 v[10:11], 3, v[6:7]
	v_add_co_u32 v10, vcc_lo, v12, v10
	s_delay_alu instid0(VALU_DEP_2) | instskip(NEXT) | instid1(VALU_DEP_4)
	v_add_co_ci_u32_e32 v11, vcc_lo, v13, v11, vcc_lo
	v_min_f32_e32 v8, v8, v9
	s_delay_alu instid0(VALU_DEP_1)
	v_cvt_f64_f32_e32 v[8:9], v8
	global_store_b64 v[10:11], v[8:9], off
.LBB115_334:
	s_or_b32 exec_lo, exec_lo, s4
	v_add_nc_u32_e32 v12, 0x70, v17
	s_delay_alu instid0(VALU_DEP_1) | instskip(SKIP_2) | instid1(VALU_DEP_3)
	v_mad_i64_i32 v[8:9], null, v12, s6, 0
	v_mad_i64_i32 v[10:11], null, v12, s5, 0
	v_cmp_gt_i32_e64 s4, s17, v12
	v_lshlrev_b64 v[8:9], 3, v[8:9]
	s_delay_alu instid0(VALU_DEP_2) | instskip(NEXT) | instid1(VALU_DEP_3)
	s_and_b32 s14, s0, s4
	v_lshlrev_b64 v[10:11], 3, v[10:11]
	s_delay_alu instid0(VALU_DEP_2) | instskip(NEXT) | instid1(VALU_DEP_3)
	v_add_co_u32 v12, vcc_lo, s8, v8
	v_add_co_ci_u32_e32 v13, vcc_lo, s9, v9, vcc_lo
	s_delay_alu instid0(VALU_DEP_3) | instskip(NEXT) | instid1(VALU_DEP_4)
	v_add_co_u32 v8, vcc_lo, s7, v10
	v_add_co_ci_u32_e32 v9, vcc_lo, s12, v11, vcc_lo
	s_and_saveexec_b32 s13, s14
	s_cbranch_execnz .LBB115_338
; %bb.335:
	s_or_b32 exec_lo, exec_lo, s13
	s_and_b32 s14, s1, s4
	s_delay_alu instid0(SALU_CYCLE_1)
	s_and_saveexec_b32 s13, s14
	s_cbranch_execnz .LBB115_342
.LBB115_336:
	s_or_b32 exec_lo, exec_lo, s13
	s_and_b32 s14, s2, s4
	s_delay_alu instid0(SALU_CYCLE_1)
	s_and_saveexec_b32 s13, s14
	s_cbranch_execnz .LBB115_346
.LBB115_337:
	s_or_b32 exec_lo, exec_lo, s13
	s_and_b32 s13, s3, s4
	s_delay_alu instid0(SALU_CYCLE_1)
	s_and_saveexec_b32 s4, s13
	s_cbranch_execnz .LBB115_350
	s_branch .LBB115_354
.LBB115_338:
	v_cmp_ne_u32_e32 vcc_lo, 1, v16
	s_cbranch_vccnz .LBB115_340
; %bb.339:
	v_lshlrev_b64 v[10:11], 3, v[0:1]
	s_delay_alu instid0(VALU_DEP_1) | instskip(NEXT) | instid1(VALU_DEP_2)
	v_add_co_u32 v10, vcc_lo, v12, v10
	v_add_co_ci_u32_e32 v11, vcc_lo, v13, v11, vcc_lo
	flat_load_b64 v[10:11], v[10:11]
	s_waitcnt vmcnt(0) lgkmcnt(0)
	v_mul_f64 v[10:11], v[10:11], s[10:11]
	s_delay_alu instid0(VALU_DEP_1)
	v_cvt_f32_f64_e32 v14, v[10:11]
	s_branch .LBB115_341
.LBB115_340:
	v_mov_b32_e32 v14, 0
.LBB115_341:
	s_delay_alu instid0(VALU_DEP_1) | instskip(SKIP_1) | instid1(VALU_DEP_2)
	v_dual_max_f32 v10, v213, v213 :: v_dual_max_f32 v11, v14, v14
	v_lshlrev_b64 v[14:15], 3, v[0:1]
	v_min_f32_e32 v10, v11, v10
	s_delay_alu instid0(VALU_DEP_2) | instskip(NEXT) | instid1(VALU_DEP_3)
	v_add_co_u32 v14, vcc_lo, v8, v14
	v_add_co_ci_u32_e32 v15, vcc_lo, v9, v15, vcc_lo
	s_delay_alu instid0(VALU_DEP_3) | instskip(SKIP_3) | instid1(SALU_CYCLE_1)
	v_cvt_f64_f32_e32 v[10:11], v10
	global_store_b64 v[14:15], v[10:11], off
	s_or_b32 exec_lo, exec_lo, s13
	s_and_b32 s14, s1, s4
	s_and_saveexec_b32 s13, s14
	s_cbranch_execz .LBB115_336
.LBB115_342:
	v_cmp_ne_u32_e32 vcc_lo, 1, v16
	s_cbranch_vccnz .LBB115_344
; %bb.343:
	v_lshlrev_b64 v[10:11], 3, v[2:3]
	s_delay_alu instid0(VALU_DEP_1) | instskip(NEXT) | instid1(VALU_DEP_2)
	v_add_co_u32 v10, vcc_lo, v12, v10
	v_add_co_ci_u32_e32 v11, vcc_lo, v13, v11, vcc_lo
	flat_load_b64 v[10:11], v[10:11]
	s_waitcnt vmcnt(0) lgkmcnt(0)
	v_mul_f64 v[10:11], v[10:11], s[10:11]
	s_delay_alu instid0(VALU_DEP_1)
	v_cvt_f32_f64_e32 v14, v[10:11]
	s_branch .LBB115_345
.LBB115_344:
	v_mov_b32_e32 v14, 0
.LBB115_345:
	s_delay_alu instid0(VALU_DEP_1) | instskip(SKIP_1) | instid1(VALU_DEP_2)
	v_dual_max_f32 v10, v215, v215 :: v_dual_max_f32 v11, v14, v14
	v_lshlrev_b64 v[14:15], 3, v[2:3]
	v_min_f32_e32 v10, v11, v10
	s_delay_alu instid0(VALU_DEP_2) | instskip(NEXT) | instid1(VALU_DEP_3)
	v_add_co_u32 v14, vcc_lo, v8, v14
	v_add_co_ci_u32_e32 v15, vcc_lo, v9, v15, vcc_lo
	s_delay_alu instid0(VALU_DEP_3) | instskip(SKIP_3) | instid1(SALU_CYCLE_1)
	v_cvt_f64_f32_e32 v[10:11], v10
	global_store_b64 v[14:15], v[10:11], off
	s_or_b32 exec_lo, exec_lo, s13
	s_and_b32 s14, s2, s4
	s_and_saveexec_b32 s13, s14
	s_cbranch_execz .LBB115_337
.LBB115_346:
	v_cmp_ne_u32_e32 vcc_lo, 1, v16
	s_cbranch_vccnz .LBB115_348
; %bb.347:
	v_lshlrev_b64 v[10:11], 3, v[4:5]
	s_delay_alu instid0(VALU_DEP_1) | instskip(NEXT) | instid1(VALU_DEP_2)
	v_add_co_u32 v10, vcc_lo, v12, v10
	v_add_co_ci_u32_e32 v11, vcc_lo, v13, v11, vcc_lo
	flat_load_b64 v[10:11], v[10:11]
	s_waitcnt vmcnt(0) lgkmcnt(0)
	v_mul_f64 v[10:11], v[10:11], s[10:11]
	s_delay_alu instid0(VALU_DEP_1)
	v_cvt_f32_f64_e32 v14, v[10:11]
	s_branch .LBB115_349
.LBB115_348:
	v_mov_b32_e32 v14, 0
.LBB115_349:
	s_delay_alu instid0(VALU_DEP_1) | instskip(SKIP_1) | instid1(VALU_DEP_2)
	v_dual_max_f32 v10, v211, v211 :: v_dual_max_f32 v11, v14, v14
	v_lshlrev_b64 v[14:15], 3, v[4:5]
	v_min_f32_e32 v10, v11, v10
	s_delay_alu instid0(VALU_DEP_2) | instskip(NEXT) | instid1(VALU_DEP_3)
	v_add_co_u32 v14, vcc_lo, v8, v14
	v_add_co_ci_u32_e32 v15, vcc_lo, v9, v15, vcc_lo
	s_delay_alu instid0(VALU_DEP_3) | instskip(SKIP_3) | instid1(SALU_CYCLE_1)
	v_cvt_f64_f32_e32 v[10:11], v10
	global_store_b64 v[14:15], v[10:11], off
	s_or_b32 exec_lo, exec_lo, s13
	s_and_b32 s13, s3, s4
	s_and_saveexec_b32 s4, s13
	s_cbranch_execz .LBB115_354
.LBB115_350:
	v_cmp_ne_u32_e32 vcc_lo, 1, v16
	s_cbranch_vccnz .LBB115_352
; %bb.351:
	v_lshlrev_b64 v[10:11], 3, v[6:7]
	s_delay_alu instid0(VALU_DEP_1) | instskip(NEXT) | instid1(VALU_DEP_2)
	v_add_co_u32 v10, vcc_lo, v12, v10
	v_add_co_ci_u32_e32 v11, vcc_lo, v13, v11, vcc_lo
	flat_load_b64 v[10:11], v[10:11]
	s_waitcnt vmcnt(0) lgkmcnt(0)
	v_mul_f64 v[10:11], v[10:11], s[10:11]
	s_delay_alu instid0(VALU_DEP_1)
	v_cvt_f32_f64_e32 v12, v[10:11]
	s_branch .LBB115_353
.LBB115_352:
	v_mov_b32_e32 v12, 0
.LBB115_353:
	s_delay_alu instid0(VALU_DEP_1) | instskip(SKIP_1) | instid1(VALU_DEP_2)
	v_dual_max_f32 v10, v210, v210 :: v_dual_max_f32 v11, v12, v12
	v_lshlrev_b64 v[12:13], 3, v[6:7]
	v_min_f32_e32 v10, v11, v10
	s_delay_alu instid0(VALU_DEP_2) | instskip(NEXT) | instid1(VALU_DEP_3)
	v_add_co_u32 v8, vcc_lo, v8, v12
	v_add_co_ci_u32_e32 v9, vcc_lo, v9, v13, vcc_lo
	s_delay_alu instid0(VALU_DEP_3)
	v_cvt_f64_f32_e32 v[10:11], v10
	global_store_b64 v[8:9], v[10:11], off
.LBB115_354:
	s_or_b32 exec_lo, exec_lo, s4
	v_add_nc_u32_e32 v12, 0x78, v17
	s_delay_alu instid0(VALU_DEP_1) | instskip(SKIP_2) | instid1(VALU_DEP_3)
	v_mad_i64_i32 v[8:9], null, v12, s6, 0
	v_mad_i64_i32 v[10:11], null, v12, s5, 0
	v_cmp_gt_i32_e64 s4, s17, v12
	v_lshlrev_b64 v[8:9], 3, v[8:9]
	s_delay_alu instid0(VALU_DEP_2) | instskip(NEXT) | instid1(VALU_DEP_3)
	s_and_b32 s5, s0, s4
	v_lshlrev_b64 v[13:14], 3, v[10:11]
	s_delay_alu instid0(VALU_DEP_2) | instskip(NEXT) | instid1(VALU_DEP_3)
	v_add_co_u32 v11, vcc_lo, s8, v8
	v_add_co_ci_u32_e32 v12, vcc_lo, s9, v9, vcc_lo
	s_delay_alu instid0(VALU_DEP_3) | instskip(NEXT) | instid1(VALU_DEP_4)
	v_add_co_u32 v8, vcc_lo, s7, v13
	v_add_co_ci_u32_e32 v9, vcc_lo, s12, v14, vcc_lo
	s_and_saveexec_b32 s0, s5
	s_cbranch_execnz .LBB115_359
; %bb.355:
	s_or_b32 exec_lo, exec_lo, s0
	s_and_b32 s1, s1, s4
	s_delay_alu instid0(SALU_CYCLE_1)
	s_and_saveexec_b32 s0, s1
	s_cbranch_execnz .LBB115_363
.LBB115_356:
	s_or_b32 exec_lo, exec_lo, s0
	s_and_b32 s1, s2, s4
	s_delay_alu instid0(SALU_CYCLE_1)
	s_and_saveexec_b32 s0, s1
	s_cbranch_execnz .LBB115_367
.LBB115_357:
	s_or_b32 exec_lo, exec_lo, s0
	s_and_b32 s0, s3, s4
	s_delay_alu instid0(SALU_CYCLE_1)
	s_and_saveexec_b32 s1, s0
	s_cbranch_execnz .LBB115_371
.LBB115_358:
	s_endpgm
.LBB115_359:
	v_cmp_ne_u32_e32 vcc_lo, 1, v16
	v_lshlrev_b64 v[0:1], 3, v[0:1]
	s_cbranch_vccnz .LBB115_361
; %bb.360:
	s_delay_alu instid0(VALU_DEP_1) | instskip(NEXT) | instid1(VALU_DEP_2)
	v_add_co_u32 v13, vcc_lo, v11, v0
	v_add_co_ci_u32_e32 v14, vcc_lo, v12, v1, vcc_lo
	flat_load_b64 v[13:14], v[13:14]
	s_waitcnt vmcnt(0) lgkmcnt(0)
	v_mul_f64 v[13:14], v[13:14], s[10:11]
	s_delay_alu instid0(VALU_DEP_1)
	v_cvt_f32_f64_e32 v13, v[13:14]
	s_branch .LBB115_362
.LBB115_361:
	v_mov_b32_e32 v13, 0
.LBB115_362:
	s_delay_alu instid0(VALU_DEP_1) | instskip(NEXT) | instid1(VALU_DEP_3)
	v_dual_max_f32 v10, v188, v188 :: v_dual_max_f32 v13, v13, v13
	v_add_co_u32 v0, vcc_lo, v8, v0
	s_delay_alu instid0(VALU_DEP_4) | instskip(NEXT) | instid1(VALU_DEP_3)
	v_add_co_ci_u32_e32 v1, vcc_lo, v9, v1, vcc_lo
	v_min_f32_e32 v10, v13, v10
	s_delay_alu instid0(VALU_DEP_1) | instskip(SKIP_3) | instid1(SALU_CYCLE_1)
	v_cvt_f64_f32_e32 v[13:14], v10
	global_store_b64 v[0:1], v[13:14], off
	s_or_b32 exec_lo, exec_lo, s0
	s_and_b32 s1, s1, s4
	s_and_saveexec_b32 s0, s1
	s_cbranch_execz .LBB115_356
.LBB115_363:
	v_cmp_ne_u32_e32 vcc_lo, 1, v16
	v_lshlrev_b64 v[0:1], 3, v[2:3]
	s_cbranch_vccnz .LBB115_365
; %bb.364:
	s_delay_alu instid0(VALU_DEP_1) | instskip(NEXT) | instid1(VALU_DEP_2)
	v_add_co_u32 v2, vcc_lo, v11, v0
	v_add_co_ci_u32_e32 v3, vcc_lo, v12, v1, vcc_lo
	flat_load_b64 v[2:3], v[2:3]
	s_waitcnt vmcnt(0) lgkmcnt(0)
	v_mul_f64 v[2:3], v[2:3], s[10:11]
	s_delay_alu instid0(VALU_DEP_1)
	v_cvt_f32_f64_e32 v2, v[2:3]
	s_branch .LBB115_366
.LBB115_365:
	v_mov_b32_e32 v2, 0
.LBB115_366:
	s_delay_alu instid0(VALU_DEP_1) | instskip(NEXT) | instid1(VALU_DEP_3)
	v_dual_max_f32 v3, v176, v176 :: v_dual_max_f32 v2, v2, v2
	v_add_co_u32 v0, vcc_lo, v8, v0
	s_delay_alu instid0(VALU_DEP_4) | instskip(NEXT) | instid1(VALU_DEP_3)
	v_add_co_ci_u32_e32 v1, vcc_lo, v9, v1, vcc_lo
	v_min_f32_e32 v2, v2, v3
	s_delay_alu instid0(VALU_DEP_1) | instskip(SKIP_3) | instid1(SALU_CYCLE_1)
	v_cvt_f64_f32_e32 v[2:3], v2
	global_store_b64 v[0:1], v[2:3], off
	s_or_b32 exec_lo, exec_lo, s0
	s_and_b32 s1, s2, s4
	s_and_saveexec_b32 s0, s1
	s_cbranch_execz .LBB115_357
.LBB115_367:
	v_cmp_ne_u32_e32 vcc_lo, 1, v16
	v_lshlrev_b64 v[0:1], 3, v[4:5]
	s_cbranch_vccnz .LBB115_369
; %bb.368:
	s_delay_alu instid0(VALU_DEP_1) | instskip(NEXT) | instid1(VALU_DEP_2)
	v_add_co_u32 v2, vcc_lo, v11, v0
	v_add_co_ci_u32_e32 v3, vcc_lo, v12, v1, vcc_lo
	flat_load_b64 v[2:3], v[2:3]
	s_waitcnt vmcnt(0) lgkmcnt(0)
	v_mul_f64 v[2:3], v[2:3], s[10:11]
	s_delay_alu instid0(VALU_DEP_1)
	v_cvt_f32_f64_e32 v2, v[2:3]
	s_branch .LBB115_370
.LBB115_369:
	v_mov_b32_e32 v2, 0
.LBB115_370:
	s_delay_alu instid0(VALU_DEP_1) | instskip(NEXT) | instid1(VALU_DEP_3)
	v_dual_max_f32 v3, v177, v177 :: v_dual_max_f32 v2, v2, v2
	v_add_co_u32 v0, vcc_lo, v8, v0
	s_delay_alu instid0(VALU_DEP_4) | instskip(NEXT) | instid1(VALU_DEP_3)
	v_add_co_ci_u32_e32 v1, vcc_lo, v9, v1, vcc_lo
	v_min_f32_e32 v2, v2, v3
	s_delay_alu instid0(VALU_DEP_1) | instskip(SKIP_3) | instid1(SALU_CYCLE_1)
	v_cvt_f64_f32_e32 v[2:3], v2
	global_store_b64 v[0:1], v[2:3], off
	s_or_b32 exec_lo, exec_lo, s0
	s_and_b32 s0, s3, s4
	s_and_saveexec_b32 s1, s0
	s_cbranch_execz .LBB115_358
.LBB115_371:
	v_cmp_ne_u32_e32 vcc_lo, 1, v16
	v_lshlrev_b64 v[0:1], 3, v[6:7]
	s_cbranch_vccnz .LBB115_373
; %bb.372:
	s_delay_alu instid0(VALU_DEP_1) | instskip(NEXT) | instid1(VALU_DEP_2)
	v_add_co_u32 v2, vcc_lo, v11, v0
	v_add_co_ci_u32_e32 v3, vcc_lo, v12, v1, vcc_lo
	flat_load_b64 v[2:3], v[2:3]
	s_waitcnt vmcnt(0) lgkmcnt(0)
	v_mul_f64 v[2:3], v[2:3], s[10:11]
	s_delay_alu instid0(VALU_DEP_1)
	v_cvt_f32_f64_e32 v2, v[2:3]
	s_branch .LBB115_374
.LBB115_373:
	v_mov_b32_e32 v2, 0
.LBB115_374:
	s_delay_alu instid0(VALU_DEP_1) | instskip(NEXT) | instid1(VALU_DEP_3)
	v_dual_max_f32 v3, v255, v255 :: v_dual_max_f32 v2, v2, v2
	v_add_co_u32 v0, vcc_lo, v8, v0
	s_delay_alu instid0(VALU_DEP_4) | instskip(NEXT) | instid1(VALU_DEP_3)
	v_add_co_ci_u32_e32 v1, vcc_lo, v9, v1, vcc_lo
	v_min_f32_e32 v2, v2, v3
	s_delay_alu instid0(VALU_DEP_1)
	v_cvt_f64_f32_e32 v[2:3], v2
	global_store_b64 v[0:1], v[2:3], off
	s_endpgm
	.section	.rodata,"a",@progbits
	.p2align	6, 0x0
	.amdhsa_kernel _ZN12_GLOBAL__N_120geam_min_plus_kernelId15HIP_vector_typeIdLj2EEdLi32ELi8ELi128ELi128ELi4ELi4ELi64ELi4ELi64ELc84ELc78ELb1ELb1ELb1EdKPKdKPdEEviiiT16_PT17_ilSA_ilS8_SA_ilPT18_ili26rocblas_geam_ex_operation_
		.amdhsa_group_segment_fixed_size 16384
		.amdhsa_private_segment_fixed_size 424
		.amdhsa_kernarg_size 136
		.amdhsa_user_sgpr_count 14
		.amdhsa_user_sgpr_dispatch_ptr 0
		.amdhsa_user_sgpr_queue_ptr 0
		.amdhsa_user_sgpr_kernarg_segment_ptr 1
		.amdhsa_user_sgpr_dispatch_id 0
		.amdhsa_user_sgpr_private_segment_size 0
		.amdhsa_wavefront_size32 1
		.amdhsa_uses_dynamic_stack 0
		.amdhsa_enable_private_segment 1
		.amdhsa_system_sgpr_workgroup_id_x 1
		.amdhsa_system_sgpr_workgroup_id_y 0
		.amdhsa_system_sgpr_workgroup_id_z 1
		.amdhsa_system_sgpr_workgroup_info 0
		.amdhsa_system_vgpr_workitem_id 1
		.amdhsa_next_free_vgpr 256
		.amdhsa_next_free_sgpr 29
		.amdhsa_reserve_vcc 1
		.amdhsa_float_round_mode_32 0
		.amdhsa_float_round_mode_16_64 0
		.amdhsa_float_denorm_mode_32 3
		.amdhsa_float_denorm_mode_16_64 3
		.amdhsa_dx10_clamp 1
		.amdhsa_ieee_mode 1
		.amdhsa_fp16_overflow 0
		.amdhsa_workgroup_processor_mode 1
		.amdhsa_memory_ordered 1
		.amdhsa_forward_progress 0
		.amdhsa_shared_vgpr_count 0
		.amdhsa_exception_fp_ieee_invalid_op 0
		.amdhsa_exception_fp_denorm_src 0
		.amdhsa_exception_fp_ieee_div_zero 0
		.amdhsa_exception_fp_ieee_overflow 0
		.amdhsa_exception_fp_ieee_underflow 0
		.amdhsa_exception_fp_ieee_inexact 0
		.amdhsa_exception_int_div_zero 0
	.end_amdhsa_kernel
	.section	.text._ZN12_GLOBAL__N_120geam_min_plus_kernelId15HIP_vector_typeIdLj2EEdLi32ELi8ELi128ELi128ELi4ELi4ELi64ELi4ELi64ELc84ELc78ELb1ELb1ELb1EdKPKdKPdEEviiiT16_PT17_ilSA_ilS8_SA_ilPT18_ili26rocblas_geam_ex_operation_,"axG",@progbits,_ZN12_GLOBAL__N_120geam_min_plus_kernelId15HIP_vector_typeIdLj2EEdLi32ELi8ELi128ELi128ELi4ELi4ELi64ELi4ELi64ELc84ELc78ELb1ELb1ELb1EdKPKdKPdEEviiiT16_PT17_ilSA_ilS8_SA_ilPT18_ili26rocblas_geam_ex_operation_,comdat
.Lfunc_end115:
	.size	_ZN12_GLOBAL__N_120geam_min_plus_kernelId15HIP_vector_typeIdLj2EEdLi32ELi8ELi128ELi128ELi4ELi4ELi64ELi4ELi64ELc84ELc78ELb1ELb1ELb1EdKPKdKPdEEviiiT16_PT17_ilSA_ilS8_SA_ilPT18_ili26rocblas_geam_ex_operation_, .Lfunc_end115-_ZN12_GLOBAL__N_120geam_min_plus_kernelId15HIP_vector_typeIdLj2EEdLi32ELi8ELi128ELi128ELi4ELi4ELi64ELi4ELi64ELc84ELc78ELb1ELb1ELb1EdKPKdKPdEEviiiT16_PT17_ilSA_ilS8_SA_ilPT18_ili26rocblas_geam_ex_operation_
                                        ; -- End function
	.section	.AMDGPU.csdata,"",@progbits
; Kernel info:
; codeLenInByte = 27736
; NumSgprs: 31
; NumVgprs: 256
; ScratchSize: 424
; MemoryBound: 0
; FloatMode: 240
; IeeeMode: 1
; LDSByteSize: 16384 bytes/workgroup (compile time only)
; SGPRBlocks: 3
; VGPRBlocks: 31
; NumSGPRsForWavesPerEU: 31
; NumVGPRsForWavesPerEU: 256
; Occupancy: 5
; WaveLimiterHint : 1
; COMPUTE_PGM_RSRC2:SCRATCH_EN: 1
; COMPUTE_PGM_RSRC2:USER_SGPR: 14
; COMPUTE_PGM_RSRC2:TRAP_HANDLER: 0
; COMPUTE_PGM_RSRC2:TGID_X_EN: 1
; COMPUTE_PGM_RSRC2:TGID_Y_EN: 0
; COMPUTE_PGM_RSRC2:TGID_Z_EN: 1
; COMPUTE_PGM_RSRC2:TIDIG_COMP_CNT: 1
	.section	.text._ZN12_GLOBAL__N_120geam_min_plus_kernelId15HIP_vector_typeIdLj2EEdLi32ELi8ELi128ELi128ELi4ELi4ELi64ELi4ELi64ELc84ELc78ELb0ELb1ELb1EdKPKdKPdEEviiiT16_PT17_ilSA_ilS8_SA_ilPT18_ili26rocblas_geam_ex_operation_,"axG",@progbits,_ZN12_GLOBAL__N_120geam_min_plus_kernelId15HIP_vector_typeIdLj2EEdLi32ELi8ELi128ELi128ELi4ELi4ELi64ELi4ELi64ELc84ELc78ELb0ELb1ELb1EdKPKdKPdEEviiiT16_PT17_ilSA_ilS8_SA_ilPT18_ili26rocblas_geam_ex_operation_,comdat
	.globl	_ZN12_GLOBAL__N_120geam_min_plus_kernelId15HIP_vector_typeIdLj2EEdLi32ELi8ELi128ELi128ELi4ELi4ELi64ELi4ELi64ELc84ELc78ELb0ELb1ELb1EdKPKdKPdEEviiiT16_PT17_ilSA_ilS8_SA_ilPT18_ili26rocblas_geam_ex_operation_ ; -- Begin function _ZN12_GLOBAL__N_120geam_min_plus_kernelId15HIP_vector_typeIdLj2EEdLi32ELi8ELi128ELi128ELi4ELi4ELi64ELi4ELi64ELc84ELc78ELb0ELb1ELb1EdKPKdKPdEEviiiT16_PT17_ilSA_ilS8_SA_ilPT18_ili26rocblas_geam_ex_operation_
	.p2align	8
	.type	_ZN12_GLOBAL__N_120geam_min_plus_kernelId15HIP_vector_typeIdLj2EEdLi32ELi8ELi128ELi128ELi4ELi4ELi64ELi4ELi64ELc84ELc78ELb0ELb1ELb1EdKPKdKPdEEviiiT16_PT17_ilSA_ilS8_SA_ilPT18_ili26rocblas_geam_ex_operation_,@function
_ZN12_GLOBAL__N_120geam_min_plus_kernelId15HIP_vector_typeIdLj2EEdLi32ELi8ELi128ELi128ELi4ELi4ELi64ELi4ELi64ELc84ELc78ELb0ELb1ELb1EdKPKdKPdEEviiiT16_PT17_ilSA_ilS8_SA_ilPT18_ili26rocblas_geam_ex_operation_: ; @_ZN12_GLOBAL__N_120geam_min_plus_kernelId15HIP_vector_typeIdLj2EEdLi32ELi8ELi128ELi128ELi4ELi4ELi64ELi4ELi64ELc84ELc78ELb0ELb1ELb1EdKPKdKPdEEviiiT16_PT17_ilSA_ilS8_SA_ilPT18_ili26rocblas_geam_ex_operation_
; %bb.0:
	s_clause 0x1
	s_load_b128 s[20:23], s[0:1], 0x10
	s_load_b128 s[4:7], s[0:1], 0x28
	s_mov_b32 s2, s15
	s_mov_b64 s[24:25], 0
	s_waitcnt lgkmcnt(0)
	v_cmp_eq_f64_e64 s15, s[20:21], 0
	s_delay_alu instid0(VALU_DEP_1)
	s_and_b32 vcc_lo, exec_lo, s15
	s_cbranch_vccnz .LBB116_2
; %bb.1:
	s_mov_b32 s3, 0
	s_delay_alu instid0(SALU_CYCLE_1) | instskip(NEXT) | instid1(SALU_CYCLE_1)
	s_lshl_b64 s[8:9], s[2:3], 3
	s_add_u32 s8, s22, s8
	s_addc_u32 s9, s23, s9
	s_lshl_b64 s[4:5], s[4:5], 3
	s_load_b64 s[8:9], s[8:9], 0x0
	s_waitcnt lgkmcnt(0)
	s_add_u32 s24, s8, s4
	s_addc_u32 s25, s9, s5
.LBB116_2:
	s_clause 0x1
	s_load_b128 s[8:11], s[0:1], 0x40
	s_load_b64 s[12:13], s[0:1], 0x50
	s_and_not1_b32 vcc_lo, exec_lo, s15
	s_cbranch_vccnz .LBB116_4
; %bb.3:
	s_mov_b32 s3, 0
	s_mov_b64 s[22:23], 0
	s_cbranch_execz .LBB116_5
	s_branch .LBB116_6
.LBB116_4:
	s_mov_b32 s3, -1
                                        ; implicit-def: $sgpr22_sgpr23
.LBB116_5:
	s_mov_b32 s3, 0
	s_delay_alu instid0(SALU_CYCLE_1) | instskip(NEXT) | instid1(SALU_CYCLE_1)
	s_lshl_b64 s[4:5], s[2:3], 3
	s_add_u32 s4, s6, s4
	s_addc_u32 s5, s7, s5
	s_waitcnt lgkmcnt(0)
	s_lshl_b64 s[6:7], s[8:9], 3
	s_load_b64 s[4:5], s[4:5], 0x0
	s_waitcnt lgkmcnt(0)
	s_add_u32 s22, s4, s6
	s_addc_u32 s23, s5, s7
.LBB116_6:
	s_waitcnt lgkmcnt(0)
	v_cmp_eq_f64_e64 s8, s[10:11], 0
	v_cmp_neq_f64_e64 s15, s[10:11], 0
	s_load_b128 s[4:7], s[0:1], 0x60
	s_delay_alu instid0(VALU_DEP_2)
	s_and_b32 vcc_lo, exec_lo, s8
	s_mov_b64 s[8:9], 0
	s_cbranch_vccnz .LBB116_8
; %bb.7:
	s_lshl_b64 s[8:9], s[2:3], 3
	s_delay_alu instid0(SALU_CYCLE_1)
	s_add_u32 s8, s12, s8
	s_addc_u32 s9, s13, s9
	s_waitcnt lgkmcnt(0)
	s_lshl_b64 s[4:5], s[4:5], 3
	s_load_b64 s[8:9], s[8:9], 0x0
	s_waitcnt lgkmcnt(0)
	s_add_u32 s8, s8, s4
	s_addc_u32 s9, s9, s5
.LBB116_8:
	s_clause 0x1
	s_load_b128 s[16:19], s[0:1], 0x0
	s_load_b32 s28, s[0:1], 0x20
	s_lshl_b64 s[2:3], s[2:3], 3
	v_and_b32_e32 v91, 0x3ff, v0
	s_waitcnt lgkmcnt(0)
	s_add_u32 s2, s6, s2
	s_addc_u32 s3, s7, s3
	v_cmp_eq_f64_e64 s19, s[20:21], 0
	v_bfe_u32 v16, v0, 10, 10
	v_and_b32_e32 v2, 3, v91
	scratch_store_b32 off, v2, off offset:364 ; 4-byte Folded Spill
	s_add_i32 s4, s16, -1
	v_cmp_le_i32_e32 vcc_lo, s18, v2
	s_ashr_i32 s5, s4, 31
	s_delay_alu instid0(SALU_CYCLE_1) | instskip(NEXT) | instid1(SALU_CYCLE_1)
	s_lshr_b32 s5, s5, 25
	s_add_i32 s4, s4, s5
	s_delay_alu instid0(SALU_CYCLE_1) | instskip(NEXT) | instid1(SALU_CYCLE_1)
	s_ashr_i32 s4, s4, 7
	s_add_i32 s6, s4, 1
	s_not_b32 s4, s4
	v_cvt_f32_u32_e32 v1, s6
	s_delay_alu instid0(VALU_DEP_1) | instskip(SKIP_2) | instid1(VALU_DEP_1)
	v_rcp_iflag_f32_e32 v1, v1
	s_waitcnt_depctr 0xfff
	v_mul_f32_e32 v1, 0x4f7ffffe, v1
	v_cvt_u32_f32_e32 v1, v1
	s_delay_alu instid0(VALU_DEP_1) | instskip(SKIP_1) | instid1(VALU_DEP_2)
	v_readfirstlane_b32 s5, v1
	v_lshl_add_u32 v1, v16, 5, v91
	s_mul_i32 s4, s4, s5
	s_delay_alu instid0(VALU_DEP_1) | instskip(SKIP_1) | instid1(SALU_CYCLE_1)
	v_lshrrev_b32_e32 v20, 2, v1
	s_mul_hi_u32 s4, s5, s4
	s_add_i32 s5, s5, s4
	s_delay_alu instid0(SALU_CYCLE_1) | instskip(NEXT) | instid1(SALU_CYCLE_1)
	s_mul_hi_u32 s4, s14, s5
	s_mul_i32 s5, s4, s6
	s_add_i32 s7, s4, 1
	s_sub_i32 s5, s14, s5
	s_delay_alu instid0(SALU_CYCLE_1)
	s_sub_i32 s12, s5, s6
	s_cmp_ge_u32 s5, s6
	s_cselect_b32 s4, s7, s4
	s_cselect_b32 s5, s12, s5
	s_add_i32 s7, s4, 1
	s_cmp_ge_u32 s5, s6
	s_load_b64 s[12:13], s[2:3], 0x0
	s_cselect_b32 s5, s7, s4
	s_add_i32 s26, s18, -1
	s_mul_i32 s4, s5, s6
	v_min_i32_e32 v0, s26, v2
	s_sub_i32 s4, s14, s4
	s_delay_alu instid0(SALU_CYCLE_1) | instskip(NEXT) | instid1(VALU_DEP_1)
	s_lshl_b32 s7, s4, 7
	v_ashrrev_i32_e32 v1, 31, v0
	v_add_nc_u32_e32 v227, s7, v20
	s_delay_alu instid0(VALU_DEP_2) | instskip(NEXT) | instid1(VALU_DEP_2)
	v_lshlrev_b64 v[4:5], 3, v[0:1]
	v_cmp_le_i32_e64 s2, s16, v227
	s_delay_alu instid0(VALU_DEP_2) | instskip(NEXT) | instid1(VALU_DEP_1)
	v_add_co_u32 v6, s3, s24, v4
	v_add_co_ci_u32_e64 v7, s3, s25, v5, s3
	s_delay_alu instid0(VALU_DEP_3) | instskip(NEXT) | instid1(SALU_CYCLE_1)
	s_or_b32 s3, vcc_lo, s2
	v_cndmask_b32_e64 v1, 0, 0x7fefffff, s3
	v_cndmask_b32_e64 v0, 0, -1, s3
	s_or_b32 s3, s19, s3
	s_delay_alu instid0(SALU_CYCLE_1) | instskip(NEXT) | instid1(SALU_CYCLE_1)
	s_xor_b32 s3, s3, -1
	s_and_saveexec_b32 s4, s3
	s_cbranch_execz .LBB116_10
; %bb.9:
	v_mad_i64_i32 v[0:1], null, v227, s28, 0
	s_delay_alu instid0(VALU_DEP_1) | instskip(NEXT) | instid1(VALU_DEP_1)
	v_lshlrev_b64 v[0:1], 3, v[0:1]
	v_add_co_u32 v0, s3, v6, v0
	s_delay_alu instid0(VALU_DEP_1)
	v_add_co_ci_u32_e64 v1, s3, v7, v1, s3
	flat_load_b64 v[0:1], v[0:1]
	s_waitcnt vmcnt(0) lgkmcnt(0)
	v_mul_f64 v[0:1], v[0:1], s[20:21]
.LBB116_10:
	s_or_b32 exec_lo, exec_lo, s4
	v_add_nc_u32_e32 v229, 64, v227
	s_delay_alu instid0(VALU_DEP_1) | instskip(NEXT) | instid1(VALU_DEP_1)
	v_cmp_le_i32_e64 s3, s16, v229
	s_or_b32 s4, vcc_lo, s3
	s_delay_alu instid0(SALU_CYCLE_1) | instskip(SKIP_2) | instid1(SALU_CYCLE_1)
	v_cndmask_b32_e64 v3, 0, 0x7fefffff, s4
	v_cndmask_b32_e64 v2, 0, -1, s4
	s_or_b32 s4, s19, s4
	s_xor_b32 s4, s4, -1
	s_delay_alu instid0(SALU_CYCLE_1)
	s_and_saveexec_b32 s6, s4
	s_cbranch_execz .LBB116_12
; %bb.11:
	v_mad_i64_i32 v[2:3], null, v229, s28, 0
	s_delay_alu instid0(VALU_DEP_1) | instskip(NEXT) | instid1(VALU_DEP_1)
	v_lshlrev_b64 v[2:3], 3, v[2:3]
	v_add_co_u32 v2, s4, v6, v2
	s_delay_alu instid0(VALU_DEP_1)
	v_add_co_ci_u32_e64 v3, s4, v7, v3, s4
	flat_load_b64 v[2:3], v[2:3]
	s_waitcnt vmcnt(0) lgkmcnt(0)
	v_mul_f64 v[2:3], v[2:3], s[20:21]
.LBB116_12:
	s_or_b32 exec_lo, exec_lo, s6
	s_load_b32 s29, s[0:1], 0x38
	s_lshl_b32 s14, s5, 7
	v_add_co_u32 v8, s5, s22, v4
	v_add_nc_u32_e32 v97, s14, v20
	v_add_co_ci_u32_e64 v9, s5, s23, v5, s5
	s_delay_alu instid0(VALU_DEP_2) | instskip(NEXT) | instid1(VALU_DEP_1)
	v_cmp_le_i32_e64 s4, s17, v97
	s_or_b32 s5, vcc_lo, s4
	s_delay_alu instid0(SALU_CYCLE_1) | instskip(SKIP_2) | instid1(SALU_CYCLE_1)
	v_cndmask_b32_e64 v5, 0, 0x7fefffff, s5
	v_cndmask_b32_e64 v4, 0, -1, s5
	s_or_b32 s5, s19, s5
	s_xor_b32 s5, s5, -1
	s_delay_alu instid0(SALU_CYCLE_1)
	s_and_saveexec_b32 s6, s5
	s_cbranch_execz .LBB116_14
; %bb.13:
	s_waitcnt lgkmcnt(0)
	v_mad_i64_i32 v[4:5], null, v97, s29, 0
	s_delay_alu instid0(VALU_DEP_1) | instskip(NEXT) | instid1(VALU_DEP_1)
	v_lshlrev_b64 v[4:5], 3, v[4:5]
	v_add_co_u32 v4, s5, v8, v4
	s_delay_alu instid0(VALU_DEP_1)
	v_add_co_ci_u32_e64 v5, s5, v9, v5, s5
	flat_load_b64 v[4:5], v[4:5]
	s_waitcnt vmcnt(0) lgkmcnt(0)
	v_mul_f64 v[4:5], v[4:5], s[20:21]
.LBB116_14:
	s_or_b32 exec_lo, exec_lo, s6
	v_add_nc_u32_e32 v231, 64, v97
	s_delay_alu instid0(VALU_DEP_1) | instskip(NEXT) | instid1(VALU_DEP_1)
	v_cmp_le_i32_e64 s5, s17, v231
	s_or_b32 s6, vcc_lo, s5
	s_delay_alu instid0(SALU_CYCLE_1) | instskip(SKIP_2) | instid1(SALU_CYCLE_1)
	v_cndmask_b32_e64 v7, 0, 0x7fefffff, s6
	v_cndmask_b32_e64 v6, 0, -1, s6
	s_or_b32 s6, s19, s6
	s_xor_b32 s27, s6, -1
	s_delay_alu instid0(SALU_CYCLE_1)
	s_and_saveexec_b32 s6, s27
	s_cbranch_execz .LBB116_16
; %bb.15:
	s_waitcnt lgkmcnt(0)
	v_mad_i64_i32 v[6:7], null, v231, s29, 0
	s_delay_alu instid0(VALU_DEP_1) | instskip(NEXT) | instid1(VALU_DEP_1)
	v_lshlrev_b64 v[6:7], 3, v[6:7]
	v_add_co_u32 v6, vcc_lo, v8, v6
	s_delay_alu instid0(VALU_DEP_2)
	v_add_co_ci_u32_e32 v7, vcc_lo, v9, v7, vcc_lo
	flat_load_b64 v[6:7], v[6:7]
	s_waitcnt vmcnt(0) lgkmcnt(0)
	v_mul_f64 v[6:7], v[6:7], s[20:21]
.LBB116_16:
	s_or_b32 exec_lo, exec_lo, s6
	v_and_b32_e32 v8, 3, v91
	s_delay_alu instid0(VALU_DEP_1) | instskip(NEXT) | instid1(VALU_DEP_1)
	v_or_b32_e32 v10, 4, v8
	v_min_i32_e32 v8, s26, v10
	v_cmp_le_i32_e32 vcc_lo, s18, v10
	s_delay_alu instid0(VALU_DEP_2) | instskip(SKIP_1) | instid1(VALU_DEP_1)
	v_ashrrev_i32_e32 v9, 31, v8
	s_or_b32 s27, vcc_lo, s2
	v_lshlrev_b64 v[12:13], 3, v[8:9]
	v_cndmask_b32_e64 v9, 0, 0x7fefffff, s27
	v_cndmask_b32_e64 v8, 0, -1, s27
	s_delay_alu instid0(VALU_DEP_3) | instskip(NEXT) | instid1(VALU_DEP_1)
	v_add_co_u32 v14, s6, s24, v12
	v_add_co_ci_u32_e64 v15, s6, s25, v13, s6
	s_or_b32 s6, s19, s27
	s_delay_alu instid0(SALU_CYCLE_1) | instskip(NEXT) | instid1(SALU_CYCLE_1)
	s_xor_b32 s6, s6, -1
	s_and_saveexec_b32 s27, s6
	s_cbranch_execz .LBB116_18
; %bb.17:
	v_mad_i64_i32 v[8:9], null, v227, s28, 0
	s_delay_alu instid0(VALU_DEP_1) | instskip(NEXT) | instid1(VALU_DEP_1)
	v_lshlrev_b64 v[8:9], 3, v[8:9]
	v_add_co_u32 v8, s6, v14, v8
	s_delay_alu instid0(VALU_DEP_1)
	v_add_co_ci_u32_e64 v9, s6, v15, v9, s6
	flat_load_b64 v[8:9], v[8:9]
	s_waitcnt vmcnt(0) lgkmcnt(0)
	v_mul_f64 v[8:9], v[8:9], s[20:21]
.LBB116_18:
	s_or_b32 exec_lo, exec_lo, s27
	s_or_b32 s6, vcc_lo, s3
	scratch_store_b64 off, v[8:9], off offset:300 ; 8-byte Folded Spill
	v_cndmask_b32_e64 v9, 0, 0x7fefffff, s6
	v_cndmask_b32_e64 v8, 0, -1, s6
	s_or_b32 s6, s19, s6
	s_delay_alu instid0(SALU_CYCLE_1) | instskip(NEXT) | instid1(SALU_CYCLE_1)
	s_xor_b32 s6, s6, -1
	s_and_saveexec_b32 s27, s6
	s_cbranch_execz .LBB116_20
; %bb.19:
	v_mad_i64_i32 v[10:11], null, v229, s28, 0
	s_delay_alu instid0(VALU_DEP_1) | instskip(NEXT) | instid1(VALU_DEP_1)
	v_lshlrev_b64 v[10:11], 3, v[10:11]
	v_add_co_u32 v10, s6, v14, v10
	s_delay_alu instid0(VALU_DEP_1)
	v_add_co_ci_u32_e64 v11, s6, v15, v11, s6
	flat_load_b64 v[10:11], v[10:11]
	s_waitcnt vmcnt(0) lgkmcnt(0)
	v_mul_f64 v[8:9], v[10:11], s[20:21]
.LBB116_20:
	s_or_b32 exec_lo, exec_lo, s27
	v_add_co_u32 v21, s6, s22, v12
	s_delay_alu instid0(VALU_DEP_1) | instskip(SKIP_1) | instid1(SALU_CYCLE_1)
	v_add_co_ci_u32_e64 v22, s6, s23, v13, s6
	s_or_b32 s6, vcc_lo, s4
	v_cndmask_b32_e64 v11, 0, 0x7fefffff, s6
	v_cndmask_b32_e64 v10, 0, -1, s6
	s_or_b32 s6, s19, s6
	s_delay_alu instid0(SALU_CYCLE_1) | instskip(NEXT) | instid1(SALU_CYCLE_1)
	s_xor_b32 s6, s6, -1
	s_and_saveexec_b32 s27, s6
	s_cbranch_execz .LBB116_22
; %bb.21:
	s_waitcnt lgkmcnt(0)
	v_mad_i64_i32 v[12:13], null, v97, s29, 0
	s_delay_alu instid0(VALU_DEP_1) | instskip(NEXT) | instid1(VALU_DEP_1)
	v_lshlrev_b64 v[12:13], 3, v[12:13]
	v_add_co_u32 v12, s6, v21, v12
	s_delay_alu instid0(VALU_DEP_1)
	v_add_co_ci_u32_e64 v13, s6, v22, v13, s6
	flat_load_b64 v[12:13], v[12:13]
	s_waitcnt vmcnt(0) lgkmcnt(0)
	v_mul_f64 v[10:11], v[12:13], s[20:21]
.LBB116_22:
	s_or_b32 exec_lo, exec_lo, s27
	s_or_b32 s6, vcc_lo, s5
	s_clause 0x1
	scratch_store_b64 off, v[10:11], off offset:320
	scratch_store_b64 off, v[8:9], off offset:308
	v_cndmask_b32_e64 v9, 0, 0x7fefffff, s6
	v_cndmask_b32_e64 v8, 0, -1, s6
	s_or_b32 s27, s19, s6
	s_mov_b32 s6, -1
	s_xor_b32 s30, s27, -1
	s_delay_alu instid0(SALU_CYCLE_1)
	s_and_saveexec_b32 s27, s30
	s_cbranch_execz .LBB116_24
; %bb.23:
	s_waitcnt lgkmcnt(0)
	v_mad_i64_i32 v[14:15], null, v231, s29, 0
	s_delay_alu instid0(VALU_DEP_1) | instskip(NEXT) | instid1(VALU_DEP_1)
	v_lshlrev_b64 v[14:15], 3, v[14:15]
	v_add_co_u32 v14, vcc_lo, v21, v14
	s_delay_alu instid0(VALU_DEP_2)
	v_add_co_ci_u32_e32 v15, vcc_lo, v22, v15, vcc_lo
	flat_load_b64 v[14:15], v[14:15]
	s_waitcnt vmcnt(0) lgkmcnt(0)
	v_mul_f64 v[8:9], v[14:15], s[20:21]
.LBB116_24:
	s_or_b32 exec_lo, exec_lo, s27
	scratch_store_b64 off, v[8:9], off offset:328 ; 8-byte Folded Spill
	v_dual_mov_b32 v205, 0x7f800000 :: v_dual_and_b32 v8, 3, v91
	v_dual_mov_b32 v206, 0x7f800000 :: v_dual_mov_b32 v209, 0x7f800000
	s_delay_alu instid0(VALU_DEP_2) | instskip(SKIP_2) | instid1(VALU_DEP_3)
	v_dual_mov_b32 v207, 0x7f800000 :: v_dual_lshlrev_b32 v8, 3, v8
	v_dual_mov_b32 v208, 0x7f800000 :: v_dual_mov_b32 v213, 0x7f800000
	v_dual_mov_b32 v210, 0x7f800000 :: v_dual_mov_b32 v211, 0x7f800000
	v_lshl_or_b32 v8, v20, 5, v8
	v_dual_mov_b32 v212, 0x7f800000 :: v_dual_mov_b32 v223, 0x7f800000
	v_dual_mov_b32 v228, 0x7f800000 :: v_dual_mov_b32 v255, 0x7f800000
	ds_store_2addr_stride64_b64 v8, v[0:1], v[2:3] offset1:4
	v_add_nc_u32_e32 v0, 0x2000, v8
	v_dual_mov_b32 v233, 0x7f800000 :: v_dual_mov_b32 v218, 0x7f800000
	v_dual_mov_b32 v253, 0x7f800000 :: v_dual_mov_b32 v222, 0x7f800000
	;; [unrolled: 1-line block ×24, first 2 shown]
	v_mov_b32_e32 v170, 0x7f800000
	v_mov_b32_e32 v176, 0x7f800000
	;; [unrolled: 1-line block ×4, first 2 shown]
	s_mov_b32 s27, 0
	s_clause 0x1
	scratch_store_b32 off, v0, off offset:368
	scratch_store_b32 off, v8, off offset:360
	ds_store_2addr_stride64_b64 v8, v[4:5], v[6:7] offset0:16 offset1:20
	s_waitcnt lgkmcnt(0)
	s_waitcnt_vscnt null, 0x0
	s_barrier
	buffer_gl0_inv
	s_clause 0x1
	scratch_store_b32 off, v91, off offset:316
	scratch_store_b32 off, v16, off
.LBB116_25:                             ; =>This Inner Loop Header: Depth=1
	s_lshl_b32 s27, s27, 3
	v_dual_mov_b32 v225, v219 :: v_dual_mov_b32 v98, v233
	v_lshl_add_u32 v20, v16, 5, s27
	v_lshl_add_u32 v8, v91, 5, s27
	v_mov_b32_e32 v219, v111
	s_mov_b32 s27, 2
	ds_load_b128 v[21:24], v20 offset:8192
	ds_load_b128 v[0:3], v8
	ds_load_b128 v[4:7], v8 offset:1024
	ds_load_b128 v[25:28], v20 offset:8448
	s_and_not1_b32 vcc_lo, exec_lo, s6
	s_mov_b32 s6, 0
	s_waitcnt lgkmcnt(2)
	v_add_f64 v[9:10], v[2:3], v[23:24]
	scratch_store_b64 off, v[9:10], off offset:20 ; 8-byte Folded Spill
	v_add_f64 v[9:10], v[0:1], v[21:22]
	scratch_store_b64 off, v[9:10], off offset:52 ; 8-byte Folded Spill
	s_waitcnt lgkmcnt(1)
	v_add_f64 v[9:10], v[6:7], v[23:24]
	scratch_store_b64 off, v[9:10], off offset:4 ; 8-byte Folded Spill
	v_add_f64 v[9:10], v[4:5], v[21:22]
	scratch_store_b64 off, v[9:10], off offset:36 ; 8-byte Folded Spill
	ds_load_b128 v[29:32], v8 offset:2048
	ds_load_b128 v[33:36], v8 offset:3072
	s_waitcnt lgkmcnt(1)
	v_add_f64 v[8:9], v[31:32], v[23:24]
	scratch_store_b64 off, v[8:9], off offset:28 ; 8-byte Folded Spill
	v_add_f64 v[8:9], v[29:30], v[21:22]
	scratch_store_b64 off, v[8:9], off offset:60 ; 8-byte Folded Spill
	s_waitcnt lgkmcnt(0)
	v_add_f64 v[8:9], v[35:36], v[23:24]
	scratch_store_b64 off, v[8:9], off offset:12 ; 8-byte Folded Spill
	v_add_f64 v[8:9], v[33:34], v[21:22]
	scratch_store_b64 off, v[8:9], off offset:44 ; 8-byte Folded Spill
	;; [unrolled: 2-line block ×10, first 2 shown]
	ds_load_b128 v[21:24], v20 offset:8704
	ds_load_b128 v[25:28], v20 offset:8960
	s_waitcnt lgkmcnt(1)
	v_add_f64 v[8:9], v[2:3], v[23:24]
	scratch_store_b64 off, v[8:9], off offset:164 ; 8-byte Folded Spill
	v_add_f64 v[8:9], v[0:1], v[21:22]
	scratch_store_b64 off, v[8:9], off offset:188 ; 8-byte Folded Spill
	;; [unrolled: 2-line block ×8, first 2 shown]
	s_waitcnt lgkmcnt(0)
	v_add_f64 v[8:9], v[2:3], v[27:28]
	scratch_store_b64 off, v[8:9], off offset:196 ; 8-byte Folded Spill
	v_add_f64 v[8:9], v[0:1], v[25:26]
	scratch_store_b64 off, v[8:9], off offset:204 ; 8-byte Folded Spill
	;; [unrolled: 2-line block ×8, first 2 shown]
	ds_load_b128 v[21:24], v20 offset:9216
	ds_load_b128 v[25:28], v20 offset:9472
	s_waitcnt lgkmcnt(1)
	v_add_f64 v[8:9], v[2:3], v[23:24]
	v_add_f64 v[111:112], v[0:1], v[21:22]
	;; [unrolled: 1-line block ×4, first 2 shown]
	s_waitcnt lgkmcnt(0)
	v_add_f64 v[187:188], v[2:3], v[27:28]
	v_add_f64 v[189:190], v[0:1], v[25:26]
	;; [unrolled: 1-line block ×8, first 2 shown]
	scratch_store_b64 off, v[8:9], off offset:292 ; 8-byte Folded Spill
	v_add_f64 v[8:9], v[6:7], v[23:24]
	scratch_store_b64 off, v[8:9], off offset:276 ; 8-byte Folded Spill
	v_add_f64 v[8:9], v[31:32], v[23:24]
	;; [unrolled: 2-line block ×4, first 2 shown]
	scratch_store_b64 off, v[8:9], off offset:284 ; 8-byte Folded Spill
	ds_load_b128 v[21:24], v20 offset:9728
	ds_load_b128 v[25:28], v20 offset:9984
	s_waitcnt lgkmcnt(1)
	v_add_f64 v[203:204], v[2:3], v[23:24]
	v_add_f64 v[126:127], v[0:1], v[21:22]
	;; [unrolled: 1-line block ×8, first 2 shown]
	s_waitcnt lgkmcnt(0)
	v_add_f64 v[134:135], v[2:3], v[27:28]
	v_add_f64 v[10:11], v[0:1], v[25:26]
	;; [unrolled: 1-line block ×8, first 2 shown]
	ds_load_b128 v[21:24], v20 offset:10240
	ds_load_b128 v[25:28], v20 offset:10496
	s_waitcnt lgkmcnt(1)
	v_add_f64 v[235:236], v[2:3], v[23:24]
	v_add_f64 v[237:238], v[0:1], v[21:22]
	;; [unrolled: 1-line block ×8, first 2 shown]
	s_waitcnt lgkmcnt(0)
	v_add_f64 v[251:252], v[2:3], v[27:28]
	v_add_f64 v[148:149], v[0:1], v[25:26]
	;; [unrolled: 1-line block ×8, first 2 shown]
	ds_load_b128 v[21:24], v20 offset:10752
	ds_load_b128 v[25:28], v20 offset:11008
	v_cvt_f32_f64_e32 v10, v[10:11]
	v_cvt_f32_f64_e32 v11, v[134:135]
	s_waitcnt lgkmcnt(1)
	v_add_f64 v[87:88], v[2:3], v[23:24]
	v_add_f64 v[85:86], v[0:1], v[21:22]
	;; [unrolled: 1-line block ×8, first 2 shown]
	s_waitcnt lgkmcnt(0)
	v_add_f64 v[83:84], v[2:3], v[27:28]
	v_add_f64 v[77:78], v[0:1], v[25:26]
	;; [unrolled: 1-line block ×8, first 2 shown]
	ds_load_b128 v[21:24], v20 offset:11264
	ds_load_b128 v[25:28], v20 offset:11520
	v_min3_f32 v164, v10, v11, v164
	v_cvt_f32_f64_e32 v10, v[140:141]
	v_cvt_f32_f64_e32 v11, v[136:137]
	s_waitcnt lgkmcnt(1)
	v_add_f64 v[39:40], v[2:3], v[23:24]
	v_add_f64 v[37:38], v[0:1], v[21:22]
	;; [unrolled: 1-line block ×8, first 2 shown]
	s_waitcnt lgkmcnt(0)
	v_add_f64 v[67:68], v[2:3], v[27:28]
	v_add_f64 v[65:66], v[0:1], v[25:26]
	;; [unrolled: 1-line block ×8, first 2 shown]
	ds_load_b128 v[21:24], v20 offset:11776
	ds_load_b128 v[25:28], v20 offset:12032
	v_min3_f32 v163, v10, v11, v163
	v_cvt_f32_f64_e32 v10, v[144:145]
	v_cvt_f32_f64_e32 v11, v[142:143]
	s_waitcnt lgkmcnt(1)
	v_add_f64 v[8:9], v[0:1], v[21:22]
	v_add_f64 v[132:133], v[4:5], v[21:22]
	;; [unrolled: 1-line block ×4, first 2 shown]
	s_waitcnt lgkmcnt(0)
	v_add_f64 v[0:1], v[0:1], v[25:26]
	v_add_f64 v[4:5], v[4:5], v[25:26]
	;; [unrolled: 1-line block ×4, first 2 shown]
	scratch_load_b64 v[33:34], off, off offset:52 ; 8-byte Folded Reload
	v_add_f64 v[138:139], v[2:3], v[23:24]
	v_add_f64 v[16:17], v[6:7], v[23:24]
	;; [unrolled: 1-line block ×8, first 2 shown]
	v_min3_f32 v162, v10, v11, v162
	v_cvt_f32_f64_e32 v10, v[233:234]
	v_cvt_f32_f64_e32 v11, v[146:147]
	v_mov_b32_e32 v233, v98
	v_cvt_f32_f64_e32 v8, v[8:9]
	v_cvt_f32_f64_e32 v0, v[0:1]
	;; [unrolled: 1-line block ×4, first 2 shown]
	v_min3_f32 v161, v10, v11, v161
	v_cvt_f32_f64_e32 v10, v[237:238]
	v_cvt_f32_f64_e32 v11, v[235:236]
	v_min3_f32 v213, v8, v9, v213
	v_cvt_f32_f64_e32 v9, v[16:17]
	v_cvt_f32_f64_e32 v8, v[132:133]
	;; [unrolled: 3-line block ×10, first 2 shown]
	v_min3_f32 v209, v8, v9, v209
	v_min3_f32 v205, v0, v1, v205
	s_delay_alu instid0(VALU_DEP_3) | instskip(SKIP_2) | instid1(VALU_DEP_1)
	v_min3_f32 v157, v10, v11, v157
	v_cvt_f32_f64_e32 v10, v[148:149]
	v_cvt_f32_f64_e32 v11, v[251:252]
	v_min3_f32 v156, v10, v11, v156
	v_cvt_f32_f64_e32 v10, v[107:108]
	v_cvt_f32_f64_e32 v11, v[109:110]
	s_delay_alu instid0(VALU_DEP_1)
	v_min3_f32 v155, v10, v11, v155
	v_cvt_f32_f64_e32 v10, v[105:106]
	v_cvt_f32_f64_e32 v11, v[182:183]
	s_waitcnt vmcnt(0)
	v_cvt_f32_f64_e32 v13, v[33:34]
	scratch_load_b64 v[33:34], off, off offset:20 ; 8-byte Folded Reload
	v_min3_f32 v154, v10, v11, v154
	v_cvt_f32_f64_e32 v10, v[101:102]
	v_cvt_f32_f64_e32 v11, v[103:104]
	s_delay_alu instid0(VALU_DEP_1) | instskip(SKIP_2) | instid1(VALU_DEP_1)
	v_min3_f32 v153, v10, v11, v153
	v_cvt_f32_f64_e32 v10, v[85:86]
	v_cvt_f32_f64_e32 v11, v[87:88]
	v_min3_f32 v152, v10, v11, v152
	v_cvt_f32_f64_e32 v10, v[79:80]
	v_cvt_f32_f64_e32 v11, v[89:90]
	s_delay_alu instid0(VALU_DEP_1) | instskip(SKIP_2) | instid1(VALU_DEP_1)
	v_min3_f32 v151, v10, v11, v151
	v_cvt_f32_f64_e32 v10, v[81:82]
	v_cvt_f32_f64_e32 v11, v[93:94]
	v_min3_f32 v150, v10, v11, v150
	v_cvt_f32_f64_e32 v10, v[91:92]
	v_cvt_f32_f64_e32 v11, v[99:100]
	s_clause 0x1
	scratch_load_b32 v91, off, off offset:316
	scratch_load_b32 v16, off, off
	v_min3_f32 v115, v10, v11, v115
	v_cvt_f32_f64_e32 v10, v[77:78]
	v_cvt_f32_f64_e32 v11, v[83:84]
	s_delay_alu instid0(VALU_DEP_1)
	v_min3_f32 v226, v10, v11, v226
	v_cvt_f32_f64_e32 v10, v[73:74]
	v_cvt_f32_f64_e32 v11, v[75:76]
	s_waitcnt vmcnt(2)
	v_cvt_f32_f64_e32 v22, v[33:34]
	scratch_load_b64 v[33:34], off, off offset:36 ; 8-byte Folded Reload
	v_min3_f32 v181, v13, v22, v181
	s_waitcnt vmcnt(0)
	v_cvt_f32_f64_e32 v13, v[33:34]
	scratch_load_b64 v[33:34], off, off offset:4 ; 8-byte Folded Reload
	s_waitcnt vmcnt(0)
	v_cvt_f32_f64_e32 v22, v[33:34]
	scratch_load_b64 v[33:34], off, off offset:60 ; 8-byte Folded Reload
	v_min3_f32 v180, v13, v22, v180
	s_waitcnt vmcnt(0)
	v_cvt_f32_f64_e32 v13, v[33:34]
	scratch_load_b64 v[33:34], off, off offset:28 ; 8-byte Folded Reload
	;; [unrolled: 7-line block ×15, first 2 shown]
	s_waitcnt vmcnt(0)
	v_cvt_f32_f64_e32 v22, v[33:34]
	scratch_load_b64 v[33:34], off, off offset:292 ; 8-byte Folded Reload
	v_min3_f32 v224, v13, v22, v224
	v_cvt_f32_f64_e32 v13, v[111:112]
	v_mov_b32_e32 v111, v219
	v_mov_b32_e32 v219, v225
	s_delay_alu instid0(VALU_DEP_1) | instskip(SKIP_2) | instid1(VALU_DEP_1)
	v_min3_f32 v219, v10, v11, v219
	v_cvt_f32_f64_e32 v10, v[71:72]
	v_cvt_f32_f64_e32 v11, v[63:64]
	v_min3_f32 v222, v10, v11, v222
	v_cvt_f32_f64_e32 v10, v[69:70]
	v_cvt_f32_f64_e32 v11, v[61:62]
	s_delay_alu instid0(VALU_DEP_1) | instskip(SKIP_2) | instid1(VALU_DEP_1)
	v_min3_f32 v218, v10, v11, v218
	v_cvt_f32_f64_e32 v10, v[37:38]
	v_cvt_f32_f64_e32 v11, v[39:40]
	v_min3_f32 v111, v10, v11, v111
	v_cvt_f32_f64_e32 v10, v[116:117]
	v_cvt_f32_f64_e32 v11, v[43:44]
	;; [unrolled: 7-line block ×3, first 2 shown]
	s_delay_alu instid0(VALU_DEP_1)
	v_min3_f32 v233, v10, v11, v233
	v_cvt_f32_f64_e32 v10, v[65:66]
	v_cvt_f32_f64_e32 v11, v[67:68]
	s_waitcnt vmcnt(0)
	v_cvt_f32_f64_e32 v22, v[33:34]
	scratch_load_b64 v[33:34], off, off offset:276 ; 8-byte Folded Reload
	v_min3_f32 v255, v10, v11, v255
	v_cvt_f32_f64_e32 v10, v[57:58]
	v_cvt_f32_f64_e32 v11, v[59:60]
	v_min3_f32 v220, v13, v22, v220
	v_cvt_f32_f64_e32 v13, v[95:96]
	s_delay_alu instid0(VALU_DEP_3) | instskip(SKIP_2) | instid1(VALU_DEP_1)
	v_min3_f32 v228, v10, v11, v228
	v_cvt_f32_f64_e32 v10, v[47:48]
	v_cvt_f32_f64_e32 v11, v[55:56]
	v_min3_f32 v223, v10, v11, v223
	v_cvt_f32_f64_e32 v10, v[53:54]
	v_cvt_f32_f64_e32 v11, v[118:119]
	s_delay_alu instid0(VALU_DEP_1)
	v_min3_f32 v211, v10, v11, v211
	s_waitcnt vmcnt(0)
	v_cvt_f32_f64_e32 v22, v[33:34]
	scratch_load_b64 v[33:34], off, off offset:268 ; 8-byte Folded Reload
	v_min3_f32 v12, v13, v22, v12
	v_cvt_f32_f64_e32 v13, v[184:185]
	s_waitcnt vmcnt(0)
	v_cvt_f32_f64_e32 v22, v[33:34]
	scratch_load_b64 v[33:34], off, off offset:284 ; 8-byte Folded Reload
	v_min3_f32 v172, v13, v22, v172
	s_waitcnt vmcnt(0)
	v_cvt_f32_f64_e32 v13, v[33:34]
	scratch_load_b64 v[33:34], off, off offset:260 ; 8-byte Folded Reload
	s_waitcnt vmcnt(0)
	v_cvt_f32_f64_e32 v22, v[33:34]
	s_delay_alu instid0(VALU_DEP_1) | instskip(SKIP_2) | instid1(VALU_DEP_1)
	v_min3_f32 v174, v13, v22, v174
	v_cvt_f32_f64_e32 v13, v[189:190]
	v_cvt_f32_f64_e32 v22, v[187:188]
	v_min3_f32 v217, v13, v22, v217
	v_cvt_f32_f64_e32 v13, v[193:194]
	v_cvt_f32_f64_e32 v22, v[191:192]
	s_delay_alu instid0(VALU_DEP_1) | instskip(SKIP_2) | instid1(VALU_DEP_1)
	v_min3_f32 v216, v13, v22, v216
	v_cvt_f32_f64_e32 v13, v[197:198]
	v_cvt_f32_f64_e32 v22, v[195:196]
	v_min3_f32 v215, v13, v22, v215
	v_cvt_f32_f64_e32 v13, v[201:202]
	;; [unrolled: 7-line block ×4, first 2 shown]
	v_cvt_f32_f64_e32 v22, v[120:121]
	s_delay_alu instid0(VALU_DEP_1)
	v_min3_f32 v165, v13, v22, v165
	s_cbranch_vccz .LBB116_25
; %bb.26:
	v_dual_mov_b32 v75, v159 :: v_dual_mov_b32 v182, v150
	s_clause 0x2
	scratch_load_b32 v159, off, off offset:360
	scratch_load_b64 v[0:1], off, off offset:300
	scratch_load_b64 v[2:3], off, off offset:308
	v_dual_mov_b32 v83, v217 :: v_dual_mov_b32 v106, v216
	v_dual_mov_b32 v99, v215 :: v_dual_mov_b32 v90, v186
	;; [unrolled: 1-line block ×8, first 2 shown]
	v_mov_b32_e32 v73, v155
	v_mov_b32_e32 v29, v152
	s_cmp_gt_i32 s18, 8
	s_mov_b32 s27, 8
	s_waitcnt vmcnt(0)
	ds_store_2addr_stride64_b64 v159, v[0:1], v[2:3] offset0:8 offset1:12
	s_clause 0x1
	scratch_load_b64 v[0:1], off, off offset:320
	scratch_load_b64 v[2:3], off, off offset:328
	s_waitcnt vmcnt(0)
	ds_store_2addr_stride64_b64 v159, v[0:1], v[2:3] offset0:24 offset1:28
	s_waitcnt lgkmcnt(0)
	s_waitcnt_vscnt null, 0x0
	s_barrier
	buffer_gl0_inv
	s_cbranch_scc0 .LBB116_50
; %bb.27:
	v_mad_i64_i32 v[0:1], null, v227, s28, 0
	v_mad_i64_i32 v[2:3], null, v229, s28, 0
	v_dual_mov_b32 v13, v222 :: v_dual_add_nc_u32 v8, 0x1000, v159
	v_mad_i64_i32 v[4:5], null, v97, s29, 0
	s_delay_alu instid0(VALU_DEP_4)
	v_lshlrev_b64 v[0:1], 3, v[0:1]
	scratch_store_b32 off, v8, off offset:372 ; 4-byte Folded Spill
	v_mad_i64_i32 v[6:7], null, v231, s29, 0
	v_mov_b32_e32 v86, v74
	v_mov_b32_e32 v158, v226
	scratch_store_b64 off, v[0:1], off offset:376 ; 8-byte Folded Spill
	v_lshlrev_b64 v[0:1], 3, v[2:3]
	s_add_i32 s28, s18, -8
	s_mov_b32 s29, 0
	scratch_store_b64 off, v[0:1], off offset:384 ; 8-byte Folded Spill
	v_lshlrev_b64 v[0:1], 3, v[4:5]
	scratch_store_b64 off, v[0:1], off offset:392 ; 8-byte Folded Spill
	v_lshlrev_b64 v[0:1], 3, v[6:7]
	scratch_store_b64 off, v[0:1], off offset:400 ; 8-byte Folded Spill
	v_add_nc_u32_e32 v0, 0x3000, v159
	scratch_store_b32 off, v0, off offset:408 ; 4-byte Folded Spill
.LBB116_28:                             ; =>This Loop Header: Depth=1
                                        ;     Child Loop BB116_37 Depth 2
                                        ;     Child Loop BB116_47 Depth 2
	scratch_load_b32 v0, off, off offset:364 ; 4-byte Folded Reload
	s_waitcnt vmcnt(0)
	v_or_b32_e32 v2, s27, v0
	s_delay_alu instid0(VALU_DEP_1) | instskip(SKIP_4) | instid1(SALU_CYCLE_1)
	v_min_i32_e32 v0, s26, v2
	v_cmp_le_i32_e32 vcc_lo, s18, v2
	scratch_store_b32 off, v2, off offset:320 ; 4-byte Folded Spill
	v_ashrrev_i32_e32 v1, 31, v0
	s_or_b32 s30, s2, vcc_lo
	v_cndmask_b32_e64 v5, 0, 0x7fefffff, s30
	v_cndmask_b32_e64 v4, 0, -1, s30
	s_delay_alu instid0(VALU_DEP_3) | instskip(NEXT) | instid1(VALU_DEP_1)
	v_lshlrev_b64 v[0:1], 3, v[0:1]
	v_add_co_u32 v2, s6, s24, v0
	s_delay_alu instid0(VALU_DEP_1) | instskip(SKIP_1) | instid1(SALU_CYCLE_1)
	v_add_co_ci_u32_e64 v3, s6, s25, v1, s6
	s_or_b32 s6, s19, s30
	s_xor_b32 s6, s6, -1
	s_mov_b32 s30, exec_lo
	v_mov_b32_e32 v109, v106
	s_and_b32 s6, s30, s6
	s_delay_alu instid0(SALU_CYCLE_1)
	s_mov_b32 exec_lo, s6
	s_cbranch_execz .LBB116_30
; %bb.29:                               ;   in Loop: Header=BB116_28 Depth=1
	scratch_load_b64 v[4:5], off, off offset:376 ; 8-byte Folded Reload
	s_waitcnt vmcnt(0)
	v_add_co_u32 v4, s6, v2, v4
	s_delay_alu instid0(VALU_DEP_1)
	v_add_co_ci_u32_e64 v5, s6, v3, v5, s6
	flat_load_b64 v[4:5], v[4:5]
	s_waitcnt vmcnt(0) lgkmcnt(0)
	v_mul_f64 v[4:5], v[4:5], s[20:21]
.LBB116_30:                             ;   in Loop: Header=BB116_28 Depth=1
	s_or_b32 exec_lo, exec_lo, s30
	s_or_b32 s6, s3, vcc_lo
	scratch_store_b64 off, v[4:5], off offset:328 ; 8-byte Folded Spill
	v_cndmask_b32_e64 v5, 0, 0x7fefffff, s6
	v_cndmask_b32_e64 v4, 0, -1, s6
	s_or_b32 s6, s19, s6
	s_delay_alu instid0(SALU_CYCLE_1) | instskip(NEXT) | instid1(SALU_CYCLE_1)
	s_xor_b32 s6, s6, -1
	s_and_saveexec_b32 s30, s6
	s_cbranch_execz .LBB116_32
; %bb.31:                               ;   in Loop: Header=BB116_28 Depth=1
	scratch_load_b64 v[4:5], off, off offset:384 ; 8-byte Folded Reload
	s_waitcnt vmcnt(0)
	v_add_co_u32 v2, s6, v2, v4
	s_delay_alu instid0(VALU_DEP_1)
	v_add_co_ci_u32_e64 v3, s6, v3, v5, s6
	flat_load_b64 v[2:3], v[2:3]
	s_waitcnt vmcnt(0) lgkmcnt(0)
	v_mul_f64 v[4:5], v[2:3], s[20:21]
.LBB116_32:                             ;   in Loop: Header=BB116_28 Depth=1
	s_or_b32 exec_lo, exec_lo, s30
	v_add_co_u32 v0, s6, s22, v0
	s_delay_alu instid0(VALU_DEP_1) | instskip(SKIP_1) | instid1(SALU_CYCLE_1)
	v_add_co_ci_u32_e64 v1, s6, s23, v1, s6
	s_or_b32 s6, s4, vcc_lo
	v_cndmask_b32_e64 v3, 0, 0x7fefffff, s6
	v_cndmask_b32_e64 v2, 0, -1, s6
	s_or_b32 s6, s19, s6
	s_delay_alu instid0(SALU_CYCLE_1) | instskip(NEXT) | instid1(SALU_CYCLE_1)
	s_xor_b32 s6, s6, -1
	s_and_saveexec_b32 s30, s6
	s_cbranch_execz .LBB116_34
; %bb.33:                               ;   in Loop: Header=BB116_28 Depth=1
	scratch_load_b64 v[2:3], off, off offset:392 ; 8-byte Folded Reload
	s_waitcnt vmcnt(0)
	v_add_co_u32 v2, s6, v0, v2
	s_delay_alu instid0(VALU_DEP_1)
	v_add_co_ci_u32_e64 v3, s6, v1, v3, s6
	flat_load_b64 v[2:3], v[2:3]
	s_waitcnt vmcnt(0) lgkmcnt(0)
	v_mul_f64 v[2:3], v[2:3], s[20:21]
.LBB116_34:                             ;   in Loop: Header=BB116_28 Depth=1
	s_or_b32 exec_lo, exec_lo, s30
	s_or_b32 s6, s5, vcc_lo
	s_clause 0x1
	scratch_store_b64 off, v[2:3], off offset:344
	scratch_store_b64 off, v[4:5], off offset:336
	v_dual_mov_b32 v25, v172 :: v_dual_mov_b32 v110, v174
	v_dual_mov_b32 v108, v99 :: v_dual_mov_b32 v35, v165
	;; [unrolled: 1-line block ×3, first 2 shown]
	v_mov_b32_e32 v225, v73
	v_cndmask_b32_e64 v3, 0, 0x7fefffff, s6
	v_cndmask_b32_e64 v2, 0, -1, s6
	s_or_b32 s6, s19, s6
	s_delay_alu instid0(SALU_CYCLE_1) | instskip(NEXT) | instid1(SALU_CYCLE_1)
	s_xor_b32 s30, s6, -1
	s_and_saveexec_b32 s6, s30
	s_cbranch_execz .LBB116_36
; %bb.35:                               ;   in Loop: Header=BB116_28 Depth=1
	scratch_load_b64 v[2:3], off, off offset:400 ; 8-byte Folded Reload
	s_waitcnt vmcnt(0)
	v_add_co_u32 v0, vcc_lo, v0, v2
	v_add_co_ci_u32_e32 v1, vcc_lo, v1, v3, vcc_lo
	flat_load_b64 v[0:1], v[0:1]
	s_waitcnt vmcnt(0) lgkmcnt(0)
	v_mul_f64 v[2:3], v[0:1], s[20:21]
.LBB116_36:                             ;   in Loop: Header=BB116_28 Depth=1
	s_or_b32 exec_lo, exec_lo, s6
	v_dual_mov_b32 v226, v64 :: v_dual_mov_b32 v229, v75
	v_dual_mov_b32 v222, v182 :: v_dual_mov_b32 v231, v72
	;; [unrolled: 1-line block ×4, first 2 shown]
	s_mov_b32 s30, 0
	s_mov_b32 s6, -1
	scratch_store_b64 off, v[2:3], off offset:352 ; 8-byte Folded Spill
.LBB116_37:                             ;   Parent Loop BB116_28 Depth=1
                                        ; =>  This Inner Loop Header: Depth=2
	s_lshl_b32 s30, s30, 3
	s_and_not1_b32 vcc_lo, exec_lo, s6
	v_lshl_add_u32 v188, v16, 5, s30
	s_waitcnt vmcnt(0)
	v_lshl_add_u32 v8, v91, 5, s30
	s_mov_b32 s30, 2
	s_mov_b32 s6, 0
	ds_load_b128 v[36:39], v188 offset:12288
	ds_load_b128 v[0:3], v8 offset:4096
	;; [unrolled: 1-line block ×4, first 2 shown]
	s_waitcnt lgkmcnt(2)
	v_add_f64 v[182:183], v[2:3], v[38:39]
	s_waitcnt lgkmcnt(1)
	v_add_f64 v[14:15], v[6:7], v[38:39]
	v_add_f64 v[10:11], v[0:1], v[36:37]
	s_delay_alu instid0(VALU_DEP_3)
	v_cvt_f32_f64_e32 v150, v[182:183]
	scratch_store_b64 off, v[14:15], off offset:4 ; 8-byte Folded Spill
	v_add_f64 v[14:15], v[4:5], v[36:37]
	scratch_store_b64 off, v[14:15], off offset:28 ; 8-byte Folded Spill
	ds_load_b128 v[189:192], v8 offset:6144
	ds_load_b128 v[193:196], v8 offset:7168
	;; [unrolled: 1-line block ×3, first 2 shown]
	s_waitcnt lgkmcnt(2)
	v_add_f64 v[8:9], v[191:192], v[38:39]
	scratch_store_b64 off, v[8:9], off offset:20 ; 8-byte Folded Spill
	v_add_f64 v[8:9], v[189:190], v[36:37]
	scratch_store_b64 off, v[8:9], off offset:44 ; 8-byte Folded Spill
	s_waitcnt lgkmcnt(1)
	v_add_f64 v[8:9], v[195:196], v[38:39]
	scratch_store_b64 off, v[8:9], off offset:12 ; 8-byte Folded Spill
	v_add_f64 v[8:9], v[193:194], v[36:37]
	scratch_store_b64 off, v[8:9], off offset:36 ; 8-byte Folded Spill
	;; [unrolled: 2-line block ×10, first 2 shown]
	v_mov_b32_e32 v8, v83
	ds_load_b128 v[82:85], v188 offset:13056
	s_waitcnt lgkmcnt(1)
	v_add_f64 v[14:15], v[2:3], v[70:71]
	v_mov_b32_e32 v174, v221
	v_mov_b32_e32 v221, v233
	;; [unrolled: 1-line block ×3, first 2 shown]
	v_cvt_f32_f64_e32 v13, v[10:11]
	scratch_store_b64 off, v[14:15], off offset:148 ; 8-byte Folded Spill
	v_add_f64 v[14:15], v[0:1], v[68:69]
	v_min3_f32 v181, v13, v150, v181
	scratch_store_b64 off, v[14:15], off offset:172 ; 8-byte Folded Spill
	v_add_f64 v[14:15], v[6:7], v[70:71]
	scratch_store_b64 off, v[14:15], off offset:132 ; 8-byte Folded Spill
	v_add_f64 v[14:15], v[4:5], v[68:69]
	scratch_store_b64 off, v[14:15], off offset:164 ; 8-byte Folded Spill
	v_add_f64 v[14:15], v[191:192], v[70:71]
	scratch_store_b64 off, v[14:15], off offset:124 ; 8-byte Folded Spill
	v_add_f64 v[14:15], v[189:190], v[68:69]
	scratch_store_b64 off, v[14:15], off offset:156 ; 8-byte Folded Spill
	v_add_f64 v[14:15], v[195:196], v[70:71]
	s_waitcnt lgkmcnt(0)
	v_add_f64 v[70:71], v[0:1], v[82:83]
	scratch_store_b64 off, v[14:15], off offset:116 ; 8-byte Folded Spill
	v_add_f64 v[14:15], v[193:194], v[68:69]
	scratch_store_b64 off, v[14:15], off offset:140 ; 8-byte Folded Spill
	;; [unrolled: 2-line block ×9, first 2 shown]
	ds_load_b128 v[100:103], v188 offset:13312
	ds_load_b128 v[197:200], v188 offset:13568
	s_waitcnt lgkmcnt(1)
	v_add_f64 v[14:15], v[2:3], v[102:103]
	v_add_f64 v[82:83], v[0:1], v[100:101]
	s_waitcnt lgkmcnt(0)
	v_add_f64 v[68:69], v[189:190], v[197:198]
	v_add_f64 v[84:85], v[195:196], v[199:200]
	;; [unrolled: 1-line block ×3, first 2 shown]
	scratch_store_b64 off, v[14:15], off offset:268 ; 8-byte Folded Spill
	v_add_f64 v[14:15], v[6:7], v[102:103]
	v_cvt_f32_f64_e32 v24, v[84:85]
	scratch_store_b64 off, v[14:15], off offset:252 ; 8-byte Folded Spill
	v_add_f64 v[14:15], v[4:5], v[100:101]
	scratch_store_b64 off, v[14:15], off offset:284 ; 8-byte Folded Spill
	v_add_f64 v[14:15], v[191:192], v[102:103]
	;; [unrolled: 2-line block ×4, first 2 shown]
	v_add_f64 v[102:103], v[4:5], v[197:198]
	scratch_store_b64 off, v[14:15], off offset:236 ; 8-byte Folded Spill
	v_add_f64 v[14:15], v[193:194], v[100:101]
	v_add_f64 v[100:101], v[191:192], v[199:200]
	scratch_store_b64 off, v[14:15], off offset:260 ; 8-byte Folded Spill
	v_add_f64 v[14:15], v[2:3], v[199:200]
	scratch_store_b64 off, v[14:15], off offset:292 ; 8-byte Folded Spill
	;; [unrolled: 2-line block ×4, first 2 shown]
	ds_load_b128 v[197:200], v188 offset:13824
	ds_load_b128 v[201:204], v188 offset:14080
	s_waitcnt lgkmcnt(1)
	v_add_f64 v[152:153], v[2:3], v[199:200]
	v_add_f64 v[146:147], v[0:1], v[197:198]
	v_add_f64 v[148:149], v[6:7], v[199:200]
	v_add_f64 v[142:143], v[4:5], v[197:198]
	v_add_f64 v[144:145], v[191:192], v[199:200]
	v_add_f64 v[154:155], v[189:190], v[197:198]
	v_add_f64 v[38:39], v[195:196], v[199:200]
	v_add_f64 v[36:37], v[193:194], v[197:198]
	s_waitcnt lgkmcnt(0)
	v_add_f64 v[160:161], v[2:3], v[203:204]
	v_add_f64 v[164:165], v[0:1], v[201:202]
	v_add_f64 v[214:215], v[6:7], v[203:204]
	v_add_f64 v[216:217], v[4:5], v[201:202]
	v_add_f64 v[166:167], v[191:192], v[203:204]
	v_add_f64 v[233:234], v[189:190], v[201:202]
	v_add_f64 v[235:236], v[195:196], v[203:204]
	v_add_f64 v[237:238], v[193:194], v[201:202]
	ds_load_b128 v[197:200], v188 offset:14336
	ds_load_b128 v[201:204], v188 offset:14592
	s_waitcnt lgkmcnt(1)
	v_add_f64 v[239:240], v[2:3], v[199:200]
	v_add_f64 v[241:242], v[0:1], v[197:198]
	v_add_f64 v[243:244], v[6:7], v[199:200]
	v_add_f64 v[245:246], v[4:5], v[197:198]
	v_add_f64 v[247:248], v[191:192], v[199:200]
	v_add_f64 v[249:250], v[189:190], v[197:198]
	v_add_f64 v[251:252], v[195:196], v[199:200]
	v_add_f64 v[30:31], v[193:194], v[197:198]
	s_waitcnt lgkmcnt(0)
	v_add_f64 v[184:185], v[2:3], v[203:204]
	v_add_f64 v[27:28], v[0:1], v[201:202]
	v_add_f64 v[156:157], v[6:7], v[203:204]
	v_add_f64 v[162:163], v[4:5], v[201:202]
	v_add_f64 v[14:15], v[191:192], v[203:204]
	v_add_f64 v[186:187], v[189:190], v[201:202]
	v_add_f64 v[16:17], v[195:196], v[203:204]
	v_add_f64 v[18:19], v[193:194], v[201:202]
	;; [unrolled: 20-line block ×3, first 2 shown]
	ds_load_b128 v[197:200], v188 offset:15360
	ds_load_b128 v[201:204], v188 offset:15616
	v_cvt_f32_f64_e32 v9, v[184:185]
	s_waitcnt lgkmcnt(1)
	v_add_f64 v[64:65], v[2:3], v[199:200]
	v_add_f64 v[126:127], v[0:1], v[197:198]
	;; [unrolled: 1-line block ×8, first 2 shown]
	s_waitcnt lgkmcnt(0)
	v_add_f64 v[130:131], v[2:3], v[203:204]
	v_add_f64 v[132:133], v[0:1], v[201:202]
	v_add_f64 v[134:135], v[6:7], v[203:204]
	v_add_f64 v[136:137], v[4:5], v[201:202]
	v_add_f64 v[88:89], v[191:192], v[203:204]
	v_add_f64 v[90:91], v[189:190], v[201:202]
	v_add_f64 v[92:93], v[195:196], v[203:204]
	v_add_f64 v[94:95], v[193:194], v[201:202]
	ds_load_b128 v[197:200], v188 offset:15872
	ds_load_b128 v[201:204], v188 offset:16128
	scratch_load_b64 v[10:11], off, off offset:28 ; 8-byte Folded Reload
	s_waitcnt lgkmcnt(1)
	v_add_f64 v[96:97], v[2:3], v[199:200]
	v_add_f64 v[98:99], v[0:1], v[197:198]
	s_waitcnt lgkmcnt(0)
	v_add_f64 v[2:3], v[2:3], v[203:204]
	v_add_f64 v[0:1], v[0:1], v[201:202]
	;; [unrolled: 1-line block ×14, first 2 shown]
	v_cvt_f32_f64_e32 v0, v[0:1]
	v_cvt_f32_f64_e32 v1, v[2:3]
	s_delay_alu instid0(VALU_DEP_1) | instskip(SKIP_2) | instid1(VALU_DEP_1)
	v_min3_f32 v208, v0, v1, v208
	v_cvt_f32_f64_e32 v0, v[4:5]
	v_cvt_f32_f64_e32 v1, v[6:7]
	v_min3_f32 v207, v0, v1, v207
	v_cvt_f32_f64_e32 v0, v[188:189]
	v_cvt_f32_f64_e32 v1, v[191:192]
	s_delay_alu instid0(VALU_DEP_1) | instskip(SKIP_2) | instid1(VALU_DEP_1)
	v_min3_f32 v206, v0, v1, v206
	v_cvt_f32_f64_e32 v0, v[193:194]
	v_cvt_f32_f64_e32 v1, v[195:196]
	v_min3_f32 v205, v0, v1, v205
	s_waitcnt vmcnt(0)
	v_cvt_f32_f64_e32 v13, v[10:11]
	scratch_load_b64 v[10:11], off, off offset:4 ; 8-byte Folded Reload
	s_waitcnt vmcnt(0)
	v_cvt_f32_f64_e32 v150, v[10:11]
	scratch_load_b64 v[10:11], off, off offset:44 ; 8-byte Folded Reload
	v_min3_f32 v180, v13, v150, v180
	s_waitcnt vmcnt(0)
	v_cvt_f32_f64_e32 v13, v[10:11]
	scratch_load_b64 v[10:11], off, off offset:20 ; 8-byte Folded Reload
	s_waitcnt vmcnt(0)
	v_cvt_f32_f64_e32 v150, v[10:11]
	scratch_load_b64 v[10:11], off, off offset:36 ; 8-byte Folded Reload
	;; [unrolled: 7-line block ×11, first 2 shown]
	v_min3_f32 v168, v13, v150, v168
	v_cvt_f32_f64_e32 v13, v[70:71]
	s_waitcnt vmcnt(0)
	v_cvt_f32_f64_e32 v70, v[10:11]
	scratch_load_b64 v[10:11], off, off offset:196 ; 8-byte Folded Reload
	v_min3_f32 v232, v13, v70, v232
	s_waitcnt vmcnt(0)
	v_cvt_f32_f64_e32 v13, v[10:11]
	scratch_load_b64 v[10:11], off, off offset:188 ; 8-byte Folded Reload
	s_waitcnt vmcnt(0)
	v_cvt_f32_f64_e32 v54, v[10:11]
	scratch_load_b64 v[10:11], off, off offset:212 ; 8-byte Folded Reload
	v_min3_f32 v254, v13, v54, v254
	s_waitcnt vmcnt(0)
	v_cvt_f32_f64_e32 v13, v[10:11]
	scratch_load_b64 v[10:11], off, off offset:204 ; 8-byte Folded Reload
	;; [unrolled: 7-line block ×3, first 2 shown]
	s_waitcnt vmcnt(0)
	v_cvt_f32_f64_e32 v50, v[10:11]
	scratch_load_b64 v[10:11], off, off offset:268 ; 8-byte Folded Reload
	v_min3_f32 v224, v13, v50, v224
	v_cvt_f32_f64_e32 v13, v[82:83]
	v_mov_b32_e32 v83, v8
	v_cvt_f32_f64_e32 v8, v[27:28]
	s_delay_alu instid0(VALU_DEP_1) | instskip(SKIP_2) | instid1(VALU_DEP_1)
	v_min3_f32 v227, v8, v9, v227
	v_cvt_f32_f64_e32 v8, v[162:163]
	v_cvt_f32_f64_e32 v9, v[156:157]
	v_min3_f32 v225, v8, v9, v225
	v_cvt_f32_f64_e32 v8, v[186:187]
	v_cvt_f32_f64_e32 v9, v[14:15]
	s_delay_alu instid0(VALU_DEP_1)
	v_min3_f32 v231, v8, v9, v231
	v_cvt_f32_f64_e32 v9, v[16:17]
	v_cvt_f32_f64_e32 v8, v[18:19]
	scratch_load_b32 v16, off, off          ; 4-byte Folded Reload
	v_min3_f32 v32, v8, v9, v32
	v_cvt_f32_f64_e32 v8, v[22:23]
	v_cvt_f32_f64_e32 v9, v[20:21]
	s_delay_alu instid0(VALU_DEP_1) | instskip(SKIP_2) | instid1(VALU_DEP_1)
	v_min3_f32 v29, v8, v9, v29
	v_cvt_f32_f64_e32 v8, v[118:119]
	v_cvt_f32_f64_e32 v9, v[116:117]
	v_min3_f32 v151, v8, v9, v151
	v_cvt_f32_f64_e32 v8, v[42:43]
	v_cvt_f32_f64_e32 v9, v[40:41]
	s_delay_alu instid0(VALU_DEP_1)
	v_min3_f32 v222, v8, v9, v222
	v_cvt_f32_f64_e32 v8, v[46:47]
	s_waitcnt vmcnt(1)
	v_cvt_f32_f64_e32 v26, v[10:11]
	scratch_load_b64 v[10:11], off, off offset:284 ; 8-byte Folded Reload
	v_cvt_f32_f64_e32 v9, v[44:45]
	v_min3_f32 v220, v13, v26, v220
	s_delay_alu instid0(VALU_DEP_2) | instskip(SKIP_2) | instid1(VALU_DEP_1)
	v_min3_f32 v226, v8, v9, v226
	v_cvt_f32_f64_e32 v8, v[120:121]
	v_cvt_f32_f64_e32 v9, v[48:49]
	v_min3_f32 v158, v8, v9, v158
	v_cvt_f32_f64_e32 v8, v[124:125]
	v_cvt_f32_f64_e32 v9, v[122:123]
	s_delay_alu instid0(VALU_DEP_1)
	v_min3_f32 v219, v8, v9, v219
	v_cvt_f32_f64_e32 v8, v[58:59]
	v_cvt_f32_f64_e32 v9, v[56:57]
	s_waitcnt vmcnt(0)
	v_cvt_f32_f64_e32 v13, v[10:11]
	scratch_load_b64 v[10:11], off, off offset:252 ; 8-byte Folded Reload
	s_waitcnt vmcnt(0)
	v_cvt_f32_f64_e32 v26, v[10:11]
	scratch_load_b64 v[10:11], off, off offset:276 ; 8-byte Folded Reload
	v_min3_f32 v12, v13, v26, v12
	s_waitcnt vmcnt(0)
	v_cvt_f32_f64_e32 v13, v[10:11]
	scratch_load_b64 v[10:11], off, off offset:244 ; 8-byte Folded Reload
	s_waitcnt vmcnt(0)
	v_cvt_f32_f64_e32 v26, v[10:11]
	scratch_load_b64 v[10:11], off, off offset:260 ; 8-byte Folded Reload
	v_min3_f32 v25, v13, v26, v25
	;; [unrolled: 7-line block ×4, first 2 shown]
	v_cvt_f32_f64_e32 v13, v[102:103]
	s_waitcnt vmcnt(0)
	v_cvt_f32_f64_e32 v26, v[10:11]
	v_cvt_f32_f64_e32 v10, v[36:37]
	;; [unrolled: 1-line block ×3, first 2 shown]
	s_delay_alu instid0(VALU_DEP_3) | instskip(SKIP_2) | instid1(VALU_DEP_4)
	v_min3_f32 v109, v13, v26, v109
	v_cvt_f32_f64_e32 v13, v[68:69]
	v_cvt_f32_f64_e32 v26, v[100:101]
	v_min3_f32 v35, v10, v11, v35
	v_cvt_f32_f64_e32 v10, v[164:165]
	v_cvt_f32_f64_e32 v11, v[160:161]
	s_delay_alu instid0(VALU_DEP_4) | instskip(SKIP_1) | instid1(VALU_DEP_3)
	v_min3_f32 v108, v13, v26, v108
	v_cvt_f32_f64_e32 v13, v[51:52]
	v_min3_f32 v34, v10, v11, v34
	v_cvt_f32_f64_e32 v10, v[216:217]
	v_cvt_f32_f64_e32 v11, v[214:215]
	s_delay_alu instid0(VALU_DEP_4) | instskip(SKIP_2) | instid1(VALU_DEP_4)
	v_min3_f32 v107, v13, v24, v107
	v_cvt_f32_f64_e32 v13, v[146:147]
	v_cvt_f32_f64_e32 v24, v[152:153]
	v_min3_f32 v33, v10, v11, v33
	v_cvt_f32_f64_e32 v10, v[233:234]
	v_mov_b32_e32 v233, v221
	v_mov_b32_e32 v221, v174
	v_cvt_f32_f64_e32 v11, v[166:167]
	v_min3_f32 v106, v13, v24, v106
	v_cvt_f32_f64_e32 v13, v[142:143]
	v_cvt_f32_f64_e32 v24, v[148:149]
	s_delay_alu instid0(VALU_DEP_4) | instskip(SKIP_2) | instid1(VALU_DEP_4)
	v_min3_f32 v67, v10, v11, v67
	v_cvt_f32_f64_e32 v10, v[237:238]
	v_cvt_f32_f64_e32 v11, v[235:236]
	v_min3_f32 v105, v13, v24, v105
	v_cvt_f32_f64_e32 v13, v[154:155]
	v_cvt_f32_f64_e32 v24, v[144:145]
	s_delay_alu instid0(VALU_DEP_4) | instskip(SKIP_2) | instid1(VALU_DEP_4)
	v_min3_f32 v66, v10, v11, v66
	v_cvt_f32_f64_e32 v10, v[241:242]
	v_cvt_f32_f64_e32 v11, v[239:240]
	v_min3_f32 v104, v13, v24, v104
	v_mov_b32_e32 v13, v172
	s_delay_alu instid0(VALU_DEP_1)
	v_min3_f32 v13, v8, v9, v13
	v_cvt_f32_f64_e32 v8, v[62:63]
	v_cvt_f32_f64_e32 v9, v[60:61]
	v_min3_f32 v55, v10, v11, v55
	v_cvt_f32_f64_e32 v10, v[245:246]
	v_cvt_f32_f64_e32 v11, v[243:244]
	s_delay_alu instid0(VALU_DEP_4) | instskip(SKIP_2) | instid1(VALU_DEP_4)
	v_min3_f32 v218, v8, v9, v218
	v_cvt_f32_f64_e32 v8, v[126:127]
	v_cvt_f32_f64_e32 v9, v[64:65]
	v_min3_f32 v229, v10, v11, v229
	v_cvt_f32_f64_e32 v10, v[249:250]
	v_cvt_f32_f64_e32 v11, v[247:248]
	s_delay_alu instid0(VALU_DEP_4) | instskip(SKIP_2) | instid1(VALU_DEP_4)
	;; [unrolled: 7-line block ×3, first 2 shown]
	v_min3_f32 v221, v8, v9, v221
	v_cvt_f32_f64_e32 v8, v[76:77]
	v_cvt_f32_f64_e32 v9, v[74:75]
	v_min3_f32 v87, v10, v11, v87
	s_delay_alu instid0(VALU_DEP_2) | instskip(SKIP_2) | instid1(VALU_DEP_1)
	v_min3_f32 v253, v8, v9, v253
	v_cvt_f32_f64_e32 v8, v[80:81]
	v_cvt_f32_f64_e32 v9, v[78:79]
	v_min3_f32 v233, v8, v9, v233
	v_cvt_f32_f64_e32 v8, v[132:133]
	v_cvt_f32_f64_e32 v9, v[130:131]
	s_delay_alu instid0(VALU_DEP_1) | instskip(SKIP_2) | instid1(VALU_DEP_1)
	v_min3_f32 v255, v8, v9, v255
	v_cvt_f32_f64_e32 v8, v[136:137]
	v_cvt_f32_f64_e32 v9, v[134:135]
	v_min3_f32 v228, v8, v9, v228
	v_cvt_f32_f64_e32 v8, v[90:91]
	scratch_load_b32 v91, off, off offset:316 ; 4-byte Folded Reload
	v_cvt_f32_f64_e32 v9, v[88:89]
	s_delay_alu instid0(VALU_DEP_1) | instskip(SKIP_2) | instid1(VALU_DEP_1)
	v_min3_f32 v223, v8, v9, v223
	v_cvt_f32_f64_e32 v8, v[94:95]
	v_cvt_f32_f64_e32 v9, v[92:93]
	v_min3_f32 v211, v8, v9, v211
	v_cvt_f32_f64_e32 v8, v[98:99]
	v_cvt_f32_f64_e32 v9, v[96:97]
	s_delay_alu instid0(VALU_DEP_1) | instskip(SKIP_2) | instid1(VALU_DEP_1)
	v_min3_f32 v213, v8, v9, v213
	v_cvt_f32_f64_e32 v8, v[140:141]
	v_cvt_f32_f64_e32 v9, v[138:139]
	v_min3_f32 v212, v8, v9, v212
	v_cvt_f32_f64_e32 v8, v[114:115]
	v_cvt_f32_f64_e32 v9, v[112:113]
	s_delay_alu instid0(VALU_DEP_1) | instskip(SKIP_2) | instid1(VALU_DEP_1)
	v_min3_f32 v210, v8, v9, v210
	v_cvt_f32_f64_e32 v8, v[197:198]
	v_cvt_f32_f64_e32 v9, v[199:200]
	v_min3_f32 v209, v8, v9, v209
	s_cbranch_vccz .LBB116_37
; %bb.38:                               ;   in Loop: Header=BB116_28 Depth=1
	scratch_load_b32 v0, off, off offset:320 ; 4-byte Folded Reload
	v_dual_mov_b32 v90, v106 :: v_dual_mov_b32 v79, v33
	v_dual_mov_b32 v78, v67 :: v_dual_mov_b32 v77, v66
	;; [unrolled: 1-line block ×3, first 2 shown]
	v_mov_b32_e32 v86, v227
	v_mov_b32_e32 v72, v231
	v_mov_b32_e32 v182, v222
	s_waitcnt vmcnt(0)
	v_or_b32_e32 v2, 4, v0
	s_delay_alu instid0(VALU_DEP_1)
	v_min_i32_e32 v0, s26, v2
	v_cmp_le_i32_e32 vcc_lo, s18, v2
	s_clause 0x1
	scratch_load_b64 v[2:3], off, off offset:328
	scratch_load_b64 v[4:5], off, off offset:336
	v_ashrrev_i32_e32 v1, 31, v0
	s_or_b32 s30, s2, vcc_lo
	s_delay_alu instid0(VALU_DEP_1)
	v_lshlrev_b64 v[0:1], 3, v[0:1]
	s_waitcnt vmcnt(0)
	ds_store_2addr_stride64_b64 v159, v[2:3], v[4:5] offset1:4
	s_clause 0x2
	scratch_load_b32 v2, off, off offset:368
	scratch_load_b64 v[3:4], off, off offset:344
	scratch_load_b64 v[5:6], off, off offset:352
	s_waitcnt vmcnt(0)
	ds_store_2addr_stride64_b64 v2, v[3:4], v[5:6] offset1:4
	v_add_co_u32 v2, s6, s24, v0
	v_cndmask_b32_e64 v5, 0, 0x7fefffff, s30
	v_add_co_ci_u32_e64 v3, s6, s25, v1, s6
	v_cndmask_b32_e64 v4, 0, -1, s30
	s_or_b32 s6, s19, s30
	s_waitcnt lgkmcnt(0)
	s_waitcnt_vscnt null, 0x0
	s_xor_b32 s6, s6, -1
	s_barrier
	buffer_gl0_inv
	s_and_saveexec_b32 s30, s6
	s_cbranch_execz .LBB116_40
; %bb.39:                               ;   in Loop: Header=BB116_28 Depth=1
	scratch_load_b64 v[4:5], off, off offset:376 ; 8-byte Folded Reload
	s_waitcnt vmcnt(0)
	v_add_co_u32 v4, s6, v2, v4
	s_delay_alu instid0(VALU_DEP_1)
	v_add_co_ci_u32_e64 v5, s6, v3, v5, s6
	flat_load_b64 v[4:5], v[4:5]
	s_waitcnt vmcnt(0) lgkmcnt(0)
	v_mul_f64 v[4:5], v[4:5], s[20:21]
.LBB116_40:                             ;   in Loop: Header=BB116_28 Depth=1
	s_or_b32 exec_lo, exec_lo, s30
	s_or_b32 s6, s3, vcc_lo
	scratch_store_b64 off, v[4:5], off offset:300 ; 8-byte Folded Spill
	v_cndmask_b32_e64 v5, 0, 0x7fefffff, s6
	v_cndmask_b32_e64 v4, 0, -1, s6
	s_or_b32 s6, s19, s6
	s_delay_alu instid0(SALU_CYCLE_1) | instskip(SKIP_4) | instid1(SALU_CYCLE_1)
	s_xor_b32 s6, s6, -1
	s_mov_b32 s30, exec_lo
	v_dual_mov_b32 v73, v225 :: v_dual_mov_b32 v174, v110
	v_dual_mov_b32 v99, v108 :: v_dual_mov_b32 v172, v25
	s_and_b32 s6, s30, s6
	s_mov_b32 exec_lo, s6
	s_cbranch_execz .LBB116_42
; %bb.41:                               ;   in Loop: Header=BB116_28 Depth=1
	scratch_load_b64 v[4:5], off, off offset:384 ; 8-byte Folded Reload
	s_waitcnt vmcnt(0)
	v_add_co_u32 v2, s6, v2, v4
	s_delay_alu instid0(VALU_DEP_1)
	v_add_co_ci_u32_e64 v3, s6, v3, v5, s6
	flat_load_b64 v[2:3], v[2:3]
	s_waitcnt vmcnt(0) lgkmcnt(0)
	v_mul_f64 v[4:5], v[2:3], s[20:21]
.LBB116_42:                             ;   in Loop: Header=BB116_28 Depth=1
	s_or_b32 exec_lo, exec_lo, s30
	v_add_co_u32 v0, s6, s22, v0
	s_delay_alu instid0(VALU_DEP_1) | instskip(SKIP_1) | instid1(SALU_CYCLE_1)
	v_add_co_ci_u32_e64 v1, s6, s23, v1, s6
	s_or_b32 s6, s4, vcc_lo
	v_cndmask_b32_e64 v3, 0, 0x7fefffff, s6
	v_cndmask_b32_e64 v2, 0, -1, s6
	s_or_b32 s6, s19, s6
	s_delay_alu instid0(SALU_CYCLE_1) | instskip(NEXT) | instid1(SALU_CYCLE_1)
	s_xor_b32 s6, s6, -1
	s_and_saveexec_b32 s30, s6
	s_cbranch_execz .LBB116_44
; %bb.43:                               ;   in Loop: Header=BB116_28 Depth=1
	scratch_load_b64 v[2:3], off, off offset:392 ; 8-byte Folded Reload
	s_waitcnt vmcnt(0)
	v_add_co_u32 v2, s6, v0, v2
	s_delay_alu instid0(VALU_DEP_1)
	v_add_co_ci_u32_e64 v3, s6, v1, v3, s6
	flat_load_b64 v[2:3], v[2:3]
	s_waitcnt vmcnt(0) lgkmcnt(0)
	v_mul_f64 v[2:3], v[2:3], s[20:21]
.LBB116_44:                             ;   in Loop: Header=BB116_28 Depth=1
	s_or_b32 exec_lo, exec_lo, s30
	s_or_b32 s6, s5, vcc_lo
	s_clause 0x1
	scratch_store_b64 off, v[2:3], off offset:320
	scratch_store_b64 off, v[4:5], off offset:308
	v_dual_mov_b32 v227, v13 :: v_dual_mov_b32 v62, v218
	v_dual_mov_b32 v45, v111 :: v_dual_mov_b32 v222, v221
	v_cndmask_b32_e64 v3, 0, 0x7fefffff, s6
	v_cndmask_b32_e64 v2, 0, -1, s6
	s_or_b32 s6, s19, s6
	s_delay_alu instid0(SALU_CYCLE_1) | instskip(NEXT) | instid1(SALU_CYCLE_1)
	s_xor_b32 s30, s6, -1
	s_and_saveexec_b32 s6, s30
	s_cbranch_execz .LBB116_46
; %bb.45:                               ;   in Loop: Header=BB116_28 Depth=1
	scratch_load_b64 v[2:3], off, off offset:400 ; 8-byte Folded Reload
	s_waitcnt vmcnt(0)
	v_add_co_u32 v0, vcc_lo, v0, v2
	v_add_co_ci_u32_e32 v1, vcc_lo, v1, v3, vcc_lo
	flat_load_b64 v[0:1], v[0:1]
	s_waitcnt vmcnt(0) lgkmcnt(0)
	v_mul_f64 v[2:3], v[0:1], s[20:21]
.LBB116_46:                             ;   in Loop: Header=BB116_28 Depth=1
	s_or_b32 exec_lo, exec_lo, s6
	v_dual_mov_b32 v252, v222 :: v_dual_mov_b32 v63, v227
	v_dual_mov_b32 v66, v219 :: v_dual_mov_b32 v67, v158
	v_dual_mov_b32 v64, v226 :: v_dual_mov_b32 v65, v151
	v_mov_b32_e32 v76, v55
	v_dual_mov_b32 v80, v34 :: v_dual_mov_b32 v81, v35
	v_mov_b32_e32 v88, v104
	v_mov_b32_e32 v106, v109
	s_mov_b32 s30, 0
	s_mov_b32 s6, -1
	scratch_store_b64 off, v[2:3], off offset:328 ; 8-byte Folded Spill
.LBB116_47:                             ;   Parent Loop BB116_28 Depth=1
                                        ; =>  This Inner Loop Header: Depth=2
	s_lshl_b32 s30, s30, 3
	v_dual_mov_b32 v89, v83 :: v_dual_mov_b32 v24, v105
	s_waitcnt vmcnt(0)
	v_lshl_add_u32 v187, v16, 5, s30
	v_lshl_add_u32 v8, v91, 5, s30
	v_dual_mov_b32 v42, v99 :: v_dual_mov_b32 v231, v228
	ds_load_b128 v[36:39], v187 offset:8192
	ds_load_b128 v[0:3], v8
	ds_load_b128 v[4:7], v8 offset:1024
	ds_load_b128 v[50:53], v187 offset:8448
	v_mov_b32_e32 v55, v208
	s_mov_b32 s30, 2
	s_and_not1_b32 vcc_lo, exec_lo, s6
	s_mov_b32 s6, 0
	v_mov_b32_e32 v204, v209
	s_waitcnt lgkmcnt(2)
	v_add_f64 v[96:97], v[2:3], v[38:39]
	s_waitcnt lgkmcnt(1)
	v_add_f64 v[9:10], v[6:7], v[38:39]
	v_add_f64 v[98:99], v[0:1], v[36:37]
	s_delay_alu instid0(VALU_DEP_3)
	v_cvt_f32_f64_e32 v96, v[96:97]
	scratch_store_b64 off, v[9:10], off offset:4 ; 8-byte Folded Spill
	v_add_f64 v[9:10], v[4:5], v[36:37]
	v_cvt_f32_f64_e32 v15, v[98:99]
	v_mov_b32_e32 v99, v42
	scratch_store_b64 off, v[9:10], off offset:28 ; 8-byte Folded Spill
	ds_load_b128 v[188:191], v8 offset:2048
	ds_load_b128 v[192:195], v8 offset:3072
	;; [unrolled: 1-line block ×4, first 2 shown]
	v_min3_f32 v181, v15, v96, v181
	s_waitcnt lgkmcnt(3)
	v_add_f64 v[8:9], v[190:191], v[38:39]
	scratch_store_b64 off, v[8:9], off offset:20 ; 8-byte Folded Spill
	v_add_f64 v[8:9], v[188:189], v[36:37]
	scratch_store_b64 off, v[8:9], off offset:44 ; 8-byte Folded Spill
	s_waitcnt lgkmcnt(2)
	v_add_f64 v[8:9], v[194:195], v[38:39]
	scratch_store_b64 off, v[8:9], off offset:12 ; 8-byte Folded Spill
	v_add_f64 v[8:9], v[192:193], v[36:37]
	v_mov_b32_e32 v37, v206
	v_mov_b32_e32 v49, v207
	scratch_store_b64 off, v[8:9], off offset:36 ; 8-byte Folded Spill
	v_add_f64 v[8:9], v[2:3], v[52:53]
	scratch_store_b64 off, v[8:9], off offset:52 ; 8-byte Folded Spill
	v_add_f64 v[8:9], v[0:1], v[50:51]
	scratch_store_b64 off, v[8:9], off offset:60 ; 8-byte Folded Spill
	v_add_f64 v[8:9], v[6:7], v[52:53]
	scratch_store_b64 off, v[8:9], off offset:68 ; 8-byte Folded Spill
	v_add_f64 v[8:9], v[4:5], v[50:51]
	scratch_store_b64 off, v[8:9], off offset:76 ; 8-byte Folded Spill
	v_add_f64 v[8:9], v[190:191], v[52:53]
	scratch_store_b64 off, v[8:9], off offset:84 ; 8-byte Folded Spill
	v_add_f64 v[8:9], v[188:189], v[50:51]
	scratch_store_b64 off, v[8:9], off offset:92 ; 8-byte Folded Spill
	v_add_f64 v[8:9], v[194:195], v[52:53]
	scratch_store_b64 off, v[8:9], off offset:100 ; 8-byte Folded Spill
	v_add_f64 v[8:9], v[192:193], v[50:51]
	scratch_store_b64 off, v[8:9], off offset:108 ; 8-byte Folded Spill
	s_waitcnt lgkmcnt(1)
	v_add_f64 v[8:9], v[2:3], v[70:71]
	scratch_store_b64 off, v[8:9], off offset:148 ; 8-byte Folded Spill
	v_add_f64 v[8:9], v[0:1], v[68:69]
	scratch_store_b64 off, v[8:9], off offset:172 ; 8-byte Folded Spill
	;; [unrolled: 2-line block ×8, first 2 shown]
	s_waitcnt lgkmcnt(0)
	v_add_f64 v[8:9], v[2:3], v[84:85]
	scratch_store_b64 off, v[8:9], off offset:180 ; 8-byte Folded Spill
	v_add_f64 v[8:9], v[0:1], v[82:83]
	scratch_store_b64 off, v[8:9], off offset:188 ; 8-byte Folded Spill
	;; [unrolled: 2-line block ×8, first 2 shown]
	ds_load_b128 v[100:103], v187 offset:9216
	ds_load_b128 v[196:199], v187 offset:9472
	s_waitcnt lgkmcnt(1)
	v_add_f64 v[8:9], v[2:3], v[102:103]
	v_add_f64 v[82:83], v[0:1], v[100:101]
	s_waitcnt lgkmcnt(0)
	v_add_f64 v[104:105], v[6:7], v[198:199]
	v_add_f64 v[84:85], v[4:5], v[196:197]
	;; [unrolled: 1-line block ×6, first 2 shown]
	scratch_store_b64 off, v[8:9], off offset:276 ; 8-byte Folded Spill
	v_add_f64 v[8:9], v[6:7], v[102:103]
	scratch_store_b64 off, v[8:9], off offset:260 ; 8-byte Folded Spill
	v_add_f64 v[8:9], v[4:5], v[100:101]
	;; [unrolled: 2-line block ×5, first 2 shown]
	v_add_f64 v[102:103], v[0:1], v[196:197]
	scratch_store_b64 off, v[8:9], off offset:244 ; 8-byte Folded Spill
	v_add_f64 v[8:9], v[192:193], v[100:101]
	v_add_f64 v[100:101], v[2:3], v[198:199]
	scratch_store_b64 off, v[8:9], off offset:268 ; 8-byte Folded Spill
	ds_load_b128 v[196:199], v187 offset:9728
	ds_load_b128 v[200:203], v187 offset:9984
	s_waitcnt lgkmcnt(1)
	v_add_f64 v[112:113], v[2:3], v[198:199]
	v_add_f64 v[114:115], v[0:1], v[196:197]
	v_add_f64 v[116:117], v[6:7], v[198:199]
	v_add_f64 v[118:119], v[4:5], v[196:197]
	v_add_f64 v[120:121], v[190:191], v[198:199]
	v_add_f64 v[122:123], v[188:189], v[196:197]
	v_add_f64 v[124:125], v[194:195], v[198:199]
	v_add_f64 v[126:127], v[192:193], v[196:197]
	s_waitcnt lgkmcnt(0)
	v_add_f64 v[128:129], v[2:3], v[202:203]
	v_add_f64 v[130:131], v[0:1], v[200:201]
	v_add_f64 v[132:133], v[6:7], v[202:203]
	v_add_f64 v[134:135], v[4:5], v[200:201]
	v_add_f64 v[136:137], v[190:191], v[202:203]
	v_add_f64 v[138:139], v[188:189], v[200:201]
	v_add_f64 v[140:141], v[194:195], v[202:203]
	v_add_f64 v[70:71], v[192:193], v[200:201]
	ds_load_b128 v[196:199], v187 offset:10240
	ds_load_b128 v[200:203], v187 offset:10496
	s_waitcnt lgkmcnt(1)
	v_add_f64 v[184:185], v[2:3], v[198:199]
	v_add_f64 v[27:28], v[0:1], v[196:197]
	v_add_f64 v[58:59], v[6:7], v[198:199]
	v_add_f64 v[47:48], v[4:5], v[196:197]
	v_add_f64 v[60:61], v[190:191], v[198:199]
	v_add_f64 v[53:54], v[188:189], v[196:197]
	v_add_f64 v[68:69], v[194:195], v[198:199]
	v_add_f64 v[56:57], v[192:193], v[196:197]
	s_waitcnt lgkmcnt(0)
	v_add_f64 v[43:44], v[2:3], v[202:203]
	v_add_f64 v[51:52], v[0:1], v[200:201]
	v_add_f64 v[40:41], v[6:7], v[202:203]
	v_add_f64 v[13:14], v[4:5], v[200:201]
	v_add_f64 v[38:39], v[190:191], v[202:203]
	v_add_f64 v[35:36], v[188:189], v[200:201]
	v_add_f64 v[33:34], v[194:195], v[202:203]
	v_add_f64 v[30:31], v[192:193], v[200:201]
	;; [unrolled: 20-line block ×4, first 2 shown]
	ds_load_b128 v[196:199], v187 offset:11776
	ds_load_b128 v[200:203], v187 offset:12032
	scratch_load_b64 v[96:97], off, off offset:28 ; 8-byte Folded Reload
	v_cvt_f32_f64_e32 v8, v[8:9]
	s_waitcnt lgkmcnt(1)
	v_add_f64 v[186:187], v[2:3], v[198:199]
	v_add_f64 v[218:219], v[0:1], v[196:197]
	s_waitcnt lgkmcnt(0)
	v_add_f64 v[2:3], v[2:3], v[202:203]
	v_cvt_f32_f64_e32 v9, v[142:143]
	v_add_f64 v[0:1], v[0:1], v[200:201]
	v_add_f64 v[160:161], v[6:7], v[198:199]
	;; [unrolled: 1-line block ×13, first 2 shown]
	v_cvt_f32_f64_e32 v0, v[0:1]
	v_cvt_f32_f64_e32 v1, v[2:3]
	s_waitcnt vmcnt(0)
	v_cvt_f32_f64_e32 v15, v[96:97]
	scratch_load_b64 v[96:97], off, off offset:4 ; 8-byte Folded Reload
	s_waitcnt vmcnt(0)
	v_cvt_f32_f64_e32 v96, v[96:97]
	s_delay_alu instid0(VALU_DEP_1)
	v_min3_f32 v180, v15, v96, v180
	scratch_load_b64 v[96:97], off, off offset:44 ; 8-byte Folded Reload
	s_waitcnt vmcnt(0)
	v_cvt_f32_f64_e32 v15, v[96:97]
	scratch_load_b64 v[96:97], off, off offset:20 ; 8-byte Folded Reload
	s_waitcnt vmcnt(0)
	v_cvt_f32_f64_e32 v96, v[96:97]
	s_delay_alu instid0(VALU_DEP_1)
	v_min3_f32 v179, v15, v96, v179
	scratch_load_b64 v[96:97], off, off offset:36 ; 8-byte Folded Reload
	;; [unrolled: 8-line block ×6, first 2 shown]
	s_waitcnt vmcnt(0)
	v_cvt_f32_f64_e32 v15, v[96:97]
	scratch_load_b64 v[96:97], off, off offset:100 ; 8-byte Folded Reload
	s_waitcnt vmcnt(0)
	v_cvt_f32_f64_e32 v50, v[96:97]
	scratch_load_b64 v[96:97], off, off offset:172 ; 8-byte Folded Reload
	v_min3_f32 v173, v15, v50, v173
	s_waitcnt vmcnt(0)
	v_cvt_f32_f64_e32 v15, v[96:97]
	scratch_load_b64 v[96:97], off, off offset:148 ; 8-byte Folded Reload
	s_waitcnt vmcnt(0)
	v_cvt_f32_f64_e32 v46, v[96:97]
	scratch_load_b64 v[96:97], off, off offset:164 ; 8-byte Folded Reload
	v_min3_f32 v171, v15, v46, v171
	;; [unrolled: 7-line block ×9, first 2 shown]
	v_cvt_f32_f64_e32 v15, v[82:83]
	scratch_load_b64 v[82:83], off, off offset:276 ; 8-byte Folded Reload
	s_waitcnt vmcnt(0)
	v_cvt_f32_f64_e32 v42, v[82:83]
	scratch_load_b64 v[82:83], off, off offset:292 ; 8-byte Folded Reload
	v_min3_f32 v220, v15, v42, v220
	v_cvt_f32_f64_e32 v42, v[96:97]
	scratch_load_b64 v[96:97], off, off offset:284 ; 8-byte Folded Reload
	s_waitcnt vmcnt(1)
	v_cvt_f32_f64_e32 v15, v[82:83]
	v_mov_b32_e32 v83, v89
	s_delay_alu instid0(VALU_DEP_2)
	v_min3_f32 v12, v15, v42, v12
	s_waitcnt vmcnt(0)
	v_cvt_f32_f64_e32 v15, v[96:97]
	scratch_load_b64 v[96:97], off, off offset:252 ; 8-byte Folded Reload
	s_waitcnt vmcnt(0)
	v_cvt_f32_f64_e32 v42, v[96:97]
	scratch_load_b64 v[96:97], off, off offset:268 ; 8-byte Folded Reload
	v_min3_f32 v172, v15, v42, v172
	s_waitcnt vmcnt(0)
	v_cvt_f32_f64_e32 v15, v[96:97]
	scratch_load_b64 v[96:97], off, off offset:244 ; 8-byte Folded Reload
	s_waitcnt vmcnt(0)
	v_cvt_f32_f64_e32 v42, v[96:97]
	s_delay_alu instid0(VALU_DEP_1) | instskip(SKIP_2) | instid1(VALU_DEP_1)
	v_min3_f32 v174, v15, v42, v174
	v_cvt_f32_f64_e32 v15, v[102:103]
	v_cvt_f32_f64_e32 v42, v[100:101]
	v_min3_f32 v83, v15, v42, v83
	v_cvt_f32_f64_e32 v15, v[84:85]
	v_cvt_f32_f64_e32 v42, v[104:105]
	v_mov_b32_e32 v105, v24
	v_cvt_f32_f64_e32 v24, v[43:44]
	s_delay_alu instid0(VALU_DEP_3) | instskip(SKIP_2) | instid1(VALU_DEP_1)
	v_min3_f32 v106, v15, v42, v106
	v_cvt_f32_f64_e32 v15, v[110:111]
	v_cvt_f32_f64_e32 v42, v[108:109]
	v_min3_f32 v99, v15, v42, v99
	v_cvt_f32_f64_e32 v15, v[94:95]
	v_cvt_f32_f64_e32 v42, v[92:93]
	s_delay_alu instid0(VALU_DEP_1) | instskip(SKIP_2) | instid1(VALU_DEP_1)
	v_min3_f32 v107, v15, v42, v107
	v_cvt_f32_f64_e32 v15, v[114:115]
	v_cvt_f32_f64_e32 v42, v[112:113]
	v_min3_f32 v90, v15, v42, v90
	v_cvt_f32_f64_e32 v15, v[118:119]
	v_cvt_f32_f64_e32 v42, v[116:117]
	s_delay_alu instid0(VALU_DEP_1) | instskip(SKIP_2) | instid1(VALU_DEP_1)
	v_min3_f32 v105, v15, v42, v105
	v_cvt_f32_f64_e32 v15, v[122:123]
	v_cvt_f32_f64_e32 v42, v[120:121]
	v_min3_f32 v88, v15, v42, v88
	v_cvt_f32_f64_e32 v15, v[126:127]
	v_cvt_f32_f64_e32 v42, v[124:125]
	s_delay_alu instid0(VALU_DEP_1) | instskip(SKIP_2) | instid1(VALU_DEP_1)
	v_min3_f32 v81, v15, v42, v81
	v_cvt_f32_f64_e32 v15, v[130:131]
	v_cvt_f32_f64_e32 v42, v[128:129]
	v_min3_f32 v80, v15, v42, v80
	v_cvt_f32_f64_e32 v15, v[134:135]
	v_cvt_f32_f64_e32 v42, v[132:133]
	s_delay_alu instid0(VALU_DEP_1) | instskip(SKIP_2) | instid1(VALU_DEP_1)
	v_min3_f32 v79, v15, v42, v79
	v_cvt_f32_f64_e32 v15, v[138:139]
	v_cvt_f32_f64_e32 v42, v[136:137]
	v_min3_f32 v78, v15, v42, v78
	v_cvt_f32_f64_e32 v15, v[70:71]
	v_cvt_f32_f64_e32 v42, v[140:141]
	s_delay_alu instid0(VALU_DEP_1) | instskip(SKIP_2) | instid1(VALU_DEP_1)
	v_min3_f32 v77, v15, v42, v77
	v_cvt_f32_f64_e32 v15, v[27:28]
	v_cvt_f32_f64_e32 v28, v[184:185]
	v_min3_f32 v76, v15, v28, v76
	v_cvt_f32_f64_e32 v15, v[47:48]
	v_cvt_f32_f64_e32 v28, v[58:59]
	s_delay_alu instid0(VALU_DEP_1) | instskip(SKIP_2) | instid1(VALU_DEP_1)
	v_min3_f32 v75, v15, v28, v75
	v_cvt_f32_f64_e32 v15, v[53:54]
	v_cvt_f32_f64_e32 v28, v[60:61]
	v_min3_f32 v74, v15, v28, v74
	v_cvt_f32_f64_e32 v15, v[56:57]
	v_cvt_f32_f64_e32 v28, v[68:69]
	s_delay_alu instid0(VALU_DEP_1) | instskip(SKIP_1) | instid1(VALU_DEP_1)
	v_min3_f32 v87, v15, v28, v87
	v_cvt_f32_f64_e32 v15, v[51:52]
	v_min3_f32 v86, v15, v24, v86
	v_cvt_f32_f64_e32 v15, v[13:14]
	v_cvt_f32_f64_e32 v13, v[40:41]
	;; [unrolled: 1-line block ×3, first 2 shown]
	s_delay_alu instid0(VALU_DEP_2) | instskip(SKIP_1) | instid1(VALU_DEP_1)
	v_min3_f32 v73, v15, v13, v73
	v_cvt_f32_f64_e32 v13, v[35:36]
	v_min3_f32 v72, v13, v14, v72
	v_cvt_f32_f64_e32 v13, v[30:31]
	v_cvt_f32_f64_e32 v14, v[33:34]
	s_delay_alu instid0(VALU_DEP_1) | instskip(SKIP_2) | instid1(VALU_DEP_1)
	v_min3_f32 v32, v13, v14, v32
	v_cvt_f32_f64_e32 v13, v[236:237]
	v_cvt_f32_f64_e32 v14, v[234:235]
	v_min3_f32 v29, v13, v14, v29
	v_cvt_f32_f64_e32 v13, v[240:241]
	v_cvt_f32_f64_e32 v14, v[238:239]
	s_delay_alu instid0(VALU_DEP_1) | instskip(SKIP_2) | instid1(VALU_DEP_1)
	v_min3_f32 v65, v13, v14, v65
	v_cvt_f32_f64_e32 v13, v[244:245]
	;; [unrolled: 7-line block ×3, first 2 shown]
	v_cvt_f32_f64_e32 v14, v[250:251]
	v_min3_f32 v67, v13, v14, v67
	v_cvt_f32_f64_e32 v13, v[18:19]
	v_cvt_f32_f64_e32 v14, v[16:17]
	scratch_load_b32 v16, off, off          ; 4-byte Folded Reload
	v_min3_f32 v66, v13, v14, v66
	v_cvt_f32_f64_e32 v13, v[22:23]
	v_cvt_f32_f64_e32 v14, v[20:21]
	s_delay_alu instid0(VALU_DEP_1) | instskip(SKIP_1) | instid1(VALU_DEP_1)
	v_min3_f32 v63, v13, v14, v63
	v_cvt_f32_f64_e32 v13, v[166:167]
	v_min3_f32 v62, v13, v8, v62
	v_cvt_f32_f64_e32 v8, v[144:145]
	s_delay_alu instid0(VALU_DEP_1) | instskip(SKIP_2) | instid1(VALU_DEP_1)
	v_min3_f32 v45, v8, v9, v45
	v_cvt_f32_f64_e32 v8, v[148:149]
	v_cvt_f32_f64_e32 v9, v[146:147]
	v_min3_f32 v252, v8, v9, v252
	v_cvt_f32_f64_e32 v8, v[152:153]
	v_cvt_f32_f64_e32 v9, v[150:151]
	s_delay_alu instid0(VALU_DEP_1) | instskip(SKIP_2) | instid1(VALU_DEP_1)
	v_min3_f32 v253, v8, v9, v253
	v_cvt_f32_f64_e32 v8, v[156:157]
	v_cvt_f32_f64_e32 v9, v[154:155]
	v_min3_f32 v233, v8, v9, v233
	v_cvt_f32_f64_e32 v8, v[214:215]
	v_cvt_f32_f64_e32 v9, v[158:159]
	s_delay_alu instid0(VALU_DEP_1)
	v_min3_f32 v255, v8, v9, v255
	v_cvt_f32_f64_e32 v8, v[206:207]
	v_cvt_f32_f64_e32 v9, v[228:229]
	v_mov_b32_e32 v228, v231
	v_mov_b32_e32 v206, v37
	;; [unrolled: 1-line block ×3, first 2 shown]
	s_delay_alu instid0(VALU_DEP_3) | instskip(SKIP_2) | instid1(VALU_DEP_1)
	v_min3_f32 v228, v8, v9, v228
	v_cvt_f32_f64_e32 v8, v[225:226]
	v_cvt_f32_f64_e32 v9, v[216:217]
	v_min3_f32 v223, v8, v9, v223
	v_cvt_f32_f64_e32 v8, v[164:165]
	v_cvt_f32_f64_e32 v9, v[208:209]
	v_dual_mov_b32 v208, v55 :: v_dual_mov_b32 v209, v204
	s_delay_alu instid0(VALU_DEP_1)
	v_min3_f32 v208, v0, v1, v208
	v_cvt_f32_f64_e32 v0, v[4:5]
	v_cvt_f32_f64_e32 v1, v[6:7]
	v_min3_f32 v211, v8, v9, v211
	v_cvt_f32_f64_e32 v8, v[218:219]
	v_cvt_f32_f64_e32 v9, v[186:187]
	s_delay_alu instid0(VALU_DEP_4) | instskip(SKIP_2) | instid1(VALU_DEP_4)
	v_min3_f32 v207, v0, v1, v207
	v_cvt_f32_f64_e32 v0, v[188:189]
	v_cvt_f32_f64_e32 v1, v[190:191]
	v_min3_f32 v213, v8, v9, v213
	v_cvt_f32_f64_e32 v8, v[162:163]
	v_cvt_f32_f64_e32 v9, v[160:161]
	s_delay_alu instid0(VALU_DEP_4) | instskip(SKIP_2) | instid1(VALU_DEP_4)
	v_min3_f32 v206, v0, v1, v206
	v_cvt_f32_f64_e32 v0, v[192:193]
	v_cvt_f32_f64_e32 v1, v[194:195]
	v_min3_f32 v212, v8, v9, v212
	v_cvt_f32_f64_e32 v8, v[221:222]
	v_cvt_f32_f64_e32 v9, v[10:11]
	s_delay_alu instid0(VALU_DEP_4) | instskip(NEXT) | instid1(VALU_DEP_2)
	v_min3_f32 v205, v0, v1, v205
	v_min3_f32 v210, v8, v9, v210
	v_cvt_f32_f64_e32 v8, v[196:197]
	v_cvt_f32_f64_e32 v9, v[198:199]
	s_delay_alu instid0(VALU_DEP_1)
	v_min3_f32 v209, v8, v9, v209
	s_cbranch_vccz .LBB116_47
; %bb.48:                               ;   in Loop: Header=BB116_28 Depth=1
	s_clause 0x2
	scratch_load_b32 v0, off, off offset:372
	scratch_load_b64 v[1:2], off, off offset:300
	scratch_load_b64 v[3:4], off, off offset:308
	v_dual_mov_b32 v34, v80 :: v_dual_mov_b32 v151, v65
	v_dual_mov_b32 v55, v76 :: v_dual_mov_b32 v218, v62
	v_mov_b32_e32 v219, v66
	v_mov_b32_e32 v221, v252
	;; [unrolled: 1-line block ×3, first 2 shown]
	s_add_i32 s29, s29, 8
	s_add_i32 s27, s27, 8
	s_cmp_ge_i32 s29, s28
	s_waitcnt vmcnt(0)
	ds_store_2addr_stride64_b64 v0, v[1:2], v[3:4] offset1:4
	s_clause 0x2
	scratch_load_b32 v0, off, off offset:408
	scratch_load_b64 v[1:2], off, off offset:320
	scratch_load_b64 v[3:4], off, off offset:328
	s_waitcnt vmcnt(0)
	ds_store_2addr_stride64_b64 v0, v[1:2], v[3:4] offset1:4
	s_waitcnt lgkmcnt(0)
	s_waitcnt_vscnt null, 0x0
	s_barrier
	buffer_gl0_inv
	s_cbranch_scc1 .LBB116_51
; %bb.49:                               ;   in Loop: Header=BB116_28 Depth=1
	scratch_load_b32 v159, off, off offset:360 ; 4-byte Folded Reload
	v_dual_mov_b32 v13, v63 :: v_dual_mov_b32 v156, v86
	v_dual_mov_b32 v158, v67 :: v_dual_mov_b32 v165, v81
	v_mov_b32_e32 v86, v74
	v_mov_b32_e32 v166, v88
	s_branch .LBB116_28
.LBB116_50:
	v_mov_b32_e32 v227, v222
	v_mov_b32_e32 v58, v226
	s_branch .LBB116_52
.LBB116_51:
	v_dual_mov_b32 v227, v63 :: v_dual_mov_b32 v156, v86
	v_dual_mov_b32 v58, v67 :: v_dual_mov_b32 v165, v81
	v_mov_b32_e32 v166, v88
.LBB116_52:
	s_delay_alu instid0(VALU_DEP_1) | instskip(NEXT) | instid1(VALU_DEP_3)
	v_dual_mov_b32 v63, v111 :: v_dual_mov_b32 v70, v166
	v_dual_mov_b32 v24, v165 :: v_dual_mov_b32 v11, v64
	;; [unrolled: 1-line block ×3, first 2 shown]
	v_mov_b32_e32 v152, v29
	v_dual_mov_b32 v42, v74 :: v_dual_mov_b32 v71, v105
	v_mov_b32_e32 v74, v55
	v_mov_b32_e32 v76, v78
	;; [unrolled: 1-line block ×5, first 2 shown]
	s_mov_b32 s3, 0
	s_mov_b32 s2, -1
.LBB116_53:                             ; =>This Inner Loop Header: Depth=1
	s_lshl_b32 s3, s3, 3
	v_dual_mov_b32 v226, v182 :: v_dual_mov_b32 v225, v156
	s_waitcnt vmcnt(1)
	v_lshl_add_u32 v100, v16, 5, s3
	s_waitcnt vmcnt(0)
	v_lshl_add_u32 v8, v91, 5, s3
	v_mov_b32_e32 v163, v205
	v_dual_mov_b32 v229, v219 :: v_dual_mov_b32 v114, v221
	ds_load_b128 v[20:23], v100 offset:12288
	ds_load_b128 v[0:3], v8 offset:4096
	;; [unrolled: 1-line block ×4, first 2 shown]
	v_mov_b32_e32 v91, v218
	s_mov_b32 s3, 2
	s_and_not1_b32 vcc_lo, exec_lo, s2
	s_mov_b32 s2, 0
	s_waitcnt lgkmcnt(2)
	v_add_f64 v[115:116], v[2:3], v[22:23]
	s_waitcnt lgkmcnt(1)
	v_add_f64 v[9:10], v[6:7], v[22:23]
	v_add_f64 v[117:118], v[0:1], v[20:21]
	scratch_store_b64 off, v[9:10], off offset:4 ; 8-byte Folded Spill
	v_add_f64 v[9:10], v[4:5], v[20:21]
	scratch_store_b64 off, v[9:10], off offset:28 ; 8-byte Folded Spill
	ds_load_b128 v[101:104], v8 offset:6144
	ds_load_b128 v[105:108], v8 offset:7168
	v_mov_b32_e32 v10, v42
	s_waitcnt lgkmcnt(1)
	v_add_f64 v[8:9], v[103:104], v[22:23]
	scratch_store_b64 off, v[8:9], off offset:20 ; 8-byte Folded Spill
	v_add_f64 v[8:9], v[101:102], v[20:21]
	scratch_store_b64 off, v[8:9], off offset:44 ; 8-byte Folded Spill
	s_waitcnt lgkmcnt(0)
	v_add_f64 v[8:9], v[107:108], v[22:23]
	scratch_store_b64 off, v[8:9], off offset:12 ; 8-byte Folded Spill
	v_add_f64 v[8:9], v[105:106], v[20:21]
	scratch_store_b64 off, v[8:9], off offset:36 ; 8-byte Folded Spill
	;; [unrolled: 2-line block ×8, first 2 shown]
	v_add_f64 v[8:9], v[107:108], v[36:37]
	v_cvt_f32_f64_e32 v37, v[117:118]
	scratch_store_b64 off, v[8:9], off offset:100 ; 8-byte Folded Spill
	v_add_f64 v[8:9], v[105:106], v[34:35]
	scratch_store_b64 off, v[8:9], off offset:108 ; 8-byte Folded Spill
	ds_load_b128 v[52:55], v100 offset:12800
	ds_load_b128 v[66:69], v100 offset:13056
	s_waitcnt lgkmcnt(1)
	v_add_f64 v[8:9], v[2:3], v[54:55]
	scratch_store_b64 off, v[8:9], off offset:148 ; 8-byte Folded Spill
	v_add_f64 v[8:9], v[0:1], v[52:53]
	scratch_store_b64 off, v[8:9], off offset:172 ; 8-byte Folded Spill
	;; [unrolled: 2-line block ×8, first 2 shown]
	s_waitcnt lgkmcnt(0)
	v_add_f64 v[8:9], v[2:3], v[68:69]
	scratch_store_b64 off, v[8:9], off offset:180 ; 8-byte Folded Spill
	v_add_f64 v[8:9], v[0:1], v[66:67]
	scratch_store_b64 off, v[8:9], off offset:188 ; 8-byte Folded Spill
	;; [unrolled: 2-line block ×8, first 2 shown]
	v_mov_b32_e32 v9, v87
	ds_load_b128 v[84:87], v100 offset:13312
	ds_load_b128 v[109:112], v100 offset:13568
	v_mov_b32_e32 v8, v58
	s_waitcnt lgkmcnt(1)
	v_add_f64 v[13:14], v[2:3], v[86:87]
	s_waitcnt lgkmcnt(0)
	v_add_f64 v[80:81], v[6:7], v[111:112]
	v_add_f64 v[88:89], v[4:5], v[109:110]
	;; [unrolled: 1-line block ×6, first 2 shown]
	scratch_store_b64 off, v[13:14], off offset:276 ; 8-byte Folded Spill
	v_add_f64 v[13:14], v[0:1], v[84:85]
	scratch_store_b64 off, v[13:14], off offset:300 ; 8-byte Folded Spill
	v_add_f64 v[13:14], v[6:7], v[86:87]
	;; [unrolled: 2-line block ×6, first 2 shown]
	v_add_f64 v[86:87], v[0:1], v[109:110]
	scratch_store_b64 off, v[13:14], off offset:244 ; 8-byte Folded Spill
	v_add_f64 v[13:14], v[105:106], v[84:85]
	v_add_f64 v[84:85], v[2:3], v[111:112]
	scratch_store_b64 off, v[13:14], off offset:268 ; 8-byte Folded Spill
	ds_load_b128 v[109:112], v100 offset:13824
	ds_load_b128 v[182:185], v100 offset:14080
	s_waitcnt lgkmcnt(1)
	v_add_f64 v[119:120], v[2:3], v[111:112]
	v_add_f64 v[121:122], v[0:1], v[109:110]
	v_add_f64 v[123:124], v[6:7], v[111:112]
	v_add_f64 v[125:126], v[4:5], v[109:110]
	v_add_f64 v[127:128], v[103:104], v[111:112]
	v_add_f64 v[129:130], v[101:102], v[109:110]
	v_add_f64 v[131:132], v[107:108], v[111:112]
	v_add_f64 v[133:134], v[105:106], v[109:110]
	s_waitcnt lgkmcnt(0)
	v_add_f64 v[135:136], v[2:3], v[184:185]
	v_add_f64 v[137:138], v[0:1], v[182:183]
	v_add_f64 v[139:140], v[6:7], v[184:185]
	v_add_f64 v[141:142], v[4:5], v[182:183]
	v_add_f64 v[143:144], v[103:104], v[184:185]
	v_add_f64 v[145:146], v[101:102], v[182:183]
	v_add_f64 v[147:148], v[107:108], v[184:185]
	v_add_f64 v[149:150], v[105:106], v[182:183]
	ds_load_b128 v[109:112], v100 offset:14336
	ds_load_b128 v[182:185], v100 offset:14592
	s_waitcnt lgkmcnt(1)
	v_add_f64 v[66:67], v[2:3], v[111:112]
	v_add_f64 v[153:154], v[0:1], v[109:110]
	v_add_f64 v[155:156], v[6:7], v[111:112]
	v_add_f64 v[157:158], v[4:5], v[109:110]
	v_add_f64 v[159:160], v[103:104], v[111:112]
	v_add_f64 v[161:162], v[101:102], v[109:110]
	v_add_f64 v[186:187], v[107:108], v[111:112]
	v_add_f64 v[188:189], v[105:106], v[109:110]
	s_waitcnt lgkmcnt(0)
	v_add_f64 v[190:191], v[2:3], v[184:185]
	v_add_f64 v[192:193], v[0:1], v[182:183]
	v_add_f64 v[194:195], v[6:7], v[184:185]
	v_add_f64 v[196:197], v[4:5], v[182:183]
	v_add_f64 v[198:199], v[103:104], v[184:185]
	v_add_f64 v[200:201], v[101:102], v[182:183]
	v_add_f64 v[202:203], v[107:108], v[184:185]
	v_add_f64 v[204:205], v[105:106], v[182:183]
	;; [unrolled: 20-line block ×4, first 2 shown]
	ds_load_b128 v[109:112], v100 offset:15872
	ds_load_b128 v[182:185], v100 offset:16128
	s_waitcnt lgkmcnt(1)
	v_add_f64 v[19:20], v[101:102], v[109:110]
	s_waitcnt lgkmcnt(0)
	v_add_f64 v[100:101], v[101:102], v[182:183]
	v_cvt_f32_f64_e32 v102, v[115:116]
	scratch_load_b64 v[115:116], off, off offset:4 ; 8-byte Folded Reload
	v_add_f64 v[13:14], v[0:1], v[109:110]
	v_add_f64 v[15:16], v[4:5], v[109:110]
	;; [unrolled: 1-line block ×6, first 2 shown]
	v_mov_b32_e32 v182, v226
	v_add_f64 v[17:18], v[2:3], v[111:112]
	v_add_f64 v[2:3], v[2:3], v[184:185]
	;; [unrolled: 1-line block ×8, first 2 shown]
	v_cvt_f32_f64_e32 v33, v[33:34]
	v_cvt_f32_f64_e32 v34, v[46:47]
	;; [unrolled: 1-line block ×8, first 2 shown]
	v_min3_f32 v181, v37, v102, v181
	scratch_load_b64 v[37:38], off, off offset:28 ; 8-byte Folded Reload
	v_cvt_f32_f64_e32 v0, v[0:1]
	v_cvt_f32_f64_e32 v1, v[2:3]
	v_min3_f32 v255, v33, v34, v255
	v_min3_f32 v228, v29, v30, v228
	;; [unrolled: 1-line block ×5, first 2 shown]
	v_cvt_f32_f64_e32 v0, v[4:5]
	v_cvt_f32_f64_e32 v1, v[6:7]
	s_delay_alu instid0(VALU_DEP_1) | instskip(SKIP_2) | instid1(VALU_DEP_1)
	v_min3_f32 v207, v0, v1, v207
	v_cvt_f32_f64_e32 v0, v[100:101]
	v_cvt_f32_f64_e32 v1, v[103:104]
	v_min3_f32 v206, v0, v1, v206
	v_cvt_f32_f64_e32 v0, v[105:106]
	v_cvt_f32_f64_e32 v1, v[107:108]
	s_waitcnt vmcnt(1)
	v_cvt_f32_f64_e32 v102, v[115:116]
	scratch_load_b64 v[115:116], off, off offset:20 ; 8-byte Folded Reload
	s_waitcnt vmcnt(1)
	v_cvt_f32_f64_e32 v37, v[37:38]
	s_delay_alu instid0(VALU_DEP_1)
	v_min3_f32 v180, v37, v102, v180
	scratch_load_b64 v[37:38], off, off offset:44 ; 8-byte Folded Reload
	s_waitcnt vmcnt(1)
	v_cvt_f32_f64_e32 v102, v[115:116]
	scratch_load_b64 v[115:116], off, off offset:12 ; 8-byte Folded Reload
	s_waitcnt vmcnt(1)
	v_cvt_f32_f64_e32 v37, v[37:38]
	s_delay_alu instid0(VALU_DEP_1)
	v_min3_f32 v179, v37, v102, v179
	scratch_load_b64 v[37:38], off, off offset:36 ; 8-byte Folded Reload
	;; [unrolled: 8-line block ×9, first 2 shown]
	v_mov_b32_e32 v42, v10
	s_waitcnt vmcnt(0)
	v_cvt_f32_f64_e32 v37, v[37:38]
	v_cvt_f32_f64_e32 v38, v[115:116]
	scratch_load_b64 v[115:116], off, off offset:116 ; 8-byte Folded Reload
	v_min3_f32 v169, v37, v38, v169
	scratch_load_b64 v[37:38], off, off offset:140 ; 8-byte Folded Reload
	s_waitcnt vmcnt(0)
	v_cvt_f32_f64_e32 v37, v[37:38]
	v_cvt_f32_f64_e32 v38, v[115:116]
	scratch_load_b64 v[115:116], off, off offset:180 ; 8-byte Folded Reload
	v_min3_f32 v168, v37, v38, v168
	scratch_load_b64 v[37:38], off, off offset:188 ; 8-byte Folded Reload
	;; [unrolled: 6-line block ×9, first 2 shown]
	s_waitcnt vmcnt(0)
	v_cvt_f32_f64_e32 v37, v[37:38]
	v_cvt_f32_f64_e32 v38, v[115:116]
	s_delay_alu instid0(VALU_DEP_1) | instskip(SKIP_4) | instid1(VALU_DEP_3)
	v_min3_f32 v174, v37, v38, v174
	v_cvt_f32_f64_e32 v37, v[86:87]
	v_cvt_f32_f64_e32 v38, v[84:85]
	v_mov_b32_e32 v87, v9
	v_cvt_f32_f64_e32 v9, v[17:18]
	v_min3_f32 v83, v37, v38, v83
	v_cvt_f32_f64_e32 v37, v[88:89]
	v_cvt_f32_f64_e32 v38, v[80:81]
	s_delay_alu instid0(VALU_DEP_1) | instskip(SKIP_2) | instid1(VALU_DEP_1)
	v_min3_f32 v82, v37, v38, v82
	v_cvt_f32_f64_e32 v37, v[92:93]
	v_cvt_f32_f64_e32 v38, v[68:69]
	v_min3_f32 v99, v37, v38, v99
	v_cvt_f32_f64_e32 v37, v[96:97]
	v_cvt_f32_f64_e32 v38, v[94:95]
	s_delay_alu instid0(VALU_DEP_1) | instskip(SKIP_2) | instid1(VALU_DEP_1)
	v_min3_f32 v98, v37, v38, v98
	v_cvt_f32_f64_e32 v37, v[121:122]
	;; [unrolled: 7-line block ×6, first 2 shown]
	v_cvt_f32_f64_e32 v38, v[66:67]
	v_min3_f32 v74, v37, v38, v74
	v_cvt_f32_f64_e32 v37, v[157:158]
	v_cvt_f32_f64_e32 v38, v[155:156]
	v_mov_b32_e32 v156, v225
	s_delay_alu instid0(VALU_DEP_2) | instskip(SKIP_2) | instid1(VALU_DEP_1)
	v_min3_f32 v75, v37, v38, v75
	v_cvt_f32_f64_e32 v37, v[161:162]
	v_cvt_f32_f64_e32 v38, v[159:160]
	v_min3_f32 v42, v37, v38, v42
	v_cvt_f32_f64_e32 v37, v[188:189]
	v_cvt_f32_f64_e32 v38, v[186:187]
	s_delay_alu instid0(VALU_DEP_1) | instskip(SKIP_2) | instid1(VALU_DEP_1)
	v_min3_f32 v87, v37, v38, v87
	v_cvt_f32_f64_e32 v37, v[192:193]
	v_cvt_f32_f64_e32 v38, v[190:191]
	v_min3_f32 v156, v37, v38, v156
	v_cvt_f32_f64_e32 v37, v[196:197]
	v_cvt_f32_f64_e32 v38, v[194:195]
	s_delay_alu instid0(VALU_DEP_1) | instskip(SKIP_2) | instid1(VALU_DEP_1)
	v_min3_f32 v73, v37, v38, v73
	v_cvt_f32_f64_e32 v37, v[200:201]
	v_cvt_f32_f64_e32 v38, v[198:199]
	v_min3_f32 v72, v37, v38, v72
	v_cvt_f32_f64_e32 v37, v[204:205]
	v_cvt_f32_f64_e32 v38, v[202:203]
	v_mov_b32_e32 v205, v163
	s_delay_alu instid0(VALU_DEP_1) | instskip(NEXT) | instid1(VALU_DEP_3)
	v_min3_f32 v205, v0, v1, v205
	v_min3_f32 v62, v37, v38, v62
	v_cvt_f32_f64_e32 v37, v[56:57]
	v_cvt_f32_f64_e32 v38, v[60:61]
	s_delay_alu instid0(VALU_DEP_1) | instskip(SKIP_4) | instid1(VALU_DEP_3)
	v_min3_f32 v152, v37, v38, v152
	v_cvt_f32_f64_e32 v37, v[58:59]
	v_cvt_f32_f64_e32 v38, v[64:65]
	v_mov_b32_e32 v58, v8
	v_cvt_f32_f64_e32 v8, v[13:14]
	v_min3_f32 v151, v37, v38, v151
	v_cvt_f32_f64_e32 v37, v[216:217]
	v_cvt_f32_f64_e32 v38, v[214:215]
	s_delay_alu instid0(VALU_DEP_4)
	v_min3_f32 v213, v8, v9, v213
	v_cvt_f32_f64_e32 v8, v[15:16]
	scratch_load_b32 v16, off, off          ; 4-byte Folded Reload
	v_cvt_f32_f64_e32 v9, v[27:28]
	v_min3_f32 v182, v37, v38, v182
	v_cvt_f32_f64_e32 v37, v[221:222]
	v_mov_b32_e32 v221, v114
	v_cvt_f32_f64_e32 v38, v[218:219]
	v_dual_mov_b32 v219, v229 :: v_dual_mov_b32 v218, v91
	scratch_load_b32 v91, off, off offset:316 ; 4-byte Folded Reload
	v_min3_f32 v212, v8, v9, v212
	v_cvt_f32_f64_e32 v8, v[19:20]
	v_cvt_f32_f64_e32 v9, v[31:32]
	v_min3_f32 v11, v37, v38, v11
	v_cvt_f32_f64_e32 v37, v[54:55]
	v_cvt_f32_f64_e32 v38, v[164:165]
	s_delay_alu instid0(VALU_DEP_4) | instskip(SKIP_2) | instid1(VALU_DEP_4)
	v_min3_f32 v210, v8, v9, v210
	v_cvt_f32_f64_e32 v8, v[109:110]
	v_cvt_f32_f64_e32 v9, v[111:112]
	v_min3_f32 v58, v37, v38, v58
	v_cvt_f32_f64_e32 v37, v[50:51]
	v_cvt_f32_f64_e32 v38, v[52:53]
	s_delay_alu instid0(VALU_DEP_4) | instskip(NEXT) | instid1(VALU_DEP_2)
	v_min3_f32 v209, v8, v9, v209
	v_min3_f32 v219, v37, v38, v219
	v_cvt_f32_f64_e32 v37, v[234:235]
	v_cvt_f32_f64_e32 v38, v[166:167]
	s_delay_alu instid0(VALU_DEP_1) | instskip(SKIP_2) | instid1(VALU_DEP_1)
	v_min3_f32 v227, v37, v38, v227
	v_cvt_f32_f64_e32 v37, v[238:239]
	v_cvt_f32_f64_e32 v38, v[236:237]
	v_min3_f32 v218, v37, v38, v218
	v_cvt_f32_f64_e32 v37, v[242:243]
	v_cvt_f32_f64_e32 v38, v[240:241]
	s_delay_alu instid0(VALU_DEP_1) | instskip(SKIP_2) | instid1(VALU_DEP_1)
	v_min3_f32 v63, v37, v38, v63
	v_cvt_f32_f64_e32 v37, v[246:247]
	v_cvt_f32_f64_e32 v38, v[244:245]
	;; [unrolled: 7-line block ×3, first 2 shown]
	v_min3_f32 v233, v37, v38, v233
	s_cbranch_vccz .LBB116_53
; %bb.54:
	s_clause 0x2
	s_load_b32 s6, s[0:1], 0x58
	s_load_b32 s5, s[0:1], 0x70
	s_load_b64 s[2:3], s[0:1], 0x78
	s_waitcnt vmcnt(1)
	v_add_nc_u32_e32 v17, s14, v16
	s_waitcnt vmcnt(0)
	v_add_nc_u32_e32 v0, s7, v91
	v_cndmask_b32_e64 v16, 0, 1, s15
	s_delay_alu instid0(VALU_DEP_3) | instskip(NEXT) | instid1(VALU_DEP_3)
	v_cmp_gt_i32_e64 s4, s17, v17
	v_cmp_gt_i32_e64 s0, s16, v0
	v_ashrrev_i32_e32 v1, 31, v0
	s_waitcnt lgkmcnt(0)
	v_mad_i64_i32 v[2:3], null, v17, s6, 0
	v_mad_i64_i32 v[4:5], null, v17, s5, 0
	s_lshl_b64 s[2:3], s[2:3], 3
	s_delay_alu instid0(SALU_CYCLE_1) | instskip(SKIP_1) | instid1(VALU_DEP_2)
	s_add_u32 s7, s12, s2
	s_addc_u32 s12, s13, s3
	v_lshlrev_b64 v[2:3], 3, v[2:3]
	s_and_b32 s2, s0, s4
	s_delay_alu instid0(VALU_DEP_2) | instskip(NEXT) | instid1(VALU_DEP_2)
	v_lshlrev_b64 v[4:5], 3, v[4:5]
	v_add_co_u32 v8, vcc_lo, s8, v2
	s_delay_alu instid0(VALU_DEP_3) | instskip(NEXT) | instid1(VALU_DEP_3)
	v_add_co_ci_u32_e32 v9, vcc_lo, s9, v3, vcc_lo
	v_add_co_u32 v10, vcc_lo, s7, v4
	s_delay_alu instid0(VALU_DEP_4) | instskip(SKIP_4) | instid1(SALU_CYCLE_1)
	v_add_co_ci_u32_e32 v13, vcc_lo, s12, v5, vcc_lo
	s_mov_b32 s1, exec_lo
	v_mov_b32_e32 v22, v152
	v_mov_b32_e32 v26, v71
	s_and_b32 s2, s1, s2
	s_mov_b32 exec_lo, s2
	s_cbranch_execz .LBB116_59
; %bb.55:
	s_and_not1_b32 vcc_lo, exec_lo, s15
	s_cbranch_vccnz .LBB116_57
; %bb.56:
	v_lshlrev_b64 v[2:3], 3, v[0:1]
	s_delay_alu instid0(VALU_DEP_1) | instskip(NEXT) | instid1(VALU_DEP_2)
	v_add_co_u32 v2, vcc_lo, v8, v2
	v_add_co_ci_u32_e32 v3, vcc_lo, v9, v3, vcc_lo
	flat_load_b64 v[2:3], v[2:3]
	s_waitcnt vmcnt(0) lgkmcnt(0)
	v_mul_f64 v[2:3], v[2:3], s[10:11]
	s_branch .LBB116_58
.LBB116_57:
	v_mov_b32_e32 v2, 0
	v_mov_b32_e32 v3, 0
.LBB116_58:
	s_delay_alu instid0(VALU_DEP_1) | instskip(SKIP_2) | instid1(VALU_DEP_1)
	v_cvt_f32_f64_e32 v2, v[2:3]
	v_max_f32_e32 v3, v181, v181
	v_lshlrev_b64 v[4:5], 3, v[0:1]
	v_add_co_u32 v4, vcc_lo, v10, v4
	s_delay_alu instid0(VALU_DEP_2) | instskip(NEXT) | instid1(VALU_DEP_4)
	v_add_co_ci_u32_e32 v5, vcc_lo, v13, v5, vcc_lo
	v_min_f32_e32 v2, v2, v3
	s_delay_alu instid0(VALU_DEP_1)
	v_cvt_f64_f32_e32 v[2:3], v2
	global_store_b64 v[4:5], v[2:3], off
.LBB116_59:
	s_or_b32 exec_lo, exec_lo, s1
	v_add_nc_u32_e32 v2, 32, v0
	s_delay_alu instid0(VALU_DEP_1) | instskip(SKIP_1) | instid1(VALU_DEP_2)
	v_cmp_gt_i32_e64 s1, s16, v2
	v_ashrrev_i32_e32 v3, 31, v2
	s_and_b32 s3, s1, s4
	s_delay_alu instid0(SALU_CYCLE_1)
	s_and_saveexec_b32 s2, s3
	s_cbranch_execz .LBB116_64
; %bb.60:
	v_cmp_ne_u32_e32 vcc_lo, 1, v16
	s_cbranch_vccnz .LBB116_62
; %bb.61:
	v_lshlrev_b64 v[4:5], 3, v[2:3]
	s_delay_alu instid0(VALU_DEP_1) | instskip(NEXT) | instid1(VALU_DEP_2)
	v_add_co_u32 v4, vcc_lo, v8, v4
	v_add_co_ci_u32_e32 v5, vcc_lo, v9, v5, vcc_lo
	flat_load_b64 v[4:5], v[4:5]
	s_waitcnt vmcnt(0) lgkmcnt(0)
	v_mul_f64 v[4:5], v[4:5], s[10:11]
	s_branch .LBB116_63
.LBB116_62:
	v_mov_b32_e32 v4, 0
	v_mov_b32_e32 v5, 0
.LBB116_63:
	s_delay_alu instid0(VALU_DEP_1) | instskip(SKIP_2) | instid1(VALU_DEP_1)
	v_cvt_f32_f64_e32 v4, v[4:5]
	v_max_f32_e32 v5, v180, v180
	v_lshlrev_b64 v[6:7], 3, v[2:3]
	v_add_co_u32 v6, vcc_lo, v10, v6
	s_delay_alu instid0(VALU_DEP_2) | instskip(NEXT) | instid1(VALU_DEP_4)
	v_add_co_ci_u32_e32 v7, vcc_lo, v13, v7, vcc_lo
	v_min_f32_e32 v4, v4, v5
	s_delay_alu instid0(VALU_DEP_1)
	v_cvt_f64_f32_e32 v[4:5], v4
	global_store_b64 v[6:7], v[4:5], off
.LBB116_64:
	s_or_b32 exec_lo, exec_lo, s2
	v_add_nc_u32_e32 v4, 64, v0
	s_delay_alu instid0(VALU_DEP_1) | instskip(SKIP_1) | instid1(VALU_DEP_2)
	v_cmp_gt_i32_e64 s2, s16, v4
	v_ashrrev_i32_e32 v5, 31, v4
	s_and_b32 s13, s2, s4
	s_delay_alu instid0(SALU_CYCLE_1)
	s_and_saveexec_b32 s3, s13
	s_cbranch_execz .LBB116_69
; %bb.65:
	v_cmp_ne_u32_e32 vcc_lo, 1, v16
	s_cbranch_vccnz .LBB116_67
; %bb.66:
	v_lshlrev_b64 v[6:7], 3, v[4:5]
	s_delay_alu instid0(VALU_DEP_1) | instskip(NEXT) | instid1(VALU_DEP_2)
	v_add_co_u32 v6, vcc_lo, v8, v6
	v_add_co_ci_u32_e32 v7, vcc_lo, v9, v7, vcc_lo
	flat_load_b64 v[6:7], v[6:7]
	s_waitcnt vmcnt(0) lgkmcnt(0)
	v_mul_f64 v[6:7], v[6:7], s[10:11]
	s_branch .LBB116_68
.LBB116_67:
	v_mov_b32_e32 v6, 0
	v_mov_b32_e32 v7, 0
.LBB116_68:
	s_delay_alu instid0(VALU_DEP_1) | instskip(SKIP_2) | instid1(VALU_DEP_1)
	v_cvt_f32_f64_e32 v6, v[6:7]
	v_max_f32_e32 v7, v179, v179
	v_lshlrev_b64 v[14:15], 3, v[4:5]
	v_add_co_u32 v14, vcc_lo, v10, v14
	s_delay_alu instid0(VALU_DEP_2) | instskip(NEXT) | instid1(VALU_DEP_4)
	v_add_co_ci_u32_e32 v15, vcc_lo, v13, v15, vcc_lo
	v_min_f32_e32 v6, v6, v7
	s_delay_alu instid0(VALU_DEP_1)
	v_cvt_f64_f32_e32 v[6:7], v6
	global_store_b64 v[14:15], v[6:7], off
.LBB116_69:
	s_or_b32 exec_lo, exec_lo, s3
	v_add_nc_u32_e32 v6, 0x60, v0
	s_delay_alu instid0(VALU_DEP_1) | instskip(SKIP_1) | instid1(VALU_DEP_2)
	v_cmp_gt_i32_e64 s3, s16, v6
	v_ashrrev_i32_e32 v7, 31, v6
	s_and_b32 s13, s3, s4
	s_delay_alu instid0(SALU_CYCLE_1)
	s_and_saveexec_b32 s4, s13
	s_cbranch_execz .LBB116_74
; %bb.70:
	v_cmp_ne_u32_e32 vcc_lo, 1, v16
	v_mov_b32_e32 v18, v11
	s_cbranch_vccnz .LBB116_72
; %bb.71:
	v_lshlrev_b64 v[14:15], 3, v[6:7]
	s_delay_alu instid0(VALU_DEP_1) | instskip(NEXT) | instid1(VALU_DEP_2)
	v_add_co_u32 v8, vcc_lo, v8, v14
	v_add_co_ci_u32_e32 v9, vcc_lo, v9, v15, vcc_lo
	flat_load_b64 v[8:9], v[8:9]
	s_waitcnt vmcnt(0) lgkmcnt(0)
	v_mul_f64 v[8:9], v[8:9], s[10:11]
	s_branch .LBB116_73
.LBB116_72:
	v_mov_b32_e32 v8, 0
	v_mov_b32_e32 v9, 0
.LBB116_73:
	s_delay_alu instid0(VALU_DEP_1) | instskip(SKIP_2) | instid1(VALU_DEP_1)
	v_cvt_f32_f64_e32 v8, v[8:9]
	v_max_f32_e32 v9, v178, v178
	v_lshlrev_b64 v[14:15], 3, v[6:7]
	v_add_co_u32 v10, vcc_lo, v10, v14
	s_delay_alu instid0(VALU_DEP_2) | instskip(NEXT) | instid1(VALU_DEP_4)
	v_add_co_ci_u32_e32 v11, vcc_lo, v13, v15, vcc_lo
	v_min_f32_e32 v8, v8, v9
	s_delay_alu instid0(VALU_DEP_1)
	v_cvt_f64_f32_e32 v[8:9], v8
	global_store_b64 v[10:11], v[8:9], off
	v_mov_b32_e32 v11, v18
.LBB116_74:
	s_or_b32 exec_lo, exec_lo, s4
	v_add_nc_u32_e32 v13, 8, v17
	s_delay_alu instid0(VALU_DEP_2) | instskip(NEXT) | instid1(VALU_DEP_2)
	v_mov_b32_e32 v21, v11
	v_mad_i64_i32 v[8:9], null, v13, s6, 0
	v_mad_i64_i32 v[10:11], null, v13, s5, 0
	v_cmp_gt_i32_e64 s4, s17, v13
	s_delay_alu instid0(VALU_DEP_3) | instskip(NEXT) | instid1(VALU_DEP_2)
	v_lshlrev_b64 v[8:9], 3, v[8:9]
	s_and_b32 s14, s0, s4
	s_delay_alu instid0(VALU_DEP_3) | instskip(NEXT) | instid1(VALU_DEP_2)
	v_lshlrev_b64 v[10:11], 3, v[10:11]
	v_add_co_u32 v14, vcc_lo, s8, v8
	s_delay_alu instid0(VALU_DEP_3) | instskip(NEXT) | instid1(VALU_DEP_3)
	v_add_co_ci_u32_e32 v15, vcc_lo, s9, v9, vcc_lo
	v_add_co_u32 v10, vcc_lo, s7, v10
	s_delay_alu instid0(VALU_DEP_4)
	v_add_co_ci_u32_e32 v13, vcc_lo, s12, v11, vcc_lo
	s_and_saveexec_b32 s13, s14
	s_cbranch_execnz .LBB116_78
; %bb.75:
	s_or_b32 exec_lo, exec_lo, s13
	s_and_b32 s14, s1, s4
	s_delay_alu instid0(SALU_CYCLE_1)
	s_and_saveexec_b32 s13, s14
	s_cbranch_execnz .LBB116_82
.LBB116_76:
	s_or_b32 exec_lo, exec_lo, s13
	s_and_b32 s14, s2, s4
	s_delay_alu instid0(SALU_CYCLE_1)
	s_and_saveexec_b32 s13, s14
	s_cbranch_execnz .LBB116_86
.LBB116_77:
	s_or_b32 exec_lo, exec_lo, s13
	s_and_b32 s13, s3, s4
	s_delay_alu instid0(SALU_CYCLE_1)
	s_and_saveexec_b32 s4, s13
	s_cbranch_execnz .LBB116_90
	s_branch .LBB116_94
.LBB116_78:
	v_cmp_ne_u32_e32 vcc_lo, 1, v16
	s_cbranch_vccnz .LBB116_80
; %bb.79:
	v_lshlrev_b64 v[8:9], 3, v[0:1]
	s_delay_alu instid0(VALU_DEP_1) | instskip(NEXT) | instid1(VALU_DEP_2)
	v_add_co_u32 v8, vcc_lo, v14, v8
	v_add_co_ci_u32_e32 v9, vcc_lo, v15, v9, vcc_lo
	flat_load_b64 v[8:9], v[8:9]
	s_waitcnt vmcnt(0) lgkmcnt(0)
	v_mul_f64 v[8:9], v[8:9], s[10:11]
	s_branch .LBB116_81
.LBB116_80:
	v_mov_b32_e32 v8, 0
	v_mov_b32_e32 v9, 0
.LBB116_81:
	s_delay_alu instid0(VALU_DEP_1) | instskip(SKIP_2) | instid1(VALU_DEP_1)
	v_cvt_f32_f64_e32 v8, v[8:9]
	v_max_f32_e32 v9, v177, v177
	v_lshlrev_b64 v[18:19], 3, v[0:1]
	v_add_co_u32 v18, vcc_lo, v10, v18
	s_delay_alu instid0(VALU_DEP_2) | instskip(NEXT) | instid1(VALU_DEP_4)
	v_add_co_ci_u32_e32 v19, vcc_lo, v13, v19, vcc_lo
	v_min_f32_e32 v8, v8, v9
	s_delay_alu instid0(VALU_DEP_1) | instskip(SKIP_3) | instid1(SALU_CYCLE_1)
	v_cvt_f64_f32_e32 v[8:9], v8
	global_store_b64 v[18:19], v[8:9], off
	s_or_b32 exec_lo, exec_lo, s13
	s_and_b32 s14, s1, s4
	s_and_saveexec_b32 s13, s14
	s_cbranch_execz .LBB116_76
.LBB116_82:
	v_cmp_ne_u32_e32 vcc_lo, 1, v16
	s_cbranch_vccnz .LBB116_84
; %bb.83:
	v_lshlrev_b64 v[8:9], 3, v[2:3]
	s_delay_alu instid0(VALU_DEP_1) | instskip(NEXT) | instid1(VALU_DEP_2)
	v_add_co_u32 v8, vcc_lo, v14, v8
	v_add_co_ci_u32_e32 v9, vcc_lo, v15, v9, vcc_lo
	flat_load_b64 v[8:9], v[8:9]
	s_waitcnt vmcnt(0) lgkmcnt(0)
	v_mul_f64 v[8:9], v[8:9], s[10:11]
	s_branch .LBB116_85
.LBB116_84:
	v_mov_b32_e32 v8, 0
	v_mov_b32_e32 v9, 0
.LBB116_85:
	s_delay_alu instid0(VALU_DEP_1) | instskip(SKIP_2) | instid1(VALU_DEP_1)
	v_cvt_f32_f64_e32 v8, v[8:9]
	v_max_f32_e32 v9, v176, v176
	v_lshlrev_b64 v[18:19], 3, v[2:3]
	v_add_co_u32 v18, vcc_lo, v10, v18
	s_delay_alu instid0(VALU_DEP_2) | instskip(NEXT) | instid1(VALU_DEP_4)
	v_add_co_ci_u32_e32 v19, vcc_lo, v13, v19, vcc_lo
	v_min_f32_e32 v8, v8, v9
	s_delay_alu instid0(VALU_DEP_1) | instskip(SKIP_3) | instid1(SALU_CYCLE_1)
	v_cvt_f64_f32_e32 v[8:9], v8
	global_store_b64 v[18:19], v[8:9], off
	s_or_b32 exec_lo, exec_lo, s13
	s_and_b32 s14, s2, s4
	s_and_saveexec_b32 s13, s14
	s_cbranch_execz .LBB116_77
.LBB116_86:
	v_cmp_ne_u32_e32 vcc_lo, 1, v16
	s_cbranch_vccnz .LBB116_88
; %bb.87:
	v_lshlrev_b64 v[8:9], 3, v[4:5]
	s_delay_alu instid0(VALU_DEP_1) | instskip(NEXT) | instid1(VALU_DEP_2)
	v_add_co_u32 v8, vcc_lo, v14, v8
	v_add_co_ci_u32_e32 v9, vcc_lo, v15, v9, vcc_lo
	flat_load_b64 v[8:9], v[8:9]
	s_waitcnt vmcnt(0) lgkmcnt(0)
	v_mul_f64 v[8:9], v[8:9], s[10:11]
	s_branch .LBB116_89
.LBB116_88:
	v_mov_b32_e32 v8, 0
	v_mov_b32_e32 v9, 0
.LBB116_89:
	s_delay_alu instid0(VALU_DEP_1) | instskip(SKIP_2) | instid1(VALU_DEP_1)
	v_cvt_f32_f64_e32 v8, v[8:9]
	v_max_f32_e32 v9, v175, v175
	v_lshlrev_b64 v[18:19], 3, v[4:5]
	v_add_co_u32 v18, vcc_lo, v10, v18
	s_delay_alu instid0(VALU_DEP_2) | instskip(NEXT) | instid1(VALU_DEP_4)
	v_add_co_ci_u32_e32 v19, vcc_lo, v13, v19, vcc_lo
	v_min_f32_e32 v8, v8, v9
	s_delay_alu instid0(VALU_DEP_1) | instskip(SKIP_3) | instid1(SALU_CYCLE_1)
	v_cvt_f64_f32_e32 v[8:9], v8
	global_store_b64 v[18:19], v[8:9], off
	s_or_b32 exec_lo, exec_lo, s13
	s_and_b32 s13, s3, s4
	s_and_saveexec_b32 s4, s13
	s_cbranch_execz .LBB116_94
.LBB116_90:
	v_cmp_ne_u32_e32 vcc_lo, 1, v16
	s_cbranch_vccnz .LBB116_92
; %bb.91:
	v_lshlrev_b64 v[8:9], 3, v[6:7]
	s_delay_alu instid0(VALU_DEP_1) | instskip(NEXT) | instid1(VALU_DEP_2)
	v_add_co_u32 v8, vcc_lo, v14, v8
	v_add_co_ci_u32_e32 v9, vcc_lo, v15, v9, vcc_lo
	flat_load_b64 v[8:9], v[8:9]
	s_waitcnt vmcnt(0) lgkmcnt(0)
	v_mul_f64 v[8:9], v[8:9], s[10:11]
	s_branch .LBB116_93
.LBB116_92:
	v_mov_b32_e32 v8, 0
	v_mov_b32_e32 v9, 0
.LBB116_93:
	s_delay_alu instid0(VALU_DEP_1) | instskip(SKIP_2) | instid1(VALU_DEP_1)
	v_cvt_f32_f64_e32 v8, v[8:9]
	v_max_f32_e32 v9, v173, v173
	v_lshlrev_b64 v[14:15], 3, v[6:7]
	v_add_co_u32 v10, vcc_lo, v10, v14
	s_delay_alu instid0(VALU_DEP_2) | instskip(NEXT) | instid1(VALU_DEP_4)
	v_add_co_ci_u32_e32 v11, vcc_lo, v13, v15, vcc_lo
	v_min_f32_e32 v8, v8, v9
	s_delay_alu instid0(VALU_DEP_1)
	v_cvt_f64_f32_e32 v[8:9], v8
	global_store_b64 v[10:11], v[8:9], off
.LBB116_94:
	s_or_b32 exec_lo, exec_lo, s4
	v_add_nc_u32_e32 v13, 16, v17
	s_delay_alu instid0(VALU_DEP_1) | instskip(SKIP_2) | instid1(VALU_DEP_3)
	v_mad_i64_i32 v[8:9], null, v13, s6, 0
	v_mad_i64_i32 v[10:11], null, v13, s5, 0
	v_cmp_gt_i32_e64 s4, s17, v13
	v_lshlrev_b64 v[8:9], 3, v[8:9]
	s_delay_alu instid0(VALU_DEP_2) | instskip(NEXT) | instid1(VALU_DEP_3)
	s_and_b32 s14, s0, s4
	v_lshlrev_b64 v[10:11], 3, v[10:11]
	s_delay_alu instid0(VALU_DEP_2) | instskip(NEXT) | instid1(VALU_DEP_3)
	v_add_co_u32 v14, vcc_lo, s8, v8
	v_add_co_ci_u32_e32 v15, vcc_lo, s9, v9, vcc_lo
	s_delay_alu instid0(VALU_DEP_3) | instskip(NEXT) | instid1(VALU_DEP_4)
	v_add_co_u32 v10, vcc_lo, s7, v10
	v_add_co_ci_u32_e32 v13, vcc_lo, s12, v11, vcc_lo
	s_and_saveexec_b32 s13, s14
	s_cbranch_execnz .LBB116_98
; %bb.95:
	s_or_b32 exec_lo, exec_lo, s13
	s_and_b32 s14, s1, s4
	s_delay_alu instid0(SALU_CYCLE_1)
	s_and_saveexec_b32 s13, s14
	s_cbranch_execnz .LBB116_102
.LBB116_96:
	s_or_b32 exec_lo, exec_lo, s13
	s_and_b32 s14, s2, s4
	s_delay_alu instid0(SALU_CYCLE_1)
	s_and_saveexec_b32 s13, s14
	s_cbranch_execnz .LBB116_106
.LBB116_97:
	s_or_b32 exec_lo, exec_lo, s13
	s_and_b32 s13, s3, s4
	s_delay_alu instid0(SALU_CYCLE_1)
	s_and_saveexec_b32 s4, s13
	s_cbranch_execnz .LBB116_110
	s_branch .LBB116_114
.LBB116_98:
	v_cmp_ne_u32_e32 vcc_lo, 1, v16
	s_cbranch_vccnz .LBB116_100
; %bb.99:
	v_lshlrev_b64 v[8:9], 3, v[0:1]
	s_delay_alu instid0(VALU_DEP_1) | instskip(NEXT) | instid1(VALU_DEP_2)
	v_add_co_u32 v8, vcc_lo, v14, v8
	v_add_co_ci_u32_e32 v9, vcc_lo, v15, v9, vcc_lo
	flat_load_b64 v[8:9], v[8:9]
	s_waitcnt vmcnt(0) lgkmcnt(0)
	v_mul_f64 v[8:9], v[8:9], s[10:11]
	s_branch .LBB116_101
.LBB116_100:
	v_mov_b32_e32 v8, 0
	v_mov_b32_e32 v9, 0
.LBB116_101:
	s_delay_alu instid0(VALU_DEP_1) | instskip(SKIP_2) | instid1(VALU_DEP_1)
	v_cvt_f32_f64_e32 v8, v[8:9]
	v_max_f32_e32 v9, v171, v171
	v_lshlrev_b64 v[18:19], 3, v[0:1]
	v_add_co_u32 v18, vcc_lo, v10, v18
	s_delay_alu instid0(VALU_DEP_2) | instskip(NEXT) | instid1(VALU_DEP_4)
	v_add_co_ci_u32_e32 v19, vcc_lo, v13, v19, vcc_lo
	v_min_f32_e32 v8, v8, v9
	s_delay_alu instid0(VALU_DEP_1) | instskip(SKIP_3) | instid1(SALU_CYCLE_1)
	v_cvt_f64_f32_e32 v[8:9], v8
	global_store_b64 v[18:19], v[8:9], off
	s_or_b32 exec_lo, exec_lo, s13
	s_and_b32 s14, s1, s4
	s_and_saveexec_b32 s13, s14
	s_cbranch_execz .LBB116_96
.LBB116_102:
	v_cmp_ne_u32_e32 vcc_lo, 1, v16
	s_cbranch_vccnz .LBB116_104
; %bb.103:
	v_lshlrev_b64 v[8:9], 3, v[2:3]
	s_delay_alu instid0(VALU_DEP_1) | instskip(NEXT) | instid1(VALU_DEP_2)
	v_add_co_u32 v8, vcc_lo, v14, v8
	v_add_co_ci_u32_e32 v9, vcc_lo, v15, v9, vcc_lo
	flat_load_b64 v[8:9], v[8:9]
	s_waitcnt vmcnt(0) lgkmcnt(0)
	v_mul_f64 v[8:9], v[8:9], s[10:11]
	s_branch .LBB116_105
.LBB116_104:
	v_mov_b32_e32 v8, 0
	v_mov_b32_e32 v9, 0
.LBB116_105:
	s_delay_alu instid0(VALU_DEP_1) | instskip(SKIP_2) | instid1(VALU_DEP_1)
	v_cvt_f32_f64_e32 v8, v[8:9]
	v_max_f32_e32 v9, v170, v170
	v_lshlrev_b64 v[18:19], 3, v[2:3]
	v_add_co_u32 v18, vcc_lo, v10, v18
	s_delay_alu instid0(VALU_DEP_2) | instskip(NEXT) | instid1(VALU_DEP_4)
	v_add_co_ci_u32_e32 v19, vcc_lo, v13, v19, vcc_lo
	v_min_f32_e32 v8, v8, v9
	s_delay_alu instid0(VALU_DEP_1) | instskip(SKIP_3) | instid1(SALU_CYCLE_1)
	v_cvt_f64_f32_e32 v[8:9], v8
	global_store_b64 v[18:19], v[8:9], off
	s_or_b32 exec_lo, exec_lo, s13
	s_and_b32 s14, s2, s4
	s_and_saveexec_b32 s13, s14
	s_cbranch_execz .LBB116_97
.LBB116_106:
	v_cmp_ne_u32_e32 vcc_lo, 1, v16
	s_cbranch_vccnz .LBB116_108
; %bb.107:
	v_lshlrev_b64 v[8:9], 3, v[4:5]
	s_delay_alu instid0(VALU_DEP_1) | instskip(NEXT) | instid1(VALU_DEP_2)
	v_add_co_u32 v8, vcc_lo, v14, v8
	v_add_co_ci_u32_e32 v9, vcc_lo, v15, v9, vcc_lo
	flat_load_b64 v[8:9], v[8:9]
	s_waitcnt vmcnt(0) lgkmcnt(0)
	v_mul_f64 v[8:9], v[8:9], s[10:11]
	s_branch .LBB116_109
.LBB116_108:
	v_mov_b32_e32 v8, 0
	v_mov_b32_e32 v9, 0
.LBB116_109:
	s_delay_alu instid0(VALU_DEP_1) | instskip(SKIP_2) | instid1(VALU_DEP_1)
	v_cvt_f32_f64_e32 v8, v[8:9]
	v_max_f32_e32 v9, v169, v169
	v_lshlrev_b64 v[18:19], 3, v[4:5]
	v_add_co_u32 v18, vcc_lo, v10, v18
	s_delay_alu instid0(VALU_DEP_2) | instskip(NEXT) | instid1(VALU_DEP_4)
	v_add_co_ci_u32_e32 v19, vcc_lo, v13, v19, vcc_lo
	v_min_f32_e32 v8, v8, v9
	s_delay_alu instid0(VALU_DEP_1) | instskip(SKIP_3) | instid1(SALU_CYCLE_1)
	v_cvt_f64_f32_e32 v[8:9], v8
	global_store_b64 v[18:19], v[8:9], off
	s_or_b32 exec_lo, exec_lo, s13
	s_and_b32 s13, s3, s4
	s_and_saveexec_b32 s4, s13
	s_cbranch_execz .LBB116_114
.LBB116_110:
	v_cmp_ne_u32_e32 vcc_lo, 1, v16
	s_cbranch_vccnz .LBB116_112
; %bb.111:
	v_lshlrev_b64 v[8:9], 3, v[6:7]
	s_delay_alu instid0(VALU_DEP_1) | instskip(NEXT) | instid1(VALU_DEP_2)
	v_add_co_u32 v8, vcc_lo, v14, v8
	v_add_co_ci_u32_e32 v9, vcc_lo, v15, v9, vcc_lo
	flat_load_b64 v[8:9], v[8:9]
	s_waitcnt vmcnt(0) lgkmcnt(0)
	v_mul_f64 v[8:9], v[8:9], s[10:11]
	s_branch .LBB116_113
.LBB116_112:
	v_mov_b32_e32 v8, 0
	v_mov_b32_e32 v9, 0
.LBB116_113:
	s_delay_alu instid0(VALU_DEP_1) | instskip(SKIP_2) | instid1(VALU_DEP_1)
	v_cvt_f32_f64_e32 v8, v[8:9]
	v_max_f32_e32 v9, v168, v168
	v_lshlrev_b64 v[14:15], 3, v[6:7]
	v_add_co_u32 v10, vcc_lo, v10, v14
	s_delay_alu instid0(VALU_DEP_2) | instskip(NEXT) | instid1(VALU_DEP_4)
	v_add_co_ci_u32_e32 v11, vcc_lo, v13, v15, vcc_lo
	v_min_f32_e32 v8, v8, v9
	s_delay_alu instid0(VALU_DEP_1)
	v_cvt_f64_f32_e32 v[8:9], v8
	global_store_b64 v[10:11], v[8:9], off
.LBB116_114:
	s_or_b32 exec_lo, exec_lo, s4
	v_add_nc_u32_e32 v13, 24, v17
	s_delay_alu instid0(VALU_DEP_1) | instskip(SKIP_2) | instid1(VALU_DEP_3)
	v_mad_i64_i32 v[8:9], null, v13, s6, 0
	v_mad_i64_i32 v[10:11], null, v13, s5, 0
	v_cmp_gt_i32_e64 s4, s17, v13
	v_lshlrev_b64 v[8:9], 3, v[8:9]
	s_delay_alu instid0(VALU_DEP_2) | instskip(NEXT) | instid1(VALU_DEP_3)
	s_and_b32 s14, s0, s4
	v_lshlrev_b64 v[10:11], 3, v[10:11]
	s_delay_alu instid0(VALU_DEP_2) | instskip(NEXT) | instid1(VALU_DEP_3)
	v_add_co_u32 v14, vcc_lo, s8, v8
	v_add_co_ci_u32_e32 v15, vcc_lo, s9, v9, vcc_lo
	s_delay_alu instid0(VALU_DEP_3) | instskip(NEXT) | instid1(VALU_DEP_4)
	v_add_co_u32 v10, vcc_lo, s7, v10
	v_add_co_ci_u32_e32 v13, vcc_lo, s12, v11, vcc_lo
	s_and_saveexec_b32 s13, s14
	s_cbranch_execnz .LBB116_118
; %bb.115:
	s_or_b32 exec_lo, exec_lo, s13
	s_and_b32 s14, s1, s4
	s_delay_alu instid0(SALU_CYCLE_1)
	s_and_saveexec_b32 s13, s14
	s_cbranch_execnz .LBB116_122
.LBB116_116:
	s_or_b32 exec_lo, exec_lo, s13
	s_and_b32 s14, s2, s4
	s_delay_alu instid0(SALU_CYCLE_1)
	s_and_saveexec_b32 s13, s14
	s_cbranch_execnz .LBB116_126
.LBB116_117:
	s_or_b32 exec_lo, exec_lo, s13
	s_and_b32 s13, s3, s4
	s_delay_alu instid0(SALU_CYCLE_1)
	s_and_saveexec_b32 s4, s13
	s_cbranch_execnz .LBB116_130
	s_branch .LBB116_134
.LBB116_118:
	v_cmp_ne_u32_e32 vcc_lo, 1, v16
	s_cbranch_vccnz .LBB116_120
; %bb.119:
	v_lshlrev_b64 v[8:9], 3, v[0:1]
	s_delay_alu instid0(VALU_DEP_1) | instskip(NEXT) | instid1(VALU_DEP_2)
	v_add_co_u32 v8, vcc_lo, v14, v8
	v_add_co_ci_u32_e32 v9, vcc_lo, v15, v9, vcc_lo
	flat_load_b64 v[8:9], v[8:9]
	s_waitcnt vmcnt(0) lgkmcnt(0)
	v_mul_f64 v[8:9], v[8:9], s[10:11]
	s_branch .LBB116_121
.LBB116_120:
	v_mov_b32_e32 v8, 0
	v_mov_b32_e32 v9, 0
.LBB116_121:
	s_delay_alu instid0(VALU_DEP_1) | instskip(SKIP_2) | instid1(VALU_DEP_1)
	v_cvt_f32_f64_e32 v8, v[8:9]
	v_max_f32_e32 v9, v232, v232
	v_lshlrev_b64 v[18:19], 3, v[0:1]
	v_add_co_u32 v18, vcc_lo, v10, v18
	s_delay_alu instid0(VALU_DEP_2) | instskip(NEXT) | instid1(VALU_DEP_4)
	v_add_co_ci_u32_e32 v19, vcc_lo, v13, v19, vcc_lo
	v_min_f32_e32 v8, v8, v9
	s_delay_alu instid0(VALU_DEP_1) | instskip(SKIP_3) | instid1(SALU_CYCLE_1)
	v_cvt_f64_f32_e32 v[8:9], v8
	global_store_b64 v[18:19], v[8:9], off
	s_or_b32 exec_lo, exec_lo, s13
	s_and_b32 s14, s1, s4
	s_and_saveexec_b32 s13, s14
	s_cbranch_execz .LBB116_116
.LBB116_122:
	v_cmp_ne_u32_e32 vcc_lo, 1, v16
	s_cbranch_vccnz .LBB116_124
; %bb.123:
	v_lshlrev_b64 v[8:9], 3, v[2:3]
	s_delay_alu instid0(VALU_DEP_1) | instskip(NEXT) | instid1(VALU_DEP_2)
	v_add_co_u32 v8, vcc_lo, v14, v8
	v_add_co_ci_u32_e32 v9, vcc_lo, v15, v9, vcc_lo
	flat_load_b64 v[8:9], v[8:9]
	s_waitcnt vmcnt(0) lgkmcnt(0)
	v_mul_f64 v[8:9], v[8:9], s[10:11]
	s_branch .LBB116_125
.LBB116_124:
	v_mov_b32_e32 v8, 0
	v_mov_b32_e32 v9, 0
.LBB116_125:
	s_delay_alu instid0(VALU_DEP_1) | instskip(SKIP_2) | instid1(VALU_DEP_1)
	v_cvt_f32_f64_e32 v8, v[8:9]
	v_max_f32_e32 v9, v254, v254
	v_lshlrev_b64 v[18:19], 3, v[2:3]
	v_add_co_u32 v18, vcc_lo, v10, v18
	s_delay_alu instid0(VALU_DEP_2) | instskip(NEXT) | instid1(VALU_DEP_4)
	v_add_co_ci_u32_e32 v19, vcc_lo, v13, v19, vcc_lo
	v_min_f32_e32 v8, v8, v9
	s_delay_alu instid0(VALU_DEP_1) | instskip(SKIP_3) | instid1(SALU_CYCLE_1)
	v_cvt_f64_f32_e32 v[8:9], v8
	global_store_b64 v[18:19], v[8:9], off
	s_or_b32 exec_lo, exec_lo, s13
	s_and_b32 s14, s2, s4
	s_and_saveexec_b32 s13, s14
	s_cbranch_execz .LBB116_117
.LBB116_126:
	v_cmp_ne_u32_e32 vcc_lo, 1, v16
	s_cbranch_vccnz .LBB116_128
; %bb.127:
	v_lshlrev_b64 v[8:9], 3, v[4:5]
	s_delay_alu instid0(VALU_DEP_1) | instskip(NEXT) | instid1(VALU_DEP_2)
	v_add_co_u32 v8, vcc_lo, v14, v8
	v_add_co_ci_u32_e32 v9, vcc_lo, v15, v9, vcc_lo
	flat_load_b64 v[8:9], v[8:9]
	s_waitcnt vmcnt(0) lgkmcnt(0)
	v_mul_f64 v[8:9], v[8:9], s[10:11]
	s_branch .LBB116_129
.LBB116_128:
	v_mov_b32_e32 v8, 0
	v_mov_b32_e32 v9, 0
.LBB116_129:
	s_delay_alu instid0(VALU_DEP_1) | instskip(SKIP_2) | instid1(VALU_DEP_1)
	v_cvt_f32_f64_e32 v8, v[8:9]
	v_max_f32_e32 v9, v230, v230
	v_lshlrev_b64 v[18:19], 3, v[4:5]
	v_add_co_u32 v18, vcc_lo, v10, v18
	s_delay_alu instid0(VALU_DEP_2) | instskip(NEXT) | instid1(VALU_DEP_4)
	v_add_co_ci_u32_e32 v19, vcc_lo, v13, v19, vcc_lo
	v_min_f32_e32 v8, v8, v9
	s_delay_alu instid0(VALU_DEP_1) | instskip(SKIP_3) | instid1(SALU_CYCLE_1)
	v_cvt_f64_f32_e32 v[8:9], v8
	global_store_b64 v[18:19], v[8:9], off
	s_or_b32 exec_lo, exec_lo, s13
	s_and_b32 s13, s3, s4
	s_and_saveexec_b32 s4, s13
	s_cbranch_execz .LBB116_134
.LBB116_130:
	v_cmp_ne_u32_e32 vcc_lo, 1, v16
	s_cbranch_vccnz .LBB116_132
; %bb.131:
	v_lshlrev_b64 v[8:9], 3, v[6:7]
	s_delay_alu instid0(VALU_DEP_1) | instskip(NEXT) | instid1(VALU_DEP_2)
	v_add_co_u32 v8, vcc_lo, v14, v8
	v_add_co_ci_u32_e32 v9, vcc_lo, v15, v9, vcc_lo
	flat_load_b64 v[8:9], v[8:9]
	s_waitcnt vmcnt(0) lgkmcnt(0)
	v_mul_f64 v[8:9], v[8:9], s[10:11]
	s_branch .LBB116_133
.LBB116_132:
	v_mov_b32_e32 v8, 0
	v_mov_b32_e32 v9, 0
.LBB116_133:
	s_delay_alu instid0(VALU_DEP_1) | instskip(SKIP_2) | instid1(VALU_DEP_1)
	v_cvt_f32_f64_e32 v8, v[8:9]
	v_max_f32_e32 v9, v224, v224
	v_lshlrev_b64 v[14:15], 3, v[6:7]
	v_add_co_u32 v10, vcc_lo, v10, v14
	s_delay_alu instid0(VALU_DEP_2) | instskip(NEXT) | instid1(VALU_DEP_4)
	v_add_co_ci_u32_e32 v11, vcc_lo, v13, v15, vcc_lo
	v_min_f32_e32 v8, v8, v9
	s_delay_alu instid0(VALU_DEP_1)
	v_cvt_f64_f32_e32 v[8:9], v8
	global_store_b64 v[10:11], v[8:9], off
.LBB116_134:
	s_or_b32 exec_lo, exec_lo, s4
	v_add_nc_u32_e32 v13, 32, v17
	s_delay_alu instid0(VALU_DEP_1) | instskip(SKIP_2) | instid1(VALU_DEP_3)
	v_mad_i64_i32 v[8:9], null, v13, s6, 0
	v_mad_i64_i32 v[10:11], null, v13, s5, 0
	v_cmp_gt_i32_e64 s4, s17, v13
	v_lshlrev_b64 v[8:9], 3, v[8:9]
	s_delay_alu instid0(VALU_DEP_2) | instskip(NEXT) | instid1(VALU_DEP_3)
	s_and_b32 s14, s0, s4
	v_lshlrev_b64 v[10:11], 3, v[10:11]
	s_delay_alu instid0(VALU_DEP_2) | instskip(NEXT) | instid1(VALU_DEP_3)
	v_add_co_u32 v14, vcc_lo, s8, v8
	v_add_co_ci_u32_e32 v15, vcc_lo, s9, v9, vcc_lo
	s_delay_alu instid0(VALU_DEP_3) | instskip(NEXT) | instid1(VALU_DEP_4)
	v_add_co_u32 v10, vcc_lo, s7, v10
	v_add_co_ci_u32_e32 v13, vcc_lo, s12, v11, vcc_lo
	s_and_saveexec_b32 s13, s14
	s_cbranch_execnz .LBB116_138
; %bb.135:
	s_or_b32 exec_lo, exec_lo, s13
	s_and_b32 s14, s1, s4
	s_delay_alu instid0(SALU_CYCLE_1)
	s_and_saveexec_b32 s13, s14
	s_cbranch_execnz .LBB116_142
.LBB116_136:
	s_or_b32 exec_lo, exec_lo, s13
	s_and_b32 s14, s2, s4
	s_delay_alu instid0(SALU_CYCLE_1)
	s_and_saveexec_b32 s13, s14
	s_cbranch_execnz .LBB116_146
.LBB116_137:
	s_or_b32 exec_lo, exec_lo, s13
	s_and_b32 s13, s3, s4
	s_delay_alu instid0(SALU_CYCLE_1)
	s_and_saveexec_b32 s4, s13
	s_cbranch_execnz .LBB116_150
	s_branch .LBB116_154
.LBB116_138:
	v_cmp_ne_u32_e32 vcc_lo, 1, v16
	s_cbranch_vccnz .LBB116_140
; %bb.139:
	v_lshlrev_b64 v[8:9], 3, v[0:1]
	s_delay_alu instid0(VALU_DEP_1) | instskip(NEXT) | instid1(VALU_DEP_2)
	v_add_co_u32 v8, vcc_lo, v14, v8
	v_add_co_ci_u32_e32 v9, vcc_lo, v15, v9, vcc_lo
	flat_load_b64 v[8:9], v[8:9]
	s_waitcnt vmcnt(0) lgkmcnt(0)
	v_mul_f64 v[8:9], v[8:9], s[10:11]
	s_branch .LBB116_141
.LBB116_140:
	v_mov_b32_e32 v8, 0
	v_mov_b32_e32 v9, 0
.LBB116_141:
	s_delay_alu instid0(VALU_DEP_1) | instskip(SKIP_2) | instid1(VALU_DEP_1)
	v_cvt_f32_f64_e32 v8, v[8:9]
	v_max_f32_e32 v9, v220, v220
	v_lshlrev_b64 v[18:19], 3, v[0:1]
	v_add_co_u32 v18, vcc_lo, v10, v18
	s_delay_alu instid0(VALU_DEP_2) | instskip(NEXT) | instid1(VALU_DEP_4)
	v_add_co_ci_u32_e32 v19, vcc_lo, v13, v19, vcc_lo
	v_min_f32_e32 v8, v8, v9
	s_delay_alu instid0(VALU_DEP_1) | instskip(SKIP_3) | instid1(SALU_CYCLE_1)
	v_cvt_f64_f32_e32 v[8:9], v8
	global_store_b64 v[18:19], v[8:9], off
	s_or_b32 exec_lo, exec_lo, s13
	s_and_b32 s14, s1, s4
	s_and_saveexec_b32 s13, s14
	s_cbranch_execz .LBB116_136
.LBB116_142:
	v_cmp_ne_u32_e32 vcc_lo, 1, v16
	s_cbranch_vccnz .LBB116_144
; %bb.143:
	v_lshlrev_b64 v[8:9], 3, v[2:3]
	s_delay_alu instid0(VALU_DEP_1) | instskip(NEXT) | instid1(VALU_DEP_2)
	v_add_co_u32 v8, vcc_lo, v14, v8
	v_add_co_ci_u32_e32 v9, vcc_lo, v15, v9, vcc_lo
	flat_load_b64 v[8:9], v[8:9]
	s_waitcnt vmcnt(0) lgkmcnt(0)
	v_mul_f64 v[8:9], v[8:9], s[10:11]
	s_branch .LBB116_145
.LBB116_144:
	v_mov_b32_e32 v8, 0
	v_mov_b32_e32 v9, 0
.LBB116_145:
	s_delay_alu instid0(VALU_DEP_1) | instskip(SKIP_2) | instid1(VALU_DEP_1)
	v_cvt_f32_f64_e32 v8, v[8:9]
	v_max_f32_e32 v9, v12, v12
	v_lshlrev_b64 v[11:12], 3, v[2:3]
	v_add_co_u32 v11, vcc_lo, v10, v11
	s_delay_alu instid0(VALU_DEP_2) | instskip(NEXT) | instid1(VALU_DEP_4)
	v_add_co_ci_u32_e32 v12, vcc_lo, v13, v12, vcc_lo
	v_min_f32_e32 v8, v8, v9
	s_delay_alu instid0(VALU_DEP_1) | instskip(SKIP_3) | instid1(SALU_CYCLE_1)
	v_cvt_f64_f32_e32 v[8:9], v8
	global_store_b64 v[11:12], v[8:9], off
	s_or_b32 exec_lo, exec_lo, s13
	s_and_b32 s14, s2, s4
	s_and_saveexec_b32 s13, s14
	s_cbranch_execz .LBB116_137
.LBB116_146:
	v_cmp_ne_u32_e32 vcc_lo, 1, v16
	s_cbranch_vccnz .LBB116_148
; %bb.147:
	v_lshlrev_b64 v[8:9], 3, v[4:5]
	s_delay_alu instid0(VALU_DEP_1) | instskip(NEXT) | instid1(VALU_DEP_2)
	v_add_co_u32 v8, vcc_lo, v14, v8
	v_add_co_ci_u32_e32 v9, vcc_lo, v15, v9, vcc_lo
	flat_load_b64 v[8:9], v[8:9]
	s_waitcnt vmcnt(0) lgkmcnt(0)
	v_mul_f64 v[8:9], v[8:9], s[10:11]
	s_branch .LBB116_149
.LBB116_148:
	v_mov_b32_e32 v8, 0
	v_mov_b32_e32 v9, 0
.LBB116_149:
	s_delay_alu instid0(VALU_DEP_1) | instskip(SKIP_2) | instid1(VALU_DEP_1)
	v_cvt_f32_f64_e32 v8, v[8:9]
	v_max_f32_e32 v9, v172, v172
	v_lshlrev_b64 v[11:12], 3, v[4:5]
	v_add_co_u32 v11, vcc_lo, v10, v11
	s_delay_alu instid0(VALU_DEP_2) | instskip(NEXT) | instid1(VALU_DEP_4)
	v_add_co_ci_u32_e32 v12, vcc_lo, v13, v12, vcc_lo
	v_min_f32_e32 v8, v8, v9
	s_delay_alu instid0(VALU_DEP_1) | instskip(SKIP_3) | instid1(SALU_CYCLE_1)
	v_cvt_f64_f32_e32 v[8:9], v8
	global_store_b64 v[11:12], v[8:9], off
	s_or_b32 exec_lo, exec_lo, s13
	s_and_b32 s13, s3, s4
	s_and_saveexec_b32 s4, s13
	s_cbranch_execz .LBB116_154
.LBB116_150:
	v_cmp_ne_u32_e32 vcc_lo, 1, v16
	s_cbranch_vccnz .LBB116_152
; %bb.151:
	v_lshlrev_b64 v[8:9], 3, v[6:7]
	s_delay_alu instid0(VALU_DEP_1) | instskip(NEXT) | instid1(VALU_DEP_2)
	v_add_co_u32 v8, vcc_lo, v14, v8
	v_add_co_ci_u32_e32 v9, vcc_lo, v15, v9, vcc_lo
	flat_load_b64 v[8:9], v[8:9]
	s_waitcnt vmcnt(0) lgkmcnt(0)
	v_mul_f64 v[8:9], v[8:9], s[10:11]
	s_branch .LBB116_153
.LBB116_152:
	v_mov_b32_e32 v8, 0
	v_mov_b32_e32 v9, 0
.LBB116_153:
	s_delay_alu instid0(VALU_DEP_1) | instskip(SKIP_2) | instid1(VALU_DEP_1)
	v_cvt_f32_f64_e32 v8, v[8:9]
	v_max_f32_e32 v9, v174, v174
	v_lshlrev_b64 v[11:12], 3, v[6:7]
	v_add_co_u32 v10, vcc_lo, v10, v11
	s_delay_alu instid0(VALU_DEP_2) | instskip(NEXT) | instid1(VALU_DEP_4)
	v_add_co_ci_u32_e32 v11, vcc_lo, v13, v12, vcc_lo
	v_min_f32_e32 v8, v8, v9
	s_delay_alu instid0(VALU_DEP_1)
	v_cvt_f64_f32_e32 v[8:9], v8
	global_store_b64 v[10:11], v[8:9], off
.LBB116_154:
	s_or_b32 exec_lo, exec_lo, s4
	v_add_nc_u32_e32 v12, 40, v17
	s_delay_alu instid0(VALU_DEP_1) | instskip(SKIP_2) | instid1(VALU_DEP_3)
	v_mad_i64_i32 v[8:9], null, v12, s6, 0
	v_mad_i64_i32 v[10:11], null, v12, s5, 0
	v_cmp_gt_i32_e64 s4, s17, v12
	v_lshlrev_b64 v[8:9], 3, v[8:9]
	s_delay_alu instid0(VALU_DEP_2) | instskip(NEXT) | instid1(VALU_DEP_3)
	s_and_b32 s14, s0, s4
	v_lshlrev_b64 v[10:11], 3, v[10:11]
	s_delay_alu instid0(VALU_DEP_2) | instskip(NEXT) | instid1(VALU_DEP_3)
	v_add_co_u32 v14, vcc_lo, s8, v8
	v_add_co_ci_u32_e32 v15, vcc_lo, s9, v9, vcc_lo
	s_delay_alu instid0(VALU_DEP_3) | instskip(NEXT) | instid1(VALU_DEP_4)
	v_add_co_u32 v12, vcc_lo, s7, v10
	v_add_co_ci_u32_e32 v13, vcc_lo, s12, v11, vcc_lo
	s_and_saveexec_b32 s13, s14
	s_cbranch_execnz .LBB116_158
; %bb.155:
	s_or_b32 exec_lo, exec_lo, s13
	s_and_b32 s14, s1, s4
	s_delay_alu instid0(SALU_CYCLE_1)
	s_and_saveexec_b32 s13, s14
	s_cbranch_execnz .LBB116_162
.LBB116_156:
	s_or_b32 exec_lo, exec_lo, s13
	s_and_b32 s14, s2, s4
	s_delay_alu instid0(SALU_CYCLE_1)
	s_and_saveexec_b32 s13, s14
	s_cbranch_execnz .LBB116_166
.LBB116_157:
	s_or_b32 exec_lo, exec_lo, s13
	s_and_b32 s13, s3, s4
	s_delay_alu instid0(SALU_CYCLE_1)
	s_and_saveexec_b32 s4, s13
	s_cbranch_execnz .LBB116_170
	s_branch .LBB116_174
.LBB116_158:
	v_cmp_ne_u32_e32 vcc_lo, 1, v16
	s_cbranch_vccnz .LBB116_160
; %bb.159:
	v_lshlrev_b64 v[8:9], 3, v[0:1]
	s_delay_alu instid0(VALU_DEP_1) | instskip(NEXT) | instid1(VALU_DEP_2)
	v_add_co_u32 v8, vcc_lo, v14, v8
	v_add_co_ci_u32_e32 v9, vcc_lo, v15, v9, vcc_lo
	flat_load_b64 v[8:9], v[8:9]
	s_waitcnt vmcnt(0) lgkmcnt(0)
	v_mul_f64 v[8:9], v[8:9], s[10:11]
	s_branch .LBB116_161
.LBB116_160:
	v_mov_b32_e32 v8, 0
	v_mov_b32_e32 v9, 0
.LBB116_161:
	s_delay_alu instid0(VALU_DEP_1) | instskip(SKIP_2) | instid1(VALU_DEP_1)
	v_cvt_f32_f64_e32 v8, v[8:9]
	v_max_f32_e32 v9, v83, v83
	v_lshlrev_b64 v[10:11], 3, v[0:1]
	v_add_co_u32 v10, vcc_lo, v12, v10
	s_delay_alu instid0(VALU_DEP_2) | instskip(NEXT) | instid1(VALU_DEP_4)
	v_add_co_ci_u32_e32 v11, vcc_lo, v13, v11, vcc_lo
	v_min_f32_e32 v8, v8, v9
	s_delay_alu instid0(VALU_DEP_1) | instskip(SKIP_3) | instid1(SALU_CYCLE_1)
	v_cvt_f64_f32_e32 v[8:9], v8
	global_store_b64 v[10:11], v[8:9], off
	s_or_b32 exec_lo, exec_lo, s13
	s_and_b32 s14, s1, s4
	s_and_saveexec_b32 s13, s14
	s_cbranch_execz .LBB116_156
.LBB116_162:
	v_cmp_ne_u32_e32 vcc_lo, 1, v16
	s_cbranch_vccnz .LBB116_164
; %bb.163:
	v_lshlrev_b64 v[8:9], 3, v[2:3]
	s_delay_alu instid0(VALU_DEP_1) | instskip(NEXT) | instid1(VALU_DEP_2)
	v_add_co_u32 v8, vcc_lo, v14, v8
	v_add_co_ci_u32_e32 v9, vcc_lo, v15, v9, vcc_lo
	flat_load_b64 v[8:9], v[8:9]
	s_waitcnt vmcnt(0) lgkmcnt(0)
	v_mul_f64 v[8:9], v[8:9], s[10:11]
	s_branch .LBB116_165
.LBB116_164:
	v_mov_b32_e32 v8, 0
	v_mov_b32_e32 v9, 0
.LBB116_165:
	s_delay_alu instid0(VALU_DEP_1) | instskip(SKIP_2) | instid1(VALU_DEP_1)
	v_cvt_f32_f64_e32 v8, v[8:9]
	v_max_f32_e32 v9, v82, v82
	v_lshlrev_b64 v[10:11], 3, v[2:3]
	v_add_co_u32 v10, vcc_lo, v12, v10
	s_delay_alu instid0(VALU_DEP_2) | instskip(NEXT) | instid1(VALU_DEP_4)
	v_add_co_ci_u32_e32 v11, vcc_lo, v13, v11, vcc_lo
	v_min_f32_e32 v8, v8, v9
	s_delay_alu instid0(VALU_DEP_1) | instskip(SKIP_3) | instid1(SALU_CYCLE_1)
	v_cvt_f64_f32_e32 v[8:9], v8
	global_store_b64 v[10:11], v[8:9], off
	s_or_b32 exec_lo, exec_lo, s13
	s_and_b32 s14, s2, s4
	s_and_saveexec_b32 s13, s14
	s_cbranch_execz .LBB116_157
.LBB116_166:
	v_cmp_ne_u32_e32 vcc_lo, 1, v16
	s_cbranch_vccnz .LBB116_168
; %bb.167:
	v_lshlrev_b64 v[8:9], 3, v[4:5]
	s_delay_alu instid0(VALU_DEP_1) | instskip(NEXT) | instid1(VALU_DEP_2)
	v_add_co_u32 v8, vcc_lo, v14, v8
	v_add_co_ci_u32_e32 v9, vcc_lo, v15, v9, vcc_lo
	flat_load_b64 v[8:9], v[8:9]
	s_waitcnt vmcnt(0) lgkmcnt(0)
	v_mul_f64 v[8:9], v[8:9], s[10:11]
	s_branch .LBB116_169
.LBB116_168:
	v_mov_b32_e32 v8, 0
	v_mov_b32_e32 v9, 0
.LBB116_169:
	s_delay_alu instid0(VALU_DEP_1) | instskip(SKIP_2) | instid1(VALU_DEP_1)
	v_cvt_f32_f64_e32 v8, v[8:9]
	v_max_f32_e32 v9, v99, v99
	v_lshlrev_b64 v[10:11], 3, v[4:5]
	v_add_co_u32 v10, vcc_lo, v12, v10
	s_delay_alu instid0(VALU_DEP_2) | instskip(NEXT) | instid1(VALU_DEP_4)
	v_add_co_ci_u32_e32 v11, vcc_lo, v13, v11, vcc_lo
	v_min_f32_e32 v8, v8, v9
	s_delay_alu instid0(VALU_DEP_1) | instskip(SKIP_3) | instid1(SALU_CYCLE_1)
	v_cvt_f64_f32_e32 v[8:9], v8
	global_store_b64 v[10:11], v[8:9], off
	s_or_b32 exec_lo, exec_lo, s13
	s_and_b32 s13, s3, s4
	s_and_saveexec_b32 s4, s13
	s_cbranch_execz .LBB116_174
.LBB116_170:
	v_cmp_ne_u32_e32 vcc_lo, 1, v16
	s_cbranch_vccnz .LBB116_172
; %bb.171:
	v_lshlrev_b64 v[8:9], 3, v[6:7]
	s_delay_alu instid0(VALU_DEP_1) | instskip(NEXT) | instid1(VALU_DEP_2)
	v_add_co_u32 v8, vcc_lo, v14, v8
	v_add_co_ci_u32_e32 v9, vcc_lo, v15, v9, vcc_lo
	flat_load_b64 v[8:9], v[8:9]
	s_waitcnt vmcnt(0) lgkmcnt(0)
	v_mul_f64 v[8:9], v[8:9], s[10:11]
	s_branch .LBB116_173
.LBB116_172:
	v_mov_b32_e32 v8, 0
	v_mov_b32_e32 v9, 0
.LBB116_173:
	s_delay_alu instid0(VALU_DEP_1) | instskip(SKIP_2) | instid1(VALU_DEP_1)
	v_cvt_f32_f64_e32 v8, v[8:9]
	v_max_f32_e32 v9, v98, v98
	v_lshlrev_b64 v[10:11], 3, v[6:7]
	v_add_co_u32 v10, vcc_lo, v12, v10
	s_delay_alu instid0(VALU_DEP_2) | instskip(NEXT) | instid1(VALU_DEP_4)
	v_add_co_ci_u32_e32 v11, vcc_lo, v13, v11, vcc_lo
	v_min_f32_e32 v8, v8, v9
	s_delay_alu instid0(VALU_DEP_1)
	v_cvt_f64_f32_e32 v[8:9], v8
	global_store_b64 v[10:11], v[8:9], off
.LBB116_174:
	s_or_b32 exec_lo, exec_lo, s4
	v_add_nc_u32_e32 v12, 48, v17
	s_delay_alu instid0(VALU_DEP_1) | instskip(SKIP_2) | instid1(VALU_DEP_3)
	v_mad_i64_i32 v[8:9], null, v12, s6, 0
	v_mad_i64_i32 v[10:11], null, v12, s5, 0
	v_cmp_gt_i32_e64 s4, s17, v12
	v_lshlrev_b64 v[8:9], 3, v[8:9]
	s_delay_alu instid0(VALU_DEP_2) | instskip(NEXT) | instid1(VALU_DEP_3)
	s_and_b32 s14, s0, s4
	v_lshlrev_b64 v[10:11], 3, v[10:11]
	s_delay_alu instid0(VALU_DEP_2) | instskip(NEXT) | instid1(VALU_DEP_3)
	v_add_co_u32 v14, vcc_lo, s8, v8
	v_add_co_ci_u32_e32 v15, vcc_lo, s9, v9, vcc_lo
	s_delay_alu instid0(VALU_DEP_3) | instskip(NEXT) | instid1(VALU_DEP_4)
	v_add_co_u32 v12, vcc_lo, s7, v10
	v_add_co_ci_u32_e32 v13, vcc_lo, s12, v11, vcc_lo
	s_and_saveexec_b32 s13, s14
	s_cbranch_execnz .LBB116_178
; %bb.175:
	s_or_b32 exec_lo, exec_lo, s13
	s_and_b32 s14, s1, s4
	s_delay_alu instid0(SALU_CYCLE_1)
	s_and_saveexec_b32 s13, s14
	s_cbranch_execnz .LBB116_182
.LBB116_176:
	s_or_b32 exec_lo, exec_lo, s13
	s_and_b32 s14, s2, s4
	s_delay_alu instid0(SALU_CYCLE_1)
	s_and_saveexec_b32 s13, s14
	s_cbranch_execnz .LBB116_186
.LBB116_177:
	s_or_b32 exec_lo, exec_lo, s13
	s_and_b32 s13, s3, s4
	s_delay_alu instid0(SALU_CYCLE_1)
	s_and_saveexec_b32 s4, s13
	s_cbranch_execnz .LBB116_190
	s_branch .LBB116_194
.LBB116_178:
	v_cmp_ne_u32_e32 vcc_lo, 1, v16
	s_cbranch_vccnz .LBB116_180
; %bb.179:
	v_lshlrev_b64 v[8:9], 3, v[0:1]
	s_delay_alu instid0(VALU_DEP_1) | instskip(NEXT) | instid1(VALU_DEP_2)
	v_add_co_u32 v8, vcc_lo, v14, v8
	v_add_co_ci_u32_e32 v9, vcc_lo, v15, v9, vcc_lo
	flat_load_b64 v[8:9], v[8:9]
	s_waitcnt vmcnt(0) lgkmcnt(0)
	v_mul_f64 v[8:9], v[8:9], s[10:11]
	s_branch .LBB116_181
.LBB116_180:
	v_mov_b32_e32 v8, 0
	v_mov_b32_e32 v9, 0
.LBB116_181:
	s_delay_alu instid0(VALU_DEP_1) | instskip(SKIP_2) | instid1(VALU_DEP_1)
	v_cvt_f32_f64_e32 v8, v[8:9]
	v_max_f32_e32 v9, v90, v90
	v_lshlrev_b64 v[10:11], 3, v[0:1]
	v_add_co_u32 v10, vcc_lo, v12, v10
	s_delay_alu instid0(VALU_DEP_2) | instskip(NEXT) | instid1(VALU_DEP_4)
	v_add_co_ci_u32_e32 v11, vcc_lo, v13, v11, vcc_lo
	v_min_f32_e32 v8, v8, v9
	s_delay_alu instid0(VALU_DEP_1) | instskip(SKIP_3) | instid1(SALU_CYCLE_1)
	v_cvt_f64_f32_e32 v[8:9], v8
	global_store_b64 v[10:11], v[8:9], off
	s_or_b32 exec_lo, exec_lo, s13
	s_and_b32 s14, s1, s4
	s_and_saveexec_b32 s13, s14
	s_cbranch_execz .LBB116_176
.LBB116_182:
	v_cmp_ne_u32_e32 vcc_lo, 1, v16
	s_cbranch_vccnz .LBB116_184
; %bb.183:
	v_lshlrev_b64 v[8:9], 3, v[2:3]
	s_delay_alu instid0(VALU_DEP_1) | instskip(NEXT) | instid1(VALU_DEP_2)
	v_add_co_u32 v8, vcc_lo, v14, v8
	v_add_co_ci_u32_e32 v9, vcc_lo, v15, v9, vcc_lo
	flat_load_b64 v[8:9], v[8:9]
	s_waitcnt vmcnt(0) lgkmcnt(0)
	v_mul_f64 v[8:9], v[8:9], s[10:11]
	s_branch .LBB116_185
.LBB116_184:
	v_mov_b32_e32 v8, 0
	v_mov_b32_e32 v9, 0
.LBB116_185:
	s_delay_alu instid0(VALU_DEP_1) | instskip(SKIP_2) | instid1(VALU_DEP_1)
	v_cvt_f32_f64_e32 v8, v[8:9]
	v_max_f32_e32 v9, v26, v26
	v_lshlrev_b64 v[10:11], 3, v[2:3]
	v_add_co_u32 v10, vcc_lo, v12, v10
	s_delay_alu instid0(VALU_DEP_2) | instskip(NEXT) | instid1(VALU_DEP_4)
	v_add_co_ci_u32_e32 v11, vcc_lo, v13, v11, vcc_lo
	v_min_f32_e32 v8, v8, v9
	s_delay_alu instid0(VALU_DEP_1) | instskip(SKIP_3) | instid1(SALU_CYCLE_1)
	v_cvt_f64_f32_e32 v[8:9], v8
	global_store_b64 v[10:11], v[8:9], off
	s_or_b32 exec_lo, exec_lo, s13
	s_and_b32 s14, s2, s4
	s_and_saveexec_b32 s13, s14
	s_cbranch_execz .LBB116_177
.LBB116_186:
	v_cmp_ne_u32_e32 vcc_lo, 1, v16
	s_cbranch_vccnz .LBB116_188
; %bb.187:
	v_lshlrev_b64 v[8:9], 3, v[4:5]
	s_delay_alu instid0(VALU_DEP_1) | instskip(NEXT) | instid1(VALU_DEP_2)
	v_add_co_u32 v8, vcc_lo, v14, v8
	v_add_co_ci_u32_e32 v9, vcc_lo, v15, v9, vcc_lo
	flat_load_b64 v[8:9], v[8:9]
	s_waitcnt vmcnt(0) lgkmcnt(0)
	v_mul_f64 v[8:9], v[8:9], s[10:11]
	s_branch .LBB116_189
.LBB116_188:
	v_mov_b32_e32 v8, 0
	v_mov_b32_e32 v9, 0
.LBB116_189:
	s_delay_alu instid0(VALU_DEP_1) | instskip(SKIP_2) | instid1(VALU_DEP_1)
	v_cvt_f32_f64_e32 v8, v[8:9]
	v_max_f32_e32 v9, v70, v70
	v_lshlrev_b64 v[10:11], 3, v[4:5]
	v_add_co_u32 v10, vcc_lo, v12, v10
	s_delay_alu instid0(VALU_DEP_2) | instskip(NEXT) | instid1(VALU_DEP_4)
	v_add_co_ci_u32_e32 v11, vcc_lo, v13, v11, vcc_lo
	v_min_f32_e32 v8, v8, v9
	s_delay_alu instid0(VALU_DEP_1) | instskip(SKIP_3) | instid1(SALU_CYCLE_1)
	v_cvt_f64_f32_e32 v[8:9], v8
	global_store_b64 v[10:11], v[8:9], off
	s_or_b32 exec_lo, exec_lo, s13
	s_and_b32 s13, s3, s4
	s_and_saveexec_b32 s4, s13
	s_cbranch_execz .LBB116_194
.LBB116_190:
	v_cmp_ne_u32_e32 vcc_lo, 1, v16
	s_cbranch_vccnz .LBB116_192
; %bb.191:
	v_lshlrev_b64 v[8:9], 3, v[6:7]
	s_delay_alu instid0(VALU_DEP_1) | instskip(NEXT) | instid1(VALU_DEP_2)
	v_add_co_u32 v8, vcc_lo, v14, v8
	v_add_co_ci_u32_e32 v9, vcc_lo, v15, v9, vcc_lo
	flat_load_b64 v[8:9], v[8:9]
	s_waitcnt vmcnt(0) lgkmcnt(0)
	v_mul_f64 v[8:9], v[8:9], s[10:11]
	s_branch .LBB116_193
.LBB116_192:
	v_mov_b32_e32 v8, 0
	v_mov_b32_e32 v9, 0
.LBB116_193:
	s_delay_alu instid0(VALU_DEP_1) | instskip(SKIP_2) | instid1(VALU_DEP_1)
	v_cvt_f32_f64_e32 v8, v[8:9]
	v_max_f32_e32 v9, v24, v24
	v_lshlrev_b64 v[10:11], 3, v[6:7]
	v_add_co_u32 v10, vcc_lo, v12, v10
	s_delay_alu instid0(VALU_DEP_2) | instskip(NEXT) | instid1(VALU_DEP_4)
	v_add_co_ci_u32_e32 v11, vcc_lo, v13, v11, vcc_lo
	v_min_f32_e32 v8, v8, v9
	s_delay_alu instid0(VALU_DEP_1)
	v_cvt_f64_f32_e32 v[8:9], v8
	global_store_b64 v[10:11], v[8:9], off
.LBB116_194:
	s_or_b32 exec_lo, exec_lo, s4
	v_add_nc_u32_e32 v12, 56, v17
	s_delay_alu instid0(VALU_DEP_1) | instskip(SKIP_2) | instid1(VALU_DEP_3)
	v_mad_i64_i32 v[8:9], null, v12, s6, 0
	v_mad_i64_i32 v[10:11], null, v12, s5, 0
	v_cmp_gt_i32_e64 s4, s17, v12
	v_lshlrev_b64 v[8:9], 3, v[8:9]
	s_delay_alu instid0(VALU_DEP_2) | instskip(NEXT) | instid1(VALU_DEP_3)
	s_and_b32 s14, s0, s4
	v_lshlrev_b64 v[10:11], 3, v[10:11]
	s_delay_alu instid0(VALU_DEP_2) | instskip(NEXT) | instid1(VALU_DEP_3)
	v_add_co_u32 v14, vcc_lo, s8, v8
	v_add_co_ci_u32_e32 v15, vcc_lo, s9, v9, vcc_lo
	s_delay_alu instid0(VALU_DEP_3) | instskip(NEXT) | instid1(VALU_DEP_4)
	v_add_co_u32 v12, vcc_lo, s7, v10
	v_add_co_ci_u32_e32 v13, vcc_lo, s12, v11, vcc_lo
	s_and_saveexec_b32 s13, s14
	s_cbranch_execnz .LBB116_198
; %bb.195:
	s_or_b32 exec_lo, exec_lo, s13
	s_and_b32 s14, s1, s4
	s_delay_alu instid0(SALU_CYCLE_1)
	s_and_saveexec_b32 s13, s14
	s_cbranch_execnz .LBB116_202
.LBB116_196:
	s_or_b32 exec_lo, exec_lo, s13
	s_and_b32 s14, s2, s4
	s_delay_alu instid0(SALU_CYCLE_1)
	s_and_saveexec_b32 s13, s14
	s_cbranch_execnz .LBB116_206
.LBB116_197:
	s_or_b32 exec_lo, exec_lo, s13
	s_and_b32 s13, s3, s4
	s_delay_alu instid0(SALU_CYCLE_1)
	s_and_saveexec_b32 s4, s13
	s_cbranch_execnz .LBB116_210
	s_branch .LBB116_214
.LBB116_198:
	v_cmp_ne_u32_e32 vcc_lo, 1, v16
	s_cbranch_vccnz .LBB116_200
; %bb.199:
	v_lshlrev_b64 v[8:9], 3, v[0:1]
	s_delay_alu instid0(VALU_DEP_1) | instskip(NEXT) | instid1(VALU_DEP_2)
	v_add_co_u32 v8, vcc_lo, v14, v8
	v_add_co_ci_u32_e32 v9, vcc_lo, v15, v9, vcc_lo
	flat_load_b64 v[8:9], v[8:9]
	s_waitcnt vmcnt(0) lgkmcnt(0)
	v_mul_f64 v[8:9], v[8:9], s[10:11]
	s_branch .LBB116_201
.LBB116_200:
	v_mov_b32_e32 v8, 0
	v_mov_b32_e32 v9, 0
.LBB116_201:
	s_delay_alu instid0(VALU_DEP_1) | instskip(SKIP_2) | instid1(VALU_DEP_1)
	v_cvt_f32_f64_e32 v8, v[8:9]
	v_max_f32_e32 v9, v78, v78
	v_lshlrev_b64 v[10:11], 3, v[0:1]
	v_add_co_u32 v10, vcc_lo, v12, v10
	s_delay_alu instid0(VALU_DEP_2) | instskip(NEXT) | instid1(VALU_DEP_4)
	v_add_co_ci_u32_e32 v11, vcc_lo, v13, v11, vcc_lo
	v_min_f32_e32 v8, v8, v9
	s_delay_alu instid0(VALU_DEP_1) | instskip(SKIP_3) | instid1(SALU_CYCLE_1)
	v_cvt_f64_f32_e32 v[8:9], v8
	global_store_b64 v[10:11], v[8:9], off
	s_or_b32 exec_lo, exec_lo, s13
	s_and_b32 s14, s1, s4
	s_and_saveexec_b32 s13, s14
	s_cbranch_execz .LBB116_196
.LBB116_202:
	v_cmp_ne_u32_e32 vcc_lo, 1, v16
	s_cbranch_vccnz .LBB116_204
; %bb.203:
	v_lshlrev_b64 v[8:9], 3, v[2:3]
	s_delay_alu instid0(VALU_DEP_1) | instskip(NEXT) | instid1(VALU_DEP_2)
	v_add_co_u32 v8, vcc_lo, v14, v8
	v_add_co_ci_u32_e32 v9, vcc_lo, v15, v9, vcc_lo
	flat_load_b64 v[8:9], v[8:9]
	s_waitcnt vmcnt(0) lgkmcnt(0)
	v_mul_f64 v[8:9], v[8:9], s[10:11]
	s_branch .LBB116_205
.LBB116_204:
	v_mov_b32_e32 v8, 0
	v_mov_b32_e32 v9, 0
.LBB116_205:
	s_delay_alu instid0(VALU_DEP_1) | instskip(SKIP_2) | instid1(VALU_DEP_1)
	v_cvt_f32_f64_e32 v8, v[8:9]
	v_max_f32_e32 v9, v79, v79
	v_lshlrev_b64 v[10:11], 3, v[2:3]
	v_add_co_u32 v10, vcc_lo, v12, v10
	s_delay_alu instid0(VALU_DEP_2) | instskip(NEXT) | instid1(VALU_DEP_4)
	v_add_co_ci_u32_e32 v11, vcc_lo, v13, v11, vcc_lo
	v_min_f32_e32 v8, v8, v9
	s_delay_alu instid0(VALU_DEP_1) | instskip(SKIP_3) | instid1(SALU_CYCLE_1)
	v_cvt_f64_f32_e32 v[8:9], v8
	global_store_b64 v[10:11], v[8:9], off
	s_or_b32 exec_lo, exec_lo, s13
	s_and_b32 s14, s2, s4
	s_and_saveexec_b32 s13, s14
	s_cbranch_execz .LBB116_197
.LBB116_206:
	v_cmp_ne_u32_e32 vcc_lo, 1, v16
	s_cbranch_vccnz .LBB116_208
; %bb.207:
	v_lshlrev_b64 v[8:9], 3, v[4:5]
	s_delay_alu instid0(VALU_DEP_1) | instskip(NEXT) | instid1(VALU_DEP_2)
	v_add_co_u32 v8, vcc_lo, v14, v8
	v_add_co_ci_u32_e32 v9, vcc_lo, v15, v9, vcc_lo
	flat_load_b64 v[8:9], v[8:9]
	s_waitcnt vmcnt(0) lgkmcnt(0)
	v_mul_f64 v[8:9], v[8:9], s[10:11]
	s_branch .LBB116_209
.LBB116_208:
	v_mov_b32_e32 v8, 0
	v_mov_b32_e32 v9, 0
.LBB116_209:
	s_delay_alu instid0(VALU_DEP_1) | instskip(SKIP_2) | instid1(VALU_DEP_1)
	v_cvt_f32_f64_e32 v8, v[8:9]
	v_max_f32_e32 v9, v76, v76
	v_lshlrev_b64 v[10:11], 3, v[4:5]
	v_add_co_u32 v10, vcc_lo, v12, v10
	s_delay_alu instid0(VALU_DEP_2) | instskip(NEXT) | instid1(VALU_DEP_4)
	v_add_co_ci_u32_e32 v11, vcc_lo, v13, v11, vcc_lo
	v_min_f32_e32 v8, v8, v9
	s_delay_alu instid0(VALU_DEP_1) | instskip(SKIP_3) | instid1(SALU_CYCLE_1)
	v_cvt_f64_f32_e32 v[8:9], v8
	global_store_b64 v[10:11], v[8:9], off
	s_or_b32 exec_lo, exec_lo, s13
	s_and_b32 s13, s3, s4
	s_and_saveexec_b32 s4, s13
	s_cbranch_execz .LBB116_214
.LBB116_210:
	v_cmp_ne_u32_e32 vcc_lo, 1, v16
	s_cbranch_vccnz .LBB116_212
; %bb.211:
	v_lshlrev_b64 v[8:9], 3, v[6:7]
	s_delay_alu instid0(VALU_DEP_1) | instskip(NEXT) | instid1(VALU_DEP_2)
	v_add_co_u32 v8, vcc_lo, v14, v8
	v_add_co_ci_u32_e32 v9, vcc_lo, v15, v9, vcc_lo
	flat_load_b64 v[8:9], v[8:9]
	s_waitcnt vmcnt(0) lgkmcnt(0)
	v_mul_f64 v[8:9], v[8:9], s[10:11]
	s_branch .LBB116_213
.LBB116_212:
	v_mov_b32_e32 v8, 0
	v_mov_b32_e32 v9, 0
.LBB116_213:
	s_delay_alu instid0(VALU_DEP_1) | instskip(SKIP_2) | instid1(VALU_DEP_1)
	v_cvt_f32_f64_e32 v8, v[8:9]
	v_max_f32_e32 v9, v77, v77
	v_lshlrev_b64 v[10:11], 3, v[6:7]
	v_add_co_u32 v10, vcc_lo, v12, v10
	s_delay_alu instid0(VALU_DEP_2) | instskip(NEXT) | instid1(VALU_DEP_4)
	v_add_co_ci_u32_e32 v11, vcc_lo, v13, v11, vcc_lo
	v_min_f32_e32 v8, v8, v9
	s_delay_alu instid0(VALU_DEP_1)
	v_cvt_f64_f32_e32 v[8:9], v8
	global_store_b64 v[10:11], v[8:9], off
.LBB116_214:
	s_or_b32 exec_lo, exec_lo, s4
	v_add_nc_u32_e32 v12, 64, v17
	s_delay_alu instid0(VALU_DEP_1) | instskip(SKIP_2) | instid1(VALU_DEP_3)
	v_mad_i64_i32 v[8:9], null, v12, s6, 0
	v_mad_i64_i32 v[10:11], null, v12, s5, 0
	v_cmp_gt_i32_e64 s4, s17, v12
	v_lshlrev_b64 v[8:9], 3, v[8:9]
	s_delay_alu instid0(VALU_DEP_2) | instskip(NEXT) | instid1(VALU_DEP_3)
	s_and_b32 s14, s0, s4
	v_lshlrev_b64 v[10:11], 3, v[10:11]
	s_delay_alu instid0(VALU_DEP_2) | instskip(NEXT) | instid1(VALU_DEP_3)
	v_add_co_u32 v14, vcc_lo, s8, v8
	v_add_co_ci_u32_e32 v15, vcc_lo, s9, v9, vcc_lo
	s_delay_alu instid0(VALU_DEP_3) | instskip(NEXT) | instid1(VALU_DEP_4)
	v_add_co_u32 v12, vcc_lo, s7, v10
	v_add_co_ci_u32_e32 v13, vcc_lo, s12, v11, vcc_lo
	s_and_saveexec_b32 s13, s14
	s_cbranch_execnz .LBB116_218
; %bb.215:
	s_or_b32 exec_lo, exec_lo, s13
	s_and_b32 s14, s1, s4
	s_delay_alu instid0(SALU_CYCLE_1)
	s_and_saveexec_b32 s13, s14
	s_cbranch_execnz .LBB116_222
.LBB116_216:
	s_or_b32 exec_lo, exec_lo, s13
	s_and_b32 s14, s2, s4
	s_delay_alu instid0(SALU_CYCLE_1)
	s_and_saveexec_b32 s13, s14
	s_cbranch_execnz .LBB116_226
.LBB116_217:
	s_or_b32 exec_lo, exec_lo, s13
	s_and_b32 s13, s3, s4
	s_delay_alu instid0(SALU_CYCLE_1)
	s_and_saveexec_b32 s4, s13
	s_cbranch_execnz .LBB116_230
	s_branch .LBB116_234
.LBB116_218:
	v_cmp_ne_u32_e32 vcc_lo, 1, v16
	s_cbranch_vccnz .LBB116_220
; %bb.219:
	v_lshlrev_b64 v[8:9], 3, v[0:1]
	s_delay_alu instid0(VALU_DEP_1) | instskip(NEXT) | instid1(VALU_DEP_2)
	v_add_co_u32 v8, vcc_lo, v14, v8
	v_add_co_ci_u32_e32 v9, vcc_lo, v15, v9, vcc_lo
	flat_load_b64 v[8:9], v[8:9]
	s_waitcnt vmcnt(0) lgkmcnt(0)
	v_mul_f64 v[8:9], v[8:9], s[10:11]
	s_branch .LBB116_221
.LBB116_220:
	v_mov_b32_e32 v8, 0
	v_mov_b32_e32 v9, 0
.LBB116_221:
	s_delay_alu instid0(VALU_DEP_1) | instskip(SKIP_2) | instid1(VALU_DEP_1)
	v_cvt_f32_f64_e32 v8, v[8:9]
	v_max_f32_e32 v9, v74, v74
	v_lshlrev_b64 v[10:11], 3, v[0:1]
	v_add_co_u32 v10, vcc_lo, v12, v10
	s_delay_alu instid0(VALU_DEP_2) | instskip(NEXT) | instid1(VALU_DEP_4)
	v_add_co_ci_u32_e32 v11, vcc_lo, v13, v11, vcc_lo
	v_min_f32_e32 v8, v8, v9
	s_delay_alu instid0(VALU_DEP_1) | instskip(SKIP_3) | instid1(SALU_CYCLE_1)
	v_cvt_f64_f32_e32 v[8:9], v8
	global_store_b64 v[10:11], v[8:9], off
	s_or_b32 exec_lo, exec_lo, s13
	s_and_b32 s14, s1, s4
	s_and_saveexec_b32 s13, s14
	s_cbranch_execz .LBB116_216
.LBB116_222:
	v_cmp_ne_u32_e32 vcc_lo, 1, v16
	s_cbranch_vccnz .LBB116_224
; %bb.223:
	v_lshlrev_b64 v[8:9], 3, v[2:3]
	s_delay_alu instid0(VALU_DEP_1) | instskip(NEXT) | instid1(VALU_DEP_2)
	v_add_co_u32 v8, vcc_lo, v14, v8
	v_add_co_ci_u32_e32 v9, vcc_lo, v15, v9, vcc_lo
	flat_load_b64 v[8:9], v[8:9]
	s_waitcnt vmcnt(0) lgkmcnt(0)
	v_mul_f64 v[8:9], v[8:9], s[10:11]
	s_branch .LBB116_225
.LBB116_224:
	v_mov_b32_e32 v8, 0
	v_mov_b32_e32 v9, 0
.LBB116_225:
	s_delay_alu instid0(VALU_DEP_1) | instskip(SKIP_2) | instid1(VALU_DEP_1)
	v_cvt_f32_f64_e32 v8, v[8:9]
	v_max_f32_e32 v9, v75, v75
	v_lshlrev_b64 v[10:11], 3, v[2:3]
	v_add_co_u32 v10, vcc_lo, v12, v10
	s_delay_alu instid0(VALU_DEP_2) | instskip(NEXT) | instid1(VALU_DEP_4)
	v_add_co_ci_u32_e32 v11, vcc_lo, v13, v11, vcc_lo
	v_min_f32_e32 v8, v8, v9
	s_delay_alu instid0(VALU_DEP_1) | instskip(SKIP_3) | instid1(SALU_CYCLE_1)
	v_cvt_f64_f32_e32 v[8:9], v8
	global_store_b64 v[10:11], v[8:9], off
	s_or_b32 exec_lo, exec_lo, s13
	s_and_b32 s14, s2, s4
	s_and_saveexec_b32 s13, s14
	s_cbranch_execz .LBB116_217
.LBB116_226:
	v_cmp_ne_u32_e32 vcc_lo, 1, v16
	s_cbranch_vccnz .LBB116_228
; %bb.227:
	v_lshlrev_b64 v[8:9], 3, v[4:5]
	s_delay_alu instid0(VALU_DEP_1) | instskip(NEXT) | instid1(VALU_DEP_2)
	v_add_co_u32 v8, vcc_lo, v14, v8
	v_add_co_ci_u32_e32 v9, vcc_lo, v15, v9, vcc_lo
	flat_load_b64 v[8:9], v[8:9]
	s_waitcnt vmcnt(0) lgkmcnt(0)
	v_mul_f64 v[8:9], v[8:9], s[10:11]
	s_branch .LBB116_229
.LBB116_228:
	v_mov_b32_e32 v8, 0
	v_mov_b32_e32 v9, 0
.LBB116_229:
	s_delay_alu instid0(VALU_DEP_1) | instskip(SKIP_2) | instid1(VALU_DEP_1)
	v_cvt_f32_f64_e32 v8, v[8:9]
	v_max_f32_e32 v9, v42, v42
	v_lshlrev_b64 v[10:11], 3, v[4:5]
	v_add_co_u32 v10, vcc_lo, v12, v10
	s_delay_alu instid0(VALU_DEP_2) | instskip(NEXT) | instid1(VALU_DEP_4)
	v_add_co_ci_u32_e32 v11, vcc_lo, v13, v11, vcc_lo
	v_min_f32_e32 v8, v8, v9
	s_delay_alu instid0(VALU_DEP_1) | instskip(SKIP_3) | instid1(SALU_CYCLE_1)
	v_cvt_f64_f32_e32 v[8:9], v8
	global_store_b64 v[10:11], v[8:9], off
	s_or_b32 exec_lo, exec_lo, s13
	s_and_b32 s13, s3, s4
	s_and_saveexec_b32 s4, s13
	s_cbranch_execz .LBB116_234
.LBB116_230:
	v_cmp_ne_u32_e32 vcc_lo, 1, v16
	s_cbranch_vccnz .LBB116_232
; %bb.231:
	v_lshlrev_b64 v[8:9], 3, v[6:7]
	s_delay_alu instid0(VALU_DEP_1) | instskip(NEXT) | instid1(VALU_DEP_2)
	v_add_co_u32 v8, vcc_lo, v14, v8
	v_add_co_ci_u32_e32 v9, vcc_lo, v15, v9, vcc_lo
	flat_load_b64 v[8:9], v[8:9]
	s_waitcnt vmcnt(0) lgkmcnt(0)
	v_mul_f64 v[8:9], v[8:9], s[10:11]
	s_branch .LBB116_233
.LBB116_232:
	v_mov_b32_e32 v8, 0
	v_mov_b32_e32 v9, 0
.LBB116_233:
	s_delay_alu instid0(VALU_DEP_1) | instskip(SKIP_2) | instid1(VALU_DEP_1)
	v_cvt_f32_f64_e32 v8, v[8:9]
	v_max_f32_e32 v9, v87, v87
	v_lshlrev_b64 v[10:11], 3, v[6:7]
	v_add_co_u32 v10, vcc_lo, v12, v10
	s_delay_alu instid0(VALU_DEP_2) | instskip(NEXT) | instid1(VALU_DEP_4)
	v_add_co_ci_u32_e32 v11, vcc_lo, v13, v11, vcc_lo
	v_min_f32_e32 v8, v8, v9
	s_delay_alu instid0(VALU_DEP_1)
	v_cvt_f64_f32_e32 v[8:9], v8
	global_store_b64 v[10:11], v[8:9], off
.LBB116_234:
	s_or_b32 exec_lo, exec_lo, s4
	v_add_nc_u32_e32 v12, 0x48, v17
	s_delay_alu instid0(VALU_DEP_1) | instskip(SKIP_2) | instid1(VALU_DEP_3)
	v_mad_i64_i32 v[8:9], null, v12, s6, 0
	v_mad_i64_i32 v[10:11], null, v12, s5, 0
	v_cmp_gt_i32_e64 s4, s17, v12
	v_lshlrev_b64 v[8:9], 3, v[8:9]
	s_delay_alu instid0(VALU_DEP_2) | instskip(NEXT) | instid1(VALU_DEP_3)
	s_and_b32 s14, s0, s4
	v_lshlrev_b64 v[10:11], 3, v[10:11]
	s_delay_alu instid0(VALU_DEP_2) | instskip(NEXT) | instid1(VALU_DEP_3)
	v_add_co_u32 v14, vcc_lo, s8, v8
	v_add_co_ci_u32_e32 v15, vcc_lo, s9, v9, vcc_lo
	s_delay_alu instid0(VALU_DEP_3) | instskip(NEXT) | instid1(VALU_DEP_4)
	v_add_co_u32 v12, vcc_lo, s7, v10
	v_add_co_ci_u32_e32 v13, vcc_lo, s12, v11, vcc_lo
	s_and_saveexec_b32 s13, s14
	s_cbranch_execnz .LBB116_238
; %bb.235:
	s_or_b32 exec_lo, exec_lo, s13
	s_and_b32 s14, s1, s4
	s_delay_alu instid0(SALU_CYCLE_1)
	s_and_saveexec_b32 s13, s14
	s_cbranch_execnz .LBB116_242
.LBB116_236:
	s_or_b32 exec_lo, exec_lo, s13
	s_and_b32 s14, s2, s4
	s_delay_alu instid0(SALU_CYCLE_1)
	s_and_saveexec_b32 s13, s14
	s_cbranch_execnz .LBB116_246
.LBB116_237:
	s_or_b32 exec_lo, exec_lo, s13
	s_and_b32 s13, s3, s4
	s_delay_alu instid0(SALU_CYCLE_1)
	s_and_saveexec_b32 s4, s13
	s_cbranch_execnz .LBB116_250
	s_branch .LBB116_254
.LBB116_238:
	v_cmp_ne_u32_e32 vcc_lo, 1, v16
	s_cbranch_vccnz .LBB116_240
; %bb.239:
	v_lshlrev_b64 v[8:9], 3, v[0:1]
	s_delay_alu instid0(VALU_DEP_1) | instskip(NEXT) | instid1(VALU_DEP_2)
	v_add_co_u32 v8, vcc_lo, v14, v8
	v_add_co_ci_u32_e32 v9, vcc_lo, v15, v9, vcc_lo
	flat_load_b64 v[8:9], v[8:9]
	s_waitcnt vmcnt(0) lgkmcnt(0)
	v_mul_f64 v[8:9], v[8:9], s[10:11]
	s_branch .LBB116_241
.LBB116_240:
	v_mov_b32_e32 v8, 0
	v_mov_b32_e32 v9, 0
.LBB116_241:
	s_delay_alu instid0(VALU_DEP_1) | instskip(SKIP_2) | instid1(VALU_DEP_1)
	v_cvt_f32_f64_e32 v8, v[8:9]
	v_max_f32_e32 v9, v156, v156
	v_lshlrev_b64 v[10:11], 3, v[0:1]
	v_add_co_u32 v10, vcc_lo, v12, v10
	s_delay_alu instid0(VALU_DEP_2) | instskip(NEXT) | instid1(VALU_DEP_4)
	v_add_co_ci_u32_e32 v11, vcc_lo, v13, v11, vcc_lo
	v_min_f32_e32 v8, v8, v9
	s_delay_alu instid0(VALU_DEP_1) | instskip(SKIP_3) | instid1(SALU_CYCLE_1)
	v_cvt_f64_f32_e32 v[8:9], v8
	global_store_b64 v[10:11], v[8:9], off
	s_or_b32 exec_lo, exec_lo, s13
	s_and_b32 s14, s1, s4
	s_and_saveexec_b32 s13, s14
	s_cbranch_execz .LBB116_236
.LBB116_242:
	v_cmp_ne_u32_e32 vcc_lo, 1, v16
	s_cbranch_vccnz .LBB116_244
; %bb.243:
	v_lshlrev_b64 v[8:9], 3, v[2:3]
	s_delay_alu instid0(VALU_DEP_1) | instskip(NEXT) | instid1(VALU_DEP_2)
	v_add_co_u32 v8, vcc_lo, v14, v8
	v_add_co_ci_u32_e32 v9, vcc_lo, v15, v9, vcc_lo
	flat_load_b64 v[8:9], v[8:9]
	s_waitcnt vmcnt(0) lgkmcnt(0)
	v_mul_f64 v[8:9], v[8:9], s[10:11]
	s_branch .LBB116_245
.LBB116_244:
	v_mov_b32_e32 v8, 0
	v_mov_b32_e32 v9, 0
.LBB116_245:
	s_delay_alu instid0(VALU_DEP_1) | instskip(SKIP_2) | instid1(VALU_DEP_1)
	v_cvt_f32_f64_e32 v8, v[8:9]
	v_max_f32_e32 v9, v73, v73
	v_lshlrev_b64 v[10:11], 3, v[2:3]
	v_add_co_u32 v10, vcc_lo, v12, v10
	s_delay_alu instid0(VALU_DEP_2) | instskip(NEXT) | instid1(VALU_DEP_4)
	v_add_co_ci_u32_e32 v11, vcc_lo, v13, v11, vcc_lo
	v_min_f32_e32 v8, v8, v9
	s_delay_alu instid0(VALU_DEP_1) | instskip(SKIP_3) | instid1(SALU_CYCLE_1)
	v_cvt_f64_f32_e32 v[8:9], v8
	global_store_b64 v[10:11], v[8:9], off
	s_or_b32 exec_lo, exec_lo, s13
	s_and_b32 s14, s2, s4
	s_and_saveexec_b32 s13, s14
	s_cbranch_execz .LBB116_237
.LBB116_246:
	v_cmp_ne_u32_e32 vcc_lo, 1, v16
	s_cbranch_vccnz .LBB116_248
; %bb.247:
	v_lshlrev_b64 v[8:9], 3, v[4:5]
	s_delay_alu instid0(VALU_DEP_1) | instskip(NEXT) | instid1(VALU_DEP_2)
	v_add_co_u32 v8, vcc_lo, v14, v8
	v_add_co_ci_u32_e32 v9, vcc_lo, v15, v9, vcc_lo
	flat_load_b64 v[8:9], v[8:9]
	s_waitcnt vmcnt(0) lgkmcnt(0)
	v_mul_f64 v[8:9], v[8:9], s[10:11]
	s_branch .LBB116_249
.LBB116_248:
	v_mov_b32_e32 v8, 0
	v_mov_b32_e32 v9, 0
.LBB116_249:
	s_delay_alu instid0(VALU_DEP_1) | instskip(SKIP_2) | instid1(VALU_DEP_1)
	v_cvt_f32_f64_e32 v8, v[8:9]
	v_max_f32_e32 v9, v72, v72
	v_lshlrev_b64 v[10:11], 3, v[4:5]
	v_add_co_u32 v10, vcc_lo, v12, v10
	s_delay_alu instid0(VALU_DEP_2) | instskip(NEXT) | instid1(VALU_DEP_4)
	v_add_co_ci_u32_e32 v11, vcc_lo, v13, v11, vcc_lo
	v_min_f32_e32 v8, v8, v9
	s_delay_alu instid0(VALU_DEP_1) | instskip(SKIP_3) | instid1(SALU_CYCLE_1)
	v_cvt_f64_f32_e32 v[8:9], v8
	global_store_b64 v[10:11], v[8:9], off
	s_or_b32 exec_lo, exec_lo, s13
	s_and_b32 s13, s3, s4
	s_and_saveexec_b32 s4, s13
	s_cbranch_execz .LBB116_254
.LBB116_250:
	v_cmp_ne_u32_e32 vcc_lo, 1, v16
	s_cbranch_vccnz .LBB116_252
; %bb.251:
	v_lshlrev_b64 v[8:9], 3, v[6:7]
	s_delay_alu instid0(VALU_DEP_1) | instskip(NEXT) | instid1(VALU_DEP_2)
	v_add_co_u32 v8, vcc_lo, v14, v8
	v_add_co_ci_u32_e32 v9, vcc_lo, v15, v9, vcc_lo
	flat_load_b64 v[8:9], v[8:9]
	s_waitcnt vmcnt(0) lgkmcnt(0)
	v_mul_f64 v[8:9], v[8:9], s[10:11]
	s_branch .LBB116_253
.LBB116_252:
	v_mov_b32_e32 v8, 0
	v_mov_b32_e32 v9, 0
.LBB116_253:
	s_delay_alu instid0(VALU_DEP_1) | instskip(SKIP_2) | instid1(VALU_DEP_1)
	v_cvt_f32_f64_e32 v8, v[8:9]
	v_max_f32_e32 v9, v62, v62
	v_lshlrev_b64 v[10:11], 3, v[6:7]
	v_add_co_u32 v10, vcc_lo, v12, v10
	s_delay_alu instid0(VALU_DEP_2) | instskip(NEXT) | instid1(VALU_DEP_4)
	v_add_co_ci_u32_e32 v11, vcc_lo, v13, v11, vcc_lo
	v_min_f32_e32 v8, v8, v9
	s_delay_alu instid0(VALU_DEP_1)
	v_cvt_f64_f32_e32 v[8:9], v8
	global_store_b64 v[10:11], v[8:9], off
.LBB116_254:
	s_or_b32 exec_lo, exec_lo, s4
	v_add_nc_u32_e32 v12, 0x50, v17
	s_delay_alu instid0(VALU_DEP_1) | instskip(SKIP_2) | instid1(VALU_DEP_3)
	v_mad_i64_i32 v[8:9], null, v12, s6, 0
	v_mad_i64_i32 v[10:11], null, v12, s5, 0
	v_cmp_gt_i32_e64 s4, s17, v12
	v_lshlrev_b64 v[8:9], 3, v[8:9]
	s_delay_alu instid0(VALU_DEP_2) | instskip(NEXT) | instid1(VALU_DEP_3)
	s_and_b32 s14, s0, s4
	v_lshlrev_b64 v[10:11], 3, v[10:11]
	s_delay_alu instid0(VALU_DEP_2) | instskip(NEXT) | instid1(VALU_DEP_3)
	v_add_co_u32 v14, vcc_lo, s8, v8
	v_add_co_ci_u32_e32 v15, vcc_lo, s9, v9, vcc_lo
	s_delay_alu instid0(VALU_DEP_3) | instskip(NEXT) | instid1(VALU_DEP_4)
	v_add_co_u32 v12, vcc_lo, s7, v10
	v_add_co_ci_u32_e32 v13, vcc_lo, s12, v11, vcc_lo
	s_and_saveexec_b32 s13, s14
	s_cbranch_execz .LBB116_259
; %bb.255:
	v_cmp_ne_u32_e32 vcc_lo, 1, v16
	s_cbranch_vccnz .LBB116_257
; %bb.256:
	v_lshlrev_b64 v[8:9], 3, v[0:1]
	s_delay_alu instid0(VALU_DEP_1) | instskip(NEXT) | instid1(VALU_DEP_2)
	v_add_co_u32 v8, vcc_lo, v14, v8
	v_add_co_ci_u32_e32 v9, vcc_lo, v15, v9, vcc_lo
	flat_load_b64 v[8:9], v[8:9]
	s_waitcnt vmcnt(0) lgkmcnt(0)
	v_mul_f64 v[8:9], v[8:9], s[10:11]
	s_branch .LBB116_258
.LBB116_257:
	v_mov_b32_e32 v8, 0
	v_mov_b32_e32 v9, 0
.LBB116_258:
	s_delay_alu instid0(VALU_DEP_1) | instskip(SKIP_2) | instid1(VALU_DEP_1)
	v_cvt_f32_f64_e32 v8, v[8:9]
	v_max_f32_e32 v9, v22, v22
	v_lshlrev_b64 v[10:11], 3, v[0:1]
	v_add_co_u32 v10, vcc_lo, v12, v10
	s_delay_alu instid0(VALU_DEP_2) | instskip(NEXT) | instid1(VALU_DEP_4)
	v_add_co_ci_u32_e32 v11, vcc_lo, v13, v11, vcc_lo
	v_min_f32_e32 v8, v8, v9
	s_delay_alu instid0(VALU_DEP_1)
	v_cvt_f64_f32_e32 v[8:9], v8
	global_store_b64 v[10:11], v[8:9], off
.LBB116_259:
	s_or_b32 exec_lo, exec_lo, s13
	v_mov_b32_e32 v10, v21
	s_and_b32 s14, s1, s4
	s_delay_alu instid0(SALU_CYCLE_1)
	s_and_saveexec_b32 s13, s14
	s_cbranch_execnz .LBB116_262
; %bb.260:
	s_or_b32 exec_lo, exec_lo, s13
	s_and_b32 s14, s2, s4
	s_delay_alu instid0(SALU_CYCLE_1)
	s_and_saveexec_b32 s13, s14
	s_cbranch_execnz .LBB116_266
.LBB116_261:
	s_or_b32 exec_lo, exec_lo, s13
	s_and_b32 s13, s3, s4
	s_delay_alu instid0(SALU_CYCLE_1)
	s_and_saveexec_b32 s4, s13
	s_cbranch_execnz .LBB116_270
	s_branch .LBB116_274
.LBB116_262:
	v_cmp_ne_u32_e32 vcc_lo, 1, v16
	s_cbranch_vccnz .LBB116_264
; %bb.263:
	v_lshlrev_b64 v[8:9], 3, v[2:3]
	s_delay_alu instid0(VALU_DEP_1) | instskip(NEXT) | instid1(VALU_DEP_2)
	v_add_co_u32 v8, vcc_lo, v14, v8
	v_add_co_ci_u32_e32 v9, vcc_lo, v15, v9, vcc_lo
	flat_load_b64 v[8:9], v[8:9]
	s_waitcnt vmcnt(0) lgkmcnt(0)
	v_mul_f64 v[8:9], v[8:9], s[10:11]
	s_branch .LBB116_265
.LBB116_264:
	v_mov_b32_e32 v8, 0
	v_mov_b32_e32 v9, 0
.LBB116_265:
	s_delay_alu instid0(VALU_DEP_1) | instskip(SKIP_2) | instid1(VALU_DEP_1)
	v_cvt_f32_f64_e32 v8, v[8:9]
	v_max_f32_e32 v9, v151, v151
	v_lshlrev_b64 v[10:11], 3, v[2:3]
	v_add_co_u32 v10, vcc_lo, v12, v10
	s_delay_alu instid0(VALU_DEP_2) | instskip(NEXT) | instid1(VALU_DEP_4)
	v_add_co_ci_u32_e32 v11, vcc_lo, v13, v11, vcc_lo
	v_min_f32_e32 v8, v8, v9
	s_delay_alu instid0(VALU_DEP_1) | instskip(SKIP_4) | instid1(SALU_CYCLE_1)
	v_cvt_f64_f32_e32 v[8:9], v8
	global_store_b64 v[10:11], v[8:9], off
	v_mov_b32_e32 v10, v21
	s_or_b32 exec_lo, exec_lo, s13
	s_and_b32 s14, s2, s4
	s_and_saveexec_b32 s13, s14
	s_cbranch_execz .LBB116_261
.LBB116_266:
	v_cmp_ne_u32_e32 vcc_lo, 1, v16
	s_cbranch_vccnz .LBB116_268
; %bb.267:
	v_lshlrev_b64 v[8:9], 3, v[4:5]
	s_delay_alu instid0(VALU_DEP_1) | instskip(NEXT) | instid1(VALU_DEP_2)
	v_add_co_u32 v8, vcc_lo, v14, v8
	v_add_co_ci_u32_e32 v9, vcc_lo, v15, v9, vcc_lo
	flat_load_b64 v[8:9], v[8:9]
	s_waitcnt vmcnt(0) lgkmcnt(0)
	v_mul_f64 v[8:9], v[8:9], s[10:11]
	s_branch .LBB116_269
.LBB116_268:
	v_mov_b32_e32 v8, 0
	v_mov_b32_e32 v9, 0
.LBB116_269:
	s_delay_alu instid0(VALU_DEP_1) | instskip(SKIP_2) | instid1(VALU_DEP_1)
	v_cvt_f32_f64_e32 v8, v[8:9]
	v_max_f32_e32 v9, v182, v182
	v_lshlrev_b64 v[10:11], 3, v[4:5]
	v_add_co_u32 v10, vcc_lo, v12, v10
	s_delay_alu instid0(VALU_DEP_2) | instskip(NEXT) | instid1(VALU_DEP_4)
	v_add_co_ci_u32_e32 v11, vcc_lo, v13, v11, vcc_lo
	v_min_f32_e32 v8, v8, v9
	s_delay_alu instid0(VALU_DEP_1) | instskip(SKIP_4) | instid1(SALU_CYCLE_1)
	v_cvt_f64_f32_e32 v[8:9], v8
	global_store_b64 v[10:11], v[8:9], off
	v_mov_b32_e32 v10, v21
	s_or_b32 exec_lo, exec_lo, s13
	s_and_b32 s13, s3, s4
	s_and_saveexec_b32 s4, s13
	s_cbranch_execz .LBB116_274
.LBB116_270:
	v_cmp_ne_u32_e32 vcc_lo, 1, v16
	s_cbranch_vccnz .LBB116_272
; %bb.271:
	v_lshlrev_b64 v[8:9], 3, v[6:7]
	s_delay_alu instid0(VALU_DEP_1) | instskip(NEXT) | instid1(VALU_DEP_2)
	v_add_co_u32 v8, vcc_lo, v14, v8
	v_add_co_ci_u32_e32 v9, vcc_lo, v15, v9, vcc_lo
	flat_load_b64 v[8:9], v[8:9]
	s_waitcnt vmcnt(0) lgkmcnt(0)
	v_mul_f64 v[8:9], v[8:9], s[10:11]
	s_branch .LBB116_273
.LBB116_272:
	v_mov_b32_e32 v8, 0
	v_mov_b32_e32 v9, 0
.LBB116_273:
	s_delay_alu instid0(VALU_DEP_1) | instskip(SKIP_2) | instid1(VALU_DEP_1)
	v_cvt_f32_f64_e32 v8, v[8:9]
	v_max_f32_e32 v9, v10, v10
	v_lshlrev_b64 v[10:11], 3, v[6:7]
	v_add_co_u32 v10, vcc_lo, v12, v10
	s_delay_alu instid0(VALU_DEP_2) | instskip(NEXT) | instid1(VALU_DEP_4)
	v_add_co_ci_u32_e32 v11, vcc_lo, v13, v11, vcc_lo
	v_min_f32_e32 v8, v8, v9
	s_delay_alu instid0(VALU_DEP_1)
	v_cvt_f64_f32_e32 v[8:9], v8
	global_store_b64 v[10:11], v[8:9], off
.LBB116_274:
	s_or_b32 exec_lo, exec_lo, s4
	v_add_nc_u32_e32 v12, 0x58, v17
	s_delay_alu instid0(VALU_DEP_1) | instskip(SKIP_2) | instid1(VALU_DEP_3)
	v_mad_i64_i32 v[8:9], null, v12, s6, 0
	v_mad_i64_i32 v[10:11], null, v12, s5, 0
	v_cmp_gt_i32_e64 s4, s17, v12
	v_lshlrev_b64 v[8:9], 3, v[8:9]
	s_delay_alu instid0(VALU_DEP_2) | instskip(NEXT) | instid1(VALU_DEP_3)
	s_and_b32 s14, s0, s4
	v_lshlrev_b64 v[10:11], 3, v[10:11]
	s_delay_alu instid0(VALU_DEP_2) | instskip(NEXT) | instid1(VALU_DEP_3)
	v_add_co_u32 v14, vcc_lo, s8, v8
	v_add_co_ci_u32_e32 v15, vcc_lo, s9, v9, vcc_lo
	s_delay_alu instid0(VALU_DEP_3) | instskip(NEXT) | instid1(VALU_DEP_4)
	v_add_co_u32 v12, vcc_lo, s7, v10
	v_add_co_ci_u32_e32 v13, vcc_lo, s12, v11, vcc_lo
	s_and_saveexec_b32 s13, s14
	s_cbranch_execnz .LBB116_278
; %bb.275:
	s_or_b32 exec_lo, exec_lo, s13
	s_and_b32 s14, s1, s4
	s_delay_alu instid0(SALU_CYCLE_1)
	s_and_saveexec_b32 s13, s14
	s_cbranch_execnz .LBB116_282
.LBB116_276:
	s_or_b32 exec_lo, exec_lo, s13
	s_and_b32 s14, s2, s4
	s_delay_alu instid0(SALU_CYCLE_1)
	s_and_saveexec_b32 s13, s14
	s_cbranch_execnz .LBB116_286
.LBB116_277:
	s_or_b32 exec_lo, exec_lo, s13
	s_and_b32 s13, s3, s4
	s_delay_alu instid0(SALU_CYCLE_1)
	s_and_saveexec_b32 s4, s13
	s_cbranch_execnz .LBB116_290
	s_branch .LBB116_294
.LBB116_278:
	v_cmp_ne_u32_e32 vcc_lo, 1, v16
	s_cbranch_vccnz .LBB116_280
; %bb.279:
	v_lshlrev_b64 v[8:9], 3, v[0:1]
	s_delay_alu instid0(VALU_DEP_1) | instskip(NEXT) | instid1(VALU_DEP_2)
	v_add_co_u32 v8, vcc_lo, v14, v8
	v_add_co_ci_u32_e32 v9, vcc_lo, v15, v9, vcc_lo
	flat_load_b64 v[8:9], v[8:9]
	s_waitcnt vmcnt(0) lgkmcnt(0)
	v_mul_f64 v[8:9], v[8:9], s[10:11]
	s_branch .LBB116_281
.LBB116_280:
	v_mov_b32_e32 v8, 0
	v_mov_b32_e32 v9, 0
.LBB116_281:
	s_delay_alu instid0(VALU_DEP_1) | instskip(SKIP_2) | instid1(VALU_DEP_1)
	v_cvt_f32_f64_e32 v8, v[8:9]
	v_max_f32_e32 v9, v58, v58
	v_lshlrev_b64 v[10:11], 3, v[0:1]
	v_add_co_u32 v10, vcc_lo, v12, v10
	s_delay_alu instid0(VALU_DEP_2) | instskip(NEXT) | instid1(VALU_DEP_4)
	v_add_co_ci_u32_e32 v11, vcc_lo, v13, v11, vcc_lo
	v_min_f32_e32 v8, v8, v9
	s_delay_alu instid0(VALU_DEP_1) | instskip(SKIP_3) | instid1(SALU_CYCLE_1)
	v_cvt_f64_f32_e32 v[8:9], v8
	global_store_b64 v[10:11], v[8:9], off
	s_or_b32 exec_lo, exec_lo, s13
	s_and_b32 s14, s1, s4
	s_and_saveexec_b32 s13, s14
	s_cbranch_execz .LBB116_276
.LBB116_282:
	v_cmp_ne_u32_e32 vcc_lo, 1, v16
	s_cbranch_vccnz .LBB116_284
; %bb.283:
	v_lshlrev_b64 v[8:9], 3, v[2:3]
	s_delay_alu instid0(VALU_DEP_1) | instskip(NEXT) | instid1(VALU_DEP_2)
	v_add_co_u32 v8, vcc_lo, v14, v8
	v_add_co_ci_u32_e32 v9, vcc_lo, v15, v9, vcc_lo
	flat_load_b64 v[8:9], v[8:9]
	s_waitcnt vmcnt(0) lgkmcnt(0)
	v_mul_f64 v[8:9], v[8:9], s[10:11]
	s_branch .LBB116_285
.LBB116_284:
	v_mov_b32_e32 v8, 0
	v_mov_b32_e32 v9, 0
.LBB116_285:
	s_delay_alu instid0(VALU_DEP_1) | instskip(SKIP_2) | instid1(VALU_DEP_1)
	v_cvt_f32_f64_e32 v8, v[8:9]
	v_max_f32_e32 v9, v219, v219
	v_lshlrev_b64 v[10:11], 3, v[2:3]
	v_add_co_u32 v10, vcc_lo, v12, v10
	s_delay_alu instid0(VALU_DEP_2) | instskip(NEXT) | instid1(VALU_DEP_4)
	v_add_co_ci_u32_e32 v11, vcc_lo, v13, v11, vcc_lo
	v_min_f32_e32 v8, v8, v9
	s_delay_alu instid0(VALU_DEP_1) | instskip(SKIP_3) | instid1(SALU_CYCLE_1)
	v_cvt_f64_f32_e32 v[8:9], v8
	global_store_b64 v[10:11], v[8:9], off
	s_or_b32 exec_lo, exec_lo, s13
	s_and_b32 s14, s2, s4
	s_and_saveexec_b32 s13, s14
	s_cbranch_execz .LBB116_277
.LBB116_286:
	v_cmp_ne_u32_e32 vcc_lo, 1, v16
	s_cbranch_vccnz .LBB116_288
; %bb.287:
	v_lshlrev_b64 v[8:9], 3, v[4:5]
	s_delay_alu instid0(VALU_DEP_1) | instskip(NEXT) | instid1(VALU_DEP_2)
	v_add_co_u32 v8, vcc_lo, v14, v8
	v_add_co_ci_u32_e32 v9, vcc_lo, v15, v9, vcc_lo
	flat_load_b64 v[8:9], v[8:9]
	s_waitcnt vmcnt(0) lgkmcnt(0)
	v_mul_f64 v[8:9], v[8:9], s[10:11]
	s_branch .LBB116_289
.LBB116_288:
	v_mov_b32_e32 v8, 0
	v_mov_b32_e32 v9, 0
.LBB116_289:
	s_delay_alu instid0(VALU_DEP_1) | instskip(SKIP_2) | instid1(VALU_DEP_1)
	v_cvt_f32_f64_e32 v8, v[8:9]
	v_max_f32_e32 v9, v227, v227
	v_lshlrev_b64 v[10:11], 3, v[4:5]
	v_add_co_u32 v10, vcc_lo, v12, v10
	s_delay_alu instid0(VALU_DEP_2) | instskip(NEXT) | instid1(VALU_DEP_4)
	v_add_co_ci_u32_e32 v11, vcc_lo, v13, v11, vcc_lo
	v_min_f32_e32 v8, v8, v9
	s_delay_alu instid0(VALU_DEP_1) | instskip(SKIP_3) | instid1(SALU_CYCLE_1)
	v_cvt_f64_f32_e32 v[8:9], v8
	global_store_b64 v[10:11], v[8:9], off
	s_or_b32 exec_lo, exec_lo, s13
	s_and_b32 s13, s3, s4
	s_and_saveexec_b32 s4, s13
	s_cbranch_execz .LBB116_294
.LBB116_290:
	v_cmp_ne_u32_e32 vcc_lo, 1, v16
	s_cbranch_vccnz .LBB116_292
; %bb.291:
	v_lshlrev_b64 v[8:9], 3, v[6:7]
	s_delay_alu instid0(VALU_DEP_1) | instskip(NEXT) | instid1(VALU_DEP_2)
	v_add_co_u32 v8, vcc_lo, v14, v8
	v_add_co_ci_u32_e32 v9, vcc_lo, v15, v9, vcc_lo
	flat_load_b64 v[8:9], v[8:9]
	s_waitcnt vmcnt(0) lgkmcnt(0)
	v_mul_f64 v[8:9], v[8:9], s[10:11]
	s_branch .LBB116_293
.LBB116_292:
	v_mov_b32_e32 v8, 0
	v_mov_b32_e32 v9, 0
.LBB116_293:
	s_delay_alu instid0(VALU_DEP_1) | instskip(SKIP_2) | instid1(VALU_DEP_1)
	v_cvt_f32_f64_e32 v8, v[8:9]
	v_max_f32_e32 v9, v218, v218
	v_lshlrev_b64 v[10:11], 3, v[6:7]
	v_add_co_u32 v10, vcc_lo, v12, v10
	s_delay_alu instid0(VALU_DEP_2) | instskip(NEXT) | instid1(VALU_DEP_4)
	v_add_co_ci_u32_e32 v11, vcc_lo, v13, v11, vcc_lo
	v_min_f32_e32 v8, v8, v9
	s_delay_alu instid0(VALU_DEP_1)
	v_cvt_f64_f32_e32 v[8:9], v8
	global_store_b64 v[10:11], v[8:9], off
.LBB116_294:
	s_or_b32 exec_lo, exec_lo, s4
	v_add_nc_u32_e32 v12, 0x60, v17
	s_delay_alu instid0(VALU_DEP_1) | instskip(SKIP_2) | instid1(VALU_DEP_3)
	v_mad_i64_i32 v[8:9], null, v12, s6, 0
	v_mad_i64_i32 v[10:11], null, v12, s5, 0
	v_cmp_gt_i32_e64 s4, s17, v12
	v_lshlrev_b64 v[8:9], 3, v[8:9]
	s_delay_alu instid0(VALU_DEP_2) | instskip(NEXT) | instid1(VALU_DEP_3)
	s_and_b32 s14, s0, s4
	v_lshlrev_b64 v[10:11], 3, v[10:11]
	s_delay_alu instid0(VALU_DEP_2) | instskip(NEXT) | instid1(VALU_DEP_3)
	v_add_co_u32 v14, vcc_lo, s8, v8
	v_add_co_ci_u32_e32 v15, vcc_lo, s9, v9, vcc_lo
	s_delay_alu instid0(VALU_DEP_3) | instskip(NEXT) | instid1(VALU_DEP_4)
	v_add_co_u32 v12, vcc_lo, s7, v10
	v_add_co_ci_u32_e32 v13, vcc_lo, s12, v11, vcc_lo
	s_and_saveexec_b32 s13, s14
	s_cbranch_execnz .LBB116_298
; %bb.295:
	s_or_b32 exec_lo, exec_lo, s13
	s_and_b32 s14, s1, s4
	s_delay_alu instid0(SALU_CYCLE_1)
	s_and_saveexec_b32 s13, s14
	s_cbranch_execnz .LBB116_302
.LBB116_296:
	s_or_b32 exec_lo, exec_lo, s13
	s_and_b32 s14, s2, s4
	s_delay_alu instid0(SALU_CYCLE_1)
	s_and_saveexec_b32 s13, s14
	s_cbranch_execnz .LBB116_306
.LBB116_297:
	s_or_b32 exec_lo, exec_lo, s13
	s_and_b32 s13, s3, s4
	s_delay_alu instid0(SALU_CYCLE_1)
	s_and_saveexec_b32 s4, s13
	s_cbranch_execnz .LBB116_310
	s_branch .LBB116_314
.LBB116_298:
	v_cmp_ne_u32_e32 vcc_lo, 1, v16
	s_cbranch_vccnz .LBB116_300
; %bb.299:
	v_lshlrev_b64 v[8:9], 3, v[0:1]
	s_delay_alu instid0(VALU_DEP_1) | instskip(NEXT) | instid1(VALU_DEP_2)
	v_add_co_u32 v8, vcc_lo, v14, v8
	v_add_co_ci_u32_e32 v9, vcc_lo, v15, v9, vcc_lo
	flat_load_b64 v[8:9], v[8:9]
	s_waitcnt vmcnt(0) lgkmcnt(0)
	v_mul_f64 v[8:9], v[8:9], s[10:11]
	s_branch .LBB116_301
.LBB116_300:
	v_mov_b32_e32 v8, 0
	v_mov_b32_e32 v9, 0
.LBB116_301:
	s_delay_alu instid0(VALU_DEP_1) | instskip(SKIP_2) | instid1(VALU_DEP_1)
	v_cvt_f32_f64_e32 v8, v[8:9]
	v_max_f32_e32 v9, v63, v63
	v_lshlrev_b64 v[10:11], 3, v[0:1]
	v_add_co_u32 v10, vcc_lo, v12, v10
	s_delay_alu instid0(VALU_DEP_2) | instskip(NEXT) | instid1(VALU_DEP_4)
	v_add_co_ci_u32_e32 v11, vcc_lo, v13, v11, vcc_lo
	v_min_f32_e32 v8, v8, v9
	s_delay_alu instid0(VALU_DEP_1) | instskip(SKIP_3) | instid1(SALU_CYCLE_1)
	v_cvt_f64_f32_e32 v[8:9], v8
	global_store_b64 v[10:11], v[8:9], off
	s_or_b32 exec_lo, exec_lo, s13
	s_and_b32 s14, s1, s4
	s_and_saveexec_b32 s13, s14
	s_cbranch_execz .LBB116_296
.LBB116_302:
	v_cmp_ne_u32_e32 vcc_lo, 1, v16
	s_cbranch_vccnz .LBB116_304
; %bb.303:
	v_lshlrev_b64 v[8:9], 3, v[2:3]
	s_delay_alu instid0(VALU_DEP_1) | instskip(NEXT) | instid1(VALU_DEP_2)
	v_add_co_u32 v8, vcc_lo, v14, v8
	v_add_co_ci_u32_e32 v9, vcc_lo, v15, v9, vcc_lo
	flat_load_b64 v[8:9], v[8:9]
	s_waitcnt vmcnt(0) lgkmcnt(0)
	v_mul_f64 v[8:9], v[8:9], s[10:11]
	s_branch .LBB116_305
.LBB116_304:
	v_mov_b32_e32 v8, 0
	v_mov_b32_e32 v9, 0
.LBB116_305:
	s_delay_alu instid0(VALU_DEP_1) | instskip(SKIP_2) | instid1(VALU_DEP_1)
	v_cvt_f32_f64_e32 v8, v[8:9]
	v_max_f32_e32 v9, v221, v221
	v_lshlrev_b64 v[10:11], 3, v[2:3]
	v_add_co_u32 v10, vcc_lo, v12, v10
	s_delay_alu instid0(VALU_DEP_2) | instskip(NEXT) | instid1(VALU_DEP_4)
	v_add_co_ci_u32_e32 v11, vcc_lo, v13, v11, vcc_lo
	v_min_f32_e32 v8, v8, v9
	s_delay_alu instid0(VALU_DEP_1) | instskip(SKIP_3) | instid1(SALU_CYCLE_1)
	v_cvt_f64_f32_e32 v[8:9], v8
	global_store_b64 v[10:11], v[8:9], off
	s_or_b32 exec_lo, exec_lo, s13
	s_and_b32 s14, s2, s4
	s_and_saveexec_b32 s13, s14
	s_cbranch_execz .LBB116_297
.LBB116_306:
	v_cmp_ne_u32_e32 vcc_lo, 1, v16
	s_cbranch_vccnz .LBB116_308
; %bb.307:
	v_lshlrev_b64 v[8:9], 3, v[4:5]
	s_delay_alu instid0(VALU_DEP_1) | instskip(NEXT) | instid1(VALU_DEP_2)
	v_add_co_u32 v8, vcc_lo, v14, v8
	v_add_co_ci_u32_e32 v9, vcc_lo, v15, v9, vcc_lo
	flat_load_b64 v[8:9], v[8:9]
	s_waitcnt vmcnt(0) lgkmcnt(0)
	v_mul_f64 v[8:9], v[8:9], s[10:11]
	s_branch .LBB116_309
.LBB116_308:
	v_mov_b32_e32 v8, 0
	v_mov_b32_e32 v9, 0
.LBB116_309:
	s_delay_alu instid0(VALU_DEP_1) | instskip(SKIP_2) | instid1(VALU_DEP_1)
	v_cvt_f32_f64_e32 v8, v[8:9]
	v_max_f32_e32 v9, v113, v113
	v_lshlrev_b64 v[10:11], 3, v[4:5]
	v_add_co_u32 v10, vcc_lo, v12, v10
	s_delay_alu instid0(VALU_DEP_2) | instskip(NEXT) | instid1(VALU_DEP_4)
	v_add_co_ci_u32_e32 v11, vcc_lo, v13, v11, vcc_lo
	v_min_f32_e32 v8, v8, v9
	s_delay_alu instid0(VALU_DEP_1) | instskip(SKIP_3) | instid1(SALU_CYCLE_1)
	v_cvt_f64_f32_e32 v[8:9], v8
	global_store_b64 v[10:11], v[8:9], off
	s_or_b32 exec_lo, exec_lo, s13
	s_and_b32 s13, s3, s4
	s_and_saveexec_b32 s4, s13
	s_cbranch_execz .LBB116_314
.LBB116_310:
	v_cmp_ne_u32_e32 vcc_lo, 1, v16
	s_cbranch_vccnz .LBB116_312
; %bb.311:
	v_lshlrev_b64 v[8:9], 3, v[6:7]
	s_delay_alu instid0(VALU_DEP_1) | instskip(NEXT) | instid1(VALU_DEP_2)
	v_add_co_u32 v8, vcc_lo, v14, v8
	v_add_co_ci_u32_e32 v9, vcc_lo, v15, v9, vcc_lo
	flat_load_b64 v[8:9], v[8:9]
	s_waitcnt vmcnt(0) lgkmcnt(0)
	v_mul_f64 v[8:9], v[8:9], s[10:11]
	s_branch .LBB116_313
.LBB116_312:
	v_mov_b32_e32 v8, 0
	v_mov_b32_e32 v9, 0
.LBB116_313:
	s_delay_alu instid0(VALU_DEP_1) | instskip(SKIP_2) | instid1(VALU_DEP_1)
	v_cvt_f32_f64_e32 v8, v[8:9]
	v_max_f32_e32 v9, v233, v233
	v_lshlrev_b64 v[10:11], 3, v[6:7]
	v_add_co_u32 v10, vcc_lo, v12, v10
	s_delay_alu instid0(VALU_DEP_2) | instskip(NEXT) | instid1(VALU_DEP_4)
	v_add_co_ci_u32_e32 v11, vcc_lo, v13, v11, vcc_lo
	v_min_f32_e32 v8, v8, v9
	s_delay_alu instid0(VALU_DEP_1)
	v_cvt_f64_f32_e32 v[8:9], v8
	global_store_b64 v[10:11], v[8:9], off
.LBB116_314:
	s_or_b32 exec_lo, exec_lo, s4
	v_add_nc_u32_e32 v12, 0x68, v17
	s_delay_alu instid0(VALU_DEP_1) | instskip(SKIP_2) | instid1(VALU_DEP_3)
	v_mad_i64_i32 v[8:9], null, v12, s6, 0
	v_mad_i64_i32 v[10:11], null, v12, s5, 0
	v_cmp_gt_i32_e64 s4, s17, v12
	v_lshlrev_b64 v[8:9], 3, v[8:9]
	s_delay_alu instid0(VALU_DEP_2) | instskip(NEXT) | instid1(VALU_DEP_3)
	s_and_b32 s14, s0, s4
	v_lshlrev_b64 v[10:11], 3, v[10:11]
	s_delay_alu instid0(VALU_DEP_2) | instskip(NEXT) | instid1(VALU_DEP_3)
	v_add_co_u32 v14, vcc_lo, s8, v8
	v_add_co_ci_u32_e32 v15, vcc_lo, s9, v9, vcc_lo
	s_delay_alu instid0(VALU_DEP_3) | instskip(NEXT) | instid1(VALU_DEP_4)
	v_add_co_u32 v12, vcc_lo, s7, v10
	v_add_co_ci_u32_e32 v13, vcc_lo, s12, v11, vcc_lo
	s_and_saveexec_b32 s13, s14
	s_cbranch_execnz .LBB116_318
; %bb.315:
	s_or_b32 exec_lo, exec_lo, s13
	s_and_b32 s14, s1, s4
	s_delay_alu instid0(SALU_CYCLE_1)
	s_and_saveexec_b32 s13, s14
	s_cbranch_execnz .LBB116_322
.LBB116_316:
	s_or_b32 exec_lo, exec_lo, s13
	s_and_b32 s14, s2, s4
	s_delay_alu instid0(SALU_CYCLE_1)
	s_and_saveexec_b32 s13, s14
	s_cbranch_execnz .LBB116_326
.LBB116_317:
	s_or_b32 exec_lo, exec_lo, s13
	s_and_b32 s13, s3, s4
	s_delay_alu instid0(SALU_CYCLE_1)
	s_and_saveexec_b32 s4, s13
	s_cbranch_execnz .LBB116_330
	s_branch .LBB116_334
.LBB116_318:
	v_cmp_ne_u32_e32 vcc_lo, 1, v16
	s_cbranch_vccnz .LBB116_320
; %bb.319:
	v_lshlrev_b64 v[8:9], 3, v[0:1]
	s_delay_alu instid0(VALU_DEP_1) | instskip(NEXT) | instid1(VALU_DEP_2)
	v_add_co_u32 v8, vcc_lo, v14, v8
	v_add_co_ci_u32_e32 v9, vcc_lo, v15, v9, vcc_lo
	flat_load_b64 v[8:9], v[8:9]
	s_waitcnt vmcnt(0) lgkmcnt(0)
	v_mul_f64 v[8:9], v[8:9], s[10:11]
	s_branch .LBB116_321
.LBB116_320:
	v_mov_b32_e32 v8, 0
	v_mov_b32_e32 v9, 0
.LBB116_321:
	s_delay_alu instid0(VALU_DEP_1) | instskip(SKIP_2) | instid1(VALU_DEP_1)
	v_cvt_f32_f64_e32 v8, v[8:9]
	v_max_f32_e32 v9, v255, v255
	v_lshlrev_b64 v[10:11], 3, v[0:1]
	v_add_co_u32 v10, vcc_lo, v12, v10
	s_delay_alu instid0(VALU_DEP_2) | instskip(NEXT) | instid1(VALU_DEP_4)
	v_add_co_ci_u32_e32 v11, vcc_lo, v13, v11, vcc_lo
	v_min_f32_e32 v8, v8, v9
	s_delay_alu instid0(VALU_DEP_1) | instskip(SKIP_3) | instid1(SALU_CYCLE_1)
	v_cvt_f64_f32_e32 v[8:9], v8
	global_store_b64 v[10:11], v[8:9], off
	s_or_b32 exec_lo, exec_lo, s13
	s_and_b32 s14, s1, s4
	s_and_saveexec_b32 s13, s14
	s_cbranch_execz .LBB116_316
.LBB116_322:
	v_cmp_ne_u32_e32 vcc_lo, 1, v16
	s_cbranch_vccnz .LBB116_324
; %bb.323:
	v_lshlrev_b64 v[8:9], 3, v[2:3]
	s_delay_alu instid0(VALU_DEP_1) | instskip(NEXT) | instid1(VALU_DEP_2)
	v_add_co_u32 v8, vcc_lo, v14, v8
	v_add_co_ci_u32_e32 v9, vcc_lo, v15, v9, vcc_lo
	flat_load_b64 v[8:9], v[8:9]
	s_waitcnt vmcnt(0) lgkmcnt(0)
	v_mul_f64 v[8:9], v[8:9], s[10:11]
	s_branch .LBB116_325
.LBB116_324:
	v_mov_b32_e32 v8, 0
	v_mov_b32_e32 v9, 0
.LBB116_325:
	s_delay_alu instid0(VALU_DEP_1) | instskip(SKIP_2) | instid1(VALU_DEP_1)
	v_cvt_f32_f64_e32 v8, v[8:9]
	v_max_f32_e32 v9, v228, v228
	v_lshlrev_b64 v[10:11], 3, v[2:3]
	v_add_co_u32 v10, vcc_lo, v12, v10
	s_delay_alu instid0(VALU_DEP_2) | instskip(NEXT) | instid1(VALU_DEP_4)
	v_add_co_ci_u32_e32 v11, vcc_lo, v13, v11, vcc_lo
	v_min_f32_e32 v8, v8, v9
	s_delay_alu instid0(VALU_DEP_1) | instskip(SKIP_3) | instid1(SALU_CYCLE_1)
	v_cvt_f64_f32_e32 v[8:9], v8
	global_store_b64 v[10:11], v[8:9], off
	s_or_b32 exec_lo, exec_lo, s13
	s_and_b32 s14, s2, s4
	s_and_saveexec_b32 s13, s14
	s_cbranch_execz .LBB116_317
.LBB116_326:
	v_cmp_ne_u32_e32 vcc_lo, 1, v16
	s_cbranch_vccnz .LBB116_328
; %bb.327:
	v_lshlrev_b64 v[8:9], 3, v[4:5]
	s_delay_alu instid0(VALU_DEP_1) | instskip(NEXT) | instid1(VALU_DEP_2)
	v_add_co_u32 v8, vcc_lo, v14, v8
	v_add_co_ci_u32_e32 v9, vcc_lo, v15, v9, vcc_lo
	flat_load_b64 v[8:9], v[8:9]
	s_waitcnt vmcnt(0) lgkmcnt(0)
	v_mul_f64 v[8:9], v[8:9], s[10:11]
	s_branch .LBB116_329
.LBB116_328:
	v_mov_b32_e32 v8, 0
	v_mov_b32_e32 v9, 0
.LBB116_329:
	s_delay_alu instid0(VALU_DEP_1) | instskip(SKIP_2) | instid1(VALU_DEP_1)
	v_cvt_f32_f64_e32 v8, v[8:9]
	v_max_f32_e32 v9, v223, v223
	v_lshlrev_b64 v[10:11], 3, v[4:5]
	v_add_co_u32 v10, vcc_lo, v12, v10
	s_delay_alu instid0(VALU_DEP_2) | instskip(NEXT) | instid1(VALU_DEP_4)
	v_add_co_ci_u32_e32 v11, vcc_lo, v13, v11, vcc_lo
	v_min_f32_e32 v8, v8, v9
	s_delay_alu instid0(VALU_DEP_1) | instskip(SKIP_3) | instid1(SALU_CYCLE_1)
	v_cvt_f64_f32_e32 v[8:9], v8
	global_store_b64 v[10:11], v[8:9], off
	s_or_b32 exec_lo, exec_lo, s13
	s_and_b32 s13, s3, s4
	s_and_saveexec_b32 s4, s13
	s_cbranch_execz .LBB116_334
.LBB116_330:
	v_cmp_ne_u32_e32 vcc_lo, 1, v16
	s_cbranch_vccnz .LBB116_332
; %bb.331:
	v_lshlrev_b64 v[8:9], 3, v[6:7]
	s_delay_alu instid0(VALU_DEP_1) | instskip(NEXT) | instid1(VALU_DEP_2)
	v_add_co_u32 v8, vcc_lo, v14, v8
	v_add_co_ci_u32_e32 v9, vcc_lo, v15, v9, vcc_lo
	flat_load_b64 v[8:9], v[8:9]
	s_waitcnt vmcnt(0) lgkmcnt(0)
	v_mul_f64 v[8:9], v[8:9], s[10:11]
	s_branch .LBB116_333
.LBB116_332:
	v_mov_b32_e32 v8, 0
	v_mov_b32_e32 v9, 0
.LBB116_333:
	s_delay_alu instid0(VALU_DEP_1) | instskip(SKIP_2) | instid1(VALU_DEP_1)
	v_cvt_f32_f64_e32 v8, v[8:9]
	v_max_f32_e32 v9, v211, v211
	v_lshlrev_b64 v[10:11], 3, v[6:7]
	v_add_co_u32 v10, vcc_lo, v12, v10
	s_delay_alu instid0(VALU_DEP_2) | instskip(NEXT) | instid1(VALU_DEP_4)
	v_add_co_ci_u32_e32 v11, vcc_lo, v13, v11, vcc_lo
	v_min_f32_e32 v8, v8, v9
	s_delay_alu instid0(VALU_DEP_1)
	v_cvt_f64_f32_e32 v[8:9], v8
	global_store_b64 v[10:11], v[8:9], off
.LBB116_334:
	s_or_b32 exec_lo, exec_lo, s4
	v_add_nc_u32_e32 v12, 0x70, v17
	s_delay_alu instid0(VALU_DEP_1) | instskip(SKIP_2) | instid1(VALU_DEP_3)
	v_mad_i64_i32 v[8:9], null, v12, s6, 0
	v_mad_i64_i32 v[10:11], null, v12, s5, 0
	v_cmp_gt_i32_e64 s4, s17, v12
	v_lshlrev_b64 v[8:9], 3, v[8:9]
	s_delay_alu instid0(VALU_DEP_2) | instskip(NEXT) | instid1(VALU_DEP_3)
	s_and_b32 s14, s0, s4
	v_lshlrev_b64 v[10:11], 3, v[10:11]
	s_delay_alu instid0(VALU_DEP_2) | instskip(NEXT) | instid1(VALU_DEP_3)
	v_add_co_u32 v12, vcc_lo, s8, v8
	v_add_co_ci_u32_e32 v13, vcc_lo, s9, v9, vcc_lo
	s_delay_alu instid0(VALU_DEP_3) | instskip(NEXT) | instid1(VALU_DEP_4)
	v_add_co_u32 v8, vcc_lo, s7, v10
	v_add_co_ci_u32_e32 v9, vcc_lo, s12, v11, vcc_lo
	s_and_saveexec_b32 s13, s14
	s_cbranch_execnz .LBB116_338
; %bb.335:
	s_or_b32 exec_lo, exec_lo, s13
	s_and_b32 s14, s1, s4
	s_delay_alu instid0(SALU_CYCLE_1)
	s_and_saveexec_b32 s13, s14
	s_cbranch_execnz .LBB116_342
.LBB116_336:
	s_or_b32 exec_lo, exec_lo, s13
	s_and_b32 s14, s2, s4
	s_delay_alu instid0(SALU_CYCLE_1)
	s_and_saveexec_b32 s13, s14
	s_cbranch_execnz .LBB116_346
.LBB116_337:
	s_or_b32 exec_lo, exec_lo, s13
	s_and_b32 s13, s3, s4
	s_delay_alu instid0(SALU_CYCLE_1)
	s_and_saveexec_b32 s4, s13
	s_cbranch_execnz .LBB116_350
	s_branch .LBB116_354
.LBB116_338:
	v_cmp_ne_u32_e32 vcc_lo, 1, v16
	s_cbranch_vccnz .LBB116_340
; %bb.339:
	v_lshlrev_b64 v[10:11], 3, v[0:1]
	s_delay_alu instid0(VALU_DEP_1) | instskip(NEXT) | instid1(VALU_DEP_2)
	v_add_co_u32 v10, vcc_lo, v12, v10
	v_add_co_ci_u32_e32 v11, vcc_lo, v13, v11, vcc_lo
	flat_load_b64 v[10:11], v[10:11]
	s_waitcnt vmcnt(0) lgkmcnt(0)
	v_mul_f64 v[10:11], v[10:11], s[10:11]
	s_delay_alu instid0(VALU_DEP_1)
	v_cvt_f32_f64_e32 v14, v[10:11]
	s_branch .LBB116_341
.LBB116_340:
	v_mov_b32_e32 v14, 0
.LBB116_341:
	s_delay_alu instid0(VALU_DEP_1) | instskip(SKIP_1) | instid1(VALU_DEP_2)
	v_dual_max_f32 v10, v213, v213 :: v_dual_max_f32 v11, v14, v14
	v_lshlrev_b64 v[14:15], 3, v[0:1]
	v_min_f32_e32 v10, v11, v10
	s_delay_alu instid0(VALU_DEP_2) | instskip(NEXT) | instid1(VALU_DEP_3)
	v_add_co_u32 v14, vcc_lo, v8, v14
	v_add_co_ci_u32_e32 v15, vcc_lo, v9, v15, vcc_lo
	s_delay_alu instid0(VALU_DEP_3) | instskip(SKIP_3) | instid1(SALU_CYCLE_1)
	v_cvt_f64_f32_e32 v[10:11], v10
	global_store_b64 v[14:15], v[10:11], off
	s_or_b32 exec_lo, exec_lo, s13
	s_and_b32 s14, s1, s4
	s_and_saveexec_b32 s13, s14
	s_cbranch_execz .LBB116_336
.LBB116_342:
	v_cmp_ne_u32_e32 vcc_lo, 1, v16
	s_cbranch_vccnz .LBB116_344
; %bb.343:
	v_lshlrev_b64 v[10:11], 3, v[2:3]
	s_delay_alu instid0(VALU_DEP_1) | instskip(NEXT) | instid1(VALU_DEP_2)
	v_add_co_u32 v10, vcc_lo, v12, v10
	v_add_co_ci_u32_e32 v11, vcc_lo, v13, v11, vcc_lo
	flat_load_b64 v[10:11], v[10:11]
	s_waitcnt vmcnt(0) lgkmcnt(0)
	v_mul_f64 v[10:11], v[10:11], s[10:11]
	s_delay_alu instid0(VALU_DEP_1)
	v_cvt_f32_f64_e32 v14, v[10:11]
	s_branch .LBB116_345
.LBB116_344:
	v_mov_b32_e32 v14, 0
.LBB116_345:
	s_delay_alu instid0(VALU_DEP_1) | instskip(SKIP_1) | instid1(VALU_DEP_2)
	v_dual_max_f32 v10, v212, v212 :: v_dual_max_f32 v11, v14, v14
	v_lshlrev_b64 v[14:15], 3, v[2:3]
	v_min_f32_e32 v10, v11, v10
	s_delay_alu instid0(VALU_DEP_2) | instskip(NEXT) | instid1(VALU_DEP_3)
	v_add_co_u32 v14, vcc_lo, v8, v14
	v_add_co_ci_u32_e32 v15, vcc_lo, v9, v15, vcc_lo
	s_delay_alu instid0(VALU_DEP_3) | instskip(SKIP_3) | instid1(SALU_CYCLE_1)
	v_cvt_f64_f32_e32 v[10:11], v10
	global_store_b64 v[14:15], v[10:11], off
	s_or_b32 exec_lo, exec_lo, s13
	s_and_b32 s14, s2, s4
	s_and_saveexec_b32 s13, s14
	s_cbranch_execz .LBB116_337
.LBB116_346:
	v_cmp_ne_u32_e32 vcc_lo, 1, v16
	s_cbranch_vccnz .LBB116_348
; %bb.347:
	v_lshlrev_b64 v[10:11], 3, v[4:5]
	s_delay_alu instid0(VALU_DEP_1) | instskip(NEXT) | instid1(VALU_DEP_2)
	v_add_co_u32 v10, vcc_lo, v12, v10
	v_add_co_ci_u32_e32 v11, vcc_lo, v13, v11, vcc_lo
	flat_load_b64 v[10:11], v[10:11]
	s_waitcnt vmcnt(0) lgkmcnt(0)
	v_mul_f64 v[10:11], v[10:11], s[10:11]
	s_delay_alu instid0(VALU_DEP_1)
	v_cvt_f32_f64_e32 v14, v[10:11]
	s_branch .LBB116_349
.LBB116_348:
	v_mov_b32_e32 v14, 0
.LBB116_349:
	v_max_f32_e32 v10, v210, v210
	s_delay_alu instid0(VALU_DEP_2) | instskip(SKIP_1) | instid1(VALU_DEP_2)
	v_max_f32_e32 v11, v14, v14
	v_lshlrev_b64 v[14:15], 3, v[4:5]
	v_min_f32_e32 v10, v11, v10
	s_delay_alu instid0(VALU_DEP_2) | instskip(NEXT) | instid1(VALU_DEP_3)
	v_add_co_u32 v14, vcc_lo, v8, v14
	v_add_co_ci_u32_e32 v15, vcc_lo, v9, v15, vcc_lo
	s_delay_alu instid0(VALU_DEP_3) | instskip(SKIP_3) | instid1(SALU_CYCLE_1)
	v_cvt_f64_f32_e32 v[10:11], v10
	global_store_b64 v[14:15], v[10:11], off
	s_or_b32 exec_lo, exec_lo, s13
	s_and_b32 s13, s3, s4
	s_and_saveexec_b32 s4, s13
	s_cbranch_execz .LBB116_354
.LBB116_350:
	v_cmp_ne_u32_e32 vcc_lo, 1, v16
	s_cbranch_vccnz .LBB116_352
; %bb.351:
	v_lshlrev_b64 v[10:11], 3, v[6:7]
	s_delay_alu instid0(VALU_DEP_1) | instskip(NEXT) | instid1(VALU_DEP_2)
	v_add_co_u32 v10, vcc_lo, v12, v10
	v_add_co_ci_u32_e32 v11, vcc_lo, v13, v11, vcc_lo
	flat_load_b64 v[10:11], v[10:11]
	s_waitcnt vmcnt(0) lgkmcnt(0)
	v_mul_f64 v[10:11], v[10:11], s[10:11]
	s_delay_alu instid0(VALU_DEP_1)
	v_cvt_f32_f64_e32 v12, v[10:11]
	s_branch .LBB116_353
.LBB116_352:
	v_mov_b32_e32 v12, 0
.LBB116_353:
	s_delay_alu instid0(VALU_DEP_1) | instskip(SKIP_1) | instid1(VALU_DEP_2)
	v_dual_max_f32 v10, v209, v209 :: v_dual_max_f32 v11, v12, v12
	v_lshlrev_b64 v[12:13], 3, v[6:7]
	v_min_f32_e32 v10, v11, v10
	s_delay_alu instid0(VALU_DEP_2) | instskip(NEXT) | instid1(VALU_DEP_3)
	v_add_co_u32 v8, vcc_lo, v8, v12
	v_add_co_ci_u32_e32 v9, vcc_lo, v9, v13, vcc_lo
	s_delay_alu instid0(VALU_DEP_3)
	v_cvt_f64_f32_e32 v[10:11], v10
	global_store_b64 v[8:9], v[10:11], off
.LBB116_354:
	s_or_b32 exec_lo, exec_lo, s4
	v_add_nc_u32_e32 v12, 0x78, v17
	s_delay_alu instid0(VALU_DEP_1) | instskip(SKIP_2) | instid1(VALU_DEP_3)
	v_mad_i64_i32 v[8:9], null, v12, s6, 0
	v_mad_i64_i32 v[10:11], null, v12, s5, 0
	v_cmp_gt_i32_e64 s4, s17, v12
	v_lshlrev_b64 v[8:9], 3, v[8:9]
	s_delay_alu instid0(VALU_DEP_2) | instskip(NEXT) | instid1(VALU_DEP_3)
	s_and_b32 s5, s0, s4
	v_lshlrev_b64 v[13:14], 3, v[10:11]
	s_delay_alu instid0(VALU_DEP_2) | instskip(NEXT) | instid1(VALU_DEP_3)
	v_add_co_u32 v11, vcc_lo, s8, v8
	v_add_co_ci_u32_e32 v12, vcc_lo, s9, v9, vcc_lo
	s_delay_alu instid0(VALU_DEP_3) | instskip(NEXT) | instid1(VALU_DEP_4)
	v_add_co_u32 v8, vcc_lo, s7, v13
	v_add_co_ci_u32_e32 v9, vcc_lo, s12, v14, vcc_lo
	s_and_saveexec_b32 s0, s5
	s_cbranch_execnz .LBB116_359
; %bb.355:
	s_or_b32 exec_lo, exec_lo, s0
	s_and_b32 s1, s1, s4
	s_delay_alu instid0(SALU_CYCLE_1)
	s_and_saveexec_b32 s0, s1
	s_cbranch_execnz .LBB116_363
.LBB116_356:
	s_or_b32 exec_lo, exec_lo, s0
	s_and_b32 s1, s2, s4
	s_delay_alu instid0(SALU_CYCLE_1)
	s_and_saveexec_b32 s0, s1
	s_cbranch_execnz .LBB116_367
.LBB116_357:
	s_or_b32 exec_lo, exec_lo, s0
	s_and_b32 s0, s3, s4
	s_delay_alu instid0(SALU_CYCLE_1)
	s_and_saveexec_b32 s1, s0
	s_cbranch_execnz .LBB116_371
.LBB116_358:
	s_endpgm
.LBB116_359:
	v_cmp_ne_u32_e32 vcc_lo, 1, v16
	v_lshlrev_b64 v[0:1], 3, v[0:1]
	s_cbranch_vccnz .LBB116_361
; %bb.360:
	s_delay_alu instid0(VALU_DEP_1) | instskip(NEXT) | instid1(VALU_DEP_2)
	v_add_co_u32 v13, vcc_lo, v11, v0
	v_add_co_ci_u32_e32 v14, vcc_lo, v12, v1, vcc_lo
	flat_load_b64 v[13:14], v[13:14]
	s_waitcnt vmcnt(0) lgkmcnt(0)
	v_mul_f64 v[13:14], v[13:14], s[10:11]
	s_delay_alu instid0(VALU_DEP_1)
	v_cvt_f32_f64_e32 v13, v[13:14]
	s_branch .LBB116_362
.LBB116_361:
	v_mov_b32_e32 v13, 0
.LBB116_362:
	s_delay_alu instid0(VALU_DEP_1) | instskip(NEXT) | instid1(VALU_DEP_3)
	v_dual_max_f32 v10, v208, v208 :: v_dual_max_f32 v13, v13, v13
	v_add_co_u32 v0, vcc_lo, v8, v0
	s_delay_alu instid0(VALU_DEP_4) | instskip(NEXT) | instid1(VALU_DEP_3)
	v_add_co_ci_u32_e32 v1, vcc_lo, v9, v1, vcc_lo
	v_min_f32_e32 v10, v13, v10
	s_delay_alu instid0(VALU_DEP_1) | instskip(SKIP_3) | instid1(SALU_CYCLE_1)
	v_cvt_f64_f32_e32 v[13:14], v10
	global_store_b64 v[0:1], v[13:14], off
	s_or_b32 exec_lo, exec_lo, s0
	s_and_b32 s1, s1, s4
	s_and_saveexec_b32 s0, s1
	s_cbranch_execz .LBB116_356
.LBB116_363:
	v_cmp_ne_u32_e32 vcc_lo, 1, v16
	v_lshlrev_b64 v[0:1], 3, v[2:3]
	s_cbranch_vccnz .LBB116_365
; %bb.364:
	s_delay_alu instid0(VALU_DEP_1) | instskip(NEXT) | instid1(VALU_DEP_2)
	v_add_co_u32 v2, vcc_lo, v11, v0
	v_add_co_ci_u32_e32 v3, vcc_lo, v12, v1, vcc_lo
	flat_load_b64 v[2:3], v[2:3]
	s_waitcnt vmcnt(0) lgkmcnt(0)
	v_mul_f64 v[2:3], v[2:3], s[10:11]
	s_delay_alu instid0(VALU_DEP_1)
	v_cvt_f32_f64_e32 v2, v[2:3]
	s_branch .LBB116_366
.LBB116_365:
	v_mov_b32_e32 v2, 0
.LBB116_366:
	s_delay_alu instid0(VALU_DEP_1) | instskip(NEXT) | instid1(VALU_DEP_3)
	v_dual_max_f32 v3, v207, v207 :: v_dual_max_f32 v2, v2, v2
	v_add_co_u32 v0, vcc_lo, v8, v0
	s_delay_alu instid0(VALU_DEP_4) | instskip(NEXT) | instid1(VALU_DEP_3)
	v_add_co_ci_u32_e32 v1, vcc_lo, v9, v1, vcc_lo
	v_min_f32_e32 v2, v2, v3
	s_delay_alu instid0(VALU_DEP_1) | instskip(SKIP_3) | instid1(SALU_CYCLE_1)
	v_cvt_f64_f32_e32 v[2:3], v2
	global_store_b64 v[0:1], v[2:3], off
	s_or_b32 exec_lo, exec_lo, s0
	s_and_b32 s1, s2, s4
	s_and_saveexec_b32 s0, s1
	s_cbranch_execz .LBB116_357
.LBB116_367:
	v_cmp_ne_u32_e32 vcc_lo, 1, v16
	v_lshlrev_b64 v[0:1], 3, v[4:5]
	s_cbranch_vccnz .LBB116_369
; %bb.368:
	s_delay_alu instid0(VALU_DEP_1) | instskip(NEXT) | instid1(VALU_DEP_2)
	v_add_co_u32 v2, vcc_lo, v11, v0
	v_add_co_ci_u32_e32 v3, vcc_lo, v12, v1, vcc_lo
	flat_load_b64 v[2:3], v[2:3]
	s_waitcnt vmcnt(0) lgkmcnt(0)
	v_mul_f64 v[2:3], v[2:3], s[10:11]
	s_delay_alu instid0(VALU_DEP_1)
	v_cvt_f32_f64_e32 v2, v[2:3]
	s_branch .LBB116_370
.LBB116_369:
	v_mov_b32_e32 v2, 0
.LBB116_370:
	v_max_f32_e32 v3, v206, v206
	s_delay_alu instid0(VALU_DEP_2) | instskip(NEXT) | instid1(VALU_DEP_4)
	v_max_f32_e32 v2, v2, v2
	v_add_co_u32 v0, vcc_lo, v8, v0
	v_add_co_ci_u32_e32 v1, vcc_lo, v9, v1, vcc_lo
	s_delay_alu instid0(VALU_DEP_3) | instskip(NEXT) | instid1(VALU_DEP_1)
	v_min_f32_e32 v2, v2, v3
	v_cvt_f64_f32_e32 v[2:3], v2
	global_store_b64 v[0:1], v[2:3], off
	s_or_b32 exec_lo, exec_lo, s0
	s_and_b32 s0, s3, s4
	s_delay_alu instid0(SALU_CYCLE_1)
	s_and_saveexec_b32 s1, s0
	s_cbranch_execz .LBB116_358
.LBB116_371:
	v_cmp_ne_u32_e32 vcc_lo, 1, v16
	v_lshlrev_b64 v[0:1], 3, v[6:7]
	s_cbranch_vccnz .LBB116_373
; %bb.372:
	s_delay_alu instid0(VALU_DEP_1) | instskip(NEXT) | instid1(VALU_DEP_2)
	v_add_co_u32 v2, vcc_lo, v11, v0
	v_add_co_ci_u32_e32 v3, vcc_lo, v12, v1, vcc_lo
	flat_load_b64 v[2:3], v[2:3]
	s_waitcnt vmcnt(0) lgkmcnt(0)
	v_mul_f64 v[2:3], v[2:3], s[10:11]
	s_delay_alu instid0(VALU_DEP_1)
	v_cvt_f32_f64_e32 v2, v[2:3]
	s_branch .LBB116_374
.LBB116_373:
	v_mov_b32_e32 v2, 0
.LBB116_374:
	s_delay_alu instid0(VALU_DEP_1) | instskip(NEXT) | instid1(VALU_DEP_3)
	v_dual_max_f32 v3, v205, v205 :: v_dual_max_f32 v2, v2, v2
	v_add_co_u32 v0, vcc_lo, v8, v0
	s_delay_alu instid0(VALU_DEP_4) | instskip(NEXT) | instid1(VALU_DEP_3)
	v_add_co_ci_u32_e32 v1, vcc_lo, v9, v1, vcc_lo
	v_min_f32_e32 v2, v2, v3
	s_delay_alu instid0(VALU_DEP_1)
	v_cvt_f64_f32_e32 v[2:3], v2
	global_store_b64 v[0:1], v[2:3], off
	s_endpgm
	.section	.rodata,"a",@progbits
	.p2align	6, 0x0
	.amdhsa_kernel _ZN12_GLOBAL__N_120geam_min_plus_kernelId15HIP_vector_typeIdLj2EEdLi32ELi8ELi128ELi128ELi4ELi4ELi64ELi4ELi64ELc84ELc78ELb0ELb1ELb1EdKPKdKPdEEviiiT16_PT17_ilSA_ilS8_SA_ilPT18_ili26rocblas_geam_ex_operation_
		.amdhsa_group_segment_fixed_size 16384
		.amdhsa_private_segment_fixed_size 416
		.amdhsa_kernarg_size 136
		.amdhsa_user_sgpr_count 14
		.amdhsa_user_sgpr_dispatch_ptr 0
		.amdhsa_user_sgpr_queue_ptr 0
		.amdhsa_user_sgpr_kernarg_segment_ptr 1
		.amdhsa_user_sgpr_dispatch_id 0
		.amdhsa_user_sgpr_private_segment_size 0
		.amdhsa_wavefront_size32 1
		.amdhsa_uses_dynamic_stack 0
		.amdhsa_enable_private_segment 1
		.amdhsa_system_sgpr_workgroup_id_x 1
		.amdhsa_system_sgpr_workgroup_id_y 0
		.amdhsa_system_sgpr_workgroup_id_z 1
		.amdhsa_system_sgpr_workgroup_info 0
		.amdhsa_system_vgpr_workitem_id 1
		.amdhsa_next_free_vgpr 256
		.amdhsa_next_free_sgpr 31
		.amdhsa_reserve_vcc 1
		.amdhsa_float_round_mode_32 0
		.amdhsa_float_round_mode_16_64 0
		.amdhsa_float_denorm_mode_32 3
		.amdhsa_float_denorm_mode_16_64 3
		.amdhsa_dx10_clamp 1
		.amdhsa_ieee_mode 1
		.amdhsa_fp16_overflow 0
		.amdhsa_workgroup_processor_mode 1
		.amdhsa_memory_ordered 1
		.amdhsa_forward_progress 0
		.amdhsa_shared_vgpr_count 0
		.amdhsa_exception_fp_ieee_invalid_op 0
		.amdhsa_exception_fp_denorm_src 0
		.amdhsa_exception_fp_ieee_div_zero 0
		.amdhsa_exception_fp_ieee_overflow 0
		.amdhsa_exception_fp_ieee_underflow 0
		.amdhsa_exception_fp_ieee_inexact 0
		.amdhsa_exception_int_div_zero 0
	.end_amdhsa_kernel
	.section	.text._ZN12_GLOBAL__N_120geam_min_plus_kernelId15HIP_vector_typeIdLj2EEdLi32ELi8ELi128ELi128ELi4ELi4ELi64ELi4ELi64ELc84ELc78ELb0ELb1ELb1EdKPKdKPdEEviiiT16_PT17_ilSA_ilS8_SA_ilPT18_ili26rocblas_geam_ex_operation_,"axG",@progbits,_ZN12_GLOBAL__N_120geam_min_plus_kernelId15HIP_vector_typeIdLj2EEdLi32ELi8ELi128ELi128ELi4ELi4ELi64ELi4ELi64ELc84ELc78ELb0ELb1ELb1EdKPKdKPdEEviiiT16_PT17_ilSA_ilS8_SA_ilPT18_ili26rocblas_geam_ex_operation_,comdat
.Lfunc_end116:
	.size	_ZN12_GLOBAL__N_120geam_min_plus_kernelId15HIP_vector_typeIdLj2EEdLi32ELi8ELi128ELi128ELi4ELi4ELi64ELi4ELi64ELc84ELc78ELb0ELb1ELb1EdKPKdKPdEEviiiT16_PT17_ilSA_ilS8_SA_ilPT18_ili26rocblas_geam_ex_operation_, .Lfunc_end116-_ZN12_GLOBAL__N_120geam_min_plus_kernelId15HIP_vector_typeIdLj2EEdLi32ELi8ELi128ELi128ELi4ELi4ELi64ELi4ELi64ELc84ELc78ELb0ELb1ELb1EdKPKdKPdEEviiiT16_PT17_ilSA_ilS8_SA_ilPT18_ili26rocblas_geam_ex_operation_
                                        ; -- End function
	.section	.AMDGPU.csdata,"",@progbits
; Kernel info:
; codeLenInByte = 28232
; NumSgprs: 33
; NumVgprs: 256
; ScratchSize: 416
; MemoryBound: 0
; FloatMode: 240
; IeeeMode: 1
; LDSByteSize: 16384 bytes/workgroup (compile time only)
; SGPRBlocks: 4
; VGPRBlocks: 31
; NumSGPRsForWavesPerEU: 33
; NumVGPRsForWavesPerEU: 256
; Occupancy: 5
; WaveLimiterHint : 1
; COMPUTE_PGM_RSRC2:SCRATCH_EN: 1
; COMPUTE_PGM_RSRC2:USER_SGPR: 14
; COMPUTE_PGM_RSRC2:TRAP_HANDLER: 0
; COMPUTE_PGM_RSRC2:TGID_X_EN: 1
; COMPUTE_PGM_RSRC2:TGID_Y_EN: 0
; COMPUTE_PGM_RSRC2:TGID_Z_EN: 1
; COMPUTE_PGM_RSRC2:TIDIG_COMP_CNT: 1
	.section	.text._ZN12_GLOBAL__N_120geam_min_plus_kernelId15HIP_vector_typeIdLj2EEdLi8ELi32ELi64ELi256ELi4ELi64ELi4ELi64ELi4ELc78ELc84ELb0ELb0ELb1EPKdKS4_KPdEEviiiT16_PT17_ilSA_ilS8_SA_ilPT18_ili26rocblas_geam_ex_operation_,"axG",@progbits,_ZN12_GLOBAL__N_120geam_min_plus_kernelId15HIP_vector_typeIdLj2EEdLi8ELi32ELi64ELi256ELi4ELi64ELi4ELi64ELi4ELc78ELc84ELb0ELb0ELb1EPKdKS4_KPdEEviiiT16_PT17_ilSA_ilS8_SA_ilPT18_ili26rocblas_geam_ex_operation_,comdat
	.globl	_ZN12_GLOBAL__N_120geam_min_plus_kernelId15HIP_vector_typeIdLj2EEdLi8ELi32ELi64ELi256ELi4ELi64ELi4ELi64ELi4ELc78ELc84ELb0ELb0ELb1EPKdKS4_KPdEEviiiT16_PT17_ilSA_ilS8_SA_ilPT18_ili26rocblas_geam_ex_operation_ ; -- Begin function _ZN12_GLOBAL__N_120geam_min_plus_kernelId15HIP_vector_typeIdLj2EEdLi8ELi32ELi64ELi256ELi4ELi64ELi4ELi64ELi4ELc78ELc84ELb0ELb0ELb1EPKdKS4_KPdEEviiiT16_PT17_ilSA_ilS8_SA_ilPT18_ili26rocblas_geam_ex_operation_
	.p2align	8
	.type	_ZN12_GLOBAL__N_120geam_min_plus_kernelId15HIP_vector_typeIdLj2EEdLi8ELi32ELi64ELi256ELi4ELi64ELi4ELi64ELi4ELc78ELc84ELb0ELb0ELb1EPKdKS4_KPdEEviiiT16_PT17_ilSA_ilS8_SA_ilPT18_ili26rocblas_geam_ex_operation_,@function
_ZN12_GLOBAL__N_120geam_min_plus_kernelId15HIP_vector_typeIdLj2EEdLi8ELi32ELi64ELi256ELi4ELi64ELi4ELi64ELi4ELc78ELc84ELb0ELb0ELb1EPKdKS4_KPdEEviiiT16_PT17_ilSA_ilS8_SA_ilPT18_ili26rocblas_geam_ex_operation_: ; @_ZN12_GLOBAL__N_120geam_min_plus_kernelId15HIP_vector_typeIdLj2EEdLi8ELi32ELi64ELi256ELi4ELi64ELi4ELi64ELi4ELc78ELc84ELb0ELb0ELb1EPKdKS4_KPdEEviiiT16_PT17_ilSA_ilS8_SA_ilPT18_ili26rocblas_geam_ex_operation_
; %bb.0:
	s_clause 0x1
	s_load_b128 s[16:19], s[0:1], 0x10
	s_load_b128 s[4:7], s[0:1], 0x28
	s_mov_b32 s2, s15
	s_mov_b32 s3, 0
	s_mov_b64 s[20:21], 0
	s_lshl_b64 s[22:23], s[2:3], 3
	s_waitcnt lgkmcnt(0)
	s_add_u32 s2, s16, s22
	s_addc_u32 s3, s17, s23
	s_mov_b64 s[16:17], 0
	s_load_b64 s[12:13], s[2:3], 0x0
	s_clause 0x1
	s_load_b128 s[8:11], s[0:1], 0x40
	s_load_b64 s[24:25], s[0:1], 0x50
	s_waitcnt lgkmcnt(0)
	s_add_u32 s2, s10, s22
	v_cmp_eq_f64_e64 s15, s[12:13], 0
	v_cmp_neq_f64_e64 s26, s[12:13], 0
	s_addc_u32 s3, s11, s23
	s_delay_alu instid0(VALU_DEP_2)
	s_and_b32 vcc_lo, exec_lo, s15
	s_cbranch_vccnz .LBB117_2
; %bb.1:
	s_add_u32 s10, s18, s22
	s_addc_u32 s11, s19, s23
	s_lshl_b64 s[4:5], s[4:5], 3
	s_load_b64 s[10:11], s[10:11], 0x0
	s_waitcnt lgkmcnt(0)
	s_add_u32 s20, s10, s4
	s_addc_u32 s21, s11, s5
.LBB117_2:
	s_load_b64 s[10:11], s[2:3], 0x0
	s_delay_alu instid0(VALU_DEP_1) | instskip(SKIP_1) | instid1(VALU_DEP_1)
	v_cndmask_b32_e64 v1, 0, 1, s26
	s_and_not1_b32 vcc_lo, exec_lo, s26
	v_cmp_ne_u32_e64 s3, 1, v1
	s_cbranch_vccnz .LBB117_4
; %bb.3:
	s_add_u32 s4, s6, s22
	s_addc_u32 s5, s7, s23
	s_lshl_b64 s[6:7], s[8:9], 3
	s_load_b64 s[4:5], s[4:5], 0x0
	s_waitcnt lgkmcnt(0)
	s_add_u32 s16, s4, s6
	s_addc_u32 s17, s5, s7
.LBB117_4:
	s_waitcnt lgkmcnt(0)
	v_cmp_eq_f64_e64 s2, s[10:11], 0
	s_load_b128 s[4:7], s[0:1], 0x60
	s_mov_b64 s[8:9], 0
	s_delay_alu instid0(VALU_DEP_1) | instskip(NEXT) | instid1(SALU_CYCLE_1)
	s_and_b32 s2, exec_lo, s2
	s_mov_b32 vcc_lo, s2
	s_cbranch_vccnz .LBB117_6
; %bb.5:
	s_add_u32 s8, s24, s22
	s_addc_u32 s9, s25, s23
	s_waitcnt lgkmcnt(0)
	s_lshl_b64 s[4:5], s[4:5], 3
	s_load_b64 s[8:9], s[8:9], 0x0
	s_waitcnt lgkmcnt(0)
	s_add_u32 s8, s8, s4
	s_addc_u32 s9, s9, s5
.LBB117_6:
	s_clause 0x1
	s_load_b32 s19, s[0:1], 0x20
	s_load_b32 s18, s[0:1], 0x0
	v_and_b32_e32 v39, 0x3ff, v0
	v_bfe_u32 v216, v0, 10, 10
	v_cndmask_b32_e64 v0, 0, 1, s15
	s_waitcnt lgkmcnt(0)
	s_ashr_i32 s24, s19, 31
	s_add_u32 s4, s6, s22
	s_addc_u32 s5, s7, s23
	s_add_i32 s6, s18, -1
	s_delay_alu instid0(SALU_CYCLE_1) | instskip(NEXT) | instid1(SALU_CYCLE_1)
	s_ashr_i32 s7, s6, 31
	s_lshr_b32 s7, s7, 26
	s_delay_alu instid0(SALU_CYCLE_1) | instskip(NEXT) | instid1(SALU_CYCLE_1)
	s_add_i32 s6, s6, s7
	s_ashr_i32 s6, s6, 6
	s_delay_alu instid0(SALU_CYCLE_1) | instskip(SKIP_2) | instid1(VALU_DEP_1)
	s_add_i32 s18, s6, 1
	s_not_b32 s6, s6
	v_cvt_f32_u32_e32 v1, s18
	v_rcp_iflag_f32_e32 v1, v1
	s_waitcnt_depctr 0xfff
	v_mul_f32_e32 v1, 0x4f7ffffe, v1
	s_delay_alu instid0(VALU_DEP_1) | instskip(NEXT) | instid1(VALU_DEP_1)
	v_cvt_u32_f32_e32 v1, v1
	v_readfirstlane_b32 s7, v1
	v_lshl_add_u32 v1, v216, 3, v39
	s_delay_alu instid0(VALU_DEP_2) | instskip(NEXT) | instid1(VALU_DEP_1)
	s_mul_i32 s6, s6, s7
	v_and_b32_e32 v77, 63, v1
	s_mul_hi_u32 s6, s7, s6
	v_lshrrev_b32_e32 v6, 6, v1
	s_add_i32 s7, s7, s6
	s_delay_alu instid0(SALU_CYCLE_1) | instskip(SKIP_4) | instid1(SALU_CYCLE_1)
	s_mul_hi_u32 s22, s14, s7
	s_load_b64 s[6:7], s[4:5], 0x0
	s_mul_i32 s23, s22, s18
	s_add_i32 s5, s22, 1
	s_sub_i32 s4, s14, s23
	s_sub_i32 s23, s4, s18
	s_cmp_ge_u32 s4, s18
	s_cselect_b32 s5, s5, s22
	s_cselect_b32 s4, s23, s4
	s_add_i32 s23, s5, 1
	s_cmp_ge_u32 s4, s18
	v_cmp_ne_u32_e64 s4, 1, v0
	s_cselect_b32 s5, s23, s5
	s_mov_b32 s22, -1
	s_mul_i32 s18, s5, s18
	s_and_not1_b32 vcc_lo, exec_lo, s15
	s_sub_i32 s14, s14, s18
	s_delay_alu instid0(SALU_CYCLE_1)
	s_lshl_b32 s18, s14, 6
	s_cbranch_vccnz .LBB117_9
; %bb.7:
	v_mov_b32_e32 v2, 0
	s_mov_b64 s[14:15], 0
	v_or_b32_e32 v14, s18, v77
	s_delay_alu instid0(VALU_DEP_1)
	v_ashrrev_i32_e32 v15, 31, v14
	s_cbranch_execz .LBB117_10
.LBB117_8:
	v_dual_mov_b32 v0, s14 :: v_dual_mov_b32 v1, s15
	s_branch .LBB117_11
.LBB117_9:
                                        ; implicit-def: $sgpr14_sgpr15
                                        ; implicit-def: $vgpr1_vgpr2
	v_or_b32_e32 v14, s18, v77
	s_and_not1_b32 vcc_lo, exec_lo, s22
	s_delay_alu instid0(VALU_DEP_1)
	v_ashrrev_i32_e32 v15, 31, v14
	s_cbranch_vccnz .LBB117_8
.LBB117_10:
	v_mad_i64_i32 v[0:1], null, s19, v6, 0
	s_delay_alu instid0(VALU_DEP_2) | instskip(NEXT) | instid1(VALU_DEP_2)
	v_lshlrev_b64 v[2:3], 3, v[14:15]
	v_lshlrev_b64 v[0:1], 3, v[0:1]
	s_delay_alu instid0(VALU_DEP_1) | instskip(NEXT) | instid1(VALU_DEP_2)
	v_add_co_u32 v0, vcc_lo, s20, v0
	v_add_co_ci_u32_e32 v1, vcc_lo, s21, v1, vcc_lo
	s_delay_alu instid0(VALU_DEP_2) | instskip(NEXT) | instid1(VALU_DEP_2)
	v_add_co_u32 v0, vcc_lo, v0, v2
	v_add_co_ci_u32_e32 v1, vcc_lo, v1, v3, vcc_lo
	v_mov_b32_e32 v2, 0
	flat_load_b64 v[0:1], v[0:1]
	s_waitcnt vmcnt(0) lgkmcnt(0)
	v_mul_f64 v[0:1], s[12:13], v[0:1]
.LBB117_11:
	s_load_b32 s15, s[0:1], 0x38
	s_lshl_b32 s14, s5, 8
	s_delay_alu instid0(SALU_CYCLE_1) | instskip(NEXT) | instid1(VALU_DEP_1)
	v_or_b32_e32 v24, s14, v77
	v_ashrrev_i32_e32 v25, 31, v24
	s_waitcnt lgkmcnt(0)
	s_ashr_i32 s22, s15, 31
	v_mul_lo_u32 v4, v2, s15
	v_mad_u64_u32 v[2:3], null, v6, s15, 0
	v_mul_lo_u32 v5, v6, s22
	s_delay_alu instid0(VALU_DEP_1) | instskip(NEXT) | instid1(VALU_DEP_1)
	v_add3_u32 v3, v3, v5, v4
	v_lshlrev_b64 v[2:3], 3, v[2:3]
	s_delay_alu instid0(VALU_DEP_1) | instskip(NEXT) | instid1(VALU_DEP_2)
	v_add_co_u32 v8, vcc_lo, s16, v2
	v_add_co_ci_u32_e32 v9, vcc_lo, s17, v3, vcc_lo
	s_and_b32 vcc_lo, exec_lo, s3
	s_cbranch_vccnz .LBB117_16
; %bb.12:
	v_lshlrev_b64 v[2:3], 3, v[24:25]
	s_delay_alu instid0(VALU_DEP_1) | instskip(NEXT) | instid1(VALU_DEP_2)
	v_add_co_u32 v2, vcc_lo, v8, v2
	v_add_co_ci_u32_e32 v3, vcc_lo, v9, v3, vcc_lo
	s_clause 0x1
	flat_load_b64 v[10:11], v[2:3]
	flat_load_b64 v[12:13], v[2:3] offset:512
	s_waitcnt vmcnt(1) lgkmcnt(1)
	v_mul_f64 v[2:3], s[12:13], v[10:11]
	s_waitcnt vmcnt(0) lgkmcnt(0)
	v_mul_f64 v[18:19], s[12:13], v[12:13]
	s_and_b32 vcc_lo, exec_lo, s3
	s_cbranch_vccnz .LBB117_17
.LBB117_13:
	v_lshlrev_b64 v[10:11], 3, v[24:25]
	s_delay_alu instid0(VALU_DEP_1) | instskip(NEXT) | instid1(VALU_DEP_2)
	v_add_co_u32 v8, vcc_lo, v8, v10
	v_add_co_ci_u32_e32 v9, vcc_lo, v9, v11, vcc_lo
	s_clause 0x1
	flat_load_b64 v[10:11], v[8:9] offset:1024
	flat_load_b64 v[8:9], v[8:9] offset:1536
	s_waitcnt vmcnt(1) lgkmcnt(1)
	v_mul_f64 v[20:21], s[12:13], v[10:11]
	s_waitcnt vmcnt(0) lgkmcnt(0)
	v_mul_f64 v[22:23], s[12:13], v[8:9]
	v_add_nc_u32_e32 v7, 4, v6
	s_and_b32 vcc_lo, exec_lo, s4
	s_cbranch_vccnz .LBB117_18
.LBB117_14:
	v_mov_b32_e32 v10, 0
	s_mov_b64 s[4:5], 0
	scratch_store_b64 off, v[14:15], off offset:332 ; 8-byte Folded Spill
	s_cbranch_execz .LBB117_19
; %bb.15:
	v_dual_mov_b32 v4, s4 :: v_dual_mov_b32 v5, s5
	s_branch .LBB117_20
.LBB117_16:
	v_mov_b32_e32 v2, 0
	v_dual_mov_b32 v3, 0 :: v_dual_mov_b32 v18, 0
	v_mov_b32_e32 v19, 0
	s_and_b32 vcc_lo, exec_lo, s3
	s_cbranch_vccz .LBB117_13
.LBB117_17:
	v_mov_b32_e32 v20, 0
	v_dual_mov_b32 v21, 0 :: v_dual_mov_b32 v22, 0
	v_mov_b32_e32 v23, 0
	v_add_nc_u32_e32 v7, 4, v6
	s_and_b32 vcc_lo, exec_lo, s4
	s_cbranch_vccz .LBB117_14
.LBB117_18:
                                        ; implicit-def: $sgpr4_sgpr5
                                        ; implicit-def: $vgpr9_vgpr10
	scratch_store_b64 off, v[14:15], off offset:332 ; 8-byte Folded Spill
.LBB117_19:
	v_mad_i64_i32 v[8:9], null, s19, v7, 0
	v_lshlrev_b64 v[10:11], 3, v[14:15]
	s_delay_alu instid0(VALU_DEP_2) | instskip(NEXT) | instid1(VALU_DEP_1)
	v_lshlrev_b64 v[8:9], 3, v[8:9]
	v_add_co_u32 v4, vcc_lo, s20, v8
	s_delay_alu instid0(VALU_DEP_2) | instskip(NEXT) | instid1(VALU_DEP_2)
	v_add_co_ci_u32_e32 v5, vcc_lo, s21, v9, vcc_lo
	v_add_co_u32 v8, vcc_lo, v4, v10
	s_delay_alu instid0(VALU_DEP_2)
	v_add_co_ci_u32_e32 v9, vcc_lo, v5, v11, vcc_lo
	v_mov_b32_e32 v10, 0
	flat_load_b64 v[8:9], v[8:9]
	s_waitcnt vmcnt(0) lgkmcnt(0)
	v_mul_f64 v[4:5], s[12:13], v[8:9]
.LBB117_20:
	scratch_store_b64 off, v[4:5], off offset:288 ; 8-byte Folded Spill
	v_mul_lo_u32 v4, v10, s15
	v_mul_lo_u32 v5, v7, s22
	v_mad_u64_u32 v[10:11], null, v7, s15, 0
	s_delay_alu instid0(VALU_DEP_1) | instskip(NEXT) | instid1(VALU_DEP_1)
	v_add3_u32 v11, v11, v5, v4
	v_lshlrev_b64 v[10:11], 3, v[10:11]
	s_delay_alu instid0(VALU_DEP_1) | instskip(NEXT) | instid1(VALU_DEP_2)
	v_add_co_u32 v14, vcc_lo, s16, v10
	v_add_co_ci_u32_e32 v15, vcc_lo, s17, v11, vcc_lo
	s_and_b32 vcc_lo, exec_lo, s3
	s_cbranch_vccnz .LBB117_22
; %bb.21:
	v_lshlrev_b64 v[10:11], 3, v[24:25]
	s_delay_alu instid0(VALU_DEP_1) | instskip(NEXT) | instid1(VALU_DEP_2)
	v_add_co_u32 v10, vcc_lo, v14, v10
	v_add_co_ci_u32_e32 v11, vcc_lo, v15, v11, vcc_lo
	s_clause 0x1
	flat_load_b64 v[12:13], v[10:11]
	flat_load_b64 v[16:17], v[10:11] offset:512
	s_waitcnt vmcnt(1) lgkmcnt(1)
	v_mul_f64 v[4:5], s[12:13], v[12:13]
	scratch_store_b64 off, v[4:5], off offset:300 ; 8-byte Folded Spill
	s_waitcnt vmcnt(0) lgkmcnt(0)
	v_mul_f64 v[4:5], s[12:13], v[16:17]
	s_branch .LBB117_23
.LBB117_22:
	v_mov_b32_e32 v4, 0
	v_mov_b32_e32 v5, 0
	scratch_store_b64 off, v[4:5], off offset:300 ; 8-byte Folded Spill
	v_mov_b32_e32 v4, 0
	v_mov_b32_e32 v5, 0
.LBB117_23:
	s_and_b32 vcc_lo, exec_lo, s3
	s_clause 0x2
	scratch_store_b64 off, v[4:5], off offset:308
	scratch_store_b32 off, v7, off offset:360
	scratch_store_b64 off, v[24:25], off offset:340
	s_cbranch_vccnz .LBB117_25
; %bb.24:
	v_lshlrev_b64 v[16:17], 3, v[24:25]
	s_delay_alu instid0(VALU_DEP_1) | instskip(NEXT) | instid1(VALU_DEP_2)
	v_add_co_u32 v14, vcc_lo, v14, v16
	v_add_co_ci_u32_e32 v15, vcc_lo, v15, v17, vcc_lo
	s_clause 0x1
	flat_load_b64 v[16:17], v[14:15] offset:1024
	flat_load_b64 v[25:26], v[14:15] offset:1536
	s_waitcnt vmcnt(1) lgkmcnt(1)
	v_mul_f64 v[4:5], s[12:13], v[16:17]
	scratch_store_b64 off, v[4:5], off offset:316 ; 8-byte Folded Spill
	s_waitcnt vmcnt(0) lgkmcnt(0)
	v_mul_f64 v[4:5], s[12:13], v[25:26]
	s_branch .LBB117_26
.LBB117_25:
	v_mov_b32_e32 v4, 0
	v_mov_b32_e32 v5, 0
	scratch_store_b64 off, v[4:5], off offset:316 ; 8-byte Folded Spill
	v_mov_b32_e32 v4, 0
	v_mov_b32_e32 v5, 0
.LBB117_26:
	s_clause 0x1
	scratch_store_b64 off, v[4:5], off offset:324
	scratch_store_b32 off, v6, off offset:356
	v_dual_mov_b32 v119, 0x7f800000 :: v_dual_lshlrev_b32 v4, 3, v6
	v_dual_mov_b32 v120, 0x7f800000 :: v_dual_mov_b32 v127, 0x7f800000
	v_dual_mov_b32 v122, 0x7f800000 :: v_dual_mov_b32 v123, 0x7f800000
	s_delay_alu instid0(VALU_DEP_3) | instskip(SKIP_2) | instid1(VALU_DEP_3)
	v_lshl_add_u32 v4, v77, 5, v4
	v_dual_mov_b32 v124, 0x7f800000 :: v_dual_mov_b32 v125, 0x7f800000
	v_dual_mov_b32 v126, 0x7f800000 :: v_dual_mov_b32 v129, 0x7f800000
	v_or_b32_e32 v5, 0x4000, v4
	v_dual_mov_b32 v128, 0x7f800000 :: v_dual_mov_b32 v219, 0x7f800000
	v_dual_mov_b32 v188, 0x7f800000 :: v_dual_mov_b32 v245, 0x7f800000
	;; [unrolled: 1-line block ×27, first 2 shown]
	v_mov_b32_e32 v141, 0x7f800000
	s_mov_b32 s5, 0
	s_mov_b32 s4, -1
	scratch_store_b32 off, v5, off offset:368 ; 4-byte Folded Spill
	ds_store_b64 v4, v[0:1] offset:16384
	ds_store_2addr_stride64_b64 v4, v[2:3], v[18:19] offset1:4
	scratch_store_b32 off, v4, off offset:364 ; 4-byte Folded Spill
	ds_store_2addr_stride64_b64 v4, v[20:21], v[22:23] offset0:8 offset1:12
	s_waitcnt lgkmcnt(0)
	s_waitcnt_vscnt null, 0x0
	s_barrier
	buffer_gl0_inv
	scratch_store_b32 off, v39, off offset:296 ; 4-byte Folded Spill
.LBB117_27:                             ; =>This Inner Loop Header: Depth=1
	s_lshl_b32 s5, s5, 3
	v_mov_b32_e32 v16, v55
	v_lshl_add_u32 v4, v216, 5, s5
	v_lshl_add_u32 v5, v39, 5, s5
	v_dual_mov_b32 v28, v54 :: v_dual_mov_b32 v211, v99
	v_mov_b32_e32 v215, v95
	ds_load_b128 v[18:21], v4
	ds_load_b128 v[0:3], v5 offset:16384
	ds_load_b128 v[110:113], v5 offset:16640
	;; [unrolled: 1-line block ×3, first 2 shown]
	s_mov_b32 s5, 2
	s_and_not1_b32 vcc_lo, exec_lo, s4
	s_mov_b32 s4, 0
	s_waitcnt lgkmcnt(2)
	v_add_f64 v[6:7], v[2:3], v[20:21]
	scratch_store_b64 off, v[6:7], off offset:32 ; 8-byte Folded Spill
	v_add_f64 v[6:7], v[0:1], v[18:19]
	scratch_store_b64 off, v[6:7], off offset:96 ; 8-byte Folded Spill
	s_waitcnt lgkmcnt(1)
	v_add_f64 v[6:7], v[112:113], v[20:21]
	scratch_store_b64 off, v[6:7], off      ; 8-byte Folded Spill
	v_add_f64 v[6:7], v[110:111], v[18:19]
	scratch_store_b64 off, v[6:7], off offset:64 ; 8-byte Folded Spill
	ds_load_b128 v[33:36], v5 offset:16896
	ds_load_b128 v[37:40], v5 offset:17152
	s_waitcnt lgkmcnt(1)
	v_add_f64 v[6:7], v[35:36], v[20:21]
	scratch_store_b64 off, v[6:7], off offset:40 ; 8-byte Folded Spill
	v_add_f64 v[6:7], v[33:34], v[18:19]
	scratch_store_b64 off, v[6:7], off offset:104 ; 8-byte Folded Spill
	s_waitcnt lgkmcnt(0)
	v_add_f64 v[6:7], v[39:40], v[20:21]
	scratch_store_b64 off, v[6:7], off offset:8 ; 8-byte Folded Spill
	v_add_f64 v[6:7], v[37:38], v[18:19]
	scratch_store_b64 off, v[6:7], off offset:72 ; 8-byte Folded Spill
	ds_load_b128 v[41:44], v5 offset:17408
	ds_load_b128 v[45:48], v5 offset:17664
	;; [unrolled: 1-line block ×4, first 2 shown]
	s_waitcnt lgkmcnt(3)
	v_add_f64 v[6:7], v[43:44], v[20:21]
	scratch_store_b64 off, v[6:7], off offset:48 ; 8-byte Folded Spill
	v_add_f64 v[6:7], v[41:42], v[18:19]
	scratch_store_b64 off, v[6:7], off offset:112 ; 8-byte Folded Spill
	s_waitcnt lgkmcnt(2)
	v_add_f64 v[6:7], v[47:48], v[20:21]
	scratch_store_b64 off, v[6:7], off offset:16 ; 8-byte Folded Spill
	v_add_f64 v[6:7], v[45:46], v[18:19]
	scratch_store_b64 off, v[6:7], off offset:80 ; 8-byte Folded Spill
	s_waitcnt lgkmcnt(1)
	v_add_f64 v[5:6], v[51:52], v[20:21]
	scratch_store_b64 off, v[5:6], off offset:56 ; 8-byte Folded Spill
	v_add_f64 v[5:6], v[49:50], v[18:19]
	scratch_store_b64 off, v[5:6], off offset:120 ; 8-byte Folded Spill
	s_waitcnt lgkmcnt(0)
	v_add_f64 v[5:6], v[55:56], v[20:21]
	scratch_store_b64 off, v[5:6], off offset:24 ; 8-byte Folded Spill
	v_add_f64 v[5:6], v[53:54], v[18:19]
	scratch_store_b64 off, v[5:6], off offset:88 ; 8-byte Folded Spill
	v_add_f64 v[5:6], v[2:3], v[31:32]
	scratch_store_b64 off, v[5:6], off offset:128 ; 8-byte Folded Spill
	v_add_f64 v[5:6], v[0:1], v[29:30]
	scratch_store_b64 off, v[5:6], off offset:136 ; 8-byte Folded Spill
	;; [unrolled: 2-line block ×16, first 2 shown]
	ds_load_b128 v[18:21], v4 offset:2048
	ds_load_b128 v[29:32], v4 offset:3072
	s_waitcnt lgkmcnt(1)
	v_add_f64 v[5:6], v[47:48], v[20:21]
	v_add_f64 v[84:85], v[2:3], v[20:21]
	;; [unrolled: 1-line block ×13, first 2 shown]
	s_waitcnt lgkmcnt(0)
	v_add_f64 v[222:223], v[2:3], v[31:32]
	v_add_f64 v[224:225], v[0:1], v[29:30]
	;; [unrolled: 1-line block ×16, first 2 shown]
	scratch_store_b64 off, v[5:6], off offset:272 ; 8-byte Folded Spill
	v_add_f64 v[5:6], v[51:52], v[20:21]
	scratch_store_b64 off, v[5:6], off offset:264 ; 8-byte Folded Spill
	v_add_f64 v[5:6], v[55:56], v[20:21]
	;; [unrolled: 2-line block ×3, first 2 shown]
	scratch_store_b64 off, v[5:6], off offset:280 ; 8-byte Folded Spill
	ds_load_b128 v[18:21], v4 offset:4096
	ds_load_b128 v[29:32], v4 offset:5120
	s_waitcnt lgkmcnt(1)
	v_add_f64 v[254:255], v[2:3], v[20:21]
	v_add_f64 v[69:70], v[0:1], v[18:19]
	;; [unrolled: 1-line block ×16, first 2 shown]
	s_waitcnt lgkmcnt(0)
	v_add_f64 v[108:109], v[2:3], v[31:32]
	v_add_f64 v[92:93], v[0:1], v[29:30]
	;; [unrolled: 1-line block ×16, first 2 shown]
	ds_load_b128 v[18:21], v4 offset:6144
	ds_load_b128 v[29:32], v4 offset:7168
	s_waitcnt lgkmcnt(1)
	v_add_f64 v[12:13], v[112:113], v[20:21]
	s_waitcnt lgkmcnt(0)
	v_add_f64 v[24:25], v[112:113], v[31:32]
	scratch_load_b64 v[112:113], off, off offset:96 ; 8-byte Folded Reload
	v_add_f64 v[8:9], v[2:3], v[20:21]
	v_add_f64 v[116:117], v[35:36], v[20:21]
	;; [unrolled: 1-line block ×14, first 2 shown]
	v_mov_b32_e32 v55, v16
	v_add_f64 v[4:5], v[0:1], v[18:19]
	v_add_f64 v[6:7], v[110:111], v[18:19]
	;; [unrolled: 1-line block ×16, first 2 shown]
	v_mov_b32_e32 v54, v28
	v_cvt_f32_f64_e32 v4, v[4:5]
	v_cvt_f32_f64_e32 v5, v[8:9]
	;; [unrolled: 1-line block ×4, first 2 shown]
	s_delay_alu instid0(VALU_DEP_3) | instskip(SKIP_2) | instid1(VALU_DEP_4)
	v_min3_f32 v238, v4, v5, v238
	v_cvt_f32_f64_e32 v4, v[6:7]
	v_cvt_f32_f64_e32 v5, v[12:13]
	v_min3_f32 v126, v0, v1, v126
	v_cvt_f32_f64_e32 v0, v[110:111]
	v_cvt_f32_f64_e32 v1, v[24:25]
	s_delay_alu instid0(VALU_DEP_4) | instskip(SKIP_2) | instid1(VALU_DEP_4)
	v_min3_f32 v219, v4, v5, v219
	v_cvt_f32_f64_e32 v4, v[10:11]
	v_cvt_f32_f64_e32 v5, v[116:117]
	v_min3_f32 v125, v0, v1, v125
	v_cvt_f32_f64_e32 v0, v[33:34]
	v_cvt_f32_f64_e32 v1, v[35:36]
	s_delay_alu instid0(VALU_DEP_4) | instskip(SKIP_2) | instid1(VALU_DEP_4)
	v_min3_f32 v196, v4, v5, v196
	v_cvt_f32_f64_e32 v4, v[14:15]
	v_cvt_f32_f64_e32 v5, v[22:23]
	v_min3_f32 v124, v0, v1, v124
	v_cvt_f32_f64_e32 v1, v[39:40]
	v_cvt_f32_f64_e32 v0, v[37:38]
	scratch_load_b32 v39, off, off offset:296 ; 4-byte Folded Reload
	v_min3_f32 v130, v4, v5, v130
	v_cvt_f32_f64_e32 v4, v[75:76]
	v_cvt_f32_f64_e32 v5, v[59:60]
	v_min3_f32 v123, v0, v1, v123
	v_cvt_f32_f64_e32 v0, v[41:42]
	v_cvt_f32_f64_e32 v1, v[43:44]
	s_delay_alu instid0(VALU_DEP_4) | instskip(SKIP_2) | instid1(VALU_DEP_4)
	v_min3_f32 v192, v4, v5, v192
	v_cvt_f32_f64_e32 v4, v[57:58]
	v_cvt_f32_f64_e32 v5, v[26:27]
	v_min3_f32 v122, v0, v1, v122
	v_cvt_f32_f64_e32 v0, v[45:46]
	v_cvt_f32_f64_e32 v1, v[47:48]
	s_delay_alu instid0(VALU_DEP_4) | instskip(SKIP_2) | instid1(VALU_DEP_4)
	v_min3_f32 v129, v4, v5, v129
	v_cvt_f32_f64_e32 v4, v[114:115]
	v_cvt_f32_f64_e32 v5, v[63:64]
	v_min3_f32 v127, v0, v1, v127
	v_cvt_f32_f64_e32 v0, v[49:50]
	v_cvt_f32_f64_e32 v1, v[51:52]
	s_waitcnt vmcnt(1)
	v_cvt_f32_f64_e32 v16, v[112:113]
	scratch_load_b64 v[112:113], off, off offset:32 ; 8-byte Folded Reload
	v_min3_f32 v188, v4, v5, v188
	v_cvt_f32_f64_e32 v4, v[18:19]
	v_cvt_f32_f64_e32 v5, v[20:21]
	v_min3_f32 v120, v0, v1, v120
	v_cvt_f32_f64_e32 v0, v[29:30]
	v_cvt_f32_f64_e32 v1, v[31:32]
	s_delay_alu instid0(VALU_DEP_4) | instskip(NEXT) | instid1(VALU_DEP_2)
	v_min3_f32 v128, v4, v5, v128
	v_min3_f32 v119, v0, v1, v119
	s_waitcnt vmcnt(0)
	v_cvt_f32_f64_e32 v28, v[112:113]
	scratch_load_b64 v[112:113], off, off offset:64 ; 8-byte Folded Reload
	v_min3_f32 v141, v16, v28, v141
	s_waitcnt vmcnt(0)
	v_cvt_f32_f64_e32 v16, v[112:113]
	scratch_load_b64 v[112:113], off, off   ; 8-byte Folded Reload
	s_waitcnt vmcnt(0)
	v_cvt_f32_f64_e32 v28, v[112:113]
	scratch_load_b64 v[112:113], off, off offset:104 ; 8-byte Folded Reload
	v_min3_f32 v140, v16, v28, v140
	s_waitcnt vmcnt(0)
	v_cvt_f32_f64_e32 v16, v[112:113]
	scratch_load_b64 v[112:113], off, off offset:40 ; 8-byte Folded Reload
	s_waitcnt vmcnt(0)
	v_cvt_f32_f64_e32 v28, v[112:113]
	scratch_load_b64 v[112:113], off, off offset:72 ; 8-byte Folded Reload
	v_min3_f32 v139, v16, v28, v139
	s_waitcnt vmcnt(0)
	v_cvt_f32_f64_e32 v16, v[112:113]
	scratch_load_b64 v[112:113], off, off offset:8 ; 8-byte Folded Reload
	;; [unrolled: 7-line block ×14, first 2 shown]
	s_waitcnt vmcnt(0)
	v_cvt_f32_f64_e32 v28, v[112:113]
	s_delay_alu instid0(VALU_DEP_1) | instskip(SKIP_2) | instid1(VALU_DEP_1)
	v_min3_f32 v134, v16, v28, v134
	v_cvt_f32_f64_e32 v16, v[88:89]
	v_cvt_f32_f64_e32 v28, v[84:85]
	v_min3_f32 v214, v16, v28, v214
	v_cvt_f32_f64_e32 v16, v[98:99]
	v_cvt_f32_f64_e32 v28, v[80:81]
	v_mov_b32_e32 v99, v211
	s_delay_alu instid0(VALU_DEP_2) | instskip(SKIP_3) | instid1(VALU_DEP_2)
	v_min3_f32 v213, v16, v28, v213
	v_cvt_f32_f64_e32 v16, v[94:95]
	v_cvt_f32_f64_e32 v28, v[78:79]
	v_mov_b32_e32 v95, v215
	v_min3_f32 v212, v16, v28, v212
	v_cvt_f32_f64_e32 v28, v[61:62]
	scratch_load_b64 v[61:62], off, off offset:272 ; 8-byte Folded Reload
	v_cvt_f32_f64_e32 v16, v[90:91]
	s_delay_alu instid0(VALU_DEP_1) | instskip(SKIP_2) | instid1(VALU_DEP_1)
	v_min3_f32 v99, v16, v28, v99
	v_cvt_f32_f64_e32 v16, v[86:87]
	v_cvt_f32_f64_e32 v28, v[100:101]
	v_min3_f32 v210, v16, v28, v210
	v_cvt_f32_f64_e32 v16, v[82:83]
	s_waitcnt vmcnt(0)
	v_cvt_f32_f64_e32 v28, v[61:62]
	scratch_load_b64 v[61:62], off, off offset:264 ; 8-byte Folded Reload
	v_min3_f32 v209, v16, v28, v209
	v_cvt_f32_f64_e32 v16, v[220:221]
	s_waitcnt vmcnt(0)
	v_cvt_f32_f64_e32 v28, v[61:62]
	scratch_load_b64 v[61:62], off, off offset:280 ; 8-byte Folded Reload
	v_min3_f32 v208, v16, v28, v208
	s_waitcnt vmcnt(0)
	v_cvt_f32_f64_e32 v16, v[61:62]
	scratch_load_b64 v[61:62], off, off offset:256 ; 8-byte Folded Reload
	s_waitcnt vmcnt(0)
	v_cvt_f32_f64_e32 v28, v[61:62]
	s_delay_alu instid0(VALU_DEP_1) | instskip(SKIP_2) | instid1(VALU_DEP_1)
	v_min3_f32 v207, v16, v28, v207
	v_cvt_f32_f64_e32 v16, v[224:225]
	v_cvt_f32_f64_e32 v28, v[222:223]
	v_min3_f32 v206, v16, v28, v206
	v_cvt_f32_f64_e32 v16, v[228:229]
	v_cvt_f32_f64_e32 v28, v[226:227]
	s_delay_alu instid0(VALU_DEP_1) | instskip(SKIP_2) | instid1(VALU_DEP_1)
	v_min3_f32 v205, v16, v28, v205
	v_cvt_f32_f64_e32 v16, v[232:233]
	v_cvt_f32_f64_e32 v28, v[230:231]
	v_min3_f32 v195, v16, v28, v195
	v_cvt_f32_f64_e32 v16, v[236:237]
	;; [unrolled: 7-line block ×12, first 2 shown]
	v_cvt_f32_f64_e32 v28, v[168:169]
	s_delay_alu instid0(VALU_DEP_1)
	v_min3_f32 v242, v16, v28, v242
	s_cbranch_vccz .LBB117_27
; %bb.28:
	s_clause 0x1
	scratch_load_b32 v3, off, off offset:356
	scratch_load_b64 v[1:2], off, off offset:288
	v_dual_mov_b32 v59, v118 :: v_dual_lshlrev_b32 v0, 5, v77
	s_load_b32 s5, s[0:1], 0x8
	v_dual_mov_b32 v38, v214 :: v_dual_mov_b32 v145, v213
	v_dual_mov_b32 v144, v212 :: v_dual_mov_b32 v103, v209
	;; [unrolled: 1-line block ×7, first 2 shown]
	v_mov_b32_e32 v72, v202
	v_mov_b32_e32 v56, v186
	s_mov_b32 s4, 8
	s_waitcnt lgkmcnt(0)
	s_cmp_gt_i32 s5, 8
	s_waitcnt vmcnt(1)
	v_lshl_add_u32 v0, v3, 3, v0
	s_waitcnt vmcnt(0)
	ds_store_b64 v0, v[1:2] offset:18432
	s_clause 0x1
	scratch_load_b64 v[1:2], off, off offset:300
	scratch_load_b64 v[4:5], off, off offset:308
	s_waitcnt vmcnt(0)
	ds_store_2addr_stride64_b64 v0, v[1:2], v[4:5] offset0:16 offset1:20
	s_clause 0x1
	scratch_load_b64 v[1:2], off, off offset:316
	scratch_load_b64 v[4:5], off, off offset:324
	s_waitcnt vmcnt(0)
	ds_store_2addr_stride64_b64 v0, v[1:2], v[4:5] offset0:24 offset1:28
	s_waitcnt lgkmcnt(0)
	s_waitcnt_vscnt null, 0x0
	s_barrier
	buffer_gl0_inv
	scratch_store_b32 off, v216, off        ; 4-byte Folded Spill
	s_cbranch_scc0 .LBB117_54
; %bb.29:
	scratch_load_b64 v[1:2], off, off offset:332 ; 8-byte Folded Reload
	v_dual_mov_b32 v77, v200 :: v_dual_add_nc_u32 v4, 0x4800, v0
	v_or_b32_e32 v0, 0x2000, v0
	v_dual_mov_b32 v62, v57 :: v_dual_mov_b32 v37, v144
	scratch_store_b32 off, v4, off offset:372 ; 4-byte Folded Spill
	scratch_load_b64 v[4:5], off, off offset:340 ; 8-byte Folded Reload
	scratch_store_b32 off, v0, off offset:376 ; 4-byte Folded Spill
	s_add_i32 s5, s5, -8
	s_waitcnt vmcnt(1)
	v_lshlrev_b64 v[1:2], 3, v[1:2]
	s_delay_alu instid0(VALU_DEP_1)
	v_add_co_u32 v0, vcc_lo, s20, v1
	s_waitcnt vmcnt(0)
	v_lshlrev_b64 v[4:5], 3, v[4:5]
	s_mov_b32 s20, 0
	scratch_store_b32 off, v0, off offset:348 ; 4-byte Folded Spill
	v_add_co_ci_u32_e32 v0, vcc_lo, s21, v2, vcc_lo
	s_clause 0x1
	scratch_store_b64 off, v[4:5], off offset:300
	scratch_store_b32 off, v0, off offset:352
.LBB117_30:                             ; =>This Loop Header: Depth=1
                                        ;     Child Loop BB117_40 Depth 2
                                        ;     Child Loop BB117_51 Depth 2
	s_waitcnt vmcnt(0)
	v_dual_mov_b32 v49, v205 :: v_dual_add_nc_u32 v0, s4, v3
	v_mov_b32_e32 v41, v102
	v_mov_b32_e32 v43, v98
	s_and_b32 vcc_lo, exec_lo, s3
	s_cbranch_vccnz .LBB117_32
; %bb.31:                               ;   in Loop: Header=BB117_30 Depth=1
	v_mad_u64_u32 v[1:2], null, v0, s19, 0
	s_delay_alu instid0(VALU_DEP_1) | instskip(SKIP_2) | instid1(VALU_DEP_1)
	v_mad_u64_u32 v[6:7], null, v0, s24, v[2:3]
	scratch_load_b32 v3, off, off offset:348 ; 4-byte Folded Reload
	v_mov_b32_e32 v2, v6
	v_lshlrev_b64 v[1:2], 3, v[1:2]
	s_waitcnt vmcnt(0)
	s_delay_alu instid0(VALU_DEP_1)
	v_add_co_u32 v1, vcc_lo, v3, v1
	scratch_load_b32 v3, off, off offset:352 ; 4-byte Folded Reload
	s_waitcnt vmcnt(0)
	v_add_co_ci_u32_e32 v2, vcc_lo, v3, v2, vcc_lo
	flat_load_b64 v[1:2], v[1:2]
	s_waitcnt vmcnt(0) lgkmcnt(0)
	v_mul_f64 v[1:2], s[12:13], v[1:2]
	s_branch .LBB117_33
.LBB117_32:                             ;   in Loop: Header=BB117_30 Depth=1
	v_mov_b32_e32 v1, 0
	v_mov_b32_e32 v2, 0
.LBB117_33:                             ;   in Loop: Header=BB117_30 Depth=1
	scratch_store_b64 off, v[1:2], off offset:308 ; 8-byte Folded Spill
	v_mad_u64_u32 v[1:2], null, v0, s15, 0
	v_mov_b32_e32 v31, v56
	s_delay_alu instid0(VALU_DEP_2) | instskip(NEXT) | instid1(VALU_DEP_1)
	v_mad_u64_u32 v[8:9], null, v0, s22, v[2:3]
	v_mov_b32_e32 v2, v8
	s_delay_alu instid0(VALU_DEP_1) | instskip(NEXT) | instid1(VALU_DEP_1)
	v_lshlrev_b64 v[0:1], 3, v[1:2]
	v_add_co_u32 v0, vcc_lo, s16, v0
	s_delay_alu instid0(VALU_DEP_2)
	v_add_co_ci_u32_e32 v1, vcc_lo, s17, v1, vcc_lo
	s_and_b32 vcc_lo, exec_lo, s3
	s_cbranch_vccnz .LBB117_35
; %bb.34:                               ;   in Loop: Header=BB117_30 Depth=1
	scratch_load_b64 v[2:3], off, off offset:300 ; 8-byte Folded Reload
	s_waitcnt vmcnt(0)
	v_add_co_u32 v2, vcc_lo, v0, v2
	v_add_co_ci_u32_e32 v3, vcc_lo, v1, v3, vcc_lo
	s_clause 0x1
	flat_load_b64 v[8:9], v[2:3]
	flat_load_b64 v[2:3], v[2:3] offset:512
	s_waitcnt vmcnt(1) lgkmcnt(1)
	v_mul_f64 v[4:5], s[12:13], v[8:9]
	s_waitcnt vmcnt(0) lgkmcnt(0)
	v_mul_f64 v[2:3], s[12:13], v[2:3]
	scratch_store_b64 off, v[4:5], off offset:316 ; 8-byte Folded Spill
	s_branch .LBB117_36
.LBB117_35:                             ;   in Loop: Header=BB117_30 Depth=1
	v_mov_b32_e32 v2, 0
	v_mov_b32_e32 v3, 0
	scratch_store_b64 off, v[2:3], off offset:316 ; 8-byte Folded Spill
	v_mov_b32_e32 v2, 0
	v_mov_b32_e32 v3, 0
.LBB117_36:                             ;   in Loop: Header=BB117_30 Depth=1
	v_mov_b32_e32 v64, v74
	v_dual_mov_b32 v36, v99 :: v_dual_mov_b32 v57, v62
	v_mov_b32_e32 v74, v72
	v_mov_b32_e32 v72, v77
	s_and_b32 vcc_lo, exec_lo, s3
	scratch_store_b64 off, v[2:3], off offset:324 ; 8-byte Folded Spill
	s_cbranch_vccnz .LBB117_38
; %bb.37:                               ;   in Loop: Header=BB117_30 Depth=1
	scratch_load_b64 v[2:3], off, off offset:300 ; 8-byte Folded Reload
	s_waitcnt vmcnt(0)
	v_add_co_u32 v0, vcc_lo, v0, v2
	v_add_co_ci_u32_e32 v1, vcc_lo, v1, v3, vcc_lo
	s_clause 0x1
	flat_load_b64 v[2:3], v[0:1] offset:1024
	flat_load_b64 v[0:1], v[0:1] offset:1536
	s_waitcnt vmcnt(1) lgkmcnt(1)
	v_mul_f64 v[2:3], s[12:13], v[2:3]
	s_waitcnt vmcnt(0) lgkmcnt(0)
	v_mul_f64 v[0:1], s[12:13], v[0:1]
	scratch_store_b64 off, v[2:3], off offset:332 ; 8-byte Folded Spill
	s_branch .LBB117_39
.LBB117_38:                             ;   in Loop: Header=BB117_30 Depth=1
	v_mov_b32_e32 v0, 0
	v_mov_b32_e32 v1, 0
	scratch_store_b64 off, v[0:1], off offset:332 ; 8-byte Folded Spill
	v_mov_b32_e32 v0, 0
	v_mov_b32_e32 v1, 0
.LBB117_39:                             ;   in Loop: Header=BB117_30 Depth=1
	v_dual_mov_b32 v58, v57 :: v_dual_mov_b32 v51, v190
	v_dual_mov_b32 v53, v95 :: v_dual_mov_b32 v68, v194
	;; [unrolled: 1-line block ×3, first 2 shown]
	v_mov_b32_e32 v71, v199
	v_mov_b32_e32 v42, v103
	s_mov_b32 s23, 0
	s_mov_b32 s21, -1
	scratch_store_b64 off, v[0:1], off offset:340 ; 8-byte Folded Spill
.LBB117_40:                             ;   Parent Loop BB117_30 Depth=1
                                        ; =>  This Inner Loop Header: Depth=2
	s_lshl_b32 s23, s23, 3
	v_mov_b32_e32 v50, v145
	v_lshl_add_u32 v16, v216, 5, s23
	v_lshl_add_u32 v4, v39, 5, s23
	v_mov_b32_e32 v28, v143
	s_mov_b32 s23, 2
	s_and_not1_b32 vcc_lo, exec_lo, s21
	ds_load_b128 v[44:47], v16 offset:8192
	ds_load_b128 v[0:3], v4 offset:18432
	;; [unrolled: 1-line block ×4, first 2 shown]
	s_mov_b32 s21, 0
	s_waitcnt lgkmcnt(2)
	v_add_f64 v[142:143], v[2:3], v[46:47]
	s_waitcnt lgkmcnt(1)
	v_add_f64 v[5:6], v[152:153], v[46:47]
	v_add_f64 v[144:145], v[0:1], v[44:45]
	s_delay_alu instid0(VALU_DEP_3)
	v_cvt_f32_f64_e32 v118, v[142:143]
	scratch_store_b64 off, v[5:6], off offset:8 ; 8-byte Folded Spill
	v_add_f64 v[5:6], v[150:151], v[44:45]
	scratch_store_b64 off, v[5:6], off offset:64 ; 8-byte Folded Spill
	ds_load_b128 v[158:161], v4 offset:18944
	ds_load_b128 v[162:165], v4 offset:19200
	s_waitcnt lgkmcnt(1)
	v_add_f64 v[5:6], v[160:161], v[46:47]
	scratch_store_b64 off, v[5:6], off offset:40 ; 8-byte Folded Spill
	v_add_f64 v[5:6], v[158:159], v[44:45]
	scratch_store_b64 off, v[5:6], off offset:96 ; 8-byte Folded Spill
	s_waitcnt lgkmcnt(0)
	v_add_f64 v[5:6], v[164:165], v[46:47]
	scratch_store_b64 off, v[5:6], off offset:16 ; 8-byte Folded Spill
	v_add_f64 v[5:6], v[162:163], v[44:45]
	scratch_store_b64 off, v[5:6], off offset:72 ; 8-byte Folded Spill
	ds_load_b128 v[166:169], v4 offset:19456
	ds_load_b128 v[170:173], v4 offset:19712
	s_waitcnt lgkmcnt(1)
	v_add_f64 v[5:6], v[168:169], v[46:47]
	scratch_store_b64 off, v[5:6], off offset:48 ; 8-byte Folded Spill
	v_add_f64 v[5:6], v[166:167], v[44:45]
	scratch_store_b64 off, v[5:6], off offset:104 ; 8-byte Folded Spill
	s_waitcnt lgkmcnt(0)
	v_add_f64 v[5:6], v[172:173], v[46:47]
	;; [unrolled: 12-line block ×3, first 2 shown]
	scratch_store_b64 off, v[4:5], off offset:32 ; 8-byte Folded Spill
	v_add_f64 v[4:5], v[178:179], v[44:45]
	scratch_store_b64 off, v[4:5], off offset:88 ; 8-byte Folded Spill
	v_add_f64 v[4:5], v[2:3], v[156:157]
	;; [unrolled: 2-line block ×17, first 2 shown]
	scratch_store_b64 off, v[4:5], off offset:240 ; 8-byte Folded Spill
	ds_load_b128 v[154:157], v16 offset:10240
	ds_load_b128 v[182:185], v16 offset:11264
	s_waitcnt lgkmcnt(1)
	v_add_f64 v[4:5], v[168:169], v[156:157]
	v_add_f64 v[106:107], v[2:3], v[156:157]
	;; [unrolled: 1-line block ×11, first 2 shown]
	s_waitcnt lgkmcnt(0)
	v_add_f64 v[29:30], v[2:3], v[184:185]
	v_add_f64 v[220:221], v[0:1], v[182:183]
	;; [unrolled: 1-line block ×16, first 2 shown]
	scratch_store_b64 off, v[4:5], off offset:280 ; 8-byte Folded Spill
	v_add_f64 v[4:5], v[172:173], v[156:157]
	v_cvt_f32_f64_e32 v20, v[20:21]
	scratch_store_b64 off, v[4:5], off offset:264 ; 8-byte Folded Spill
	v_add_f64 v[4:5], v[176:177], v[156:157]
	scratch_store_b64 off, v[4:5], off offset:256 ; 8-byte Folded Spill
	v_add_f64 v[4:5], v[174:175], v[154:155]
	;; [unrolled: 2-line block ×4, first 2 shown]
	scratch_store_b64 off, v[4:5], off offset:272 ; 8-byte Folded Spill
	ds_load_b128 v[154:157], v16 offset:12288
	ds_load_b128 v[182:185], v16 offset:13312
	s_waitcnt lgkmcnt(1)
	v_add_f64 v[250:251], v[2:3], v[156:157]
	v_add_f64 v[252:253], v[0:1], v[154:155]
	;; [unrolled: 1-line block ×16, first 2 shown]
	s_waitcnt lgkmcnt(0)
	v_add_f64 v[22:23], v[2:3], v[184:185]
	v_add_f64 v[82:83], v[0:1], v[182:183]
	;; [unrolled: 1-line block ×16, first 2 shown]
	ds_load_b128 v[154:157], v16 offset:14336
	ds_load_b128 v[182:185], v16 offset:15360
	v_cvt_f32_f64_e32 v16, v[144:145]
	v_mov_b32_e32 v145, v50
	v_mov_b32_e32 v143, v28
	v_cvt_f32_f64_e32 v4, v[4:5]
	v_cvt_f32_f64_e32 v5, v[148:149]
	s_waitcnt lgkmcnt(1)
	v_add_f64 v[214:215], v[0:1], v[154:155]
	v_add_f64 v[210:211], v[150:151], v[154:155]
	;; [unrolled: 1-line block ×8, first 2 shown]
	s_waitcnt lgkmcnt(0)
	v_add_f64 v[0:1], v[0:1], v[182:183]
	v_add_f64 v[150:151], v[150:151], v[182:183]
	;; [unrolled: 1-line block ×8, first 2 shown]
	scratch_load_b64 v[182:183], off, off offset:64 ; 8-byte Folded Reload
	v_add_f64 v[102:103], v[2:3], v[156:157]
	v_add_f64 v[104:105], v[152:153], v[156:157]
	v_add_f64 v[2:3], v[2:3], v[184:185]
	v_min3_f32 v141, v16, v118, v141
	v_add_f64 v[152:153], v[152:153], v[184:185]
	v_add_f64 v[206:207], v[160:161], v[156:157]
	;; [unrolled: 1-line block ×10, first 2 shown]
	v_min3_f32 v70, v4, v5, v70
	v_cvt_f32_f64_e32 v4, v[8:9]
	v_cvt_f32_f64_e32 v5, v[10:11]
	v_add_f64 v[176:177], v[176:177], v[184:185]
	v_add_f64 v[156:157], v[180:181], v[156:157]
	;; [unrolled: 1-line block ×3, first 2 shown]
	v_cvt_f32_f64_e32 v0, v[0:1]
	v_cvt_f32_f64_e32 v1, v[2:3]
	v_min3_f32 v69, v4, v5, v69
	v_cvt_f32_f64_e32 v4, v[12:13]
	v_cvt_f32_f64_e32 v5, v[14:15]
	s_delay_alu instid0(VALU_DEP_4) | instskip(SKIP_2) | instid1(VALU_DEP_4)
	v_min3_f32 v126, v0, v1, v126
	v_cvt_f32_f64_e32 v0, v[150:151]
	v_cvt_f32_f64_e32 v1, v[152:153]
	v_min3_f32 v68, v4, v5, v68
	v_cvt_f32_f64_e32 v4, v[76:77]
	v_cvt_f32_f64_e32 v5, v[18:19]
	s_delay_alu instid0(VALU_DEP_4) | instskip(SKIP_2) | instid1(VALU_DEP_4)
	v_min3_f32 v125, v0, v1, v125
	;; [unrolled: 7-line block ×6, first 2 shown]
	v_cvt_f32_f64_e32 v0, v[174:175]
	v_cvt_f32_f64_e32 v1, v[176:177]
	v_min3_f32 v55, v4, v5, v55
	v_cvt_f32_f64_e32 v4, v[56:57]
	v_cvt_f32_f64_e32 v5, v[86:87]
	s_delay_alu instid0(VALU_DEP_4)
	v_min3_f32 v120, v0, v1, v120
	s_waitcnt vmcnt(0)
	v_cvt_f32_f64_e32 v16, v[182:183]
	scratch_load_b64 v[182:183], off, off offset:8 ; 8-byte Folded Reload
	v_cvt_f32_f64_e32 v0, v[178:179]
	v_cvt_f32_f64_e32 v1, v[180:181]
	v_min3_f32 v31, v4, v5, v31
	v_cvt_f32_f64_e32 v4, v[60:61]
	v_cvt_f32_f64_e32 v5, v[6:7]
	s_delay_alu instid0(VALU_DEP_4) | instskip(NEXT) | instid1(VALU_DEP_2)
	v_min3_f32 v119, v0, v1, v119
	v_min3_f32 v59, v4, v5, v59
	v_cvt_f32_f64_e32 v4, v[62:63]
	v_cvt_f32_f64_e32 v5, v[88:89]
	s_delay_alu instid0(VALU_DEP_1) | instskip(SKIP_2) | instid1(VALU_DEP_1)
	v_min3_f32 v244, v4, v5, v244
	v_cvt_f32_f64_e32 v4, v[92:93]
	v_cvt_f32_f64_e32 v5, v[90:91]
	v_min3_f32 v243, v4, v5, v243
	v_cvt_f32_f64_e32 v4, v[96:97]
	v_cvt_f32_f64_e32 v5, v[94:95]
	s_delay_alu instid0(VALU_DEP_1) | instskip(SKIP_2) | instid1(VALU_DEP_1)
	v_min3_f32 v245, v4, v5, v245
	v_cvt_f32_f64_e32 v4, v[100:101]
	v_cvt_f32_f64_e32 v5, v[98:99]
	;; [unrolled: 7-line block ×3, first 2 shown]
	v_min3_f32 v219, v4, v5, v219
	v_cvt_f32_f64_e32 v4, v[216:217]
	scratch_load_b32 v216, off, off         ; 4-byte Folded Reload
	v_cvt_f32_f64_e32 v5, v[206:207]
	s_waitcnt vmcnt(1)
	v_cvt_f32_f64_e32 v118, v[182:183]
	scratch_load_b64 v[182:183], off, off offset:96 ; 8-byte Folded Reload
	v_min3_f32 v196, v4, v5, v196
	v_cvt_f32_f64_e32 v4, v[212:213]
	v_cvt_f32_f64_e32 v5, v[202:203]
	v_min3_f32 v140, v16, v118, v140
	s_delay_alu instid0(VALU_DEP_2) | instskip(SKIP_2) | instid1(VALU_DEP_1)
	v_min3_f32 v130, v4, v5, v130
	v_cvt_f32_f64_e32 v4, v[208:209]
	v_cvt_f32_f64_e32 v5, v[198:199]
	v_min3_f32 v192, v4, v5, v192
	v_cvt_f32_f64_e32 v4, v[204:205]
	v_cvt_f32_f64_e32 v5, v[194:195]
	s_delay_alu instid0(VALU_DEP_1) | instskip(SKIP_2) | instid1(VALU_DEP_1)
	v_min3_f32 v129, v4, v5, v129
	v_cvt_f32_f64_e32 v4, v[200:201]
	v_cvt_f32_f64_e32 v5, v[190:191]
	v_min3_f32 v188, v4, v5, v188
	v_cvt_f32_f64_e32 v4, v[154:155]
	v_cvt_f32_f64_e32 v5, v[156:157]
	s_delay_alu instid0(VALU_DEP_1)
	v_min3_f32 v128, v4, v5, v128
	s_waitcnt vmcnt(0)
	v_cvt_f32_f64_e32 v16, v[182:183]
	scratch_load_b64 v[182:183], off, off offset:40 ; 8-byte Folded Reload
	s_waitcnt vmcnt(0)
	v_cvt_f32_f64_e32 v118, v[182:183]
	scratch_load_b64 v[182:183], off, off offset:72 ; 8-byte Folded Reload
	v_min3_f32 v139, v16, v118, v139
	s_waitcnt vmcnt(0)
	v_cvt_f32_f64_e32 v16, v[182:183]
	scratch_load_b64 v[182:183], off, off offset:16 ; 8-byte Folded Reload
	s_waitcnt vmcnt(0)
	v_cvt_f32_f64_e32 v118, v[182:183]
	scratch_load_b64 v[182:183], off, off offset:104 ; 8-byte Folded Reload
	;; [unrolled: 7-line block ×13, first 2 shown]
	v_min3_f32 v239, v16, v28, v239
	s_waitcnt vmcnt(0)
	v_cvt_f32_f64_e32 v16, v[182:183]
	scratch_load_b64 v[182:183], off, off offset:232 ; 8-byte Folded Reload
	s_waitcnt vmcnt(0)
	v_cvt_f32_f64_e32 v28, v[182:183]
	s_delay_alu instid0(VALU_DEP_1) | instskip(SKIP_2) | instid1(VALU_DEP_1)
	v_min3_f32 v134, v16, v28, v134
	v_cvt_f32_f64_e32 v16, v[108:109]
	v_cvt_f32_f64_e32 v28, v[106:107]
	v_min3_f32 v38, v16, v28, v38
	v_cvt_f32_f64_e32 v16, v[110:111]
	s_delay_alu instid0(VALU_DEP_1) | instskip(SKIP_2) | instid1(VALU_DEP_1)
	v_min3_f32 v145, v16, v20, v145
	v_cvt_f32_f64_e32 v16, v[186:187]
	v_cvt_f32_f64_e32 v20, v[32:33]
	v_min3_f32 v37, v16, v20, v37
	v_cvt_f32_f64_e32 v16, v[112:113]
	v_cvt_f32_f64_e32 v20, v[44:45]
	s_delay_alu instid0(VALU_DEP_1) | instskip(SKIP_4) | instid1(VALU_DEP_1)
	v_min3_f32 v36, v16, v20, v36
	scratch_load_b64 v[20:21], off, off offset:280 ; 8-byte Folded Reload
	v_cvt_f32_f64_e32 v16, v[34:35]
	s_waitcnt vmcnt(0)
	v_cvt_f32_f64_e32 v20, v[20:21]
	v_min3_f32 v43, v16, v20, v43
	scratch_load_b64 v[20:21], off, off offset:264 ; 8-byte Folded Reload
	v_cvt_f32_f64_e32 v16, v[46:47]
	s_waitcnt vmcnt(0)
	v_cvt_f32_f64_e32 v20, v[20:21]
	s_delay_alu instid0(VALU_DEP_1)
	v_min3_f32 v42, v16, v20, v42
	scratch_load_b64 v[20:21], off, off offset:288 ; 8-byte Folded Reload
	s_waitcnt vmcnt(0)
	v_cvt_f32_f64_e32 v16, v[20:21]
	scratch_load_b64 v[20:21], off, off offset:256 ; 8-byte Folded Reload
	s_waitcnt vmcnt(0)
	v_cvt_f32_f64_e32 v20, v[20:21]
	s_delay_alu instid0(VALU_DEP_1)
	v_min3_f32 v41, v16, v20, v41
	scratch_load_b64 v[20:21], off, off offset:272 ; 8-byte Folded Reload
	s_waitcnt vmcnt(0)
	v_cvt_f32_f64_e32 v16, v[20:21]
	scratch_load_b64 v[20:21], off, off offset:248 ; 8-byte Folded Reload
	s_waitcnt vmcnt(0)
	v_cvt_f32_f64_e32 v20, v[20:21]
	s_delay_alu instid0(VALU_DEP_1) | instskip(SKIP_2) | instid1(VALU_DEP_1)
	v_min3_f32 v143, v16, v20, v143
	v_cvt_f32_f64_e32 v16, v[220:221]
	v_cvt_f32_f64_e32 v20, v[29:30]
	v_min3_f32 v40, v16, v20, v40
	v_cvt_f32_f64_e32 v16, v[224:225]
	v_cvt_f32_f64_e32 v20, v[222:223]
	s_delay_alu instid0(VALU_DEP_1) | instskip(SKIP_2) | instid1(VALU_DEP_1)
	v_min3_f32 v49, v16, v20, v49
	v_cvt_f32_f64_e32 v16, v[228:229]
	v_cvt_f32_f64_e32 v20, v[226:227]
	v_min3_f32 v48, v16, v20, v48
	v_cvt_f32_f64_e32 v16, v[232:233]
	;; [unrolled: 7-line block ×5, first 2 shown]
	v_cvt_f32_f64_e32 v20, v[254:255]
	s_delay_alu instid0(VALU_DEP_1)
	v_min3_f32 v71, v16, v20, v71
	s_cbranch_vccz .LBB117_40
; %bb.41:                               ;   in Loop: Header=BB117_30 Depth=1
	s_clause 0x1
	scratch_load_b32 v0, off, off offset:368
	scratch_load_b64 v[1:2], off, off offset:308
	v_dual_mov_b32 v103, v42 :: v_dual_mov_b32 v194, v68
	v_dual_mov_b32 v199, v71 :: v_dual_mov_b32 v198, v70
	;; [unrolled: 1-line block ×3, first 2 shown]
	v_mov_b32_e32 v57, v58
	s_and_b32 vcc_lo, exec_lo, s3
	s_waitcnt vmcnt(0)
	ds_store_b64 v0, v[1:2]
	s_clause 0x2
	scratch_load_b32 v0, off, off offset:364
	scratch_load_b64 v[1:2], off, off offset:316
	scratch_load_b64 v[3:4], off, off offset:324
	s_waitcnt vmcnt(0)
	ds_store_2addr_stride64_b64 v0, v[1:2], v[3:4] offset1:4
	s_clause 0x1
	scratch_load_b64 v[1:2], off, off offset:332
	scratch_load_b64 v[3:4], off, off offset:340
	s_waitcnt vmcnt(0)
	ds_store_2addr_stride64_b64 v0, v[1:2], v[3:4] offset0:8 offset1:12
	scratch_load_b32 v0, off, off offset:360 ; 4-byte Folded Reload
	v_mov_b32_e32 v95, v53
	s_waitcnt vmcnt(0) lgkmcnt(0)
	s_waitcnt_vscnt null, 0x0
	s_barrier
	buffer_gl0_inv
	v_add_nc_u32_e32 v0, s4, v0
	s_cbranch_vccnz .LBB117_43
; %bb.42:                               ;   in Loop: Header=BB117_30 Depth=1
	s_delay_alu instid0(VALU_DEP_1) | instskip(NEXT) | instid1(VALU_DEP_1)
	v_mad_u64_u32 v[1:2], null, v0, s19, 0
	v_mad_u64_u32 v[6:7], null, v0, s24, v[2:3]
	scratch_load_b32 v3, off, off offset:348 ; 4-byte Folded Reload
	v_mov_b32_e32 v2, v6
	s_delay_alu instid0(VALU_DEP_1) | instskip(SKIP_1) | instid1(VALU_DEP_1)
	v_lshlrev_b64 v[1:2], 3, v[1:2]
	s_waitcnt vmcnt(0)
	v_add_co_u32 v1, vcc_lo, v3, v1
	scratch_load_b32 v3, off, off offset:352 ; 4-byte Folded Reload
	s_waitcnt vmcnt(0)
	v_add_co_ci_u32_e32 v2, vcc_lo, v3, v2, vcc_lo
	flat_load_b64 v[1:2], v[1:2]
	s_waitcnt vmcnt(0) lgkmcnt(0)
	v_mul_f64 v[1:2], s[12:13], v[1:2]
	s_branch .LBB117_44
.LBB117_43:                             ;   in Loop: Header=BB117_30 Depth=1
	v_mov_b32_e32 v1, 0
	v_mov_b32_e32 v2, 0
.LBB117_44:                             ;   in Loop: Header=BB117_30 Depth=1
	scratch_store_b64 off, v[1:2], off offset:308 ; 8-byte Folded Spill
	v_mad_u64_u32 v[1:2], null, v0, s15, 0
	v_dual_mov_b32 v62, v57 :: v_dual_mov_b32 v77, v72
	v_dual_mov_b32 v72, v74 :: v_dual_mov_b32 v99, v36
	v_mov_b32_e32 v74, v64
	s_delay_alu instid0(VALU_DEP_4) | instskip(NEXT) | instid1(VALU_DEP_1)
	v_mad_u64_u32 v[8:9], null, v0, s22, v[2:3]
	v_mov_b32_e32 v2, v8
	s_delay_alu instid0(VALU_DEP_1) | instskip(NEXT) | instid1(VALU_DEP_1)
	v_lshlrev_b64 v[0:1], 3, v[1:2]
	v_add_co_u32 v0, vcc_lo, s16, v0
	s_delay_alu instid0(VALU_DEP_2)
	v_add_co_ci_u32_e32 v1, vcc_lo, s17, v1, vcc_lo
	s_and_b32 vcc_lo, exec_lo, s3
	s_cbranch_vccnz .LBB117_46
; %bb.45:                               ;   in Loop: Header=BB117_30 Depth=1
	scratch_load_b64 v[2:3], off, off offset:300 ; 8-byte Folded Reload
	s_waitcnt vmcnt(0)
	v_add_co_u32 v2, vcc_lo, v0, v2
	v_add_co_ci_u32_e32 v3, vcc_lo, v1, v3, vcc_lo
	s_clause 0x1
	flat_load_b64 v[8:9], v[2:3]
	flat_load_b64 v[2:3], v[2:3] offset:512
	s_waitcnt vmcnt(1) lgkmcnt(1)
	v_mul_f64 v[4:5], s[12:13], v[8:9]
	s_waitcnt vmcnt(0) lgkmcnt(0)
	v_mul_f64 v[2:3], s[12:13], v[2:3]
	scratch_store_b64 off, v[4:5], off offset:316 ; 8-byte Folded Spill
	s_branch .LBB117_47
.LBB117_46:                             ;   in Loop: Header=BB117_30 Depth=1
	v_mov_b32_e32 v2, 0
	v_mov_b32_e32 v3, 0
	scratch_store_b64 off, v[2:3], off offset:316 ; 8-byte Folded Spill
	v_mov_b32_e32 v2, 0
	v_mov_b32_e32 v3, 0
.LBB117_47:                             ;   in Loop: Header=BB117_30 Depth=1
	v_dual_mov_b32 v144, v37 :: v_dual_mov_b32 v37, v243
	v_dual_mov_b32 v98, v43 :: v_dual_mov_b32 v195, v49
	v_mov_b32_e32 v102, v41
	v_dual_mov_b32 v57, v65 :: v_dual_mov_b32 v56, v31
	v_mov_b32_e32 v58, v244
	s_and_b32 vcc_lo, exec_lo, s3
	scratch_store_b64 off, v[2:3], off offset:324 ; 8-byte Folded Spill
	s_cbranch_vccnz .LBB117_49
; %bb.48:                               ;   in Loop: Header=BB117_30 Depth=1
	scratch_load_b64 v[2:3], off, off offset:300 ; 8-byte Folded Reload
	s_waitcnt vmcnt(0)
	v_add_co_u32 v0, vcc_lo, v0, v2
	v_add_co_ci_u32_e32 v1, vcc_lo, v1, v3, vcc_lo
	s_clause 0x1
	flat_load_b64 v[2:3], v[0:1] offset:1024
	flat_load_b64 v[0:1], v[0:1] offset:1536
	s_waitcnt vmcnt(1) lgkmcnt(1)
	v_mul_f64 v[2:3], s[12:13], v[2:3]
	s_waitcnt vmcnt(0) lgkmcnt(0)
	v_mul_f64 v[0:1], s[12:13], v[0:1]
	scratch_store_b64 off, v[2:3], off offset:332 ; 8-byte Folded Spill
	s_branch .LBB117_50
.LBB117_49:                             ;   in Loop: Header=BB117_30 Depth=1
	v_mov_b32_e32 v0, 0
	v_mov_b32_e32 v1, 0
	scratch_store_b64 off, v[0:1], off offset:332 ; 8-byte Folded Spill
	v_mov_b32_e32 v0, 0
	v_mov_b32_e32 v1, 0
.LBB117_50:                             ;   in Loop: Header=BB117_30 Depth=1
	v_dual_mov_b32 v191, v48 :: v_dual_mov_b32 v94, v38
	v_mov_b32_e32 v142, v40
	s_mov_b32 s23, 0
	s_mov_b32 s21, -1
	scratch_store_b64 off, v[0:1], off offset:340 ; 8-byte Folded Spill
.LBB117_51:                             ;   Parent Loop BB117_30 Depth=1
                                        ; =>  This Inner Loop Header: Depth=2
	s_lshl_b32 s23, s23, 3
	v_dual_mov_b32 v38, v62 :: v_dual_mov_b32 v241, v245
	v_lshl_add_u32 v16, v216, 5, s23
	s_waitcnt vmcnt(0)
	v_lshl_add_u32 v4, v39, 5, s23
	v_dual_mov_b32 v36, v77 :: v_dual_mov_b32 v255, v119
	ds_load_b128 v[44:47], v16
	ds_load_b128 v[0:3], v4 offset:16384
	ds_load_b128 v[150:153], v4 offset:16640
	;; [unrolled: 1-line block ×3, first 2 shown]
	v_dual_mov_b32 v8, v219 :: v_dual_mov_b32 v11, v122
	v_dual_mov_b32 v240, v238 :: v_dual_mov_b32 v35, v123
	s_mov_b32 s23, 2
	s_and_not1_b32 vcc_lo, exec_lo, s21
	s_mov_b32 s21, 0
	s_waitcnt lgkmcnt(2)
	v_add_f64 v[62:63], v[2:3], v[46:47]
	s_waitcnt lgkmcnt(1)
	v_add_f64 v[5:6], v[152:153], v[46:47]
	v_add_f64 v[76:77], v[0:1], v[44:45]
	s_delay_alu instid0(VALU_DEP_3)
	v_cvt_f32_f64_e32 v62, v[62:63]
	scratch_store_b64 off, v[5:6], off offset:8 ; 8-byte Folded Spill
	v_add_f64 v[5:6], v[150:151], v[44:45]
	scratch_store_b64 off, v[5:6], off offset:64 ; 8-byte Folded Spill
	ds_load_b128 v[158:161], v4 offset:16896
	ds_load_b128 v[162:165], v4 offset:17152
	s_waitcnt lgkmcnt(1)
	v_add_f64 v[5:6], v[160:161], v[46:47]
	scratch_store_b64 off, v[5:6], off offset:40 ; 8-byte Folded Spill
	v_add_f64 v[5:6], v[158:159], v[44:45]
	scratch_store_b64 off, v[5:6], off offset:96 ; 8-byte Folded Spill
	s_waitcnt lgkmcnt(0)
	v_add_f64 v[5:6], v[164:165], v[46:47]
	scratch_store_b64 off, v[5:6], off offset:16 ; 8-byte Folded Spill
	v_add_f64 v[5:6], v[162:163], v[44:45]
	scratch_store_b64 off, v[5:6], off offset:72 ; 8-byte Folded Spill
	ds_load_b128 v[166:169], v4 offset:17408
	ds_load_b128 v[170:173], v4 offset:17664
	s_waitcnt lgkmcnt(1)
	v_add_f64 v[5:6], v[168:169], v[46:47]
	scratch_store_b64 off, v[5:6], off offset:48 ; 8-byte Folded Spill
	v_add_f64 v[5:6], v[166:167], v[44:45]
	scratch_store_b64 off, v[5:6], off offset:104 ; 8-byte Folded Spill
	s_waitcnt lgkmcnt(0)
	v_add_f64 v[5:6], v[172:173], v[46:47]
	;; [unrolled: 12-line block ×3, first 2 shown]
	scratch_store_b64 off, v[4:5], off offset:32 ; 8-byte Folded Spill
	v_add_f64 v[4:5], v[178:179], v[44:45]
	scratch_store_b64 off, v[4:5], off offset:88 ; 8-byte Folded Spill
	v_add_f64 v[4:5], v[2:3], v[156:157]
	;; [unrolled: 2-line block ×17, first 2 shown]
	scratch_store_b64 off, v[4:5], off offset:240 ; 8-byte Folded Spill
	ds_load_b128 v[154:157], v16 offset:2048
	ds_load_b128 v[182:185], v16 offset:3072
	s_waitcnt lgkmcnt(1)
	v_add_f64 v[4:5], v[168:169], v[156:157]
	v_add_f64 v[82:83], v[2:3], v[156:157]
	;; [unrolled: 1-line block ×11, first 2 shown]
	s_waitcnt lgkmcnt(0)
	v_add_f64 v[146:147], v[2:3], v[184:185]
	v_add_f64 v[148:149], v[0:1], v[182:183]
	;; [unrolled: 1-line block ×16, first 2 shown]
	scratch_store_b64 off, v[4:5], off offset:280 ; 8-byte Folded Spill
	v_add_f64 v[4:5], v[172:173], v[156:157]
	scratch_store_b64 off, v[4:5], off offset:264 ; 8-byte Folded Spill
	v_add_f64 v[4:5], v[176:177], v[156:157]
	;; [unrolled: 2-line block ×5, first 2 shown]
	scratch_store_b64 off, v[4:5], off offset:272 ; 8-byte Folded Spill
	ds_load_b128 v[154:157], v16 offset:4096
	ds_load_b128 v[182:185], v16 offset:5120
	s_waitcnt lgkmcnt(1)
	v_add_f64 v[214:215], v[2:3], v[156:157]
	v_add_f64 v[18:19], v[0:1], v[154:155]
	;; [unrolled: 1-line block ×16, first 2 shown]
	s_waitcnt lgkmcnt(0)
	v_add_f64 v[247:248], v[2:3], v[184:185]
	v_add_f64 v[249:250], v[0:1], v[182:183]
	v_add_f64 v[251:252], v[152:153], v[184:185]
	v_add_f64 v[253:254], v[150:151], v[182:183]
	v_add_f64 v[46:47], v[160:161], v[184:185]
	v_add_f64 v[6:7], v[158:159], v[182:183]
	v_add_f64 v[43:44], v[164:165], v[184:185]
	v_add_f64 v[39:40], v[162:163], v[182:183]
	v_add_f64 v[41:42], v[168:169], v[184:185]
	v_add_f64 v[4:5], v[166:167], v[182:183]
	v_add_f64 v[106:107], v[172:173], v[184:185]
	v_add_f64 v[108:109], v[170:171], v[182:183]
	v_add_f64 v[186:187], v[176:177], v[184:185]
	v_add_f64 v[110:111], v[174:175], v[182:183]
	v_add_f64 v[33:34], v[180:181], v[184:185]
	v_add_f64 v[30:31], v[178:179], v[182:183]
	ds_load_b128 v[154:157], v16 offset:6144
	ds_load_b128 v[182:185], v16 offset:7168
	v_cvt_f32_f64_e32 v16, v[76:77]
	v_mov_b32_e32 v77, v36
	s_waitcnt lgkmcnt(1)
	v_add_f64 v[112:113], v[0:1], v[154:155]
	v_add_f64 v[28:29], v[150:151], v[154:155]
	;; [unrolled: 1-line block ×8, first 2 shown]
	s_waitcnt lgkmcnt(0)
	v_add_f64 v[0:1], v[0:1], v[182:183]
	v_add_f64 v[150:151], v[150:151], v[182:183]
	;; [unrolled: 1-line block ×8, first 2 shown]
	v_cvt_f32_f64_e32 v4, v[4:5]
	v_cvt_f32_f64_e32 v5, v[41:42]
	v_add_f64 v[131:132], v[2:3], v[156:157]
	v_add_f64 v[26:27], v[152:153], v[156:157]
	v_min3_f32 v141, v16, v62, v141
	scratch_load_b64 v[62:63], off, off offset:64 ; 8-byte Folded Reload
	v_add_f64 v[2:3], v[2:3], v[184:185]
	v_add_f64 v[114:115], v[160:161], v[156:157]
	;; [unrolled: 1-line block ×14, first 2 shown]
	s_clause 0x1
	scratch_load_b64 v[182:183], off, off offset:96
	scratch_load_b32 v216, off, off
	v_cvt_f32_f64_e32 v0, v[0:1]
	v_min3_f32 v58, v4, v5, v58
	v_cvt_f32_f64_e32 v4, v[108:109]
	v_cvt_f32_f64_e32 v5, v[106:107]
	;; [unrolled: 1-line block ×3, first 2 shown]
	s_delay_alu instid0(VALU_DEP_2) | instskip(SKIP_2) | instid1(VALU_DEP_4)
	v_min3_f32 v37, v4, v5, v37
	v_cvt_f32_f64_e32 v4, v[110:111]
	v_cvt_f32_f64_e32 v5, v[186:187]
	v_min3_f32 v126, v0, v1, v126
	v_cvt_f32_f64_e32 v0, v[150:151]
	v_cvt_f32_f64_e32 v1, v[152:153]
	s_delay_alu instid0(VALU_DEP_1) | instskip(SKIP_2) | instid1(VALU_DEP_1)
	v_min3_f32 v125, v0, v1, v125
	v_cvt_f32_f64_e32 v0, v[158:159]
	v_cvt_f32_f64_e32 v1, v[160:161]
	v_min3_f32 v124, v0, v1, v124
	v_cvt_f32_f64_e32 v0, v[162:163]
	v_cvt_f32_f64_e32 v1, v[164:165]
	s_waitcnt vmcnt(2)
	v_cvt_f32_f64_e32 v16, v[62:63]
	scratch_load_b64 v[62:63], off, off offset:8 ; 8-byte Folded Reload
	s_waitcnt vmcnt(0)
	v_cvt_f32_f64_e32 v62, v[62:63]
	s_delay_alu instid0(VALU_DEP_1)
	v_min3_f32 v140, v16, v62, v140
	v_cvt_f32_f64_e32 v16, v[182:183]
	scratch_load_b64 v[182:183], off, off offset:40 ; 8-byte Folded Reload
	v_mov_b32_e32 v62, v38
	s_waitcnt vmcnt(0)
	v_cvt_f32_f64_e32 v38, v[182:183]
	scratch_load_b64 v[182:183], off, off offset:72 ; 8-byte Folded Reload
	v_min3_f32 v139, v16, v38, v139
	s_waitcnt vmcnt(0)
	v_cvt_f32_f64_e32 v16, v[182:183]
	scratch_load_b64 v[182:183], off, off offset:16 ; 8-byte Folded Reload
	s_waitcnt vmcnt(0)
	v_cvt_f32_f64_e32 v38, v[182:183]
	scratch_load_b64 v[182:183], off, off offset:104 ; 8-byte Folded Reload
	v_min3_f32 v138, v16, v38, v138
	s_waitcnt vmcnt(0)
	v_cvt_f32_f64_e32 v16, v[182:183]
	scratch_load_b64 v[182:183], off, off offset:48 ; 8-byte Folded Reload
	;; [unrolled: 7-line block ×13, first 2 shown]
	s_waitcnt vmcnt(0)
	v_cvt_f32_f64_e32 v32, v[182:183]
	s_delay_alu instid0(VALU_DEP_1) | instskip(SKIP_3) | instid1(VALU_DEP_1)
	v_min3_f32 v134, v16, v32, v134
	v_cvt_f32_f64_e32 v16, v[80:81]
	scratch_load_b64 v[80:81], off, off offset:280 ; 8-byte Folded Reload
	v_cvt_f32_f64_e32 v32, v[82:83]
	v_min3_f32 v94, v16, v32, v94
	v_cvt_f32_f64_e32 v16, v[84:85]
	v_cvt_f32_f64_e32 v32, v[86:87]
	s_delay_alu instid0(VALU_DEP_1) | instskip(SKIP_2) | instid1(VALU_DEP_1)
	v_min3_f32 v145, v16, v32, v145
	v_cvt_f32_f64_e32 v16, v[88:89]
	v_cvt_f32_f64_e32 v32, v[90:91]
	v_min3_f32 v144, v16, v32, v144
	v_cvt_f32_f64_e32 v16, v[92:93]
	v_cvt_f32_f64_e32 v32, v[104:105]
	s_delay_alu instid0(VALU_DEP_1)
	v_min3_f32 v99, v16, v32, v99
	v_cvt_f32_f64_e32 v16, v[96:97]
	s_waitcnt vmcnt(0)
	v_cvt_f32_f64_e32 v32, v[80:81]
	scratch_load_b64 v[80:81], off, off offset:264 ; 8-byte Folded Reload
	v_min3_f32 v98, v16, v32, v98
	v_cvt_f32_f64_e32 v16, v[100:101]
	s_waitcnt vmcnt(0)
	v_cvt_f32_f64_e32 v32, v[80:81]
	scratch_load_b64 v[80:81], off, off offset:288 ; 8-byte Folded Reload
	v_min3_f32 v103, v16, v32, v103
	s_waitcnt vmcnt(0)
	v_cvt_f32_f64_e32 v16, v[80:81]
	scratch_load_b64 v[80:81], off, off offset:256 ; 8-byte Folded Reload
	s_waitcnt vmcnt(0)
	v_cvt_f32_f64_e32 v32, v[80:81]
	scratch_load_b64 v[80:81], off, off offset:272 ; 8-byte Folded Reload
	v_min3_f32 v102, v16, v32, v102
	s_waitcnt vmcnt(0)
	v_cvt_f32_f64_e32 v16, v[80:81]
	scratch_load_b64 v[80:81], off, off offset:248 ; 8-byte Folded Reload
	s_waitcnt vmcnt(0)
	v_cvt_f32_f64_e32 v32, v[80:81]
	s_delay_alu instid0(VALU_DEP_1) | instskip(SKIP_2) | instid1(VALU_DEP_1)
	v_min3_f32 v143, v16, v32, v143
	v_cvt_f32_f64_e32 v16, v[148:149]
	v_cvt_f32_f64_e32 v32, v[146:147]
	v_min3_f32 v142, v16, v32, v142
	v_cvt_f32_f64_e32 v16, v[24:25]
	v_cvt_f32_f64_e32 v24, v[78:79]
	s_delay_alu instid0(VALU_DEP_1) | instskip(SKIP_2) | instid1(VALU_DEP_1)
	v_min3_f32 v195, v16, v24, v195
	v_cvt_f32_f64_e32 v16, v[22:23]
	v_cvt_f32_f64_e32 v22, v[70:71]
	v_min3_f32 v191, v16, v22, v191
	v_cvt_f32_f64_e32 v16, v[20:21]
	;; [unrolled: 7-line block ×4, first 2 shown]
	v_cvt_f32_f64_e32 v20, v[210:211]
	s_delay_alu instid0(VALU_DEP_1) | instskip(SKIP_3) | instid1(VALU_DEP_2)
	v_min3_f32 v73, v16, v20, v73
	v_cvt_f32_f64_e32 v16, v[18:19]
	v_cvt_f32_f64_e32 v20, v[214:215]
	;; [unrolled: 1-line block ×3, first 2 shown]
	v_min3_f32 v77, v16, v20, v77
	v_cvt_f32_f64_e32 v16, v[221:222]
	v_cvt_f32_f64_e32 v20, v[219:220]
	v_mov_b32_e32 v219, v8
	v_cvt_f32_f64_e32 v8, v[6:7]
	v_cvt_f32_f64_e32 v6, v[46:47]
	;; [unrolled: 1-line block ×3, first 2 shown]
	v_min3_f32 v199, v16, v20, v199
	v_cvt_f32_f64_e32 v16, v[225:226]
	v_cvt_f32_f64_e32 v20, v[223:224]
	v_min3_f32 v56, v8, v6, v56
	v_cvt_f32_f64_e32 v6, v[39:40]
	scratch_load_b32 v39, off, off offset:296 ; 4-byte Folded Reload
	v_min3_f32 v198, v16, v20, v198
	v_cvt_f32_f64_e32 v16, v[229:230]
	v_cvt_f32_f64_e32 v20, v[227:228]
	v_min3_f32 v59, v6, v7, v59
	s_delay_alu instid0(VALU_DEP_2) | instskip(SKIP_2) | instid1(VALU_DEP_1)
	v_min3_f32 v217, v16, v20, v217
	v_cvt_f32_f64_e32 v16, v[233:234]
	v_cvt_f32_f64_e32 v20, v[231:232]
	v_min3_f32 v194, v16, v20, v194
	v_cvt_f32_f64_e32 v16, v[237:238]
	v_cvt_f32_f64_e32 v20, v[235:236]
	v_mov_b32_e32 v238, v240
	s_delay_alu instid0(VALU_DEP_2) | instskip(SKIP_2) | instid1(VALU_DEP_1)
	v_min3_f32 v54, v16, v20, v54
	v_cvt_f32_f64_e32 v16, v[48:49]
	v_cvt_f32_f64_e32 v20, v[50:51]
	v_min3_f32 v95, v16, v20, v95
	v_cvt_f32_f64_e32 v16, v[245:246]
	v_mov_b32_e32 v245, v241
	s_delay_alu instid0(VALU_DEP_1)
	v_min3_f32 v245, v4, v5, v245
	v_cvt_f32_f64_e32 v4, v[30:31]
	v_cvt_f32_f64_e32 v5, v[33:34]
	v_min3_f32 v190, v16, v18, v190
	v_cvt_f32_f64_e32 v16, v[249:250]
	v_cvt_f32_f64_e32 v18, v[247:248]
	s_delay_alu instid0(VALU_DEP_4) | instskip(SKIP_2) | instid1(VALU_DEP_4)
	v_min3_f32 v242, v4, v5, v242
	v_cvt_f32_f64_e32 v4, v[112:113]
	v_cvt_f32_f64_e32 v5, v[131:132]
	v_min3_f32 v62, v16, v18, v62
	v_cvt_f32_f64_e32 v16, v[253:254]
	v_cvt_f32_f64_e32 v18, v[251:252]
	s_delay_alu instid0(VALU_DEP_4) | instskip(SKIP_2) | instid1(VALU_DEP_4)
	v_min3_f32 v238, v4, v5, v238
	v_cvt_f32_f64_e32 v4, v[28:29]
	v_cvt_f32_f64_e32 v5, v[26:27]
	v_min3_f32 v55, v16, v18, v55
	s_delay_alu instid0(VALU_DEP_2) | instskip(SKIP_2) | instid1(VALU_DEP_1)
	v_min3_f32 v219, v4, v5, v219
	v_cvt_f32_f64_e32 v4, v[64:65]
	v_cvt_f32_f64_e32 v5, v[114:115]
	v_min3_f32 v196, v4, v5, v196
	v_cvt_f32_f64_e32 v4, v[116:117]
	v_cvt_f32_f64_e32 v5, v[66:67]
	s_delay_alu instid0(VALU_DEP_1) | instskip(SKIP_3) | instid1(VALU_DEP_2)
	v_min3_f32 v130, v4, v5, v130
	v_cvt_f32_f64_e32 v4, v[9:10]
	v_cvt_f32_f64_e32 v5, v[118:119]
	v_mov_b32_e32 v119, v255
	v_min3_f32 v192, v4, v5, v192
	v_cvt_f32_f64_e32 v5, v[122:123]
	v_mov_b32_e32 v123, v35
	v_mov_b32_e32 v122, v11
	v_cvt_f32_f64_e32 v4, v[12:13]
	s_delay_alu instid0(VALU_DEP_3) | instskip(SKIP_2) | instid1(VALU_DEP_4)
	v_min3_f32 v123, v0, v1, v123
	v_cvt_f32_f64_e32 v0, v[166:167]
	v_cvt_f32_f64_e32 v1, v[168:169]
	v_min3_f32 v129, v4, v5, v129
	v_cvt_f32_f64_e32 v4, v[243:244]
	v_cvt_f32_f64_e32 v5, v[14:15]
	s_delay_alu instid0(VALU_DEP_4) | instskip(SKIP_2) | instid1(VALU_DEP_4)
	v_min3_f32 v122, v0, v1, v122
	v_cvt_f32_f64_e32 v0, v[170:171]
	v_cvt_f32_f64_e32 v1, v[172:173]
	v_min3_f32 v188, v4, v5, v188
	v_cvt_f32_f64_e32 v4, v[154:155]
	v_cvt_f32_f64_e32 v5, v[156:157]
	s_delay_alu instid0(VALU_DEP_4) | instskip(SKIP_2) | instid1(VALU_DEP_4)
	v_min3_f32 v127, v0, v1, v127
	v_cvt_f32_f64_e32 v0, v[174:175]
	v_cvt_f32_f64_e32 v1, v[176:177]
	v_min3_f32 v128, v4, v5, v128
	s_delay_alu instid0(VALU_DEP_2) | instskip(SKIP_2) | instid1(VALU_DEP_1)
	v_min3_f32 v120, v0, v1, v120
	v_cvt_f32_f64_e32 v0, v[178:179]
	v_cvt_f32_f64_e32 v1, v[180:181]
	v_min3_f32 v119, v0, v1, v119
	s_cbranch_vccz .LBB117_51
; %bb.52:                               ;   in Loop: Header=BB117_30 Depth=1
	s_clause 0x1
	scratch_load_b32 v0, off, off offset:372
	scratch_load_b64 v[1:2], off, off offset:308
	v_dual_mov_b32 v38, v94 :: v_dual_mov_b32 v205, v195
	v_dual_mov_b32 v40, v142 :: v_dual_mov_b32 v65, v57
	;; [unrolled: 1-line block ×3, first 2 shown]
	v_mov_b32_e32 v244, v58
	s_add_i32 s20, s20, 8
	s_add_i32 s4, s4, 8
	s_cmp_ge_i32 s20, s5
	s_waitcnt vmcnt(0)
	ds_store_b64 v0, v[1:2]
	s_clause 0x2
	scratch_load_b32 v0, off, off offset:376
	scratch_load_b64 v[1:2], off, off offset:316
	scratch_load_b64 v[3:4], off, off offset:324
	s_waitcnt vmcnt(0)
	ds_store_2addr_stride64_b64 v0, v[1:2], v[3:4] offset1:4
	s_clause 0x1
	scratch_load_b64 v[1:2], off, off offset:332
	scratch_load_b64 v[3:4], off, off offset:340
	s_waitcnt vmcnt(0)
	ds_store_2addr_stride64_b64 v0, v[1:2], v[3:4] offset0:8 offset1:12
	s_waitcnt lgkmcnt(0)
	s_waitcnt_vscnt null, 0x0
	s_barrier
	buffer_gl0_inv
	s_cbranch_scc1 .LBB117_55
; %bb.53:                               ;   in Loop: Header=BB117_30 Depth=1
	scratch_load_b32 v3, off, off offset:356 ; 4-byte Folded Reload
	v_mov_b32_e32 v37, v144
	s_branch .LBB117_30
.LBB117_54:
	v_dual_mov_b32 v62, v57 :: v_dual_mov_b32 v77, v200
.LBB117_55:
	v_dual_mov_b32 v57, v48 :: v_dual_mov_b32 v112, v99
	v_dual_mov_b32 v195, v40 :: v_dual_mov_b32 v106, v143
	;; [unrolled: 1-line block ×6, first 2 shown]
	v_mov_b32_e32 v111, v74
	v_mov_b32_e32 v191, v205
	v_dual_mov_b32 v107, v102 :: v_dual_mov_b32 v94, v217
	v_dual_mov_b32 v102, v98 :: v_dual_mov_b32 v113, v144
	;; [unrolled: 1-line block ×3, first 2 shown]
	s_mov_b32 s4, 0
	s_mov_b32 s3, -1
.LBB117_56:                             ; =>This Inner Loop Header: Depth=1
	scratch_load_b32 v0, off, off offset:296 ; 4-byte Folded Reload
	s_lshl_b32 s4, s4, 3
	v_dual_mov_b32 v28, v65 :: v_dual_mov_b32 v255, v119
	s_waitcnt vmcnt(1)
	v_lshl_add_u32 v4, v216, 5, s4
	v_dual_mov_b32 v240, v219 :: v_dual_mov_b32 v237, v242
	v_mov_b32_e32 v58, v54
	v_mov_b32_e32 v54, v62
	s_and_not1_b32 vcc_lo, exec_lo, s3
	s_mov_b32 s3, 0
	s_waitcnt vmcnt(0)
	v_lshl_add_u32 v5, v0, 5, s4
	s_mov_b32 s4, 2
	ds_load_b128 v[32:35], v4 offset:8192
	ds_load_b128 v[0:3], v5 offset:18432
	;; [unrolled: 1-line block ×4, first 2 shown]
	s_waitcnt lgkmcnt(2)
	v_add_f64 v[66:67], v[0:1], v[32:33]
	s_waitcnt lgkmcnt(1)
	v_add_f64 v[6:7], v[80:81], v[34:35]
	v_add_f64 v[64:65], v[2:3], v[34:35]
	s_delay_alu instid0(VALU_DEP_3)
	v_cvt_f32_f64_e32 v16, v[66:67]
	scratch_store_b64 off, v[6:7], off offset:8 ; 8-byte Folded Spill
	v_add_f64 v[6:7], v[78:79], v[32:33]
	v_cvt_f32_f64_e32 v64, v[64:65]
	v_mov_b32_e32 v65, v28
	scratch_store_b64 off, v[6:7], off offset:64 ; 8-byte Folded Spill
	ds_load_b128 v[72:75], v5 offset:18944
	ds_load_b128 v[142:145], v5 offset:19200
	v_min3_f32 v141, v16, v64, v141
	s_waitcnt lgkmcnt(1)
	v_add_f64 v[6:7], v[74:75], v[34:35]
	scratch_store_b64 off, v[6:7], off offset:40 ; 8-byte Folded Spill
	v_add_f64 v[6:7], v[72:73], v[32:33]
	scratch_store_b64 off, v[6:7], off offset:96 ; 8-byte Folded Spill
	s_waitcnt lgkmcnt(0)
	v_add_f64 v[6:7], v[144:145], v[34:35]
	scratch_store_b64 off, v[6:7], off offset:16 ; 8-byte Folded Spill
	v_add_f64 v[6:7], v[142:143], v[32:33]
	scratch_store_b64 off, v[6:7], off offset:72 ; 8-byte Folded Spill
	ds_load_b128 v[146:149], v5 offset:19456
	ds_load_b128 v[150:153], v5 offset:19712
	s_waitcnt lgkmcnt(1)
	v_add_f64 v[6:7], v[148:149], v[34:35]
	scratch_store_b64 off, v[6:7], off offset:48 ; 8-byte Folded Spill
	v_add_f64 v[6:7], v[146:147], v[32:33]
	scratch_store_b64 off, v[6:7], off offset:104 ; 8-byte Folded Spill
	s_waitcnt lgkmcnt(0)
	v_add_f64 v[6:7], v[152:153], v[34:35]
	scratch_store_b64 off, v[6:7], off offset:24 ; 8-byte Folded Spill
	v_add_f64 v[6:7], v[150:151], v[32:33]
	scratch_store_b64 off, v[6:7], off offset:80 ; 8-byte Folded Spill
	ds_load_b128 v[154:157], v5 offset:19968
	ds_load_b128 v[158:161], v5 offset:20224
	s_waitcnt lgkmcnt(1)
	v_add_f64 v[5:6], v[156:157], v[34:35]
	scratch_store_b64 off, v[5:6], off offset:56 ; 8-byte Folded Spill
	v_add_f64 v[5:6], v[154:155], v[32:33]
	scratch_store_b64 off, v[5:6], off offset:112 ; 8-byte Folded Spill
	s_waitcnt lgkmcnt(0)
	v_add_f64 v[5:6], v[160:161], v[34:35]
	scratch_store_b64 off, v[5:6], off offset:32 ; 8-byte Folded Spill
	v_add_f64 v[5:6], v[158:159], v[32:33]
	scratch_store_b64 off, v[5:6], off offset:88 ; 8-byte Folded Spill
	;; [unrolled: 2-line block ×18, first 2 shown]
	ds_load_b128 v[68:71], v4 offset:10240
	ds_load_b128 v[162:165], v4 offset:11264
	s_waitcnt lgkmcnt(1)
	v_add_f64 v[5:6], v[148:149], v[70:71]
	v_add_f64 v[82:83], v[2:3], v[70:71]
	;; [unrolled: 1-line block ×11, first 2 shown]
	s_waitcnt lgkmcnt(0)
	v_add_f64 v[114:115], v[2:3], v[164:165]
	v_add_f64 v[116:117], v[0:1], v[162:163]
	;; [unrolled: 1-line block ×16, first 2 shown]
	scratch_store_b64 off, v[5:6], off offset:280 ; 8-byte Folded Spill
	v_add_f64 v[5:6], v[152:153], v[70:71]
	scratch_store_b64 off, v[5:6], off offset:264 ; 8-byte Folded Spill
	v_add_f64 v[5:6], v[156:157], v[70:71]
	;; [unrolled: 2-line block ×5, first 2 shown]
	scratch_store_b64 off, v[5:6], off offset:272 ; 8-byte Folded Spill
	ds_load_b128 v[68:71], v4 offset:12288
	ds_load_b128 v[162:165], v4 offset:13312
	s_waitcnt lgkmcnt(1)
	v_add_f64 v[184:185], v[2:3], v[70:71]
	v_add_f64 v[186:187], v[0:1], v[68:69]
	;; [unrolled: 1-line block ×16, first 2 shown]
	s_waitcnt lgkmcnt(0)
	v_add_f64 v[216:217], v[2:3], v[164:165]
	v_add_f64 v[219:220], v[0:1], v[162:163]
	;; [unrolled: 1-line block ×16, first 2 shown]
	ds_load_b128 v[68:71], v4 offset:14336
	ds_load_b128 v[162:165], v4 offset:15360
	scratch_load_b64 v[66:67], off, off offset:64 ; 8-byte Folded Reload
	s_waitcnt lgkmcnt(1)
	v_add_f64 v[249:250], v[2:3], v[70:71]
	v_add_f64 v[251:252], v[0:1], v[68:69]
	s_waitcnt lgkmcnt(0)
	v_add_f64 v[2:3], v[2:3], v[164:165]
	v_add_f64 v[0:1], v[0:1], v[162:163]
	;; [unrolled: 1-line block ×30, first 2 shown]
	v_cvt_f32_f64_e32 v0, v[0:1]
	v_cvt_f32_f64_e32 v1, v[2:3]
	;; [unrolled: 1-line block ×4, first 2 shown]
	s_delay_alu instid0(VALU_DEP_3) | instskip(SKIP_2) | instid1(VALU_DEP_1)
	v_min3_f32 v126, v0, v1, v126
	v_cvt_f32_f64_e32 v0, v[78:79]
	v_cvt_f32_f64_e32 v1, v[80:81]
	v_min3_f32 v125, v0, v1, v125
	v_cvt_f32_f64_e32 v0, v[72:73]
	v_cvt_f32_f64_e32 v1, v[74:75]
	s_delay_alu instid0(VALU_DEP_1) | instskip(SKIP_2) | instid1(VALU_DEP_1)
	v_min3_f32 v124, v0, v1, v124
	v_cvt_f32_f64_e32 v0, v[142:143]
	v_cvt_f32_f64_e32 v1, v[144:145]
	v_min3_f32 v123, v0, v1, v123
	v_cvt_f32_f64_e32 v0, v[146:147]
	v_cvt_f32_f64_e32 v1, v[148:149]
	s_delay_alu instid0(VALU_DEP_1) | instskip(SKIP_2) | instid1(VALU_DEP_1)
	v_min3_f32 v122, v0, v1, v122
	v_cvt_f32_f64_e32 v0, v[150:151]
	v_cvt_f32_f64_e32 v1, v[152:153]
	v_min3_f32 v127, v0, v1, v127
	v_cvt_f32_f64_e32 v0, v[154:155]
	v_cvt_f32_f64_e32 v1, v[156:157]
	s_waitcnt vmcnt(0)
	v_cvt_f32_f64_e32 v16, v[66:67]
	scratch_load_b64 v[66:67], off, off offset:8 ; 8-byte Folded Reload
	v_min3_f32 v120, v0, v1, v120
	v_cvt_f32_f64_e32 v0, v[158:159]
	v_cvt_f32_f64_e32 v1, v[160:161]
	s_waitcnt vmcnt(0)
	v_cvt_f32_f64_e32 v64, v[66:67]
	scratch_load_b64 v[66:67], off, off offset:96 ; 8-byte Folded Reload
	v_min3_f32 v140, v16, v64, v140
	s_waitcnt vmcnt(0)
	v_cvt_f32_f64_e32 v16, v[66:67]
	scratch_load_b64 v[66:67], off, off offset:40 ; 8-byte Folded Reload
	s_waitcnt vmcnt(0)
	v_cvt_f32_f64_e32 v62, v[66:67]
	scratch_load_b64 v[66:67], off, off offset:72 ; 8-byte Folded Reload
	v_min3_f32 v139, v16, v62, v139
	s_waitcnt vmcnt(0)
	v_cvt_f32_f64_e32 v16, v[66:67]
	scratch_load_b64 v[66:67], off, off offset:16 ; 8-byte Folded Reload
	;; [unrolled: 7-line block ×14, first 2 shown]
	s_waitcnt vmcnt(0)
	v_cvt_f32_f64_e32 v28, v[66:67]
	scratch_load_b64 v[66:67], off, off offset:280 ; 8-byte Folded Reload
	v_min3_f32 v134, v16, v28, v134
	v_cvt_f32_f64_e32 v16, v[84:85]
	v_cvt_f32_f64_e32 v28, v[82:83]
	s_delay_alu instid0(VALU_DEP_1) | instskip(SKIP_2) | instid1(VALU_DEP_1)
	v_min3_f32 v99, v16, v28, v99
	v_cvt_f32_f64_e32 v16, v[88:89]
	v_cvt_f32_f64_e32 v28, v[86:87]
	v_min3_f32 v98, v16, v28, v98
	v_cvt_f32_f64_e32 v16, v[92:93]
	v_cvt_f32_f64_e32 v28, v[90:91]
	s_delay_alu instid0(VALU_DEP_1) | instskip(SKIP_2) | instid1(VALU_DEP_1)
	v_min3_f32 v113, v16, v28, v113
	v_cvt_f32_f64_e32 v16, v[96:97]
	v_cvt_f32_f64_e32 v28, v[108:109]
	v_min3_f32 v112, v16, v28, v112
	v_cvt_f32_f64_e32 v16, v[100:101]
	s_waitcnt vmcnt(0)
	v_cvt_f32_f64_e32 v28, v[66:67]
	scratch_load_b64 v[66:67], off, off offset:264 ; 8-byte Folded Reload
	v_min3_f32 v102, v16, v28, v102
	v_cvt_f32_f64_e32 v16, v[104:105]
	s_waitcnt vmcnt(0)
	v_cvt_f32_f64_e32 v28, v[66:67]
	scratch_load_b64 v[66:67], off, off offset:288 ; 8-byte Folded Reload
	v_min3_f32 v103, v16, v28, v103
	s_waitcnt vmcnt(0)
	v_cvt_f32_f64_e32 v16, v[66:67]
	scratch_load_b64 v[66:67], off, off offset:256 ; 8-byte Folded Reload
	s_waitcnt vmcnt(0)
	v_cvt_f32_f64_e32 v28, v[66:67]
	scratch_load_b64 v[66:67], off, off offset:272 ; 8-byte Folded Reload
	v_min3_f32 v107, v16, v28, v107
	s_waitcnt vmcnt(0)
	v_cvt_f32_f64_e32 v16, v[66:67]
	scratch_load_b64 v[66:67], off, off offset:248 ; 8-byte Folded Reload
	s_waitcnt vmcnt(0)
	v_cvt_f32_f64_e32 v28, v[66:67]
	s_delay_alu instid0(VALU_DEP_1) | instskip(SKIP_2) | instid1(VALU_DEP_1)
	v_min3_f32 v106, v16, v28, v106
	v_cvt_f32_f64_e32 v16, v[116:117]
	v_cvt_f32_f64_e32 v28, v[114:115]
	v_min3_f32 v195, v16, v28, v195
	v_cvt_f32_f64_e32 v16, v[50:51]
	v_cvt_f32_f64_e32 v28, v[118:119]
	v_dual_mov_b32 v119, v255 :: v_dual_mov_b32 v62, v54
	v_mov_b32_e32 v54, v58
	s_delay_alu instid0(VALU_DEP_2) | instskip(NEXT) | instid1(VALU_DEP_4)
	v_min3_f32 v119, v0, v1, v119
	v_min3_f32 v191, v16, v28, v191
	v_cvt_f32_f64_e32 v16, v[44:45]
	v_cvt_f32_f64_e32 v28, v[52:53]
	s_delay_alu instid0(VALU_DEP_1) | instskip(SKIP_2) | instid1(VALU_DEP_1)
	v_min3_f32 v57, v16, v28, v57
	v_cvt_f32_f64_e32 v16, v[166:167]
	v_cvt_f32_f64_e32 v28, v[46:47]
	v_min3_f32 v65, v16, v28, v65
	v_cvt_f32_f64_e32 v16, v[170:171]
	v_cvt_f32_f64_e32 v28, v[168:169]
	s_delay_alu instid0(VALU_DEP_1) | instskip(SKIP_2) | instid1(VALU_DEP_1)
	v_min3_f32 v111, v16, v28, v111
	v_cvt_f32_f64_e32 v16, v[174:175]
	v_cvt_f32_f64_e32 v28, v[172:173]
	;; [unrolled: 7-line block ×7, first 2 shown]
	v_min3_f32 v190, v16, v28, v190
	v_cvt_f32_f64_e32 v16, v[219:220]
	v_mov_b32_e32 v219, v240
	v_cvt_f32_f64_e32 v28, v[216:217]
	scratch_load_b32 v216, off, off         ; 4-byte Folded Reload
	v_min3_f32 v219, v4, v5, v219
	v_cvt_f32_f64_e32 v4, v[6:7]
	v_cvt_f32_f64_e32 v5, v[10:11]
	v_min3_f32 v62, v16, v28, v62
	v_cvt_f32_f64_e32 v16, v[223:224]
	v_cvt_f32_f64_e32 v28, v[221:222]
	s_delay_alu instid0(VALU_DEP_4) | instskip(SKIP_2) | instid1(VALU_DEP_4)
	v_min3_f32 v196, v4, v5, v196
	v_cvt_f32_f64_e32 v4, v[8:9]
	v_cvt_f32_f64_e32 v5, v[14:15]
	v_min3_f32 v55, v16, v28, v55
	v_cvt_f32_f64_e32 v16, v[227:228]
	v_cvt_f32_f64_e32 v28, v[225:226]
	s_delay_alu instid0(VALU_DEP_4) | instskip(SKIP_2) | instid1(VALU_DEP_4)
	;; [unrolled: 7-line block ×5, first 2 shown]
	v_min3_f32 v188, v4, v5, v188
	v_cvt_f32_f64_e32 v4, v[68:69]
	v_cvt_f32_f64_e32 v5, v[70:71]
	v_min3_f32 v48, v16, v28, v48
	v_cvt_f32_f64_e32 v16, v[243:244]
	v_cvt_f32_f64_e32 v28, v[241:242]
	v_mov_b32_e32 v242, v237
	v_min3_f32 v128, v4, v5, v128
	s_delay_alu instid0(VALU_DEP_3) | instskip(SKIP_2) | instid1(VALU_DEP_1)
	v_min3_f32 v63, v16, v28, v63
	v_cvt_f32_f64_e32 v16, v[247:248]
	v_cvt_f32_f64_e32 v28, v[245:246]
	v_min3_f32 v242, v16, v28, v242
	v_cvt_f32_f64_e32 v16, v[251:252]
	v_cvt_f32_f64_e32 v28, v[249:250]
	s_delay_alu instid0(VALU_DEP_1)
	v_min3_f32 v238, v16, v28, v238
	s_cbranch_vccz .LBB117_56
; %bb.57:
	s_clause 0x2
	s_load_b32 s4, s[0:1], 0x70
	s_load_b32 s3, s[0:1], 0x58
	s_load_b64 s[0:1], s[0:1], 0x78
	scratch_load_b32 v0, off, off offset:296 ; 4-byte Folded Reload
	s_waitcnt vmcnt(1)
	v_add_nc_u32_e32 v18, s14, v216
	v_dual_mov_b32 v42, v102 :: v_dual_mov_b32 v41, v107
	v_dual_mov_b32 v39, v191 :: v_dual_mov_b32 v36, v61
	v_mov_b32_e32 v38, v111
	s_waitcnt lgkmcnt(0)
	v_mad_i64_i32 v[4:5], null, v18, s3, 0
	s_lshl_b64 s[0:1], s[0:1], 3
	s_delay_alu instid0(SALU_CYCLE_1) | instskip(SKIP_1) | instid1(VALU_DEP_1)
	s_add_u32 s5, s6, s0
	s_addc_u32 s6, s7, s1
	v_lshlrev_b64 v[4:5], 3, v[4:5]
	s_waitcnt vmcnt(0)
	v_add_nc_u32_e32 v12, s18, v0
	v_mad_i64_i32 v[0:1], null, v18, s4, 0
	s_delay_alu instid0(VALU_DEP_2) | instskip(SKIP_1) | instid1(VALU_DEP_3)
	v_ashrrev_i32_e32 v13, 31, v12
	v_add_nc_u32_e32 v2, 8, v12
	v_lshlrev_b64 v[6:7], 3, v[0:1]
	s_delay_alu instid0(VALU_DEP_3) | instskip(NEXT) | instid1(VALU_DEP_3)
	v_lshlrev_b64 v[0:1], 3, v[12:13]
	v_ashrrev_i32_e32 v3, 31, v2
	s_delay_alu instid0(VALU_DEP_3) | instskip(NEXT) | instid1(VALU_DEP_4)
	v_add_co_u32 v19, vcc_lo, s5, v6
	v_add_co_ci_u32_e32 v20, vcc_lo, s6, v7, vcc_lo
	v_add_co_u32 v16, vcc_lo, s8, v4
	v_add_co_ci_u32_e32 v22, vcc_lo, s9, v5, vcc_lo
	v_max_f32_e32 v4, v141, v141
	s_mov_b32 vcc_lo, s2
	s_cbranch_vccz .LBB117_59
; %bb.58:
	s_delay_alu instid0(VALU_DEP_1) | instskip(SKIP_2) | instid1(VALU_DEP_3)
	v_min_f32_e32 v5, 0, v4
	v_add_co_u32 v7, vcc_lo, v19, v0
	v_add_co_ci_u32_e32 v8, vcc_lo, v20, v1, vcc_lo
	v_cvt_f64_f32_e32 v[5:6], v5
	s_mov_b32 s7, 0
	s_mov_b64 s[0:1], 0
	global_store_b64 v[7:8], v[5:6], off
	s_branch .LBB117_60
.LBB117_59:
	s_mov_b32 s7, -1
                                        ; implicit-def: $sgpr0_sgpr1
.LBB117_60:
	v_lshlrev_b64 v[2:3], 3, v[2:3]
	v_mov_b32_e32 v32, v49
	v_mov_b32_e32 v33, v29
	s_and_not1_b32 vcc_lo, exec_lo, s7
	s_cbranch_vccnz .LBB117_62
; %bb.61:
	v_add_co_u32 v5, vcc_lo, v16, v0
	v_add_co_ci_u32_e32 v6, vcc_lo, v22, v1, vcc_lo
	flat_load_b64 v[5:6], v[5:6]
	s_waitcnt vmcnt(0) lgkmcnt(0)
	v_mul_f64 v[5:6], s[10:11], v[5:6]
	s_delay_alu instid0(VALU_DEP_1)
	v_cvt_f32_f64_e32 v5, v[5:6]
	v_add_co_u32 v6, vcc_lo, v19, v0
	v_add_co_ci_u32_e32 v7, vcc_lo, v20, v1, vcc_lo
	v_add_co_u32 v8, vcc_lo, v16, v2
	v_add_co_ci_u32_e32 v9, vcc_lo, v22, v3, vcc_lo
	v_min_f32_e32 v4, v5, v4
	s_delay_alu instid0(VALU_DEP_1)
	v_cvt_f64_f32_e32 v[4:5], v4
	global_store_b64 v[6:7], v[4:5], off
	flat_load_b64 v[4:5], v[8:9]
	s_waitcnt vmcnt(0) lgkmcnt(0)
	v_mul_f64 v[4:5], s[10:11], v[4:5]
	s_branch .LBB117_63
.LBB117_62:
	v_dual_mov_b32 v5, s1 :: v_dual_mov_b32 v4, s0
.LBB117_63:
	s_delay_alu instid0(VALU_DEP_1) | instskip(SKIP_4) | instid1(VALU_DEP_3)
	v_cvt_f32_f64_e32 v4, v[4:5]
	v_dual_max_f32 v5, v140, v140 :: v_dual_max_f32 v8, v139, v139
	v_add_nc_u32_e32 v6, 24, v12
	v_add_co_u32 v13, vcc_lo, v19, v2
	v_add_co_ci_u32_e32 v14, vcc_lo, v20, v3, vcc_lo
	v_ashrrev_i32_e32 v7, 31, v6
	s_mov_b32 vcc_lo, s2
	v_min_f32_e32 v4, v4, v5
	s_delay_alu instid0(VALU_DEP_1) | instskip(SKIP_1) | instid1(VALU_DEP_1)
	v_cvt_f64_f32_e32 v[9:10], v4
	v_add_nc_u32_e32 v4, 16, v12
	v_ashrrev_i32_e32 v5, 31, v4
	s_delay_alu instid0(VALU_DEP_1)
	v_lshlrev_b64 v[4:5], 3, v[4:5]
	global_store_b64 v[13:14], v[9:10], off
	s_cbranch_vccz .LBB117_66
; %bb.64:
	v_min_f32_e32 v9, 0, v8
	v_add_co_u32 v13, vcc_lo, v19, v4
	v_add_co_ci_u32_e32 v14, vcc_lo, v20, v5, vcc_lo
	s_delay_alu instid0(VALU_DEP_3)
	v_cvt_f64_f32_e32 v[9:10], v9
	s_mov_b64 s[0:1], 0
	global_store_b64 v[13:14], v[9:10], off
	v_lshlrev_b64 v[6:7], 3, v[6:7]
	s_cbranch_execz .LBB117_67
; %bb.65:
	v_dual_mov_b32 v9, s1 :: v_dual_mov_b32 v8, s0
	s_branch .LBB117_68
.LBB117_66:
                                        ; implicit-def: $sgpr0_sgpr1
	v_lshlrev_b64 v[6:7], 3, v[6:7]
.LBB117_67:
	v_add_co_u32 v9, vcc_lo, v16, v4
	v_add_co_ci_u32_e32 v10, vcc_lo, v22, v5, vcc_lo
	flat_load_b64 v[9:10], v[9:10]
	s_waitcnt vmcnt(0) lgkmcnt(0)
	v_mul_f64 v[9:10], s[10:11], v[9:10]
	s_delay_alu instid0(VALU_DEP_1)
	v_cvt_f32_f64_e32 v9, v[9:10]
	v_add_co_u32 v10, vcc_lo, v19, v4
	v_add_co_ci_u32_e32 v11, vcc_lo, v20, v5, vcc_lo
	v_add_co_u32 v13, vcc_lo, v16, v6
	v_add_co_ci_u32_e32 v14, vcc_lo, v22, v7, vcc_lo
	v_min_f32_e32 v8, v9, v8
	s_delay_alu instid0(VALU_DEP_1)
	v_cvt_f64_f32_e32 v[8:9], v8
	global_store_b64 v[10:11], v[8:9], off
	flat_load_b64 v[8:9], v[13:14]
	s_waitcnt vmcnt(0) lgkmcnt(0)
	v_mul_f64 v[8:9], s[10:11], v[8:9]
.LBB117_68:
	s_delay_alu instid0(VALU_DEP_1) | instskip(SKIP_4) | instid1(VALU_DEP_4)
	v_cvt_f32_f64_e32 v8, v[8:9]
	v_dual_max_f32 v9, v138, v138 :: v_dual_add_nc_u32 v10, 40, v12
	v_max_f32_e32 v13, v137, v137
	v_add_co_u32 v23, vcc_lo, v19, v6
	v_add_co_ci_u32_e32 v24, vcc_lo, v20, v7, vcc_lo
	v_ashrrev_i32_e32 v11, 31, v10
	s_mov_b32 vcc_lo, s2
	v_min_f32_e32 v8, v8, v9
	s_delay_alu instid0(VALU_DEP_1) | instskip(SKIP_1) | instid1(VALU_DEP_1)
	v_cvt_f64_f32_e32 v[14:15], v8
	v_add_nc_u32_e32 v8, 32, v12
	v_ashrrev_i32_e32 v9, 31, v8
	s_delay_alu instid0(VALU_DEP_1)
	v_lshlrev_b64 v[8:9], 3, v[8:9]
	global_store_b64 v[23:24], v[14:15], off
	s_cbranch_vccz .LBB117_71
; %bb.69:
	v_min_f32_e32 v14, 0, v13
	v_add_co_u32 v23, vcc_lo, v19, v8
	v_add_co_ci_u32_e32 v24, vcc_lo, v20, v9, vcc_lo
	s_delay_alu instid0(VALU_DEP_3)
	v_cvt_f64_f32_e32 v[14:15], v14
	s_mov_b64 s[0:1], 0
	global_store_b64 v[23:24], v[14:15], off
	v_lshlrev_b64 v[10:11], 3, v[10:11]
	s_cbranch_execz .LBB117_72
; %bb.70:
	v_dual_mov_b32 v14, s1 :: v_dual_mov_b32 v13, s0
	s_branch .LBB117_73
.LBB117_71:
                                        ; implicit-def: $sgpr0_sgpr1
	v_lshlrev_b64 v[10:11], 3, v[10:11]
.LBB117_72:
	v_add_co_u32 v14, vcc_lo, v16, v8
	v_add_co_ci_u32_e32 v15, vcc_lo, v22, v9, vcc_lo
	v_add_co_u32 v23, vcc_lo, v19, v8
	v_add_co_ci_u32_e32 v24, vcc_lo, v20, v9, vcc_lo
	flat_load_b64 v[14:15], v[14:15]
	v_add_co_u32 v25, vcc_lo, v16, v10
	v_add_co_ci_u32_e32 v26, vcc_lo, v22, v11, vcc_lo
	s_waitcnt vmcnt(0) lgkmcnt(0)
	v_mul_f64 v[14:15], s[10:11], v[14:15]
	s_delay_alu instid0(VALU_DEP_1) | instskip(NEXT) | instid1(VALU_DEP_1)
	v_cvt_f32_f64_e32 v14, v[14:15]
	v_min_f32_e32 v13, v14, v13
	s_delay_alu instid0(VALU_DEP_1)
	v_cvt_f64_f32_e32 v[13:14], v13
	global_store_b64 v[23:24], v[13:14], off
	flat_load_b64 v[13:14], v[25:26]
	s_waitcnt vmcnt(0) lgkmcnt(0)
	v_mul_f64 v[13:14], s[10:11], v[13:14]
.LBB117_73:
	s_delay_alu instid0(VALU_DEP_1) | instskip(SKIP_4) | instid1(VALU_DEP_3)
	v_cvt_f32_f64_e32 v13, v[13:14]
	v_dual_max_f32 v14, v136, v136 :: v_dual_max_f32 v21, v135, v135
	v_add_nc_u32_e32 v25, 48, v12
	v_add_co_u32 v27, vcc_lo, v19, v10
	v_add_co_ci_u32_e32 v28, vcc_lo, v20, v11, vcc_lo
	v_ashrrev_i32_e32 v26, 31, v25
	s_mov_b32 vcc_lo, s2
	v_dual_min_f32 v13, v13, v14 :: v_dual_add_nc_u32 v14, 56, v12
	s_delay_alu instid0(VALU_DEP_1) | instskip(NEXT) | instid1(VALU_DEP_3)
	v_cvt_f64_f32_e32 v[23:24], v13
	v_lshlrev_b64 v[12:13], 3, v[25:26]
	s_delay_alu instid0(VALU_DEP_3)
	v_ashrrev_i32_e32 v15, 31, v14
	global_store_b64 v[27:28], v[23:24], off
	s_cbranch_vccz .LBB117_76
; %bb.74:
	v_min_f32_e32 v23, 0, v21
	v_add_co_u32 v25, vcc_lo, v19, v12
	v_add_co_ci_u32_e32 v26, vcc_lo, v20, v13, vcc_lo
	s_delay_alu instid0(VALU_DEP_3)
	v_cvt_f64_f32_e32 v[23:24], v23
	s_mov_b64 s[0:1], 0
	global_store_b64 v[25:26], v[23:24], off
	v_lshlrev_b64 v[14:15], 3, v[14:15]
	s_cbranch_execz .LBB117_77
; %bb.75:
	v_dual_mov_b32 v22, s1 :: v_dual_mov_b32 v21, s0
	s_branch .LBB117_78
.LBB117_76:
                                        ; implicit-def: $sgpr0_sgpr1
	v_lshlrev_b64 v[14:15], 3, v[14:15]
.LBB117_77:
	v_add_co_u32 v23, vcc_lo, v16, v12
	v_add_co_ci_u32_e32 v24, vcc_lo, v22, v13, vcc_lo
	v_add_co_u32 v25, vcc_lo, v19, v12
	v_add_co_ci_u32_e32 v26, vcc_lo, v20, v13, vcc_lo
	flat_load_b64 v[23:24], v[23:24]
	s_waitcnt vmcnt(0) lgkmcnt(0)
	v_mul_f64 v[23:24], s[10:11], v[23:24]
	s_delay_alu instid0(VALU_DEP_1) | instskip(NEXT) | instid1(VALU_DEP_1)
	v_cvt_f32_f64_e32 v23, v[23:24]
	v_min_f32_e32 v21, v23, v21
	s_delay_alu instid0(VALU_DEP_1)
	v_cvt_f64_f32_e32 v[23:24], v21
	v_add_co_u32 v21, vcc_lo, v16, v14
	v_add_co_ci_u32_e32 v22, vcc_lo, v22, v15, vcc_lo
	global_store_b64 v[25:26], v[23:24], off
	flat_load_b64 v[21:22], v[21:22]
	s_waitcnt vmcnt(0) lgkmcnt(0)
	v_mul_f64 v[21:22], s[10:11], v[21:22]
.LBB117_78:
	s_delay_alu instid0(VALU_DEP_1) | instskip(SKIP_3) | instid1(VALU_DEP_3)
	v_cvt_f32_f64_e32 v16, v[21:22]
	v_max_f32_e32 v21, v133, v133
	v_add_co_u32 v28, vcc_lo, v19, v14
	v_add_co_ci_u32_e32 v29, vcc_lo, v20, v15, vcc_lo
	v_min_f32_e32 v16, v16, v21
	s_delay_alu instid0(VALU_DEP_1) | instskip(SKIP_1) | instid1(VALU_DEP_1)
	v_cvt_f64_f32_e32 v[24:25], v16
	v_add_nc_u32_e32 v16, 32, v18
	v_mad_i64_i32 v[21:22], null, v16, s4, 0
	v_mad_i64_i32 v[26:27], null, v16, s3, 0
	v_max_f32_e32 v16, v197, v197
	s_delay_alu instid0(VALU_DEP_3) | instskip(NEXT) | instid1(VALU_DEP_3)
	v_lshlrev_b64 v[21:22], 3, v[21:22]
	v_lshlrev_b64 v[26:27], 3, v[26:27]
	s_delay_alu instid0(VALU_DEP_2) | instskip(NEXT) | instid1(VALU_DEP_3)
	v_add_co_u32 v19, vcc_lo, s5, v21
	v_add_co_ci_u32_e32 v20, vcc_lo, s6, v22, vcc_lo
	s_delay_alu instid0(VALU_DEP_3) | instskip(NEXT) | instid1(VALU_DEP_4)
	v_add_co_u32 v21, vcc_lo, s8, v26
	v_add_co_ci_u32_e32 v23, vcc_lo, s9, v27, vcc_lo
	s_mov_b32 vcc_lo, s2
	global_store_b64 v[28:29], v[24:25], off
	s_cbranch_vccz .LBB117_81
; %bb.79:
	v_min_f32_e32 v22, 0, v16
	v_add_co_u32 v26, vcc_lo, v19, v0
	v_add_co_ci_u32_e32 v27, vcc_lo, v20, v1, vcc_lo
	s_delay_alu instid0(VALU_DEP_3)
	v_cvt_f64_f32_e32 v[24:25], v22
	s_mov_b64 s[0:1], 0
	global_store_b64 v[26:27], v[24:25], off
	s_cbranch_execz .LBB117_82
; %bb.80:
	v_dual_mov_b32 v25, s1 :: v_dual_mov_b32 v24, s0
	s_branch .LBB117_83
.LBB117_81:
                                        ; implicit-def: $sgpr0_sgpr1
.LBB117_82:
	v_add_co_u32 v24, vcc_lo, v21, v0
	v_add_co_ci_u32_e32 v25, vcc_lo, v23, v1, vcc_lo
	v_add_co_u32 v26, vcc_lo, v19, v0
	v_add_co_ci_u32_e32 v27, vcc_lo, v20, v1, vcc_lo
	flat_load_b64 v[24:25], v[24:25]
	v_add_co_u32 v28, vcc_lo, v21, v2
	v_add_co_ci_u32_e32 v29, vcc_lo, v23, v3, vcc_lo
	s_waitcnt vmcnt(0) lgkmcnt(0)
	v_mul_f64 v[24:25], s[10:11], v[24:25]
	s_delay_alu instid0(VALU_DEP_1) | instskip(NEXT) | instid1(VALU_DEP_1)
	v_cvt_f32_f64_e32 v22, v[24:25]
	v_min_f32_e32 v16, v22, v16
	s_delay_alu instid0(VALU_DEP_1)
	v_cvt_f64_f32_e32 v[24:25], v16
	global_store_b64 v[26:27], v[24:25], off
	flat_load_b64 v[24:25], v[28:29]
	s_waitcnt vmcnt(0) lgkmcnt(0)
	v_mul_f64 v[24:25], s[10:11], v[24:25]
.LBB117_83:
	s_delay_alu instid0(VALU_DEP_1) | instskip(SKIP_4) | instid1(VALU_DEP_3)
	v_cvt_f32_f64_e32 v16, v[24:25]
	v_max_f32_e32 v22, v189, v189
	v_add_co_u32 v26, vcc_lo, v19, v2
	v_add_co_ci_u32_e32 v27, vcc_lo, v20, v3, vcc_lo
	s_mov_b32 vcc_lo, s2
	v_min_f32_e32 v16, v16, v22
	s_delay_alu instid0(VALU_DEP_1)
	v_cvt_f64_f32_e32 v[24:25], v16
	v_max_f32_e32 v16, v193, v193
	global_store_b64 v[26:27], v[24:25], off
	s_cbranch_vccz .LBB117_86
; %bb.84:
	v_min_f32_e32 v22, 0, v16
	v_add_co_u32 v26, vcc_lo, v19, v4
	v_add_co_ci_u32_e32 v27, vcc_lo, v20, v5, vcc_lo
	s_delay_alu instid0(VALU_DEP_3)
	v_cvt_f64_f32_e32 v[24:25], v22
	s_mov_b64 s[0:1], 0
	global_store_b64 v[26:27], v[24:25], off
	s_cbranch_execz .LBB117_87
; %bb.85:
	v_dual_mov_b32 v25, s1 :: v_dual_mov_b32 v24, s0
	s_branch .LBB117_88
.LBB117_86:
                                        ; implicit-def: $sgpr0_sgpr1
.LBB117_87:
	v_add_co_u32 v24, vcc_lo, v21, v4
	v_add_co_ci_u32_e32 v25, vcc_lo, v23, v5, vcc_lo
	v_add_co_u32 v26, vcc_lo, v19, v4
	v_add_co_ci_u32_e32 v27, vcc_lo, v20, v5, vcc_lo
	flat_load_b64 v[24:25], v[24:25]
	v_add_co_u32 v28, vcc_lo, v21, v6
	v_add_co_ci_u32_e32 v29, vcc_lo, v23, v7, vcc_lo
	s_waitcnt vmcnt(0) lgkmcnt(0)
	v_mul_f64 v[24:25], s[10:11], v[24:25]
	s_delay_alu instid0(VALU_DEP_1) | instskip(NEXT) | instid1(VALU_DEP_1)
	v_cvt_f32_f64_e32 v22, v[24:25]
	v_min_f32_e32 v16, v22, v16
	s_delay_alu instid0(VALU_DEP_1)
	v_cvt_f64_f32_e32 v[24:25], v16
	global_store_b64 v[26:27], v[24:25], off
	flat_load_b64 v[24:25], v[28:29]
	s_waitcnt vmcnt(0) lgkmcnt(0)
	v_mul_f64 v[24:25], s[10:11], v[24:25]
.LBB117_88:
	s_delay_alu instid0(VALU_DEP_1) | instskip(SKIP_4) | instid1(VALU_DEP_3)
	v_cvt_f32_f64_e32 v16, v[24:25]
	v_max_f32_e32 v22, v121, v121
	v_add_co_u32 v26, vcc_lo, v19, v6
	v_add_co_ci_u32_e32 v27, vcc_lo, v20, v7, vcc_lo
	s_mov_b32 vcc_lo, s2
	v_min_f32_e32 v16, v16, v22
	s_delay_alu instid0(VALU_DEP_1)
	v_cvt_f64_f32_e32 v[24:25], v16
	v_max_f32_e32 v16, v17, v17
	global_store_b64 v[26:27], v[24:25], off
	s_cbranch_vccz .LBB117_91
; %bb.89:
	v_min_f32_e32 v17, 0, v16
	v_add_co_u32 v26, vcc_lo, v19, v8
	v_add_co_ci_u32_e32 v27, vcc_lo, v20, v9, vcc_lo
	s_delay_alu instid0(VALU_DEP_3)
	v_cvt_f64_f32_e32 v[24:25], v17
	s_mov_b64 s[0:1], 0
	global_store_b64 v[26:27], v[24:25], off
	s_cbranch_execz .LBB117_92
; %bb.90:
	v_dual_mov_b32 v17, s1 :: v_dual_mov_b32 v16, s0
	s_branch .LBB117_93
.LBB117_91:
                                        ; implicit-def: $sgpr0_sgpr1
.LBB117_92:
	v_add_co_u32 v24, vcc_lo, v21, v8
	v_add_co_ci_u32_e32 v25, vcc_lo, v23, v9, vcc_lo
	flat_load_b64 v[24:25], v[24:25]
	s_waitcnt vmcnt(0) lgkmcnt(0)
	v_mul_f64 v[24:25], s[10:11], v[24:25]
	s_delay_alu instid0(VALU_DEP_1)
	v_cvt_f32_f64_e32 v17, v[24:25]
	v_add_co_u32 v24, vcc_lo, v19, v8
	v_add_co_ci_u32_e32 v25, vcc_lo, v20, v9, vcc_lo
	v_add_co_u32 v26, vcc_lo, v21, v10
	v_add_co_ci_u32_e32 v27, vcc_lo, v23, v11, vcc_lo
	v_min_f32_e32 v16, v17, v16
	s_delay_alu instid0(VALU_DEP_1)
	v_cvt_f64_f32_e32 v[16:17], v16
	global_store_b64 v[24:25], v[16:17], off
	flat_load_b64 v[16:17], v[26:27]
	s_waitcnt vmcnt(0) lgkmcnt(0)
	v_mul_f64 v[16:17], s[10:11], v[16:17]
.LBB117_93:
	s_delay_alu instid0(VALU_DEP_1) | instskip(SKIP_4) | instid1(VALU_DEP_3)
	v_cvt_f32_f64_e32 v16, v[16:17]
	v_max_f32_e32 v17, v218, v218
	v_add_co_u32 v26, vcc_lo, v19, v10
	v_add_co_ci_u32_e32 v27, vcc_lo, v20, v11, vcc_lo
	s_mov_b32 vcc_lo, s2
	v_min_f32_e32 v16, v16, v17
	s_delay_alu instid0(VALU_DEP_1)
	v_cvt_f64_f32_e32 v[24:25], v16
	v_max_f32_e32 v16, v239, v239
	global_store_b64 v[26:27], v[24:25], off
	s_cbranch_vccz .LBB117_96
; %bb.94:
	v_min_f32_e32 v17, 0, v16
	v_add_co_u32 v26, vcc_lo, v19, v12
	v_add_co_ci_u32_e32 v27, vcc_lo, v20, v13, vcc_lo
	s_delay_alu instid0(VALU_DEP_3)
	v_cvt_f64_f32_e32 v[24:25], v17
	s_mov_b64 s[0:1], 0
	global_store_b64 v[26:27], v[24:25], off
	s_cbranch_execz .LBB117_97
; %bb.95:
	v_dual_mov_b32 v17, s1 :: v_dual_mov_b32 v16, s0
	s_branch .LBB117_98
.LBB117_96:
                                        ; implicit-def: $sgpr0_sgpr1
.LBB117_97:
	v_add_co_u32 v24, vcc_lo, v21, v12
	v_add_co_ci_u32_e32 v25, vcc_lo, v23, v13, vcc_lo
	flat_load_b64 v[24:25], v[24:25]
	s_waitcnt vmcnt(0) lgkmcnt(0)
	v_mul_f64 v[24:25], s[10:11], v[24:25]
	s_delay_alu instid0(VALU_DEP_1)
	v_cvt_f32_f64_e32 v17, v[24:25]
	v_add_co_u32 v24, vcc_lo, v19, v12
	v_add_co_ci_u32_e32 v25, vcc_lo, v20, v13, vcc_lo
	v_add_co_u32 v21, vcc_lo, v21, v14
	v_add_co_ci_u32_e32 v22, vcc_lo, v23, v15, vcc_lo
	v_min_f32_e32 v16, v17, v16
	s_delay_alu instid0(VALU_DEP_1)
	v_cvt_f64_f32_e32 v[16:17], v16
	global_store_b64 v[24:25], v[16:17], off
	flat_load_b64 v[16:17], v[21:22]
	s_waitcnt vmcnt(0) lgkmcnt(0)
	v_mul_f64 v[16:17], s[10:11], v[16:17]
.LBB117_98:
	s_delay_alu instid0(VALU_DEP_1) | instskip(SKIP_4) | instid1(VALU_DEP_1)
	v_cvt_f32_f64_e32 v16, v[16:17]
	v_max_f32_e32 v17, v134, v134
	v_add_co_u32 v28, vcc_lo, v19, v14
	v_add_co_ci_u32_e32 v29, vcc_lo, v20, v15, vcc_lo
	v_add_nc_u32_e32 v23, 64, v18
	v_mad_i64_i32 v[21:22], null, v23, s3, 0
	s_delay_alu instid0(VALU_DEP_1) | instskip(SKIP_1) | instid1(VALU_DEP_1)
	v_lshlrev_b64 v[21:22], 3, v[21:22]
	v_min_f32_e32 v16, v16, v17
	v_cvt_f64_f32_e32 v[24:25], v16
	v_mad_i64_i32 v[16:17], null, v23, s4, 0
	s_delay_alu instid0(VALU_DEP_1) | instskip(SKIP_1) | instid1(VALU_DEP_2)
	v_lshlrev_b64 v[26:27], 3, v[16:17]
	v_max_f32_e32 v16, v99, v99
	v_add_co_u32 v19, vcc_lo, s5, v26
	s_delay_alu instid0(VALU_DEP_3)
	v_add_co_ci_u32_e32 v20, vcc_lo, s6, v27, vcc_lo
	v_add_co_u32 v21, vcc_lo, s8, v21
	v_add_co_ci_u32_e32 v23, vcc_lo, s9, v22, vcc_lo
	s_mov_b32 vcc_lo, s2
	global_store_b64 v[28:29], v[24:25], off
	s_cbranch_vccz .LBB117_101
; %bb.99:
	v_min_f32_e32 v17, 0, v16
	v_add_co_u32 v26, vcc_lo, v19, v0
	v_add_co_ci_u32_e32 v27, vcc_lo, v20, v1, vcc_lo
	s_delay_alu instid0(VALU_DEP_3)
	v_cvt_f64_f32_e32 v[24:25], v17
	s_mov_b64 s[0:1], 0
	global_store_b64 v[26:27], v[24:25], off
	s_cbranch_execz .LBB117_102
; %bb.100:
	v_dual_mov_b32 v17, s1 :: v_dual_mov_b32 v16, s0
	s_branch .LBB117_103
.LBB117_101:
                                        ; implicit-def: $sgpr0_sgpr1
.LBB117_102:
	v_add_co_u32 v24, vcc_lo, v21, v0
	v_add_co_ci_u32_e32 v25, vcc_lo, v23, v1, vcc_lo
	flat_load_b64 v[24:25], v[24:25]
	s_waitcnt vmcnt(0) lgkmcnt(0)
	v_mul_f64 v[24:25], s[10:11], v[24:25]
	s_delay_alu instid0(VALU_DEP_1)
	v_cvt_f32_f64_e32 v17, v[24:25]
	v_add_co_u32 v24, vcc_lo, v19, v0
	v_add_co_ci_u32_e32 v25, vcc_lo, v20, v1, vcc_lo
	v_add_co_u32 v26, vcc_lo, v21, v2
	v_add_co_ci_u32_e32 v27, vcc_lo, v23, v3, vcc_lo
	v_min_f32_e32 v16, v17, v16
	s_delay_alu instid0(VALU_DEP_1)
	v_cvt_f64_f32_e32 v[16:17], v16
	global_store_b64 v[24:25], v[16:17], off
	flat_load_b64 v[16:17], v[26:27]
	s_waitcnt vmcnt(0) lgkmcnt(0)
	v_mul_f64 v[16:17], s[10:11], v[16:17]
.LBB117_103:
	s_delay_alu instid0(VALU_DEP_1) | instskip(SKIP_4) | instid1(VALU_DEP_3)
	v_cvt_f32_f64_e32 v16, v[16:17]
	v_max_f32_e32 v17, v98, v98
	v_add_co_u32 v26, vcc_lo, v19, v2
	v_add_co_ci_u32_e32 v27, vcc_lo, v20, v3, vcc_lo
	s_mov_b32 vcc_lo, s2
	v_min_f32_e32 v16, v16, v17
	s_delay_alu instid0(VALU_DEP_1)
	v_cvt_f64_f32_e32 v[24:25], v16
	v_max_f32_e32 v16, v113, v113
	global_store_b64 v[26:27], v[24:25], off
	s_cbranch_vccz .LBB117_106
; %bb.104:
	v_min_f32_e32 v17, 0, v16
	v_add_co_u32 v26, vcc_lo, v19, v4
	v_add_co_ci_u32_e32 v27, vcc_lo, v20, v5, vcc_lo
	s_delay_alu instid0(VALU_DEP_3)
	v_cvt_f64_f32_e32 v[24:25], v17
	s_mov_b64 s[0:1], 0
	global_store_b64 v[26:27], v[24:25], off
	s_cbranch_execz .LBB117_107
; %bb.105:
	v_dual_mov_b32 v17, s1 :: v_dual_mov_b32 v16, s0
	s_branch .LBB117_108
.LBB117_106:
                                        ; implicit-def: $sgpr0_sgpr1
.LBB117_107:
	v_add_co_u32 v24, vcc_lo, v21, v4
	v_add_co_ci_u32_e32 v25, vcc_lo, v23, v5, vcc_lo
	flat_load_b64 v[24:25], v[24:25]
	s_waitcnt vmcnt(0) lgkmcnt(0)
	v_mul_f64 v[24:25], s[10:11], v[24:25]
	s_delay_alu instid0(VALU_DEP_1)
	v_cvt_f32_f64_e32 v17, v[24:25]
	v_add_co_u32 v24, vcc_lo, v19, v4
	v_add_co_ci_u32_e32 v25, vcc_lo, v20, v5, vcc_lo
	v_add_co_u32 v26, vcc_lo, v21, v6
	v_add_co_ci_u32_e32 v27, vcc_lo, v23, v7, vcc_lo
	v_min_f32_e32 v16, v17, v16
	s_delay_alu instid0(VALU_DEP_1)
	v_cvt_f64_f32_e32 v[16:17], v16
	global_store_b64 v[24:25], v[16:17], off
	flat_load_b64 v[16:17], v[26:27]
	s_waitcnt vmcnt(0) lgkmcnt(0)
	v_mul_f64 v[16:17], s[10:11], v[16:17]
.LBB117_108:
	s_delay_alu instid0(VALU_DEP_1) | instskip(SKIP_4) | instid1(VALU_DEP_3)
	v_cvt_f32_f64_e32 v16, v[16:17]
	v_max_f32_e32 v17, v112, v112
	v_add_co_u32 v26, vcc_lo, v19, v6
	v_add_co_ci_u32_e32 v27, vcc_lo, v20, v7, vcc_lo
	s_mov_b32 vcc_lo, s2
	v_min_f32_e32 v16, v16, v17
	s_delay_alu instid0(VALU_DEP_1)
	v_cvt_f64_f32_e32 v[24:25], v16
	v_max_f32_e32 v16, v42, v42
	;; [unrolled: 46-line block ×3, first 2 shown]
	global_store_b64 v[26:27], v[24:25], off
	s_cbranch_vccz .LBB117_116
; %bb.114:
	v_min_f32_e32 v17, 0, v16
	v_add_co_u32 v26, vcc_lo, v19, v12
	v_add_co_ci_u32_e32 v27, vcc_lo, v20, v13, vcc_lo
	s_delay_alu instid0(VALU_DEP_3)
	v_cvt_f64_f32_e32 v[24:25], v17
	s_mov_b64 s[0:1], 0
	global_store_b64 v[26:27], v[24:25], off
	s_cbranch_execz .LBB117_117
; %bb.115:
	v_dual_mov_b32 v17, s1 :: v_dual_mov_b32 v16, s0
	s_branch .LBB117_118
.LBB117_116:
                                        ; implicit-def: $sgpr0_sgpr1
.LBB117_117:
	v_add_co_u32 v24, vcc_lo, v21, v12
	v_add_co_ci_u32_e32 v25, vcc_lo, v23, v13, vcc_lo
	flat_load_b64 v[24:25], v[24:25]
	s_waitcnt vmcnt(0) lgkmcnt(0)
	v_mul_f64 v[24:25], s[10:11], v[24:25]
	s_delay_alu instid0(VALU_DEP_1)
	v_cvt_f32_f64_e32 v17, v[24:25]
	v_add_co_u32 v24, vcc_lo, v19, v12
	v_add_co_ci_u32_e32 v25, vcc_lo, v20, v13, vcc_lo
	v_add_co_u32 v21, vcc_lo, v21, v14
	v_add_co_ci_u32_e32 v22, vcc_lo, v23, v15, vcc_lo
	v_min_f32_e32 v16, v17, v16
	s_delay_alu instid0(VALU_DEP_1)
	v_cvt_f64_f32_e32 v[16:17], v16
	global_store_b64 v[24:25], v[16:17], off
	flat_load_b64 v[16:17], v[21:22]
	s_waitcnt vmcnt(0) lgkmcnt(0)
	v_mul_f64 v[16:17], s[10:11], v[16:17]
.LBB117_118:
	s_delay_alu instid0(VALU_DEP_1) | instskip(SKIP_4) | instid1(VALU_DEP_1)
	v_cvt_f32_f64_e32 v16, v[16:17]
	v_max_f32_e32 v17, v106, v106
	v_add_co_u32 v28, vcc_lo, v19, v14
	v_add_co_ci_u32_e32 v29, vcc_lo, v20, v15, vcc_lo
	v_add_nc_u32_e32 v23, 0x60, v18
	v_mad_i64_i32 v[21:22], null, v23, s3, 0
	s_delay_alu instid0(VALU_DEP_1) | instskip(SKIP_1) | instid1(VALU_DEP_1)
	v_lshlrev_b64 v[21:22], 3, v[21:22]
	v_min_f32_e32 v16, v16, v17
	v_cvt_f64_f32_e32 v[24:25], v16
	v_mad_i64_i32 v[16:17], null, v23, s4, 0
	s_delay_alu instid0(VALU_DEP_1) | instskip(SKIP_1) | instid1(VALU_DEP_2)
	v_lshlrev_b64 v[26:27], 3, v[16:17]
	v_max_f32_e32 v16, v195, v195
	v_add_co_u32 v19, vcc_lo, s5, v26
	s_delay_alu instid0(VALU_DEP_3)
	v_add_co_ci_u32_e32 v20, vcc_lo, s6, v27, vcc_lo
	v_add_co_u32 v21, vcc_lo, s8, v21
	v_add_co_ci_u32_e32 v23, vcc_lo, s9, v22, vcc_lo
	s_mov_b32 vcc_lo, s2
	global_store_b64 v[28:29], v[24:25], off
	s_cbranch_vccz .LBB117_121
; %bb.119:
	v_min_f32_e32 v17, 0, v16
	v_add_co_u32 v26, vcc_lo, v19, v0
	v_add_co_ci_u32_e32 v27, vcc_lo, v20, v1, vcc_lo
	s_delay_alu instid0(VALU_DEP_3)
	v_cvt_f64_f32_e32 v[24:25], v17
	s_mov_b64 s[0:1], 0
	global_store_b64 v[26:27], v[24:25], off
	s_cbranch_execz .LBB117_122
; %bb.120:
	v_dual_mov_b32 v17, s1 :: v_dual_mov_b32 v16, s0
	s_branch .LBB117_123
.LBB117_121:
                                        ; implicit-def: $sgpr0_sgpr1
.LBB117_122:
	v_add_co_u32 v24, vcc_lo, v21, v0
	v_add_co_ci_u32_e32 v25, vcc_lo, v23, v1, vcc_lo
	flat_load_b64 v[24:25], v[24:25]
	s_waitcnt vmcnt(0) lgkmcnt(0)
	v_mul_f64 v[24:25], s[10:11], v[24:25]
	s_delay_alu instid0(VALU_DEP_1)
	v_cvt_f32_f64_e32 v17, v[24:25]
	v_add_co_u32 v24, vcc_lo, v19, v0
	v_add_co_ci_u32_e32 v25, vcc_lo, v20, v1, vcc_lo
	v_add_co_u32 v26, vcc_lo, v21, v2
	v_add_co_ci_u32_e32 v27, vcc_lo, v23, v3, vcc_lo
	v_min_f32_e32 v16, v17, v16
	s_delay_alu instid0(VALU_DEP_1)
	v_cvt_f64_f32_e32 v[16:17], v16
	global_store_b64 v[24:25], v[16:17], off
	flat_load_b64 v[16:17], v[26:27]
	s_waitcnt vmcnt(0) lgkmcnt(0)
	v_mul_f64 v[16:17], s[10:11], v[16:17]
.LBB117_123:
	s_delay_alu instid0(VALU_DEP_1) | instskip(SKIP_4) | instid1(VALU_DEP_3)
	v_cvt_f32_f64_e32 v16, v[16:17]
	v_max_f32_e32 v17, v39, v39
	v_add_co_u32 v26, vcc_lo, v19, v2
	v_add_co_ci_u32_e32 v27, vcc_lo, v20, v3, vcc_lo
	s_mov_b32 vcc_lo, s2
	v_min_f32_e32 v16, v16, v17
	s_delay_alu instid0(VALU_DEP_1)
	v_cvt_f64_f32_e32 v[24:25], v16
	v_max_f32_e32 v16, v57, v57
	global_store_b64 v[26:27], v[24:25], off
	s_cbranch_vccz .LBB117_126
; %bb.124:
	v_min_f32_e32 v17, 0, v16
	v_add_co_u32 v26, vcc_lo, v19, v4
	v_add_co_ci_u32_e32 v27, vcc_lo, v20, v5, vcc_lo
	s_delay_alu instid0(VALU_DEP_3)
	v_cvt_f64_f32_e32 v[24:25], v17
	s_mov_b64 s[0:1], 0
	global_store_b64 v[26:27], v[24:25], off
	s_cbranch_execz .LBB117_127
; %bb.125:
	v_dual_mov_b32 v17, s1 :: v_dual_mov_b32 v16, s0
	s_branch .LBB117_128
.LBB117_126:
                                        ; implicit-def: $sgpr0_sgpr1
.LBB117_127:
	v_add_co_u32 v24, vcc_lo, v21, v4
	v_add_co_ci_u32_e32 v25, vcc_lo, v23, v5, vcc_lo
	flat_load_b64 v[24:25], v[24:25]
	s_waitcnt vmcnt(0) lgkmcnt(0)
	v_mul_f64 v[24:25], s[10:11], v[24:25]
	s_delay_alu instid0(VALU_DEP_1)
	v_cvt_f32_f64_e32 v17, v[24:25]
	v_add_co_u32 v24, vcc_lo, v19, v4
	v_add_co_ci_u32_e32 v25, vcc_lo, v20, v5, vcc_lo
	v_add_co_u32 v26, vcc_lo, v21, v6
	v_add_co_ci_u32_e32 v27, vcc_lo, v23, v7, vcc_lo
	v_min_f32_e32 v16, v17, v16
	s_delay_alu instid0(VALU_DEP_1)
	v_cvt_f64_f32_e32 v[16:17], v16
	global_store_b64 v[24:25], v[16:17], off
	flat_load_b64 v[16:17], v[26:27]
	s_waitcnt vmcnt(0) lgkmcnt(0)
	v_mul_f64 v[16:17], s[10:11], v[16:17]
.LBB117_128:
	s_delay_alu instid0(VALU_DEP_1) | instskip(SKIP_4) | instid1(VALU_DEP_3)
	v_cvt_f32_f64_e32 v16, v[16:17]
	v_max_f32_e32 v17, v65, v65
	v_add_co_u32 v26, vcc_lo, v19, v6
	v_add_co_ci_u32_e32 v27, vcc_lo, v20, v7, vcc_lo
	s_mov_b32 vcc_lo, s2
	v_min_f32_e32 v16, v16, v17
	s_delay_alu instid0(VALU_DEP_1)
	v_cvt_f64_f32_e32 v[24:25], v16
	v_max_f32_e32 v16, v38, v38
	;; [unrolled: 46-line block ×3, first 2 shown]
	global_store_b64 v[26:27], v[24:25], off
	s_cbranch_vccz .LBB117_136
; %bb.134:
	v_min_f32_e32 v17, 0, v16
	v_add_co_u32 v26, vcc_lo, v19, v12
	v_add_co_ci_u32_e32 v27, vcc_lo, v20, v13, vcc_lo
	s_delay_alu instid0(VALU_DEP_3)
	v_cvt_f64_f32_e32 v[24:25], v17
	s_mov_b64 s[0:1], 0
	global_store_b64 v[26:27], v[24:25], off
	s_cbranch_execz .LBB117_137
; %bb.135:
	v_dual_mov_b32 v17, s1 :: v_dual_mov_b32 v16, s0
	s_branch .LBB117_138
.LBB117_136:
                                        ; implicit-def: $sgpr0_sgpr1
.LBB117_137:
	v_add_co_u32 v24, vcc_lo, v21, v12
	v_add_co_ci_u32_e32 v25, vcc_lo, v23, v13, vcc_lo
	flat_load_b64 v[24:25], v[24:25]
	s_waitcnt vmcnt(0) lgkmcnt(0)
	v_mul_f64 v[24:25], s[10:11], v[24:25]
	s_delay_alu instid0(VALU_DEP_1)
	v_cvt_f32_f64_e32 v17, v[24:25]
	v_add_co_u32 v24, vcc_lo, v19, v12
	v_add_co_ci_u32_e32 v25, vcc_lo, v20, v13, vcc_lo
	v_add_co_u32 v21, vcc_lo, v21, v14
	v_add_co_ci_u32_e32 v22, vcc_lo, v23, v15, vcc_lo
	v_min_f32_e32 v16, v17, v16
	s_delay_alu instid0(VALU_DEP_1)
	v_cvt_f64_f32_e32 v[16:17], v16
	global_store_b64 v[24:25], v[16:17], off
	flat_load_b64 v[16:17], v[21:22]
	s_waitcnt vmcnt(0) lgkmcnt(0)
	v_mul_f64 v[16:17], s[10:11], v[16:17]
.LBB117_138:
	s_delay_alu instid0(VALU_DEP_1) | instskip(SKIP_4) | instid1(VALU_DEP_1)
	v_cvt_f32_f64_e32 v16, v[16:17]
	v_max_f32_e32 v17, v60, v60
	v_add_co_u32 v28, vcc_lo, v19, v14
	v_add_co_ci_u32_e32 v29, vcc_lo, v20, v15, vcc_lo
	v_add_nc_u32_e32 v23, 0x80, v18
	v_mad_i64_i32 v[21:22], null, v23, s3, 0
	s_delay_alu instid0(VALU_DEP_1) | instskip(SKIP_1) | instid1(VALU_DEP_1)
	v_lshlrev_b64 v[21:22], 3, v[21:22]
	v_min_f32_e32 v16, v16, v17
	v_cvt_f64_f32_e32 v[24:25], v16
	v_mad_i64_i32 v[16:17], null, v23, s4, 0
	s_delay_alu instid0(VALU_DEP_1) | instskip(SKIP_1) | instid1(VALU_DEP_2)
	v_lshlrev_b64 v[26:27], 3, v[16:17]
	v_max_f32_e32 v16, v77, v77
	v_add_co_u32 v19, vcc_lo, s5, v26
	s_delay_alu instid0(VALU_DEP_3)
	v_add_co_ci_u32_e32 v20, vcc_lo, s6, v27, vcc_lo
	v_add_co_u32 v21, vcc_lo, s8, v21
	v_add_co_ci_u32_e32 v23, vcc_lo, s9, v22, vcc_lo
	s_mov_b32 vcc_lo, s2
	global_store_b64 v[28:29], v[24:25], off
	s_cbranch_vccz .LBB117_141
; %bb.139:
	v_min_f32_e32 v17, 0, v16
	v_add_co_u32 v26, vcc_lo, v19, v0
	v_add_co_ci_u32_e32 v27, vcc_lo, v20, v1, vcc_lo
	s_delay_alu instid0(VALU_DEP_3)
	v_cvt_f64_f32_e32 v[24:25], v17
	s_mov_b64 s[0:1], 0
	global_store_b64 v[26:27], v[24:25], off
	s_cbranch_execz .LBB117_142
; %bb.140:
	v_dual_mov_b32 v17, s1 :: v_dual_mov_b32 v16, s0
	s_branch .LBB117_143
.LBB117_141:
                                        ; implicit-def: $sgpr0_sgpr1
.LBB117_142:
	v_add_co_u32 v24, vcc_lo, v21, v0
	v_add_co_ci_u32_e32 v25, vcc_lo, v23, v1, vcc_lo
	flat_load_b64 v[24:25], v[24:25]
	s_waitcnt vmcnt(0) lgkmcnt(0)
	v_mul_f64 v[24:25], s[10:11], v[24:25]
	s_delay_alu instid0(VALU_DEP_1)
	v_cvt_f32_f64_e32 v17, v[24:25]
	v_add_co_u32 v24, vcc_lo, v19, v0
	v_add_co_ci_u32_e32 v25, vcc_lo, v20, v1, vcc_lo
	v_add_co_u32 v26, vcc_lo, v21, v2
	v_add_co_ci_u32_e32 v27, vcc_lo, v23, v3, vcc_lo
	v_min_f32_e32 v16, v17, v16
	s_delay_alu instid0(VALU_DEP_1)
	v_cvt_f64_f32_e32 v[16:17], v16
	global_store_b64 v[24:25], v[16:17], off
	flat_load_b64 v[16:17], v[26:27]
	s_waitcnt vmcnt(0) lgkmcnt(0)
	v_mul_f64 v[16:17], s[10:11], v[16:17]
.LBB117_143:
	s_delay_alu instid0(VALU_DEP_1) | instskip(SKIP_4) | instid1(VALU_DEP_3)
	v_cvt_f32_f64_e32 v16, v[16:17]
	v_max_f32_e32 v17, v76, v76
	v_add_co_u32 v26, vcc_lo, v19, v2
	v_add_co_ci_u32_e32 v27, vcc_lo, v20, v3, vcc_lo
	s_mov_b32 vcc_lo, s2
	v_min_f32_e32 v16, v16, v17
	s_delay_alu instid0(VALU_DEP_1)
	v_cvt_f64_f32_e32 v[24:25], v16
	v_max_f32_e32 v16, v33, v33
	global_store_b64 v[26:27], v[24:25], off
	s_cbranch_vccz .LBB117_146
; %bb.144:
	v_min_f32_e32 v17, 0, v16
	v_add_co_u32 v26, vcc_lo, v19, v4
	v_add_co_ci_u32_e32 v27, vcc_lo, v20, v5, vcc_lo
	s_delay_alu instid0(VALU_DEP_3)
	v_cvt_f64_f32_e32 v[24:25], v17
	s_mov_b64 s[0:1], 0
	global_store_b64 v[26:27], v[24:25], off
	s_cbranch_execz .LBB117_147
; %bb.145:
	v_dual_mov_b32 v17, s1 :: v_dual_mov_b32 v16, s0
	s_branch .LBB117_148
.LBB117_146:
                                        ; implicit-def: $sgpr0_sgpr1
.LBB117_147:
	v_add_co_u32 v24, vcc_lo, v21, v4
	v_add_co_ci_u32_e32 v25, vcc_lo, v23, v5, vcc_lo
	flat_load_b64 v[24:25], v[24:25]
	s_waitcnt vmcnt(0) lgkmcnt(0)
	v_mul_f64 v[24:25], s[10:11], v[24:25]
	s_delay_alu instid0(VALU_DEP_1)
	v_cvt_f32_f64_e32 v17, v[24:25]
	v_add_co_u32 v24, vcc_lo, v19, v4
	v_add_co_ci_u32_e32 v25, vcc_lo, v20, v5, vcc_lo
	v_add_co_u32 v26, vcc_lo, v21, v6
	v_add_co_ci_u32_e32 v27, vcc_lo, v23, v7, vcc_lo
	v_min_f32_e32 v16, v17, v16
	s_delay_alu instid0(VALU_DEP_1)
	v_cvt_f64_f32_e32 v[16:17], v16
	global_store_b64 v[24:25], v[16:17], off
	flat_load_b64 v[16:17], v[26:27]
	s_waitcnt vmcnt(0) lgkmcnt(0)
	v_mul_f64 v[16:17], s[10:11], v[16:17]
.LBB117_148:
	s_delay_alu instid0(VALU_DEP_1) | instskip(SKIP_4) | instid1(VALU_DEP_3)
	v_cvt_f32_f64_e32 v16, v[16:17]
	v_max_f32_e32 v17, v94, v94
	v_add_co_u32 v26, vcc_lo, v19, v6
	v_add_co_ci_u32_e32 v27, vcc_lo, v20, v7, vcc_lo
	s_mov_b32 vcc_lo, s2
	v_min_f32_e32 v16, v16, v17
	s_delay_alu instid0(VALU_DEP_1)
	v_cvt_f64_f32_e32 v[24:25], v16
	v_max_f32_e32 v16, v194, v194
	;; [unrolled: 46-line block ×3, first 2 shown]
	global_store_b64 v[26:27], v[24:25], off
	s_cbranch_vccz .LBB117_156
; %bb.154:
	v_min_f32_e32 v17, 0, v16
	v_add_co_u32 v26, vcc_lo, v19, v12
	v_add_co_ci_u32_e32 v27, vcc_lo, v20, v13, vcc_lo
	s_delay_alu instid0(VALU_DEP_3)
	v_cvt_f64_f32_e32 v[24:25], v17
	s_mov_b64 s[0:1], 0
	global_store_b64 v[26:27], v[24:25], off
	s_cbranch_execz .LBB117_157
; %bb.155:
	v_dual_mov_b32 v17, s1 :: v_dual_mov_b32 v16, s0
	s_branch .LBB117_158
.LBB117_156:
                                        ; implicit-def: $sgpr0_sgpr1
.LBB117_157:
	v_add_co_u32 v24, vcc_lo, v21, v12
	v_add_co_ci_u32_e32 v25, vcc_lo, v23, v13, vcc_lo
	flat_load_b64 v[24:25], v[24:25]
	s_waitcnt vmcnt(0) lgkmcnt(0)
	v_mul_f64 v[24:25], s[10:11], v[24:25]
	s_delay_alu instid0(VALU_DEP_1)
	v_cvt_f32_f64_e32 v17, v[24:25]
	v_add_co_u32 v24, vcc_lo, v19, v12
	v_add_co_ci_u32_e32 v25, vcc_lo, v20, v13, vcc_lo
	v_add_co_u32 v21, vcc_lo, v21, v14
	v_add_co_ci_u32_e32 v22, vcc_lo, v23, v15, vcc_lo
	v_min_f32_e32 v16, v17, v16
	s_delay_alu instid0(VALU_DEP_1)
	v_cvt_f64_f32_e32 v[16:17], v16
	global_store_b64 v[24:25], v[16:17], off
	flat_load_b64 v[16:17], v[21:22]
	s_waitcnt vmcnt(0) lgkmcnt(0)
	v_mul_f64 v[16:17], s[10:11], v[16:17]
.LBB117_158:
	s_delay_alu instid0(VALU_DEP_1) | instskip(SKIP_4) | instid1(VALU_DEP_1)
	v_cvt_f32_f64_e32 v16, v[16:17]
	v_max_f32_e32 v17, v190, v190
	v_add_co_u32 v28, vcc_lo, v19, v14
	v_add_co_ci_u32_e32 v29, vcc_lo, v20, v15, vcc_lo
	v_add_nc_u32_e32 v23, 0xa0, v18
	v_mad_i64_i32 v[21:22], null, v23, s3, 0
	s_delay_alu instid0(VALU_DEP_1) | instskip(SKIP_1) | instid1(VALU_DEP_1)
	v_lshlrev_b64 v[21:22], 3, v[21:22]
	v_min_f32_e32 v16, v16, v17
	v_cvt_f64_f32_e32 v[24:25], v16
	v_mad_i64_i32 v[16:17], null, v23, s4, 0
	s_delay_alu instid0(VALU_DEP_1) | instskip(SKIP_1) | instid1(VALU_DEP_2)
	v_lshlrev_b64 v[26:27], 3, v[16:17]
	v_max_f32_e32 v16, v62, v62
	v_add_co_u32 v19, vcc_lo, s5, v26
	s_delay_alu instid0(VALU_DEP_3)
	v_add_co_ci_u32_e32 v20, vcc_lo, s6, v27, vcc_lo
	v_add_co_u32 v21, vcc_lo, s8, v21
	v_add_co_ci_u32_e32 v23, vcc_lo, s9, v22, vcc_lo
	s_mov_b32 vcc_lo, s2
	global_store_b64 v[28:29], v[24:25], off
	s_cbranch_vccz .LBB117_161
; %bb.159:
	v_min_f32_e32 v17, 0, v16
	v_add_co_u32 v26, vcc_lo, v19, v0
	v_add_co_ci_u32_e32 v27, vcc_lo, v20, v1, vcc_lo
	s_delay_alu instid0(VALU_DEP_3)
	v_cvt_f64_f32_e32 v[24:25], v17
	s_mov_b64 s[0:1], 0
	global_store_b64 v[26:27], v[24:25], off
	s_cbranch_execz .LBB117_162
; %bb.160:
	v_dual_mov_b32 v17, s1 :: v_dual_mov_b32 v16, s0
	s_branch .LBB117_163
.LBB117_161:
                                        ; implicit-def: $sgpr0_sgpr1
.LBB117_162:
	v_add_co_u32 v24, vcc_lo, v21, v0
	v_add_co_ci_u32_e32 v25, vcc_lo, v23, v1, vcc_lo
	flat_load_b64 v[24:25], v[24:25]
	s_waitcnt vmcnt(0) lgkmcnt(0)
	v_mul_f64 v[24:25], s[10:11], v[24:25]
	s_delay_alu instid0(VALU_DEP_1)
	v_cvt_f32_f64_e32 v17, v[24:25]
	v_add_co_u32 v24, vcc_lo, v19, v0
	v_add_co_ci_u32_e32 v25, vcc_lo, v20, v1, vcc_lo
	v_add_co_u32 v26, vcc_lo, v21, v2
	v_add_co_ci_u32_e32 v27, vcc_lo, v23, v3, vcc_lo
	v_min_f32_e32 v16, v17, v16
	s_delay_alu instid0(VALU_DEP_1)
	v_cvt_f64_f32_e32 v[16:17], v16
	global_store_b64 v[24:25], v[16:17], off
	flat_load_b64 v[16:17], v[26:27]
	s_waitcnt vmcnt(0) lgkmcnt(0)
	v_mul_f64 v[16:17], s[10:11], v[16:17]
.LBB117_163:
	s_delay_alu instid0(VALU_DEP_1) | instskip(SKIP_4) | instid1(VALU_DEP_3)
	v_cvt_f32_f64_e32 v16, v[16:17]
	v_max_f32_e32 v17, v55, v55
	v_add_co_u32 v26, vcc_lo, v19, v2
	v_add_co_ci_u32_e32 v27, vcc_lo, v20, v3, vcc_lo
	s_mov_b32 vcc_lo, s2
	v_min_f32_e32 v16, v16, v17
	s_delay_alu instid0(VALU_DEP_1)
	v_cvt_f64_f32_e32 v[24:25], v16
	v_max_f32_e32 v16, v56, v56
	global_store_b64 v[26:27], v[24:25], off
	s_cbranch_vccz .LBB117_166
; %bb.164:
	v_min_f32_e32 v17, 0, v16
	v_add_co_u32 v26, vcc_lo, v19, v4
	v_add_co_ci_u32_e32 v27, vcc_lo, v20, v5, vcc_lo
	s_delay_alu instid0(VALU_DEP_3)
	v_cvt_f64_f32_e32 v[24:25], v17
	s_mov_b32 s0, 0
	global_store_b64 v[26:27], v[24:25], off
	s_cbranch_execz .LBB117_167
; %bb.165:
	v_mov_b32_e32 v16, s0
	s_branch .LBB117_168
.LBB117_166:
	s_mov_b32 s0, -1
.LBB117_167:
	v_add_co_u32 v24, vcc_lo, v21, v4
	v_add_co_ci_u32_e32 v25, vcc_lo, v23, v5, vcc_lo
	flat_load_b64 v[24:25], v[24:25]
	s_waitcnt vmcnt(0) lgkmcnt(0)
	v_mul_f64 v[24:25], s[10:11], v[24:25]
	s_delay_alu instid0(VALU_DEP_1)
	v_cvt_f32_f64_e32 v17, v[24:25]
	v_add_co_u32 v24, vcc_lo, v19, v4
	v_add_co_ci_u32_e32 v25, vcc_lo, v20, v5, vcc_lo
	v_add_co_u32 v26, vcc_lo, v21, v6
	v_add_co_ci_u32_e32 v27, vcc_lo, v23, v7, vcc_lo
	v_min_f32_e32 v16, v17, v16
	s_delay_alu instid0(VALU_DEP_1) | instskip(SKIP_4) | instid1(VALU_DEP_1)
	v_cvt_f64_f32_e32 v[16:17], v16
	global_store_b64 v[24:25], v[16:17], off
	flat_load_b64 v[16:17], v[26:27]
	s_waitcnt vmcnt(0) lgkmcnt(0)
	v_mul_f64 v[16:17], s[10:11], v[16:17]
	v_cvt_f32_f64_e32 v16, v[16:17]
.LBB117_168:
	s_delay_alu instid0(VALU_DEP_1) | instskip(SKIP_2) | instid1(VALU_DEP_3)
	v_dual_max_f32 v17, v59, v59 :: v_dual_max_f32 v16, v16, v16
	v_add_co_u32 v26, vcc_lo, v19, v6
	v_add_co_ci_u32_e32 v27, vcc_lo, v20, v7, vcc_lo
	v_min_f32_e32 v16, v16, v17
	s_mov_b32 vcc_lo, s2
	s_delay_alu instid0(VALU_DEP_1)
	v_cvt_f64_f32_e32 v[24:25], v16
	v_max_f32_e32 v16, v32, v32
	global_store_b64 v[26:27], v[24:25], off
	s_cbranch_vccz .LBB117_171
; %bb.169:
	v_min_f32_e32 v17, 0, v16
	v_add_co_u32 v26, vcc_lo, v19, v8
	v_add_co_ci_u32_e32 v27, vcc_lo, v20, v9, vcc_lo
	s_delay_alu instid0(VALU_DEP_3)
	v_cvt_f64_f32_e32 v[24:25], v17
	s_mov_b32 s0, 0
	global_store_b64 v[26:27], v[24:25], off
	s_cbranch_execz .LBB117_172
; %bb.170:
	v_mov_b32_e32 v16, s0
	s_branch .LBB117_173
.LBB117_171:
	s_mov_b32 s0, -1
.LBB117_172:
	v_add_co_u32 v24, vcc_lo, v21, v8
	v_add_co_ci_u32_e32 v25, vcc_lo, v23, v9, vcc_lo
	flat_load_b64 v[24:25], v[24:25]
	s_waitcnt vmcnt(0) lgkmcnt(0)
	v_mul_f64 v[24:25], s[10:11], v[24:25]
	s_delay_alu instid0(VALU_DEP_1)
	v_cvt_f32_f64_e32 v17, v[24:25]
	v_add_co_u32 v24, vcc_lo, v19, v8
	v_add_co_ci_u32_e32 v25, vcc_lo, v20, v9, vcc_lo
	v_add_co_u32 v26, vcc_lo, v21, v10
	v_add_co_ci_u32_e32 v27, vcc_lo, v23, v11, vcc_lo
	v_min_f32_e32 v16, v17, v16
	s_delay_alu instid0(VALU_DEP_1) | instskip(SKIP_4) | instid1(VALU_DEP_1)
	v_cvt_f64_f32_e32 v[16:17], v16
	global_store_b64 v[24:25], v[16:17], off
	flat_load_b64 v[16:17], v[26:27]
	s_waitcnt vmcnt(0) lgkmcnt(0)
	v_mul_f64 v[16:17], s[10:11], v[16:17]
	v_cvt_f32_f64_e32 v16, v[16:17]
.LBB117_173:
	v_max_f32_e32 v17, v48, v48
	s_delay_alu instid0(VALU_DEP_2) | instskip(SKIP_2) | instid1(VALU_DEP_3)
	v_max_f32_e32 v16, v16, v16
	v_add_co_u32 v26, vcc_lo, v19, v10
	v_add_co_ci_u32_e32 v27, vcc_lo, v20, v11, vcc_lo
	v_min_f32_e32 v16, v16, v17
	s_mov_b32 vcc_lo, s2
	s_delay_alu instid0(VALU_DEP_1)
	v_cvt_f64_f32_e32 v[24:25], v16
	v_max_f32_e32 v16, v63, v63
	global_store_b64 v[26:27], v[24:25], off
	s_cbranch_vccz .LBB117_176
; %bb.174:
	v_min_f32_e32 v17, 0, v16
	v_add_co_u32 v26, vcc_lo, v19, v12
	v_add_co_ci_u32_e32 v27, vcc_lo, v20, v13, vcc_lo
	s_delay_alu instid0(VALU_DEP_3)
	v_cvt_f64_f32_e32 v[24:25], v17
	s_mov_b32 s0, 0
	global_store_b64 v[26:27], v[24:25], off
	s_cbranch_execz .LBB117_177
; %bb.175:
	v_mov_b32_e32 v16, s0
	s_branch .LBB117_178
.LBB117_176:
	s_mov_b32 s0, -1
.LBB117_177:
	v_add_co_u32 v24, vcc_lo, v21, v12
	v_add_co_ci_u32_e32 v25, vcc_lo, v23, v13, vcc_lo
	flat_load_b64 v[24:25], v[24:25]
	s_waitcnt vmcnt(0) lgkmcnt(0)
	v_mul_f64 v[24:25], s[10:11], v[24:25]
	s_delay_alu instid0(VALU_DEP_1)
	v_cvt_f32_f64_e32 v17, v[24:25]
	v_add_co_u32 v24, vcc_lo, v19, v12
	v_add_co_ci_u32_e32 v25, vcc_lo, v20, v13, vcc_lo
	v_add_co_u32 v21, vcc_lo, v21, v14
	v_add_co_ci_u32_e32 v22, vcc_lo, v23, v15, vcc_lo
	v_min_f32_e32 v16, v17, v16
	s_delay_alu instid0(VALU_DEP_1) | instskip(SKIP_4) | instid1(VALU_DEP_1)
	v_cvt_f64_f32_e32 v[16:17], v16
	global_store_b64 v[24:25], v[16:17], off
	flat_load_b64 v[16:17], v[21:22]
	s_waitcnt vmcnt(0) lgkmcnt(0)
	v_mul_f64 v[16:17], s[10:11], v[16:17]
	v_cvt_f32_f64_e32 v16, v[16:17]
.LBB117_178:
	s_delay_alu instid0(VALU_DEP_1) | instskip(SKIP_2) | instid1(VALU_DEP_3)
	v_dual_max_f32 v17, v242, v242 :: v_dual_max_f32 v16, v16, v16
	v_add_co_u32 v26, vcc_lo, v19, v14
	v_add_co_ci_u32_e32 v27, vcc_lo, v20, v15, vcc_lo
	v_dual_min_f32 v16, v16, v17 :: v_dual_add_nc_u32 v21, 0xc0, v18
	s_delay_alu instid0(VALU_DEP_1) | instskip(NEXT) | instid1(VALU_DEP_2)
	v_cvt_f64_f32_e32 v[22:23], v16
	v_mad_i64_i32 v[16:17], null, v21, s4, 0
	v_mad_i64_i32 v[24:25], null, v21, s3, 0
	v_max_f32_e32 v21, v238, v238
	s_delay_alu instid0(VALU_DEP_3) | instskip(NEXT) | instid1(VALU_DEP_3)
	v_lshlrev_b64 v[16:17], 3, v[16:17]
	v_lshlrev_b64 v[19:20], 3, v[24:25]
	s_delay_alu instid0(VALU_DEP_2) | instskip(NEXT) | instid1(VALU_DEP_3)
	v_add_co_u32 v16, vcc_lo, s5, v16
	v_add_co_ci_u32_e32 v17, vcc_lo, s6, v17, vcc_lo
	s_delay_alu instid0(VALU_DEP_3) | instskip(NEXT) | instid1(VALU_DEP_4)
	v_add_co_u32 v19, vcc_lo, s8, v19
	v_add_co_ci_u32_e32 v20, vcc_lo, s9, v20, vcc_lo
	s_mov_b32 vcc_lo, s2
	global_store_b64 v[26:27], v[22:23], off
	s_cbranch_vccz .LBB117_181
; %bb.179:
	v_min_f32_e32 v22, 0, v21
	v_add_co_u32 v24, vcc_lo, v16, v0
	v_add_co_ci_u32_e32 v25, vcc_lo, v17, v1, vcc_lo
	s_delay_alu instid0(VALU_DEP_3)
	v_cvt_f64_f32_e32 v[22:23], v22
	s_mov_b32 s0, 0
	global_store_b64 v[24:25], v[22:23], off
	s_cbranch_execz .LBB117_182
; %bb.180:
	v_mov_b32_e32 v21, s0
	s_branch .LBB117_183
.LBB117_181:
	s_mov_b32 s0, -1
.LBB117_182:
	v_add_co_u32 v22, vcc_lo, v19, v0
	v_add_co_ci_u32_e32 v23, vcc_lo, v20, v1, vcc_lo
	flat_load_b64 v[22:23], v[22:23]
	s_waitcnt vmcnt(0) lgkmcnt(0)
	v_mul_f64 v[22:23], s[10:11], v[22:23]
	s_delay_alu instid0(VALU_DEP_1)
	v_cvt_f32_f64_e32 v22, v[22:23]
	v_add_co_u32 v23, vcc_lo, v16, v0
	v_add_co_ci_u32_e32 v24, vcc_lo, v17, v1, vcc_lo
	v_add_co_u32 v25, vcc_lo, v19, v2
	v_add_co_ci_u32_e32 v26, vcc_lo, v20, v3, vcc_lo
	v_min_f32_e32 v21, v22, v21
	s_delay_alu instid0(VALU_DEP_1) | instskip(SKIP_4) | instid1(VALU_DEP_1)
	v_cvt_f64_f32_e32 v[21:22], v21
	global_store_b64 v[23:24], v[21:22], off
	flat_load_b64 v[21:22], v[25:26]
	s_waitcnt vmcnt(0) lgkmcnt(0)
	v_mul_f64 v[21:22], s[10:11], v[21:22]
	v_cvt_f32_f64_e32 v21, v[21:22]
.LBB117_183:
	s_delay_alu instid0(VALU_DEP_1) | instskip(SKIP_2) | instid1(VALU_DEP_3)
	v_dual_max_f32 v22, v219, v219 :: v_dual_max_f32 v21, v21, v21
	v_add_co_u32 v24, vcc_lo, v16, v2
	v_add_co_ci_u32_e32 v25, vcc_lo, v17, v3, vcc_lo
	v_min_f32_e32 v21, v21, v22
	s_mov_b32 vcc_lo, s2
	s_delay_alu instid0(VALU_DEP_1)
	v_cvt_f64_f32_e32 v[22:23], v21
	v_max_f32_e32 v21, v196, v196
	global_store_b64 v[24:25], v[22:23], off
	s_cbranch_vccz .LBB117_186
; %bb.184:
	v_min_f32_e32 v22, 0, v21
	v_add_co_u32 v24, vcc_lo, v16, v4
	v_add_co_ci_u32_e32 v25, vcc_lo, v17, v5, vcc_lo
	s_delay_alu instid0(VALU_DEP_3)
	v_cvt_f64_f32_e32 v[22:23], v22
	s_mov_b32 s0, 0
	global_store_b64 v[24:25], v[22:23], off
	s_cbranch_execz .LBB117_187
; %bb.185:
	v_mov_b32_e32 v21, s0
	s_branch .LBB117_188
.LBB117_186:
	s_mov_b32 s0, -1
.LBB117_187:
	v_add_co_u32 v22, vcc_lo, v19, v4
	v_add_co_ci_u32_e32 v23, vcc_lo, v20, v5, vcc_lo
	flat_load_b64 v[22:23], v[22:23]
	s_waitcnt vmcnt(0) lgkmcnt(0)
	v_mul_f64 v[22:23], s[10:11], v[22:23]
	s_delay_alu instid0(VALU_DEP_1)
	v_cvt_f32_f64_e32 v22, v[22:23]
	v_add_co_u32 v23, vcc_lo, v16, v4
	v_add_co_ci_u32_e32 v24, vcc_lo, v17, v5, vcc_lo
	v_add_co_u32 v25, vcc_lo, v19, v6
	v_add_co_ci_u32_e32 v26, vcc_lo, v20, v7, vcc_lo
	v_min_f32_e32 v21, v22, v21
	s_delay_alu instid0(VALU_DEP_1) | instskip(SKIP_4) | instid1(VALU_DEP_1)
	v_cvt_f64_f32_e32 v[21:22], v21
	global_store_b64 v[23:24], v[21:22], off
	flat_load_b64 v[21:22], v[25:26]
	s_waitcnt vmcnt(0) lgkmcnt(0)
	v_mul_f64 v[21:22], s[10:11], v[21:22]
	v_cvt_f32_f64_e32 v21, v[21:22]
.LBB117_188:
	s_delay_alu instid0(VALU_DEP_1) | instskip(SKIP_2) | instid1(VALU_DEP_3)
	v_dual_max_f32 v22, v130, v130 :: v_dual_max_f32 v21, v21, v21
	v_add_co_u32 v24, vcc_lo, v16, v6
	v_add_co_ci_u32_e32 v25, vcc_lo, v17, v7, vcc_lo
	v_min_f32_e32 v21, v21, v22
	s_mov_b32 vcc_lo, s2
	s_delay_alu instid0(VALU_DEP_1)
	v_cvt_f64_f32_e32 v[22:23], v21
	v_max_f32_e32 v21, v192, v192
	global_store_b64 v[24:25], v[22:23], off
	s_cbranch_vccz .LBB117_191
; %bb.189:
	v_min_f32_e32 v22, 0, v21
	v_add_co_u32 v24, vcc_lo, v16, v8
	v_add_co_ci_u32_e32 v25, vcc_lo, v17, v9, vcc_lo
	s_delay_alu instid0(VALU_DEP_3)
	v_cvt_f64_f32_e32 v[22:23], v22
	s_mov_b32 s0, 0
	global_store_b64 v[24:25], v[22:23], off
	s_cbranch_execz .LBB117_192
; %bb.190:
	v_mov_b32_e32 v21, s0
	s_branch .LBB117_193
.LBB117_191:
	s_mov_b32 s0, -1
.LBB117_192:
	v_add_co_u32 v22, vcc_lo, v19, v8
	v_add_co_ci_u32_e32 v23, vcc_lo, v20, v9, vcc_lo
	flat_load_b64 v[22:23], v[22:23]
	s_waitcnt vmcnt(0) lgkmcnt(0)
	v_mul_f64 v[22:23], s[10:11], v[22:23]
	s_delay_alu instid0(VALU_DEP_1)
	v_cvt_f32_f64_e32 v22, v[22:23]
	v_add_co_u32 v23, vcc_lo, v16, v8
	v_add_co_ci_u32_e32 v24, vcc_lo, v17, v9, vcc_lo
	v_add_co_u32 v25, vcc_lo, v19, v10
	v_add_co_ci_u32_e32 v26, vcc_lo, v20, v11, vcc_lo
	v_min_f32_e32 v21, v22, v21
	s_delay_alu instid0(VALU_DEP_1) | instskip(SKIP_4) | instid1(VALU_DEP_1)
	v_cvt_f64_f32_e32 v[21:22], v21
	global_store_b64 v[23:24], v[21:22], off
	flat_load_b64 v[21:22], v[25:26]
	s_waitcnt vmcnt(0) lgkmcnt(0)
	v_mul_f64 v[21:22], s[10:11], v[21:22]
	v_cvt_f32_f64_e32 v21, v[21:22]
.LBB117_193:
	v_max_f32_e32 v22, v129, v129
	s_delay_alu instid0(VALU_DEP_2) | instskip(SKIP_2) | instid1(VALU_DEP_3)
	v_max_f32_e32 v21, v21, v21
	v_add_co_u32 v24, vcc_lo, v16, v10
	v_add_co_ci_u32_e32 v25, vcc_lo, v17, v11, vcc_lo
	v_min_f32_e32 v21, v21, v22
	s_mov_b32 vcc_lo, s2
	s_delay_alu instid0(VALU_DEP_1)
	v_cvt_f64_f32_e32 v[22:23], v21
	v_max_f32_e32 v21, v188, v188
	global_store_b64 v[24:25], v[22:23], off
	s_cbranch_vccz .LBB117_196
; %bb.194:
	v_min_f32_e32 v22, 0, v21
	v_add_co_u32 v24, vcc_lo, v16, v12
	v_add_co_ci_u32_e32 v25, vcc_lo, v17, v13, vcc_lo
	s_delay_alu instid0(VALU_DEP_3)
	v_cvt_f64_f32_e32 v[22:23], v22
	s_mov_b32 s0, 0
	global_store_b64 v[24:25], v[22:23], off
	s_cbranch_execz .LBB117_197
; %bb.195:
	v_mov_b32_e32 v19, s0
	s_branch .LBB117_198
.LBB117_196:
	s_mov_b32 s0, -1
.LBB117_197:
	v_add_co_u32 v22, vcc_lo, v19, v12
	v_add_co_ci_u32_e32 v23, vcc_lo, v20, v13, vcc_lo
	flat_load_b64 v[22:23], v[22:23]
	s_waitcnt vmcnt(0) lgkmcnt(0)
	v_mul_f64 v[22:23], s[10:11], v[22:23]
	s_delay_alu instid0(VALU_DEP_1)
	v_cvt_f32_f64_e32 v22, v[22:23]
	v_add_co_u32 v23, vcc_lo, v16, v12
	v_add_co_ci_u32_e32 v24, vcc_lo, v17, v13, vcc_lo
	v_add_co_u32 v19, vcc_lo, v19, v14
	v_add_co_ci_u32_e32 v20, vcc_lo, v20, v15, vcc_lo
	v_min_f32_e32 v21, v22, v21
	s_delay_alu instid0(VALU_DEP_1) | instskip(SKIP_4) | instid1(VALU_DEP_1)
	v_cvt_f64_f32_e32 v[21:22], v21
	global_store_b64 v[23:24], v[21:22], off
	flat_load_b64 v[19:20], v[19:20]
	s_waitcnt vmcnt(0) lgkmcnt(0)
	v_mul_f64 v[19:20], s[10:11], v[19:20]
	v_cvt_f32_f64_e32 v19, v[19:20]
.LBB117_198:
	s_delay_alu instid0(VALU_DEP_1) | instskip(SKIP_2) | instid1(VALU_DEP_3)
	v_dual_max_f32 v20, v128, v128 :: v_dual_max_f32 v19, v19, v19
	v_add_co_u32 v25, vcc_lo, v16, v14
	v_add_co_ci_u32_e32 v26, vcc_lo, v17, v15, vcc_lo
	v_dual_min_f32 v19, v19, v20 :: v_dual_add_nc_u32 v20, 0xe0, v18
	s_delay_alu instid0(VALU_DEP_1) | instskip(NEXT) | instid1(VALU_DEP_2)
	v_cvt_f64_f32_e32 v[21:22], v19
	v_mad_i64_i32 v[18:19], null, v20, s4, 0
	v_mad_i64_i32 v[23:24], null, v20, s3, 0
	v_max_f32_e32 v20, v126, v126
	s_delay_alu instid0(VALU_DEP_3) | instskip(NEXT) | instid1(VALU_DEP_3)
	v_lshlrev_b64 v[18:19], 3, v[18:19]
	v_lshlrev_b64 v[23:24], 3, v[23:24]
	s_delay_alu instid0(VALU_DEP_2) | instskip(NEXT) | instid1(VALU_DEP_3)
	v_add_co_u32 v16, vcc_lo, s5, v18
	v_add_co_ci_u32_e32 v17, vcc_lo, s6, v19, vcc_lo
	s_delay_alu instid0(VALU_DEP_3) | instskip(NEXT) | instid1(VALU_DEP_4)
	v_add_co_u32 v18, vcc_lo, s8, v23
	v_add_co_ci_u32_e32 v19, vcc_lo, s9, v24, vcc_lo
	s_mov_b32 vcc_lo, s2
	global_store_b64 v[25:26], v[21:22], off
	s_cbranch_vccz .LBB117_201
; %bb.199:
	v_min_f32_e32 v21, 0, v20
	v_add_co_u32 v23, vcc_lo, v16, v0
	v_add_co_ci_u32_e32 v24, vcc_lo, v17, v1, vcc_lo
	s_delay_alu instid0(VALU_DEP_3)
	v_cvt_f64_f32_e32 v[21:22], v21
	s_mov_b32 s0, 0
	global_store_b64 v[23:24], v[21:22], off
	s_cbranch_execz .LBB117_202
; %bb.200:
	v_mov_b32_e32 v0, s0
	s_branch .LBB117_203
.LBB117_201:
	s_mov_b32 s0, -1
.LBB117_202:
	v_add_co_u32 v21, vcc_lo, v18, v0
	v_add_co_ci_u32_e32 v22, vcc_lo, v19, v1, vcc_lo
	v_add_co_u32 v0, vcc_lo, v16, v0
	v_add_co_ci_u32_e32 v1, vcc_lo, v17, v1, vcc_lo
	flat_load_b64 v[21:22], v[21:22]
	s_waitcnt vmcnt(0) lgkmcnt(0)
	v_mul_f64 v[21:22], s[10:11], v[21:22]
	s_delay_alu instid0(VALU_DEP_1) | instskip(SKIP_2) | instid1(VALU_DEP_3)
	v_cvt_f32_f64_e32 v21, v[21:22]
	v_add_co_u32 v22, vcc_lo, v18, v2
	v_add_co_ci_u32_e32 v23, vcc_lo, v19, v3, vcc_lo
	v_min_f32_e32 v20, v21, v20
	s_delay_alu instid0(VALU_DEP_1) | instskip(SKIP_4) | instid1(VALU_DEP_1)
	v_cvt_f64_f32_e32 v[20:21], v20
	global_store_b64 v[0:1], v[20:21], off
	flat_load_b64 v[0:1], v[22:23]
	s_waitcnt vmcnt(0) lgkmcnt(0)
	v_mul_f64 v[0:1], s[10:11], v[0:1]
	v_cvt_f32_f64_e32 v0, v[0:1]
.LBB117_203:
	s_delay_alu instid0(VALU_DEP_1) | instskip(NEXT) | instid1(VALU_DEP_1)
	v_dual_max_f32 v1, v125, v125 :: v_dual_max_f32 v0, v0, v0
	v_min_f32_e32 v0, v0, v1
	v_add_co_u32 v1, vcc_lo, v16, v2
	v_add_co_ci_u32_e32 v2, vcc_lo, v17, v3, vcc_lo
	s_delay_alu instid0(VALU_DEP_3)
	v_cvt_f64_f32_e32 v[20:21], v0
	v_max_f32_e32 v0, v124, v124
	s_mov_b32 vcc_lo, s2
	global_store_b64 v[1:2], v[20:21], off
	s_cbranch_vccz .LBB117_206
; %bb.204:
	v_min_f32_e32 v1, 0, v0
	v_add_co_u32 v20, vcc_lo, v16, v4
	v_add_co_ci_u32_e32 v21, vcc_lo, v17, v5, vcc_lo
	s_delay_alu instid0(VALU_DEP_3)
	v_cvt_f64_f32_e32 v[1:2], v1
	s_mov_b32 s0, 0
	global_store_b64 v[20:21], v[1:2], off
	s_cbranch_execz .LBB117_207
; %bb.205:
	v_mov_b32_e32 v0, s0
	s_branch .LBB117_208
.LBB117_206:
	s_mov_b32 s0, -1
.LBB117_207:
	v_add_co_u32 v1, vcc_lo, v18, v4
	v_add_co_ci_u32_e32 v2, vcc_lo, v19, v5, vcc_lo
	flat_load_b64 v[1:2], v[1:2]
	s_waitcnt vmcnt(0) lgkmcnt(0)
	v_mul_f64 v[1:2], s[10:11], v[1:2]
	s_delay_alu instid0(VALU_DEP_1)
	v_cvt_f32_f64_e32 v1, v[1:2]
	v_add_co_u32 v2, vcc_lo, v16, v4
	v_add_co_ci_u32_e32 v3, vcc_lo, v17, v5, vcc_lo
	v_add_co_u32 v4, vcc_lo, v18, v6
	v_add_co_ci_u32_e32 v5, vcc_lo, v19, v7, vcc_lo
	v_min_f32_e32 v0, v1, v0
	s_delay_alu instid0(VALU_DEP_1) | instskip(SKIP_4) | instid1(VALU_DEP_1)
	v_cvt_f64_f32_e32 v[0:1], v0
	global_store_b64 v[2:3], v[0:1], off
	flat_load_b64 v[0:1], v[4:5]
	s_waitcnt vmcnt(0) lgkmcnt(0)
	v_mul_f64 v[0:1], s[10:11], v[0:1]
	v_cvt_f32_f64_e32 v0, v[0:1]
.LBB117_208:
	s_delay_alu instid0(VALU_DEP_1) | instskip(SKIP_2) | instid1(VALU_DEP_3)
	v_dual_max_f32 v1, v123, v123 :: v_dual_max_f32 v0, v0, v0
	v_add_co_u32 v3, vcc_lo, v16, v6
	v_add_co_ci_u32_e32 v4, vcc_lo, v17, v7, vcc_lo
	v_min_f32_e32 v0, v0, v1
	s_mov_b32 vcc_lo, s2
	s_delay_alu instid0(VALU_DEP_1)
	v_cvt_f64_f32_e32 v[1:2], v0
	v_max_f32_e32 v0, v122, v122
	global_store_b64 v[3:4], v[1:2], off
	s_cbranch_vccz .LBB117_211
; %bb.209:
	v_min_f32_e32 v1, 0, v0
	v_add_co_u32 v3, vcc_lo, v16, v8
	v_add_co_ci_u32_e32 v4, vcc_lo, v17, v9, vcc_lo
	s_delay_alu instid0(VALU_DEP_3)
	v_cvt_f64_f32_e32 v[1:2], v1
	s_mov_b32 s0, 0
	global_store_b64 v[3:4], v[1:2], off
	s_cbranch_execz .LBB117_212
; %bb.210:
	v_mov_b32_e32 v0, s0
	s_branch .LBB117_213
.LBB117_211:
	s_mov_b32 s0, -1
.LBB117_212:
	v_add_co_u32 v1, vcc_lo, v18, v8
	v_add_co_ci_u32_e32 v2, vcc_lo, v19, v9, vcc_lo
	flat_load_b64 v[1:2], v[1:2]
	s_waitcnt vmcnt(0) lgkmcnt(0)
	v_mul_f64 v[1:2], s[10:11], v[1:2]
	s_delay_alu instid0(VALU_DEP_1)
	v_cvt_f32_f64_e32 v1, v[1:2]
	v_add_co_u32 v2, vcc_lo, v16, v8
	v_add_co_ci_u32_e32 v3, vcc_lo, v17, v9, vcc_lo
	v_add_co_u32 v4, vcc_lo, v18, v10
	v_add_co_ci_u32_e32 v5, vcc_lo, v19, v11, vcc_lo
	v_min_f32_e32 v0, v1, v0
	s_delay_alu instid0(VALU_DEP_1) | instskip(SKIP_4) | instid1(VALU_DEP_1)
	v_cvt_f64_f32_e32 v[0:1], v0
	global_store_b64 v[2:3], v[0:1], off
	flat_load_b64 v[0:1], v[4:5]
	s_waitcnt vmcnt(0) lgkmcnt(0)
	v_mul_f64 v[0:1], s[10:11], v[0:1]
	v_cvt_f32_f64_e32 v0, v[0:1]
.LBB117_213:
	s_delay_alu instid0(VALU_DEP_1) | instskip(SKIP_2) | instid1(VALU_DEP_3)
	v_dual_max_f32 v1, v127, v127 :: v_dual_max_f32 v0, v0, v0
	v_add_co_u32 v3, vcc_lo, v16, v10
	v_add_co_ci_u32_e32 v4, vcc_lo, v17, v11, vcc_lo
	v_min_f32_e32 v0, v0, v1
	s_mov_b32 vcc_lo, s2
	s_delay_alu instid0(VALU_DEP_1)
	v_cvt_f64_f32_e32 v[1:2], v0
	v_max_f32_e32 v0, v120, v120
	global_store_b64 v[3:4], v[1:2], off
	s_cbranch_vccz .LBB117_216
; %bb.214:
	v_min_f32_e32 v1, 0, v0
	v_add_co_u32 v3, vcc_lo, v16, v12
	v_add_co_ci_u32_e32 v4, vcc_lo, v17, v13, vcc_lo
	s_delay_alu instid0(VALU_DEP_3)
	v_cvt_f64_f32_e32 v[1:2], v1
	s_mov_b32 s0, 0
	global_store_b64 v[3:4], v[1:2], off
	s_cbranch_execz .LBB117_217
; %bb.215:
	v_mov_b32_e32 v0, s0
	s_branch .LBB117_218
.LBB117_216:
	s_mov_b32 s0, -1
.LBB117_217:
	v_add_co_u32 v1, vcc_lo, v18, v12
	v_add_co_ci_u32_e32 v2, vcc_lo, v19, v13, vcc_lo
	flat_load_b64 v[1:2], v[1:2]
	s_waitcnt vmcnt(0) lgkmcnt(0)
	v_mul_f64 v[1:2], s[10:11], v[1:2]
	s_delay_alu instid0(VALU_DEP_1)
	v_cvt_f32_f64_e32 v1, v[1:2]
	v_add_co_u32 v2, vcc_lo, v16, v12
	v_add_co_ci_u32_e32 v3, vcc_lo, v17, v13, vcc_lo
	v_add_co_u32 v4, vcc_lo, v18, v14
	v_add_co_ci_u32_e32 v5, vcc_lo, v19, v15, vcc_lo
	v_min_f32_e32 v0, v1, v0
	s_delay_alu instid0(VALU_DEP_1) | instskip(SKIP_4) | instid1(VALU_DEP_1)
	v_cvt_f64_f32_e32 v[0:1], v0
	global_store_b64 v[2:3], v[0:1], off
	flat_load_b64 v[0:1], v[4:5]
	s_waitcnt vmcnt(0) lgkmcnt(0)
	v_mul_f64 v[0:1], s[10:11], v[0:1]
	v_cvt_f32_f64_e32 v0, v[0:1]
.LBB117_218:
	s_delay_alu instid0(VALU_DEP_1) | instskip(SKIP_2) | instid1(VALU_DEP_3)
	v_dual_max_f32 v1, v119, v119 :: v_dual_max_f32 v0, v0, v0
	v_add_co_u32 v2, vcc_lo, v16, v14
	v_add_co_ci_u32_e32 v3, vcc_lo, v17, v15, vcc_lo
	v_min_f32_e32 v0, v0, v1
	s_delay_alu instid0(VALU_DEP_1)
	v_cvt_f64_f32_e32 v[0:1], v0
	global_store_b64 v[2:3], v[0:1], off
	s_endpgm
	.section	.rodata,"a",@progbits
	.p2align	6, 0x0
	.amdhsa_kernel _ZN12_GLOBAL__N_120geam_min_plus_kernelId15HIP_vector_typeIdLj2EEdLi8ELi32ELi64ELi256ELi4ELi64ELi4ELi64ELi4ELc78ELc84ELb0ELb0ELb1EPKdKS4_KPdEEviiiT16_PT17_ilSA_ilS8_SA_ilPT18_ili26rocblas_geam_ex_operation_
		.amdhsa_group_segment_fixed_size 20480
		.amdhsa_private_segment_fixed_size 384
		.amdhsa_kernarg_size 136
		.amdhsa_user_sgpr_count 14
		.amdhsa_user_sgpr_dispatch_ptr 0
		.amdhsa_user_sgpr_queue_ptr 0
		.amdhsa_user_sgpr_kernarg_segment_ptr 1
		.amdhsa_user_sgpr_dispatch_id 0
		.amdhsa_user_sgpr_private_segment_size 0
		.amdhsa_wavefront_size32 1
		.amdhsa_uses_dynamic_stack 0
		.amdhsa_enable_private_segment 1
		.amdhsa_system_sgpr_workgroup_id_x 1
		.amdhsa_system_sgpr_workgroup_id_y 0
		.amdhsa_system_sgpr_workgroup_id_z 1
		.amdhsa_system_sgpr_workgroup_info 0
		.amdhsa_system_vgpr_workitem_id 1
		.amdhsa_next_free_vgpr 256
		.amdhsa_next_free_sgpr 27
		.amdhsa_reserve_vcc 1
		.amdhsa_float_round_mode_32 0
		.amdhsa_float_round_mode_16_64 0
		.amdhsa_float_denorm_mode_32 3
		.amdhsa_float_denorm_mode_16_64 3
		.amdhsa_dx10_clamp 1
		.amdhsa_ieee_mode 1
		.amdhsa_fp16_overflow 0
		.amdhsa_workgroup_processor_mode 1
		.amdhsa_memory_ordered 1
		.amdhsa_forward_progress 0
		.amdhsa_shared_vgpr_count 0
		.amdhsa_exception_fp_ieee_invalid_op 0
		.amdhsa_exception_fp_denorm_src 0
		.amdhsa_exception_fp_ieee_div_zero 0
		.amdhsa_exception_fp_ieee_overflow 0
		.amdhsa_exception_fp_ieee_underflow 0
		.amdhsa_exception_fp_ieee_inexact 0
		.amdhsa_exception_int_div_zero 0
	.end_amdhsa_kernel
	.section	.text._ZN12_GLOBAL__N_120geam_min_plus_kernelId15HIP_vector_typeIdLj2EEdLi8ELi32ELi64ELi256ELi4ELi64ELi4ELi64ELi4ELc78ELc84ELb0ELb0ELb1EPKdKS4_KPdEEviiiT16_PT17_ilSA_ilS8_SA_ilPT18_ili26rocblas_geam_ex_operation_,"axG",@progbits,_ZN12_GLOBAL__N_120geam_min_plus_kernelId15HIP_vector_typeIdLj2EEdLi8ELi32ELi64ELi256ELi4ELi64ELi4ELi64ELi4ELc78ELc84ELb0ELb0ELb1EPKdKS4_KPdEEviiiT16_PT17_ilSA_ilS8_SA_ilPT18_ili26rocblas_geam_ex_operation_,comdat
.Lfunc_end117:
	.size	_ZN12_GLOBAL__N_120geam_min_plus_kernelId15HIP_vector_typeIdLj2EEdLi8ELi32ELi64ELi256ELi4ELi64ELi4ELi64ELi4ELc78ELc84ELb0ELb0ELb1EPKdKS4_KPdEEviiiT16_PT17_ilSA_ilS8_SA_ilPT18_ili26rocblas_geam_ex_operation_, .Lfunc_end117-_ZN12_GLOBAL__N_120geam_min_plus_kernelId15HIP_vector_typeIdLj2EEdLi8ELi32ELi64ELi256ELi4ELi64ELi4ELi64ELi4ELc78ELc84ELb0ELb0ELb1EPKdKS4_KPdEEviiiT16_PT17_ilSA_ilS8_SA_ilPT18_ili26rocblas_geam_ex_operation_
                                        ; -- End function
	.section	.AMDGPU.csdata,"",@progbits
; Kernel info:
; codeLenInByte = 23976
; NumSgprs: 29
; NumVgprs: 256
; ScratchSize: 384
; MemoryBound: 1
; FloatMode: 240
; IeeeMode: 1
; LDSByteSize: 20480 bytes/workgroup (compile time only)
; SGPRBlocks: 3
; VGPRBlocks: 31
; NumSGPRsForWavesPerEU: 29
; NumVGPRsForWavesPerEU: 256
; Occupancy: 5
; WaveLimiterHint : 1
; COMPUTE_PGM_RSRC2:SCRATCH_EN: 1
; COMPUTE_PGM_RSRC2:USER_SGPR: 14
; COMPUTE_PGM_RSRC2:TRAP_HANDLER: 0
; COMPUTE_PGM_RSRC2:TGID_X_EN: 1
; COMPUTE_PGM_RSRC2:TGID_Y_EN: 0
; COMPUTE_PGM_RSRC2:TGID_Z_EN: 1
; COMPUTE_PGM_RSRC2:TIDIG_COMP_CNT: 1
	.section	.text._ZN12_GLOBAL__N_120geam_min_plus_kernelId15HIP_vector_typeIdLj2EEdLi8ELi32ELi64ELi256ELi4ELi64ELi4ELi64ELi4ELc78ELc84ELb1ELb0ELb1EdKPKdKPdEEviiiT16_PT17_ilSA_ilS8_SA_ilPT18_ili26rocblas_geam_ex_operation_,"axG",@progbits,_ZN12_GLOBAL__N_120geam_min_plus_kernelId15HIP_vector_typeIdLj2EEdLi8ELi32ELi64ELi256ELi4ELi64ELi4ELi64ELi4ELc78ELc84ELb1ELb0ELb1EdKPKdKPdEEviiiT16_PT17_ilSA_ilS8_SA_ilPT18_ili26rocblas_geam_ex_operation_,comdat
	.globl	_ZN12_GLOBAL__N_120geam_min_plus_kernelId15HIP_vector_typeIdLj2EEdLi8ELi32ELi64ELi256ELi4ELi64ELi4ELi64ELi4ELc78ELc84ELb1ELb0ELb1EdKPKdKPdEEviiiT16_PT17_ilSA_ilS8_SA_ilPT18_ili26rocblas_geam_ex_operation_ ; -- Begin function _ZN12_GLOBAL__N_120geam_min_plus_kernelId15HIP_vector_typeIdLj2EEdLi8ELi32ELi64ELi256ELi4ELi64ELi4ELi64ELi4ELc78ELc84ELb1ELb0ELb1EdKPKdKPdEEviiiT16_PT17_ilSA_ilS8_SA_ilPT18_ili26rocblas_geam_ex_operation_
	.p2align	8
	.type	_ZN12_GLOBAL__N_120geam_min_plus_kernelId15HIP_vector_typeIdLj2EEdLi8ELi32ELi64ELi256ELi4ELi64ELi4ELi64ELi4ELc78ELc84ELb1ELb0ELb1EdKPKdKPdEEviiiT16_PT17_ilSA_ilS8_SA_ilPT18_ili26rocblas_geam_ex_operation_,@function
_ZN12_GLOBAL__N_120geam_min_plus_kernelId15HIP_vector_typeIdLj2EEdLi8ELi32ELi64ELi256ELi4ELi64ELi4ELi64ELi4ELc78ELc84ELb1ELb0ELb1EdKPKdKPdEEviiiT16_PT17_ilSA_ilS8_SA_ilPT18_ili26rocblas_geam_ex_operation_: ; @_ZN12_GLOBAL__N_120geam_min_plus_kernelId15HIP_vector_typeIdLj2EEdLi8ELi32ELi64ELi256ELi4ELi64ELi4ELi64ELi4ELc78ELc84ELb1ELb0ELb1EdKPKdKPdEEviiiT16_PT17_ilSA_ilS8_SA_ilPT18_ili26rocblas_geam_ex_operation_
; %bb.0:
	s_clause 0x1
	s_load_b128 s[4:7], s[0:1], 0x10
	s_load_b128 s[8:11], s[0:1], 0x28
	s_mov_b32 s18, s15
	s_mov_b64 s[12:13], 0
	s_waitcnt lgkmcnt(0)
	v_cmp_eq_f64_e64 s2, s[4:5], 0
	s_delay_alu instid0(VALU_DEP_1)
	s_and_b32 vcc_lo, exec_lo, s2
	s_cbranch_vccnz .LBB118_2
; %bb.1:
	s_mov_b32 s19, 0
	s_delay_alu instid0(SALU_CYCLE_1) | instskip(NEXT) | instid1(SALU_CYCLE_1)
	s_lshl_b64 s[4:5], s[18:19], 3
	s_add_u32 s4, s6, s4
	s_addc_u32 s5, s7, s5
	s_lshl_b64 s[6:7], s[8:9], 3
	s_load_b64 s[4:5], s[4:5], 0x0
	s_waitcnt lgkmcnt(0)
	s_add_u32 s12, s4, s6
	s_addc_u32 s13, s5, s7
.LBB118_2:
	s_clause 0x1
	s_load_b128 s[4:7], s[0:1], 0x40
	s_load_b64 s[20:21], s[0:1], 0x50
	s_and_not1_b32 vcc_lo, exec_lo, s2
	s_cbranch_vccnz .LBB118_4
; %bb.3:
	s_mov_b32 s19, 0
	s_mov_b64 s[16:17], 0
	s_cbranch_execz .LBB118_5
	s_branch .LBB118_6
.LBB118_4:
	s_mov_b32 s19, -1
                                        ; implicit-def: $sgpr16_sgpr17
.LBB118_5:
	s_mov_b32 s19, 0
	s_delay_alu instid0(SALU_CYCLE_1) | instskip(NEXT) | instid1(SALU_CYCLE_1)
	s_lshl_b64 s[2:3], s[18:19], 3
	s_add_u32 s2, s10, s2
	s_addc_u32 s3, s11, s3
	s_waitcnt lgkmcnt(0)
	s_lshl_b64 s[4:5], s[4:5], 3
	s_load_b64 s[2:3], s[2:3], 0x0
	s_waitcnt lgkmcnt(0)
	s_add_u32 s16, s2, s4
	s_addc_u32 s17, s3, s5
.LBB118_6:
	s_waitcnt lgkmcnt(0)
	v_cmp_eq_f64_e64 s2, s[6:7], 0
	s_load_b128 s[8:11], s[0:1], 0x60
	s_mov_b64 s[4:5], 0
	s_delay_alu instid0(VALU_DEP_1) | instskip(NEXT) | instid1(SALU_CYCLE_1)
	s_and_b32 s2, exec_lo, s2
	s_mov_b32 vcc_lo, s2
	s_cbranch_vccnz .LBB118_8
; %bb.7:
	s_lshl_b64 s[4:5], s[18:19], 3
	s_delay_alu instid0(SALU_CYCLE_1)
	s_add_u32 s4, s20, s4
	s_addc_u32 s5, s21, s5
	s_waitcnt lgkmcnt(0)
	s_lshl_b64 s[8:9], s[8:9], 3
	s_load_b64 s[4:5], s[4:5], 0x0
	s_waitcnt lgkmcnt(0)
	s_add_u32 s4, s4, s8
	s_addc_u32 s5, s5, s9
.LBB118_8:
	s_clause 0x2
	s_load_b32 s15, s[0:1], 0x20
	s_load_b32 s20, s[0:1], 0x38
	s_load_b32 s3, s[0:1], 0x0
	s_waitcnt lgkmcnt(0)
	s_lshl_b64 s[8:9], s[18:19], 3
	v_and_b32_e32 v72, 0x3ff, v0
	v_bfe_u32 v12, v0, 10, 10
	v_dual_mov_b32 v112, 0x7f800000 :: v_dual_mov_b32 v125, 0x7f800000
	v_dual_mov_b32 v118, 0x7f800000 :: v_dual_mov_b32 v247, 0x7f800000
	;; [unrolled: 1-line block ×7, first 2 shown]
	s_ashr_i32 s18, s15, 31
	s_ashr_i32 s19, s20, 31
	s_add_u32 s8, s10, s8
	s_addc_u32 s9, s11, s9
	s_add_i32 s3, s3, -1
	v_dual_mov_b32 v236, 0x7f800000 :: v_dual_mov_b32 v245, 0x7f800000
	s_ashr_i32 s10, s3, 31
	v_dual_mov_b32 v244, 0x7f800000 :: v_dual_mov_b32 v235, 0x7f800000
	s_lshr_b32 s10, s10, 26
	v_dual_mov_b32 v238, 0x7f800000 :: v_dual_mov_b32 v207, 0x7f800000
	s_add_i32 s3, s3, s10
	v_dual_mov_b32 v232, 0x7f800000 :: v_dual_mov_b32 v193, 0x7f800000
	s_ashr_i32 s3, s3, 6
	v_dual_mov_b32 v128, 0x7f800000 :: v_dual_mov_b32 v197, 0x7f800000
	s_add_i32 s10, s3, 1
	s_not_b32 s3, s3
	v_cvt_f32_u32_e32 v1, s10
	v_dual_mov_b32 v234, 0x7f800000 :: v_dual_mov_b32 v199, 0x7f800000
	v_dual_mov_b32 v206, 0x7f800000 :: v_dual_mov_b32 v201, 0x7f800000
	s_delay_alu instid0(VALU_DEP_3)
	v_rcp_iflag_f32_e32 v1, v1
	v_dual_mov_b32 v192, 0x7f800000 :: v_dual_mov_b32 v203, 0x7f800000
	v_dual_mov_b32 v196, 0x7f800000 :: v_dual_mov_b32 v53, 0x7f800000
	;; [unrolled: 1-line block ×4, first 2 shown]
	v_mov_b32_e32 v113, 0x7f800000
	s_waitcnt_depctr 0xfff
	v_mul_f32_e32 v0, 0x4f7ffffe, v1
	v_lshl_add_u32 v1, v12, 3, v72
	v_dual_mov_b32 v202, 0x7f800000 :: v_dual_mov_b32 v213, 0x7f800000
	v_mov_b32_e32 v123, 0x7f800000
	s_delay_alu instid0(VALU_DEP_4) | instskip(NEXT) | instid1(VALU_DEP_4)
	v_cvt_u32_f32_e32 v0, v0
	v_lshrrev_b32_e32 v13, 6, v1
	v_and_b32_e32 v18, 63, v1
	v_dual_mov_b32 v204, 0x7f800000 :: v_dual_mov_b32 v217, 0x7f800000
	s_delay_alu instid0(VALU_DEP_4) | instskip(NEXT) | instid1(VALU_DEP_4)
	v_readfirstlane_b32 s11, v0
	v_mad_i64_i32 v[0:1], null, s15, v13, 0
	v_add_nc_u32_e32 v8, 4, v13
	v_mad_i64_i32 v[2:3], null, s20, v13, 0
	s_delay_alu instid0(VALU_DEP_4) | instskip(SKIP_2) | instid1(VALU_DEP_4)
	s_mul_i32 s3, s3, s11
	v_dual_mov_b32 v84, 0x7f800000 :: v_dual_mov_b32 v119, 0x7f800000
	s_mul_hi_u32 s3, s11, s3
	v_lshlrev_b64 v[0:1], 3, v[0:1]
	s_add_i32 s11, s11, s3
	v_mad_i64_i32 v[4:5], null, s15, v8, 0
	s_mul_hi_u32 s3, s14, s11
	v_mad_i64_i32 v[6:7], null, s20, v8, 0
	s_mul_i32 s11, s3, s10
	s_add_i32 s21, s3, 1
	s_sub_i32 s11, s14, s11
	scratch_store_b32 off, v8, off offset:372 ; 4-byte Folded Spill
	s_sub_i32 s22, s11, s10
	s_cmp_ge_u32 s11, s10
	v_lshlrev_b64 v[2:3], 3, v[2:3]
	s_cselect_b32 s3, s21, s3
	s_cselect_b32 s11, s22, s11
	s_add_i32 s21, s3, 1
	s_cmp_ge_u32 s11, s10
	v_add_co_u32 v8, vcc_lo, s12, v0
	s_cselect_b32 s3, s21, s3
	v_lshlrev_b64 v[4:5], 3, v[4:5]
	s_mul_i32 s10, s3, s10
	s_lshl_b32 s3, s3, 8
	s_sub_i32 s10, s14, s10
	v_or_b32_e32 v0, s3, v18
	s_lshl_b32 s10, s10, 6
	v_add_co_ci_u32_e32 v9, vcc_lo, s13, v1, vcc_lo
	v_add_co_u32 v10, vcc_lo, s16, v2
	s_delay_alu instid0(VALU_DEP_3)
	v_ashrrev_i32_e32 v1, 31, v0
	v_or_b32_e32 v2, s10, v18
	v_lshlrev_b64 v[6:7], 3, v[6:7]
	v_add_co_ci_u32_e32 v11, vcc_lo, s17, v3, vcc_lo
	v_add_co_u32 v4, vcc_lo, s12, v4
	v_lshlrev_b64 v[14:15], 3, v[0:1]
	v_ashrrev_i32_e32 v3, 31, v2
	v_add_co_ci_u32_e32 v5, vcc_lo, s13, v5, vcc_lo
	v_add_co_u32 v6, vcc_lo, s16, v6
	v_add_co_ci_u32_e32 v7, vcc_lo, s17, v7, vcc_lo
	s_delay_alu instid0(VALU_DEP_4)
	v_lshlrev_b64 v[19:20], 3, v[2:3]
	v_add_co_u32 v0, vcc_lo, v10, v14
	v_add_co_ci_u32_e32 v1, vcc_lo, v11, v15, vcc_lo
	v_add_co_u32 v2, vcc_lo, v6, v14
	v_add_co_ci_u32_e32 v3, vcc_lo, v7, v15, vcc_lo
	;; [unrolled: 2-line block ×3, first 2 shown]
	v_add_co_u32 v16, vcc_lo, v4, v19
	s_clause 0x1
	scratch_store_b64 off, v[14:15], off offset:336
	scratch_store_b64 off, v[19:20], off offset:344
	v_add_co_ci_u32_e32 v17, vcc_lo, v5, v20, vcc_lo
	s_clause 0x3
	flat_load_b64 v[19:20], v[0:1]
	flat_load_b64 v[21:22], v[0:1] offset:512
	flat_load_b64 v[4:5], v[0:1] offset:1024
	;; [unrolled: 1-line block ×3, first 2 shown]
	flat_load_b64 v[6:7], v[8:9]
	flat_load_b64 v[8:9], v[2:3]
	s_load_b64 s[8:9], s[8:9], 0x0
	v_dual_mov_b32 v82, 0x7f800000 :: v_dual_mov_b32 v195, 0x7f800000
	v_dual_mov_b32 v212, 0x7f800000 :: v_dual_mov_b32 v135, 0x7f800000
	;; [unrolled: 1-line block ×8, first 2 shown]
	v_mov_b32_e32 v132, 0x7f800000
	v_mov_b32_e32 v136, 0x7f800000
	;; [unrolled: 1-line block ×3, first 2 shown]
	s_mov_b32 s11, -1
	s_mov_b32 s14, 0
	v_mov_b32_e32 v137, 0x7f800000
	s_waitcnt vmcnt(0) lgkmcnt(0)
	scratch_store_b64 off, v[8:9], off offset:296 ; 8-byte Folded Spill
	flat_load_b64 v[8:9], v[2:3] offset:512
	s_waitcnt vmcnt(0) lgkmcnt(0)
	scratch_store_b64 off, v[8:9], off offset:304 ; 8-byte Folded Spill
	s_clause 0x1
	flat_load_b64 v[8:9], v[2:3] offset:1024
	flat_load_b64 v[2:3], v[2:3] offset:1536
	s_waitcnt vmcnt(1) lgkmcnt(1)
	scratch_store_b64 off, v[8:9], off offset:312 ; 8-byte Folded Spill
	s_waitcnt vmcnt(0) lgkmcnt(0)
	scratch_store_b64 off, v[2:3], off offset:320 ; 8-byte Folded Spill
	flat_load_b64 v[2:3], v[16:17]
	s_waitcnt vmcnt(0) lgkmcnt(0)
	scratch_store_b64 off, v[2:3], off offset:328 ; 8-byte Folded Spill
	v_lshlrev_b32_e32 v2, 3, v13
	s_delay_alu instid0(VALU_DEP_1) | instskip(NEXT) | instid1(VALU_DEP_1)
	v_lshl_add_u32 v2, v18, 5, v2
	v_or_b32_e32 v3, 0x4000, v2
	s_clause 0x1
	scratch_store_b32 off, v13, off offset:368
	scratch_store_b32 off, v3, off offset:380
	ds_store_2addr_stride64_b64 v2, v[19:20], v[21:22] offset1:4
	ds_store_2addr_stride64_b64 v2, v[4:5], v[0:1] offset0:8 offset1:12
	scratch_store_b32 off, v2, off offset:376 ; 4-byte Folded Spill
	ds_store_b64 v2, v[6:7] offset:16384
	s_waitcnt lgkmcnt(0)
	s_waitcnt_vscnt null, 0x0
	s_barrier
	buffer_gl0_inv
	s_clause 0x1
	scratch_store_b32 off, v72, off offset:292
	scratch_store_b32 off, v12, off
.LBB118_9:                              ; =>This Inner Loop Header: Depth=1
	s_lshl_b32 s14, s14, 3
	v_dual_mov_b32 v205, v53 :: v_dual_mov_b32 v210, v83
	s_waitcnt vmcnt(1)
	v_lshl_add_u32 v4, v12, 5, s14
	s_waitcnt vmcnt(0)
	v_lshl_add_u32 v5, v72, 5, s14
	v_dual_mov_b32 v209, v84 :: v_dual_mov_b32 v126, v234
	ds_load_b128 v[19:22], v4
	ds_load_b128 v[0:3], v5 offset:16384
	ds_load_b128 v[186:189], v5 offset:16640
	;; [unrolled: 1-line block ×3, first 2 shown]
	v_mov_b32_e32 v211, v82
	v_mov_b32_e32 v127, v235
	;; [unrolled: 1-line block ×4, first 2 shown]
	s_mov_b32 s14, 2
	s_and_not1_b32 vcc_lo, exec_lo, s11
	s_mov_b32 s11, 0
	s_waitcnt lgkmcnt(2)
	v_add_f64 v[6:7], v[2:3], v[21:22]
	scratch_store_b64 off, v[6:7], off offset:36 ; 8-byte Folded Spill
	v_add_f64 v[6:7], v[0:1], v[19:20]
	scratch_store_b64 off, v[6:7], off offset:100 ; 8-byte Folded Spill
	s_waitcnt lgkmcnt(1)
	v_add_f64 v[6:7], v[188:189], v[21:22]
	scratch_store_b64 off, v[6:7], off offset:4 ; 8-byte Folded Spill
	v_add_f64 v[6:7], v[186:187], v[19:20]
	scratch_store_b64 off, v[6:7], off offset:68 ; 8-byte Folded Spill
	ds_load_b128 v[31:34], v5 offset:16896
	ds_load_b128 v[35:38], v5 offset:17152
	s_waitcnt lgkmcnt(1)
	v_add_f64 v[6:7], v[33:34], v[21:22]
	scratch_store_b64 off, v[6:7], off offset:44 ; 8-byte Folded Spill
	v_add_f64 v[6:7], v[31:32], v[19:20]
	scratch_store_b64 off, v[6:7], off offset:108 ; 8-byte Folded Spill
	s_waitcnt lgkmcnt(0)
	v_add_f64 v[6:7], v[37:38], v[21:22]
	scratch_store_b64 off, v[6:7], off offset:12 ; 8-byte Folded Spill
	v_add_f64 v[6:7], v[35:36], v[19:20]
	scratch_store_b64 off, v[6:7], off offset:76 ; 8-byte Folded Spill
	ds_load_b128 v[39:42], v5 offset:17408
	ds_load_b128 v[43:46], v5 offset:17664
	ds_load_b128 v[47:50], v5 offset:17920
	ds_load_b128 v[51:54], v5 offset:18176
	s_waitcnt lgkmcnt(3)
	v_add_f64 v[6:7], v[41:42], v[21:22]
	scratch_store_b64 off, v[6:7], off offset:52 ; 8-byte Folded Spill
	v_add_f64 v[6:7], v[39:40], v[19:20]
	scratch_store_b64 off, v[6:7], off offset:116 ; 8-byte Folded Spill
	s_waitcnt lgkmcnt(2)
	v_add_f64 v[6:7], v[45:46], v[21:22]
	scratch_store_b64 off, v[6:7], off offset:20 ; 8-byte Folded Spill
	v_add_f64 v[6:7], v[43:44], v[19:20]
	scratch_store_b64 off, v[6:7], off offset:84 ; 8-byte Folded Spill
	;; [unrolled: 5-line block ×4, first 2 shown]
	v_add_f64 v[5:6], v[2:3], v[29:30]
	scratch_store_b64 off, v[5:6], off offset:132 ; 8-byte Folded Spill
	v_add_f64 v[5:6], v[0:1], v[27:28]
	scratch_store_b64 off, v[5:6], off offset:140 ; 8-byte Folded Spill
	;; [unrolled: 2-line block ×16, first 2 shown]
	ds_load_b128 v[19:22], v4 offset:2048
	ds_load_b128 v[27:30], v4 offset:3072
	s_waitcnt lgkmcnt(1)
	v_add_f64 v[5:6], v[45:46], v[21:22]
	v_add_f64 v[102:103], v[2:3], v[21:22]
	;; [unrolled: 1-line block ×13, first 2 shown]
	s_waitcnt lgkmcnt(0)
	v_add_f64 v[222:223], v[2:3], v[29:30]
	v_add_f64 v[224:225], v[0:1], v[27:28]
	;; [unrolled: 1-line block ×16, first 2 shown]
	scratch_store_b64 off, v[5:6], off offset:276 ; 8-byte Folded Spill
	v_add_f64 v[5:6], v[49:50], v[21:22]
	scratch_store_b64 off, v[5:6], off offset:268 ; 8-byte Folded Spill
	v_add_f64 v[5:6], v[53:54], v[21:22]
	;; [unrolled: 2-line block ×3, first 2 shown]
	scratch_store_b64 off, v[5:6], off offset:284 ; 8-byte Folded Spill
	ds_load_b128 v[19:22], v4 offset:4096
	ds_load_b128 v[27:30], v4 offset:5120
	s_waitcnt lgkmcnt(1)
	v_add_f64 v[254:255], v[2:3], v[21:22]
	v_add_f64 v[120:121], v[0:1], v[19:20]
	;; [unrolled: 1-line block ×16, first 2 shown]
	s_waitcnt lgkmcnt(0)
	v_add_f64 v[182:183], v[2:3], v[29:30]
	v_add_f64 v[178:179], v[0:1], v[27:28]
	v_add_f64 v[180:181], v[188:189], v[29:30]
	v_add_f64 v[174:175], v[186:187], v[27:28]
	v_add_f64 v[176:177], v[33:34], v[29:30]
	v_add_f64 v[170:171], v[31:32], v[27:28]
	v_add_f64 v[172:173], v[37:38], v[29:30]
	v_add_f64 v[166:167], v[35:36], v[27:28]
	v_add_f64 v[168:169], v[41:42], v[29:30]
	v_add_f64 v[162:163], v[39:40], v[27:28]
	v_add_f64 v[164:165], v[45:46], v[29:30]
	v_add_f64 v[158:159], v[43:44], v[27:28]
	v_add_f64 v[160:161], v[49:50], v[29:30]
	v_add_f64 v[154:155], v[47:48], v[27:28]
	v_add_f64 v[156:157], v[53:54], v[29:30]
	v_add_f64 v[152:153], v[51:52], v[27:28]
	ds_load_b128 v[19:22], v4 offset:6144
	ds_load_b128 v[27:30], v4 offset:7168
	s_waitcnt lgkmcnt(1)
	v_add_f64 v[65:66], v[0:1], v[19:20]
	v_add_f64 v[6:7], v[188:189], v[21:22]
	v_add_f64 v[100:101], v[186:187], v[19:20]
	v_add_f64 v[94:95], v[31:32], v[19:20]
	v_add_f64 v[98:99], v[35:36], v[19:20]
	v_add_f64 v[23:24], v[39:40], v[19:20]
	v_add_f64 v[71:72], v[43:44], v[19:20]
	v_add_f64 v[220:221], v[47:48], v[19:20]
	v_add_f64 v[19:20], v[51:52], v[19:20]
	s_waitcnt lgkmcnt(0)
	v_add_f64 v[0:1], v[0:1], v[27:28]
	v_add_f64 v[25:26], v[188:189], v[29:30]
	;; [unrolled: 1-line block ×9, first 2 shown]
	s_clause 0x1
	scratch_load_b64 v[51:52], off, off offset:100
	scratch_load_b64 v[188:189], off, off offset:36
	v_add_f64 v[4:5], v[2:3], v[21:22]
	v_add_f64 v[8:9], v[33:34], v[21:22]
	;; [unrolled: 1-line block ×14, first 2 shown]
	v_mov_b32_e32 v53, v205
	v_cvt_f32_f64_e32 v0, v[0:1]
	v_cvt_f32_f64_e32 v4, v[4:5]
	;; [unrolled: 1-line block ×4, first 2 shown]
	s_delay_alu instid0(VALU_DEP_1) | instskip(SKIP_2) | instid1(VALU_DEP_1)
	v_min3_f32 v190, v0, v1, v190
	v_cvt_f32_f64_e32 v0, v[186:187]
	v_cvt_f32_f64_e32 v1, v[25:26]
	v_min3_f32 v124, v0, v1, v124
	v_cvt_f32_f64_e32 v0, v[31:32]
	v_cvt_f32_f64_e32 v1, v[33:34]
	s_delay_alu instid0(VALU_DEP_1) | instskip(SKIP_2) | instid1(VALU_DEP_1)
	v_min3_f32 v134, v0, v1, v134
	v_cvt_f32_f64_e32 v0, v[35:36]
	v_cvt_f32_f64_e32 v1, v[37:38]
	v_min3_f32 v123, v0, v1, v123
	v_cvt_f32_f64_e32 v0, v[39:40]
	v_cvt_f32_f64_e32 v1, v[41:42]
	;; [unrolled: 7-line block ×3, first 2 shown]
	s_waitcnt vmcnt(1)
	v_cvt_f32_f64_e32 v51, v[51:52]
	s_waitcnt vmcnt(0)
	v_cvt_f32_f64_e32 v52, v[188:189]
	scratch_load_b64 v[188:189], off, off offset:4 ; 8-byte Folded Reload
	v_min3_f32 v113, v0, v1, v113
	v_cvt_f32_f64_e32 v0, v[27:28]
	v_cvt_f32_f64_e32 v1, v[29:30]
	v_min3_f32 v139, v51, v52, v139
	scratch_load_b64 v[51:52], off, off offset:68 ; 8-byte Folded Reload
	v_min3_f32 v112, v0, v1, v112
	s_waitcnt vmcnt(0)
	v_cvt_f32_f64_e32 v51, v[51:52]
	v_cvt_f32_f64_e32 v52, v[188:189]
	scratch_load_b64 v[188:189], off, off offset:44 ; 8-byte Folded Reload
	v_min3_f32 v138, v51, v52, v138
	scratch_load_b64 v[51:52], off, off offset:108 ; 8-byte Folded Reload
	s_waitcnt vmcnt(0)
	v_cvt_f32_f64_e32 v51, v[51:52]
	v_cvt_f32_f64_e32 v52, v[188:189]
	scratch_load_b64 v[188:189], off, off offset:12 ; 8-byte Folded Reload
	v_min3_f32 v137, v51, v52, v137
	scratch_load_b64 v[51:52], off, off offset:76 ; 8-byte Folded Reload
	;; [unrolled: 6-line block ×14, first 2 shown]
	s_waitcnt vmcnt(0)
	v_cvt_f32_f64_e32 v51, v[51:52]
	v_cvt_f32_f64_e32 v52, v[188:189]
	s_delay_alu instid0(VALU_DEP_1) | instskip(SKIP_2) | instid1(VALU_DEP_1)
	v_min3_f32 v119, v51, v52, v119
	v_cvt_f32_f64_e32 v51, v[90:91]
	v_cvt_f32_f64_e32 v52, v[102:103]
	v_min3_f32 v218, v51, v52, v218
	v_cvt_f32_f64_e32 v51, v[214:215]
	v_cvt_f32_f64_e32 v52, v[104:105]
	s_delay_alu instid0(VALU_DEP_1) | instskip(SKIP_3) | instid1(VALU_DEP_2)
	v_min3_f32 v217, v51, v52, v217
	v_cvt_f32_f64_e32 v51, v[82:83]
	v_cvt_f32_f64_e32 v52, v[96:97]
	v_mov_b32_e32 v83, v210
	v_min3_f32 v216, v51, v52, v216
	v_cvt_f32_f64_e32 v51, v[78:79]
	scratch_load_b64 v[78:79], off, off offset:276 ; 8-byte Folded Reload
	v_cvt_f32_f64_e32 v52, v[92:93]
	s_delay_alu instid0(VALU_DEP_1) | instskip(SKIP_2) | instid1(VALU_DEP_1)
	v_min3_f32 v86, v51, v52, v86
	v_cvt_f32_f64_e32 v51, v[87:88]
	v_cvt_f32_f64_e32 v52, v[184:185]
	v_min3_f32 v213, v51, v52, v213
	v_cvt_f32_f64_e32 v51, v[84:85]
	v_mov_b32_e32 v84, v209
	v_mov_b32_e32 v82, v211
	s_waitcnt vmcnt(0)
	v_cvt_f32_f64_e32 v52, v[78:79]
	scratch_load_b64 v[78:79], off, off offset:268 ; 8-byte Folded Reload
	v_min3_f32 v212, v51, v52, v212
	v_cvt_f32_f64_e32 v51, v[80:81]
	s_waitcnt vmcnt(0)
	v_cvt_f32_f64_e32 v52, v[78:79]
	scratch_load_b64 v[78:79], off, off offset:260 ; 8-byte Folded Reload
	v_min3_f32 v82, v51, v52, v82
	scratch_load_b64 v[51:52], off, off offset:284 ; 8-byte Folded Reload
	s_waitcnt vmcnt(0)
	v_cvt_f32_f64_e32 v51, v[51:52]
	v_cvt_f32_f64_e32 v52, v[78:79]
	s_delay_alu instid0(VALU_DEP_1) | instskip(SKIP_2) | instid1(VALU_DEP_1)
	v_min3_f32 v83, v51, v52, v83
	v_cvt_f32_f64_e32 v51, v[224:225]
	v_cvt_f32_f64_e32 v52, v[222:223]
	v_min3_f32 v84, v51, v52, v84
	v_cvt_f32_f64_e32 v51, v[228:229]
	v_cvt_f32_f64_e32 v52, v[226:227]
	s_delay_alu instid0(VALU_DEP_1) | instskip(SKIP_2) | instid1(VALU_DEP_1)
	v_min3_f32 v89, v51, v52, v89
	v_cvt_f32_f64_e32 v51, v[74:75]
	v_cvt_f32_f64_e32 v52, v[230:231]
	v_min3_f32 v53, v51, v52, v53
	v_cvt_f32_f64_e32 v51, v[110:111]
	v_cvt_f32_f64_e32 v52, v[234:235]
	v_dual_mov_b32 v234, v126 :: v_dual_mov_b32 v235, v127
	s_delay_alu instid0(VALU_DEP_2) | instskip(SKIP_2) | instid1(VALU_DEP_1)
	v_min3_f32 v204, v51, v52, v204
	v_cvt_f32_f64_e32 v51, v[108:109]
	v_cvt_f32_f64_e32 v52, v[114:115]
	v_min3_f32 v203, v51, v52, v203
	v_cvt_f32_f64_e32 v51, v[106:107]
	v_cvt_f32_f64_e32 v52, v[242:243]
	v_mov_b32_e32 v243, v73
	v_mov_b32_e32 v73, v241
	s_delay_alu instid0(VALU_DEP_3) | instskip(SKIP_2) | instid1(VALU_DEP_1)
	v_min3_f32 v202, v51, v52, v202
	v_cvt_f32_f64_e32 v51, v[248:249]
	v_cvt_f32_f64_e32 v52, v[116:117]
	v_min3_f32 v201, v51, v52, v201
	v_cvt_f32_f64_e32 v51, v[252:253]
	v_cvt_f32_f64_e32 v52, v[250:251]
	s_delay_alu instid0(VALU_DEP_1) | instskip(SKIP_2) | instid1(VALU_DEP_1)
	v_min3_f32 v200, v51, v52, v200
	v_cvt_f32_f64_e32 v51, v[120:121]
	v_cvt_f32_f64_e32 v52, v[254:255]
	v_min3_f32 v199, v51, v52, v199
	v_cvt_f32_f64_e32 v51, v[55:56]
	v_cvt_f32_f64_e32 v52, v[59:60]
	s_delay_alu instid0(VALU_DEP_1) | instskip(SKIP_2) | instid1(VALU_DEP_1)
	;; [unrolled: 7-line block ×8, first 2 shown]
	v_min3_f32 v237, v51, v52, v237
	v_cvt_f32_f64_e32 v51, v[154:155]
	v_cvt_f32_f64_e32 v52, v[160:161]
	v_min3_f32 v238, v51, v52, v238
	v_cvt_f32_f64_e32 v51, v[152:153]
	v_cvt_f32_f64_e32 v52, v[156:157]
	s_delay_alu instid0(VALU_DEP_1) | instskip(SKIP_1) | instid1(VALU_DEP_1)
	v_min3_f32 v243, v51, v52, v243
	v_cvt_f32_f64_e32 v51, v[65:66]
	v_min3_f32 v244, v51, v4, v244
	v_cvt_f32_f64_e32 v4, v[100:101]
	s_delay_alu instid0(VALU_DEP_1) | instskip(SKIP_2) | instid1(VALU_DEP_1)
	v_min3_f32 v73, v4, v5, v73
	v_cvt_f32_f64_e32 v4, v[94:95]
	v_cvt_f32_f64_e32 v5, v[8:9]
	v_min3_f32 v239, v4, v5, v239
	v_cvt_f32_f64_e32 v4, v[98:99]
	v_cvt_f32_f64_e32 v5, v[10:11]
	s_delay_alu instid0(VALU_DEP_1)
	v_min3_f32 v236, v4, v5, v236
	v_cvt_f32_f64_e32 v4, v[23:24]
	v_cvt_f32_f64_e32 v5, v[12:13]
	scratch_load_b32 v12, off, off          ; 4-byte Folded Reload
	v_min3_f32 v219, v4, v5, v219
	v_cvt_f32_f64_e32 v4, v[71:72]
	scratch_load_b32 v72, off, off offset:292 ; 4-byte Folded Reload
	v_cvt_f32_f64_e32 v5, v[14:15]
	s_delay_alu instid0(VALU_DEP_1) | instskip(SKIP_2) | instid1(VALU_DEP_1)
	v_min3_f32 v247, v4, v5, v247
	v_cvt_f32_f64_e32 v4, v[220:221]
	v_cvt_f32_f64_e32 v5, v[16:17]
	v_min3_f32 v194, v4, v5, v194
	v_cvt_f32_f64_e32 v4, v[19:20]
	v_cvt_f32_f64_e32 v5, v[21:22]
	s_delay_alu instid0(VALU_DEP_1)
	v_min3_f32 v125, v4, v5, v125
	s_cbranch_vccz .LBB118_9
; %bb.10:
	scratch_load_b32 v1, off, off offset:368 ; 4-byte Folded Reload
	v_dual_mov_b32 v49, v212 :: v_dual_lshlrev_b32 v0, 5, v18
	s_load_b32 s11, s[0:1], 0x8
	v_dual_mov_b32 v47, v217 :: v_dual_mov_b32 v230, v86
	v_dual_mov_b32 v51, v203 :: v_dual_mov_b32 v46, v216
	v_mov_b32_e32 v141, v201
	v_mov_b32_e32 v143, v199
	v_mov_b32_e32 v69, v197
	v_mov_b32_e32 v71, v193
	v_mov_b32_e32 v229, v213
	s_waitcnt lgkmcnt(0)
	s_cmp_lt_i32 s11, 9
	s_waitcnt vmcnt(0)
	v_lshl_add_u32 v0, v1, 3, v0
	scratch_load_b64 v[1:2], off, off offset:328 ; 8-byte Folded Reload
	s_waitcnt vmcnt(0)
	ds_store_b64 v0, v[1:2] offset:18432
	s_clause 0x1
	scratch_load_b64 v[1:2], off, off offset:296
	scratch_load_b64 v[3:4], off, off offset:304
	s_waitcnt vmcnt(0)
	ds_store_2addr_stride64_b64 v0, v[1:2], v[3:4] offset0:16 offset1:20
	s_clause 0x1
	scratch_load_b64 v[1:2], off, off offset:312
	scratch_load_b64 v[3:4], off, off offset:320
	s_waitcnt vmcnt(0)
	ds_store_2addr_stride64_b64 v0, v[1:2], v[3:4] offset0:24 offset1:28
	s_waitcnt lgkmcnt(0)
	s_waitcnt_vscnt null, 0x0
	s_barrier
	buffer_gl0_inv
	s_cbranch_scc1 .LBB118_18
; %bb.11:
	v_dual_mov_b32 v48, v82 :: v_dual_add_nc_u32 v1, 0x4800, v0
	v_or_b32_e32 v0, 0x2000, v0
	v_mov_b32_e32 v52, v204
	v_mov_b32_e32 v50, v202
	;; [unrolled: 1-line block ×3, first 2 shown]
	s_clause 0x1
	scratch_store_b32 off, v1, off offset:384
	scratch_store_b32 off, v0, off offset:388
	scratch_load_b64 v[0:1], off, off offset:344 ; 8-byte Folded Reload
	v_mov_b32_e32 v142, v198
	v_mov_b32_e32 v68, v196
	;; [unrolled: 1-line block ×3, first 2 shown]
	s_add_i32 s11, s11, -8
	s_waitcnt vmcnt(0)
	v_add_co_u32 v0, vcc_lo, s12, v0
	s_mov_b32 s12, 8
	scratch_store_b32 off, v0, off offset:296 ; 4-byte Folded Spill
	v_add_co_ci_u32_e32 v0, vcc_lo, s13, v1, vcc_lo
	s_mov_b32 s13, 0
	scratch_store_b32 off, v0, off offset:304 ; 4-byte Folded Spill
	scratch_load_b64 v[0:1], off, off offset:336 ; 8-byte Folded Reload
	s_waitcnt vmcnt(0)
	v_add_co_u32 v0, vcc_lo, s16, v0
	scratch_store_b32 off, v0, off offset:312 ; 4-byte Folded Spill
	v_add_co_ci_u32_e32 v0, vcc_lo, s17, v1, vcc_lo
	scratch_store_b32 off, v0, off offset:320 ; 4-byte Folded Spill
.LBB118_12:                             ; =>This Loop Header: Depth=1
                                        ;     Child Loop BB118_13 Depth 2
                                        ;     Child Loop BB118_15 Depth 2
	scratch_load_b32 v0, off, off offset:368 ; 4-byte Folded Reload
	v_mov_b32_e32 v85, v89
	v_mov_b32_e32 v9, v83
	s_mov_b32 s14, -1
	s_mov_b32 s16, 0
	s_waitcnt vmcnt(0)
	v_dual_mov_b32 v228, v230 :: v_dual_add_nc_u32 v7, s12, v0
	s_delay_alu instid0(VALU_DEP_1) | instskip(SKIP_1) | instid1(VALU_DEP_1)
	v_mad_u64_u32 v[0:1], null, v7, s15, 0
	v_mad_u64_u32 v[2:3], null, v7, s20, 0
	;; [unrolled: 1-line block ×3, first 2 shown]
	s_delay_alu instid0(VALU_DEP_1) | instskip(SKIP_4) | instid1(VALU_DEP_1)
	v_mad_u64_u32 v[5:6], null, v7, s19, v[3:4]
	v_mov_b32_e32 v1, v4
	scratch_load_b32 v4, off, off offset:296 ; 4-byte Folded Reload
	v_lshlrev_b64 v[0:1], 3, v[0:1]
	v_mov_b32_e32 v3, v5
	v_lshlrev_b64 v[2:3], 3, v[2:3]
	s_waitcnt vmcnt(0)
	s_delay_alu instid0(VALU_DEP_3)
	v_add_co_u32 v0, vcc_lo, v4, v0
	scratch_load_b32 v4, off, off offset:304 ; 4-byte Folded Reload
	s_waitcnt vmcnt(0)
	v_add_co_ci_u32_e32 v1, vcc_lo, v4, v1, vcc_lo
	scratch_load_b32 v4, off, off offset:312 ; 4-byte Folded Reload
	flat_load_b64 v[0:1], v[0:1]
	s_waitcnt vmcnt(1)
	v_add_co_u32 v2, vcc_lo, v4, v2
	scratch_load_b32 v4, off, off offset:320 ; 4-byte Folded Reload
	s_waitcnt vmcnt(1) lgkmcnt(0)
	scratch_store_b64 off, v[0:1], off offset:328 ; 8-byte Folded Spill
	s_waitcnt vmcnt(0)
	v_add_co_ci_u32_e32 v3, vcc_lo, v4, v3, vcc_lo
	flat_load_b64 v[0:1], v[2:3]
	s_waitcnt vmcnt(0) lgkmcnt(0)
	scratch_store_b64 off, v[0:1], off offset:336 ; 8-byte Folded Spill
	flat_load_b64 v[0:1], v[2:3] offset:512
	s_waitcnt vmcnt(0) lgkmcnt(0)
	scratch_store_b64 off, v[0:1], off offset:344 ; 8-byte Folded Spill
	flat_load_b64 v[0:1], v[2:3] offset:1024
	;; [unrolled: 3-line block ×3, first 2 shown]
	s_waitcnt vmcnt(0) lgkmcnt(0)
	scratch_store_b64 off, v[0:1], off offset:360 ; 8-byte Folded Spill
.LBB118_13:                             ;   Parent Loop BB118_12 Depth=1
                                        ; =>  This Inner Loop Header: Depth=2
	s_lshl_b32 s16, s16, 3
	v_mov_b32_e32 v241, v237
	v_lshl_add_u32 v24, v12, 5, s16
	v_lshl_add_u32 v4, v72, 5, s16
	v_mov_b32_e32 v237, v243
	s_mov_b32 s16, 2
	s_and_not1_b32 vcc_lo, exec_lo, s14
	ds_load_b128 v[42:45], v24 offset:8192
	ds_load_b128 v[0:3], v4 offset:18432
	;; [unrolled: 1-line block ×4, first 2 shown]
	s_mov_b32 s14, 0
	s_waitcnt lgkmcnt(2)
	v_add_f64 v[20:21], v[0:1], v[42:43]
	s_waitcnt lgkmcnt(1)
	v_add_f64 v[5:6], v[152:153], v[44:45]
	v_add_f64 v[66:67], v[2:3], v[44:45]
	scratch_store_b64 off, v[5:6], off offset:4 ; 8-byte Folded Spill
	v_add_f64 v[5:6], v[150:151], v[42:43]
	v_cvt_f32_f64_e32 v27, v[66:67]
	scratch_store_b64 off, v[5:6], off offset:60 ; 8-byte Folded Spill
	ds_load_b128 v[158:161], v4 offset:18944
	ds_load_b128 v[162:165], v4 offset:19200
	s_waitcnt lgkmcnt(1)
	v_add_f64 v[5:6], v[160:161], v[44:45]
	scratch_store_b64 off, v[5:6], off offset:36 ; 8-byte Folded Spill
	v_add_f64 v[5:6], v[158:159], v[42:43]
	scratch_store_b64 off, v[5:6], off offset:92 ; 8-byte Folded Spill
	s_waitcnt lgkmcnt(0)
	v_add_f64 v[5:6], v[164:165], v[44:45]
	scratch_store_b64 off, v[5:6], off offset:12 ; 8-byte Folded Spill
	v_add_f64 v[5:6], v[162:163], v[42:43]
	scratch_store_b64 off, v[5:6], off offset:68 ; 8-byte Folded Spill
	ds_load_b128 v[166:169], v4 offset:19456
	ds_load_b128 v[170:173], v4 offset:19712
	s_waitcnt lgkmcnt(1)
	v_add_f64 v[5:6], v[168:169], v[44:45]
	scratch_store_b64 off, v[5:6], off offset:44 ; 8-byte Folded Spill
	v_add_f64 v[5:6], v[166:167], v[42:43]
	scratch_store_b64 off, v[5:6], off offset:100 ; 8-byte Folded Spill
	s_waitcnt lgkmcnt(0)
	v_add_f64 v[5:6], v[172:173], v[44:45]
	scratch_store_b64 off, v[5:6], off offset:20 ; 8-byte Folded Spill
	v_add_f64 v[5:6], v[170:171], v[42:43]
	scratch_store_b64 off, v[5:6], off offset:76 ; 8-byte Folded Spill
	ds_load_b128 v[174:177], v4 offset:19968
	ds_load_b128 v[178:181], v4 offset:20224
	s_waitcnt lgkmcnt(1)
	v_add_f64 v[4:5], v[176:177], v[44:45]
	scratch_store_b64 off, v[4:5], off offset:52 ; 8-byte Folded Spill
	v_add_f64 v[4:5], v[174:175], v[42:43]
	scratch_store_b64 off, v[4:5], off offset:108 ; 8-byte Folded Spill
	s_waitcnt lgkmcnt(0)
	v_add_f64 v[4:5], v[180:181], v[44:45]
	scratch_store_b64 off, v[4:5], off offset:28 ; 8-byte Folded Spill
	v_add_f64 v[4:5], v[178:179], v[42:43]
	scratch_store_b64 off, v[4:5], off offset:84 ; 8-byte Folded Spill
	v_add_f64 v[4:5], v[2:3], v[156:157]
	scratch_store_b64 off, v[4:5], off offset:116 ; 8-byte Folded Spill
	v_add_f64 v[4:5], v[0:1], v[154:155]
	;; [unrolled: 2-line block ×16, first 2 shown]
	scratch_store_b64 off, v[4:5], off offset:236 ; 8-byte Folded Spill
	ds_load_b128 v[154:157], v24 offset:10240
	ds_load_b128 v[182:185], v24 offset:11264
	s_waitcnt lgkmcnt(1)
	v_add_f64 v[4:5], v[168:169], v[156:157]
	v_add_f64 v[36:37], v[2:3], v[156:157]
	;; [unrolled: 1-line block ×11, first 2 shown]
	s_waitcnt lgkmcnt(0)
	v_add_f64 v[40:41], v[2:3], v[184:185]
	v_add_f64 v[220:221], v[0:1], v[182:183]
	;; [unrolled: 1-line block ×16, first 2 shown]
	scratch_store_b64 off, v[4:5], off offset:276 ; 8-byte Folded Spill
	v_add_f64 v[4:5], v[172:173], v[156:157]
	scratch_store_b64 off, v[4:5], off offset:260 ; 8-byte Folded Spill
	v_add_f64 v[5:6], v[176:177], v[156:157]
	;; [unrolled: 2-line block ×5, first 2 shown]
	scratch_store_b64 off, v[5:6], off offset:268 ; 8-byte Folded Spill
	ds_load_b128 v[154:157], v24 offset:12288
	ds_load_b128 v[182:185], v24 offset:13312
	s_waitcnt lgkmcnt(1)
	v_add_f64 v[250:251], v[2:3], v[156:157]
	v_add_f64 v[252:253], v[0:1], v[154:155]
	;; [unrolled: 1-line block ×16, first 2 shown]
	s_waitcnt lgkmcnt(0)
	v_add_f64 v[76:77], v[2:3], v[184:185]
	v_add_f64 v[78:79], v[0:1], v[182:183]
	;; [unrolled: 1-line block ×16, first 2 shown]
	ds_load_b128 v[154:157], v24 offset:14336
	ds_load_b128 v[182:185], v24 offset:15360
	v_cvt_f32_f64_e32 v24, v[20:21]
	scratch_load_b64 v[20:21], off, off offset:60 ; 8-byte Folded Reload
	v_cvt_f32_f64_e32 v4, v[16:17]
	v_cvt_f32_f64_e32 v6, v[5:6]
	;; [unrolled: 1-line block ×3, first 2 shown]
	s_waitcnt lgkmcnt(1)
	v_add_f64 v[96:97], v[2:3], v[156:157]
	v_add_f64 v[214:215], v[0:1], v[154:155]
	s_waitcnt lgkmcnt(0)
	v_add_f64 v[2:3], v[2:3], v[184:185]
	v_add_f64 v[0:1], v[0:1], v[182:183]
	;; [unrolled: 1-line block ×18, first 2 shown]
	v_min3_f32 v139, v24, v27, v139
	v_add_f64 v[192:193], v[172:173], v[156:157]
	v_add_f64 v[202:203], v[170:171], v[154:155]
	;; [unrolled: 1-line block ×11, first 2 shown]
	v_min3_f32 v68, v6, v4, v68
	v_cvt_f32_f64_e32 v4, v[12:13]
	v_add_f64 v[178:179], v[178:179], v[182:183]
	scratch_load_b32 v12, off, off          ; 4-byte Folded Reload
	v_cvt_f32_f64_e32 v0, v[0:1]
	v_cvt_f32_f64_e32 v1, v[2:3]
	v_min3_f32 v71, v4, v5, v71
	v_cvt_f32_f64_e32 v4, v[14:15]
	v_cvt_f32_f64_e32 v5, v[22:23]
	s_delay_alu instid0(VALU_DEP_4) | instskip(SKIP_2) | instid1(VALU_DEP_4)
	v_min3_f32 v190, v0, v1, v190
	v_cvt_f32_f64_e32 v0, v[150:151]
	v_cvt_f32_f64_e32 v1, v[152:153]
	v_min3_f32 v70, v4, v5, v70
	v_cvt_f32_f64_e32 v4, v[126:127]
	v_cvt_f32_f64_e32 v5, v[28:29]
	s_delay_alu instid0(VALU_DEP_4) | instskip(SKIP_2) | instid1(VALU_DEP_4)
	v_min3_f32 v124, v0, v1, v124
	;; [unrolled: 7-line block ×5, first 2 shown]
	v_cvt_f32_f64_e32 v0, v[170:171]
	v_cvt_f32_f64_e32 v1, v[172:173]
	v_min3_f32 v234, v4, v5, v234
	v_cvt_f32_f64_e32 v4, v[58:59]
	v_cvt_f32_f64_e32 v5, v[56:57]
	s_delay_alu instid0(VALU_DEP_4)
	v_min3_f32 v118, v0, v1, v118
	v_cvt_f32_f64_e32 v0, v[174:175]
	v_cvt_f32_f64_e32 v1, v[176:177]
	s_waitcnt vmcnt(1)
	v_cvt_f32_f64_e32 v24, v[20:21]
	scratch_load_b64 v[20:21], off, off offset:4 ; 8-byte Folded Reload
	v_min3_f32 v128, v4, v5, v128
	v_cvt_f32_f64_e32 v4, v[60:61]
	v_cvt_f32_f64_e32 v5, v[82:83]
	v_min3_f32 v113, v0, v1, v113
	v_cvt_f32_f64_e32 v0, v[178:179]
	v_cvt_f32_f64_e32 v1, v[180:181]
	s_delay_alu instid0(VALU_DEP_4) | instskip(SKIP_2) | instid1(VALU_DEP_4)
	v_min3_f32 v232, v4, v5, v232
	v_cvt_f32_f64_e32 v4, v[7:8]
	v_cvt_f32_f64_e32 v5, v[62:63]
	v_min3_f32 v112, v0, v1, v112
	s_delay_alu instid0(VALU_DEP_2)
	v_min3_f32 v245, v4, v5, v245
	v_cvt_f32_f64_e32 v4, v[86:87]
	v_cvt_f32_f64_e32 v5, v[10:11]
	s_waitcnt vmcnt(0)
	v_cvt_f32_f64_e32 v27, v[20:21]
	scratch_load_b64 v[20:21], off, off offset:92 ; 8-byte Folded Reload
	v_min3_f32 v138, v24, v27, v138
	s_waitcnt vmcnt(0)
	v_cvt_f32_f64_e32 v24, v[20:21]
	scratch_load_b64 v[20:21], off, off offset:36 ; 8-byte Folded Reload
	s_waitcnt vmcnt(0)
	v_cvt_f32_f64_e32 v27, v[20:21]
	scratch_load_b64 v[20:21], off, off offset:68 ; 8-byte Folded Reload
	v_min3_f32 v137, v24, v27, v137
	s_waitcnt vmcnt(0)
	v_cvt_f32_f64_e32 v24, v[20:21]
	scratch_load_b64 v[20:21], off, off offset:12 ; 8-byte Folded Reload
	;; [unrolled: 7-line block ×14, first 2 shown]
	s_waitcnt vmcnt(0)
	v_cvt_f32_f64_e32 v27, v[20:21]
	v_cvt_f32_f64_e32 v20, v[38:39]
	;; [unrolled: 1-line block ×3, first 2 shown]
	s_delay_alu instid0(VALU_DEP_3) | instskip(SKIP_3) | instid1(VALU_DEP_1)
	v_min3_f32 v119, v24, v27, v119
	v_cvt_f32_f64_e32 v27, v[36:37]
	scratch_load_b64 v[36:37], off, off offset:276 ; 8-byte Folded Reload
	v_cvt_f32_f64_e32 v24, v[100:101]
	v_min3_f32 v218, v24, v27, v218
	v_cvt_f32_f64_e32 v24, v[102:103]
	s_delay_alu instid0(VALU_DEP_1) | instskip(SKIP_1) | instid1(VALU_DEP_1)
	v_min3_f32 v47, v24, v20, v47
	v_cvt_f32_f64_e32 v20, v[104:105]
	v_min3_f32 v46, v20, v21, v46
	v_cvt_f32_f64_e32 v20, v[186:187]
	v_cvt_f32_f64_e32 v21, v[106:107]
	s_delay_alu instid0(VALU_DEP_1)
	v_min3_f32 v228, v20, v21, v228
	v_cvt_f32_f64_e32 v20, v[42:43]
	s_waitcnt vmcnt(0)
	v_cvt_f32_f64_e32 v21, v[36:37]
	scratch_load_b64 v[36:37], off, off offset:260 ; 8-byte Folded Reload
	v_min3_f32 v229, v20, v21, v229
	v_cvt_f32_f64_e32 v20, v[64:65]
	s_waitcnt vmcnt(0)
	v_cvt_f32_f64_e32 v21, v[36:37]
	scratch_load_b64 v[36:37], off, off offset:252 ; 8-byte Folded Reload
	v_min3_f32 v49, v20, v21, v49
	scratch_load_b64 v[20:21], off, off offset:284 ; 8-byte Folded Reload
	s_waitcnt vmcnt(0)
	v_cvt_f32_f64_e32 v20, v[20:21]
	v_cvt_f32_f64_e32 v21, v[36:37]
	scratch_load_b64 v[36:37], off, off offset:244 ; 8-byte Folded Reload
	v_min3_f32 v48, v20, v21, v48
	scratch_load_b64 v[20:21], off, off offset:268 ; 8-byte Folded Reload
	s_waitcnt vmcnt(0)
	v_cvt_f32_f64_e32 v20, v[20:21]
	v_cvt_f32_f64_e32 v21, v[36:37]
	s_delay_alu instid0(VALU_DEP_1) | instskip(SKIP_2) | instid1(VALU_DEP_1)
	v_min3_f32 v9, v20, v21, v9
	v_cvt_f32_f64_e32 v20, v[220:221]
	v_cvt_f32_f64_e32 v21, v[40:41]
	v_min3_f32 v84, v20, v21, v84
	v_cvt_f32_f64_e32 v20, v[224:225]
	v_cvt_f32_f64_e32 v21, v[222:223]
	s_delay_alu instid0(VALU_DEP_1) | instskip(SKIP_2) | instid1(VALU_DEP_1)
	v_min3_f32 v85, v20, v21, v85
	v_cvt_f32_f64_e32 v20, v[34:35]
	v_cvt_f32_f64_e32 v21, v[226:227]
	v_min3_f32 v53, v20, v21, v53
	v_cvt_f32_f64_e32 v20, v[74:75]
	v_cvt_f32_f64_e32 v21, v[230:231]
	s_delay_alu instid0(VALU_DEP_1) | instskip(SKIP_2) | instid1(VALU_DEP_1)
	v_min3_f32 v52, v20, v21, v52
	v_cvt_f32_f64_e32 v20, v[114:115]
	v_cvt_f32_f64_e32 v21, v[32:33]
	v_min3_f32 v51, v20, v21, v51
	v_cvt_f32_f64_e32 v20, v[110:111]
	v_cvt_f32_f64_e32 v21, v[116:117]
	s_delay_alu instid0(VALU_DEP_1) | instskip(SKIP_4) | instid1(VALU_DEP_2)
	v_min3_f32 v50, v20, v21, v50
	v_cvt_f32_f64_e32 v21, v[242:243]
	v_mov_b32_e32 v243, v237
	v_mov_b32_e32 v237, v241
	v_cvt_f32_f64_e32 v20, v[108:109]
	v_min3_f32 v237, v4, v5, v237
	v_cvt_f32_f64_e32 v4, v[90:91]
	v_cvt_f32_f64_e32 v5, v[88:89]
	s_delay_alu instid0(VALU_DEP_4) | instskip(SKIP_2) | instid1(VALU_DEP_4)
	v_min3_f32 v141, v20, v21, v141
	v_cvt_f32_f64_e32 v20, v[248:249]
	v_cvt_f32_f64_e32 v21, v[120:121]
	v_min3_f32 v238, v4, v5, v238
	v_cvt_f32_f64_e32 v4, v[94:95]
	v_cvt_f32_f64_e32 v5, v[92:93]
	s_delay_alu instid0(VALU_DEP_4) | instskip(SKIP_2) | instid1(VALU_DEP_4)
	v_min3_f32 v140, v20, v21, v140
	v_cvt_f32_f64_e32 v20, v[252:253]
	;; [unrolled: 7-line block ×4, first 2 shown]
	v_cvt_f32_f64_e32 v21, v[146:147]
	v_min3_f32 v73, v4, v5, v73
	v_cvt_f32_f64_e32 v4, v[216:217]
	v_cvt_f32_f64_e32 v5, v[204:205]
	s_delay_alu instid0(VALU_DEP_4) | instskip(NEXT) | instid1(VALU_DEP_2)
	v_min3_f32 v69, v20, v21, v69
	v_min3_f32 v239, v4, v5, v239
	v_cvt_f32_f64_e32 v4, v[212:213]
	v_cvt_f32_f64_e32 v5, v[200:201]
	s_delay_alu instid0(VALU_DEP_1) | instskip(SKIP_2) | instid1(VALU_DEP_1)
	v_min3_f32 v236, v4, v5, v236
	v_cvt_f32_f64_e32 v4, v[208:209]
	v_cvt_f32_f64_e32 v5, v[196:197]
	v_min3_f32 v219, v4, v5, v219
	v_cvt_f32_f64_e32 v4, v[202:203]
	v_cvt_f32_f64_e32 v5, v[192:193]
	s_delay_alu instid0(VALU_DEP_1) | instskip(SKIP_2) | instid1(VALU_DEP_1)
	v_min3_f32 v247, v4, v5, v247
	v_cvt_f32_f64_e32 v4, v[198:199]
	v_cvt_f32_f64_e32 v5, v[188:189]
	v_min3_f32 v194, v4, v5, v194
	v_cvt_f32_f64_e32 v4, v[154:155]
	v_cvt_f32_f64_e32 v5, v[156:157]
	s_delay_alu instid0(VALU_DEP_1)
	v_min3_f32 v125, v4, v5, v125
	s_cbranch_vccz .LBB118_13
; %bb.14:                               ;   in Loop: Header=BB118_12 Depth=1
	scratch_load_b32 v0, off, off offset:372 ; 4-byte Folded Reload
	v_dual_mov_b32 v89, v85 :: v_dual_mov_b32 v230, v228
	v_mov_b32_e32 v83, v9
	s_mov_b32 s16, 0
	s_mov_b32 s14, -1
	v_mov_b32_e32 v126, v73
	s_waitcnt vmcnt(0)
	v_add_nc_u32_e32 v4, s12, v0
	s_delay_alu instid0(VALU_DEP_1) | instskip(SKIP_1) | instid1(VALU_DEP_1)
	v_mad_u64_u32 v[0:1], null, v4, s15, 0
	v_mad_u64_u32 v[2:3], null, v4, s20, 0
	;; [unrolled: 1-line block ×3, first 2 shown]
	s_delay_alu instid0(VALU_DEP_1) | instskip(NEXT) | instid1(VALU_DEP_3)
	v_mov_b32_e32 v1, v14
	v_mad_u64_u32 v[15:16], null, v4, s19, v[3:4]
	s_clause 0x1
	scratch_load_b32 v4, off, off offset:380
	scratch_load_b64 v[5:6], off, off offset:328
	v_lshlrev_b64 v[0:1], 3, v[0:1]
	v_mov_b32_e32 v3, v15
	s_delay_alu instid0(VALU_DEP_1)
	v_lshlrev_b64 v[2:3], 3, v[2:3]
	s_waitcnt vmcnt(0)
	ds_store_b64 v4, v[5:6]
	s_clause 0x2
	scratch_load_b32 v4, off, off offset:376
	scratch_load_b64 v[5:6], off, off offset:336
	scratch_load_b64 v[7:8], off, off offset:344
	s_waitcnt vmcnt(0)
	ds_store_2addr_stride64_b64 v4, v[5:6], v[7:8] offset1:4
	s_clause 0x1
	scratch_load_b64 v[5:6], off, off offset:352
	scratch_load_b64 v[7:8], off, off offset:360
	s_waitcnt vmcnt(0)
	ds_store_2addr_stride64_b64 v4, v[5:6], v[7:8] offset0:8 offset1:12
	scratch_load_b32 v4, off, off offset:296 ; 4-byte Folded Reload
	s_waitcnt vmcnt(0)
	v_add_co_u32 v0, vcc_lo, v4, v0
	scratch_load_b32 v4, off, off offset:304 ; 4-byte Folded Reload
	s_waitcnt vmcnt(0)
	v_add_co_ci_u32_e32 v1, vcc_lo, v4, v1, vcc_lo
	scratch_load_b32 v4, off, off offset:312 ; 4-byte Folded Reload
	s_waitcnt vmcnt(0)
	v_add_co_u32 v2, vcc_lo, v4, v2
	scratch_load_b32 v4, off, off offset:320 ; 4-byte Folded Reload
	s_waitcnt vmcnt(0) lgkmcnt(0)
	s_waitcnt_vscnt null, 0x0
	s_barrier
	buffer_gl0_inv
	flat_load_b64 v[0:1], v[0:1]
	v_add_co_ci_u32_e32 v3, vcc_lo, v4, v3, vcc_lo
	s_waitcnt vmcnt(0) lgkmcnt(0)
	scratch_store_b64 off, v[0:1], off offset:284 ; 8-byte Folded Spill
	flat_load_b64 v[0:1], v[2:3]
	s_waitcnt vmcnt(0) lgkmcnt(0)
	scratch_store_b64 off, v[0:1], off offset:328 ; 8-byte Folded Spill
	flat_load_b64 v[0:1], v[2:3] offset:512
	s_waitcnt vmcnt(0) lgkmcnt(0)
	scratch_store_b64 off, v[0:1], off offset:336 ; 8-byte Folded Spill
	flat_load_b64 v[0:1], v[2:3] offset:1024
	;; [unrolled: 3-line block ×3, first 2 shown]
	s_waitcnt vmcnt(0) lgkmcnt(0)
	scratch_store_b64 off, v[0:1], off offset:352 ; 8-byte Folded Spill
.LBB118_15:                             ;   Parent Loop BB118_12 Depth=1
                                        ; =>  This Inner Loop Header: Depth=2
	s_lshl_b32 s16, s16, 3
	v_mov_b32_e32 v145, v143
	s_waitcnt vmcnt(0)
	v_lshl_add_u32 v24, v12, 5, s16
	v_lshl_add_u32 v4, v72, 5, s16
	v_dual_mov_b32 v127, v232 :: v_dual_mov_b32 v248, v123
	v_mov_b32_e32 v255, v112
	ds_load_b128 v[42:45], v24
	ds_load_b128 v[0:3], v4 offset:16384
	ds_load_b128 v[150:153], v4 offset:16640
	;; [unrolled: 1-line block ×3, first 2 shown]
	v_mov_b32_e32 v112, v122
	s_mov_b32 s16, 2
	s_and_not1_b32 vcc_lo, exec_lo, s14
	s_mov_b32 s14, 0
	s_waitcnt lgkmcnt(2)
	v_add_f64 v[18:19], v[0:1], v[42:43]
	s_waitcnt lgkmcnt(1)
	v_add_f64 v[5:6], v[152:153], v[44:45]
	v_add_f64 v[72:73], v[2:3], v[44:45]
	s_delay_alu instid0(VALU_DEP_3)
	v_cvt_f32_f64_e32 v76, v[18:19]
	scratch_store_b64 off, v[5:6], off offset:4 ; 8-byte Folded Spill
	v_add_f64 v[5:6], v[150:151], v[42:43]
	v_cvt_f32_f64_e32 v72, v[72:73]
	scratch_store_b64 off, v[5:6], off offset:60 ; 8-byte Folded Spill
	ds_load_b128 v[158:161], v4 offset:16896
	ds_load_b128 v[162:165], v4 offset:17152
	v_min3_f32 v139, v76, v72, v139
	s_waitcnt lgkmcnt(1)
	v_add_f64 v[5:6], v[160:161], v[44:45]
	s_waitcnt lgkmcnt(0)
	v_add_f64 v[36:37], v[162:163], v[154:155]
	scratch_store_b64 off, v[5:6], off offset:36 ; 8-byte Folded Spill
	v_add_f64 v[5:6], v[158:159], v[42:43]
	scratch_store_b64 off, v[5:6], off offset:92 ; 8-byte Folded Spill
	;; [unrolled: 2-line block ×4, first 2 shown]
	ds_load_b128 v[166:169], v4 offset:17408
	ds_load_b128 v[170:173], v4 offset:17664
	s_waitcnt lgkmcnt(1)
	v_add_f64 v[5:6], v[168:169], v[44:45]
	s_waitcnt lgkmcnt(0)
	v_add_f64 v[34:35], v[170:171], v[154:155]
	v_add_f64 v[38:39], v[166:167], v[42:43]
	scratch_store_b64 off, v[5:6], off offset:44 ; 8-byte Folded Spill
	v_add_f64 v[5:6], v[172:173], v[44:45]
	v_cvt_f32_f64_e32 v38, v[38:39]
	v_cvt_f32_f64_e32 v34, v[34:35]
	scratch_store_b64 off, v[5:6], off offset:20 ; 8-byte Folded Spill
	v_add_f64 v[5:6], v[170:171], v[42:43]
	scratch_store_b64 off, v[5:6], off offset:76 ; 8-byte Folded Spill
	ds_load_b128 v[174:177], v4 offset:17920
	ds_load_b128 v[178:181], v4 offset:18176
	s_waitcnt lgkmcnt(1)
	v_add_f64 v[4:5], v[176:177], v[44:45]
	v_add_f64 v[32:33], v[174:175], v[154:155]
	scratch_store_b64 off, v[4:5], off offset:52 ; 8-byte Folded Spill
	v_add_f64 v[4:5], v[174:175], v[42:43]
	scratch_store_b64 off, v[4:5], off offset:100 ; 8-byte Folded Spill
	s_waitcnt lgkmcnt(0)
	v_add_f64 v[4:5], v[180:181], v[44:45]
	scratch_store_b64 off, v[4:5], off offset:28 ; 8-byte Folded Spill
	v_add_f64 v[4:5], v[178:179], v[42:43]
	scratch_store_b64 off, v[4:5], off offset:84 ; 8-byte Folded Spill
	;; [unrolled: 2-line block ×15, first 2 shown]
	ds_load_b128 v[154:157], v24 offset:2048
	ds_load_b128 v[182:185], v24 offset:3072
	s_waitcnt lgkmcnt(1)
	v_add_f64 v[4:5], v[160:161], v[156:157]
	v_add_f64 v[94:95], v[2:3], v[156:157]
	;; [unrolled: 1-line block ×8, first 2 shown]
	s_waitcnt lgkmcnt(0)
	v_add_f64 v[148:149], v[2:3], v[184:185]
	v_add_f64 v[28:29], v[0:1], v[182:183]
	;; [unrolled: 1-line block ×16, first 2 shown]
	scratch_store_b64 off, v[4:5], off offset:268 ; 8-byte Folded Spill
	v_add_f64 v[4:5], v[164:165], v[156:157]
	v_cvt_f32_f64_e32 v28, v[28:29]
	v_cvt_f32_f64_e32 v29, v[148:149]
	;; [unrolled: 1-line block ×4, first 2 shown]
	scratch_store_b64 off, v[4:5], off offset:252 ; 8-byte Folded Spill
	v_add_f64 v[4:5], v[168:169], v[156:157]
	v_min3_f32 v84, v28, v29, v84
	v_min3_f32 v89, v20, v21, v89
	scratch_store_b64 off, v[4:5], off offset:244 ; 8-byte Folded Spill
	v_add_f64 v[4:5], v[166:167], v[154:155]
	scratch_store_b64 off, v[4:5], off offset:276 ; 8-byte Folded Spill
	v_add_f64 v[4:5], v[172:173], v[156:157]
	;; [unrolled: 2-line block ×6, first 2 shown]
	scratch_store_b64 off, v[4:5], off offset:236 ; 8-byte Folded Spill
	ds_load_b128 v[154:157], v24 offset:4096
	ds_load_b128 v[182:185], v24 offset:5120
	s_waitcnt lgkmcnt(1)
	v_add_f64 v[216:217], v[2:3], v[156:157]
	v_add_f64 v[14:15], v[0:1], v[154:155]
	;; [unrolled: 1-line block ×16, first 2 shown]
	s_waitcnt lgkmcnt(0)
	v_add_f64 v[249:250], v[2:3], v[184:185]
	v_add_f64 v[251:252], v[0:1], v[182:183]
	;; [unrolled: 1-line block ×16, first 2 shown]
	ds_load_b128 v[154:157], v24 offset:6144
	ds_load_b128 v[182:185], v24 offset:7168
	scratch_load_b64 v[18:19], off, off offset:60 ; 8-byte Folded Reload
	s_waitcnt lgkmcnt(1)
	v_add_f64 v[24:25], v[2:3], v[156:157]
	v_add_f64 v[106:107], v[0:1], v[154:155]
	s_waitcnt lgkmcnt(0)
	v_add_f64 v[2:3], v[2:3], v[184:185]
	v_add_f64 v[0:1], v[0:1], v[182:183]
	v_add_f64 v[64:65], v[152:153], v[156:157]
	v_add_f64 v[66:67], v[150:151], v[154:155]
	v_cvt_f32_f64_e32 v4, v[4:5]
	v_cvt_f32_f64_e32 v5, v[253:254]
	v_add_f64 v[152:153], v[152:153], v[184:185]
	v_add_f64 v[150:151], v[150:151], v[182:183]
	;; [unrolled: 1-line block ×26, first 2 shown]
	v_cvt_f32_f64_e32 v0, v[0:1]
	v_cvt_f32_f64_e32 v1, v[2:3]
	v_min3_f32 v234, v4, v5, v234
	v_cvt_f32_f64_e32 v4, v[42:43]
	v_cvt_f32_f64_e32 v5, v[44:45]
	s_delay_alu instid0(VALU_DEP_4) | instskip(SKIP_2) | instid1(VALU_DEP_4)
	v_min3_f32 v190, v0, v1, v190
	v_cvt_f32_f64_e32 v0, v[150:151]
	v_cvt_f32_f64_e32 v1, v[152:153]
	v_min3_f32 v128, v4, v5, v128
	v_cvt_f32_f64_e32 v4, v[16:17]
	v_cvt_f32_f64_e32 v5, v[40:41]
	s_delay_alu instid0(VALU_DEP_4) | instskip(SKIP_2) | instid1(VALU_DEP_1)
	v_min3_f32 v124, v0, v1, v124
	v_cvt_f32_f64_e32 v0, v[158:159]
	v_cvt_f32_f64_e32 v1, v[160:161]
	v_min3_f32 v134, v0, v1, v134
	v_cvt_f32_f64_e32 v0, v[162:163]
	v_cvt_f32_f64_e32 v1, v[164:165]
	s_waitcnt vmcnt(0)
	v_cvt_f32_f64_e32 v72, v[18:19]
	scratch_load_b64 v[18:19], off, off offset:4 ; 8-byte Folded Reload
	s_waitcnt vmcnt(0)
	v_cvt_f32_f64_e32 v73, v[18:19]
	scratch_load_b64 v[18:19], off, off offset:92 ; 8-byte Folded Reload
	v_min3_f32 v138, v72, v73, v138
	s_waitcnt vmcnt(0)
	v_cvt_f32_f64_e32 v72, v[18:19]
	scratch_load_b64 v[18:19], off, off offset:36 ; 8-byte Folded Reload
	s_waitcnt vmcnt(0)
	v_cvt_f32_f64_e32 v73, v[18:19]
	scratch_load_b64 v[18:19], off, off offset:68 ; 8-byte Folded Reload
	v_min3_f32 v137, v72, v73, v137
	;; [unrolled: 7-line block ×3, first 2 shown]
	scratch_load_b32 v72, off, off offset:292 ; 4-byte Folded Reload
	s_waitcnt vmcnt(1)
	v_cvt_f32_f64_e32 v39, v[18:19]
	scratch_load_b64 v[18:19], off, off offset:76 ; 8-byte Folded Reload
	v_min3_f32 v133, v38, v39, v133
	s_waitcnt vmcnt(0)
	v_cvt_f32_f64_e32 v38, v[18:19]
	scratch_load_b64 v[18:19], off, off offset:20 ; 8-byte Folded Reload
	s_waitcnt vmcnt(0)
	v_cvt_f32_f64_e32 v39, v[18:19]
	scratch_load_b64 v[18:19], off, off offset:100 ; 8-byte Folded Reload
	v_min3_f32 v132, v38, v39, v132
	s_waitcnt vmcnt(0)
	v_cvt_f32_f64_e32 v38, v[18:19]
	scratch_load_b64 v[18:19], off, off offset:52 ; 8-byte Folded Reload
	;; [unrolled: 7-line block ×6, first 2 shown]
	s_waitcnt vmcnt(0)
	v_cvt_f32_f64_e32 v39, v[18:19]
	scratch_load_b64 v[18:19], off, off offset:156 ; 8-byte Folded Reload
	v_min3_f32 v240, v38, v39, v240
	v_cvt_f32_f64_e32 v38, v[36:37]
	s_waitcnt vmcnt(0)
	v_cvt_f32_f64_e32 v36, v[18:19]
	scratch_load_b64 v[18:19], off, off offset:172 ; 8-byte Folded Reload
	v_min3_f32 v191, v38, v36, v191
	s_waitcnt vmcnt(0)
	v_cvt_f32_f64_e32 v36, v[18:19]
	scratch_load_b64 v[18:19], off, off offset:164 ; 8-byte Folded Reload
	s_waitcnt vmcnt(0)
	v_cvt_f32_f64_e32 v37, v[18:19]
	scratch_load_b64 v[18:19], off, off offset:180 ; 8-byte Folded Reload
	v_min3_f32 v135, v36, v37, v135
	s_waitcnt vmcnt(0)
	v_cvt_f32_f64_e32 v35, v[18:19]
	scratch_load_b64 v[18:19], off, off offset:188 ; 8-byte Folded Reload
	v_min3_f32 v195, v34, v35, v195
	v_cvt_f32_f64_e32 v34, v[32:33]
	s_waitcnt vmcnt(0)
	v_cvt_f32_f64_e32 v32, v[18:19]
	scratch_load_b64 v[18:19], off, off offset:204 ; 8-byte Folded Reload
	v_min3_f32 v246, v34, v32, v246
	s_waitcnt vmcnt(0)
	v_cvt_f32_f64_e32 v32, v[18:19]
	scratch_load_b64 v[18:19], off, off offset:196 ; 8-byte Folded Reload
	s_waitcnt vmcnt(0)
	v_cvt_f32_f64_e32 v33, v[18:19]
	scratch_load_b64 v[18:19], off, off offset:268 ; 8-byte Folded Reload
	v_min3_f32 v119, v32, v33, v119
	v_cvt_f32_f64_e32 v32, v[30:31]
	v_cvt_f32_f64_e32 v33, v[94:95]
	s_delay_alu instid0(VALU_DEP_1) | instskip(SKIP_2) | instid1(VALU_DEP_1)
	v_min3_f32 v218, v32, v33, v218
	v_cvt_f32_f64_e32 v32, v[92:93]
	v_cvt_f32_f64_e32 v33, v[146:147]
	v_min3_f32 v47, v32, v33, v47
	v_cvt_f32_f64_e32 v32, v[96:97]
	s_waitcnt vmcnt(0)
	v_cvt_f32_f64_e32 v33, v[18:19]
	scratch_load_b64 v[18:19], off, off offset:252 ; 8-byte Folded Reload
	v_min3_f32 v46, v32, v33, v46
	v_cvt_f32_f64_e32 v32, v[98:99]
	s_waitcnt vmcnt(0)
	v_cvt_f32_f64_e32 v33, v[18:19]
	scratch_load_b64 v[18:19], off, off offset:276 ; 8-byte Folded Reload
	v_min3_f32 v230, v32, v33, v230
	s_waitcnt vmcnt(0)
	v_cvt_f32_f64_e32 v32, v[18:19]
	scratch_load_b64 v[18:19], off, off offset:244 ; 8-byte Folded Reload
	s_waitcnt vmcnt(0)
	v_cvt_f32_f64_e32 v33, v[18:19]
	scratch_load_b64 v[18:19], off, off offset:260 ; 8-byte Folded Reload
	v_min3_f32 v229, v32, v33, v229
	s_waitcnt vmcnt(0)
	v_cvt_f32_f64_e32 v30, v[18:19]
	scratch_load_b64 v[18:19], off, off offset:228 ; 8-byte Folded Reload
	s_waitcnt vmcnt(0)
	v_cvt_f32_f64_e32 v31, v[18:19]
	scratch_load_b64 v[18:19], off, off offset:220 ; 8-byte Folded Reload
	v_min3_f32 v49, v30, v31, v49
	v_cvt_f32_f64_e32 v30, v[143:144]
	v_mov_b32_e32 v143, v145
	s_waitcnt vmcnt(0)
	v_cvt_f32_f64_e32 v31, v[18:19]
	scratch_load_b64 v[18:19], off, off offset:236 ; 8-byte Folded Reload
	v_min3_f32 v48, v30, v31, v48
	s_waitcnt vmcnt(0)
	v_cvt_f32_f64_e32 v30, v[18:19]
	scratch_load_b64 v[18:19], off, off offset:212 ; 8-byte Folded Reload
	s_waitcnt vmcnt(0)
	v_cvt_f32_f64_e32 v31, v[18:19]
	v_cvt_f32_f64_e32 v18, v[90:91]
	;; [unrolled: 1-line block ×3, first 2 shown]
	s_delay_alu instid0(VALU_DEP_3) | instskip(NEXT) | instid1(VALU_DEP_2)
	v_min3_f32 v83, v30, v31, v83
	v_min3_f32 v53, v18, v19, v53
	v_cvt_f32_f64_e32 v18, v[198:199]
	v_cvt_f32_f64_e32 v19, v[196:197]
	s_delay_alu instid0(VALU_DEP_1) | instskip(SKIP_2) | instid1(VALU_DEP_1)
	v_min3_f32 v52, v18, v19, v52
	v_cvt_f32_f64_e32 v18, v[202:203]
	v_cvt_f32_f64_e32 v19, v[200:201]
	v_min3_f32 v51, v18, v19, v51
	v_cvt_f32_f64_e32 v18, v[87:88]
	v_cvt_f32_f64_e32 v19, v[204:205]
	s_delay_alu instid0(VALU_DEP_1) | instskip(SKIP_2) | instid1(VALU_DEP_1)
	v_min3_f32 v50, v18, v19, v50
	v_cvt_f32_f64_e32 v18, v[210:211]
	v_cvt_f32_f64_e32 v19, v[208:209]
	v_min3_f32 v141, v18, v19, v141
	v_cvt_f32_f64_e32 v18, v[214:215]
	v_cvt_f32_f64_e32 v19, v[212:213]
	s_delay_alu instid0(VALU_DEP_1) | instskip(SKIP_4) | instid1(VALU_DEP_3)
	v_min3_f32 v140, v18, v19, v140
	v_cvt_f32_f64_e32 v18, v[14:15]
	v_cvt_f32_f64_e32 v19, v[216:217]
	;; [unrolled: 1-line block ×4, first 2 shown]
	v_min3_f32 v143, v18, v19, v143
	v_cvt_f32_f64_e32 v18, v[223:224]
	v_cvt_f32_f64_e32 v19, v[221:222]
	s_delay_alu instid0(VALU_DEP_1) | instskip(SKIP_2) | instid1(VALU_DEP_1)
	v_min3_f32 v142, v18, v19, v142
	v_cvt_f32_f64_e32 v18, v[227:228]
	v_cvt_f32_f64_e32 v19, v[225:226]
	v_min3_f32 v69, v18, v19, v69
	v_cvt_f32_f64_e32 v18, v[231:232]
	v_mov_b32_e32 v232, v127
	v_cvt_f32_f64_e32 v19, v[56:57]
	s_delay_alu instid0(VALU_DEP_2) | instskip(SKIP_2) | instid1(VALU_DEP_4)
	v_min3_f32 v232, v4, v5, v232
	v_cvt_f32_f64_e32 v4, v[186:187]
	v_cvt_f32_f64_e32 v5, v[100:101]
	v_min3_f32 v68, v18, v19, v68
	v_cvt_f32_f64_e32 v18, v[54:55]
	v_cvt_f32_f64_e32 v19, v[62:63]
	s_delay_alu instid0(VALU_DEP_4)
	v_min3_f32 v245, v4, v5, v245
	v_cvt_f32_f64_e32 v4, v[12:13]
	v_cvt_f32_f64_e32 v5, v[102:103]
	scratch_load_b32 v12, off, off          ; 4-byte Folded Reload
	v_min3_f32 v71, v18, v19, v71
	v_cvt_f32_f64_e32 v18, v[58:59]
	v_cvt_f32_f64_e32 v19, v[79:80]
	v_min3_f32 v237, v4, v5, v237
	v_cvt_f32_f64_e32 v4, v[10:11]
	v_cvt_f32_f64_e32 v5, v[104:105]
	s_delay_alu instid0(VALU_DEP_4) | instskip(SKIP_1) | instid1(VALU_DEP_3)
	v_min3_f32 v70, v18, v19, v70
	v_cvt_f32_f64_e32 v18, v[60:61]
	v_min3_f32 v238, v4, v5, v238
	v_cvt_f32_f64_e32 v4, v[26:27]
	v_cvt_f32_f64_e32 v5, v[22:23]
	s_delay_alu instid0(VALU_DEP_4) | instskip(SKIP_1) | instid1(VALU_DEP_3)
	v_min3_f32 v207, v18, v14, v207
	v_cvt_f32_f64_e32 v14, v[77:78]
	v_min3_f32 v243, v4, v5, v243
	v_cvt_f32_f64_e32 v4, v[106:107]
	v_cvt_f32_f64_e32 v5, v[24:25]
	s_delay_alu instid0(VALU_DEP_4) | instskip(SKIP_2) | instid1(VALU_DEP_4)
	v_min3_f32 v206, v14, v15, v206
	v_cvt_f32_f64_e32 v14, v[251:252]
	v_cvt_f32_f64_e32 v15, v[249:250]
	v_min3_f32 v244, v4, v5, v244
	v_cvt_f32_f64_e32 v4, v[66:67]
	v_cvt_f32_f64_e32 v5, v[64:65]
	s_delay_alu instid0(VALU_DEP_4) | instskip(NEXT) | instid1(VALU_DEP_2)
	v_min3_f32 v235, v14, v15, v235
	v_min3_f32 v126, v4, v5, v126
	v_cvt_f32_f64_e32 v4, v[110:111]
	v_cvt_f32_f64_e32 v5, v[108:109]
	s_delay_alu instid0(VALU_DEP_1) | instskip(SKIP_4) | instid1(VALU_DEP_1)
	v_min3_f32 v239, v4, v5, v239
	v_cvt_f32_f64_e32 v4, v[114:115]
	v_cvt_f32_f64_e32 v5, v[122:123]
	v_mov_b32_e32 v122, v112
	v_dual_mov_b32 v123, v248 :: v_dual_mov_b32 v112, v255
	v_min3_f32 v123, v0, v1, v123
	v_cvt_f32_f64_e32 v0, v[166:167]
	v_cvt_f32_f64_e32 v1, v[168:169]
	v_min3_f32 v236, v4, v5, v236
	v_cvt_f32_f64_e32 v4, v[6:7]
	v_cvt_f32_f64_e32 v5, v[116:117]
	s_delay_alu instid0(VALU_DEP_4) | instskip(SKIP_2) | instid1(VALU_DEP_4)
	v_min3_f32 v122, v0, v1, v122
	v_cvt_f32_f64_e32 v0, v[170:171]
	v_cvt_f32_f64_e32 v1, v[172:173]
	v_min3_f32 v219, v4, v5, v219
	v_cvt_f32_f64_e32 v4, v[74:75]
	v_cvt_f32_f64_e32 v5, v[8:9]
	s_delay_alu instid0(VALU_DEP_4) | instskip(SKIP_2) | instid1(VALU_DEP_4)
	;; [unrolled: 7-line block ×3, first 2 shown]
	v_min3_f32 v113, v0, v1, v113
	v_cvt_f32_f64_e32 v0, v[178:179]
	v_cvt_f32_f64_e32 v1, v[180:181]
	v_min3_f32 v194, v4, v5, v194
	v_cvt_f32_f64_e32 v4, v[154:155]
	v_cvt_f32_f64_e32 v5, v[156:157]
	s_delay_alu instid0(VALU_DEP_4) | instskip(NEXT) | instid1(VALU_DEP_2)
	v_min3_f32 v112, v0, v1, v112
	v_min3_f32 v125, v4, v5, v125
	s_cbranch_vccz .LBB118_15
; %bb.16:                               ;   in Loop: Header=BB118_12 Depth=1
	s_clause 0x1
	scratch_load_b32 v0, off, off offset:384
	scratch_load_b64 v[1:2], off, off offset:284
	v_mov_b32_e32 v73, v126
	s_add_i32 s13, s13, 8
	s_add_i32 s12, s12, 8
	s_cmp_ge_i32 s13, s11
	s_waitcnt vmcnt(0)
	ds_store_b64 v0, v[1:2]
	s_clause 0x2
	scratch_load_b32 v0, off, off offset:388
	scratch_load_b64 v[1:2], off, off offset:328
	scratch_load_b64 v[3:4], off, off offset:336
	s_waitcnt vmcnt(0)
	ds_store_2addr_stride64_b64 v0, v[1:2], v[3:4] offset1:4
	s_clause 0x1
	scratch_load_b64 v[1:2], off, off offset:344
	scratch_load_b64 v[3:4], off, off offset:352
	s_waitcnt vmcnt(0)
	ds_store_2addr_stride64_b64 v0, v[1:2], v[3:4] offset0:8 offset1:12
	s_waitcnt lgkmcnt(0)
	s_waitcnt_vscnt null, 0x0
	s_barrier
	buffer_gl0_inv
	s_cbranch_scc0 .LBB118_12
; %bb.17:
	v_mov_b32_e32 v192, v70
	v_mov_b32_e32 v196, v68
	;; [unrolled: 1-line block ×3, first 2 shown]
	s_branch .LBB118_19
.LBB118_18:
	v_mov_b32_e32 v52, v204
	v_mov_b32_e32 v50, v202
	;; [unrolled: 1-line block ×4, first 2 shown]
.LBB118_19:
	v_mov_b32_e32 v104, v49
	v_dual_mov_b32 v72, v245 :: v_dual_mov_b32 v193, v71
	v_dual_mov_b32 v245, v234 :: v_dual_mov_b32 v56, v235
	s_delay_alu instid0(VALU_DEP_4)
	v_dual_mov_b32 v197, v69 :: v_dual_mov_b32 v106, v142
	v_dual_mov_b32 v107, v143 :: v_dual_mov_b32 v102, v140
	;; [unrolled: 1-line block ×4, first 2 shown]
	v_mov_b32_e32 v99, v53
	v_dual_mov_b32 v105, v229 :: v_dual_mov_b32 v96, v230
	v_dual_mov_b32 v97, v46 :: v_dual_mov_b32 v88, v47
	s_mov_b32 s12, 0
	s_mov_b32 s11, -1
.LBB118_20:                             ; =>This Inner Loop Header: Depth=1
	scratch_load_b32 v0, off, off offset:292 ; 4-byte Folded Reload
	s_lshl_b32 s12, s12, 3
	v_dual_mov_b32 v255, v112 :: v_dual_mov_b32 v112, v122
	v_lshl_add_u32 v8, v12, 5, s12
	v_mov_b32_e32 v248, v123
	v_mov_b32_e32 v234, v232
	;; [unrolled: 1-line block ×3, first 2 shown]
	s_and_not1_b32 vcc_lo, exec_lo, s11
	s_mov_b32 s11, 0
	s_waitcnt vmcnt(0)
	v_lshl_add_u32 v9, v0, 5, s12
	s_mov_b32 s12, 2
	ds_load_b128 v[32:35], v8 offset:8192
	ds_load_b128 v[4:7], v9 offset:18432
	;; [unrolled: 1-line block ×4, first 2 shown]
	s_waitcnt lgkmcnt(2)
	v_add_f64 v[64:65], v[6:7], v[34:35]
	s_waitcnt lgkmcnt(1)
	v_add_f64 v[10:11], v[2:3], v[34:35]
	v_add_f64 v[66:67], v[4:5], v[32:33]
	s_delay_alu instid0(VALU_DEP_3)
	v_cvt_f32_f64_e32 v64, v[64:65]
	scratch_store_b64 off, v[10:11], off offset:4 ; 8-byte Folded Spill
	v_add_f64 v[10:11], v[0:1], v[32:33]
	v_cvt_f32_f64_e32 v66, v[66:67]
	scratch_store_b64 off, v[10:11], off offset:60 ; 8-byte Folded Spill
	ds_load_b128 v[140:143], v9 offset:18944
	ds_load_b128 v[144:147], v9 offset:19200
	v_min3_f32 v139, v66, v64, v139
	s_waitcnt lgkmcnt(1)
	v_add_f64 v[10:11], v[142:143], v[34:35]
	v_add_f64 v[62:63], v[140:141], v[32:33]
	scratch_store_b64 off, v[10:11], off offset:36 ; 8-byte Folded Spill
	s_waitcnt lgkmcnt(0)
	v_add_f64 v[10:11], v[146:147], v[34:35]
	v_cvt_f32_f64_e32 v62, v[62:63]
	scratch_store_b64 off, v[10:11], off offset:12 ; 8-byte Folded Spill
	v_add_f64 v[10:11], v[144:145], v[32:33]
	scratch_store_b64 off, v[10:11], off offset:68 ; 8-byte Folded Spill
	ds_load_b128 v[148:151], v9 offset:19456
	ds_load_b128 v[152:155], v9 offset:19712
	s_waitcnt lgkmcnt(1)
	v_add_f64 v[10:11], v[150:151], v[34:35]
	s_waitcnt lgkmcnt(0)
	v_add_f64 v[28:29], v[152:153], v[68:69]
	scratch_store_b64 off, v[10:11], off offset:44 ; 8-byte Folded Spill
	v_add_f64 v[10:11], v[148:149], v[32:33]
	v_cvt_f32_f64_e32 v28, v[28:29]
	scratch_store_b64 off, v[10:11], off offset:92 ; 8-byte Folded Spill
	v_add_f64 v[10:11], v[154:155], v[34:35]
	scratch_store_b64 off, v[10:11], off offset:20 ; 8-byte Folded Spill
	v_add_f64 v[10:11], v[152:153], v[32:33]
	scratch_store_b64 off, v[10:11], off offset:76 ; 8-byte Folded Spill
	ds_load_b128 v[156:159], v9 offset:19968
	ds_load_b128 v[160:163], v9 offset:20224
	s_waitcnt lgkmcnt(1)
	v_add_f64 v[9:10], v[158:159], v[34:35]
	v_add_f64 v[30:31], v[156:157], v[32:33]
	scratch_store_b64 off, v[9:10], off offset:52 ; 8-byte Folded Spill
	s_waitcnt lgkmcnt(0)
	v_add_f64 v[9:10], v[162:163], v[34:35]
	v_cvt_f32_f64_e32 v30, v[30:31]
	scratch_store_b64 off, v[9:10], off offset:28 ; 8-byte Folded Spill
	v_add_f64 v[9:10], v[160:161], v[32:33]
	scratch_store_b64 off, v[9:10], off offset:84 ; 8-byte Folded Spill
	v_add_f64 v[9:10], v[6:7], v[70:71]
	;; [unrolled: 2-line block ×16, first 2 shown]
	scratch_store_b64 off, v[9:10], off offset:212 ; 8-byte Folded Spill
	ds_load_b128 v[68:71], v8 offset:10240
	ds_load_b128 v[164:167], v8 offset:11264
	s_waitcnt lgkmcnt(1)
	v_add_f64 v[9:10], v[142:143], v[70:71]
	v_add_f64 v[90:91], v[6:7], v[70:71]
	;; [unrolled: 1-line block ×7, first 2 shown]
	s_waitcnt lgkmcnt(0)
	v_add_f64 v[110:111], v[6:7], v[166:167]
	v_add_f64 v[122:123], v[4:5], v[164:165]
	;; [unrolled: 1-line block ×16, first 2 shown]
	scratch_store_b64 off, v[9:10], off offset:284 ; 8-byte Folded Spill
	v_add_f64 v[9:10], v[146:147], v[70:71]
	scratch_store_b64 off, v[9:10], off offset:268 ; 8-byte Folded Spill
	v_add_f64 v[9:10], v[150:151], v[70:71]
	;; [unrolled: 2-line block ×9, first 2 shown]
	scratch_store_b64 off, v[9:10], off offset:244 ; 8-byte Folded Spill
	ds_load_b128 v[68:71], v8 offset:12288
	ds_load_b128 v[164:167], v8 offset:13312
	s_waitcnt lgkmcnt(1)
	v_add_f64 v[186:187], v[6:7], v[70:71]
	v_add_f64 v[188:189], v[4:5], v[68:69]
	;; [unrolled: 1-line block ×16, first 2 shown]
	s_waitcnt lgkmcnt(0)
	v_add_f64 v[52:53], v[6:7], v[166:167]
	v_add_f64 v[221:222], v[4:5], v[164:165]
	;; [unrolled: 1-line block ×16, first 2 shown]
	ds_load_b128 v[68:71], v8 offset:14336
	ds_load_b128 v[164:167], v8 offset:15360
	s_waitcnt lgkmcnt(1)
	v_add_f64 v[12:13], v[2:3], v[70:71]
	v_add_f64 v[8:9], v[0:1], v[68:69]
	s_waitcnt lgkmcnt(0)
	v_add_f64 v[76:77], v[2:3], v[166:167]
	v_add_f64 v[2:3], v[0:1], v[164:165]
	scratch_load_b64 v[0:1], off, off offset:60 ; 8-byte Folded Reload
	v_add_f64 v[253:254], v[4:5], v[68:69]
	v_add_f64 v[54:55], v[4:5], v[164:165]
	;; [unrolled: 1-line block ×28, first 2 shown]
	v_cvt_f32_f64_e32 v5, v[12:13]
	v_cvt_f32_f64_e32 v4, v[8:9]
	scratch_load_b32 v12, off, off          ; 4-byte Folded Reload
	v_min3_f32 v73, v4, v5, v73
	v_cvt_f32_f64_e32 v4, v[10:11]
	v_cvt_f32_f64_e32 v5, v[16:17]
	s_delay_alu instid0(VALU_DEP_1)
	v_min3_f32 v239, v4, v5, v239
	v_cvt_f32_f64_e32 v4, v[14:15]
	v_cvt_f32_f64_e32 v5, v[20:21]
	s_waitcnt vmcnt(1)
	v_cvt_f32_f64_e32 v64, v[0:1]
	scratch_load_b64 v[0:1], off, off offset:4 ; 8-byte Folded Reload
	s_waitcnt vmcnt(0)
	v_cvt_f32_f64_e32 v65, v[0:1]
	scratch_load_b64 v[0:1], off, off offset:36 ; 8-byte Folded Reload
	v_min3_f32 v138, v64, v65, v138
	s_waitcnt vmcnt(0)
	v_cvt_f32_f64_e32 v63, v[0:1]
	scratch_load_b64 v[0:1], off, off offset:68 ; 8-byte Folded Reload
	v_min3_f32 v137, v62, v63, v137
	s_waitcnt vmcnt(0)
	v_cvt_f32_f64_e32 v62, v[0:1]
	scratch_load_b64 v[0:1], off, off offset:12 ; 8-byte Folded Reload
	s_waitcnt vmcnt(0)
	v_cvt_f32_f64_e32 v63, v[0:1]
	scratch_load_b64 v[0:1], off, off offset:92 ; 8-byte Folded Reload
	v_min3_f32 v136, v62, v63, v136
	s_waitcnt vmcnt(0)
	v_cvt_f32_f64_e32 v62, v[0:1]
	scratch_load_b64 v[0:1], off, off offset:44 ; 8-byte Folded Reload
	;; [unrolled: 7-line block ×4, first 2 shown]
	v_min3_f32 v131, v30, v31, v131
	s_waitcnt vmcnt(0)
	v_cvt_f32_f64_e32 v30, v[0:1]
	scratch_load_b64 v[0:1], off, off offset:28 ; 8-byte Folded Reload
	s_waitcnt vmcnt(0)
	v_cvt_f32_f64_e32 v31, v[0:1]
	scratch_load_b64 v[0:1], off, off offset:108 ; 8-byte Folded Reload
	v_min3_f32 v130, v30, v31, v130
	s_waitcnt vmcnt(0)
	v_cvt_f32_f64_e32 v30, v[0:1]
	scratch_load_b64 v[0:1], off, off offset:100 ; 8-byte Folded Reload
	s_waitcnt vmcnt(0)
	v_cvt_f32_f64_e32 v31, v[0:1]
	scratch_load_b64 v[0:1], off, off offset:124 ; 8-byte Folded Reload
	v_min3_f32 v129, v30, v31, v129
	s_waitcnt vmcnt(0)
	v_cvt_f32_f64_e32 v30, v[0:1]
	scratch_load_b64 v[0:1], off, off offset:116 ; 8-byte Folded Reload
	s_waitcnt vmcnt(0)
	v_cvt_f32_f64_e32 v31, v[0:1]
	scratch_load_b64 v[0:1], off, off offset:140 ; 8-byte Folded Reload
	v_min3_f32 v233, v30, v31, v233
	s_waitcnt vmcnt(0)
	v_cvt_f32_f64_e32 v30, v[0:1]
	scratch_load_b64 v[0:1], off, off offset:132 ; 8-byte Folded Reload
	s_waitcnt vmcnt(0)
	v_cvt_f32_f64_e32 v31, v[0:1]
	scratch_load_b64 v[0:1], off, off offset:156 ; 8-byte Folded Reload
	v_min3_f32 v240, v30, v31, v240
	s_waitcnt vmcnt(0)
	v_cvt_f32_f64_e32 v30, v[0:1]
	scratch_load_b64 v[0:1], off, off offset:148 ; 8-byte Folded Reload
	s_waitcnt vmcnt(0)
	v_cvt_f32_f64_e32 v31, v[0:1]
	scratch_load_b64 v[0:1], off, off offset:172 ; 8-byte Folded Reload
	v_min3_f32 v191, v30, v31, v191
	s_waitcnt vmcnt(0)
	v_cvt_f32_f64_e32 v30, v[0:1]
	scratch_load_b64 v[0:1], off, off offset:164 ; 8-byte Folded Reload
	s_waitcnt vmcnt(0)
	v_cvt_f32_f64_e32 v31, v[0:1]
	scratch_load_b64 v[0:1], off, off offset:180 ; 8-byte Folded Reload
	v_min3_f32 v135, v30, v31, v135
	s_waitcnt vmcnt(0)
	v_cvt_f32_f64_e32 v29, v[0:1]
	scratch_load_b64 v[0:1], off, off offset:196 ; 8-byte Folded Reload
	v_min3_f32 v195, v28, v29, v195
	s_waitcnt vmcnt(0)
	v_cvt_f32_f64_e32 v28, v[0:1]
	scratch_load_b64 v[0:1], off, off offset:188 ; 8-byte Folded Reload
	s_waitcnt vmcnt(0)
	v_cvt_f32_f64_e32 v29, v[0:1]
	scratch_load_b64 v[0:1], off, off offset:212 ; 8-byte Folded Reload
	v_min3_f32 v246, v28, v29, v246
	s_waitcnt vmcnt(0)
	v_cvt_f32_f64_e32 v28, v[0:1]
	scratch_load_b64 v[0:1], off, off offset:204 ; 8-byte Folded Reload
	s_waitcnt vmcnt(0)
	v_cvt_f32_f64_e32 v29, v[0:1]
	scratch_load_b64 v[0:1], off, off offset:284 ; 8-byte Folded Reload
	v_min3_f32 v119, v28, v29, v119
	v_cvt_f32_f64_e32 v28, v[80:81]
	v_cvt_f32_f64_e32 v29, v[90:91]
	s_delay_alu instid0(VALU_DEP_1) | instskip(SKIP_2) | instid1(VALU_DEP_1)
	v_min3_f32 v218, v28, v29, v218
	v_cvt_f32_f64_e32 v28, v[86:87]
	v_cvt_f32_f64_e32 v29, v[94:95]
	v_min3_f32 v88, v28, v29, v88
	v_cvt_f32_f64_e32 v28, v[92:93]
	s_waitcnt vmcnt(0)
	v_cvt_f32_f64_e32 v29, v[0:1]
	scratch_load_b64 v[0:1], off, off offset:268 ; 8-byte Folded Reload
	v_min3_f32 v97, v28, v29, v97
	v_cvt_f32_f64_e32 v28, v[100:101]
	s_waitcnt vmcnt(0)
	v_cvt_f32_f64_e32 v29, v[0:1]
	scratch_load_b64 v[0:1], off, off offset:296 ; 8-byte Folded Reload
	v_min3_f32 v96, v28, v29, v96
	s_waitcnt vmcnt(0)
	v_cvt_f32_f64_e32 v28, v[0:1]
	scratch_load_b64 v[0:1], off, off offset:252 ; 8-byte Folded Reload
	s_waitcnt vmcnt(0)
	v_cvt_f32_f64_e32 v29, v[0:1]
	scratch_load_b64 v[0:1], off, off offset:276 ; 8-byte Folded Reload
	v_min3_f32 v105, v28, v29, v105
	s_waitcnt vmcnt(0)
	v_cvt_f32_f64_e32 v28, v[0:1]
	scratch_load_b64 v[0:1], off, off offset:236 ; 8-byte Folded Reload
	;; [unrolled: 7-line block ×4, first 2 shown]
	s_waitcnt vmcnt(0)
	v_cvt_f32_f64_e32 v29, v[0:1]
	v_cvt_f32_f64_e32 v0, v[54:55]
	;; [unrolled: 1-line block ×3, first 2 shown]
	s_delay_alu instid0(VALU_DEP_3) | instskip(SKIP_2) | instid1(VALU_DEP_4)
	v_min3_f32 v83, v28, v29, v83
	v_cvt_f32_f64_e32 v28, v[122:123]
	v_cvt_f32_f64_e32 v29, v[110:111]
	v_min3_f32 v190, v0, v1, v190
	v_cvt_f32_f64_e32 v0, v[2:3]
	v_cvt_f32_f64_e32 v1, v[76:77]
	v_mov_b32_e32 v123, v248
	v_mov_b32_e32 v122, v112
	;; [unrolled: 1-line block ×3, first 2 shown]
	v_min3_f32 v84, v28, v29, v84
	v_cvt_f32_f64_e32 v28, v[116:117]
	v_cvt_f32_f64_e32 v29, v[114:115]
	v_min3_f32 v124, v0, v1, v124
	v_cvt_f32_f64_e32 v0, v[140:141]
	v_cvt_f32_f64_e32 v1, v[142:143]
	s_delay_alu instid0(VALU_DEP_4) | instskip(SKIP_2) | instid1(VALU_DEP_4)
	v_min3_f32 v89, v28, v29, v89
	v_cvt_f32_f64_e32 v28, v[120:121]
	v_cvt_f32_f64_e32 v29, v[78:79]
	v_min3_f32 v134, v0, v1, v134
	v_cvt_f32_f64_e32 v0, v[144:145]
	v_cvt_f32_f64_e32 v1, v[146:147]
	s_delay_alu instid0(VALU_DEP_4) | instskip(SKIP_2) | instid1(VALU_DEP_4)
	;; [unrolled: 7-line block ×6, first 2 shown]
	v_min3_f32 v103, v28, v29, v103
	v_cvt_f32_f64_e32 v28, v[184:185]
	v_cvt_f32_f64_e32 v29, v[182:183]
	v_min3_f32 v112, v0, v1, v112
	s_delay_alu instid0(VALU_DEP_2) | instskip(SKIP_2) | instid1(VALU_DEP_1)
	v_min3_f32 v102, v28, v29, v102
	v_cvt_f32_f64_e32 v28, v[188:189]
	v_cvt_f32_f64_e32 v29, v[186:187]
	v_min3_f32 v107, v28, v29, v107
	v_cvt_f32_f64_e32 v28, v[44:45]
	v_cvt_f32_f64_e32 v29, v[48:49]
	s_delay_alu instid0(VALU_DEP_1) | instskip(SKIP_2) | instid1(VALU_DEP_1)
	v_min3_f32 v106, v28, v29, v106
	v_cvt_f32_f64_e32 v28, v[46:47]
	v_cvt_f32_f64_e32 v29, v[50:51]
	v_min3_f32 v197, v28, v29, v197
	v_cvt_f32_f64_e32 v28, v[200:201]
	v_cvt_f32_f64_e32 v29, v[198:199]
	s_delay_alu instid0(VALU_DEP_1) | instskip(SKIP_2) | instid1(VALU_DEP_1)
	;; [unrolled: 7-line block ×5, first 2 shown]
	v_min3_f32 v245, v28, v29, v245
	v_cvt_f32_f64_e32 v28, v[229:230]
	v_cvt_f32_f64_e32 v29, v[227:228]
	v_min3_f32 v128, v28, v29, v128
	v_cvt_f32_f64_e32 v28, v[74:75]
	v_cvt_f32_f64_e32 v29, v[231:232]
	v_mov_b32_e32 v232, v234
	s_delay_alu instid0(VALU_DEP_1) | instskip(SKIP_3) | instid1(VALU_DEP_1)
	v_min3_f32 v232, v28, v29, v232
	v_cvt_f32_f64_e32 v28, v[42:43]
	v_cvt_f32_f64_e32 v29, v[235:236]
	v_mov_b32_e32 v236, v220
	v_min3_f32 v236, v4, v5, v236
	v_cvt_f32_f64_e32 v4, v[18:19]
	v_cvt_f32_f64_e32 v5, v[24:25]
	v_min3_f32 v72, v28, v29, v72
	v_cvt_f32_f64_e32 v28, v[241:242]
	v_cvt_f32_f64_e32 v29, v[40:41]
	s_delay_alu instid0(VALU_DEP_4) | instskip(SKIP_2) | instid1(VALU_DEP_4)
	v_min3_f32 v219, v4, v5, v219
	v_cvt_f32_f64_e32 v4, v[22:23]
	v_cvt_f32_f64_e32 v5, v[26:27]
	v_min3_f32 v237, v28, v29, v237
	v_cvt_f32_f64_e32 v28, v[126:127]
	v_cvt_f32_f64_e32 v29, v[36:37]
	s_delay_alu instid0(VALU_DEP_4) | instskip(SKIP_2) | instid1(VALU_DEP_4)
	;; [unrolled: 7-line block ×3, first 2 shown]
	v_min3_f32 v194, v4, v5, v194
	v_cvt_f32_f64_e32 v4, v[68:69]
	v_cvt_f32_f64_e32 v5, v[70:71]
	v_min3_f32 v243, v28, v29, v243
	v_cvt_f32_f64_e32 v28, v[253:254]
	v_cvt_f32_f64_e32 v29, v[251:252]
	s_delay_alu instid0(VALU_DEP_4) | instskip(NEXT) | instid1(VALU_DEP_2)
	v_min3_f32 v125, v4, v5, v125
	v_min3_f32 v244, v28, v29, v244
	s_cbranch_vccz .LBB118_20
; %bb.21:
	s_clause 0x2
	s_load_b32 s12, s[0:1], 0x70
	s_load_b32 s11, s[0:1], 0x58
	s_load_b64 s[0:1], s[0:1], 0x78
	scratch_load_b32 v0, off, off offset:292 ; 4-byte Folded Reload
	v_dual_mov_b32 v35, v107 :: v_dual_add_nc_u32 v18, s3, v12
	v_dual_mov_b32 v33, v197 :: v_dual_mov_b32 v46, v88
	v_mov_b32_e32 v39, v109
	v_dual_mov_b32 v37, v103 :: v_dual_mov_b32 v32, v193
	s_waitcnt lgkmcnt(0)
	v_mad_i64_i32 v[4:5], null, v18, s11, 0
	s_lshl_b64 s[0:1], s[0:1], 3
	s_delay_alu instid0(SALU_CYCLE_1) | instskip(SKIP_1) | instid1(VALU_DEP_1)
	s_add_u32 s3, s8, s0
	s_addc_u32 s8, s9, s1
	v_lshlrev_b64 v[4:5], 3, v[4:5]
	s_waitcnt vmcnt(0)
	v_add_nc_u32_e32 v12, s10, v0
	v_mad_i64_i32 v[0:1], null, v18, s12, 0
	s_delay_alu instid0(VALU_DEP_2) | instskip(SKIP_1) | instid1(VALU_DEP_3)
	v_ashrrev_i32_e32 v13, 31, v12
	v_add_nc_u32_e32 v2, 8, v12
	v_lshlrev_b64 v[6:7], 3, v[0:1]
	s_delay_alu instid0(VALU_DEP_3) | instskip(NEXT) | instid1(VALU_DEP_3)
	v_lshlrev_b64 v[0:1], 3, v[12:13]
	v_ashrrev_i32_e32 v3, 31, v2
	s_delay_alu instid0(VALU_DEP_3) | instskip(NEXT) | instid1(VALU_DEP_4)
	v_add_co_u32 v19, vcc_lo, s3, v6
	v_add_co_ci_u32_e32 v20, vcc_lo, s8, v7, vcc_lo
	v_add_co_u32 v16, vcc_lo, s4, v4
	v_add_co_ci_u32_e32 v17, vcc_lo, s5, v5, vcc_lo
	v_max_f32_e32 v4, v139, v139
	s_mov_b32 vcc_lo, s2
	s_cbranch_vccz .LBB118_23
; %bb.22:
	s_delay_alu instid0(VALU_DEP_1) | instskip(SKIP_2) | instid1(VALU_DEP_3)
	v_min_f32_e32 v5, 0, v4
	v_add_co_u32 v7, vcc_lo, v19, v0
	v_add_co_ci_u32_e32 v8, vcc_lo, v20, v1, vcc_lo
	v_cvt_f64_f32_e32 v[5:6], v5
	s_mov_b32 s9, 0
	s_mov_b64 s[0:1], 0
	global_store_b64 v[7:8], v[5:6], off
	s_branch .LBB118_24
.LBB118_23:
	s_mov_b32 s9, -1
                                        ; implicit-def: $sgpr0_sgpr1
.LBB118_24:
	v_lshlrev_b64 v[2:3], 3, v[2:3]
	v_dual_mov_b32 v30, v245 :: v_dual_mov_b32 v41, v99
	v_mov_b32_e32 v43, v105
	v_mov_b32_e32 v45, v97
	s_and_not1_b32 vcc_lo, exec_lo, s9
	s_cbranch_vccnz .LBB118_26
; %bb.25:
	v_add_co_u32 v5, vcc_lo, v16, v0
	v_add_co_ci_u32_e32 v6, vcc_lo, v17, v1, vcc_lo
	flat_load_b64 v[5:6], v[5:6]
	s_waitcnt vmcnt(0) lgkmcnt(0)
	v_mul_f64 v[5:6], v[5:6], s[6:7]
	s_delay_alu instid0(VALU_DEP_1)
	v_cvt_f32_f64_e32 v5, v[5:6]
	v_add_co_u32 v6, vcc_lo, v19, v0
	v_add_co_ci_u32_e32 v7, vcc_lo, v20, v1, vcc_lo
	v_add_co_u32 v8, vcc_lo, v16, v2
	v_add_co_ci_u32_e32 v9, vcc_lo, v17, v3, vcc_lo
	v_min_f32_e32 v4, v5, v4
	s_delay_alu instid0(VALU_DEP_1)
	v_cvt_f64_f32_e32 v[4:5], v4
	global_store_b64 v[6:7], v[4:5], off
	flat_load_b64 v[4:5], v[8:9]
	s_waitcnt vmcnt(0) lgkmcnt(0)
	v_mul_f64 v[4:5], v[4:5], s[6:7]
	s_branch .LBB118_27
.LBB118_26:
	v_dual_mov_b32 v5, s1 :: v_dual_mov_b32 v4, s0
.LBB118_27:
	s_delay_alu instid0(VALU_DEP_1) | instskip(SKIP_4) | instid1(VALU_DEP_4)
	v_cvt_f32_f64_e32 v4, v[4:5]
	v_dual_max_f32 v5, v138, v138 :: v_dual_add_nc_u32 v6, 24, v12
	v_add_co_u32 v13, vcc_lo, v19, v2
	v_add_co_ci_u32_e32 v14, vcc_lo, v20, v3, vcc_lo
	v_max_f32_e32 v8, v137, v137
	v_ashrrev_i32_e32 v7, 31, v6
	s_mov_b32 vcc_lo, s2
	v_min_f32_e32 v4, v4, v5
	s_delay_alu instid0(VALU_DEP_1) | instskip(SKIP_1) | instid1(VALU_DEP_1)
	v_cvt_f64_f32_e32 v[9:10], v4
	v_add_nc_u32_e32 v4, 16, v12
	v_ashrrev_i32_e32 v5, 31, v4
	s_delay_alu instid0(VALU_DEP_1)
	v_lshlrev_b64 v[4:5], 3, v[4:5]
	global_store_b64 v[13:14], v[9:10], off
	s_cbranch_vccz .LBB118_30
; %bb.28:
	v_min_f32_e32 v9, 0, v8
	v_add_co_u32 v13, vcc_lo, v19, v4
	v_add_co_ci_u32_e32 v14, vcc_lo, v20, v5, vcc_lo
	s_delay_alu instid0(VALU_DEP_3)
	v_cvt_f64_f32_e32 v[9:10], v9
	s_mov_b64 s[0:1], 0
	global_store_b64 v[13:14], v[9:10], off
	v_lshlrev_b64 v[6:7], 3, v[6:7]
	s_cbranch_execz .LBB118_31
; %bb.29:
	v_dual_mov_b32 v9, s1 :: v_dual_mov_b32 v8, s0
	s_branch .LBB118_32
.LBB118_30:
                                        ; implicit-def: $sgpr0_sgpr1
	v_lshlrev_b64 v[6:7], 3, v[6:7]
.LBB118_31:
	v_add_co_u32 v9, vcc_lo, v16, v4
	v_add_co_ci_u32_e32 v10, vcc_lo, v17, v5, vcc_lo
	flat_load_b64 v[9:10], v[9:10]
	s_waitcnt vmcnt(0) lgkmcnt(0)
	v_mul_f64 v[9:10], v[9:10], s[6:7]
	s_delay_alu instid0(VALU_DEP_1)
	v_cvt_f32_f64_e32 v9, v[9:10]
	v_add_co_u32 v10, vcc_lo, v19, v4
	v_add_co_ci_u32_e32 v11, vcc_lo, v20, v5, vcc_lo
	v_add_co_u32 v13, vcc_lo, v16, v6
	v_add_co_ci_u32_e32 v14, vcc_lo, v17, v7, vcc_lo
	v_min_f32_e32 v8, v9, v8
	s_delay_alu instid0(VALU_DEP_1)
	v_cvt_f64_f32_e32 v[8:9], v8
	global_store_b64 v[10:11], v[8:9], off
	flat_load_b64 v[8:9], v[13:14]
	s_waitcnt vmcnt(0) lgkmcnt(0)
	v_mul_f64 v[8:9], v[8:9], s[6:7]
.LBB118_32:
	s_delay_alu instid0(VALU_DEP_1) | instskip(SKIP_4) | instid1(VALU_DEP_3)
	v_cvt_f32_f64_e32 v8, v[8:9]
	v_max_f32_e32 v9, v136, v136
	v_add_nc_u32_e32 v10, 40, v12
	v_add_co_u32 v21, vcc_lo, v19, v6
	v_add_co_ci_u32_e32 v22, vcc_lo, v20, v7, vcc_lo
	v_ashrrev_i32_e32 v11, 31, v10
	s_mov_b32 vcc_lo, s2
	v_max_f32_e32 v13, v133, v133
	v_min_f32_e32 v8, v8, v9
	s_delay_alu instid0(VALU_DEP_1) | instskip(SKIP_1) | instid1(VALU_DEP_1)
	v_cvt_f64_f32_e32 v[14:15], v8
	v_add_nc_u32_e32 v8, 32, v12
	v_ashrrev_i32_e32 v9, 31, v8
	s_delay_alu instid0(VALU_DEP_1)
	v_lshlrev_b64 v[8:9], 3, v[8:9]
	global_store_b64 v[21:22], v[14:15], off
	s_cbranch_vccz .LBB118_35
; %bb.33:
	v_min_f32_e32 v14, 0, v13
	v_add_co_u32 v21, vcc_lo, v19, v8
	v_add_co_ci_u32_e32 v22, vcc_lo, v20, v9, vcc_lo
	s_delay_alu instid0(VALU_DEP_3)
	v_cvt_f64_f32_e32 v[14:15], v14
	s_mov_b64 s[0:1], 0
	global_store_b64 v[21:22], v[14:15], off
	v_lshlrev_b64 v[10:11], 3, v[10:11]
	s_cbranch_execz .LBB118_36
; %bb.34:
	v_dual_mov_b32 v14, s1 :: v_dual_mov_b32 v13, s0
	s_branch .LBB118_37
.LBB118_35:
                                        ; implicit-def: $sgpr0_sgpr1
	v_lshlrev_b64 v[10:11], 3, v[10:11]
.LBB118_36:
	v_add_co_u32 v14, vcc_lo, v16, v8
	v_add_co_ci_u32_e32 v15, vcc_lo, v17, v9, vcc_lo
	v_add_co_u32 v21, vcc_lo, v19, v8
	v_add_co_ci_u32_e32 v22, vcc_lo, v20, v9, vcc_lo
	flat_load_b64 v[14:15], v[14:15]
	v_add_co_u32 v23, vcc_lo, v16, v10
	v_add_co_ci_u32_e32 v24, vcc_lo, v17, v11, vcc_lo
	s_waitcnt vmcnt(0) lgkmcnt(0)
	v_mul_f64 v[14:15], v[14:15], s[6:7]
	s_delay_alu instid0(VALU_DEP_1) | instskip(NEXT) | instid1(VALU_DEP_1)
	v_cvt_f32_f64_e32 v14, v[14:15]
	v_min_f32_e32 v13, v14, v13
	s_delay_alu instid0(VALU_DEP_1)
	v_cvt_f64_f32_e32 v[13:14], v13
	global_store_b64 v[21:22], v[13:14], off
	flat_load_b64 v[13:14], v[23:24]
	s_waitcnt vmcnt(0) lgkmcnt(0)
	v_mul_f64 v[13:14], v[13:14], s[6:7]
.LBB118_37:
	s_delay_alu instid0(VALU_DEP_1)
	v_cvt_f32_f64_e32 v13, v[13:14]
	v_dual_max_f32 v14, v132, v132 :: v_dual_max_f32 v21, v131, v131
	v_add_co_u32 v26, vcc_lo, v19, v10
	v_add_co_ci_u32_e32 v27, vcc_lo, v20, v11, vcc_lo
	s_mov_b32 vcc_lo, s2
	v_add_nc_u32_e32 v24, 48, v12
	s_delay_alu instid0(VALU_DEP_1) | instskip(SKIP_1) | instid1(VALU_DEP_1)
	v_ashrrev_i32_e32 v25, 31, v24
	v_dual_min_f32 v13, v13, v14 :: v_dual_add_nc_u32 v14, 56, v12
	v_cvt_f64_f32_e32 v[22:23], v13
	s_delay_alu instid0(VALU_DEP_2) | instskip(NEXT) | instid1(VALU_DEP_4)
	v_ashrrev_i32_e32 v15, 31, v14
	v_lshlrev_b64 v[12:13], 3, v[24:25]
	global_store_b64 v[26:27], v[22:23], off
	s_cbranch_vccz .LBB118_40
; %bb.38:
	v_min_f32_e32 v22, 0, v21
	v_add_co_u32 v24, vcc_lo, v19, v12
	v_add_co_ci_u32_e32 v25, vcc_lo, v20, v13, vcc_lo
	s_delay_alu instid0(VALU_DEP_3)
	v_cvt_f64_f32_e32 v[22:23], v22
	s_mov_b64 s[0:1], 0
	global_store_b64 v[24:25], v[22:23], off
	v_lshlrev_b64 v[14:15], 3, v[14:15]
	s_cbranch_execz .LBB118_41
; %bb.39:
	v_dual_mov_b32 v17, s1 :: v_dual_mov_b32 v16, s0
	s_branch .LBB118_42
.LBB118_40:
                                        ; implicit-def: $sgpr0_sgpr1
	v_lshlrev_b64 v[14:15], 3, v[14:15]
.LBB118_41:
	v_add_co_u32 v22, vcc_lo, v16, v12
	v_add_co_ci_u32_e32 v23, vcc_lo, v17, v13, vcc_lo
	flat_load_b64 v[22:23], v[22:23]
	s_waitcnt vmcnt(0) lgkmcnt(0)
	v_mul_f64 v[22:23], v[22:23], s[6:7]
	s_delay_alu instid0(VALU_DEP_1)
	v_cvt_f32_f64_e32 v22, v[22:23]
	v_add_co_u32 v23, vcc_lo, v19, v12
	v_add_co_ci_u32_e32 v24, vcc_lo, v20, v13, vcc_lo
	v_add_co_u32 v16, vcc_lo, v16, v14
	v_add_co_ci_u32_e32 v17, vcc_lo, v17, v15, vcc_lo
	v_min_f32_e32 v21, v22, v21
	s_delay_alu instid0(VALU_DEP_1)
	v_cvt_f64_f32_e32 v[21:22], v21
	global_store_b64 v[23:24], v[21:22], off
	flat_load_b64 v[16:17], v[16:17]
	s_waitcnt vmcnt(0) lgkmcnt(0)
	v_mul_f64 v[16:17], v[16:17], s[6:7]
.LBB118_42:
	s_delay_alu instid0(VALU_DEP_1) | instskip(SKIP_4) | instid1(VALU_DEP_1)
	v_cvt_f32_f64_e32 v16, v[16:17]
	v_max_f32_e32 v17, v130, v130
	v_add_co_u32 v27, vcc_lo, v19, v14
	v_add_co_ci_u32_e32 v28, vcc_lo, v20, v15, vcc_lo
	v_add_nc_u32_e32 v25, 32, v18
	v_mad_i64_i32 v[21:22], null, v25, s11, 0
	s_delay_alu instid0(VALU_DEP_1) | instskip(SKIP_1) | instid1(VALU_DEP_1)
	v_lshlrev_b64 v[21:22], 3, v[21:22]
	v_min_f32_e32 v16, v16, v17
	v_cvt_f64_f32_e32 v[23:24], v16
	v_mad_i64_i32 v[16:17], null, v25, s12, 0
	s_delay_alu instid0(VALU_DEP_1) | instskip(SKIP_1) | instid1(VALU_DEP_2)
	v_lshlrev_b64 v[25:26], 3, v[16:17]
	v_max_f32_e32 v16, v129, v129
	v_add_co_u32 v19, vcc_lo, s3, v25
	s_delay_alu instid0(VALU_DEP_3)
	v_add_co_ci_u32_e32 v20, vcc_lo, s8, v26, vcc_lo
	v_add_co_u32 v21, vcc_lo, s4, v21
	v_add_co_ci_u32_e32 v22, vcc_lo, s5, v22, vcc_lo
	s_mov_b32 vcc_lo, s2
	global_store_b64 v[27:28], v[23:24], off
	s_cbranch_vccz .LBB118_45
; %bb.43:
	v_min_f32_e32 v17, 0, v16
	v_add_co_u32 v25, vcc_lo, v19, v0
	v_add_co_ci_u32_e32 v26, vcc_lo, v20, v1, vcc_lo
	s_delay_alu instid0(VALU_DEP_3)
	v_cvt_f64_f32_e32 v[23:24], v17
	s_mov_b64 s[0:1], 0
	global_store_b64 v[25:26], v[23:24], off
	s_cbranch_execz .LBB118_46
; %bb.44:
	v_dual_mov_b32 v17, s1 :: v_dual_mov_b32 v16, s0
	s_branch .LBB118_47
.LBB118_45:
                                        ; implicit-def: $sgpr0_sgpr1
.LBB118_46:
	v_add_co_u32 v23, vcc_lo, v21, v0
	v_add_co_ci_u32_e32 v24, vcc_lo, v22, v1, vcc_lo
	flat_load_b64 v[23:24], v[23:24]
	s_waitcnt vmcnt(0) lgkmcnt(0)
	v_mul_f64 v[23:24], v[23:24], s[6:7]
	s_delay_alu instid0(VALU_DEP_1)
	v_cvt_f32_f64_e32 v17, v[23:24]
	v_add_co_u32 v23, vcc_lo, v19, v0
	v_add_co_ci_u32_e32 v24, vcc_lo, v20, v1, vcc_lo
	v_add_co_u32 v25, vcc_lo, v21, v2
	v_add_co_ci_u32_e32 v26, vcc_lo, v22, v3, vcc_lo
	v_min_f32_e32 v16, v17, v16
	s_delay_alu instid0(VALU_DEP_1)
	v_cvt_f64_f32_e32 v[16:17], v16
	global_store_b64 v[23:24], v[16:17], off
	flat_load_b64 v[16:17], v[25:26]
	s_waitcnt vmcnt(0) lgkmcnt(0)
	v_mul_f64 v[16:17], v[16:17], s[6:7]
.LBB118_47:
	s_delay_alu instid0(VALU_DEP_1) | instskip(SKIP_4) | instid1(VALU_DEP_3)
	v_cvt_f32_f64_e32 v16, v[16:17]
	v_max_f32_e32 v17, v233, v233
	v_add_co_u32 v25, vcc_lo, v19, v2
	v_add_co_ci_u32_e32 v26, vcc_lo, v20, v3, vcc_lo
	s_mov_b32 vcc_lo, s2
	v_min_f32_e32 v16, v16, v17
	s_delay_alu instid0(VALU_DEP_1)
	v_cvt_f64_f32_e32 v[23:24], v16
	v_max_f32_e32 v16, v240, v240
	global_store_b64 v[25:26], v[23:24], off
	s_cbranch_vccz .LBB118_50
; %bb.48:
	v_min_f32_e32 v17, 0, v16
	v_add_co_u32 v25, vcc_lo, v19, v4
	v_add_co_ci_u32_e32 v26, vcc_lo, v20, v5, vcc_lo
	s_delay_alu instid0(VALU_DEP_3)
	v_cvt_f64_f32_e32 v[23:24], v17
	s_mov_b64 s[0:1], 0
	global_store_b64 v[25:26], v[23:24], off
	s_cbranch_execz .LBB118_51
; %bb.49:
	v_dual_mov_b32 v17, s1 :: v_dual_mov_b32 v16, s0
	s_branch .LBB118_52
.LBB118_50:
                                        ; implicit-def: $sgpr0_sgpr1
.LBB118_51:
	v_add_co_u32 v23, vcc_lo, v21, v4
	v_add_co_ci_u32_e32 v24, vcc_lo, v22, v5, vcc_lo
	flat_load_b64 v[23:24], v[23:24]
	s_waitcnt vmcnt(0) lgkmcnt(0)
	v_mul_f64 v[23:24], v[23:24], s[6:7]
	s_delay_alu instid0(VALU_DEP_1)
	v_cvt_f32_f64_e32 v17, v[23:24]
	v_add_co_u32 v23, vcc_lo, v19, v4
	v_add_co_ci_u32_e32 v24, vcc_lo, v20, v5, vcc_lo
	v_add_co_u32 v25, vcc_lo, v21, v6
	v_add_co_ci_u32_e32 v26, vcc_lo, v22, v7, vcc_lo
	v_min_f32_e32 v16, v17, v16
	s_delay_alu instid0(VALU_DEP_1)
	v_cvt_f64_f32_e32 v[16:17], v16
	global_store_b64 v[23:24], v[16:17], off
	flat_load_b64 v[16:17], v[25:26]
	s_waitcnt vmcnt(0) lgkmcnt(0)
	v_mul_f64 v[16:17], v[16:17], s[6:7]
.LBB118_52:
	s_delay_alu instid0(VALU_DEP_1) | instskip(SKIP_4) | instid1(VALU_DEP_3)
	v_cvt_f32_f64_e32 v16, v[16:17]
	v_max_f32_e32 v17, v191, v191
	v_add_co_u32 v25, vcc_lo, v19, v6
	v_add_co_ci_u32_e32 v26, vcc_lo, v20, v7, vcc_lo
	s_mov_b32 vcc_lo, s2
	v_min_f32_e32 v16, v16, v17
	s_delay_alu instid0(VALU_DEP_1)
	v_cvt_f64_f32_e32 v[23:24], v16
	v_max_f32_e32 v16, v135, v135
	;; [unrolled: 46-line block ×3, first 2 shown]
	global_store_b64 v[25:26], v[23:24], off
	s_cbranch_vccz .LBB118_60
; %bb.58:
	v_min_f32_e32 v17, 0, v16
	v_add_co_u32 v25, vcc_lo, v19, v12
	v_add_co_ci_u32_e32 v26, vcc_lo, v20, v13, vcc_lo
	s_delay_alu instid0(VALU_DEP_3)
	v_cvt_f64_f32_e32 v[23:24], v17
	s_mov_b64 s[0:1], 0
	global_store_b64 v[25:26], v[23:24], off
	s_cbranch_execz .LBB118_61
; %bb.59:
	v_dual_mov_b32 v17, s1 :: v_dual_mov_b32 v16, s0
	s_branch .LBB118_62
.LBB118_60:
                                        ; implicit-def: $sgpr0_sgpr1
.LBB118_61:
	v_add_co_u32 v23, vcc_lo, v21, v12
	v_add_co_ci_u32_e32 v24, vcc_lo, v22, v13, vcc_lo
	flat_load_b64 v[23:24], v[23:24]
	s_waitcnt vmcnt(0) lgkmcnt(0)
	v_mul_f64 v[23:24], v[23:24], s[6:7]
	s_delay_alu instid0(VALU_DEP_1)
	v_cvt_f32_f64_e32 v17, v[23:24]
	v_add_co_u32 v23, vcc_lo, v19, v12
	v_add_co_ci_u32_e32 v24, vcc_lo, v20, v13, vcc_lo
	v_add_co_u32 v21, vcc_lo, v21, v14
	v_add_co_ci_u32_e32 v22, vcc_lo, v22, v15, vcc_lo
	v_min_f32_e32 v16, v17, v16
	s_delay_alu instid0(VALU_DEP_1)
	v_cvt_f64_f32_e32 v[16:17], v16
	global_store_b64 v[23:24], v[16:17], off
	flat_load_b64 v[16:17], v[21:22]
	s_waitcnt vmcnt(0) lgkmcnt(0)
	v_mul_f64 v[16:17], v[16:17], s[6:7]
.LBB118_62:
	s_delay_alu instid0(VALU_DEP_1) | instskip(SKIP_4) | instid1(VALU_DEP_1)
	v_cvt_f32_f64_e32 v16, v[16:17]
	v_max_f32_e32 v17, v119, v119
	v_add_co_u32 v27, vcc_lo, v19, v14
	v_add_co_ci_u32_e32 v28, vcc_lo, v20, v15, vcc_lo
	v_add_nc_u32_e32 v25, 64, v18
	v_mad_i64_i32 v[21:22], null, v25, s11, 0
	s_delay_alu instid0(VALU_DEP_1) | instskip(SKIP_1) | instid1(VALU_DEP_1)
	v_lshlrev_b64 v[21:22], 3, v[21:22]
	v_min_f32_e32 v16, v16, v17
	v_cvt_f64_f32_e32 v[23:24], v16
	v_mad_i64_i32 v[16:17], null, v25, s12, 0
	s_delay_alu instid0(VALU_DEP_1) | instskip(SKIP_1) | instid1(VALU_DEP_2)
	v_lshlrev_b64 v[25:26], 3, v[16:17]
	v_max_f32_e32 v16, v218, v218
	v_add_co_u32 v19, vcc_lo, s3, v25
	s_delay_alu instid0(VALU_DEP_3)
	v_add_co_ci_u32_e32 v20, vcc_lo, s8, v26, vcc_lo
	v_add_co_u32 v21, vcc_lo, s4, v21
	v_add_co_ci_u32_e32 v22, vcc_lo, s5, v22, vcc_lo
	s_mov_b32 vcc_lo, s2
	global_store_b64 v[27:28], v[23:24], off
	s_cbranch_vccz .LBB118_65
; %bb.63:
	v_min_f32_e32 v17, 0, v16
	v_add_co_u32 v25, vcc_lo, v19, v0
	v_add_co_ci_u32_e32 v26, vcc_lo, v20, v1, vcc_lo
	s_delay_alu instid0(VALU_DEP_3)
	v_cvt_f64_f32_e32 v[23:24], v17
	s_mov_b64 s[0:1], 0
	global_store_b64 v[25:26], v[23:24], off
	s_cbranch_execz .LBB118_66
; %bb.64:
	v_dual_mov_b32 v17, s1 :: v_dual_mov_b32 v16, s0
	s_branch .LBB118_67
.LBB118_65:
                                        ; implicit-def: $sgpr0_sgpr1
.LBB118_66:
	v_add_co_u32 v23, vcc_lo, v21, v0
	v_add_co_ci_u32_e32 v24, vcc_lo, v22, v1, vcc_lo
	flat_load_b64 v[23:24], v[23:24]
	s_waitcnt vmcnt(0) lgkmcnt(0)
	v_mul_f64 v[23:24], v[23:24], s[6:7]
	s_delay_alu instid0(VALU_DEP_1)
	v_cvt_f32_f64_e32 v17, v[23:24]
	v_add_co_u32 v23, vcc_lo, v19, v0
	v_add_co_ci_u32_e32 v24, vcc_lo, v20, v1, vcc_lo
	v_add_co_u32 v25, vcc_lo, v21, v2
	v_add_co_ci_u32_e32 v26, vcc_lo, v22, v3, vcc_lo
	v_min_f32_e32 v16, v17, v16
	s_delay_alu instid0(VALU_DEP_1)
	v_cvt_f64_f32_e32 v[16:17], v16
	global_store_b64 v[23:24], v[16:17], off
	flat_load_b64 v[16:17], v[25:26]
	s_waitcnt vmcnt(0) lgkmcnt(0)
	v_mul_f64 v[16:17], v[16:17], s[6:7]
.LBB118_67:
	s_delay_alu instid0(VALU_DEP_1) | instskip(SKIP_4) | instid1(VALU_DEP_3)
	v_cvt_f32_f64_e32 v16, v[16:17]
	v_max_f32_e32 v17, v46, v46
	v_add_co_u32 v25, vcc_lo, v19, v2
	v_add_co_ci_u32_e32 v26, vcc_lo, v20, v3, vcc_lo
	s_mov_b32 vcc_lo, s2
	v_min_f32_e32 v16, v16, v17
	s_delay_alu instid0(VALU_DEP_1)
	v_cvt_f64_f32_e32 v[23:24], v16
	v_max_f32_e32 v16, v45, v45
	global_store_b64 v[25:26], v[23:24], off
	s_cbranch_vccz .LBB118_70
; %bb.68:
	v_min_f32_e32 v17, 0, v16
	v_add_co_u32 v25, vcc_lo, v19, v4
	v_add_co_ci_u32_e32 v26, vcc_lo, v20, v5, vcc_lo
	s_delay_alu instid0(VALU_DEP_3)
	v_cvt_f64_f32_e32 v[23:24], v17
	s_mov_b64 s[0:1], 0
	global_store_b64 v[25:26], v[23:24], off
	s_cbranch_execz .LBB118_71
; %bb.69:
	v_dual_mov_b32 v17, s1 :: v_dual_mov_b32 v16, s0
	s_branch .LBB118_72
.LBB118_70:
                                        ; implicit-def: $sgpr0_sgpr1
.LBB118_71:
	v_add_co_u32 v23, vcc_lo, v21, v4
	v_add_co_ci_u32_e32 v24, vcc_lo, v22, v5, vcc_lo
	flat_load_b64 v[23:24], v[23:24]
	s_waitcnt vmcnt(0) lgkmcnt(0)
	v_mul_f64 v[23:24], v[23:24], s[6:7]
	s_delay_alu instid0(VALU_DEP_1)
	v_cvt_f32_f64_e32 v17, v[23:24]
	v_add_co_u32 v23, vcc_lo, v19, v4
	v_add_co_ci_u32_e32 v24, vcc_lo, v20, v5, vcc_lo
	v_add_co_u32 v25, vcc_lo, v21, v6
	v_add_co_ci_u32_e32 v26, vcc_lo, v22, v7, vcc_lo
	v_min_f32_e32 v16, v17, v16
	s_delay_alu instid0(VALU_DEP_1)
	v_cvt_f64_f32_e32 v[16:17], v16
	global_store_b64 v[23:24], v[16:17], off
	flat_load_b64 v[16:17], v[25:26]
	s_waitcnt vmcnt(0) lgkmcnt(0)
	v_mul_f64 v[16:17], v[16:17], s[6:7]
.LBB118_72:
	s_delay_alu instid0(VALU_DEP_1) | instskip(SKIP_4) | instid1(VALU_DEP_3)
	v_cvt_f32_f64_e32 v16, v[16:17]
	v_max_f32_e32 v17, v96, v96
	v_add_co_u32 v25, vcc_lo, v19, v6
	v_add_co_ci_u32_e32 v26, vcc_lo, v20, v7, vcc_lo
	s_mov_b32 vcc_lo, s2
	v_min_f32_e32 v16, v16, v17
	s_delay_alu instid0(VALU_DEP_1)
	v_cvt_f64_f32_e32 v[23:24], v16
	v_max_f32_e32 v16, v43, v43
	;; [unrolled: 46-line block ×3, first 2 shown]
	global_store_b64 v[25:26], v[23:24], off
	s_cbranch_vccz .LBB118_80
; %bb.78:
	v_min_f32_e32 v17, 0, v16
	v_add_co_u32 v25, vcc_lo, v19, v12
	v_add_co_ci_u32_e32 v26, vcc_lo, v20, v13, vcc_lo
	s_delay_alu instid0(VALU_DEP_3)
	v_cvt_f64_f32_e32 v[23:24], v17
	s_mov_b64 s[0:1], 0
	global_store_b64 v[25:26], v[23:24], off
	s_cbranch_execz .LBB118_81
; %bb.79:
	v_dual_mov_b32 v17, s1 :: v_dual_mov_b32 v16, s0
	s_branch .LBB118_82
.LBB118_80:
                                        ; implicit-def: $sgpr0_sgpr1
.LBB118_81:
	v_add_co_u32 v23, vcc_lo, v21, v12
	v_add_co_ci_u32_e32 v24, vcc_lo, v22, v13, vcc_lo
	flat_load_b64 v[23:24], v[23:24]
	s_waitcnt vmcnt(0) lgkmcnt(0)
	v_mul_f64 v[23:24], v[23:24], s[6:7]
	s_delay_alu instid0(VALU_DEP_1)
	v_cvt_f32_f64_e32 v17, v[23:24]
	v_add_co_u32 v23, vcc_lo, v19, v12
	v_add_co_ci_u32_e32 v24, vcc_lo, v20, v13, vcc_lo
	v_add_co_u32 v21, vcc_lo, v21, v14
	v_add_co_ci_u32_e32 v22, vcc_lo, v22, v15, vcc_lo
	v_min_f32_e32 v16, v17, v16
	s_delay_alu instid0(VALU_DEP_1)
	v_cvt_f64_f32_e32 v[16:17], v16
	global_store_b64 v[23:24], v[16:17], off
	flat_load_b64 v[16:17], v[21:22]
	s_waitcnt vmcnt(0) lgkmcnt(0)
	v_mul_f64 v[16:17], v[16:17], s[6:7]
.LBB118_82:
	s_delay_alu instid0(VALU_DEP_1) | instskip(SKIP_4) | instid1(VALU_DEP_1)
	v_cvt_f32_f64_e32 v16, v[16:17]
	v_max_f32_e32 v17, v83, v83
	v_add_co_u32 v27, vcc_lo, v19, v14
	v_add_co_ci_u32_e32 v28, vcc_lo, v20, v15, vcc_lo
	v_add_nc_u32_e32 v25, 0x60, v18
	v_mad_i64_i32 v[21:22], null, v25, s11, 0
	s_delay_alu instid0(VALU_DEP_1) | instskip(SKIP_1) | instid1(VALU_DEP_1)
	v_lshlrev_b64 v[21:22], 3, v[21:22]
	v_min_f32_e32 v16, v16, v17
	v_cvt_f64_f32_e32 v[23:24], v16
	v_mad_i64_i32 v[16:17], null, v25, s12, 0
	s_delay_alu instid0(VALU_DEP_1) | instskip(SKIP_1) | instid1(VALU_DEP_2)
	v_lshlrev_b64 v[25:26], 3, v[16:17]
	v_max_f32_e32 v16, v84, v84
	v_add_co_u32 v19, vcc_lo, s3, v25
	s_delay_alu instid0(VALU_DEP_3)
	v_add_co_ci_u32_e32 v20, vcc_lo, s8, v26, vcc_lo
	v_add_co_u32 v21, vcc_lo, s4, v21
	v_add_co_ci_u32_e32 v22, vcc_lo, s5, v22, vcc_lo
	s_mov_b32 vcc_lo, s2
	global_store_b64 v[27:28], v[23:24], off
	s_cbranch_vccz .LBB118_85
; %bb.83:
	v_min_f32_e32 v17, 0, v16
	v_add_co_u32 v25, vcc_lo, v19, v0
	v_add_co_ci_u32_e32 v26, vcc_lo, v20, v1, vcc_lo
	s_delay_alu instid0(VALU_DEP_3)
	v_cvt_f64_f32_e32 v[23:24], v17
	s_mov_b64 s[0:1], 0
	global_store_b64 v[25:26], v[23:24], off
	s_cbranch_execz .LBB118_86
; %bb.84:
	v_dual_mov_b32 v17, s1 :: v_dual_mov_b32 v16, s0
	s_branch .LBB118_87
.LBB118_85:
                                        ; implicit-def: $sgpr0_sgpr1
.LBB118_86:
	v_add_co_u32 v23, vcc_lo, v21, v0
	v_add_co_ci_u32_e32 v24, vcc_lo, v22, v1, vcc_lo
	flat_load_b64 v[23:24], v[23:24]
	s_waitcnt vmcnt(0) lgkmcnt(0)
	v_mul_f64 v[23:24], v[23:24], s[6:7]
	s_delay_alu instid0(VALU_DEP_1)
	v_cvt_f32_f64_e32 v17, v[23:24]
	v_add_co_u32 v23, vcc_lo, v19, v0
	v_add_co_ci_u32_e32 v24, vcc_lo, v20, v1, vcc_lo
	v_add_co_u32 v25, vcc_lo, v21, v2
	v_add_co_ci_u32_e32 v26, vcc_lo, v22, v3, vcc_lo
	v_min_f32_e32 v16, v17, v16
	s_delay_alu instid0(VALU_DEP_1)
	v_cvt_f64_f32_e32 v[16:17], v16
	global_store_b64 v[23:24], v[16:17], off
	flat_load_b64 v[16:17], v[25:26]
	s_waitcnt vmcnt(0) lgkmcnt(0)
	v_mul_f64 v[16:17], v[16:17], s[6:7]
.LBB118_87:
	s_delay_alu instid0(VALU_DEP_1) | instskip(SKIP_4) | instid1(VALU_DEP_3)
	v_cvt_f32_f64_e32 v16, v[16:17]
	v_max_f32_e32 v17, v89, v89
	v_add_co_u32 v25, vcc_lo, v19, v2
	v_add_co_ci_u32_e32 v26, vcc_lo, v20, v3, vcc_lo
	s_mov_b32 vcc_lo, s2
	v_min_f32_e32 v16, v16, v17
	s_delay_alu instid0(VALU_DEP_1)
	v_cvt_f64_f32_e32 v[23:24], v16
	v_max_f32_e32 v16, v41, v41
	global_store_b64 v[25:26], v[23:24], off
	s_cbranch_vccz .LBB118_90
; %bb.88:
	v_min_f32_e32 v17, 0, v16
	v_add_co_u32 v25, vcc_lo, v19, v4
	v_add_co_ci_u32_e32 v26, vcc_lo, v20, v5, vcc_lo
	s_delay_alu instid0(VALU_DEP_3)
	v_cvt_f64_f32_e32 v[23:24], v17
	s_mov_b64 s[0:1], 0
	global_store_b64 v[25:26], v[23:24], off
	s_cbranch_execz .LBB118_91
; %bb.89:
	v_dual_mov_b32 v17, s1 :: v_dual_mov_b32 v16, s0
	s_branch .LBB118_92
.LBB118_90:
                                        ; implicit-def: $sgpr0_sgpr1
.LBB118_91:
	v_add_co_u32 v23, vcc_lo, v21, v4
	v_add_co_ci_u32_e32 v24, vcc_lo, v22, v5, vcc_lo
	flat_load_b64 v[23:24], v[23:24]
	s_waitcnt vmcnt(0) lgkmcnt(0)
	v_mul_f64 v[23:24], v[23:24], s[6:7]
	s_delay_alu instid0(VALU_DEP_1)
	v_cvt_f32_f64_e32 v17, v[23:24]
	v_add_co_u32 v23, vcc_lo, v19, v4
	v_add_co_ci_u32_e32 v24, vcc_lo, v20, v5, vcc_lo
	v_add_co_u32 v25, vcc_lo, v21, v6
	v_add_co_ci_u32_e32 v26, vcc_lo, v22, v7, vcc_lo
	v_min_f32_e32 v16, v17, v16
	s_delay_alu instid0(VALU_DEP_1)
	v_cvt_f64_f32_e32 v[16:17], v16
	global_store_b64 v[23:24], v[16:17], off
	flat_load_b64 v[16:17], v[25:26]
	s_waitcnt vmcnt(0) lgkmcnt(0)
	v_mul_f64 v[16:17], v[16:17], s[6:7]
.LBB118_92:
	s_delay_alu instid0(VALU_DEP_1) | instskip(SKIP_4) | instid1(VALU_DEP_3)
	v_cvt_f32_f64_e32 v16, v[16:17]
	v_max_f32_e32 v17, v98, v98
	v_add_co_u32 v25, vcc_lo, v19, v6
	v_add_co_ci_u32_e32 v26, vcc_lo, v20, v7, vcc_lo
	s_mov_b32 vcc_lo, s2
	v_min_f32_e32 v16, v16, v17
	s_delay_alu instid0(VALU_DEP_1)
	v_cvt_f64_f32_e32 v[23:24], v16
	v_max_f32_e32 v16, v39, v39
	;; [unrolled: 46-line block ×3, first 2 shown]
	global_store_b64 v[25:26], v[23:24], off
	s_cbranch_vccz .LBB118_100
; %bb.98:
	v_min_f32_e32 v17, 0, v16
	v_add_co_u32 v25, vcc_lo, v19, v12
	v_add_co_ci_u32_e32 v26, vcc_lo, v20, v13, vcc_lo
	s_delay_alu instid0(VALU_DEP_3)
	v_cvt_f64_f32_e32 v[23:24], v17
	s_mov_b64 s[0:1], 0
	global_store_b64 v[25:26], v[23:24], off
	s_cbranch_execz .LBB118_101
; %bb.99:
	v_dual_mov_b32 v17, s1 :: v_dual_mov_b32 v16, s0
	s_branch .LBB118_102
.LBB118_100:
                                        ; implicit-def: $sgpr0_sgpr1
.LBB118_101:
	v_add_co_u32 v23, vcc_lo, v21, v12
	v_add_co_ci_u32_e32 v24, vcc_lo, v22, v13, vcc_lo
	flat_load_b64 v[23:24], v[23:24]
	s_waitcnt vmcnt(0) lgkmcnt(0)
	v_mul_f64 v[23:24], v[23:24], s[6:7]
	s_delay_alu instid0(VALU_DEP_1)
	v_cvt_f32_f64_e32 v17, v[23:24]
	v_add_co_u32 v23, vcc_lo, v19, v12
	v_add_co_ci_u32_e32 v24, vcc_lo, v20, v13, vcc_lo
	v_add_co_u32 v21, vcc_lo, v21, v14
	v_add_co_ci_u32_e32 v22, vcc_lo, v22, v15, vcc_lo
	v_min_f32_e32 v16, v17, v16
	s_delay_alu instid0(VALU_DEP_1)
	v_cvt_f64_f32_e32 v[16:17], v16
	global_store_b64 v[23:24], v[16:17], off
	flat_load_b64 v[16:17], v[21:22]
	s_waitcnt vmcnt(0) lgkmcnt(0)
	v_mul_f64 v[16:17], v[16:17], s[6:7]
.LBB118_102:
	s_delay_alu instid0(VALU_DEP_1) | instskip(SKIP_4) | instid1(VALU_DEP_1)
	v_cvt_f32_f64_e32 v16, v[16:17]
	v_max_f32_e32 v17, v102, v102
	v_add_co_u32 v27, vcc_lo, v19, v14
	v_add_co_ci_u32_e32 v28, vcc_lo, v20, v15, vcc_lo
	v_add_nc_u32_e32 v25, 0x80, v18
	v_mad_i64_i32 v[21:22], null, v25, s11, 0
	s_delay_alu instid0(VALU_DEP_1) | instskip(SKIP_1) | instid1(VALU_DEP_1)
	v_lshlrev_b64 v[21:22], 3, v[21:22]
	v_min_f32_e32 v16, v16, v17
	v_cvt_f64_f32_e32 v[23:24], v16
	v_mad_i64_i32 v[16:17], null, v25, s12, 0
	s_delay_alu instid0(VALU_DEP_1) | instskip(SKIP_1) | instid1(VALU_DEP_2)
	v_lshlrev_b64 v[25:26], 3, v[16:17]
	v_max_f32_e32 v16, v35, v35
	v_add_co_u32 v19, vcc_lo, s3, v25
	s_delay_alu instid0(VALU_DEP_3)
	v_add_co_ci_u32_e32 v20, vcc_lo, s8, v26, vcc_lo
	v_add_co_u32 v21, vcc_lo, s4, v21
	v_add_co_ci_u32_e32 v22, vcc_lo, s5, v22, vcc_lo
	s_mov_b32 vcc_lo, s2
	global_store_b64 v[27:28], v[23:24], off
	s_cbranch_vccz .LBB118_105
; %bb.103:
	v_min_f32_e32 v17, 0, v16
	v_add_co_u32 v25, vcc_lo, v19, v0
	v_add_co_ci_u32_e32 v26, vcc_lo, v20, v1, vcc_lo
	s_delay_alu instid0(VALU_DEP_3)
	v_cvt_f64_f32_e32 v[23:24], v17
	s_mov_b64 s[0:1], 0
	global_store_b64 v[25:26], v[23:24], off
	s_cbranch_execz .LBB118_106
; %bb.104:
	v_dual_mov_b32 v17, s1 :: v_dual_mov_b32 v16, s0
	s_branch .LBB118_107
.LBB118_105:
                                        ; implicit-def: $sgpr0_sgpr1
.LBB118_106:
	v_add_co_u32 v23, vcc_lo, v21, v0
	v_add_co_ci_u32_e32 v24, vcc_lo, v22, v1, vcc_lo
	flat_load_b64 v[23:24], v[23:24]
	s_waitcnt vmcnt(0) lgkmcnt(0)
	v_mul_f64 v[23:24], v[23:24], s[6:7]
	s_delay_alu instid0(VALU_DEP_1)
	v_cvt_f32_f64_e32 v17, v[23:24]
	v_add_co_u32 v23, vcc_lo, v19, v0
	v_add_co_ci_u32_e32 v24, vcc_lo, v20, v1, vcc_lo
	v_add_co_u32 v25, vcc_lo, v21, v2
	v_add_co_ci_u32_e32 v26, vcc_lo, v22, v3, vcc_lo
	v_min_f32_e32 v16, v17, v16
	s_delay_alu instid0(VALU_DEP_1)
	v_cvt_f64_f32_e32 v[16:17], v16
	global_store_b64 v[23:24], v[16:17], off
	flat_load_b64 v[16:17], v[25:26]
	s_waitcnt vmcnt(0) lgkmcnt(0)
	v_mul_f64 v[16:17], v[16:17], s[6:7]
.LBB118_107:
	s_delay_alu instid0(VALU_DEP_1) | instskip(SKIP_4) | instid1(VALU_DEP_3)
	v_cvt_f32_f64_e32 v16, v[16:17]
	v_max_f32_e32 v17, v106, v106
	v_add_co_u32 v25, vcc_lo, v19, v2
	v_add_co_ci_u32_e32 v26, vcc_lo, v20, v3, vcc_lo
	s_mov_b32 vcc_lo, s2
	v_min_f32_e32 v16, v16, v17
	s_delay_alu instid0(VALU_DEP_1)
	v_cvt_f64_f32_e32 v[23:24], v16
	v_max_f32_e32 v16, v33, v33
	global_store_b64 v[25:26], v[23:24], off
	s_cbranch_vccz .LBB118_110
; %bb.108:
	v_min_f32_e32 v17, 0, v16
	v_add_co_u32 v25, vcc_lo, v19, v4
	v_add_co_ci_u32_e32 v26, vcc_lo, v20, v5, vcc_lo
	s_delay_alu instid0(VALU_DEP_3)
	v_cvt_f64_f32_e32 v[23:24], v17
	s_mov_b64 s[0:1], 0
	global_store_b64 v[25:26], v[23:24], off
	s_cbranch_execz .LBB118_111
; %bb.109:
	v_dual_mov_b32 v17, s1 :: v_dual_mov_b32 v16, s0
	s_branch .LBB118_112
.LBB118_110:
                                        ; implicit-def: $sgpr0_sgpr1
.LBB118_111:
	v_add_co_u32 v23, vcc_lo, v21, v4
	v_add_co_ci_u32_e32 v24, vcc_lo, v22, v5, vcc_lo
	flat_load_b64 v[23:24], v[23:24]
	s_waitcnt vmcnt(0) lgkmcnt(0)
	v_mul_f64 v[23:24], v[23:24], s[6:7]
	s_delay_alu instid0(VALU_DEP_1)
	v_cvt_f32_f64_e32 v17, v[23:24]
	v_add_co_u32 v23, vcc_lo, v19, v4
	v_add_co_ci_u32_e32 v24, vcc_lo, v20, v5, vcc_lo
	v_add_co_u32 v25, vcc_lo, v21, v6
	v_add_co_ci_u32_e32 v26, vcc_lo, v22, v7, vcc_lo
	v_min_f32_e32 v16, v17, v16
	s_delay_alu instid0(VALU_DEP_1)
	v_cvt_f64_f32_e32 v[16:17], v16
	global_store_b64 v[23:24], v[16:17], off
	flat_load_b64 v[16:17], v[25:26]
	s_waitcnt vmcnt(0) lgkmcnt(0)
	v_mul_f64 v[16:17], v[16:17], s[6:7]
.LBB118_112:
	s_delay_alu instid0(VALU_DEP_1) | instskip(SKIP_4) | instid1(VALU_DEP_3)
	v_cvt_f32_f64_e32 v16, v[16:17]
	v_max_f32_e32 v17, v196, v196
	v_add_co_u32 v25, vcc_lo, v19, v6
	v_add_co_ci_u32_e32 v26, vcc_lo, v20, v7, vcc_lo
	s_mov_b32 vcc_lo, s2
	v_min_f32_e32 v16, v16, v17
	s_delay_alu instid0(VALU_DEP_1)
	v_cvt_f64_f32_e32 v[23:24], v16
	v_max_f32_e32 v16, v32, v32
	;; [unrolled: 46-line block ×3, first 2 shown]
	global_store_b64 v[25:26], v[23:24], off
	s_cbranch_vccz .LBB118_120
; %bb.118:
	v_min_f32_e32 v17, 0, v16
	v_add_co_u32 v25, vcc_lo, v19, v12
	v_add_co_ci_u32_e32 v26, vcc_lo, v20, v13, vcc_lo
	s_delay_alu instid0(VALU_DEP_3)
	v_cvt_f64_f32_e32 v[23:24], v17
	s_mov_b64 s[0:1], 0
	global_store_b64 v[25:26], v[23:24], off
	s_cbranch_execz .LBB118_121
; %bb.119:
	v_dual_mov_b32 v17, s1 :: v_dual_mov_b32 v16, s0
	s_branch .LBB118_122
.LBB118_120:
                                        ; implicit-def: $sgpr0_sgpr1
.LBB118_121:
	v_add_co_u32 v23, vcc_lo, v21, v12
	v_add_co_ci_u32_e32 v24, vcc_lo, v22, v13, vcc_lo
	flat_load_b64 v[23:24], v[23:24]
	s_waitcnt vmcnt(0) lgkmcnt(0)
	v_mul_f64 v[23:24], v[23:24], s[6:7]
	s_delay_alu instid0(VALU_DEP_1)
	v_cvt_f32_f64_e32 v17, v[23:24]
	v_add_co_u32 v23, vcc_lo, v19, v12
	v_add_co_ci_u32_e32 v24, vcc_lo, v20, v13, vcc_lo
	v_add_co_u32 v21, vcc_lo, v21, v14
	v_add_co_ci_u32_e32 v22, vcc_lo, v22, v15, vcc_lo
	v_min_f32_e32 v16, v17, v16
	s_delay_alu instid0(VALU_DEP_1)
	v_cvt_f64_f32_e32 v[16:17], v16
	global_store_b64 v[23:24], v[16:17], off
	flat_load_b64 v[16:17], v[21:22]
	s_waitcnt vmcnt(0) lgkmcnt(0)
	v_mul_f64 v[16:17], v[16:17], s[6:7]
.LBB118_122:
	s_delay_alu instid0(VALU_DEP_1) | instskip(SKIP_4) | instid1(VALU_DEP_1)
	v_cvt_f32_f64_e32 v16, v[16:17]
	v_max_f32_e32 v17, v206, v206
	v_add_co_u32 v27, vcc_lo, v19, v14
	v_add_co_ci_u32_e32 v28, vcc_lo, v20, v15, vcc_lo
	v_add_nc_u32_e32 v25, 0xa0, v18
	v_mad_i64_i32 v[21:22], null, v25, s11, 0
	s_delay_alu instid0(VALU_DEP_1) | instskip(SKIP_1) | instid1(VALU_DEP_1)
	v_lshlrev_b64 v[21:22], 3, v[21:22]
	v_min_f32_e32 v16, v16, v17
	v_cvt_f64_f32_e32 v[23:24], v16
	v_mad_i64_i32 v[16:17], null, v25, s12, 0
	s_delay_alu instid0(VALU_DEP_1) | instskip(SKIP_1) | instid1(VALU_DEP_2)
	v_lshlrev_b64 v[25:26], 3, v[16:17]
	v_max_f32_e32 v16, v56, v56
	v_add_co_u32 v19, vcc_lo, s3, v25
	s_delay_alu instid0(VALU_DEP_3)
	v_add_co_ci_u32_e32 v20, vcc_lo, s8, v26, vcc_lo
	v_add_co_u32 v21, vcc_lo, s4, v21
	v_add_co_ci_u32_e32 v22, vcc_lo, s5, v22, vcc_lo
	s_mov_b32 vcc_lo, s2
	global_store_b64 v[27:28], v[23:24], off
	s_cbranch_vccz .LBB118_125
; %bb.123:
	v_min_f32_e32 v17, 0, v16
	v_add_co_u32 v25, vcc_lo, v19, v0
	v_add_co_ci_u32_e32 v26, vcc_lo, v20, v1, vcc_lo
	s_delay_alu instid0(VALU_DEP_3)
	v_cvt_f64_f32_e32 v[23:24], v17
	s_mov_b64 s[0:1], 0
	global_store_b64 v[25:26], v[23:24], off
	s_cbranch_execz .LBB118_126
; %bb.124:
	v_dual_mov_b32 v17, s1 :: v_dual_mov_b32 v16, s0
	s_branch .LBB118_127
.LBB118_125:
                                        ; implicit-def: $sgpr0_sgpr1
.LBB118_126:
	v_add_co_u32 v23, vcc_lo, v21, v0
	v_add_co_ci_u32_e32 v24, vcc_lo, v22, v1, vcc_lo
	flat_load_b64 v[23:24], v[23:24]
	s_waitcnt vmcnt(0) lgkmcnt(0)
	v_mul_f64 v[23:24], v[23:24], s[6:7]
	s_delay_alu instid0(VALU_DEP_1)
	v_cvt_f32_f64_e32 v17, v[23:24]
	v_add_co_u32 v23, vcc_lo, v19, v0
	v_add_co_ci_u32_e32 v24, vcc_lo, v20, v1, vcc_lo
	v_add_co_u32 v25, vcc_lo, v21, v2
	v_add_co_ci_u32_e32 v26, vcc_lo, v22, v3, vcc_lo
	v_min_f32_e32 v16, v17, v16
	s_delay_alu instid0(VALU_DEP_1)
	v_cvt_f64_f32_e32 v[16:17], v16
	global_store_b64 v[23:24], v[16:17], off
	flat_load_b64 v[16:17], v[25:26]
	s_waitcnt vmcnt(0) lgkmcnt(0)
	v_mul_f64 v[16:17], v[16:17], s[6:7]
.LBB118_127:
	s_delay_alu instid0(VALU_DEP_1) | instskip(SKIP_4) | instid1(VALU_DEP_3)
	v_cvt_f32_f64_e32 v16, v[16:17]
	v_max_f32_e32 v17, v30, v30
	v_add_co_u32 v25, vcc_lo, v19, v2
	v_add_co_ci_u32_e32 v26, vcc_lo, v20, v3, vcc_lo
	s_mov_b32 vcc_lo, s2
	v_min_f32_e32 v16, v16, v17
	s_delay_alu instid0(VALU_DEP_1)
	v_cvt_f64_f32_e32 v[23:24], v16
	v_max_f32_e32 v16, v128, v128
	global_store_b64 v[25:26], v[23:24], off
	s_cbranch_vccz .LBB118_130
; %bb.128:
	v_min_f32_e32 v17, 0, v16
	v_add_co_u32 v25, vcc_lo, v19, v4
	v_add_co_ci_u32_e32 v26, vcc_lo, v20, v5, vcc_lo
	s_delay_alu instid0(VALU_DEP_3)
	v_cvt_f64_f32_e32 v[23:24], v17
	s_mov_b32 s0, 0
	global_store_b64 v[25:26], v[23:24], off
	s_cbranch_execz .LBB118_131
; %bb.129:
	v_mov_b32_e32 v16, s0
	s_branch .LBB118_132
.LBB118_130:
	s_mov_b32 s0, -1
.LBB118_131:
	v_add_co_u32 v23, vcc_lo, v21, v4
	v_add_co_ci_u32_e32 v24, vcc_lo, v22, v5, vcc_lo
	flat_load_b64 v[23:24], v[23:24]
	s_waitcnt vmcnt(0) lgkmcnt(0)
	v_mul_f64 v[23:24], v[23:24], s[6:7]
	s_delay_alu instid0(VALU_DEP_1)
	v_cvt_f32_f64_e32 v17, v[23:24]
	v_add_co_u32 v23, vcc_lo, v19, v4
	v_add_co_ci_u32_e32 v24, vcc_lo, v20, v5, vcc_lo
	v_add_co_u32 v25, vcc_lo, v21, v6
	v_add_co_ci_u32_e32 v26, vcc_lo, v22, v7, vcc_lo
	v_min_f32_e32 v16, v17, v16
	s_delay_alu instid0(VALU_DEP_1) | instskip(SKIP_4) | instid1(VALU_DEP_1)
	v_cvt_f64_f32_e32 v[16:17], v16
	global_store_b64 v[23:24], v[16:17], off
	flat_load_b64 v[16:17], v[25:26]
	s_waitcnt vmcnt(0) lgkmcnt(0)
	v_mul_f64 v[16:17], v[16:17], s[6:7]
	v_cvt_f32_f64_e32 v16, v[16:17]
.LBB118_132:
	v_max_f32_e32 v17, v232, v232
	s_delay_alu instid0(VALU_DEP_2) | instskip(SKIP_2) | instid1(VALU_DEP_3)
	v_max_f32_e32 v16, v16, v16
	v_add_co_u32 v25, vcc_lo, v19, v6
	v_add_co_ci_u32_e32 v26, vcc_lo, v20, v7, vcc_lo
	v_min_f32_e32 v16, v16, v17
	s_mov_b32 vcc_lo, s2
	s_delay_alu instid0(VALU_DEP_1)
	v_cvt_f64_f32_e32 v[23:24], v16
	v_max_f32_e32 v16, v72, v72
	global_store_b64 v[25:26], v[23:24], off
	s_cbranch_vccz .LBB118_135
; %bb.133:
	v_min_f32_e32 v17, 0, v16
	v_add_co_u32 v25, vcc_lo, v19, v8
	v_add_co_ci_u32_e32 v26, vcc_lo, v20, v9, vcc_lo
	s_delay_alu instid0(VALU_DEP_3)
	v_cvt_f64_f32_e32 v[23:24], v17
	s_mov_b32 s0, 0
	global_store_b64 v[25:26], v[23:24], off
	s_cbranch_execz .LBB118_136
; %bb.134:
	v_mov_b32_e32 v16, s0
	s_branch .LBB118_137
.LBB118_135:
	s_mov_b32 s0, -1
.LBB118_136:
	v_add_co_u32 v23, vcc_lo, v21, v8
	v_add_co_ci_u32_e32 v24, vcc_lo, v22, v9, vcc_lo
	flat_load_b64 v[23:24], v[23:24]
	s_waitcnt vmcnt(0) lgkmcnt(0)
	v_mul_f64 v[23:24], v[23:24], s[6:7]
	s_delay_alu instid0(VALU_DEP_1)
	v_cvt_f32_f64_e32 v17, v[23:24]
	v_add_co_u32 v23, vcc_lo, v19, v8
	v_add_co_ci_u32_e32 v24, vcc_lo, v20, v9, vcc_lo
	v_add_co_u32 v25, vcc_lo, v21, v10
	v_add_co_ci_u32_e32 v26, vcc_lo, v22, v11, vcc_lo
	v_min_f32_e32 v16, v17, v16
	s_delay_alu instid0(VALU_DEP_1) | instskip(SKIP_4) | instid1(VALU_DEP_1)
	v_cvt_f64_f32_e32 v[16:17], v16
	global_store_b64 v[23:24], v[16:17], off
	flat_load_b64 v[16:17], v[25:26]
	s_waitcnt vmcnt(0) lgkmcnt(0)
	v_mul_f64 v[16:17], v[16:17], s[6:7]
	v_cvt_f32_f64_e32 v16, v[16:17]
.LBB118_137:
	s_delay_alu instid0(VALU_DEP_1) | instskip(SKIP_2) | instid1(VALU_DEP_3)
	v_dual_max_f32 v17, v237, v237 :: v_dual_max_f32 v16, v16, v16
	v_add_co_u32 v25, vcc_lo, v19, v10
	v_add_co_ci_u32_e32 v26, vcc_lo, v20, v11, vcc_lo
	v_min_f32_e32 v16, v16, v17
	s_mov_b32 vcc_lo, s2
	s_delay_alu instid0(VALU_DEP_1)
	v_cvt_f64_f32_e32 v[23:24], v16
	v_max_f32_e32 v16, v238, v238
	global_store_b64 v[25:26], v[23:24], off
	s_cbranch_vccz .LBB118_140
; %bb.138:
	v_min_f32_e32 v17, 0, v16
	v_add_co_u32 v25, vcc_lo, v19, v12
	v_add_co_ci_u32_e32 v26, vcc_lo, v20, v13, vcc_lo
	s_delay_alu instid0(VALU_DEP_3)
	v_cvt_f64_f32_e32 v[23:24], v17
	s_mov_b32 s0, 0
	global_store_b64 v[25:26], v[23:24], off
	s_cbranch_execz .LBB118_141
; %bb.139:
	v_mov_b32_e32 v16, s0
	s_branch .LBB118_142
.LBB118_140:
	s_mov_b32 s0, -1
.LBB118_141:
	v_add_co_u32 v23, vcc_lo, v21, v12
	v_add_co_ci_u32_e32 v24, vcc_lo, v22, v13, vcc_lo
	flat_load_b64 v[23:24], v[23:24]
	s_waitcnt vmcnt(0) lgkmcnt(0)
	v_mul_f64 v[23:24], v[23:24], s[6:7]
	s_delay_alu instid0(VALU_DEP_1)
	v_cvt_f32_f64_e32 v17, v[23:24]
	v_add_co_u32 v23, vcc_lo, v19, v12
	v_add_co_ci_u32_e32 v24, vcc_lo, v20, v13, vcc_lo
	v_add_co_u32 v21, vcc_lo, v21, v14
	v_add_co_ci_u32_e32 v22, vcc_lo, v22, v15, vcc_lo
	v_min_f32_e32 v16, v17, v16
	s_delay_alu instid0(VALU_DEP_1) | instskip(SKIP_4) | instid1(VALU_DEP_1)
	v_cvt_f64_f32_e32 v[16:17], v16
	global_store_b64 v[23:24], v[16:17], off
	flat_load_b64 v[16:17], v[21:22]
	s_waitcnt vmcnt(0) lgkmcnt(0)
	v_mul_f64 v[16:17], v[16:17], s[6:7]
	v_cvt_f32_f64_e32 v16, v[16:17]
.LBB118_142:
	s_delay_alu instid0(VALU_DEP_1) | instskip(SKIP_2) | instid1(VALU_DEP_3)
	v_dual_max_f32 v17, v243, v243 :: v_dual_max_f32 v16, v16, v16
	v_add_co_u32 v26, vcc_lo, v19, v14
	v_add_co_ci_u32_e32 v27, vcc_lo, v20, v15, vcc_lo
	v_dual_min_f32 v16, v16, v17 :: v_dual_add_nc_u32 v21, 0xc0, v18
	s_delay_alu instid0(VALU_DEP_1) | instskip(NEXT) | instid1(VALU_DEP_2)
	v_cvt_f64_f32_e32 v[22:23], v16
	v_mad_i64_i32 v[16:17], null, v21, s12, 0
	v_mad_i64_i32 v[24:25], null, v21, s11, 0
	v_max_f32_e32 v21, v244, v244
	s_delay_alu instid0(VALU_DEP_3) | instskip(NEXT) | instid1(VALU_DEP_3)
	v_lshlrev_b64 v[16:17], 3, v[16:17]
	v_lshlrev_b64 v[19:20], 3, v[24:25]
	s_delay_alu instid0(VALU_DEP_2) | instskip(NEXT) | instid1(VALU_DEP_3)
	v_add_co_u32 v16, vcc_lo, s3, v16
	v_add_co_ci_u32_e32 v17, vcc_lo, s8, v17, vcc_lo
	s_delay_alu instid0(VALU_DEP_3) | instskip(NEXT) | instid1(VALU_DEP_4)
	v_add_co_u32 v19, vcc_lo, s4, v19
	v_add_co_ci_u32_e32 v20, vcc_lo, s5, v20, vcc_lo
	s_mov_b32 vcc_lo, s2
	global_store_b64 v[26:27], v[22:23], off
	s_cbranch_vccz .LBB118_145
; %bb.143:
	v_min_f32_e32 v22, 0, v21
	v_add_co_u32 v24, vcc_lo, v16, v0
	v_add_co_ci_u32_e32 v25, vcc_lo, v17, v1, vcc_lo
	s_delay_alu instid0(VALU_DEP_3)
	v_cvt_f64_f32_e32 v[22:23], v22
	s_mov_b32 s0, 0
	global_store_b64 v[24:25], v[22:23], off
	s_cbranch_execz .LBB118_146
; %bb.144:
	v_mov_b32_e32 v21, s0
	s_branch .LBB118_147
.LBB118_145:
	s_mov_b32 s0, -1
.LBB118_146:
	v_add_co_u32 v22, vcc_lo, v19, v0
	v_add_co_ci_u32_e32 v23, vcc_lo, v20, v1, vcc_lo
	flat_load_b64 v[22:23], v[22:23]
	s_waitcnt vmcnt(0) lgkmcnt(0)
	v_mul_f64 v[22:23], v[22:23], s[6:7]
	s_delay_alu instid0(VALU_DEP_1)
	v_cvt_f32_f64_e32 v22, v[22:23]
	v_add_co_u32 v23, vcc_lo, v16, v0
	v_add_co_ci_u32_e32 v24, vcc_lo, v17, v1, vcc_lo
	v_add_co_u32 v25, vcc_lo, v19, v2
	v_add_co_ci_u32_e32 v26, vcc_lo, v20, v3, vcc_lo
	v_min_f32_e32 v21, v22, v21
	s_delay_alu instid0(VALU_DEP_1) | instskip(SKIP_4) | instid1(VALU_DEP_1)
	v_cvt_f64_f32_e32 v[21:22], v21
	global_store_b64 v[23:24], v[21:22], off
	flat_load_b64 v[21:22], v[25:26]
	s_waitcnt vmcnt(0) lgkmcnt(0)
	v_mul_f64 v[21:22], v[21:22], s[6:7]
	v_cvt_f32_f64_e32 v21, v[21:22]
.LBB118_147:
	v_max_f32_e32 v22, v73, v73
	s_delay_alu instid0(VALU_DEP_2) | instskip(SKIP_2) | instid1(VALU_DEP_3)
	v_max_f32_e32 v21, v21, v21
	v_add_co_u32 v24, vcc_lo, v16, v2
	v_add_co_ci_u32_e32 v25, vcc_lo, v17, v3, vcc_lo
	v_min_f32_e32 v21, v21, v22
	s_mov_b32 vcc_lo, s2
	s_delay_alu instid0(VALU_DEP_1)
	v_cvt_f64_f32_e32 v[22:23], v21
	v_max_f32_e32 v21, v239, v239
	global_store_b64 v[24:25], v[22:23], off
	s_cbranch_vccz .LBB118_150
; %bb.148:
	v_min_f32_e32 v22, 0, v21
	v_add_co_u32 v24, vcc_lo, v16, v4
	v_add_co_ci_u32_e32 v25, vcc_lo, v17, v5, vcc_lo
	s_delay_alu instid0(VALU_DEP_3)
	v_cvt_f64_f32_e32 v[22:23], v22
	s_mov_b32 s0, 0
	global_store_b64 v[24:25], v[22:23], off
	s_cbranch_execz .LBB118_151
; %bb.149:
	v_mov_b32_e32 v21, s0
	s_branch .LBB118_152
.LBB118_150:
	s_mov_b32 s0, -1
.LBB118_151:
	v_add_co_u32 v22, vcc_lo, v19, v4
	v_add_co_ci_u32_e32 v23, vcc_lo, v20, v5, vcc_lo
	flat_load_b64 v[22:23], v[22:23]
	s_waitcnt vmcnt(0) lgkmcnt(0)
	v_mul_f64 v[22:23], v[22:23], s[6:7]
	s_delay_alu instid0(VALU_DEP_1)
	v_cvt_f32_f64_e32 v22, v[22:23]
	v_add_co_u32 v23, vcc_lo, v16, v4
	v_add_co_ci_u32_e32 v24, vcc_lo, v17, v5, vcc_lo
	v_add_co_u32 v25, vcc_lo, v19, v6
	v_add_co_ci_u32_e32 v26, vcc_lo, v20, v7, vcc_lo
	v_min_f32_e32 v21, v22, v21
	s_delay_alu instid0(VALU_DEP_1) | instskip(SKIP_4) | instid1(VALU_DEP_1)
	v_cvt_f64_f32_e32 v[21:22], v21
	global_store_b64 v[23:24], v[21:22], off
	flat_load_b64 v[21:22], v[25:26]
	s_waitcnt vmcnt(0) lgkmcnt(0)
	v_mul_f64 v[21:22], v[21:22], s[6:7]
	v_cvt_f32_f64_e32 v21, v[21:22]
.LBB118_152:
	s_delay_alu instid0(VALU_DEP_1) | instskip(SKIP_2) | instid1(VALU_DEP_3)
	v_dual_max_f32 v22, v236, v236 :: v_dual_max_f32 v21, v21, v21
	v_add_co_u32 v24, vcc_lo, v16, v6
	v_add_co_ci_u32_e32 v25, vcc_lo, v17, v7, vcc_lo
	v_min_f32_e32 v21, v21, v22
	s_mov_b32 vcc_lo, s2
	s_delay_alu instid0(VALU_DEP_1)
	v_cvt_f64_f32_e32 v[22:23], v21
	v_max_f32_e32 v21, v219, v219
	global_store_b64 v[24:25], v[22:23], off
	s_cbranch_vccz .LBB118_155
; %bb.153:
	v_min_f32_e32 v22, 0, v21
	v_add_co_u32 v24, vcc_lo, v16, v8
	v_add_co_ci_u32_e32 v25, vcc_lo, v17, v9, vcc_lo
	s_delay_alu instid0(VALU_DEP_3)
	v_cvt_f64_f32_e32 v[22:23], v22
	s_mov_b32 s0, 0
	global_store_b64 v[24:25], v[22:23], off
	s_cbranch_execz .LBB118_156
; %bb.154:
	v_mov_b32_e32 v21, s0
	s_branch .LBB118_157
.LBB118_155:
	s_mov_b32 s0, -1
.LBB118_156:
	v_add_co_u32 v22, vcc_lo, v19, v8
	v_add_co_ci_u32_e32 v23, vcc_lo, v20, v9, vcc_lo
	flat_load_b64 v[22:23], v[22:23]
	s_waitcnt vmcnt(0) lgkmcnt(0)
	v_mul_f64 v[22:23], v[22:23], s[6:7]
	s_delay_alu instid0(VALU_DEP_1)
	v_cvt_f32_f64_e32 v22, v[22:23]
	v_add_co_u32 v23, vcc_lo, v16, v8
	v_add_co_ci_u32_e32 v24, vcc_lo, v17, v9, vcc_lo
	v_add_co_u32 v25, vcc_lo, v19, v10
	v_add_co_ci_u32_e32 v26, vcc_lo, v20, v11, vcc_lo
	v_min_f32_e32 v21, v22, v21
	s_delay_alu instid0(VALU_DEP_1) | instskip(SKIP_4) | instid1(VALU_DEP_1)
	v_cvt_f64_f32_e32 v[21:22], v21
	global_store_b64 v[23:24], v[21:22], off
	flat_load_b64 v[21:22], v[25:26]
	s_waitcnt vmcnt(0) lgkmcnt(0)
	v_mul_f64 v[21:22], v[21:22], s[6:7]
	v_cvt_f32_f64_e32 v21, v[21:22]
.LBB118_157:
	s_delay_alu instid0(VALU_DEP_1) | instskip(SKIP_2) | instid1(VALU_DEP_3)
	v_dual_max_f32 v22, v247, v247 :: v_dual_max_f32 v21, v21, v21
	;; [unrolled: 46-line block ×3, first 2 shown]
	v_add_co_u32 v26, vcc_lo, v16, v14
	v_add_co_ci_u32_e32 v27, vcc_lo, v17, v15, vcc_lo
	v_dual_min_f32 v19, v19, v20 :: v_dual_add_nc_u32 v20, 0xe0, v18
	s_delay_alu instid0(VALU_DEP_1) | instskip(NEXT) | instid1(VALU_DEP_2)
	v_cvt_f64_f32_e32 v[22:23], v19
	v_mad_i64_i32 v[18:19], null, v20, s12, 0
	v_mad_i64_i32 v[24:25], null, v20, s11, 0
	v_max_f32_e32 v20, v190, v190
	s_delay_alu instid0(VALU_DEP_3) | instskip(NEXT) | instid1(VALU_DEP_3)
	v_lshlrev_b64 v[18:19], 3, v[18:19]
	v_lshlrev_b64 v[24:25], 3, v[24:25]
	s_delay_alu instid0(VALU_DEP_2) | instskip(NEXT) | instid1(VALU_DEP_3)
	v_add_co_u32 v16, vcc_lo, s3, v18
	v_add_co_ci_u32_e32 v17, vcc_lo, s8, v19, vcc_lo
	s_delay_alu instid0(VALU_DEP_3) | instskip(NEXT) | instid1(VALU_DEP_4)
	v_add_co_u32 v21, vcc_lo, s4, v24
	v_add_co_ci_u32_e32 v19, vcc_lo, s5, v25, vcc_lo
	s_mov_b32 vcc_lo, s2
	global_store_b64 v[26:27], v[22:23], off
	s_cbranch_vccz .LBB118_165
; %bb.163:
	v_min_f32_e32 v18, 0, v20
	v_add_co_u32 v24, vcc_lo, v16, v0
	v_add_co_ci_u32_e32 v25, vcc_lo, v17, v1, vcc_lo
	s_delay_alu instid0(VALU_DEP_3)
	v_cvt_f64_f32_e32 v[22:23], v18
	s_mov_b32 s0, 0
	global_store_b64 v[24:25], v[22:23], off
	s_cbranch_execz .LBB118_166
; %bb.164:
	v_mov_b32_e32 v0, s0
	s_branch .LBB118_167
.LBB118_165:
	s_mov_b32 s0, -1
.LBB118_166:
	v_add_co_u32 v22, vcc_lo, v21, v0
	v_add_co_ci_u32_e32 v23, vcc_lo, v19, v1, vcc_lo
	v_add_co_u32 v0, vcc_lo, v16, v0
	v_add_co_ci_u32_e32 v1, vcc_lo, v17, v1, vcc_lo
	flat_load_b64 v[22:23], v[22:23]
	v_add_co_u32 v24, vcc_lo, v21, v2
	v_add_co_ci_u32_e32 v25, vcc_lo, v19, v3, vcc_lo
	s_waitcnt vmcnt(0) lgkmcnt(0)
	v_mul_f64 v[22:23], v[22:23], s[6:7]
	s_delay_alu instid0(VALU_DEP_1) | instskip(NEXT) | instid1(VALU_DEP_1)
	v_cvt_f32_f64_e32 v18, v[22:23]
	v_min_f32_e32 v18, v18, v20
	s_delay_alu instid0(VALU_DEP_1) | instskip(SKIP_4) | instid1(VALU_DEP_1)
	v_cvt_f64_f32_e32 v[22:23], v18
	global_store_b64 v[0:1], v[22:23], off
	flat_load_b64 v[0:1], v[24:25]
	s_waitcnt vmcnt(0) lgkmcnt(0)
	v_mul_f64 v[0:1], v[0:1], s[6:7]
	v_cvt_f32_f64_e32 v0, v[0:1]
.LBB118_167:
	v_max_f32_e32 v1, v124, v124
	s_delay_alu instid0(VALU_DEP_2) | instskip(NEXT) | instid1(VALU_DEP_1)
	v_max_f32_e32 v0, v0, v0
	v_min_f32_e32 v0, v0, v1
	v_add_co_u32 v1, vcc_lo, v16, v2
	v_add_co_ci_u32_e32 v2, vcc_lo, v17, v3, vcc_lo
	s_delay_alu instid0(VALU_DEP_3)
	v_cvt_f64_f32_e32 v[22:23], v0
	v_max_f32_e32 v0, v134, v134
	s_mov_b32 vcc_lo, s2
	global_store_b64 v[1:2], v[22:23], off
	s_cbranch_vccz .LBB118_170
; %bb.168:
	v_min_f32_e32 v1, 0, v0
	v_add_co_u32 v22, vcc_lo, v16, v4
	v_add_co_ci_u32_e32 v23, vcc_lo, v17, v5, vcc_lo
	s_delay_alu instid0(VALU_DEP_3)
	v_cvt_f64_f32_e32 v[1:2], v1
	s_mov_b32 s0, 0
	global_store_b64 v[22:23], v[1:2], off
	s_cbranch_execz .LBB118_171
; %bb.169:
	v_mov_b32_e32 v0, s0
	s_branch .LBB118_172
.LBB118_170:
	s_mov_b32 s0, -1
.LBB118_171:
	v_add_co_u32 v1, vcc_lo, v21, v4
	v_add_co_ci_u32_e32 v2, vcc_lo, v19, v5, vcc_lo
	flat_load_b64 v[1:2], v[1:2]
	s_waitcnt vmcnt(0) lgkmcnt(0)
	v_mul_f64 v[1:2], v[1:2], s[6:7]
	s_delay_alu instid0(VALU_DEP_1)
	v_cvt_f32_f64_e32 v1, v[1:2]
	v_add_co_u32 v2, vcc_lo, v16, v4
	v_add_co_ci_u32_e32 v3, vcc_lo, v17, v5, vcc_lo
	v_add_co_u32 v4, vcc_lo, v21, v6
	v_add_co_ci_u32_e32 v5, vcc_lo, v19, v7, vcc_lo
	v_min_f32_e32 v0, v1, v0
	s_delay_alu instid0(VALU_DEP_1) | instskip(SKIP_4) | instid1(VALU_DEP_1)
	v_cvt_f64_f32_e32 v[0:1], v0
	global_store_b64 v[2:3], v[0:1], off
	flat_load_b64 v[0:1], v[4:5]
	s_waitcnt vmcnt(0) lgkmcnt(0)
	v_mul_f64 v[0:1], v[0:1], s[6:7]
	v_cvt_f32_f64_e32 v0, v[0:1]
.LBB118_172:
	s_delay_alu instid0(VALU_DEP_1) | instskip(SKIP_2) | instid1(VALU_DEP_3)
	v_dual_max_f32 v1, v123, v123 :: v_dual_max_f32 v0, v0, v0
	v_add_co_u32 v3, vcc_lo, v16, v6
	v_add_co_ci_u32_e32 v4, vcc_lo, v17, v7, vcc_lo
	v_min_f32_e32 v0, v0, v1
	s_mov_b32 vcc_lo, s2
	s_delay_alu instid0(VALU_DEP_1)
	v_cvt_f64_f32_e32 v[1:2], v0
	v_max_f32_e32 v0, v122, v122
	global_store_b64 v[3:4], v[1:2], off
	s_cbranch_vccz .LBB118_175
; %bb.173:
	v_min_f32_e32 v1, 0, v0
	v_add_co_u32 v3, vcc_lo, v16, v8
	v_add_co_ci_u32_e32 v4, vcc_lo, v17, v9, vcc_lo
	s_delay_alu instid0(VALU_DEP_3)
	v_cvt_f64_f32_e32 v[1:2], v1
	s_mov_b32 s0, 0
	global_store_b64 v[3:4], v[1:2], off
	s_cbranch_execz .LBB118_176
; %bb.174:
	v_mov_b32_e32 v0, s0
	s_branch .LBB118_177
.LBB118_175:
	s_mov_b32 s0, -1
.LBB118_176:
	v_add_co_u32 v1, vcc_lo, v21, v8
	v_add_co_ci_u32_e32 v2, vcc_lo, v19, v9, vcc_lo
	flat_load_b64 v[1:2], v[1:2]
	s_waitcnt vmcnt(0) lgkmcnt(0)
	v_mul_f64 v[1:2], v[1:2], s[6:7]
	s_delay_alu instid0(VALU_DEP_1)
	v_cvt_f32_f64_e32 v1, v[1:2]
	v_add_co_u32 v2, vcc_lo, v16, v8
	v_add_co_ci_u32_e32 v3, vcc_lo, v17, v9, vcc_lo
	v_add_co_u32 v4, vcc_lo, v21, v10
	v_add_co_ci_u32_e32 v5, vcc_lo, v19, v11, vcc_lo
	v_min_f32_e32 v0, v1, v0
	s_delay_alu instid0(VALU_DEP_1) | instskip(SKIP_4) | instid1(VALU_DEP_1)
	v_cvt_f64_f32_e32 v[0:1], v0
	global_store_b64 v[2:3], v[0:1], off
	flat_load_b64 v[0:1], v[4:5]
	s_waitcnt vmcnt(0) lgkmcnt(0)
	v_mul_f64 v[0:1], v[0:1], s[6:7]
	v_cvt_f32_f64_e32 v0, v[0:1]
.LBB118_177:
	s_delay_alu instid0(VALU_DEP_1) | instskip(SKIP_2) | instid1(VALU_DEP_3)
	v_dual_max_f32 v1, v118, v118 :: v_dual_max_f32 v0, v0, v0
	v_add_co_u32 v3, vcc_lo, v16, v10
	v_add_co_ci_u32_e32 v4, vcc_lo, v17, v11, vcc_lo
	v_min_f32_e32 v0, v0, v1
	s_mov_b32 vcc_lo, s2
	s_delay_alu instid0(VALU_DEP_1)
	v_cvt_f64_f32_e32 v[1:2], v0
	v_max_f32_e32 v0, v113, v113
	global_store_b64 v[3:4], v[1:2], off
	s_cbranch_vccz .LBB118_180
; %bb.178:
	v_min_f32_e32 v1, 0, v0
	v_add_co_u32 v3, vcc_lo, v16, v12
	v_add_co_ci_u32_e32 v4, vcc_lo, v17, v13, vcc_lo
	s_delay_alu instid0(VALU_DEP_3)
	v_cvt_f64_f32_e32 v[1:2], v1
	s_mov_b32 s0, 0
	global_store_b64 v[3:4], v[1:2], off
	s_cbranch_execz .LBB118_181
; %bb.179:
	v_mov_b32_e32 v0, s0
	s_branch .LBB118_182
.LBB118_180:
	s_mov_b32 s0, -1
.LBB118_181:
	v_add_co_u32 v1, vcc_lo, v21, v12
	v_add_co_ci_u32_e32 v2, vcc_lo, v19, v13, vcc_lo
	flat_load_b64 v[1:2], v[1:2]
	s_waitcnt vmcnt(0) lgkmcnt(0)
	v_mul_f64 v[1:2], v[1:2], s[6:7]
	s_delay_alu instid0(VALU_DEP_1)
	v_cvt_f32_f64_e32 v1, v[1:2]
	v_add_co_u32 v2, vcc_lo, v16, v12
	v_add_co_ci_u32_e32 v3, vcc_lo, v17, v13, vcc_lo
	v_add_co_u32 v4, vcc_lo, v21, v14
	v_add_co_ci_u32_e32 v5, vcc_lo, v19, v15, vcc_lo
	v_min_f32_e32 v0, v1, v0
	s_delay_alu instid0(VALU_DEP_1) | instskip(SKIP_4) | instid1(VALU_DEP_1)
	v_cvt_f64_f32_e32 v[0:1], v0
	global_store_b64 v[2:3], v[0:1], off
	flat_load_b64 v[0:1], v[4:5]
	s_waitcnt vmcnt(0) lgkmcnt(0)
	v_mul_f64 v[0:1], v[0:1], s[6:7]
	v_cvt_f32_f64_e32 v0, v[0:1]
.LBB118_182:
	v_max_f32_e32 v1, v112, v112
	s_delay_alu instid0(VALU_DEP_2) | instskip(SKIP_2) | instid1(VALU_DEP_3)
	v_max_f32_e32 v0, v0, v0
	v_add_co_u32 v2, vcc_lo, v16, v14
	v_add_co_ci_u32_e32 v3, vcc_lo, v17, v15, vcc_lo
	v_min_f32_e32 v0, v0, v1
	s_delay_alu instid0(VALU_DEP_1)
	v_cvt_f64_f32_e32 v[0:1], v0
	global_store_b64 v[2:3], v[0:1], off
	s_endpgm
	.section	.rodata,"a",@progbits
	.p2align	6, 0x0
	.amdhsa_kernel _ZN12_GLOBAL__N_120geam_min_plus_kernelId15HIP_vector_typeIdLj2EEdLi8ELi32ELi64ELi256ELi4ELi64ELi4ELi64ELi4ELc78ELc84ELb1ELb0ELb1EdKPKdKPdEEviiiT16_PT17_ilSA_ilS8_SA_ilPT18_ili26rocblas_geam_ex_operation_
		.amdhsa_group_segment_fixed_size 20480
		.amdhsa_private_segment_fixed_size 396
		.amdhsa_kernarg_size 136
		.amdhsa_user_sgpr_count 14
		.amdhsa_user_sgpr_dispatch_ptr 0
		.amdhsa_user_sgpr_queue_ptr 0
		.amdhsa_user_sgpr_kernarg_segment_ptr 1
		.amdhsa_user_sgpr_dispatch_id 0
		.amdhsa_user_sgpr_private_segment_size 0
		.amdhsa_wavefront_size32 1
		.amdhsa_uses_dynamic_stack 0
		.amdhsa_enable_private_segment 1
		.amdhsa_system_sgpr_workgroup_id_x 1
		.amdhsa_system_sgpr_workgroup_id_y 0
		.amdhsa_system_sgpr_workgroup_id_z 1
		.amdhsa_system_sgpr_workgroup_info 0
		.amdhsa_system_vgpr_workitem_id 1
		.amdhsa_next_free_vgpr 256
		.amdhsa_next_free_sgpr 23
		.amdhsa_reserve_vcc 1
		.amdhsa_float_round_mode_32 0
		.amdhsa_float_round_mode_16_64 0
		.amdhsa_float_denorm_mode_32 3
		.amdhsa_float_denorm_mode_16_64 3
		.amdhsa_dx10_clamp 1
		.amdhsa_ieee_mode 1
		.amdhsa_fp16_overflow 0
		.amdhsa_workgroup_processor_mode 1
		.amdhsa_memory_ordered 1
		.amdhsa_forward_progress 0
		.amdhsa_shared_vgpr_count 0
		.amdhsa_exception_fp_ieee_invalid_op 0
		.amdhsa_exception_fp_denorm_src 0
		.amdhsa_exception_fp_ieee_div_zero 0
		.amdhsa_exception_fp_ieee_overflow 0
		.amdhsa_exception_fp_ieee_underflow 0
		.amdhsa_exception_fp_ieee_inexact 0
		.amdhsa_exception_int_div_zero 0
	.end_amdhsa_kernel
	.section	.text._ZN12_GLOBAL__N_120geam_min_plus_kernelId15HIP_vector_typeIdLj2EEdLi8ELi32ELi64ELi256ELi4ELi64ELi4ELi64ELi4ELc78ELc84ELb1ELb0ELb1EdKPKdKPdEEviiiT16_PT17_ilSA_ilS8_SA_ilPT18_ili26rocblas_geam_ex_operation_,"axG",@progbits,_ZN12_GLOBAL__N_120geam_min_plus_kernelId15HIP_vector_typeIdLj2EEdLi8ELi32ELi64ELi256ELi4ELi64ELi4ELi64ELi4ELc78ELc84ELb1ELb0ELb1EdKPKdKPdEEviiiT16_PT17_ilSA_ilS8_SA_ilPT18_ili26rocblas_geam_ex_operation_,comdat
.Lfunc_end118:
	.size	_ZN12_GLOBAL__N_120geam_min_plus_kernelId15HIP_vector_typeIdLj2EEdLi8ELi32ELi64ELi256ELi4ELi64ELi4ELi64ELi4ELc78ELc84ELb1ELb0ELb1EdKPKdKPdEEviiiT16_PT17_ilSA_ilS8_SA_ilPT18_ili26rocblas_geam_ex_operation_, .Lfunc_end118-_ZN12_GLOBAL__N_120geam_min_plus_kernelId15HIP_vector_typeIdLj2EEdLi8ELi32ELi64ELi256ELi4ELi64ELi4ELi64ELi4ELc78ELc84ELb1ELb0ELb1EdKPKdKPdEEviiiT16_PT17_ilSA_ilS8_SA_ilPT18_ili26rocblas_geam_ex_operation_
                                        ; -- End function
	.section	.AMDGPU.csdata,"",@progbits
; Kernel info:
; codeLenInByte = 22844
; NumSgprs: 25
; NumVgprs: 256
; ScratchSize: 396
; MemoryBound: 0
; FloatMode: 240
; IeeeMode: 1
; LDSByteSize: 20480 bytes/workgroup (compile time only)
; SGPRBlocks: 3
; VGPRBlocks: 31
; NumSGPRsForWavesPerEU: 25
; NumVGPRsForWavesPerEU: 256
; Occupancy: 5
; WaveLimiterHint : 1
; COMPUTE_PGM_RSRC2:SCRATCH_EN: 1
; COMPUTE_PGM_RSRC2:USER_SGPR: 14
; COMPUTE_PGM_RSRC2:TRAP_HANDLER: 0
; COMPUTE_PGM_RSRC2:TGID_X_EN: 1
; COMPUTE_PGM_RSRC2:TGID_Y_EN: 0
; COMPUTE_PGM_RSRC2:TGID_Z_EN: 1
; COMPUTE_PGM_RSRC2:TIDIG_COMP_CNT: 1
	.section	.text._ZN12_GLOBAL__N_120geam_min_plus_kernelId15HIP_vector_typeIdLj2EEdLi8ELi32ELi64ELi256ELi4ELi64ELi4ELi64ELi4ELc78ELc84ELb0ELb0ELb1EdKPKdKPdEEviiiT16_PT17_ilSA_ilS8_SA_ilPT18_ili26rocblas_geam_ex_operation_,"axG",@progbits,_ZN12_GLOBAL__N_120geam_min_plus_kernelId15HIP_vector_typeIdLj2EEdLi8ELi32ELi64ELi256ELi4ELi64ELi4ELi64ELi4ELc78ELc84ELb0ELb0ELb1EdKPKdKPdEEviiiT16_PT17_ilSA_ilS8_SA_ilPT18_ili26rocblas_geam_ex_operation_,comdat
	.globl	_ZN12_GLOBAL__N_120geam_min_plus_kernelId15HIP_vector_typeIdLj2EEdLi8ELi32ELi64ELi256ELi4ELi64ELi4ELi64ELi4ELc78ELc84ELb0ELb0ELb1EdKPKdKPdEEviiiT16_PT17_ilSA_ilS8_SA_ilPT18_ili26rocblas_geam_ex_operation_ ; -- Begin function _ZN12_GLOBAL__N_120geam_min_plus_kernelId15HIP_vector_typeIdLj2EEdLi8ELi32ELi64ELi256ELi4ELi64ELi4ELi64ELi4ELc78ELc84ELb0ELb0ELb1EdKPKdKPdEEviiiT16_PT17_ilSA_ilS8_SA_ilPT18_ili26rocblas_geam_ex_operation_
	.p2align	8
	.type	_ZN12_GLOBAL__N_120geam_min_plus_kernelId15HIP_vector_typeIdLj2EEdLi8ELi32ELi64ELi256ELi4ELi64ELi4ELi64ELi4ELc78ELc84ELb0ELb0ELb1EdKPKdKPdEEviiiT16_PT17_ilSA_ilS8_SA_ilPT18_ili26rocblas_geam_ex_operation_,@function
_ZN12_GLOBAL__N_120geam_min_plus_kernelId15HIP_vector_typeIdLj2EEdLi8ELi32ELi64ELi256ELi4ELi64ELi4ELi64ELi4ELc78ELc84ELb0ELb0ELb1EdKPKdKPdEEviiiT16_PT17_ilSA_ilS8_SA_ilPT18_ili26rocblas_geam_ex_operation_: ; @_ZN12_GLOBAL__N_120geam_min_plus_kernelId15HIP_vector_typeIdLj2EEdLi8ELi32ELi64ELi256ELi4ELi64ELi4ELi64ELi4ELc78ELc84ELb0ELb0ELb1EdKPKdKPdEEviiiT16_PT17_ilSA_ilS8_SA_ilPT18_ili26rocblas_geam_ex_operation_
; %bb.0:
	s_clause 0x1
	s_load_b128 s[16:19], s[0:1], 0x10
	s_load_b128 s[4:7], s[0:1], 0x28
	s_mov_b32 s26, s15
	s_mov_b64 s[24:25], 0
	s_waitcnt lgkmcnt(0)
	v_cmp_eq_f64_e64 s2, s[16:17], 0
	s_delay_alu instid0(VALU_DEP_1)
	s_and_b32 vcc_lo, exec_lo, s2
	s_cbranch_vccnz .LBB119_2
; %bb.1:
	s_mov_b32 s27, 0
	s_delay_alu instid0(SALU_CYCLE_1) | instskip(NEXT) | instid1(SALU_CYCLE_1)
	s_lshl_b64 s[8:9], s[26:27], 3
	s_add_u32 s8, s18, s8
	s_addc_u32 s9, s19, s9
	s_lshl_b64 s[4:5], s[4:5], 3
	s_load_b64 s[8:9], s[8:9], 0x0
	s_waitcnt lgkmcnt(0)
	s_add_u32 s24, s8, s4
	s_addc_u32 s25, s9, s5
.LBB119_2:
	s_clause 0x1
	s_load_b128 s[8:11], s[0:1], 0x40
	s_load_b64 s[18:19], s[0:1], 0x50
	v_cndmask_b32_e64 v1, 0, 1, s2
	s_and_not1_b32 vcc_lo, exec_lo, s2
	s_delay_alu instid0(VALU_DEP_1)
	v_cmp_ne_u32_e64 s4, 1, v1
	s_cbranch_vccnz .LBB119_4
; %bb.3:
	s_mov_b32 s27, 0
	s_mov_b64 s[12:13], 0
	s_cbranch_execz .LBB119_5
	s_branch .LBB119_6
.LBB119_4:
	s_mov_b32 s27, -1
                                        ; implicit-def: $sgpr12_sgpr13
.LBB119_5:
	s_mov_b32 s27, 0
	s_delay_alu instid0(SALU_CYCLE_1) | instskip(NEXT) | instid1(SALU_CYCLE_1)
	s_lshl_b64 s[2:3], s[26:27], 3
	s_add_u32 s2, s6, s2
	s_addc_u32 s3, s7, s3
	s_waitcnt lgkmcnt(0)
	s_lshl_b64 s[6:7], s[8:9], 3
	s_load_b64 s[2:3], s[2:3], 0x0
	s_waitcnt lgkmcnt(0)
	s_add_u32 s12, s2, s6
	s_addc_u32 s13, s3, s7
.LBB119_6:
	s_waitcnt lgkmcnt(0)
	v_cmp_eq_f64_e64 s2, s[10:11], 0
	s_load_b128 s[20:23], s[0:1], 0x60
	s_mov_b64 s[6:7], 0
	s_delay_alu instid0(VALU_DEP_1) | instskip(NEXT) | instid1(SALU_CYCLE_1)
	s_and_b32 s2, exec_lo, s2
	s_mov_b32 vcc_lo, s2
	s_cbranch_vccnz .LBB119_8
; %bb.7:
	s_lshl_b64 s[6:7], s[26:27], 3
	s_delay_alu instid0(SALU_CYCLE_1)
	s_add_u32 s6, s18, s6
	s_addc_u32 s7, s19, s7
	s_waitcnt lgkmcnt(0)
	s_lshl_b64 s[8:9], s[20:21], 3
	s_load_b64 s[6:7], s[6:7], 0x0
	s_waitcnt lgkmcnt(0)
	s_add_u32 s6, s6, s8
	s_addc_u32 s7, s7, s9
.LBB119_8:
	s_clause 0x1
	s_load_b32 s19, s[0:1], 0x20
	s_load_b32 s3, s[0:1], 0x0
	s_lshl_b64 s[8:9], s[26:27], 3
	v_and_b32_e32 v39, 0x3ff, v0
	v_bfe_u32 v216, v0, 10, 10
	s_delay_alu instid0(VALU_DEP_1) | instskip(NEXT) | instid1(VALU_DEP_1)
	v_lshl_add_u32 v0, v216, 3, v39
	v_and_b32_e32 v77, 63, v0
	v_lshrrev_b32_e32 v6, 6, v0
	s_waitcnt lgkmcnt(0)
	s_ashr_i32 s20, s19, 31
	s_add_u32 s8, s22, s8
	s_addc_u32 s9, s23, s9
	s_add_i32 s3, s3, -1
	s_load_b64 s[8:9], s[8:9], 0x0
	s_ashr_i32 s5, s3, 31
	s_delay_alu instid0(SALU_CYCLE_1) | instskip(NEXT) | instid1(SALU_CYCLE_1)
	s_lshr_b32 s5, s5, 26
	s_add_i32 s3, s3, s5
	s_delay_alu instid0(SALU_CYCLE_1) | instskip(NEXT) | instid1(SALU_CYCLE_1)
	s_ashr_i32 s3, s3, 6
	s_add_i32 s5, s3, 1
	s_not_b32 s3, s3
	v_cvt_f32_u32_e32 v1, s5
	s_delay_alu instid0(VALU_DEP_1) | instskip(SKIP_2) | instid1(VALU_DEP_1)
	v_rcp_iflag_f32_e32 v1, v1
	s_waitcnt_depctr 0xfff
	v_mul_f32_e32 v1, 0x4f7ffffe, v1
	v_cvt_u32_f32_e32 v1, v1
	s_delay_alu instid0(VALU_DEP_1) | instskip(NEXT) | instid1(VALU_DEP_1)
	v_readfirstlane_b32 s15, v1
	s_mul_i32 s3, s3, s15
	s_delay_alu instid0(SALU_CYCLE_1) | instskip(NEXT) | instid1(SALU_CYCLE_1)
	s_mul_hi_u32 s3, s15, s3
	s_add_i32 s15, s15, s3
	s_delay_alu instid0(SALU_CYCLE_1) | instskip(NEXT) | instid1(SALU_CYCLE_1)
	s_mul_hi_u32 s3, s14, s15
	s_mul_i32 s15, s3, s5
	s_add_i32 s18, s3, 1
	s_sub_i32 s15, s14, s15
	s_delay_alu instid0(SALU_CYCLE_1)
	s_sub_i32 s21, s15, s5
	s_cmp_ge_u32 s15, s5
	s_cselect_b32 s3, s18, s3
	s_cselect_b32 s15, s21, s15
	s_add_i32 s18, s3, 1
	s_cmp_ge_u32 s15, s5
	s_mov_b32 s21, -1
	s_cselect_b32 s3, s18, s3
	s_and_b32 vcc_lo, exec_lo, s4
	s_mul_i32 s5, s3, s5
	s_delay_alu instid0(SALU_CYCLE_1) | instskip(NEXT) | instid1(SALU_CYCLE_1)
	s_sub_i32 s5, s14, s5
	s_lshl_b32 s18, s5, 6
	s_cbranch_vccnz .LBB119_10
; %bb.9:
	v_mov_b32_e32 v2, 0
	s_mov_b32 s21, 0
	s_mov_b64 s[14:15], 0
	s_branch .LBB119_11
.LBB119_10:
                                        ; implicit-def: $sgpr14_sgpr15
                                        ; implicit-def: $vgpr1_vgpr2
.LBB119_11:
	v_cmp_neq_f64_e64 s5, s[16:17], 0
	v_or_b32_e32 v14, s18, v77
	s_and_not1_b32 vcc_lo, exec_lo, s21
	s_delay_alu instid0(VALU_DEP_1)
	v_ashrrev_i32_e32 v15, 31, v14
	s_cbranch_vccnz .LBB119_13
; %bb.12:
	v_mad_i64_i32 v[0:1], null, s19, v6, 0
	s_delay_alu instid0(VALU_DEP_2) | instskip(NEXT) | instid1(VALU_DEP_2)
	v_lshlrev_b64 v[2:3], 3, v[14:15]
	v_lshlrev_b64 v[0:1], 3, v[0:1]
	s_delay_alu instid0(VALU_DEP_1) | instskip(NEXT) | instid1(VALU_DEP_2)
	v_add_co_u32 v0, vcc_lo, s24, v0
	v_add_co_ci_u32_e32 v1, vcc_lo, s25, v1, vcc_lo
	s_delay_alu instid0(VALU_DEP_2) | instskip(NEXT) | instid1(VALU_DEP_2)
	v_add_co_u32 v0, vcc_lo, v0, v2
	v_add_co_ci_u32_e32 v1, vcc_lo, v1, v3, vcc_lo
	v_mov_b32_e32 v2, 0
	flat_load_b64 v[0:1], v[0:1]
	s_waitcnt vmcnt(0) lgkmcnt(0)
	v_mul_f64 v[0:1], v[0:1], s[16:17]
	s_branch .LBB119_14
.LBB119_13:
	v_dual_mov_b32 v0, s14 :: v_dual_mov_b32 v1, s15
.LBB119_14:
	s_load_b32 s15, s[0:1], 0x38
	s_lshl_b32 s14, s3, 8
	s_delay_alu instid0(SALU_CYCLE_1) | instskip(NEXT) | instid1(VALU_DEP_1)
	v_or_b32_e32 v24, s14, v77
	v_ashrrev_i32_e32 v25, 31, v24
	s_waitcnt lgkmcnt(0)
	s_ashr_i32 s21, s15, 31
	v_mul_lo_u32 v4, v2, s15
	v_mad_u64_u32 v[2:3], null, v6, s15, 0
	v_mul_lo_u32 v5, v6, s21
	s_delay_alu instid0(VALU_DEP_1) | instskip(SKIP_1) | instid1(VALU_DEP_2)
	v_add3_u32 v3, v3, v5, v4
	v_cndmask_b32_e64 v4, 0, 1, s5
	v_lshlrev_b64 v[2:3], 3, v[2:3]
	s_delay_alu instid0(VALU_DEP_2) | instskip(NEXT) | instid1(VALU_DEP_2)
	v_cmp_ne_u32_e64 s3, 1, v4
	v_add_co_u32 v8, vcc_lo, s12, v2
	s_delay_alu instid0(VALU_DEP_3)
	v_add_co_ci_u32_e32 v9, vcc_lo, s13, v3, vcc_lo
	s_and_not1_b32 vcc_lo, exec_lo, s5
	s_cbranch_vccnz .LBB119_19
; %bb.15:
	v_lshlrev_b64 v[2:3], 3, v[24:25]
	s_delay_alu instid0(VALU_DEP_1) | instskip(NEXT) | instid1(VALU_DEP_2)
	v_add_co_u32 v2, vcc_lo, v8, v2
	v_add_co_ci_u32_e32 v3, vcc_lo, v9, v3, vcc_lo
	s_clause 0x1
	flat_load_b64 v[10:11], v[2:3]
	flat_load_b64 v[12:13], v[2:3] offset:512
	s_waitcnt vmcnt(1) lgkmcnt(1)
	v_mul_f64 v[2:3], v[10:11], s[16:17]
	s_waitcnt vmcnt(0) lgkmcnt(0)
	v_mul_f64 v[18:19], v[12:13], s[16:17]
	s_and_b32 vcc_lo, exec_lo, s3
	s_cbranch_vccnz .LBB119_20
.LBB119_16:
	v_lshlrev_b64 v[10:11], 3, v[24:25]
	s_delay_alu instid0(VALU_DEP_1) | instskip(NEXT) | instid1(VALU_DEP_2)
	v_add_co_u32 v8, vcc_lo, v8, v10
	v_add_co_ci_u32_e32 v9, vcc_lo, v9, v11, vcc_lo
	s_clause 0x1
	flat_load_b64 v[10:11], v[8:9] offset:1024
	flat_load_b64 v[8:9], v[8:9] offset:1536
	s_waitcnt vmcnt(1) lgkmcnt(1)
	v_mul_f64 v[20:21], v[10:11], s[16:17]
	s_waitcnt vmcnt(0) lgkmcnt(0)
	v_mul_f64 v[22:23], v[8:9], s[16:17]
	v_add_nc_u32_e32 v7, 4, v6
	s_and_b32 vcc_lo, exec_lo, s4
	s_cbranch_vccnz .LBB119_21
.LBB119_17:
	v_mov_b32_e32 v10, 0
	s_mov_b64 s[4:5], 0
	scratch_store_b64 off, v[14:15], off offset:332 ; 8-byte Folded Spill
	s_cbranch_execz .LBB119_22
; %bb.18:
	v_dual_mov_b32 v4, s4 :: v_dual_mov_b32 v5, s5
	s_branch .LBB119_23
.LBB119_19:
	v_mov_b32_e32 v2, 0
	v_dual_mov_b32 v3, 0 :: v_dual_mov_b32 v18, 0
	v_mov_b32_e32 v19, 0
	s_and_b32 vcc_lo, exec_lo, s3
	s_cbranch_vccz .LBB119_16
.LBB119_20:
	v_mov_b32_e32 v20, 0
	v_dual_mov_b32 v21, 0 :: v_dual_mov_b32 v22, 0
	v_mov_b32_e32 v23, 0
	v_add_nc_u32_e32 v7, 4, v6
	s_and_b32 vcc_lo, exec_lo, s4
	s_cbranch_vccz .LBB119_17
.LBB119_21:
                                        ; implicit-def: $sgpr4_sgpr5
                                        ; implicit-def: $vgpr9_vgpr10
	scratch_store_b64 off, v[14:15], off offset:332 ; 8-byte Folded Spill
.LBB119_22:
	v_mad_i64_i32 v[8:9], null, s19, v7, 0
	v_lshlrev_b64 v[10:11], 3, v[14:15]
	s_delay_alu instid0(VALU_DEP_2) | instskip(NEXT) | instid1(VALU_DEP_1)
	v_lshlrev_b64 v[8:9], 3, v[8:9]
	v_add_co_u32 v4, vcc_lo, s24, v8
	s_delay_alu instid0(VALU_DEP_2) | instskip(NEXT) | instid1(VALU_DEP_2)
	v_add_co_ci_u32_e32 v5, vcc_lo, s25, v9, vcc_lo
	v_add_co_u32 v8, vcc_lo, v4, v10
	s_delay_alu instid0(VALU_DEP_2)
	v_add_co_ci_u32_e32 v9, vcc_lo, v5, v11, vcc_lo
	v_mov_b32_e32 v10, 0
	flat_load_b64 v[8:9], v[8:9]
	s_waitcnt vmcnt(0) lgkmcnt(0)
	v_mul_f64 v[4:5], v[8:9], s[16:17]
.LBB119_23:
	scratch_store_b64 off, v[4:5], off offset:288 ; 8-byte Folded Spill
	v_mul_lo_u32 v4, v10, s15
	v_mul_lo_u32 v5, v7, s21
	v_mad_u64_u32 v[10:11], null, v7, s15, 0
	s_delay_alu instid0(VALU_DEP_1) | instskip(NEXT) | instid1(VALU_DEP_1)
	v_add3_u32 v11, v11, v5, v4
	v_lshlrev_b64 v[10:11], 3, v[10:11]
	s_delay_alu instid0(VALU_DEP_1) | instskip(NEXT) | instid1(VALU_DEP_2)
	v_add_co_u32 v14, vcc_lo, s12, v10
	v_add_co_ci_u32_e32 v15, vcc_lo, s13, v11, vcc_lo
	s_and_b32 vcc_lo, exec_lo, s3
	s_cbranch_vccnz .LBB119_25
; %bb.24:
	v_lshlrev_b64 v[10:11], 3, v[24:25]
	s_delay_alu instid0(VALU_DEP_1) | instskip(NEXT) | instid1(VALU_DEP_2)
	v_add_co_u32 v10, vcc_lo, v14, v10
	v_add_co_ci_u32_e32 v11, vcc_lo, v15, v11, vcc_lo
	s_clause 0x1
	flat_load_b64 v[12:13], v[10:11]
	flat_load_b64 v[16:17], v[10:11] offset:512
	s_waitcnt vmcnt(1) lgkmcnt(1)
	v_mul_f64 v[4:5], v[12:13], s[16:17]
	scratch_store_b64 off, v[4:5], off offset:300 ; 8-byte Folded Spill
	s_waitcnt vmcnt(0) lgkmcnt(0)
	v_mul_f64 v[4:5], v[16:17], s[16:17]
	s_branch .LBB119_26
.LBB119_25:
	v_mov_b32_e32 v4, 0
	v_mov_b32_e32 v5, 0
	scratch_store_b64 off, v[4:5], off offset:300 ; 8-byte Folded Spill
	v_mov_b32_e32 v4, 0
	v_mov_b32_e32 v5, 0
.LBB119_26:
	s_and_b32 vcc_lo, exec_lo, s3
	s_clause 0x2
	scratch_store_b64 off, v[4:5], off offset:308
	scratch_store_b32 off, v7, off offset:360
	scratch_store_b64 off, v[24:25], off offset:340
	s_cbranch_vccnz .LBB119_28
; %bb.27:
	v_lshlrev_b64 v[16:17], 3, v[24:25]
	s_delay_alu instid0(VALU_DEP_1) | instskip(NEXT) | instid1(VALU_DEP_2)
	v_add_co_u32 v14, vcc_lo, v14, v16
	v_add_co_ci_u32_e32 v15, vcc_lo, v15, v17, vcc_lo
	s_clause 0x1
	flat_load_b64 v[16:17], v[14:15] offset:1024
	flat_load_b64 v[25:26], v[14:15] offset:1536
	s_waitcnt vmcnt(1) lgkmcnt(1)
	v_mul_f64 v[4:5], v[16:17], s[16:17]
	scratch_store_b64 off, v[4:5], off offset:316 ; 8-byte Folded Spill
	s_waitcnt vmcnt(0) lgkmcnt(0)
	v_mul_f64 v[4:5], v[25:26], s[16:17]
	s_branch .LBB119_29
.LBB119_28:
	v_mov_b32_e32 v4, 0
	v_mov_b32_e32 v5, 0
	scratch_store_b64 off, v[4:5], off offset:316 ; 8-byte Folded Spill
	v_mov_b32_e32 v4, 0
	v_mov_b32_e32 v5, 0
.LBB119_29:
	s_clause 0x1
	scratch_store_b64 off, v[4:5], off offset:324
	scratch_store_b32 off, v6, off offset:356
	v_dual_mov_b32 v119, 0x7f800000 :: v_dual_lshlrev_b32 v4, 3, v6
	v_dual_mov_b32 v120, 0x7f800000 :: v_dual_mov_b32 v127, 0x7f800000
	v_dual_mov_b32 v122, 0x7f800000 :: v_dual_mov_b32 v123, 0x7f800000
	s_delay_alu instid0(VALU_DEP_3) | instskip(SKIP_2) | instid1(VALU_DEP_3)
	v_lshl_add_u32 v4, v77, 5, v4
	v_dual_mov_b32 v124, 0x7f800000 :: v_dual_mov_b32 v125, 0x7f800000
	v_dual_mov_b32 v126, 0x7f800000 :: v_dual_mov_b32 v129, 0x7f800000
	v_or_b32_e32 v5, 0x4000, v4
	v_dual_mov_b32 v128, 0x7f800000 :: v_dual_mov_b32 v219, 0x7f800000
	v_dual_mov_b32 v188, 0x7f800000 :: v_dual_mov_b32 v245, 0x7f800000
	;; [unrolled: 1-line block ×27, first 2 shown]
	v_mov_b32_e32 v141, 0x7f800000
	s_mov_b32 s5, 0
	s_mov_b32 s4, -1
	scratch_store_b32 off, v5, off offset:368 ; 4-byte Folded Spill
	ds_store_b64 v4, v[0:1] offset:16384
	ds_store_2addr_stride64_b64 v4, v[2:3], v[18:19] offset1:4
	scratch_store_b32 off, v4, off offset:364 ; 4-byte Folded Spill
	ds_store_2addr_stride64_b64 v4, v[20:21], v[22:23] offset0:8 offset1:12
	s_waitcnt lgkmcnt(0)
	s_waitcnt_vscnt null, 0x0
	s_barrier
	buffer_gl0_inv
	scratch_store_b32 off, v39, off offset:296 ; 4-byte Folded Spill
.LBB119_30:                             ; =>This Inner Loop Header: Depth=1
	s_lshl_b32 s5, s5, 3
	v_mov_b32_e32 v16, v55
	v_lshl_add_u32 v4, v216, 5, s5
	v_lshl_add_u32 v5, v39, 5, s5
	v_dual_mov_b32 v28, v54 :: v_dual_mov_b32 v211, v99
	v_mov_b32_e32 v215, v95
	ds_load_b128 v[18:21], v4
	ds_load_b128 v[0:3], v5 offset:16384
	ds_load_b128 v[110:113], v5 offset:16640
	;; [unrolled: 1-line block ×3, first 2 shown]
	s_mov_b32 s5, 2
	s_and_not1_b32 vcc_lo, exec_lo, s4
	s_mov_b32 s4, 0
	s_waitcnt lgkmcnt(2)
	v_add_f64 v[6:7], v[2:3], v[20:21]
	scratch_store_b64 off, v[6:7], off offset:32 ; 8-byte Folded Spill
	v_add_f64 v[6:7], v[0:1], v[18:19]
	scratch_store_b64 off, v[6:7], off offset:96 ; 8-byte Folded Spill
	s_waitcnt lgkmcnt(1)
	v_add_f64 v[6:7], v[112:113], v[20:21]
	scratch_store_b64 off, v[6:7], off      ; 8-byte Folded Spill
	v_add_f64 v[6:7], v[110:111], v[18:19]
	scratch_store_b64 off, v[6:7], off offset:64 ; 8-byte Folded Spill
	ds_load_b128 v[33:36], v5 offset:16896
	ds_load_b128 v[37:40], v5 offset:17152
	s_waitcnt lgkmcnt(1)
	v_add_f64 v[6:7], v[35:36], v[20:21]
	scratch_store_b64 off, v[6:7], off offset:40 ; 8-byte Folded Spill
	v_add_f64 v[6:7], v[33:34], v[18:19]
	scratch_store_b64 off, v[6:7], off offset:104 ; 8-byte Folded Spill
	s_waitcnt lgkmcnt(0)
	v_add_f64 v[6:7], v[39:40], v[20:21]
	scratch_store_b64 off, v[6:7], off offset:8 ; 8-byte Folded Spill
	v_add_f64 v[6:7], v[37:38], v[18:19]
	scratch_store_b64 off, v[6:7], off offset:72 ; 8-byte Folded Spill
	ds_load_b128 v[41:44], v5 offset:17408
	ds_load_b128 v[45:48], v5 offset:17664
	;; [unrolled: 1-line block ×4, first 2 shown]
	s_waitcnt lgkmcnt(3)
	v_add_f64 v[6:7], v[43:44], v[20:21]
	scratch_store_b64 off, v[6:7], off offset:48 ; 8-byte Folded Spill
	v_add_f64 v[6:7], v[41:42], v[18:19]
	scratch_store_b64 off, v[6:7], off offset:112 ; 8-byte Folded Spill
	s_waitcnt lgkmcnt(2)
	v_add_f64 v[6:7], v[47:48], v[20:21]
	scratch_store_b64 off, v[6:7], off offset:16 ; 8-byte Folded Spill
	v_add_f64 v[6:7], v[45:46], v[18:19]
	scratch_store_b64 off, v[6:7], off offset:80 ; 8-byte Folded Spill
	;; [unrolled: 5-line block ×4, first 2 shown]
	v_add_f64 v[5:6], v[2:3], v[31:32]
	scratch_store_b64 off, v[5:6], off offset:128 ; 8-byte Folded Spill
	v_add_f64 v[5:6], v[0:1], v[29:30]
	scratch_store_b64 off, v[5:6], off offset:136 ; 8-byte Folded Spill
	;; [unrolled: 2-line block ×16, first 2 shown]
	ds_load_b128 v[18:21], v4 offset:2048
	ds_load_b128 v[29:32], v4 offset:3072
	s_waitcnt lgkmcnt(1)
	v_add_f64 v[5:6], v[47:48], v[20:21]
	v_add_f64 v[84:85], v[2:3], v[20:21]
	;; [unrolled: 1-line block ×13, first 2 shown]
	s_waitcnt lgkmcnt(0)
	v_add_f64 v[222:223], v[2:3], v[31:32]
	v_add_f64 v[224:225], v[0:1], v[29:30]
	;; [unrolled: 1-line block ×16, first 2 shown]
	scratch_store_b64 off, v[5:6], off offset:272 ; 8-byte Folded Spill
	v_add_f64 v[5:6], v[51:52], v[20:21]
	scratch_store_b64 off, v[5:6], off offset:264 ; 8-byte Folded Spill
	v_add_f64 v[5:6], v[55:56], v[20:21]
	;; [unrolled: 2-line block ×3, first 2 shown]
	scratch_store_b64 off, v[5:6], off offset:280 ; 8-byte Folded Spill
	ds_load_b128 v[18:21], v4 offset:4096
	ds_load_b128 v[29:32], v4 offset:5120
	s_waitcnt lgkmcnt(1)
	v_add_f64 v[254:255], v[2:3], v[20:21]
	v_add_f64 v[69:70], v[0:1], v[18:19]
	;; [unrolled: 1-line block ×16, first 2 shown]
	s_waitcnt lgkmcnt(0)
	v_add_f64 v[108:109], v[2:3], v[31:32]
	v_add_f64 v[92:93], v[0:1], v[29:30]
	;; [unrolled: 1-line block ×16, first 2 shown]
	ds_load_b128 v[18:21], v4 offset:6144
	ds_load_b128 v[29:32], v4 offset:7168
	s_waitcnt lgkmcnt(1)
	v_add_f64 v[12:13], v[112:113], v[20:21]
	s_waitcnt lgkmcnt(0)
	v_add_f64 v[24:25], v[112:113], v[31:32]
	scratch_load_b64 v[112:113], off, off offset:96 ; 8-byte Folded Reload
	v_add_f64 v[8:9], v[2:3], v[20:21]
	v_add_f64 v[116:117], v[35:36], v[20:21]
	;; [unrolled: 1-line block ×14, first 2 shown]
	v_mov_b32_e32 v55, v16
	v_add_f64 v[4:5], v[0:1], v[18:19]
	v_add_f64 v[6:7], v[110:111], v[18:19]
	;; [unrolled: 1-line block ×16, first 2 shown]
	v_mov_b32_e32 v54, v28
	v_cvt_f32_f64_e32 v4, v[4:5]
	v_cvt_f32_f64_e32 v5, v[8:9]
	;; [unrolled: 1-line block ×4, first 2 shown]
	s_delay_alu instid0(VALU_DEP_3) | instskip(SKIP_2) | instid1(VALU_DEP_4)
	v_min3_f32 v238, v4, v5, v238
	v_cvt_f32_f64_e32 v4, v[6:7]
	v_cvt_f32_f64_e32 v5, v[12:13]
	v_min3_f32 v126, v0, v1, v126
	v_cvt_f32_f64_e32 v0, v[110:111]
	v_cvt_f32_f64_e32 v1, v[24:25]
	s_delay_alu instid0(VALU_DEP_4) | instskip(SKIP_2) | instid1(VALU_DEP_4)
	v_min3_f32 v219, v4, v5, v219
	v_cvt_f32_f64_e32 v4, v[10:11]
	v_cvt_f32_f64_e32 v5, v[116:117]
	v_min3_f32 v125, v0, v1, v125
	v_cvt_f32_f64_e32 v0, v[33:34]
	v_cvt_f32_f64_e32 v1, v[35:36]
	s_delay_alu instid0(VALU_DEP_4) | instskip(SKIP_2) | instid1(VALU_DEP_4)
	v_min3_f32 v196, v4, v5, v196
	v_cvt_f32_f64_e32 v4, v[14:15]
	v_cvt_f32_f64_e32 v5, v[22:23]
	v_min3_f32 v124, v0, v1, v124
	v_cvt_f32_f64_e32 v1, v[39:40]
	v_cvt_f32_f64_e32 v0, v[37:38]
	scratch_load_b32 v39, off, off offset:296 ; 4-byte Folded Reload
	v_min3_f32 v130, v4, v5, v130
	v_cvt_f32_f64_e32 v4, v[75:76]
	v_cvt_f32_f64_e32 v5, v[59:60]
	v_min3_f32 v123, v0, v1, v123
	v_cvt_f32_f64_e32 v0, v[41:42]
	v_cvt_f32_f64_e32 v1, v[43:44]
	s_delay_alu instid0(VALU_DEP_4) | instskip(SKIP_2) | instid1(VALU_DEP_4)
	v_min3_f32 v192, v4, v5, v192
	v_cvt_f32_f64_e32 v4, v[57:58]
	v_cvt_f32_f64_e32 v5, v[26:27]
	v_min3_f32 v122, v0, v1, v122
	v_cvt_f32_f64_e32 v0, v[45:46]
	v_cvt_f32_f64_e32 v1, v[47:48]
	s_delay_alu instid0(VALU_DEP_4) | instskip(SKIP_2) | instid1(VALU_DEP_4)
	v_min3_f32 v129, v4, v5, v129
	v_cvt_f32_f64_e32 v4, v[114:115]
	v_cvt_f32_f64_e32 v5, v[63:64]
	v_min3_f32 v127, v0, v1, v127
	v_cvt_f32_f64_e32 v0, v[49:50]
	v_cvt_f32_f64_e32 v1, v[51:52]
	s_waitcnt vmcnt(1)
	v_cvt_f32_f64_e32 v16, v[112:113]
	scratch_load_b64 v[112:113], off, off offset:32 ; 8-byte Folded Reload
	v_min3_f32 v188, v4, v5, v188
	v_cvt_f32_f64_e32 v4, v[18:19]
	v_cvt_f32_f64_e32 v5, v[20:21]
	v_min3_f32 v120, v0, v1, v120
	v_cvt_f32_f64_e32 v0, v[29:30]
	v_cvt_f32_f64_e32 v1, v[31:32]
	s_delay_alu instid0(VALU_DEP_4) | instskip(NEXT) | instid1(VALU_DEP_2)
	v_min3_f32 v128, v4, v5, v128
	v_min3_f32 v119, v0, v1, v119
	s_waitcnt vmcnt(0)
	v_cvt_f32_f64_e32 v28, v[112:113]
	scratch_load_b64 v[112:113], off, off offset:64 ; 8-byte Folded Reload
	v_min3_f32 v141, v16, v28, v141
	s_waitcnt vmcnt(0)
	v_cvt_f32_f64_e32 v16, v[112:113]
	scratch_load_b64 v[112:113], off, off   ; 8-byte Folded Reload
	s_waitcnt vmcnt(0)
	v_cvt_f32_f64_e32 v28, v[112:113]
	scratch_load_b64 v[112:113], off, off offset:104 ; 8-byte Folded Reload
	v_min3_f32 v140, v16, v28, v140
	s_waitcnt vmcnt(0)
	v_cvt_f32_f64_e32 v16, v[112:113]
	scratch_load_b64 v[112:113], off, off offset:40 ; 8-byte Folded Reload
	s_waitcnt vmcnt(0)
	v_cvt_f32_f64_e32 v28, v[112:113]
	scratch_load_b64 v[112:113], off, off offset:72 ; 8-byte Folded Reload
	v_min3_f32 v139, v16, v28, v139
	s_waitcnt vmcnt(0)
	v_cvt_f32_f64_e32 v16, v[112:113]
	scratch_load_b64 v[112:113], off, off offset:8 ; 8-byte Folded Reload
	;; [unrolled: 7-line block ×14, first 2 shown]
	s_waitcnt vmcnt(0)
	v_cvt_f32_f64_e32 v28, v[112:113]
	s_delay_alu instid0(VALU_DEP_1) | instskip(SKIP_2) | instid1(VALU_DEP_1)
	v_min3_f32 v134, v16, v28, v134
	v_cvt_f32_f64_e32 v16, v[88:89]
	v_cvt_f32_f64_e32 v28, v[84:85]
	v_min3_f32 v214, v16, v28, v214
	v_cvt_f32_f64_e32 v16, v[98:99]
	v_cvt_f32_f64_e32 v28, v[80:81]
	v_mov_b32_e32 v99, v211
	s_delay_alu instid0(VALU_DEP_2) | instskip(SKIP_3) | instid1(VALU_DEP_2)
	v_min3_f32 v213, v16, v28, v213
	v_cvt_f32_f64_e32 v16, v[94:95]
	v_cvt_f32_f64_e32 v28, v[78:79]
	v_mov_b32_e32 v95, v215
	v_min3_f32 v212, v16, v28, v212
	v_cvt_f32_f64_e32 v28, v[61:62]
	scratch_load_b64 v[61:62], off, off offset:272 ; 8-byte Folded Reload
	v_cvt_f32_f64_e32 v16, v[90:91]
	s_delay_alu instid0(VALU_DEP_1) | instskip(SKIP_2) | instid1(VALU_DEP_1)
	v_min3_f32 v99, v16, v28, v99
	v_cvt_f32_f64_e32 v16, v[86:87]
	v_cvt_f32_f64_e32 v28, v[100:101]
	v_min3_f32 v210, v16, v28, v210
	v_cvt_f32_f64_e32 v16, v[82:83]
	s_waitcnt vmcnt(0)
	v_cvt_f32_f64_e32 v28, v[61:62]
	scratch_load_b64 v[61:62], off, off offset:264 ; 8-byte Folded Reload
	v_min3_f32 v209, v16, v28, v209
	v_cvt_f32_f64_e32 v16, v[220:221]
	s_waitcnt vmcnt(0)
	v_cvt_f32_f64_e32 v28, v[61:62]
	scratch_load_b64 v[61:62], off, off offset:280 ; 8-byte Folded Reload
	v_min3_f32 v208, v16, v28, v208
	s_waitcnt vmcnt(0)
	v_cvt_f32_f64_e32 v16, v[61:62]
	scratch_load_b64 v[61:62], off, off offset:256 ; 8-byte Folded Reload
	s_waitcnt vmcnt(0)
	v_cvt_f32_f64_e32 v28, v[61:62]
	s_delay_alu instid0(VALU_DEP_1) | instskip(SKIP_2) | instid1(VALU_DEP_1)
	v_min3_f32 v207, v16, v28, v207
	v_cvt_f32_f64_e32 v16, v[224:225]
	v_cvt_f32_f64_e32 v28, v[222:223]
	v_min3_f32 v206, v16, v28, v206
	v_cvt_f32_f64_e32 v16, v[228:229]
	v_cvt_f32_f64_e32 v28, v[226:227]
	s_delay_alu instid0(VALU_DEP_1) | instskip(SKIP_2) | instid1(VALU_DEP_1)
	v_min3_f32 v205, v16, v28, v205
	v_cvt_f32_f64_e32 v16, v[232:233]
	v_cvt_f32_f64_e32 v28, v[230:231]
	v_min3_f32 v195, v16, v28, v195
	v_cvt_f32_f64_e32 v16, v[236:237]
	;; [unrolled: 7-line block ×12, first 2 shown]
	v_cvt_f32_f64_e32 v28, v[168:169]
	s_delay_alu instid0(VALU_DEP_1)
	v_min3_f32 v242, v16, v28, v242
	s_cbranch_vccz .LBB119_30
; %bb.31:
	s_clause 0x1
	scratch_load_b32 v3, off, off offset:356
	scratch_load_b64 v[1:2], off, off offset:288
	v_dual_mov_b32 v59, v118 :: v_dual_lshlrev_b32 v0, 5, v77
	s_load_b32 s5, s[0:1], 0x8
	v_dual_mov_b32 v38, v214 :: v_dual_mov_b32 v145, v213
	v_dual_mov_b32 v144, v212 :: v_dual_mov_b32 v103, v209
	;; [unrolled: 1-line block ×7, first 2 shown]
	v_mov_b32_e32 v72, v202
	v_mov_b32_e32 v56, v186
	s_mov_b32 s4, 8
	s_waitcnt lgkmcnt(0)
	s_cmp_gt_i32 s5, 8
	s_waitcnt vmcnt(1)
	v_lshl_add_u32 v0, v3, 3, v0
	s_waitcnt vmcnt(0)
	ds_store_b64 v0, v[1:2] offset:18432
	s_clause 0x1
	scratch_load_b64 v[1:2], off, off offset:300
	scratch_load_b64 v[4:5], off, off offset:308
	s_waitcnt vmcnt(0)
	ds_store_2addr_stride64_b64 v0, v[1:2], v[4:5] offset0:16 offset1:20
	s_clause 0x1
	scratch_load_b64 v[1:2], off, off offset:316
	scratch_load_b64 v[4:5], off, off offset:324
	s_waitcnt vmcnt(0)
	ds_store_2addr_stride64_b64 v0, v[1:2], v[4:5] offset0:24 offset1:28
	s_waitcnt lgkmcnt(0)
	s_waitcnt_vscnt null, 0x0
	s_barrier
	buffer_gl0_inv
	scratch_store_b32 off, v216, off        ; 4-byte Folded Spill
	s_cbranch_scc0 .LBB119_57
; %bb.32:
	scratch_load_b64 v[1:2], off, off offset:332 ; 8-byte Folded Reload
	v_dual_mov_b32 v77, v200 :: v_dual_add_nc_u32 v4, 0x4800, v0
	v_or_b32_e32 v0, 0x2000, v0
	v_dual_mov_b32 v62, v57 :: v_dual_mov_b32 v37, v144
	scratch_store_b32 off, v4, off offset:372 ; 4-byte Folded Spill
	scratch_load_b64 v[4:5], off, off offset:340 ; 8-byte Folded Reload
	scratch_store_b32 off, v0, off offset:376 ; 4-byte Folded Spill
	s_add_i32 s5, s5, -8
	s_mov_b32 s22, 0
	s_waitcnt vmcnt(1)
	v_lshlrev_b64 v[1:2], 3, v[1:2]
	s_delay_alu instid0(VALU_DEP_1)
	v_add_co_u32 v0, vcc_lo, s24, v1
	s_waitcnt vmcnt(0)
	v_lshlrev_b64 v[4:5], 3, v[4:5]
	scratch_store_b32 off, v0, off offset:348 ; 4-byte Folded Spill
	v_add_co_ci_u32_e32 v0, vcc_lo, s25, v2, vcc_lo
	s_clause 0x1
	scratch_store_b64 off, v[4:5], off offset:300
	scratch_store_b32 off, v0, off offset:352
.LBB119_33:                             ; =>This Loop Header: Depth=1
                                        ;     Child Loop BB119_43 Depth 2
                                        ;     Child Loop BB119_54 Depth 2
	s_waitcnt vmcnt(0)
	v_dual_mov_b32 v49, v205 :: v_dual_add_nc_u32 v0, s4, v3
	v_mov_b32_e32 v41, v102
	v_mov_b32_e32 v43, v98
	s_and_b32 vcc_lo, exec_lo, s3
	s_cbranch_vccnz .LBB119_35
; %bb.34:                               ;   in Loop: Header=BB119_33 Depth=1
	v_mad_u64_u32 v[1:2], null, v0, s19, 0
	s_delay_alu instid0(VALU_DEP_1) | instskip(SKIP_2) | instid1(VALU_DEP_1)
	v_mad_u64_u32 v[6:7], null, v0, s20, v[2:3]
	scratch_load_b32 v3, off, off offset:348 ; 4-byte Folded Reload
	v_mov_b32_e32 v2, v6
	v_lshlrev_b64 v[1:2], 3, v[1:2]
	s_waitcnt vmcnt(0)
	s_delay_alu instid0(VALU_DEP_1)
	v_add_co_u32 v1, vcc_lo, v3, v1
	scratch_load_b32 v3, off, off offset:352 ; 4-byte Folded Reload
	s_waitcnt vmcnt(0)
	v_add_co_ci_u32_e32 v2, vcc_lo, v3, v2, vcc_lo
	flat_load_b64 v[1:2], v[1:2]
	s_waitcnt vmcnt(0) lgkmcnt(0)
	v_mul_f64 v[1:2], v[1:2], s[16:17]
	s_branch .LBB119_36
.LBB119_35:                             ;   in Loop: Header=BB119_33 Depth=1
	v_mov_b32_e32 v1, 0
	v_mov_b32_e32 v2, 0
.LBB119_36:                             ;   in Loop: Header=BB119_33 Depth=1
	scratch_store_b64 off, v[1:2], off offset:308 ; 8-byte Folded Spill
	v_mad_u64_u32 v[1:2], null, v0, s15, 0
	v_mov_b32_e32 v31, v56
	s_delay_alu instid0(VALU_DEP_2) | instskip(NEXT) | instid1(VALU_DEP_1)
	v_mad_u64_u32 v[8:9], null, v0, s21, v[2:3]
	v_mov_b32_e32 v2, v8
	s_delay_alu instid0(VALU_DEP_1) | instskip(NEXT) | instid1(VALU_DEP_1)
	v_lshlrev_b64 v[0:1], 3, v[1:2]
	v_add_co_u32 v0, vcc_lo, s12, v0
	s_delay_alu instid0(VALU_DEP_2)
	v_add_co_ci_u32_e32 v1, vcc_lo, s13, v1, vcc_lo
	s_and_b32 vcc_lo, exec_lo, s3
	s_cbranch_vccnz .LBB119_38
; %bb.37:                               ;   in Loop: Header=BB119_33 Depth=1
	scratch_load_b64 v[2:3], off, off offset:300 ; 8-byte Folded Reload
	s_waitcnt vmcnt(0)
	v_add_co_u32 v2, vcc_lo, v0, v2
	v_add_co_ci_u32_e32 v3, vcc_lo, v1, v3, vcc_lo
	s_clause 0x1
	flat_load_b64 v[8:9], v[2:3]
	flat_load_b64 v[2:3], v[2:3] offset:512
	s_waitcnt vmcnt(1) lgkmcnt(1)
	v_mul_f64 v[4:5], v[8:9], s[16:17]
	s_waitcnt vmcnt(0) lgkmcnt(0)
	v_mul_f64 v[2:3], v[2:3], s[16:17]
	scratch_store_b64 off, v[4:5], off offset:316 ; 8-byte Folded Spill
	s_branch .LBB119_39
.LBB119_38:                             ;   in Loop: Header=BB119_33 Depth=1
	v_mov_b32_e32 v2, 0
	v_mov_b32_e32 v3, 0
	scratch_store_b64 off, v[2:3], off offset:316 ; 8-byte Folded Spill
	v_mov_b32_e32 v2, 0
	v_mov_b32_e32 v3, 0
.LBB119_39:                             ;   in Loop: Header=BB119_33 Depth=1
	v_mov_b32_e32 v64, v74
	v_dual_mov_b32 v36, v99 :: v_dual_mov_b32 v57, v62
	v_mov_b32_e32 v74, v72
	v_mov_b32_e32 v72, v77
	s_and_b32 vcc_lo, exec_lo, s3
	scratch_store_b64 off, v[2:3], off offset:324 ; 8-byte Folded Spill
	s_cbranch_vccnz .LBB119_41
; %bb.40:                               ;   in Loop: Header=BB119_33 Depth=1
	scratch_load_b64 v[2:3], off, off offset:300 ; 8-byte Folded Reload
	s_waitcnt vmcnt(0)
	v_add_co_u32 v0, vcc_lo, v0, v2
	v_add_co_ci_u32_e32 v1, vcc_lo, v1, v3, vcc_lo
	s_clause 0x1
	flat_load_b64 v[2:3], v[0:1] offset:1024
	flat_load_b64 v[0:1], v[0:1] offset:1536
	s_waitcnt vmcnt(1) lgkmcnt(1)
	v_mul_f64 v[2:3], v[2:3], s[16:17]
	s_waitcnt vmcnt(0) lgkmcnt(0)
	v_mul_f64 v[0:1], v[0:1], s[16:17]
	scratch_store_b64 off, v[2:3], off offset:332 ; 8-byte Folded Spill
	s_branch .LBB119_42
.LBB119_41:                             ;   in Loop: Header=BB119_33 Depth=1
	v_mov_b32_e32 v0, 0
	v_mov_b32_e32 v1, 0
	scratch_store_b64 off, v[0:1], off offset:332 ; 8-byte Folded Spill
	v_mov_b32_e32 v0, 0
	v_mov_b32_e32 v1, 0
.LBB119_42:                             ;   in Loop: Header=BB119_33 Depth=1
	v_dual_mov_b32 v58, v57 :: v_dual_mov_b32 v51, v190
	v_dual_mov_b32 v53, v95 :: v_dual_mov_b32 v68, v194
	;; [unrolled: 1-line block ×3, first 2 shown]
	v_mov_b32_e32 v71, v199
	v_mov_b32_e32 v42, v103
	s_mov_b32 s24, 0
	s_mov_b32 s23, -1
	scratch_store_b64 off, v[0:1], off offset:340 ; 8-byte Folded Spill
.LBB119_43:                             ;   Parent Loop BB119_33 Depth=1
                                        ; =>  This Inner Loop Header: Depth=2
	s_lshl_b32 s24, s24, 3
	v_mov_b32_e32 v50, v145
	v_lshl_add_u32 v16, v216, 5, s24
	v_lshl_add_u32 v4, v39, 5, s24
	v_mov_b32_e32 v28, v143
	s_mov_b32 s24, 2
	s_and_not1_b32 vcc_lo, exec_lo, s23
	ds_load_b128 v[44:47], v16 offset:8192
	ds_load_b128 v[0:3], v4 offset:18432
	;; [unrolled: 1-line block ×4, first 2 shown]
	s_mov_b32 s23, 0
	s_waitcnt lgkmcnt(2)
	v_add_f64 v[142:143], v[2:3], v[46:47]
	s_waitcnt lgkmcnt(1)
	v_add_f64 v[5:6], v[152:153], v[46:47]
	v_add_f64 v[144:145], v[0:1], v[44:45]
	s_delay_alu instid0(VALU_DEP_3)
	v_cvt_f32_f64_e32 v118, v[142:143]
	scratch_store_b64 off, v[5:6], off offset:8 ; 8-byte Folded Spill
	v_add_f64 v[5:6], v[150:151], v[44:45]
	scratch_store_b64 off, v[5:6], off offset:64 ; 8-byte Folded Spill
	ds_load_b128 v[158:161], v4 offset:18944
	ds_load_b128 v[162:165], v4 offset:19200
	s_waitcnt lgkmcnt(1)
	v_add_f64 v[5:6], v[160:161], v[46:47]
	scratch_store_b64 off, v[5:6], off offset:40 ; 8-byte Folded Spill
	v_add_f64 v[5:6], v[158:159], v[44:45]
	scratch_store_b64 off, v[5:6], off offset:96 ; 8-byte Folded Spill
	s_waitcnt lgkmcnt(0)
	v_add_f64 v[5:6], v[164:165], v[46:47]
	scratch_store_b64 off, v[5:6], off offset:16 ; 8-byte Folded Spill
	v_add_f64 v[5:6], v[162:163], v[44:45]
	scratch_store_b64 off, v[5:6], off offset:72 ; 8-byte Folded Spill
	ds_load_b128 v[166:169], v4 offset:19456
	ds_load_b128 v[170:173], v4 offset:19712
	s_waitcnt lgkmcnt(1)
	v_add_f64 v[5:6], v[168:169], v[46:47]
	scratch_store_b64 off, v[5:6], off offset:48 ; 8-byte Folded Spill
	v_add_f64 v[5:6], v[166:167], v[44:45]
	scratch_store_b64 off, v[5:6], off offset:104 ; 8-byte Folded Spill
	s_waitcnt lgkmcnt(0)
	v_add_f64 v[5:6], v[172:173], v[46:47]
	;; [unrolled: 12-line block ×3, first 2 shown]
	scratch_store_b64 off, v[4:5], off offset:32 ; 8-byte Folded Spill
	v_add_f64 v[4:5], v[178:179], v[44:45]
	scratch_store_b64 off, v[4:5], off offset:88 ; 8-byte Folded Spill
	v_add_f64 v[4:5], v[2:3], v[156:157]
	;; [unrolled: 2-line block ×17, first 2 shown]
	scratch_store_b64 off, v[4:5], off offset:240 ; 8-byte Folded Spill
	ds_load_b128 v[154:157], v16 offset:10240
	ds_load_b128 v[182:185], v16 offset:11264
	s_waitcnt lgkmcnt(1)
	v_add_f64 v[4:5], v[168:169], v[156:157]
	v_add_f64 v[106:107], v[2:3], v[156:157]
	;; [unrolled: 1-line block ×11, first 2 shown]
	s_waitcnt lgkmcnt(0)
	v_add_f64 v[29:30], v[2:3], v[184:185]
	v_add_f64 v[220:221], v[0:1], v[182:183]
	v_add_f64 v[222:223], v[152:153], v[184:185]
	v_add_f64 v[224:225], v[150:151], v[182:183]
	v_add_f64 v[226:227], v[160:161], v[184:185]
	v_add_f64 v[228:229], v[158:159], v[182:183]
	v_add_f64 v[230:231], v[164:165], v[184:185]
	v_add_f64 v[232:233], v[162:163], v[182:183]
	v_add_f64 v[234:235], v[168:169], v[184:185]
	v_add_f64 v[236:237], v[166:167], v[182:183]
	v_add_f64 v[131:132], v[172:173], v[184:185]
	v_add_f64 v[240:241], v[170:171], v[182:183]
	v_add_f64 v[66:67], v[176:177], v[184:185]
	v_add_f64 v[114:115], v[174:175], v[182:183]
	v_add_f64 v[246:247], v[180:181], v[184:185]
	v_add_f64 v[248:249], v[178:179], v[182:183]
	scratch_store_b64 off, v[4:5], off offset:280 ; 8-byte Folded Spill
	v_add_f64 v[4:5], v[172:173], v[156:157]
	v_cvt_f32_f64_e32 v20, v[20:21]
	scratch_store_b64 off, v[4:5], off offset:264 ; 8-byte Folded Spill
	v_add_f64 v[4:5], v[176:177], v[156:157]
	scratch_store_b64 off, v[4:5], off offset:256 ; 8-byte Folded Spill
	v_add_f64 v[4:5], v[174:175], v[154:155]
	;; [unrolled: 2-line block ×4, first 2 shown]
	scratch_store_b64 off, v[4:5], off offset:272 ; 8-byte Folded Spill
	ds_load_b128 v[154:157], v16 offset:12288
	ds_load_b128 v[182:185], v16 offset:13312
	s_waitcnt lgkmcnt(1)
	v_add_f64 v[250:251], v[2:3], v[156:157]
	v_add_f64 v[252:253], v[0:1], v[154:155]
	;; [unrolled: 1-line block ×16, first 2 shown]
	s_waitcnt lgkmcnt(0)
	v_add_f64 v[22:23], v[2:3], v[184:185]
	v_add_f64 v[82:83], v[0:1], v[182:183]
	;; [unrolled: 1-line block ×16, first 2 shown]
	ds_load_b128 v[154:157], v16 offset:14336
	ds_load_b128 v[182:185], v16 offset:15360
	v_cvt_f32_f64_e32 v16, v[144:145]
	v_mov_b32_e32 v145, v50
	v_mov_b32_e32 v143, v28
	v_cvt_f32_f64_e32 v4, v[4:5]
	v_cvt_f32_f64_e32 v5, v[148:149]
	s_waitcnt lgkmcnt(1)
	v_add_f64 v[214:215], v[0:1], v[154:155]
	v_add_f64 v[210:211], v[150:151], v[154:155]
	;; [unrolled: 1-line block ×8, first 2 shown]
	s_waitcnt lgkmcnt(0)
	v_add_f64 v[0:1], v[0:1], v[182:183]
	v_add_f64 v[150:151], v[150:151], v[182:183]
	;; [unrolled: 1-line block ×8, first 2 shown]
	scratch_load_b64 v[182:183], off, off offset:64 ; 8-byte Folded Reload
	v_add_f64 v[102:103], v[2:3], v[156:157]
	v_add_f64 v[104:105], v[152:153], v[156:157]
	v_add_f64 v[2:3], v[2:3], v[184:185]
	v_min3_f32 v141, v16, v118, v141
	v_add_f64 v[152:153], v[152:153], v[184:185]
	v_add_f64 v[206:207], v[160:161], v[156:157]
	;; [unrolled: 1-line block ×10, first 2 shown]
	v_min3_f32 v70, v4, v5, v70
	v_cvt_f32_f64_e32 v4, v[8:9]
	v_cvt_f32_f64_e32 v5, v[10:11]
	v_add_f64 v[176:177], v[176:177], v[184:185]
	v_add_f64 v[156:157], v[180:181], v[156:157]
	;; [unrolled: 1-line block ×3, first 2 shown]
	v_cvt_f32_f64_e32 v0, v[0:1]
	v_cvt_f32_f64_e32 v1, v[2:3]
	v_min3_f32 v69, v4, v5, v69
	v_cvt_f32_f64_e32 v4, v[12:13]
	v_cvt_f32_f64_e32 v5, v[14:15]
	s_delay_alu instid0(VALU_DEP_4) | instskip(SKIP_2) | instid1(VALU_DEP_4)
	v_min3_f32 v126, v0, v1, v126
	v_cvt_f32_f64_e32 v0, v[150:151]
	v_cvt_f32_f64_e32 v1, v[152:153]
	v_min3_f32 v68, v4, v5, v68
	v_cvt_f32_f64_e32 v4, v[76:77]
	v_cvt_f32_f64_e32 v5, v[18:19]
	s_delay_alu instid0(VALU_DEP_4) | instskip(SKIP_2) | instid1(VALU_DEP_4)
	v_min3_f32 v125, v0, v1, v125
	;; [unrolled: 7-line block ×6, first 2 shown]
	v_cvt_f32_f64_e32 v0, v[174:175]
	v_cvt_f32_f64_e32 v1, v[176:177]
	v_min3_f32 v55, v4, v5, v55
	v_cvt_f32_f64_e32 v4, v[56:57]
	v_cvt_f32_f64_e32 v5, v[86:87]
	s_delay_alu instid0(VALU_DEP_4)
	v_min3_f32 v120, v0, v1, v120
	s_waitcnt vmcnt(0)
	v_cvt_f32_f64_e32 v16, v[182:183]
	scratch_load_b64 v[182:183], off, off offset:8 ; 8-byte Folded Reload
	v_cvt_f32_f64_e32 v0, v[178:179]
	v_cvt_f32_f64_e32 v1, v[180:181]
	v_min3_f32 v31, v4, v5, v31
	v_cvt_f32_f64_e32 v4, v[60:61]
	v_cvt_f32_f64_e32 v5, v[6:7]
	s_delay_alu instid0(VALU_DEP_4) | instskip(NEXT) | instid1(VALU_DEP_2)
	v_min3_f32 v119, v0, v1, v119
	v_min3_f32 v59, v4, v5, v59
	v_cvt_f32_f64_e32 v4, v[62:63]
	v_cvt_f32_f64_e32 v5, v[88:89]
	s_delay_alu instid0(VALU_DEP_1) | instskip(SKIP_2) | instid1(VALU_DEP_1)
	v_min3_f32 v244, v4, v5, v244
	v_cvt_f32_f64_e32 v4, v[92:93]
	v_cvt_f32_f64_e32 v5, v[90:91]
	v_min3_f32 v243, v4, v5, v243
	v_cvt_f32_f64_e32 v4, v[96:97]
	v_cvt_f32_f64_e32 v5, v[94:95]
	s_delay_alu instid0(VALU_DEP_1) | instskip(SKIP_2) | instid1(VALU_DEP_1)
	v_min3_f32 v245, v4, v5, v245
	v_cvt_f32_f64_e32 v4, v[100:101]
	v_cvt_f32_f64_e32 v5, v[98:99]
	;; [unrolled: 7-line block ×3, first 2 shown]
	v_min3_f32 v219, v4, v5, v219
	v_cvt_f32_f64_e32 v4, v[216:217]
	scratch_load_b32 v216, off, off         ; 4-byte Folded Reload
	v_cvt_f32_f64_e32 v5, v[206:207]
	s_waitcnt vmcnt(1)
	v_cvt_f32_f64_e32 v118, v[182:183]
	scratch_load_b64 v[182:183], off, off offset:96 ; 8-byte Folded Reload
	v_min3_f32 v196, v4, v5, v196
	v_cvt_f32_f64_e32 v4, v[212:213]
	v_cvt_f32_f64_e32 v5, v[202:203]
	v_min3_f32 v140, v16, v118, v140
	s_delay_alu instid0(VALU_DEP_2) | instskip(SKIP_2) | instid1(VALU_DEP_1)
	v_min3_f32 v130, v4, v5, v130
	v_cvt_f32_f64_e32 v4, v[208:209]
	v_cvt_f32_f64_e32 v5, v[198:199]
	v_min3_f32 v192, v4, v5, v192
	v_cvt_f32_f64_e32 v4, v[204:205]
	v_cvt_f32_f64_e32 v5, v[194:195]
	s_delay_alu instid0(VALU_DEP_1) | instskip(SKIP_2) | instid1(VALU_DEP_1)
	v_min3_f32 v129, v4, v5, v129
	v_cvt_f32_f64_e32 v4, v[200:201]
	v_cvt_f32_f64_e32 v5, v[190:191]
	v_min3_f32 v188, v4, v5, v188
	v_cvt_f32_f64_e32 v4, v[154:155]
	v_cvt_f32_f64_e32 v5, v[156:157]
	s_delay_alu instid0(VALU_DEP_1)
	v_min3_f32 v128, v4, v5, v128
	s_waitcnt vmcnt(0)
	v_cvt_f32_f64_e32 v16, v[182:183]
	scratch_load_b64 v[182:183], off, off offset:40 ; 8-byte Folded Reload
	s_waitcnt vmcnt(0)
	v_cvt_f32_f64_e32 v118, v[182:183]
	scratch_load_b64 v[182:183], off, off offset:72 ; 8-byte Folded Reload
	v_min3_f32 v139, v16, v118, v139
	s_waitcnt vmcnt(0)
	v_cvt_f32_f64_e32 v16, v[182:183]
	scratch_load_b64 v[182:183], off, off offset:16 ; 8-byte Folded Reload
	s_waitcnt vmcnt(0)
	v_cvt_f32_f64_e32 v118, v[182:183]
	scratch_load_b64 v[182:183], off, off offset:104 ; 8-byte Folded Reload
	;; [unrolled: 7-line block ×13, first 2 shown]
	v_min3_f32 v239, v16, v28, v239
	s_waitcnt vmcnt(0)
	v_cvt_f32_f64_e32 v16, v[182:183]
	scratch_load_b64 v[182:183], off, off offset:232 ; 8-byte Folded Reload
	s_waitcnt vmcnt(0)
	v_cvt_f32_f64_e32 v28, v[182:183]
	s_delay_alu instid0(VALU_DEP_1) | instskip(SKIP_2) | instid1(VALU_DEP_1)
	v_min3_f32 v134, v16, v28, v134
	v_cvt_f32_f64_e32 v16, v[108:109]
	v_cvt_f32_f64_e32 v28, v[106:107]
	v_min3_f32 v38, v16, v28, v38
	v_cvt_f32_f64_e32 v16, v[110:111]
	s_delay_alu instid0(VALU_DEP_1) | instskip(SKIP_2) | instid1(VALU_DEP_1)
	v_min3_f32 v145, v16, v20, v145
	v_cvt_f32_f64_e32 v16, v[186:187]
	v_cvt_f32_f64_e32 v20, v[32:33]
	v_min3_f32 v37, v16, v20, v37
	v_cvt_f32_f64_e32 v16, v[112:113]
	v_cvt_f32_f64_e32 v20, v[44:45]
	s_delay_alu instid0(VALU_DEP_1) | instskip(SKIP_4) | instid1(VALU_DEP_1)
	v_min3_f32 v36, v16, v20, v36
	scratch_load_b64 v[20:21], off, off offset:280 ; 8-byte Folded Reload
	v_cvt_f32_f64_e32 v16, v[34:35]
	s_waitcnt vmcnt(0)
	v_cvt_f32_f64_e32 v20, v[20:21]
	v_min3_f32 v43, v16, v20, v43
	scratch_load_b64 v[20:21], off, off offset:264 ; 8-byte Folded Reload
	v_cvt_f32_f64_e32 v16, v[46:47]
	s_waitcnt vmcnt(0)
	v_cvt_f32_f64_e32 v20, v[20:21]
	s_delay_alu instid0(VALU_DEP_1)
	v_min3_f32 v42, v16, v20, v42
	scratch_load_b64 v[20:21], off, off offset:288 ; 8-byte Folded Reload
	s_waitcnt vmcnt(0)
	v_cvt_f32_f64_e32 v16, v[20:21]
	scratch_load_b64 v[20:21], off, off offset:256 ; 8-byte Folded Reload
	s_waitcnt vmcnt(0)
	v_cvt_f32_f64_e32 v20, v[20:21]
	s_delay_alu instid0(VALU_DEP_1)
	v_min3_f32 v41, v16, v20, v41
	scratch_load_b64 v[20:21], off, off offset:272 ; 8-byte Folded Reload
	s_waitcnt vmcnt(0)
	v_cvt_f32_f64_e32 v16, v[20:21]
	scratch_load_b64 v[20:21], off, off offset:248 ; 8-byte Folded Reload
	s_waitcnt vmcnt(0)
	v_cvt_f32_f64_e32 v20, v[20:21]
	s_delay_alu instid0(VALU_DEP_1) | instskip(SKIP_2) | instid1(VALU_DEP_1)
	v_min3_f32 v143, v16, v20, v143
	v_cvt_f32_f64_e32 v16, v[220:221]
	v_cvt_f32_f64_e32 v20, v[29:30]
	v_min3_f32 v40, v16, v20, v40
	v_cvt_f32_f64_e32 v16, v[224:225]
	v_cvt_f32_f64_e32 v20, v[222:223]
	s_delay_alu instid0(VALU_DEP_1) | instskip(SKIP_2) | instid1(VALU_DEP_1)
	v_min3_f32 v49, v16, v20, v49
	v_cvt_f32_f64_e32 v16, v[228:229]
	v_cvt_f32_f64_e32 v20, v[226:227]
	v_min3_f32 v48, v16, v20, v48
	v_cvt_f32_f64_e32 v16, v[232:233]
	;; [unrolled: 7-line block ×5, first 2 shown]
	v_cvt_f32_f64_e32 v20, v[254:255]
	s_delay_alu instid0(VALU_DEP_1)
	v_min3_f32 v71, v16, v20, v71
	s_cbranch_vccz .LBB119_43
; %bb.44:                               ;   in Loop: Header=BB119_33 Depth=1
	s_clause 0x1
	scratch_load_b32 v0, off, off offset:368
	scratch_load_b64 v[1:2], off, off offset:308
	v_dual_mov_b32 v103, v42 :: v_dual_mov_b32 v194, v68
	v_dual_mov_b32 v199, v71 :: v_dual_mov_b32 v198, v70
	v_dual_mov_b32 v217, v69 :: v_dual_mov_b32 v190, v51
	v_mov_b32_e32 v57, v58
	s_and_b32 vcc_lo, exec_lo, s3
	s_waitcnt vmcnt(0)
	ds_store_b64 v0, v[1:2]
	s_clause 0x2
	scratch_load_b32 v0, off, off offset:364
	scratch_load_b64 v[1:2], off, off offset:316
	scratch_load_b64 v[3:4], off, off offset:324
	s_waitcnt vmcnt(0)
	ds_store_2addr_stride64_b64 v0, v[1:2], v[3:4] offset1:4
	s_clause 0x1
	scratch_load_b64 v[1:2], off, off offset:332
	scratch_load_b64 v[3:4], off, off offset:340
	s_waitcnt vmcnt(0)
	ds_store_2addr_stride64_b64 v0, v[1:2], v[3:4] offset0:8 offset1:12
	scratch_load_b32 v0, off, off offset:360 ; 4-byte Folded Reload
	v_mov_b32_e32 v95, v53
	s_waitcnt vmcnt(0) lgkmcnt(0)
	s_waitcnt_vscnt null, 0x0
	s_barrier
	buffer_gl0_inv
	v_add_nc_u32_e32 v0, s4, v0
	s_cbranch_vccnz .LBB119_46
; %bb.45:                               ;   in Loop: Header=BB119_33 Depth=1
	s_delay_alu instid0(VALU_DEP_1) | instskip(NEXT) | instid1(VALU_DEP_1)
	v_mad_u64_u32 v[1:2], null, v0, s19, 0
	v_mad_u64_u32 v[6:7], null, v0, s20, v[2:3]
	scratch_load_b32 v3, off, off offset:348 ; 4-byte Folded Reload
	v_mov_b32_e32 v2, v6
	s_delay_alu instid0(VALU_DEP_1) | instskip(SKIP_1) | instid1(VALU_DEP_1)
	v_lshlrev_b64 v[1:2], 3, v[1:2]
	s_waitcnt vmcnt(0)
	v_add_co_u32 v1, vcc_lo, v3, v1
	scratch_load_b32 v3, off, off offset:352 ; 4-byte Folded Reload
	s_waitcnt vmcnt(0)
	v_add_co_ci_u32_e32 v2, vcc_lo, v3, v2, vcc_lo
	flat_load_b64 v[1:2], v[1:2]
	s_waitcnt vmcnt(0) lgkmcnt(0)
	v_mul_f64 v[1:2], v[1:2], s[16:17]
	s_branch .LBB119_47
.LBB119_46:                             ;   in Loop: Header=BB119_33 Depth=1
	v_mov_b32_e32 v1, 0
	v_mov_b32_e32 v2, 0
.LBB119_47:                             ;   in Loop: Header=BB119_33 Depth=1
	scratch_store_b64 off, v[1:2], off offset:308 ; 8-byte Folded Spill
	v_mad_u64_u32 v[1:2], null, v0, s15, 0
	v_dual_mov_b32 v62, v57 :: v_dual_mov_b32 v77, v72
	v_dual_mov_b32 v72, v74 :: v_dual_mov_b32 v99, v36
	v_mov_b32_e32 v74, v64
	s_delay_alu instid0(VALU_DEP_4) | instskip(NEXT) | instid1(VALU_DEP_1)
	v_mad_u64_u32 v[8:9], null, v0, s21, v[2:3]
	v_mov_b32_e32 v2, v8
	s_delay_alu instid0(VALU_DEP_1) | instskip(NEXT) | instid1(VALU_DEP_1)
	v_lshlrev_b64 v[0:1], 3, v[1:2]
	v_add_co_u32 v0, vcc_lo, s12, v0
	s_delay_alu instid0(VALU_DEP_2)
	v_add_co_ci_u32_e32 v1, vcc_lo, s13, v1, vcc_lo
	s_and_b32 vcc_lo, exec_lo, s3
	s_cbranch_vccnz .LBB119_49
; %bb.48:                               ;   in Loop: Header=BB119_33 Depth=1
	scratch_load_b64 v[2:3], off, off offset:300 ; 8-byte Folded Reload
	s_waitcnt vmcnt(0)
	v_add_co_u32 v2, vcc_lo, v0, v2
	v_add_co_ci_u32_e32 v3, vcc_lo, v1, v3, vcc_lo
	s_clause 0x1
	flat_load_b64 v[8:9], v[2:3]
	flat_load_b64 v[2:3], v[2:3] offset:512
	s_waitcnt vmcnt(1) lgkmcnt(1)
	v_mul_f64 v[4:5], v[8:9], s[16:17]
	s_waitcnt vmcnt(0) lgkmcnt(0)
	v_mul_f64 v[2:3], v[2:3], s[16:17]
	scratch_store_b64 off, v[4:5], off offset:316 ; 8-byte Folded Spill
	s_branch .LBB119_50
.LBB119_49:                             ;   in Loop: Header=BB119_33 Depth=1
	v_mov_b32_e32 v2, 0
	v_mov_b32_e32 v3, 0
	scratch_store_b64 off, v[2:3], off offset:316 ; 8-byte Folded Spill
	v_mov_b32_e32 v2, 0
	v_mov_b32_e32 v3, 0
.LBB119_50:                             ;   in Loop: Header=BB119_33 Depth=1
	v_dual_mov_b32 v144, v37 :: v_dual_mov_b32 v37, v243
	v_dual_mov_b32 v98, v43 :: v_dual_mov_b32 v195, v49
	v_mov_b32_e32 v102, v41
	v_dual_mov_b32 v57, v65 :: v_dual_mov_b32 v56, v31
	v_mov_b32_e32 v58, v244
	s_and_b32 vcc_lo, exec_lo, s3
	scratch_store_b64 off, v[2:3], off offset:324 ; 8-byte Folded Spill
	s_cbranch_vccnz .LBB119_52
; %bb.51:                               ;   in Loop: Header=BB119_33 Depth=1
	scratch_load_b64 v[2:3], off, off offset:300 ; 8-byte Folded Reload
	s_waitcnt vmcnt(0)
	v_add_co_u32 v0, vcc_lo, v0, v2
	v_add_co_ci_u32_e32 v1, vcc_lo, v1, v3, vcc_lo
	s_clause 0x1
	flat_load_b64 v[2:3], v[0:1] offset:1024
	flat_load_b64 v[0:1], v[0:1] offset:1536
	s_waitcnt vmcnt(1) lgkmcnt(1)
	v_mul_f64 v[2:3], v[2:3], s[16:17]
	s_waitcnt vmcnt(0) lgkmcnt(0)
	v_mul_f64 v[0:1], v[0:1], s[16:17]
	scratch_store_b64 off, v[2:3], off offset:332 ; 8-byte Folded Spill
	s_branch .LBB119_53
.LBB119_52:                             ;   in Loop: Header=BB119_33 Depth=1
	v_mov_b32_e32 v0, 0
	v_mov_b32_e32 v1, 0
	scratch_store_b64 off, v[0:1], off offset:332 ; 8-byte Folded Spill
	v_mov_b32_e32 v0, 0
	v_mov_b32_e32 v1, 0
.LBB119_53:                             ;   in Loop: Header=BB119_33 Depth=1
	v_dual_mov_b32 v191, v48 :: v_dual_mov_b32 v94, v38
	v_mov_b32_e32 v142, v40
	s_mov_b32 s24, 0
	s_mov_b32 s23, -1
	scratch_store_b64 off, v[0:1], off offset:340 ; 8-byte Folded Spill
.LBB119_54:                             ;   Parent Loop BB119_33 Depth=1
                                        ; =>  This Inner Loop Header: Depth=2
	s_lshl_b32 s24, s24, 3
	v_dual_mov_b32 v38, v62 :: v_dual_mov_b32 v241, v245
	v_lshl_add_u32 v16, v216, 5, s24
	s_waitcnt vmcnt(0)
	v_lshl_add_u32 v4, v39, 5, s24
	v_dual_mov_b32 v36, v77 :: v_dual_mov_b32 v255, v119
	ds_load_b128 v[44:47], v16
	ds_load_b128 v[0:3], v4 offset:16384
	ds_load_b128 v[150:153], v4 offset:16640
	;; [unrolled: 1-line block ×3, first 2 shown]
	v_dual_mov_b32 v8, v219 :: v_dual_mov_b32 v11, v122
	v_dual_mov_b32 v240, v238 :: v_dual_mov_b32 v35, v123
	s_mov_b32 s24, 2
	s_and_not1_b32 vcc_lo, exec_lo, s23
	s_mov_b32 s23, 0
	s_waitcnt lgkmcnt(2)
	v_add_f64 v[62:63], v[2:3], v[46:47]
	s_waitcnt lgkmcnt(1)
	v_add_f64 v[5:6], v[152:153], v[46:47]
	v_add_f64 v[76:77], v[0:1], v[44:45]
	s_delay_alu instid0(VALU_DEP_3)
	v_cvt_f32_f64_e32 v62, v[62:63]
	scratch_store_b64 off, v[5:6], off offset:8 ; 8-byte Folded Spill
	v_add_f64 v[5:6], v[150:151], v[44:45]
	scratch_store_b64 off, v[5:6], off offset:64 ; 8-byte Folded Spill
	ds_load_b128 v[158:161], v4 offset:16896
	ds_load_b128 v[162:165], v4 offset:17152
	s_waitcnt lgkmcnt(1)
	v_add_f64 v[5:6], v[160:161], v[46:47]
	scratch_store_b64 off, v[5:6], off offset:40 ; 8-byte Folded Spill
	v_add_f64 v[5:6], v[158:159], v[44:45]
	scratch_store_b64 off, v[5:6], off offset:96 ; 8-byte Folded Spill
	s_waitcnt lgkmcnt(0)
	v_add_f64 v[5:6], v[164:165], v[46:47]
	scratch_store_b64 off, v[5:6], off offset:16 ; 8-byte Folded Spill
	v_add_f64 v[5:6], v[162:163], v[44:45]
	scratch_store_b64 off, v[5:6], off offset:72 ; 8-byte Folded Spill
	ds_load_b128 v[166:169], v4 offset:17408
	ds_load_b128 v[170:173], v4 offset:17664
	s_waitcnt lgkmcnt(1)
	v_add_f64 v[5:6], v[168:169], v[46:47]
	scratch_store_b64 off, v[5:6], off offset:48 ; 8-byte Folded Spill
	v_add_f64 v[5:6], v[166:167], v[44:45]
	scratch_store_b64 off, v[5:6], off offset:104 ; 8-byte Folded Spill
	s_waitcnt lgkmcnt(0)
	v_add_f64 v[5:6], v[172:173], v[46:47]
	;; [unrolled: 12-line block ×3, first 2 shown]
	scratch_store_b64 off, v[4:5], off offset:32 ; 8-byte Folded Spill
	v_add_f64 v[4:5], v[178:179], v[44:45]
	scratch_store_b64 off, v[4:5], off offset:88 ; 8-byte Folded Spill
	v_add_f64 v[4:5], v[2:3], v[156:157]
	;; [unrolled: 2-line block ×17, first 2 shown]
	scratch_store_b64 off, v[4:5], off offset:240 ; 8-byte Folded Spill
	ds_load_b128 v[154:157], v16 offset:2048
	ds_load_b128 v[182:185], v16 offset:3072
	s_waitcnt lgkmcnt(1)
	v_add_f64 v[4:5], v[168:169], v[156:157]
	v_add_f64 v[82:83], v[2:3], v[156:157]
	;; [unrolled: 1-line block ×11, first 2 shown]
	s_waitcnt lgkmcnt(0)
	v_add_f64 v[146:147], v[2:3], v[184:185]
	v_add_f64 v[148:149], v[0:1], v[182:183]
	;; [unrolled: 1-line block ×16, first 2 shown]
	scratch_store_b64 off, v[4:5], off offset:280 ; 8-byte Folded Spill
	v_add_f64 v[4:5], v[172:173], v[156:157]
	scratch_store_b64 off, v[4:5], off offset:264 ; 8-byte Folded Spill
	v_add_f64 v[4:5], v[176:177], v[156:157]
	;; [unrolled: 2-line block ×5, first 2 shown]
	scratch_store_b64 off, v[4:5], off offset:272 ; 8-byte Folded Spill
	ds_load_b128 v[154:157], v16 offset:4096
	ds_load_b128 v[182:185], v16 offset:5120
	s_waitcnt lgkmcnt(1)
	v_add_f64 v[214:215], v[2:3], v[156:157]
	v_add_f64 v[18:19], v[0:1], v[154:155]
	;; [unrolled: 1-line block ×16, first 2 shown]
	s_waitcnt lgkmcnt(0)
	v_add_f64 v[247:248], v[2:3], v[184:185]
	v_add_f64 v[249:250], v[0:1], v[182:183]
	;; [unrolled: 1-line block ×16, first 2 shown]
	ds_load_b128 v[154:157], v16 offset:6144
	ds_load_b128 v[182:185], v16 offset:7168
	v_cvt_f32_f64_e32 v16, v[76:77]
	v_mov_b32_e32 v77, v36
	s_waitcnt lgkmcnt(1)
	v_add_f64 v[112:113], v[0:1], v[154:155]
	v_add_f64 v[28:29], v[150:151], v[154:155]
	;; [unrolled: 1-line block ×8, first 2 shown]
	s_waitcnt lgkmcnt(0)
	v_add_f64 v[0:1], v[0:1], v[182:183]
	v_add_f64 v[150:151], v[150:151], v[182:183]
	;; [unrolled: 1-line block ×8, first 2 shown]
	v_cvt_f32_f64_e32 v4, v[4:5]
	v_cvt_f32_f64_e32 v5, v[41:42]
	v_add_f64 v[131:132], v[2:3], v[156:157]
	v_add_f64 v[26:27], v[152:153], v[156:157]
	v_min3_f32 v141, v16, v62, v141
	scratch_load_b64 v[62:63], off, off offset:64 ; 8-byte Folded Reload
	v_add_f64 v[2:3], v[2:3], v[184:185]
	v_add_f64 v[114:115], v[160:161], v[156:157]
	;; [unrolled: 1-line block ×14, first 2 shown]
	s_clause 0x1
	scratch_load_b64 v[182:183], off, off offset:96
	scratch_load_b32 v216, off, off
	v_cvt_f32_f64_e32 v0, v[0:1]
	v_min3_f32 v58, v4, v5, v58
	v_cvt_f32_f64_e32 v4, v[108:109]
	v_cvt_f32_f64_e32 v5, v[106:107]
	v_cvt_f32_f64_e32 v1, v[2:3]
	s_delay_alu instid0(VALU_DEP_2) | instskip(SKIP_2) | instid1(VALU_DEP_4)
	v_min3_f32 v37, v4, v5, v37
	v_cvt_f32_f64_e32 v4, v[110:111]
	v_cvt_f32_f64_e32 v5, v[186:187]
	v_min3_f32 v126, v0, v1, v126
	v_cvt_f32_f64_e32 v0, v[150:151]
	v_cvt_f32_f64_e32 v1, v[152:153]
	s_delay_alu instid0(VALU_DEP_1) | instskip(SKIP_2) | instid1(VALU_DEP_1)
	v_min3_f32 v125, v0, v1, v125
	v_cvt_f32_f64_e32 v0, v[158:159]
	v_cvt_f32_f64_e32 v1, v[160:161]
	v_min3_f32 v124, v0, v1, v124
	v_cvt_f32_f64_e32 v0, v[162:163]
	v_cvt_f32_f64_e32 v1, v[164:165]
	s_waitcnt vmcnt(2)
	v_cvt_f32_f64_e32 v16, v[62:63]
	scratch_load_b64 v[62:63], off, off offset:8 ; 8-byte Folded Reload
	s_waitcnt vmcnt(0)
	v_cvt_f32_f64_e32 v62, v[62:63]
	s_delay_alu instid0(VALU_DEP_1)
	v_min3_f32 v140, v16, v62, v140
	v_cvt_f32_f64_e32 v16, v[182:183]
	scratch_load_b64 v[182:183], off, off offset:40 ; 8-byte Folded Reload
	v_mov_b32_e32 v62, v38
	s_waitcnt vmcnt(0)
	v_cvt_f32_f64_e32 v38, v[182:183]
	scratch_load_b64 v[182:183], off, off offset:72 ; 8-byte Folded Reload
	v_min3_f32 v139, v16, v38, v139
	s_waitcnt vmcnt(0)
	v_cvt_f32_f64_e32 v16, v[182:183]
	scratch_load_b64 v[182:183], off, off offset:16 ; 8-byte Folded Reload
	s_waitcnt vmcnt(0)
	v_cvt_f32_f64_e32 v38, v[182:183]
	scratch_load_b64 v[182:183], off, off offset:104 ; 8-byte Folded Reload
	v_min3_f32 v138, v16, v38, v138
	s_waitcnt vmcnt(0)
	v_cvt_f32_f64_e32 v16, v[182:183]
	scratch_load_b64 v[182:183], off, off offset:48 ; 8-byte Folded Reload
	;; [unrolled: 7-line block ×13, first 2 shown]
	s_waitcnt vmcnt(0)
	v_cvt_f32_f64_e32 v32, v[182:183]
	s_delay_alu instid0(VALU_DEP_1) | instskip(SKIP_3) | instid1(VALU_DEP_1)
	v_min3_f32 v134, v16, v32, v134
	v_cvt_f32_f64_e32 v16, v[80:81]
	scratch_load_b64 v[80:81], off, off offset:280 ; 8-byte Folded Reload
	v_cvt_f32_f64_e32 v32, v[82:83]
	v_min3_f32 v94, v16, v32, v94
	v_cvt_f32_f64_e32 v16, v[84:85]
	v_cvt_f32_f64_e32 v32, v[86:87]
	s_delay_alu instid0(VALU_DEP_1) | instskip(SKIP_2) | instid1(VALU_DEP_1)
	v_min3_f32 v145, v16, v32, v145
	v_cvt_f32_f64_e32 v16, v[88:89]
	v_cvt_f32_f64_e32 v32, v[90:91]
	v_min3_f32 v144, v16, v32, v144
	v_cvt_f32_f64_e32 v16, v[92:93]
	v_cvt_f32_f64_e32 v32, v[104:105]
	s_delay_alu instid0(VALU_DEP_1)
	v_min3_f32 v99, v16, v32, v99
	v_cvt_f32_f64_e32 v16, v[96:97]
	s_waitcnt vmcnt(0)
	v_cvt_f32_f64_e32 v32, v[80:81]
	scratch_load_b64 v[80:81], off, off offset:264 ; 8-byte Folded Reload
	v_min3_f32 v98, v16, v32, v98
	v_cvt_f32_f64_e32 v16, v[100:101]
	s_waitcnt vmcnt(0)
	v_cvt_f32_f64_e32 v32, v[80:81]
	scratch_load_b64 v[80:81], off, off offset:288 ; 8-byte Folded Reload
	v_min3_f32 v103, v16, v32, v103
	s_waitcnt vmcnt(0)
	v_cvt_f32_f64_e32 v16, v[80:81]
	scratch_load_b64 v[80:81], off, off offset:256 ; 8-byte Folded Reload
	s_waitcnt vmcnt(0)
	v_cvt_f32_f64_e32 v32, v[80:81]
	scratch_load_b64 v[80:81], off, off offset:272 ; 8-byte Folded Reload
	v_min3_f32 v102, v16, v32, v102
	s_waitcnt vmcnt(0)
	v_cvt_f32_f64_e32 v16, v[80:81]
	scratch_load_b64 v[80:81], off, off offset:248 ; 8-byte Folded Reload
	s_waitcnt vmcnt(0)
	v_cvt_f32_f64_e32 v32, v[80:81]
	s_delay_alu instid0(VALU_DEP_1) | instskip(SKIP_2) | instid1(VALU_DEP_1)
	v_min3_f32 v143, v16, v32, v143
	v_cvt_f32_f64_e32 v16, v[148:149]
	v_cvt_f32_f64_e32 v32, v[146:147]
	v_min3_f32 v142, v16, v32, v142
	v_cvt_f32_f64_e32 v16, v[24:25]
	v_cvt_f32_f64_e32 v24, v[78:79]
	s_delay_alu instid0(VALU_DEP_1) | instskip(SKIP_2) | instid1(VALU_DEP_1)
	v_min3_f32 v195, v16, v24, v195
	v_cvt_f32_f64_e32 v16, v[22:23]
	v_cvt_f32_f64_e32 v22, v[70:71]
	v_min3_f32 v191, v16, v22, v191
	v_cvt_f32_f64_e32 v16, v[20:21]
	;; [unrolled: 7-line block ×4, first 2 shown]
	v_cvt_f32_f64_e32 v20, v[210:211]
	s_delay_alu instid0(VALU_DEP_1) | instskip(SKIP_3) | instid1(VALU_DEP_2)
	v_min3_f32 v73, v16, v20, v73
	v_cvt_f32_f64_e32 v16, v[18:19]
	v_cvt_f32_f64_e32 v20, v[214:215]
	;; [unrolled: 1-line block ×3, first 2 shown]
	v_min3_f32 v77, v16, v20, v77
	v_cvt_f32_f64_e32 v16, v[221:222]
	v_cvt_f32_f64_e32 v20, v[219:220]
	v_mov_b32_e32 v219, v8
	v_cvt_f32_f64_e32 v8, v[6:7]
	v_cvt_f32_f64_e32 v6, v[46:47]
	v_cvt_f32_f64_e32 v7, v[43:44]
	v_min3_f32 v199, v16, v20, v199
	v_cvt_f32_f64_e32 v16, v[225:226]
	v_cvt_f32_f64_e32 v20, v[223:224]
	v_min3_f32 v56, v8, v6, v56
	v_cvt_f32_f64_e32 v6, v[39:40]
	scratch_load_b32 v39, off, off offset:296 ; 4-byte Folded Reload
	v_min3_f32 v198, v16, v20, v198
	v_cvt_f32_f64_e32 v16, v[229:230]
	v_cvt_f32_f64_e32 v20, v[227:228]
	v_min3_f32 v59, v6, v7, v59
	s_delay_alu instid0(VALU_DEP_2) | instskip(SKIP_2) | instid1(VALU_DEP_1)
	v_min3_f32 v217, v16, v20, v217
	v_cvt_f32_f64_e32 v16, v[233:234]
	v_cvt_f32_f64_e32 v20, v[231:232]
	v_min3_f32 v194, v16, v20, v194
	v_cvt_f32_f64_e32 v16, v[237:238]
	v_cvt_f32_f64_e32 v20, v[235:236]
	v_mov_b32_e32 v238, v240
	s_delay_alu instid0(VALU_DEP_2) | instskip(SKIP_2) | instid1(VALU_DEP_1)
	v_min3_f32 v54, v16, v20, v54
	v_cvt_f32_f64_e32 v16, v[48:49]
	v_cvt_f32_f64_e32 v20, v[50:51]
	v_min3_f32 v95, v16, v20, v95
	v_cvt_f32_f64_e32 v16, v[245:246]
	v_mov_b32_e32 v245, v241
	s_delay_alu instid0(VALU_DEP_1)
	v_min3_f32 v245, v4, v5, v245
	v_cvt_f32_f64_e32 v4, v[30:31]
	v_cvt_f32_f64_e32 v5, v[33:34]
	v_min3_f32 v190, v16, v18, v190
	v_cvt_f32_f64_e32 v16, v[249:250]
	v_cvt_f32_f64_e32 v18, v[247:248]
	s_delay_alu instid0(VALU_DEP_4) | instskip(SKIP_2) | instid1(VALU_DEP_4)
	v_min3_f32 v242, v4, v5, v242
	v_cvt_f32_f64_e32 v4, v[112:113]
	v_cvt_f32_f64_e32 v5, v[131:132]
	v_min3_f32 v62, v16, v18, v62
	v_cvt_f32_f64_e32 v16, v[253:254]
	v_cvt_f32_f64_e32 v18, v[251:252]
	s_delay_alu instid0(VALU_DEP_4) | instskip(SKIP_2) | instid1(VALU_DEP_4)
	v_min3_f32 v238, v4, v5, v238
	v_cvt_f32_f64_e32 v4, v[28:29]
	v_cvt_f32_f64_e32 v5, v[26:27]
	v_min3_f32 v55, v16, v18, v55
	s_delay_alu instid0(VALU_DEP_2) | instskip(SKIP_2) | instid1(VALU_DEP_1)
	v_min3_f32 v219, v4, v5, v219
	v_cvt_f32_f64_e32 v4, v[64:65]
	v_cvt_f32_f64_e32 v5, v[114:115]
	v_min3_f32 v196, v4, v5, v196
	v_cvt_f32_f64_e32 v4, v[116:117]
	v_cvt_f32_f64_e32 v5, v[66:67]
	s_delay_alu instid0(VALU_DEP_1) | instskip(SKIP_3) | instid1(VALU_DEP_2)
	v_min3_f32 v130, v4, v5, v130
	v_cvt_f32_f64_e32 v4, v[9:10]
	v_cvt_f32_f64_e32 v5, v[118:119]
	v_mov_b32_e32 v119, v255
	v_min3_f32 v192, v4, v5, v192
	v_cvt_f32_f64_e32 v5, v[122:123]
	v_mov_b32_e32 v123, v35
	v_mov_b32_e32 v122, v11
	v_cvt_f32_f64_e32 v4, v[12:13]
	s_delay_alu instid0(VALU_DEP_3) | instskip(SKIP_2) | instid1(VALU_DEP_4)
	v_min3_f32 v123, v0, v1, v123
	v_cvt_f32_f64_e32 v0, v[166:167]
	v_cvt_f32_f64_e32 v1, v[168:169]
	v_min3_f32 v129, v4, v5, v129
	v_cvt_f32_f64_e32 v4, v[243:244]
	v_cvt_f32_f64_e32 v5, v[14:15]
	s_delay_alu instid0(VALU_DEP_4) | instskip(SKIP_2) | instid1(VALU_DEP_4)
	v_min3_f32 v122, v0, v1, v122
	v_cvt_f32_f64_e32 v0, v[170:171]
	v_cvt_f32_f64_e32 v1, v[172:173]
	v_min3_f32 v188, v4, v5, v188
	v_cvt_f32_f64_e32 v4, v[154:155]
	v_cvt_f32_f64_e32 v5, v[156:157]
	s_delay_alu instid0(VALU_DEP_4) | instskip(SKIP_2) | instid1(VALU_DEP_4)
	v_min3_f32 v127, v0, v1, v127
	v_cvt_f32_f64_e32 v0, v[174:175]
	v_cvt_f32_f64_e32 v1, v[176:177]
	v_min3_f32 v128, v4, v5, v128
	s_delay_alu instid0(VALU_DEP_2) | instskip(SKIP_2) | instid1(VALU_DEP_1)
	v_min3_f32 v120, v0, v1, v120
	v_cvt_f32_f64_e32 v0, v[178:179]
	v_cvt_f32_f64_e32 v1, v[180:181]
	v_min3_f32 v119, v0, v1, v119
	s_cbranch_vccz .LBB119_54
; %bb.55:                               ;   in Loop: Header=BB119_33 Depth=1
	s_clause 0x1
	scratch_load_b32 v0, off, off offset:372
	scratch_load_b64 v[1:2], off, off offset:308
	v_dual_mov_b32 v38, v94 :: v_dual_mov_b32 v205, v195
	v_dual_mov_b32 v40, v142 :: v_dual_mov_b32 v65, v57
	;; [unrolled: 1-line block ×3, first 2 shown]
	v_mov_b32_e32 v244, v58
	s_add_i32 s22, s22, 8
	s_add_i32 s4, s4, 8
	s_cmp_ge_i32 s22, s5
	s_waitcnt vmcnt(0)
	ds_store_b64 v0, v[1:2]
	s_clause 0x2
	scratch_load_b32 v0, off, off offset:376
	scratch_load_b64 v[1:2], off, off offset:316
	scratch_load_b64 v[3:4], off, off offset:324
	s_waitcnt vmcnt(0)
	ds_store_2addr_stride64_b64 v0, v[1:2], v[3:4] offset1:4
	s_clause 0x1
	scratch_load_b64 v[1:2], off, off offset:332
	scratch_load_b64 v[3:4], off, off offset:340
	s_waitcnt vmcnt(0)
	ds_store_2addr_stride64_b64 v0, v[1:2], v[3:4] offset0:8 offset1:12
	s_waitcnt lgkmcnt(0)
	s_waitcnt_vscnt null, 0x0
	s_barrier
	buffer_gl0_inv
	s_cbranch_scc1 .LBB119_58
; %bb.56:                               ;   in Loop: Header=BB119_33 Depth=1
	scratch_load_b32 v3, off, off offset:356 ; 4-byte Folded Reload
	v_mov_b32_e32 v37, v144
	s_branch .LBB119_33
.LBB119_57:
	v_dual_mov_b32 v62, v57 :: v_dual_mov_b32 v77, v200
.LBB119_58:
	v_dual_mov_b32 v57, v48 :: v_dual_mov_b32 v112, v99
	v_dual_mov_b32 v195, v40 :: v_dual_mov_b32 v106, v143
	;; [unrolled: 1-line block ×6, first 2 shown]
	v_mov_b32_e32 v111, v74
	v_mov_b32_e32 v191, v205
	v_dual_mov_b32 v107, v102 :: v_dual_mov_b32 v94, v217
	v_dual_mov_b32 v102, v98 :: v_dual_mov_b32 v113, v144
	;; [unrolled: 1-line block ×3, first 2 shown]
	s_mov_b32 s4, 0
	s_mov_b32 s3, -1
.LBB119_59:                             ; =>This Inner Loop Header: Depth=1
	scratch_load_b32 v0, off, off offset:296 ; 4-byte Folded Reload
	s_lshl_b32 s4, s4, 3
	v_dual_mov_b32 v28, v65 :: v_dual_mov_b32 v255, v119
	s_waitcnt vmcnt(1)
	v_lshl_add_u32 v4, v216, 5, s4
	v_dual_mov_b32 v240, v219 :: v_dual_mov_b32 v237, v242
	v_mov_b32_e32 v58, v54
	v_mov_b32_e32 v54, v62
	s_and_not1_b32 vcc_lo, exec_lo, s3
	s_mov_b32 s3, 0
	s_waitcnt vmcnt(0)
	v_lshl_add_u32 v5, v0, 5, s4
	s_mov_b32 s4, 2
	ds_load_b128 v[32:35], v4 offset:8192
	ds_load_b128 v[0:3], v5 offset:18432
	ds_load_b128 v[78:81], v5 offset:18688
	ds_load_b128 v[68:71], v4 offset:9216
	s_waitcnt lgkmcnt(2)
	v_add_f64 v[66:67], v[0:1], v[32:33]
	s_waitcnt lgkmcnt(1)
	v_add_f64 v[6:7], v[80:81], v[34:35]
	v_add_f64 v[64:65], v[2:3], v[34:35]
	s_delay_alu instid0(VALU_DEP_3)
	v_cvt_f32_f64_e32 v16, v[66:67]
	scratch_store_b64 off, v[6:7], off offset:8 ; 8-byte Folded Spill
	v_add_f64 v[6:7], v[78:79], v[32:33]
	v_cvt_f32_f64_e32 v64, v[64:65]
	v_mov_b32_e32 v65, v28
	scratch_store_b64 off, v[6:7], off offset:64 ; 8-byte Folded Spill
	ds_load_b128 v[72:75], v5 offset:18944
	ds_load_b128 v[142:145], v5 offset:19200
	v_min3_f32 v141, v16, v64, v141
	s_waitcnt lgkmcnt(1)
	v_add_f64 v[6:7], v[74:75], v[34:35]
	scratch_store_b64 off, v[6:7], off offset:40 ; 8-byte Folded Spill
	v_add_f64 v[6:7], v[72:73], v[32:33]
	scratch_store_b64 off, v[6:7], off offset:96 ; 8-byte Folded Spill
	s_waitcnt lgkmcnt(0)
	v_add_f64 v[6:7], v[144:145], v[34:35]
	scratch_store_b64 off, v[6:7], off offset:16 ; 8-byte Folded Spill
	v_add_f64 v[6:7], v[142:143], v[32:33]
	scratch_store_b64 off, v[6:7], off offset:72 ; 8-byte Folded Spill
	ds_load_b128 v[146:149], v5 offset:19456
	ds_load_b128 v[150:153], v5 offset:19712
	s_waitcnt lgkmcnt(1)
	v_add_f64 v[6:7], v[148:149], v[34:35]
	scratch_store_b64 off, v[6:7], off offset:48 ; 8-byte Folded Spill
	v_add_f64 v[6:7], v[146:147], v[32:33]
	scratch_store_b64 off, v[6:7], off offset:104 ; 8-byte Folded Spill
	s_waitcnt lgkmcnt(0)
	v_add_f64 v[6:7], v[152:153], v[34:35]
	scratch_store_b64 off, v[6:7], off offset:24 ; 8-byte Folded Spill
	v_add_f64 v[6:7], v[150:151], v[32:33]
	scratch_store_b64 off, v[6:7], off offset:80 ; 8-byte Folded Spill
	ds_load_b128 v[154:157], v5 offset:19968
	ds_load_b128 v[158:161], v5 offset:20224
	s_waitcnt lgkmcnt(1)
	v_add_f64 v[5:6], v[156:157], v[34:35]
	scratch_store_b64 off, v[5:6], off offset:56 ; 8-byte Folded Spill
	v_add_f64 v[5:6], v[154:155], v[32:33]
	scratch_store_b64 off, v[5:6], off offset:112 ; 8-byte Folded Spill
	s_waitcnt lgkmcnt(0)
	v_add_f64 v[5:6], v[160:161], v[34:35]
	scratch_store_b64 off, v[5:6], off offset:32 ; 8-byte Folded Spill
	v_add_f64 v[5:6], v[158:159], v[32:33]
	scratch_store_b64 off, v[5:6], off offset:88 ; 8-byte Folded Spill
	;; [unrolled: 2-line block ×18, first 2 shown]
	ds_load_b128 v[68:71], v4 offset:10240
	ds_load_b128 v[162:165], v4 offset:11264
	s_waitcnt lgkmcnt(1)
	v_add_f64 v[5:6], v[148:149], v[70:71]
	v_add_f64 v[82:83], v[2:3], v[70:71]
	;; [unrolled: 1-line block ×11, first 2 shown]
	s_waitcnt lgkmcnt(0)
	v_add_f64 v[114:115], v[2:3], v[164:165]
	v_add_f64 v[116:117], v[0:1], v[162:163]
	;; [unrolled: 1-line block ×16, first 2 shown]
	scratch_store_b64 off, v[5:6], off offset:280 ; 8-byte Folded Spill
	v_add_f64 v[5:6], v[152:153], v[70:71]
	scratch_store_b64 off, v[5:6], off offset:264 ; 8-byte Folded Spill
	v_add_f64 v[5:6], v[156:157], v[70:71]
	;; [unrolled: 2-line block ×5, first 2 shown]
	scratch_store_b64 off, v[5:6], off offset:272 ; 8-byte Folded Spill
	ds_load_b128 v[68:71], v4 offset:12288
	ds_load_b128 v[162:165], v4 offset:13312
	s_waitcnt lgkmcnt(1)
	v_add_f64 v[184:185], v[2:3], v[70:71]
	v_add_f64 v[186:187], v[0:1], v[68:69]
	;; [unrolled: 1-line block ×16, first 2 shown]
	s_waitcnt lgkmcnt(0)
	v_add_f64 v[216:217], v[2:3], v[164:165]
	v_add_f64 v[219:220], v[0:1], v[162:163]
	;; [unrolled: 1-line block ×16, first 2 shown]
	ds_load_b128 v[68:71], v4 offset:14336
	ds_load_b128 v[162:165], v4 offset:15360
	scratch_load_b64 v[66:67], off, off offset:64 ; 8-byte Folded Reload
	s_waitcnt lgkmcnt(1)
	v_add_f64 v[249:250], v[2:3], v[70:71]
	v_add_f64 v[251:252], v[0:1], v[68:69]
	s_waitcnt lgkmcnt(0)
	v_add_f64 v[2:3], v[2:3], v[164:165]
	v_add_f64 v[0:1], v[0:1], v[162:163]
	;; [unrolled: 1-line block ×30, first 2 shown]
	v_cvt_f32_f64_e32 v0, v[0:1]
	v_cvt_f32_f64_e32 v1, v[2:3]
	;; [unrolled: 1-line block ×4, first 2 shown]
	s_delay_alu instid0(VALU_DEP_3) | instskip(SKIP_2) | instid1(VALU_DEP_1)
	v_min3_f32 v126, v0, v1, v126
	v_cvt_f32_f64_e32 v0, v[78:79]
	v_cvt_f32_f64_e32 v1, v[80:81]
	v_min3_f32 v125, v0, v1, v125
	v_cvt_f32_f64_e32 v0, v[72:73]
	v_cvt_f32_f64_e32 v1, v[74:75]
	s_delay_alu instid0(VALU_DEP_1) | instskip(SKIP_2) | instid1(VALU_DEP_1)
	v_min3_f32 v124, v0, v1, v124
	v_cvt_f32_f64_e32 v0, v[142:143]
	v_cvt_f32_f64_e32 v1, v[144:145]
	v_min3_f32 v123, v0, v1, v123
	v_cvt_f32_f64_e32 v0, v[146:147]
	v_cvt_f32_f64_e32 v1, v[148:149]
	s_delay_alu instid0(VALU_DEP_1) | instskip(SKIP_2) | instid1(VALU_DEP_1)
	v_min3_f32 v122, v0, v1, v122
	v_cvt_f32_f64_e32 v0, v[150:151]
	v_cvt_f32_f64_e32 v1, v[152:153]
	v_min3_f32 v127, v0, v1, v127
	v_cvt_f32_f64_e32 v0, v[154:155]
	v_cvt_f32_f64_e32 v1, v[156:157]
	s_waitcnt vmcnt(0)
	v_cvt_f32_f64_e32 v16, v[66:67]
	scratch_load_b64 v[66:67], off, off offset:8 ; 8-byte Folded Reload
	v_min3_f32 v120, v0, v1, v120
	v_cvt_f32_f64_e32 v0, v[158:159]
	v_cvt_f32_f64_e32 v1, v[160:161]
	s_waitcnt vmcnt(0)
	v_cvt_f32_f64_e32 v64, v[66:67]
	scratch_load_b64 v[66:67], off, off offset:96 ; 8-byte Folded Reload
	v_min3_f32 v140, v16, v64, v140
	s_waitcnt vmcnt(0)
	v_cvt_f32_f64_e32 v16, v[66:67]
	scratch_load_b64 v[66:67], off, off offset:40 ; 8-byte Folded Reload
	s_waitcnt vmcnt(0)
	v_cvt_f32_f64_e32 v62, v[66:67]
	scratch_load_b64 v[66:67], off, off offset:72 ; 8-byte Folded Reload
	v_min3_f32 v139, v16, v62, v139
	s_waitcnt vmcnt(0)
	v_cvt_f32_f64_e32 v16, v[66:67]
	scratch_load_b64 v[66:67], off, off offset:16 ; 8-byte Folded Reload
	;; [unrolled: 7-line block ×14, first 2 shown]
	s_waitcnt vmcnt(0)
	v_cvt_f32_f64_e32 v28, v[66:67]
	scratch_load_b64 v[66:67], off, off offset:280 ; 8-byte Folded Reload
	v_min3_f32 v134, v16, v28, v134
	v_cvt_f32_f64_e32 v16, v[84:85]
	v_cvt_f32_f64_e32 v28, v[82:83]
	s_delay_alu instid0(VALU_DEP_1) | instskip(SKIP_2) | instid1(VALU_DEP_1)
	v_min3_f32 v99, v16, v28, v99
	v_cvt_f32_f64_e32 v16, v[88:89]
	v_cvt_f32_f64_e32 v28, v[86:87]
	v_min3_f32 v98, v16, v28, v98
	v_cvt_f32_f64_e32 v16, v[92:93]
	v_cvt_f32_f64_e32 v28, v[90:91]
	s_delay_alu instid0(VALU_DEP_1) | instskip(SKIP_2) | instid1(VALU_DEP_1)
	v_min3_f32 v113, v16, v28, v113
	v_cvt_f32_f64_e32 v16, v[96:97]
	v_cvt_f32_f64_e32 v28, v[108:109]
	v_min3_f32 v112, v16, v28, v112
	v_cvt_f32_f64_e32 v16, v[100:101]
	s_waitcnt vmcnt(0)
	v_cvt_f32_f64_e32 v28, v[66:67]
	scratch_load_b64 v[66:67], off, off offset:264 ; 8-byte Folded Reload
	v_min3_f32 v102, v16, v28, v102
	v_cvt_f32_f64_e32 v16, v[104:105]
	s_waitcnt vmcnt(0)
	v_cvt_f32_f64_e32 v28, v[66:67]
	scratch_load_b64 v[66:67], off, off offset:288 ; 8-byte Folded Reload
	v_min3_f32 v103, v16, v28, v103
	s_waitcnt vmcnt(0)
	v_cvt_f32_f64_e32 v16, v[66:67]
	scratch_load_b64 v[66:67], off, off offset:256 ; 8-byte Folded Reload
	s_waitcnt vmcnt(0)
	v_cvt_f32_f64_e32 v28, v[66:67]
	scratch_load_b64 v[66:67], off, off offset:272 ; 8-byte Folded Reload
	v_min3_f32 v107, v16, v28, v107
	s_waitcnt vmcnt(0)
	v_cvt_f32_f64_e32 v16, v[66:67]
	scratch_load_b64 v[66:67], off, off offset:248 ; 8-byte Folded Reload
	s_waitcnt vmcnt(0)
	v_cvt_f32_f64_e32 v28, v[66:67]
	s_delay_alu instid0(VALU_DEP_1) | instskip(SKIP_2) | instid1(VALU_DEP_1)
	v_min3_f32 v106, v16, v28, v106
	v_cvt_f32_f64_e32 v16, v[116:117]
	v_cvt_f32_f64_e32 v28, v[114:115]
	v_min3_f32 v195, v16, v28, v195
	v_cvt_f32_f64_e32 v16, v[50:51]
	v_cvt_f32_f64_e32 v28, v[118:119]
	v_dual_mov_b32 v119, v255 :: v_dual_mov_b32 v62, v54
	v_mov_b32_e32 v54, v58
	s_delay_alu instid0(VALU_DEP_2) | instskip(NEXT) | instid1(VALU_DEP_4)
	v_min3_f32 v119, v0, v1, v119
	v_min3_f32 v191, v16, v28, v191
	v_cvt_f32_f64_e32 v16, v[44:45]
	v_cvt_f32_f64_e32 v28, v[52:53]
	s_delay_alu instid0(VALU_DEP_1) | instskip(SKIP_2) | instid1(VALU_DEP_1)
	v_min3_f32 v57, v16, v28, v57
	v_cvt_f32_f64_e32 v16, v[166:167]
	v_cvt_f32_f64_e32 v28, v[46:47]
	v_min3_f32 v65, v16, v28, v65
	v_cvt_f32_f64_e32 v16, v[170:171]
	v_cvt_f32_f64_e32 v28, v[168:169]
	s_delay_alu instid0(VALU_DEP_1) | instskip(SKIP_2) | instid1(VALU_DEP_1)
	v_min3_f32 v111, v16, v28, v111
	v_cvt_f32_f64_e32 v16, v[174:175]
	v_cvt_f32_f64_e32 v28, v[172:173]
	;; [unrolled: 7-line block ×7, first 2 shown]
	v_min3_f32 v190, v16, v28, v190
	v_cvt_f32_f64_e32 v16, v[219:220]
	v_mov_b32_e32 v219, v240
	v_cvt_f32_f64_e32 v28, v[216:217]
	scratch_load_b32 v216, off, off         ; 4-byte Folded Reload
	v_min3_f32 v219, v4, v5, v219
	v_cvt_f32_f64_e32 v4, v[6:7]
	v_cvt_f32_f64_e32 v5, v[10:11]
	v_min3_f32 v62, v16, v28, v62
	v_cvt_f32_f64_e32 v16, v[223:224]
	v_cvt_f32_f64_e32 v28, v[221:222]
	s_delay_alu instid0(VALU_DEP_4) | instskip(SKIP_2) | instid1(VALU_DEP_4)
	v_min3_f32 v196, v4, v5, v196
	v_cvt_f32_f64_e32 v4, v[8:9]
	v_cvt_f32_f64_e32 v5, v[14:15]
	v_min3_f32 v55, v16, v28, v55
	v_cvt_f32_f64_e32 v16, v[227:228]
	v_cvt_f32_f64_e32 v28, v[225:226]
	s_delay_alu instid0(VALU_DEP_4) | instskip(SKIP_2) | instid1(VALU_DEP_4)
	;; [unrolled: 7-line block ×5, first 2 shown]
	v_min3_f32 v188, v4, v5, v188
	v_cvt_f32_f64_e32 v4, v[68:69]
	v_cvt_f32_f64_e32 v5, v[70:71]
	v_min3_f32 v48, v16, v28, v48
	v_cvt_f32_f64_e32 v16, v[243:244]
	v_cvt_f32_f64_e32 v28, v[241:242]
	v_mov_b32_e32 v242, v237
	v_min3_f32 v128, v4, v5, v128
	s_delay_alu instid0(VALU_DEP_3) | instskip(SKIP_2) | instid1(VALU_DEP_1)
	v_min3_f32 v63, v16, v28, v63
	v_cvt_f32_f64_e32 v16, v[247:248]
	v_cvt_f32_f64_e32 v28, v[245:246]
	v_min3_f32 v242, v16, v28, v242
	v_cvt_f32_f64_e32 v16, v[251:252]
	v_cvt_f32_f64_e32 v28, v[249:250]
	s_delay_alu instid0(VALU_DEP_1)
	v_min3_f32 v238, v16, v28, v238
	s_cbranch_vccz .LBB119_59
; %bb.60:
	s_clause 0x2
	s_load_b32 s4, s[0:1], 0x70
	s_load_b32 s3, s[0:1], 0x58
	s_load_b64 s[0:1], s[0:1], 0x78
	scratch_load_b32 v0, off, off offset:296 ; 4-byte Folded Reload
	s_waitcnt vmcnt(1)
	v_add_nc_u32_e32 v18, s14, v216
	v_dual_mov_b32 v42, v102 :: v_dual_mov_b32 v41, v107
	v_dual_mov_b32 v39, v191 :: v_dual_mov_b32 v36, v61
	v_mov_b32_e32 v38, v111
	s_waitcnt lgkmcnt(0)
	v_mad_i64_i32 v[4:5], null, v18, s3, 0
	s_lshl_b64 s[0:1], s[0:1], 3
	s_delay_alu instid0(SALU_CYCLE_1) | instskip(SKIP_1) | instid1(VALU_DEP_1)
	s_add_u32 s5, s8, s0
	s_addc_u32 s8, s9, s1
	v_lshlrev_b64 v[4:5], 3, v[4:5]
	s_waitcnt vmcnt(0)
	v_add_nc_u32_e32 v12, s18, v0
	v_mad_i64_i32 v[0:1], null, v18, s4, 0
	s_delay_alu instid0(VALU_DEP_2) | instskip(SKIP_1) | instid1(VALU_DEP_3)
	v_ashrrev_i32_e32 v13, 31, v12
	v_add_nc_u32_e32 v2, 8, v12
	v_lshlrev_b64 v[6:7], 3, v[0:1]
	s_delay_alu instid0(VALU_DEP_3) | instskip(NEXT) | instid1(VALU_DEP_3)
	v_lshlrev_b64 v[0:1], 3, v[12:13]
	v_ashrrev_i32_e32 v3, 31, v2
	s_delay_alu instid0(VALU_DEP_3) | instskip(NEXT) | instid1(VALU_DEP_4)
	v_add_co_u32 v19, vcc_lo, s5, v6
	v_add_co_ci_u32_e32 v20, vcc_lo, s8, v7, vcc_lo
	v_add_co_u32 v16, vcc_lo, s6, v4
	v_add_co_ci_u32_e32 v22, vcc_lo, s7, v5, vcc_lo
	v_max_f32_e32 v4, v141, v141
	s_mov_b32 vcc_lo, s2
	s_cbranch_vccz .LBB119_62
; %bb.61:
	s_delay_alu instid0(VALU_DEP_1) | instskip(SKIP_2) | instid1(VALU_DEP_3)
	v_min_f32_e32 v5, 0, v4
	v_add_co_u32 v7, vcc_lo, v19, v0
	v_add_co_ci_u32_e32 v8, vcc_lo, v20, v1, vcc_lo
	v_cvt_f64_f32_e32 v[5:6], v5
	s_mov_b32 s9, 0
	s_mov_b64 s[0:1], 0
	global_store_b64 v[7:8], v[5:6], off
	s_branch .LBB119_63
.LBB119_62:
	s_mov_b32 s9, -1
                                        ; implicit-def: $sgpr0_sgpr1
.LBB119_63:
	v_lshlrev_b64 v[2:3], 3, v[2:3]
	v_mov_b32_e32 v32, v49
	v_mov_b32_e32 v33, v29
	s_and_not1_b32 vcc_lo, exec_lo, s9
	s_cbranch_vccnz .LBB119_65
; %bb.64:
	v_add_co_u32 v5, vcc_lo, v16, v0
	v_add_co_ci_u32_e32 v6, vcc_lo, v22, v1, vcc_lo
	flat_load_b64 v[5:6], v[5:6]
	s_waitcnt vmcnt(0) lgkmcnt(0)
	v_mul_f64 v[5:6], v[5:6], s[10:11]
	s_delay_alu instid0(VALU_DEP_1)
	v_cvt_f32_f64_e32 v5, v[5:6]
	v_add_co_u32 v6, vcc_lo, v19, v0
	v_add_co_ci_u32_e32 v7, vcc_lo, v20, v1, vcc_lo
	v_add_co_u32 v8, vcc_lo, v16, v2
	v_add_co_ci_u32_e32 v9, vcc_lo, v22, v3, vcc_lo
	v_min_f32_e32 v4, v5, v4
	s_delay_alu instid0(VALU_DEP_1)
	v_cvt_f64_f32_e32 v[4:5], v4
	global_store_b64 v[6:7], v[4:5], off
	flat_load_b64 v[4:5], v[8:9]
	s_waitcnt vmcnt(0) lgkmcnt(0)
	v_mul_f64 v[4:5], v[4:5], s[10:11]
	s_branch .LBB119_66
.LBB119_65:
	v_dual_mov_b32 v5, s1 :: v_dual_mov_b32 v4, s0
.LBB119_66:
	s_delay_alu instid0(VALU_DEP_1) | instskip(SKIP_4) | instid1(VALU_DEP_3)
	v_cvt_f32_f64_e32 v4, v[4:5]
	v_dual_max_f32 v5, v140, v140 :: v_dual_max_f32 v8, v139, v139
	v_add_nc_u32_e32 v6, 24, v12
	v_add_co_u32 v13, vcc_lo, v19, v2
	v_add_co_ci_u32_e32 v14, vcc_lo, v20, v3, vcc_lo
	v_ashrrev_i32_e32 v7, 31, v6
	s_mov_b32 vcc_lo, s2
	v_min_f32_e32 v4, v4, v5
	s_delay_alu instid0(VALU_DEP_1) | instskip(SKIP_1) | instid1(VALU_DEP_1)
	v_cvt_f64_f32_e32 v[9:10], v4
	v_add_nc_u32_e32 v4, 16, v12
	v_ashrrev_i32_e32 v5, 31, v4
	s_delay_alu instid0(VALU_DEP_1)
	v_lshlrev_b64 v[4:5], 3, v[4:5]
	global_store_b64 v[13:14], v[9:10], off
	s_cbranch_vccz .LBB119_69
; %bb.67:
	v_min_f32_e32 v9, 0, v8
	v_add_co_u32 v13, vcc_lo, v19, v4
	v_add_co_ci_u32_e32 v14, vcc_lo, v20, v5, vcc_lo
	s_delay_alu instid0(VALU_DEP_3)
	v_cvt_f64_f32_e32 v[9:10], v9
	s_mov_b64 s[0:1], 0
	global_store_b64 v[13:14], v[9:10], off
	v_lshlrev_b64 v[6:7], 3, v[6:7]
	s_cbranch_execz .LBB119_70
; %bb.68:
	v_dual_mov_b32 v9, s1 :: v_dual_mov_b32 v8, s0
	s_branch .LBB119_71
.LBB119_69:
                                        ; implicit-def: $sgpr0_sgpr1
	v_lshlrev_b64 v[6:7], 3, v[6:7]
.LBB119_70:
	v_add_co_u32 v9, vcc_lo, v16, v4
	v_add_co_ci_u32_e32 v10, vcc_lo, v22, v5, vcc_lo
	flat_load_b64 v[9:10], v[9:10]
	s_waitcnt vmcnt(0) lgkmcnt(0)
	v_mul_f64 v[9:10], v[9:10], s[10:11]
	s_delay_alu instid0(VALU_DEP_1)
	v_cvt_f32_f64_e32 v9, v[9:10]
	v_add_co_u32 v10, vcc_lo, v19, v4
	v_add_co_ci_u32_e32 v11, vcc_lo, v20, v5, vcc_lo
	v_add_co_u32 v13, vcc_lo, v16, v6
	v_add_co_ci_u32_e32 v14, vcc_lo, v22, v7, vcc_lo
	v_min_f32_e32 v8, v9, v8
	s_delay_alu instid0(VALU_DEP_1)
	v_cvt_f64_f32_e32 v[8:9], v8
	global_store_b64 v[10:11], v[8:9], off
	flat_load_b64 v[8:9], v[13:14]
	s_waitcnt vmcnt(0) lgkmcnt(0)
	v_mul_f64 v[8:9], v[8:9], s[10:11]
.LBB119_71:
	s_delay_alu instid0(VALU_DEP_1) | instskip(SKIP_4) | instid1(VALU_DEP_4)
	v_cvt_f32_f64_e32 v8, v[8:9]
	v_dual_max_f32 v9, v138, v138 :: v_dual_add_nc_u32 v10, 40, v12
	v_max_f32_e32 v13, v137, v137
	v_add_co_u32 v23, vcc_lo, v19, v6
	v_add_co_ci_u32_e32 v24, vcc_lo, v20, v7, vcc_lo
	v_ashrrev_i32_e32 v11, 31, v10
	s_mov_b32 vcc_lo, s2
	v_min_f32_e32 v8, v8, v9
	s_delay_alu instid0(VALU_DEP_1) | instskip(SKIP_1) | instid1(VALU_DEP_1)
	v_cvt_f64_f32_e32 v[14:15], v8
	v_add_nc_u32_e32 v8, 32, v12
	v_ashrrev_i32_e32 v9, 31, v8
	s_delay_alu instid0(VALU_DEP_1)
	v_lshlrev_b64 v[8:9], 3, v[8:9]
	global_store_b64 v[23:24], v[14:15], off
	s_cbranch_vccz .LBB119_74
; %bb.72:
	v_min_f32_e32 v14, 0, v13
	v_add_co_u32 v23, vcc_lo, v19, v8
	v_add_co_ci_u32_e32 v24, vcc_lo, v20, v9, vcc_lo
	s_delay_alu instid0(VALU_DEP_3)
	v_cvt_f64_f32_e32 v[14:15], v14
	s_mov_b64 s[0:1], 0
	global_store_b64 v[23:24], v[14:15], off
	v_lshlrev_b64 v[10:11], 3, v[10:11]
	s_cbranch_execz .LBB119_75
; %bb.73:
	v_dual_mov_b32 v14, s1 :: v_dual_mov_b32 v13, s0
	s_branch .LBB119_76
.LBB119_74:
                                        ; implicit-def: $sgpr0_sgpr1
	v_lshlrev_b64 v[10:11], 3, v[10:11]
.LBB119_75:
	v_add_co_u32 v14, vcc_lo, v16, v8
	v_add_co_ci_u32_e32 v15, vcc_lo, v22, v9, vcc_lo
	v_add_co_u32 v23, vcc_lo, v19, v8
	v_add_co_ci_u32_e32 v24, vcc_lo, v20, v9, vcc_lo
	flat_load_b64 v[14:15], v[14:15]
	v_add_co_u32 v25, vcc_lo, v16, v10
	v_add_co_ci_u32_e32 v26, vcc_lo, v22, v11, vcc_lo
	s_waitcnt vmcnt(0) lgkmcnt(0)
	v_mul_f64 v[14:15], v[14:15], s[10:11]
	s_delay_alu instid0(VALU_DEP_1) | instskip(NEXT) | instid1(VALU_DEP_1)
	v_cvt_f32_f64_e32 v14, v[14:15]
	v_min_f32_e32 v13, v14, v13
	s_delay_alu instid0(VALU_DEP_1)
	v_cvt_f64_f32_e32 v[13:14], v13
	global_store_b64 v[23:24], v[13:14], off
	flat_load_b64 v[13:14], v[25:26]
	s_waitcnt vmcnt(0) lgkmcnt(0)
	v_mul_f64 v[13:14], v[13:14], s[10:11]
.LBB119_76:
	s_delay_alu instid0(VALU_DEP_1) | instskip(SKIP_4) | instid1(VALU_DEP_3)
	v_cvt_f32_f64_e32 v13, v[13:14]
	v_dual_max_f32 v14, v136, v136 :: v_dual_max_f32 v21, v135, v135
	v_add_nc_u32_e32 v25, 48, v12
	v_add_co_u32 v27, vcc_lo, v19, v10
	v_add_co_ci_u32_e32 v28, vcc_lo, v20, v11, vcc_lo
	v_ashrrev_i32_e32 v26, 31, v25
	s_mov_b32 vcc_lo, s2
	v_dual_min_f32 v13, v13, v14 :: v_dual_add_nc_u32 v14, 56, v12
	s_delay_alu instid0(VALU_DEP_1) | instskip(NEXT) | instid1(VALU_DEP_3)
	v_cvt_f64_f32_e32 v[23:24], v13
	v_lshlrev_b64 v[12:13], 3, v[25:26]
	s_delay_alu instid0(VALU_DEP_3)
	v_ashrrev_i32_e32 v15, 31, v14
	global_store_b64 v[27:28], v[23:24], off
	s_cbranch_vccz .LBB119_79
; %bb.77:
	v_min_f32_e32 v23, 0, v21
	v_add_co_u32 v25, vcc_lo, v19, v12
	v_add_co_ci_u32_e32 v26, vcc_lo, v20, v13, vcc_lo
	s_delay_alu instid0(VALU_DEP_3)
	v_cvt_f64_f32_e32 v[23:24], v23
	s_mov_b64 s[0:1], 0
	global_store_b64 v[25:26], v[23:24], off
	v_lshlrev_b64 v[14:15], 3, v[14:15]
	s_cbranch_execz .LBB119_80
; %bb.78:
	v_dual_mov_b32 v22, s1 :: v_dual_mov_b32 v21, s0
	s_branch .LBB119_81
.LBB119_79:
                                        ; implicit-def: $sgpr0_sgpr1
	v_lshlrev_b64 v[14:15], 3, v[14:15]
.LBB119_80:
	v_add_co_u32 v23, vcc_lo, v16, v12
	v_add_co_ci_u32_e32 v24, vcc_lo, v22, v13, vcc_lo
	v_add_co_u32 v25, vcc_lo, v19, v12
	v_add_co_ci_u32_e32 v26, vcc_lo, v20, v13, vcc_lo
	flat_load_b64 v[23:24], v[23:24]
	s_waitcnt vmcnt(0) lgkmcnt(0)
	v_mul_f64 v[23:24], v[23:24], s[10:11]
	s_delay_alu instid0(VALU_DEP_1) | instskip(NEXT) | instid1(VALU_DEP_1)
	v_cvt_f32_f64_e32 v23, v[23:24]
	v_min_f32_e32 v21, v23, v21
	s_delay_alu instid0(VALU_DEP_1)
	v_cvt_f64_f32_e32 v[23:24], v21
	v_add_co_u32 v21, vcc_lo, v16, v14
	v_add_co_ci_u32_e32 v22, vcc_lo, v22, v15, vcc_lo
	global_store_b64 v[25:26], v[23:24], off
	flat_load_b64 v[21:22], v[21:22]
	s_waitcnt vmcnt(0) lgkmcnt(0)
	v_mul_f64 v[21:22], v[21:22], s[10:11]
.LBB119_81:
	s_delay_alu instid0(VALU_DEP_1) | instskip(SKIP_3) | instid1(VALU_DEP_3)
	v_cvt_f32_f64_e32 v16, v[21:22]
	v_max_f32_e32 v21, v133, v133
	v_add_co_u32 v28, vcc_lo, v19, v14
	v_add_co_ci_u32_e32 v29, vcc_lo, v20, v15, vcc_lo
	v_min_f32_e32 v16, v16, v21
	s_delay_alu instid0(VALU_DEP_1) | instskip(SKIP_1) | instid1(VALU_DEP_1)
	v_cvt_f64_f32_e32 v[24:25], v16
	v_add_nc_u32_e32 v16, 32, v18
	v_mad_i64_i32 v[21:22], null, v16, s4, 0
	v_mad_i64_i32 v[26:27], null, v16, s3, 0
	v_max_f32_e32 v16, v197, v197
	s_delay_alu instid0(VALU_DEP_3) | instskip(NEXT) | instid1(VALU_DEP_3)
	v_lshlrev_b64 v[21:22], 3, v[21:22]
	v_lshlrev_b64 v[26:27], 3, v[26:27]
	s_delay_alu instid0(VALU_DEP_2) | instskip(NEXT) | instid1(VALU_DEP_3)
	v_add_co_u32 v19, vcc_lo, s5, v21
	v_add_co_ci_u32_e32 v20, vcc_lo, s8, v22, vcc_lo
	s_delay_alu instid0(VALU_DEP_3) | instskip(NEXT) | instid1(VALU_DEP_4)
	v_add_co_u32 v21, vcc_lo, s6, v26
	v_add_co_ci_u32_e32 v23, vcc_lo, s7, v27, vcc_lo
	s_mov_b32 vcc_lo, s2
	global_store_b64 v[28:29], v[24:25], off
	s_cbranch_vccz .LBB119_84
; %bb.82:
	v_min_f32_e32 v22, 0, v16
	v_add_co_u32 v26, vcc_lo, v19, v0
	v_add_co_ci_u32_e32 v27, vcc_lo, v20, v1, vcc_lo
	s_delay_alu instid0(VALU_DEP_3)
	v_cvt_f64_f32_e32 v[24:25], v22
	s_mov_b64 s[0:1], 0
	global_store_b64 v[26:27], v[24:25], off
	s_cbranch_execz .LBB119_85
; %bb.83:
	v_dual_mov_b32 v25, s1 :: v_dual_mov_b32 v24, s0
	s_branch .LBB119_86
.LBB119_84:
                                        ; implicit-def: $sgpr0_sgpr1
.LBB119_85:
	v_add_co_u32 v24, vcc_lo, v21, v0
	v_add_co_ci_u32_e32 v25, vcc_lo, v23, v1, vcc_lo
	v_add_co_u32 v26, vcc_lo, v19, v0
	v_add_co_ci_u32_e32 v27, vcc_lo, v20, v1, vcc_lo
	flat_load_b64 v[24:25], v[24:25]
	v_add_co_u32 v28, vcc_lo, v21, v2
	v_add_co_ci_u32_e32 v29, vcc_lo, v23, v3, vcc_lo
	s_waitcnt vmcnt(0) lgkmcnt(0)
	v_mul_f64 v[24:25], v[24:25], s[10:11]
	s_delay_alu instid0(VALU_DEP_1) | instskip(NEXT) | instid1(VALU_DEP_1)
	v_cvt_f32_f64_e32 v22, v[24:25]
	v_min_f32_e32 v16, v22, v16
	s_delay_alu instid0(VALU_DEP_1)
	v_cvt_f64_f32_e32 v[24:25], v16
	global_store_b64 v[26:27], v[24:25], off
	flat_load_b64 v[24:25], v[28:29]
	s_waitcnt vmcnt(0) lgkmcnt(0)
	v_mul_f64 v[24:25], v[24:25], s[10:11]
.LBB119_86:
	s_delay_alu instid0(VALU_DEP_1) | instskip(SKIP_4) | instid1(VALU_DEP_3)
	v_cvt_f32_f64_e32 v16, v[24:25]
	v_max_f32_e32 v22, v189, v189
	v_add_co_u32 v26, vcc_lo, v19, v2
	v_add_co_ci_u32_e32 v27, vcc_lo, v20, v3, vcc_lo
	s_mov_b32 vcc_lo, s2
	v_min_f32_e32 v16, v16, v22
	s_delay_alu instid0(VALU_DEP_1)
	v_cvt_f64_f32_e32 v[24:25], v16
	v_max_f32_e32 v16, v193, v193
	global_store_b64 v[26:27], v[24:25], off
	s_cbranch_vccz .LBB119_89
; %bb.87:
	v_min_f32_e32 v22, 0, v16
	v_add_co_u32 v26, vcc_lo, v19, v4
	v_add_co_ci_u32_e32 v27, vcc_lo, v20, v5, vcc_lo
	s_delay_alu instid0(VALU_DEP_3)
	v_cvt_f64_f32_e32 v[24:25], v22
	s_mov_b64 s[0:1], 0
	global_store_b64 v[26:27], v[24:25], off
	s_cbranch_execz .LBB119_90
; %bb.88:
	v_dual_mov_b32 v25, s1 :: v_dual_mov_b32 v24, s0
	s_branch .LBB119_91
.LBB119_89:
                                        ; implicit-def: $sgpr0_sgpr1
.LBB119_90:
	v_add_co_u32 v24, vcc_lo, v21, v4
	v_add_co_ci_u32_e32 v25, vcc_lo, v23, v5, vcc_lo
	v_add_co_u32 v26, vcc_lo, v19, v4
	v_add_co_ci_u32_e32 v27, vcc_lo, v20, v5, vcc_lo
	flat_load_b64 v[24:25], v[24:25]
	v_add_co_u32 v28, vcc_lo, v21, v6
	v_add_co_ci_u32_e32 v29, vcc_lo, v23, v7, vcc_lo
	s_waitcnt vmcnt(0) lgkmcnt(0)
	v_mul_f64 v[24:25], v[24:25], s[10:11]
	s_delay_alu instid0(VALU_DEP_1) | instskip(NEXT) | instid1(VALU_DEP_1)
	v_cvt_f32_f64_e32 v22, v[24:25]
	v_min_f32_e32 v16, v22, v16
	s_delay_alu instid0(VALU_DEP_1)
	v_cvt_f64_f32_e32 v[24:25], v16
	global_store_b64 v[26:27], v[24:25], off
	flat_load_b64 v[24:25], v[28:29]
	s_waitcnt vmcnt(0) lgkmcnt(0)
	v_mul_f64 v[24:25], v[24:25], s[10:11]
.LBB119_91:
	s_delay_alu instid0(VALU_DEP_1) | instskip(SKIP_4) | instid1(VALU_DEP_3)
	v_cvt_f32_f64_e32 v16, v[24:25]
	v_max_f32_e32 v22, v121, v121
	v_add_co_u32 v26, vcc_lo, v19, v6
	v_add_co_ci_u32_e32 v27, vcc_lo, v20, v7, vcc_lo
	s_mov_b32 vcc_lo, s2
	v_min_f32_e32 v16, v16, v22
	s_delay_alu instid0(VALU_DEP_1)
	v_cvt_f64_f32_e32 v[24:25], v16
	v_max_f32_e32 v16, v17, v17
	global_store_b64 v[26:27], v[24:25], off
	s_cbranch_vccz .LBB119_94
; %bb.92:
	v_min_f32_e32 v17, 0, v16
	v_add_co_u32 v26, vcc_lo, v19, v8
	v_add_co_ci_u32_e32 v27, vcc_lo, v20, v9, vcc_lo
	s_delay_alu instid0(VALU_DEP_3)
	v_cvt_f64_f32_e32 v[24:25], v17
	s_mov_b64 s[0:1], 0
	global_store_b64 v[26:27], v[24:25], off
	s_cbranch_execz .LBB119_95
; %bb.93:
	v_dual_mov_b32 v17, s1 :: v_dual_mov_b32 v16, s0
	s_branch .LBB119_96
.LBB119_94:
                                        ; implicit-def: $sgpr0_sgpr1
.LBB119_95:
	v_add_co_u32 v24, vcc_lo, v21, v8
	v_add_co_ci_u32_e32 v25, vcc_lo, v23, v9, vcc_lo
	flat_load_b64 v[24:25], v[24:25]
	s_waitcnt vmcnt(0) lgkmcnt(0)
	v_mul_f64 v[24:25], v[24:25], s[10:11]
	s_delay_alu instid0(VALU_DEP_1)
	v_cvt_f32_f64_e32 v17, v[24:25]
	v_add_co_u32 v24, vcc_lo, v19, v8
	v_add_co_ci_u32_e32 v25, vcc_lo, v20, v9, vcc_lo
	v_add_co_u32 v26, vcc_lo, v21, v10
	v_add_co_ci_u32_e32 v27, vcc_lo, v23, v11, vcc_lo
	v_min_f32_e32 v16, v17, v16
	s_delay_alu instid0(VALU_DEP_1)
	v_cvt_f64_f32_e32 v[16:17], v16
	global_store_b64 v[24:25], v[16:17], off
	flat_load_b64 v[16:17], v[26:27]
	s_waitcnt vmcnt(0) lgkmcnt(0)
	v_mul_f64 v[16:17], v[16:17], s[10:11]
.LBB119_96:
	s_delay_alu instid0(VALU_DEP_1) | instskip(SKIP_4) | instid1(VALU_DEP_3)
	v_cvt_f32_f64_e32 v16, v[16:17]
	v_max_f32_e32 v17, v218, v218
	v_add_co_u32 v26, vcc_lo, v19, v10
	v_add_co_ci_u32_e32 v27, vcc_lo, v20, v11, vcc_lo
	s_mov_b32 vcc_lo, s2
	v_min_f32_e32 v16, v16, v17
	s_delay_alu instid0(VALU_DEP_1)
	v_cvt_f64_f32_e32 v[24:25], v16
	v_max_f32_e32 v16, v239, v239
	global_store_b64 v[26:27], v[24:25], off
	s_cbranch_vccz .LBB119_99
; %bb.97:
	v_min_f32_e32 v17, 0, v16
	v_add_co_u32 v26, vcc_lo, v19, v12
	v_add_co_ci_u32_e32 v27, vcc_lo, v20, v13, vcc_lo
	s_delay_alu instid0(VALU_DEP_3)
	v_cvt_f64_f32_e32 v[24:25], v17
	s_mov_b64 s[0:1], 0
	global_store_b64 v[26:27], v[24:25], off
	s_cbranch_execz .LBB119_100
; %bb.98:
	v_dual_mov_b32 v17, s1 :: v_dual_mov_b32 v16, s0
	s_branch .LBB119_101
.LBB119_99:
                                        ; implicit-def: $sgpr0_sgpr1
.LBB119_100:
	v_add_co_u32 v24, vcc_lo, v21, v12
	v_add_co_ci_u32_e32 v25, vcc_lo, v23, v13, vcc_lo
	flat_load_b64 v[24:25], v[24:25]
	s_waitcnt vmcnt(0) lgkmcnt(0)
	v_mul_f64 v[24:25], v[24:25], s[10:11]
	s_delay_alu instid0(VALU_DEP_1)
	v_cvt_f32_f64_e32 v17, v[24:25]
	v_add_co_u32 v24, vcc_lo, v19, v12
	v_add_co_ci_u32_e32 v25, vcc_lo, v20, v13, vcc_lo
	v_add_co_u32 v21, vcc_lo, v21, v14
	v_add_co_ci_u32_e32 v22, vcc_lo, v23, v15, vcc_lo
	v_min_f32_e32 v16, v17, v16
	s_delay_alu instid0(VALU_DEP_1)
	v_cvt_f64_f32_e32 v[16:17], v16
	global_store_b64 v[24:25], v[16:17], off
	flat_load_b64 v[16:17], v[21:22]
	s_waitcnt vmcnt(0) lgkmcnt(0)
	v_mul_f64 v[16:17], v[16:17], s[10:11]
.LBB119_101:
	s_delay_alu instid0(VALU_DEP_1) | instskip(SKIP_4) | instid1(VALU_DEP_1)
	v_cvt_f32_f64_e32 v16, v[16:17]
	v_max_f32_e32 v17, v134, v134
	v_add_co_u32 v28, vcc_lo, v19, v14
	v_add_co_ci_u32_e32 v29, vcc_lo, v20, v15, vcc_lo
	v_add_nc_u32_e32 v23, 64, v18
	v_mad_i64_i32 v[21:22], null, v23, s3, 0
	s_delay_alu instid0(VALU_DEP_1) | instskip(SKIP_1) | instid1(VALU_DEP_1)
	v_lshlrev_b64 v[21:22], 3, v[21:22]
	v_min_f32_e32 v16, v16, v17
	v_cvt_f64_f32_e32 v[24:25], v16
	v_mad_i64_i32 v[16:17], null, v23, s4, 0
	s_delay_alu instid0(VALU_DEP_1) | instskip(SKIP_1) | instid1(VALU_DEP_2)
	v_lshlrev_b64 v[26:27], 3, v[16:17]
	v_max_f32_e32 v16, v99, v99
	v_add_co_u32 v19, vcc_lo, s5, v26
	s_delay_alu instid0(VALU_DEP_3)
	v_add_co_ci_u32_e32 v20, vcc_lo, s8, v27, vcc_lo
	v_add_co_u32 v21, vcc_lo, s6, v21
	v_add_co_ci_u32_e32 v23, vcc_lo, s7, v22, vcc_lo
	s_mov_b32 vcc_lo, s2
	global_store_b64 v[28:29], v[24:25], off
	s_cbranch_vccz .LBB119_104
; %bb.102:
	v_min_f32_e32 v17, 0, v16
	v_add_co_u32 v26, vcc_lo, v19, v0
	v_add_co_ci_u32_e32 v27, vcc_lo, v20, v1, vcc_lo
	s_delay_alu instid0(VALU_DEP_3)
	v_cvt_f64_f32_e32 v[24:25], v17
	s_mov_b64 s[0:1], 0
	global_store_b64 v[26:27], v[24:25], off
	s_cbranch_execz .LBB119_105
; %bb.103:
	v_dual_mov_b32 v17, s1 :: v_dual_mov_b32 v16, s0
	s_branch .LBB119_106
.LBB119_104:
                                        ; implicit-def: $sgpr0_sgpr1
.LBB119_105:
	v_add_co_u32 v24, vcc_lo, v21, v0
	v_add_co_ci_u32_e32 v25, vcc_lo, v23, v1, vcc_lo
	flat_load_b64 v[24:25], v[24:25]
	s_waitcnt vmcnt(0) lgkmcnt(0)
	v_mul_f64 v[24:25], v[24:25], s[10:11]
	s_delay_alu instid0(VALU_DEP_1)
	v_cvt_f32_f64_e32 v17, v[24:25]
	v_add_co_u32 v24, vcc_lo, v19, v0
	v_add_co_ci_u32_e32 v25, vcc_lo, v20, v1, vcc_lo
	v_add_co_u32 v26, vcc_lo, v21, v2
	v_add_co_ci_u32_e32 v27, vcc_lo, v23, v3, vcc_lo
	v_min_f32_e32 v16, v17, v16
	s_delay_alu instid0(VALU_DEP_1)
	v_cvt_f64_f32_e32 v[16:17], v16
	global_store_b64 v[24:25], v[16:17], off
	flat_load_b64 v[16:17], v[26:27]
	s_waitcnt vmcnt(0) lgkmcnt(0)
	v_mul_f64 v[16:17], v[16:17], s[10:11]
.LBB119_106:
	s_delay_alu instid0(VALU_DEP_1) | instskip(SKIP_4) | instid1(VALU_DEP_3)
	v_cvt_f32_f64_e32 v16, v[16:17]
	v_max_f32_e32 v17, v98, v98
	v_add_co_u32 v26, vcc_lo, v19, v2
	v_add_co_ci_u32_e32 v27, vcc_lo, v20, v3, vcc_lo
	s_mov_b32 vcc_lo, s2
	v_min_f32_e32 v16, v16, v17
	s_delay_alu instid0(VALU_DEP_1)
	v_cvt_f64_f32_e32 v[24:25], v16
	v_max_f32_e32 v16, v113, v113
	global_store_b64 v[26:27], v[24:25], off
	s_cbranch_vccz .LBB119_109
; %bb.107:
	v_min_f32_e32 v17, 0, v16
	v_add_co_u32 v26, vcc_lo, v19, v4
	v_add_co_ci_u32_e32 v27, vcc_lo, v20, v5, vcc_lo
	s_delay_alu instid0(VALU_DEP_3)
	v_cvt_f64_f32_e32 v[24:25], v17
	s_mov_b64 s[0:1], 0
	global_store_b64 v[26:27], v[24:25], off
	s_cbranch_execz .LBB119_110
; %bb.108:
	v_dual_mov_b32 v17, s1 :: v_dual_mov_b32 v16, s0
	s_branch .LBB119_111
.LBB119_109:
                                        ; implicit-def: $sgpr0_sgpr1
.LBB119_110:
	v_add_co_u32 v24, vcc_lo, v21, v4
	v_add_co_ci_u32_e32 v25, vcc_lo, v23, v5, vcc_lo
	flat_load_b64 v[24:25], v[24:25]
	s_waitcnt vmcnt(0) lgkmcnt(0)
	v_mul_f64 v[24:25], v[24:25], s[10:11]
	s_delay_alu instid0(VALU_DEP_1)
	v_cvt_f32_f64_e32 v17, v[24:25]
	v_add_co_u32 v24, vcc_lo, v19, v4
	v_add_co_ci_u32_e32 v25, vcc_lo, v20, v5, vcc_lo
	v_add_co_u32 v26, vcc_lo, v21, v6
	v_add_co_ci_u32_e32 v27, vcc_lo, v23, v7, vcc_lo
	v_min_f32_e32 v16, v17, v16
	s_delay_alu instid0(VALU_DEP_1)
	v_cvt_f64_f32_e32 v[16:17], v16
	global_store_b64 v[24:25], v[16:17], off
	flat_load_b64 v[16:17], v[26:27]
	s_waitcnt vmcnt(0) lgkmcnt(0)
	v_mul_f64 v[16:17], v[16:17], s[10:11]
.LBB119_111:
	s_delay_alu instid0(VALU_DEP_1) | instskip(SKIP_4) | instid1(VALU_DEP_3)
	v_cvt_f32_f64_e32 v16, v[16:17]
	v_max_f32_e32 v17, v112, v112
	v_add_co_u32 v26, vcc_lo, v19, v6
	v_add_co_ci_u32_e32 v27, vcc_lo, v20, v7, vcc_lo
	s_mov_b32 vcc_lo, s2
	v_min_f32_e32 v16, v16, v17
	s_delay_alu instid0(VALU_DEP_1)
	v_cvt_f64_f32_e32 v[24:25], v16
	v_max_f32_e32 v16, v42, v42
	;; [unrolled: 46-line block ×3, first 2 shown]
	global_store_b64 v[26:27], v[24:25], off
	s_cbranch_vccz .LBB119_119
; %bb.117:
	v_min_f32_e32 v17, 0, v16
	v_add_co_u32 v26, vcc_lo, v19, v12
	v_add_co_ci_u32_e32 v27, vcc_lo, v20, v13, vcc_lo
	s_delay_alu instid0(VALU_DEP_3)
	v_cvt_f64_f32_e32 v[24:25], v17
	s_mov_b64 s[0:1], 0
	global_store_b64 v[26:27], v[24:25], off
	s_cbranch_execz .LBB119_120
; %bb.118:
	v_dual_mov_b32 v17, s1 :: v_dual_mov_b32 v16, s0
	s_branch .LBB119_121
.LBB119_119:
                                        ; implicit-def: $sgpr0_sgpr1
.LBB119_120:
	v_add_co_u32 v24, vcc_lo, v21, v12
	v_add_co_ci_u32_e32 v25, vcc_lo, v23, v13, vcc_lo
	flat_load_b64 v[24:25], v[24:25]
	s_waitcnt vmcnt(0) lgkmcnt(0)
	v_mul_f64 v[24:25], v[24:25], s[10:11]
	s_delay_alu instid0(VALU_DEP_1)
	v_cvt_f32_f64_e32 v17, v[24:25]
	v_add_co_u32 v24, vcc_lo, v19, v12
	v_add_co_ci_u32_e32 v25, vcc_lo, v20, v13, vcc_lo
	v_add_co_u32 v21, vcc_lo, v21, v14
	v_add_co_ci_u32_e32 v22, vcc_lo, v23, v15, vcc_lo
	v_min_f32_e32 v16, v17, v16
	s_delay_alu instid0(VALU_DEP_1)
	v_cvt_f64_f32_e32 v[16:17], v16
	global_store_b64 v[24:25], v[16:17], off
	flat_load_b64 v[16:17], v[21:22]
	s_waitcnt vmcnt(0) lgkmcnt(0)
	v_mul_f64 v[16:17], v[16:17], s[10:11]
.LBB119_121:
	s_delay_alu instid0(VALU_DEP_1) | instskip(SKIP_4) | instid1(VALU_DEP_1)
	v_cvt_f32_f64_e32 v16, v[16:17]
	v_max_f32_e32 v17, v106, v106
	v_add_co_u32 v28, vcc_lo, v19, v14
	v_add_co_ci_u32_e32 v29, vcc_lo, v20, v15, vcc_lo
	v_add_nc_u32_e32 v23, 0x60, v18
	v_mad_i64_i32 v[21:22], null, v23, s3, 0
	s_delay_alu instid0(VALU_DEP_1) | instskip(SKIP_1) | instid1(VALU_DEP_1)
	v_lshlrev_b64 v[21:22], 3, v[21:22]
	v_min_f32_e32 v16, v16, v17
	v_cvt_f64_f32_e32 v[24:25], v16
	v_mad_i64_i32 v[16:17], null, v23, s4, 0
	s_delay_alu instid0(VALU_DEP_1) | instskip(SKIP_1) | instid1(VALU_DEP_2)
	v_lshlrev_b64 v[26:27], 3, v[16:17]
	v_max_f32_e32 v16, v195, v195
	v_add_co_u32 v19, vcc_lo, s5, v26
	s_delay_alu instid0(VALU_DEP_3)
	v_add_co_ci_u32_e32 v20, vcc_lo, s8, v27, vcc_lo
	v_add_co_u32 v21, vcc_lo, s6, v21
	v_add_co_ci_u32_e32 v23, vcc_lo, s7, v22, vcc_lo
	s_mov_b32 vcc_lo, s2
	global_store_b64 v[28:29], v[24:25], off
	s_cbranch_vccz .LBB119_124
; %bb.122:
	v_min_f32_e32 v17, 0, v16
	v_add_co_u32 v26, vcc_lo, v19, v0
	v_add_co_ci_u32_e32 v27, vcc_lo, v20, v1, vcc_lo
	s_delay_alu instid0(VALU_DEP_3)
	v_cvt_f64_f32_e32 v[24:25], v17
	s_mov_b64 s[0:1], 0
	global_store_b64 v[26:27], v[24:25], off
	s_cbranch_execz .LBB119_125
; %bb.123:
	v_dual_mov_b32 v17, s1 :: v_dual_mov_b32 v16, s0
	s_branch .LBB119_126
.LBB119_124:
                                        ; implicit-def: $sgpr0_sgpr1
.LBB119_125:
	v_add_co_u32 v24, vcc_lo, v21, v0
	v_add_co_ci_u32_e32 v25, vcc_lo, v23, v1, vcc_lo
	flat_load_b64 v[24:25], v[24:25]
	s_waitcnt vmcnt(0) lgkmcnt(0)
	v_mul_f64 v[24:25], v[24:25], s[10:11]
	s_delay_alu instid0(VALU_DEP_1)
	v_cvt_f32_f64_e32 v17, v[24:25]
	v_add_co_u32 v24, vcc_lo, v19, v0
	v_add_co_ci_u32_e32 v25, vcc_lo, v20, v1, vcc_lo
	v_add_co_u32 v26, vcc_lo, v21, v2
	v_add_co_ci_u32_e32 v27, vcc_lo, v23, v3, vcc_lo
	v_min_f32_e32 v16, v17, v16
	s_delay_alu instid0(VALU_DEP_1)
	v_cvt_f64_f32_e32 v[16:17], v16
	global_store_b64 v[24:25], v[16:17], off
	flat_load_b64 v[16:17], v[26:27]
	s_waitcnt vmcnt(0) lgkmcnt(0)
	v_mul_f64 v[16:17], v[16:17], s[10:11]
.LBB119_126:
	s_delay_alu instid0(VALU_DEP_1) | instskip(SKIP_4) | instid1(VALU_DEP_3)
	v_cvt_f32_f64_e32 v16, v[16:17]
	v_max_f32_e32 v17, v39, v39
	v_add_co_u32 v26, vcc_lo, v19, v2
	v_add_co_ci_u32_e32 v27, vcc_lo, v20, v3, vcc_lo
	s_mov_b32 vcc_lo, s2
	v_min_f32_e32 v16, v16, v17
	s_delay_alu instid0(VALU_DEP_1)
	v_cvt_f64_f32_e32 v[24:25], v16
	v_max_f32_e32 v16, v57, v57
	global_store_b64 v[26:27], v[24:25], off
	s_cbranch_vccz .LBB119_129
; %bb.127:
	v_min_f32_e32 v17, 0, v16
	v_add_co_u32 v26, vcc_lo, v19, v4
	v_add_co_ci_u32_e32 v27, vcc_lo, v20, v5, vcc_lo
	s_delay_alu instid0(VALU_DEP_3)
	v_cvt_f64_f32_e32 v[24:25], v17
	s_mov_b64 s[0:1], 0
	global_store_b64 v[26:27], v[24:25], off
	s_cbranch_execz .LBB119_130
; %bb.128:
	v_dual_mov_b32 v17, s1 :: v_dual_mov_b32 v16, s0
	s_branch .LBB119_131
.LBB119_129:
                                        ; implicit-def: $sgpr0_sgpr1
.LBB119_130:
	v_add_co_u32 v24, vcc_lo, v21, v4
	v_add_co_ci_u32_e32 v25, vcc_lo, v23, v5, vcc_lo
	flat_load_b64 v[24:25], v[24:25]
	s_waitcnt vmcnt(0) lgkmcnt(0)
	v_mul_f64 v[24:25], v[24:25], s[10:11]
	s_delay_alu instid0(VALU_DEP_1)
	v_cvt_f32_f64_e32 v17, v[24:25]
	v_add_co_u32 v24, vcc_lo, v19, v4
	v_add_co_ci_u32_e32 v25, vcc_lo, v20, v5, vcc_lo
	v_add_co_u32 v26, vcc_lo, v21, v6
	v_add_co_ci_u32_e32 v27, vcc_lo, v23, v7, vcc_lo
	v_min_f32_e32 v16, v17, v16
	s_delay_alu instid0(VALU_DEP_1)
	v_cvt_f64_f32_e32 v[16:17], v16
	global_store_b64 v[24:25], v[16:17], off
	flat_load_b64 v[16:17], v[26:27]
	s_waitcnt vmcnt(0) lgkmcnt(0)
	v_mul_f64 v[16:17], v[16:17], s[10:11]
.LBB119_131:
	s_delay_alu instid0(VALU_DEP_1) | instskip(SKIP_4) | instid1(VALU_DEP_3)
	v_cvt_f32_f64_e32 v16, v[16:17]
	v_max_f32_e32 v17, v65, v65
	v_add_co_u32 v26, vcc_lo, v19, v6
	v_add_co_ci_u32_e32 v27, vcc_lo, v20, v7, vcc_lo
	s_mov_b32 vcc_lo, s2
	v_min_f32_e32 v16, v16, v17
	s_delay_alu instid0(VALU_DEP_1)
	v_cvt_f64_f32_e32 v[24:25], v16
	v_max_f32_e32 v16, v38, v38
	;; [unrolled: 46-line block ×3, first 2 shown]
	global_store_b64 v[26:27], v[24:25], off
	s_cbranch_vccz .LBB119_139
; %bb.137:
	v_min_f32_e32 v17, 0, v16
	v_add_co_u32 v26, vcc_lo, v19, v12
	v_add_co_ci_u32_e32 v27, vcc_lo, v20, v13, vcc_lo
	s_delay_alu instid0(VALU_DEP_3)
	v_cvt_f64_f32_e32 v[24:25], v17
	s_mov_b64 s[0:1], 0
	global_store_b64 v[26:27], v[24:25], off
	s_cbranch_execz .LBB119_140
; %bb.138:
	v_dual_mov_b32 v17, s1 :: v_dual_mov_b32 v16, s0
	s_branch .LBB119_141
.LBB119_139:
                                        ; implicit-def: $sgpr0_sgpr1
.LBB119_140:
	v_add_co_u32 v24, vcc_lo, v21, v12
	v_add_co_ci_u32_e32 v25, vcc_lo, v23, v13, vcc_lo
	flat_load_b64 v[24:25], v[24:25]
	s_waitcnt vmcnt(0) lgkmcnt(0)
	v_mul_f64 v[24:25], v[24:25], s[10:11]
	s_delay_alu instid0(VALU_DEP_1)
	v_cvt_f32_f64_e32 v17, v[24:25]
	v_add_co_u32 v24, vcc_lo, v19, v12
	v_add_co_ci_u32_e32 v25, vcc_lo, v20, v13, vcc_lo
	v_add_co_u32 v21, vcc_lo, v21, v14
	v_add_co_ci_u32_e32 v22, vcc_lo, v23, v15, vcc_lo
	v_min_f32_e32 v16, v17, v16
	s_delay_alu instid0(VALU_DEP_1)
	v_cvt_f64_f32_e32 v[16:17], v16
	global_store_b64 v[24:25], v[16:17], off
	flat_load_b64 v[16:17], v[21:22]
	s_waitcnt vmcnt(0) lgkmcnt(0)
	v_mul_f64 v[16:17], v[16:17], s[10:11]
.LBB119_141:
	s_delay_alu instid0(VALU_DEP_1) | instskip(SKIP_4) | instid1(VALU_DEP_1)
	v_cvt_f32_f64_e32 v16, v[16:17]
	v_max_f32_e32 v17, v60, v60
	v_add_co_u32 v28, vcc_lo, v19, v14
	v_add_co_ci_u32_e32 v29, vcc_lo, v20, v15, vcc_lo
	v_add_nc_u32_e32 v23, 0x80, v18
	v_mad_i64_i32 v[21:22], null, v23, s3, 0
	s_delay_alu instid0(VALU_DEP_1) | instskip(SKIP_1) | instid1(VALU_DEP_1)
	v_lshlrev_b64 v[21:22], 3, v[21:22]
	v_min_f32_e32 v16, v16, v17
	v_cvt_f64_f32_e32 v[24:25], v16
	v_mad_i64_i32 v[16:17], null, v23, s4, 0
	s_delay_alu instid0(VALU_DEP_1) | instskip(SKIP_1) | instid1(VALU_DEP_2)
	v_lshlrev_b64 v[26:27], 3, v[16:17]
	v_max_f32_e32 v16, v77, v77
	v_add_co_u32 v19, vcc_lo, s5, v26
	s_delay_alu instid0(VALU_DEP_3)
	v_add_co_ci_u32_e32 v20, vcc_lo, s8, v27, vcc_lo
	v_add_co_u32 v21, vcc_lo, s6, v21
	v_add_co_ci_u32_e32 v23, vcc_lo, s7, v22, vcc_lo
	s_mov_b32 vcc_lo, s2
	global_store_b64 v[28:29], v[24:25], off
	s_cbranch_vccz .LBB119_144
; %bb.142:
	v_min_f32_e32 v17, 0, v16
	v_add_co_u32 v26, vcc_lo, v19, v0
	v_add_co_ci_u32_e32 v27, vcc_lo, v20, v1, vcc_lo
	s_delay_alu instid0(VALU_DEP_3)
	v_cvt_f64_f32_e32 v[24:25], v17
	s_mov_b64 s[0:1], 0
	global_store_b64 v[26:27], v[24:25], off
	s_cbranch_execz .LBB119_145
; %bb.143:
	v_dual_mov_b32 v17, s1 :: v_dual_mov_b32 v16, s0
	s_branch .LBB119_146
.LBB119_144:
                                        ; implicit-def: $sgpr0_sgpr1
.LBB119_145:
	v_add_co_u32 v24, vcc_lo, v21, v0
	v_add_co_ci_u32_e32 v25, vcc_lo, v23, v1, vcc_lo
	flat_load_b64 v[24:25], v[24:25]
	s_waitcnt vmcnt(0) lgkmcnt(0)
	v_mul_f64 v[24:25], v[24:25], s[10:11]
	s_delay_alu instid0(VALU_DEP_1)
	v_cvt_f32_f64_e32 v17, v[24:25]
	v_add_co_u32 v24, vcc_lo, v19, v0
	v_add_co_ci_u32_e32 v25, vcc_lo, v20, v1, vcc_lo
	v_add_co_u32 v26, vcc_lo, v21, v2
	v_add_co_ci_u32_e32 v27, vcc_lo, v23, v3, vcc_lo
	v_min_f32_e32 v16, v17, v16
	s_delay_alu instid0(VALU_DEP_1)
	v_cvt_f64_f32_e32 v[16:17], v16
	global_store_b64 v[24:25], v[16:17], off
	flat_load_b64 v[16:17], v[26:27]
	s_waitcnt vmcnt(0) lgkmcnt(0)
	v_mul_f64 v[16:17], v[16:17], s[10:11]
.LBB119_146:
	s_delay_alu instid0(VALU_DEP_1) | instskip(SKIP_4) | instid1(VALU_DEP_3)
	v_cvt_f32_f64_e32 v16, v[16:17]
	v_max_f32_e32 v17, v76, v76
	v_add_co_u32 v26, vcc_lo, v19, v2
	v_add_co_ci_u32_e32 v27, vcc_lo, v20, v3, vcc_lo
	s_mov_b32 vcc_lo, s2
	v_min_f32_e32 v16, v16, v17
	s_delay_alu instid0(VALU_DEP_1)
	v_cvt_f64_f32_e32 v[24:25], v16
	v_max_f32_e32 v16, v33, v33
	global_store_b64 v[26:27], v[24:25], off
	s_cbranch_vccz .LBB119_149
; %bb.147:
	v_min_f32_e32 v17, 0, v16
	v_add_co_u32 v26, vcc_lo, v19, v4
	v_add_co_ci_u32_e32 v27, vcc_lo, v20, v5, vcc_lo
	s_delay_alu instid0(VALU_DEP_3)
	v_cvt_f64_f32_e32 v[24:25], v17
	s_mov_b64 s[0:1], 0
	global_store_b64 v[26:27], v[24:25], off
	s_cbranch_execz .LBB119_150
; %bb.148:
	v_dual_mov_b32 v17, s1 :: v_dual_mov_b32 v16, s0
	s_branch .LBB119_151
.LBB119_149:
                                        ; implicit-def: $sgpr0_sgpr1
.LBB119_150:
	v_add_co_u32 v24, vcc_lo, v21, v4
	v_add_co_ci_u32_e32 v25, vcc_lo, v23, v5, vcc_lo
	flat_load_b64 v[24:25], v[24:25]
	s_waitcnt vmcnt(0) lgkmcnt(0)
	v_mul_f64 v[24:25], v[24:25], s[10:11]
	s_delay_alu instid0(VALU_DEP_1)
	v_cvt_f32_f64_e32 v17, v[24:25]
	v_add_co_u32 v24, vcc_lo, v19, v4
	v_add_co_ci_u32_e32 v25, vcc_lo, v20, v5, vcc_lo
	v_add_co_u32 v26, vcc_lo, v21, v6
	v_add_co_ci_u32_e32 v27, vcc_lo, v23, v7, vcc_lo
	v_min_f32_e32 v16, v17, v16
	s_delay_alu instid0(VALU_DEP_1)
	v_cvt_f64_f32_e32 v[16:17], v16
	global_store_b64 v[24:25], v[16:17], off
	flat_load_b64 v[16:17], v[26:27]
	s_waitcnt vmcnt(0) lgkmcnt(0)
	v_mul_f64 v[16:17], v[16:17], s[10:11]
.LBB119_151:
	s_delay_alu instid0(VALU_DEP_1) | instskip(SKIP_4) | instid1(VALU_DEP_3)
	v_cvt_f32_f64_e32 v16, v[16:17]
	v_max_f32_e32 v17, v94, v94
	v_add_co_u32 v26, vcc_lo, v19, v6
	v_add_co_ci_u32_e32 v27, vcc_lo, v20, v7, vcc_lo
	s_mov_b32 vcc_lo, s2
	v_min_f32_e32 v16, v16, v17
	s_delay_alu instid0(VALU_DEP_1)
	v_cvt_f64_f32_e32 v[24:25], v16
	v_max_f32_e32 v16, v194, v194
	;; [unrolled: 46-line block ×3, first 2 shown]
	global_store_b64 v[26:27], v[24:25], off
	s_cbranch_vccz .LBB119_159
; %bb.157:
	v_min_f32_e32 v17, 0, v16
	v_add_co_u32 v26, vcc_lo, v19, v12
	v_add_co_ci_u32_e32 v27, vcc_lo, v20, v13, vcc_lo
	s_delay_alu instid0(VALU_DEP_3)
	v_cvt_f64_f32_e32 v[24:25], v17
	s_mov_b64 s[0:1], 0
	global_store_b64 v[26:27], v[24:25], off
	s_cbranch_execz .LBB119_160
; %bb.158:
	v_dual_mov_b32 v17, s1 :: v_dual_mov_b32 v16, s0
	s_branch .LBB119_161
.LBB119_159:
                                        ; implicit-def: $sgpr0_sgpr1
.LBB119_160:
	v_add_co_u32 v24, vcc_lo, v21, v12
	v_add_co_ci_u32_e32 v25, vcc_lo, v23, v13, vcc_lo
	flat_load_b64 v[24:25], v[24:25]
	s_waitcnt vmcnt(0) lgkmcnt(0)
	v_mul_f64 v[24:25], v[24:25], s[10:11]
	s_delay_alu instid0(VALU_DEP_1)
	v_cvt_f32_f64_e32 v17, v[24:25]
	v_add_co_u32 v24, vcc_lo, v19, v12
	v_add_co_ci_u32_e32 v25, vcc_lo, v20, v13, vcc_lo
	v_add_co_u32 v21, vcc_lo, v21, v14
	v_add_co_ci_u32_e32 v22, vcc_lo, v23, v15, vcc_lo
	v_min_f32_e32 v16, v17, v16
	s_delay_alu instid0(VALU_DEP_1)
	v_cvt_f64_f32_e32 v[16:17], v16
	global_store_b64 v[24:25], v[16:17], off
	flat_load_b64 v[16:17], v[21:22]
	s_waitcnt vmcnt(0) lgkmcnt(0)
	v_mul_f64 v[16:17], v[16:17], s[10:11]
.LBB119_161:
	s_delay_alu instid0(VALU_DEP_1) | instskip(SKIP_4) | instid1(VALU_DEP_1)
	v_cvt_f32_f64_e32 v16, v[16:17]
	v_max_f32_e32 v17, v190, v190
	v_add_co_u32 v28, vcc_lo, v19, v14
	v_add_co_ci_u32_e32 v29, vcc_lo, v20, v15, vcc_lo
	v_add_nc_u32_e32 v23, 0xa0, v18
	v_mad_i64_i32 v[21:22], null, v23, s3, 0
	s_delay_alu instid0(VALU_DEP_1) | instskip(SKIP_1) | instid1(VALU_DEP_1)
	v_lshlrev_b64 v[21:22], 3, v[21:22]
	v_min_f32_e32 v16, v16, v17
	v_cvt_f64_f32_e32 v[24:25], v16
	v_mad_i64_i32 v[16:17], null, v23, s4, 0
	s_delay_alu instid0(VALU_DEP_1) | instskip(SKIP_1) | instid1(VALU_DEP_2)
	v_lshlrev_b64 v[26:27], 3, v[16:17]
	v_max_f32_e32 v16, v62, v62
	v_add_co_u32 v19, vcc_lo, s5, v26
	s_delay_alu instid0(VALU_DEP_3)
	v_add_co_ci_u32_e32 v20, vcc_lo, s8, v27, vcc_lo
	v_add_co_u32 v21, vcc_lo, s6, v21
	v_add_co_ci_u32_e32 v23, vcc_lo, s7, v22, vcc_lo
	s_mov_b32 vcc_lo, s2
	global_store_b64 v[28:29], v[24:25], off
	s_cbranch_vccz .LBB119_164
; %bb.162:
	v_min_f32_e32 v17, 0, v16
	v_add_co_u32 v26, vcc_lo, v19, v0
	v_add_co_ci_u32_e32 v27, vcc_lo, v20, v1, vcc_lo
	s_delay_alu instid0(VALU_DEP_3)
	v_cvt_f64_f32_e32 v[24:25], v17
	s_mov_b64 s[0:1], 0
	global_store_b64 v[26:27], v[24:25], off
	s_cbranch_execz .LBB119_165
; %bb.163:
	v_dual_mov_b32 v17, s1 :: v_dual_mov_b32 v16, s0
	s_branch .LBB119_166
.LBB119_164:
                                        ; implicit-def: $sgpr0_sgpr1
.LBB119_165:
	v_add_co_u32 v24, vcc_lo, v21, v0
	v_add_co_ci_u32_e32 v25, vcc_lo, v23, v1, vcc_lo
	flat_load_b64 v[24:25], v[24:25]
	s_waitcnt vmcnt(0) lgkmcnt(0)
	v_mul_f64 v[24:25], v[24:25], s[10:11]
	s_delay_alu instid0(VALU_DEP_1)
	v_cvt_f32_f64_e32 v17, v[24:25]
	v_add_co_u32 v24, vcc_lo, v19, v0
	v_add_co_ci_u32_e32 v25, vcc_lo, v20, v1, vcc_lo
	v_add_co_u32 v26, vcc_lo, v21, v2
	v_add_co_ci_u32_e32 v27, vcc_lo, v23, v3, vcc_lo
	v_min_f32_e32 v16, v17, v16
	s_delay_alu instid0(VALU_DEP_1)
	v_cvt_f64_f32_e32 v[16:17], v16
	global_store_b64 v[24:25], v[16:17], off
	flat_load_b64 v[16:17], v[26:27]
	s_waitcnt vmcnt(0) lgkmcnt(0)
	v_mul_f64 v[16:17], v[16:17], s[10:11]
.LBB119_166:
	s_delay_alu instid0(VALU_DEP_1) | instskip(SKIP_4) | instid1(VALU_DEP_3)
	v_cvt_f32_f64_e32 v16, v[16:17]
	v_max_f32_e32 v17, v55, v55
	v_add_co_u32 v26, vcc_lo, v19, v2
	v_add_co_ci_u32_e32 v27, vcc_lo, v20, v3, vcc_lo
	s_mov_b32 vcc_lo, s2
	v_min_f32_e32 v16, v16, v17
	s_delay_alu instid0(VALU_DEP_1)
	v_cvt_f64_f32_e32 v[24:25], v16
	v_max_f32_e32 v16, v56, v56
	global_store_b64 v[26:27], v[24:25], off
	s_cbranch_vccz .LBB119_169
; %bb.167:
	v_min_f32_e32 v17, 0, v16
	v_add_co_u32 v26, vcc_lo, v19, v4
	v_add_co_ci_u32_e32 v27, vcc_lo, v20, v5, vcc_lo
	s_delay_alu instid0(VALU_DEP_3)
	v_cvt_f64_f32_e32 v[24:25], v17
	s_mov_b32 s0, 0
	global_store_b64 v[26:27], v[24:25], off
	s_cbranch_execz .LBB119_170
; %bb.168:
	v_mov_b32_e32 v16, s0
	s_branch .LBB119_171
.LBB119_169:
	s_mov_b32 s0, -1
.LBB119_170:
	v_add_co_u32 v24, vcc_lo, v21, v4
	v_add_co_ci_u32_e32 v25, vcc_lo, v23, v5, vcc_lo
	flat_load_b64 v[24:25], v[24:25]
	s_waitcnt vmcnt(0) lgkmcnt(0)
	v_mul_f64 v[24:25], v[24:25], s[10:11]
	s_delay_alu instid0(VALU_DEP_1)
	v_cvt_f32_f64_e32 v17, v[24:25]
	v_add_co_u32 v24, vcc_lo, v19, v4
	v_add_co_ci_u32_e32 v25, vcc_lo, v20, v5, vcc_lo
	v_add_co_u32 v26, vcc_lo, v21, v6
	v_add_co_ci_u32_e32 v27, vcc_lo, v23, v7, vcc_lo
	v_min_f32_e32 v16, v17, v16
	s_delay_alu instid0(VALU_DEP_1) | instskip(SKIP_4) | instid1(VALU_DEP_1)
	v_cvt_f64_f32_e32 v[16:17], v16
	global_store_b64 v[24:25], v[16:17], off
	flat_load_b64 v[16:17], v[26:27]
	s_waitcnt vmcnt(0) lgkmcnt(0)
	v_mul_f64 v[16:17], v[16:17], s[10:11]
	v_cvt_f32_f64_e32 v16, v[16:17]
.LBB119_171:
	s_delay_alu instid0(VALU_DEP_1) | instskip(SKIP_2) | instid1(VALU_DEP_3)
	v_dual_max_f32 v17, v59, v59 :: v_dual_max_f32 v16, v16, v16
	v_add_co_u32 v26, vcc_lo, v19, v6
	v_add_co_ci_u32_e32 v27, vcc_lo, v20, v7, vcc_lo
	v_min_f32_e32 v16, v16, v17
	s_mov_b32 vcc_lo, s2
	s_delay_alu instid0(VALU_DEP_1)
	v_cvt_f64_f32_e32 v[24:25], v16
	v_max_f32_e32 v16, v32, v32
	global_store_b64 v[26:27], v[24:25], off
	s_cbranch_vccz .LBB119_174
; %bb.172:
	v_min_f32_e32 v17, 0, v16
	v_add_co_u32 v26, vcc_lo, v19, v8
	v_add_co_ci_u32_e32 v27, vcc_lo, v20, v9, vcc_lo
	s_delay_alu instid0(VALU_DEP_3)
	v_cvt_f64_f32_e32 v[24:25], v17
	s_mov_b32 s0, 0
	global_store_b64 v[26:27], v[24:25], off
	s_cbranch_execz .LBB119_175
; %bb.173:
	v_mov_b32_e32 v16, s0
	s_branch .LBB119_176
.LBB119_174:
	s_mov_b32 s0, -1
.LBB119_175:
	v_add_co_u32 v24, vcc_lo, v21, v8
	v_add_co_ci_u32_e32 v25, vcc_lo, v23, v9, vcc_lo
	flat_load_b64 v[24:25], v[24:25]
	s_waitcnt vmcnt(0) lgkmcnt(0)
	v_mul_f64 v[24:25], v[24:25], s[10:11]
	s_delay_alu instid0(VALU_DEP_1)
	v_cvt_f32_f64_e32 v17, v[24:25]
	v_add_co_u32 v24, vcc_lo, v19, v8
	v_add_co_ci_u32_e32 v25, vcc_lo, v20, v9, vcc_lo
	v_add_co_u32 v26, vcc_lo, v21, v10
	v_add_co_ci_u32_e32 v27, vcc_lo, v23, v11, vcc_lo
	v_min_f32_e32 v16, v17, v16
	s_delay_alu instid0(VALU_DEP_1) | instskip(SKIP_4) | instid1(VALU_DEP_1)
	v_cvt_f64_f32_e32 v[16:17], v16
	global_store_b64 v[24:25], v[16:17], off
	flat_load_b64 v[16:17], v[26:27]
	s_waitcnt vmcnt(0) lgkmcnt(0)
	v_mul_f64 v[16:17], v[16:17], s[10:11]
	v_cvt_f32_f64_e32 v16, v[16:17]
.LBB119_176:
	v_max_f32_e32 v17, v48, v48
	s_delay_alu instid0(VALU_DEP_2) | instskip(SKIP_2) | instid1(VALU_DEP_3)
	v_max_f32_e32 v16, v16, v16
	v_add_co_u32 v26, vcc_lo, v19, v10
	v_add_co_ci_u32_e32 v27, vcc_lo, v20, v11, vcc_lo
	v_min_f32_e32 v16, v16, v17
	s_mov_b32 vcc_lo, s2
	s_delay_alu instid0(VALU_DEP_1)
	v_cvt_f64_f32_e32 v[24:25], v16
	v_max_f32_e32 v16, v63, v63
	global_store_b64 v[26:27], v[24:25], off
	s_cbranch_vccz .LBB119_179
; %bb.177:
	v_min_f32_e32 v17, 0, v16
	v_add_co_u32 v26, vcc_lo, v19, v12
	v_add_co_ci_u32_e32 v27, vcc_lo, v20, v13, vcc_lo
	s_delay_alu instid0(VALU_DEP_3)
	v_cvt_f64_f32_e32 v[24:25], v17
	s_mov_b32 s0, 0
	global_store_b64 v[26:27], v[24:25], off
	s_cbranch_execz .LBB119_180
; %bb.178:
	v_mov_b32_e32 v16, s0
	s_branch .LBB119_181
.LBB119_179:
	s_mov_b32 s0, -1
.LBB119_180:
	v_add_co_u32 v24, vcc_lo, v21, v12
	v_add_co_ci_u32_e32 v25, vcc_lo, v23, v13, vcc_lo
	flat_load_b64 v[24:25], v[24:25]
	s_waitcnt vmcnt(0) lgkmcnt(0)
	v_mul_f64 v[24:25], v[24:25], s[10:11]
	s_delay_alu instid0(VALU_DEP_1)
	v_cvt_f32_f64_e32 v17, v[24:25]
	v_add_co_u32 v24, vcc_lo, v19, v12
	v_add_co_ci_u32_e32 v25, vcc_lo, v20, v13, vcc_lo
	v_add_co_u32 v21, vcc_lo, v21, v14
	v_add_co_ci_u32_e32 v22, vcc_lo, v23, v15, vcc_lo
	v_min_f32_e32 v16, v17, v16
	s_delay_alu instid0(VALU_DEP_1) | instskip(SKIP_4) | instid1(VALU_DEP_1)
	v_cvt_f64_f32_e32 v[16:17], v16
	global_store_b64 v[24:25], v[16:17], off
	flat_load_b64 v[16:17], v[21:22]
	s_waitcnt vmcnt(0) lgkmcnt(0)
	v_mul_f64 v[16:17], v[16:17], s[10:11]
	v_cvt_f32_f64_e32 v16, v[16:17]
.LBB119_181:
	s_delay_alu instid0(VALU_DEP_1) | instskip(SKIP_2) | instid1(VALU_DEP_3)
	v_dual_max_f32 v17, v242, v242 :: v_dual_max_f32 v16, v16, v16
	v_add_co_u32 v26, vcc_lo, v19, v14
	v_add_co_ci_u32_e32 v27, vcc_lo, v20, v15, vcc_lo
	v_dual_min_f32 v16, v16, v17 :: v_dual_add_nc_u32 v21, 0xc0, v18
	s_delay_alu instid0(VALU_DEP_1) | instskip(NEXT) | instid1(VALU_DEP_2)
	v_cvt_f64_f32_e32 v[22:23], v16
	v_mad_i64_i32 v[16:17], null, v21, s4, 0
	v_mad_i64_i32 v[24:25], null, v21, s3, 0
	v_max_f32_e32 v21, v238, v238
	s_delay_alu instid0(VALU_DEP_3) | instskip(NEXT) | instid1(VALU_DEP_3)
	v_lshlrev_b64 v[16:17], 3, v[16:17]
	v_lshlrev_b64 v[19:20], 3, v[24:25]
	s_delay_alu instid0(VALU_DEP_2) | instskip(NEXT) | instid1(VALU_DEP_3)
	v_add_co_u32 v16, vcc_lo, s5, v16
	v_add_co_ci_u32_e32 v17, vcc_lo, s8, v17, vcc_lo
	s_delay_alu instid0(VALU_DEP_3) | instskip(NEXT) | instid1(VALU_DEP_4)
	v_add_co_u32 v19, vcc_lo, s6, v19
	v_add_co_ci_u32_e32 v20, vcc_lo, s7, v20, vcc_lo
	s_mov_b32 vcc_lo, s2
	global_store_b64 v[26:27], v[22:23], off
	s_cbranch_vccz .LBB119_184
; %bb.182:
	v_min_f32_e32 v22, 0, v21
	v_add_co_u32 v24, vcc_lo, v16, v0
	v_add_co_ci_u32_e32 v25, vcc_lo, v17, v1, vcc_lo
	s_delay_alu instid0(VALU_DEP_3)
	v_cvt_f64_f32_e32 v[22:23], v22
	s_mov_b32 s0, 0
	global_store_b64 v[24:25], v[22:23], off
	s_cbranch_execz .LBB119_185
; %bb.183:
	v_mov_b32_e32 v21, s0
	s_branch .LBB119_186
.LBB119_184:
	s_mov_b32 s0, -1
.LBB119_185:
	v_add_co_u32 v22, vcc_lo, v19, v0
	v_add_co_ci_u32_e32 v23, vcc_lo, v20, v1, vcc_lo
	flat_load_b64 v[22:23], v[22:23]
	s_waitcnt vmcnt(0) lgkmcnt(0)
	v_mul_f64 v[22:23], v[22:23], s[10:11]
	s_delay_alu instid0(VALU_DEP_1)
	v_cvt_f32_f64_e32 v22, v[22:23]
	v_add_co_u32 v23, vcc_lo, v16, v0
	v_add_co_ci_u32_e32 v24, vcc_lo, v17, v1, vcc_lo
	v_add_co_u32 v25, vcc_lo, v19, v2
	v_add_co_ci_u32_e32 v26, vcc_lo, v20, v3, vcc_lo
	v_min_f32_e32 v21, v22, v21
	s_delay_alu instid0(VALU_DEP_1) | instskip(SKIP_4) | instid1(VALU_DEP_1)
	v_cvt_f64_f32_e32 v[21:22], v21
	global_store_b64 v[23:24], v[21:22], off
	flat_load_b64 v[21:22], v[25:26]
	s_waitcnt vmcnt(0) lgkmcnt(0)
	v_mul_f64 v[21:22], v[21:22], s[10:11]
	v_cvt_f32_f64_e32 v21, v[21:22]
.LBB119_186:
	s_delay_alu instid0(VALU_DEP_1) | instskip(SKIP_2) | instid1(VALU_DEP_3)
	v_dual_max_f32 v22, v219, v219 :: v_dual_max_f32 v21, v21, v21
	v_add_co_u32 v24, vcc_lo, v16, v2
	v_add_co_ci_u32_e32 v25, vcc_lo, v17, v3, vcc_lo
	v_min_f32_e32 v21, v21, v22
	s_mov_b32 vcc_lo, s2
	s_delay_alu instid0(VALU_DEP_1)
	v_cvt_f64_f32_e32 v[22:23], v21
	v_max_f32_e32 v21, v196, v196
	global_store_b64 v[24:25], v[22:23], off
	s_cbranch_vccz .LBB119_189
; %bb.187:
	v_min_f32_e32 v22, 0, v21
	v_add_co_u32 v24, vcc_lo, v16, v4
	v_add_co_ci_u32_e32 v25, vcc_lo, v17, v5, vcc_lo
	s_delay_alu instid0(VALU_DEP_3)
	v_cvt_f64_f32_e32 v[22:23], v22
	s_mov_b32 s0, 0
	global_store_b64 v[24:25], v[22:23], off
	s_cbranch_execz .LBB119_190
; %bb.188:
	v_mov_b32_e32 v21, s0
	s_branch .LBB119_191
.LBB119_189:
	s_mov_b32 s0, -1
.LBB119_190:
	v_add_co_u32 v22, vcc_lo, v19, v4
	v_add_co_ci_u32_e32 v23, vcc_lo, v20, v5, vcc_lo
	flat_load_b64 v[22:23], v[22:23]
	s_waitcnt vmcnt(0) lgkmcnt(0)
	v_mul_f64 v[22:23], v[22:23], s[10:11]
	s_delay_alu instid0(VALU_DEP_1)
	v_cvt_f32_f64_e32 v22, v[22:23]
	v_add_co_u32 v23, vcc_lo, v16, v4
	v_add_co_ci_u32_e32 v24, vcc_lo, v17, v5, vcc_lo
	v_add_co_u32 v25, vcc_lo, v19, v6
	v_add_co_ci_u32_e32 v26, vcc_lo, v20, v7, vcc_lo
	v_min_f32_e32 v21, v22, v21
	s_delay_alu instid0(VALU_DEP_1) | instskip(SKIP_4) | instid1(VALU_DEP_1)
	v_cvt_f64_f32_e32 v[21:22], v21
	global_store_b64 v[23:24], v[21:22], off
	flat_load_b64 v[21:22], v[25:26]
	s_waitcnt vmcnt(0) lgkmcnt(0)
	v_mul_f64 v[21:22], v[21:22], s[10:11]
	v_cvt_f32_f64_e32 v21, v[21:22]
.LBB119_191:
	s_delay_alu instid0(VALU_DEP_1) | instskip(SKIP_2) | instid1(VALU_DEP_3)
	v_dual_max_f32 v22, v130, v130 :: v_dual_max_f32 v21, v21, v21
	v_add_co_u32 v24, vcc_lo, v16, v6
	v_add_co_ci_u32_e32 v25, vcc_lo, v17, v7, vcc_lo
	v_min_f32_e32 v21, v21, v22
	s_mov_b32 vcc_lo, s2
	s_delay_alu instid0(VALU_DEP_1)
	v_cvt_f64_f32_e32 v[22:23], v21
	v_max_f32_e32 v21, v192, v192
	global_store_b64 v[24:25], v[22:23], off
	s_cbranch_vccz .LBB119_194
; %bb.192:
	v_min_f32_e32 v22, 0, v21
	v_add_co_u32 v24, vcc_lo, v16, v8
	v_add_co_ci_u32_e32 v25, vcc_lo, v17, v9, vcc_lo
	s_delay_alu instid0(VALU_DEP_3)
	v_cvt_f64_f32_e32 v[22:23], v22
	s_mov_b32 s0, 0
	global_store_b64 v[24:25], v[22:23], off
	s_cbranch_execz .LBB119_195
; %bb.193:
	v_mov_b32_e32 v21, s0
	s_branch .LBB119_196
.LBB119_194:
	s_mov_b32 s0, -1
.LBB119_195:
	v_add_co_u32 v22, vcc_lo, v19, v8
	v_add_co_ci_u32_e32 v23, vcc_lo, v20, v9, vcc_lo
	flat_load_b64 v[22:23], v[22:23]
	s_waitcnt vmcnt(0) lgkmcnt(0)
	v_mul_f64 v[22:23], v[22:23], s[10:11]
	s_delay_alu instid0(VALU_DEP_1)
	v_cvt_f32_f64_e32 v22, v[22:23]
	v_add_co_u32 v23, vcc_lo, v16, v8
	v_add_co_ci_u32_e32 v24, vcc_lo, v17, v9, vcc_lo
	v_add_co_u32 v25, vcc_lo, v19, v10
	v_add_co_ci_u32_e32 v26, vcc_lo, v20, v11, vcc_lo
	v_min_f32_e32 v21, v22, v21
	s_delay_alu instid0(VALU_DEP_1) | instskip(SKIP_4) | instid1(VALU_DEP_1)
	v_cvt_f64_f32_e32 v[21:22], v21
	global_store_b64 v[23:24], v[21:22], off
	flat_load_b64 v[21:22], v[25:26]
	s_waitcnt vmcnt(0) lgkmcnt(0)
	v_mul_f64 v[21:22], v[21:22], s[10:11]
	v_cvt_f32_f64_e32 v21, v[21:22]
.LBB119_196:
	v_max_f32_e32 v22, v129, v129
	s_delay_alu instid0(VALU_DEP_2) | instskip(SKIP_2) | instid1(VALU_DEP_3)
	v_max_f32_e32 v21, v21, v21
	v_add_co_u32 v24, vcc_lo, v16, v10
	v_add_co_ci_u32_e32 v25, vcc_lo, v17, v11, vcc_lo
	v_min_f32_e32 v21, v21, v22
	s_mov_b32 vcc_lo, s2
	s_delay_alu instid0(VALU_DEP_1)
	v_cvt_f64_f32_e32 v[22:23], v21
	v_max_f32_e32 v21, v188, v188
	global_store_b64 v[24:25], v[22:23], off
	s_cbranch_vccz .LBB119_199
; %bb.197:
	v_min_f32_e32 v22, 0, v21
	v_add_co_u32 v24, vcc_lo, v16, v12
	v_add_co_ci_u32_e32 v25, vcc_lo, v17, v13, vcc_lo
	s_delay_alu instid0(VALU_DEP_3)
	v_cvt_f64_f32_e32 v[22:23], v22
	s_mov_b32 s0, 0
	global_store_b64 v[24:25], v[22:23], off
	s_cbranch_execz .LBB119_200
; %bb.198:
	v_mov_b32_e32 v19, s0
	s_branch .LBB119_201
.LBB119_199:
	s_mov_b32 s0, -1
.LBB119_200:
	v_add_co_u32 v22, vcc_lo, v19, v12
	v_add_co_ci_u32_e32 v23, vcc_lo, v20, v13, vcc_lo
	flat_load_b64 v[22:23], v[22:23]
	s_waitcnt vmcnt(0) lgkmcnt(0)
	v_mul_f64 v[22:23], v[22:23], s[10:11]
	s_delay_alu instid0(VALU_DEP_1)
	v_cvt_f32_f64_e32 v22, v[22:23]
	v_add_co_u32 v23, vcc_lo, v16, v12
	v_add_co_ci_u32_e32 v24, vcc_lo, v17, v13, vcc_lo
	v_add_co_u32 v19, vcc_lo, v19, v14
	v_add_co_ci_u32_e32 v20, vcc_lo, v20, v15, vcc_lo
	v_min_f32_e32 v21, v22, v21
	s_delay_alu instid0(VALU_DEP_1) | instskip(SKIP_4) | instid1(VALU_DEP_1)
	v_cvt_f64_f32_e32 v[21:22], v21
	global_store_b64 v[23:24], v[21:22], off
	flat_load_b64 v[19:20], v[19:20]
	s_waitcnt vmcnt(0) lgkmcnt(0)
	v_mul_f64 v[19:20], v[19:20], s[10:11]
	v_cvt_f32_f64_e32 v19, v[19:20]
.LBB119_201:
	s_delay_alu instid0(VALU_DEP_1) | instskip(SKIP_2) | instid1(VALU_DEP_3)
	v_dual_max_f32 v20, v128, v128 :: v_dual_max_f32 v19, v19, v19
	v_add_co_u32 v25, vcc_lo, v16, v14
	v_add_co_ci_u32_e32 v26, vcc_lo, v17, v15, vcc_lo
	v_dual_min_f32 v19, v19, v20 :: v_dual_add_nc_u32 v20, 0xe0, v18
	s_delay_alu instid0(VALU_DEP_1) | instskip(NEXT) | instid1(VALU_DEP_2)
	v_cvt_f64_f32_e32 v[21:22], v19
	v_mad_i64_i32 v[18:19], null, v20, s4, 0
	v_mad_i64_i32 v[23:24], null, v20, s3, 0
	v_max_f32_e32 v20, v126, v126
	s_delay_alu instid0(VALU_DEP_3) | instskip(NEXT) | instid1(VALU_DEP_3)
	v_lshlrev_b64 v[18:19], 3, v[18:19]
	v_lshlrev_b64 v[23:24], 3, v[23:24]
	s_delay_alu instid0(VALU_DEP_2) | instskip(NEXT) | instid1(VALU_DEP_3)
	v_add_co_u32 v16, vcc_lo, s5, v18
	v_add_co_ci_u32_e32 v17, vcc_lo, s8, v19, vcc_lo
	s_delay_alu instid0(VALU_DEP_3) | instskip(NEXT) | instid1(VALU_DEP_4)
	v_add_co_u32 v18, vcc_lo, s6, v23
	v_add_co_ci_u32_e32 v19, vcc_lo, s7, v24, vcc_lo
	s_mov_b32 vcc_lo, s2
	global_store_b64 v[25:26], v[21:22], off
	s_cbranch_vccz .LBB119_204
; %bb.202:
	v_min_f32_e32 v21, 0, v20
	v_add_co_u32 v23, vcc_lo, v16, v0
	v_add_co_ci_u32_e32 v24, vcc_lo, v17, v1, vcc_lo
	s_delay_alu instid0(VALU_DEP_3)
	v_cvt_f64_f32_e32 v[21:22], v21
	s_mov_b32 s0, 0
	global_store_b64 v[23:24], v[21:22], off
	s_cbranch_execz .LBB119_205
; %bb.203:
	v_mov_b32_e32 v0, s0
	s_branch .LBB119_206
.LBB119_204:
	s_mov_b32 s0, -1
.LBB119_205:
	v_add_co_u32 v21, vcc_lo, v18, v0
	v_add_co_ci_u32_e32 v22, vcc_lo, v19, v1, vcc_lo
	v_add_co_u32 v0, vcc_lo, v16, v0
	v_add_co_ci_u32_e32 v1, vcc_lo, v17, v1, vcc_lo
	flat_load_b64 v[21:22], v[21:22]
	s_waitcnt vmcnt(0) lgkmcnt(0)
	v_mul_f64 v[21:22], v[21:22], s[10:11]
	s_delay_alu instid0(VALU_DEP_1) | instskip(SKIP_2) | instid1(VALU_DEP_3)
	v_cvt_f32_f64_e32 v21, v[21:22]
	v_add_co_u32 v22, vcc_lo, v18, v2
	v_add_co_ci_u32_e32 v23, vcc_lo, v19, v3, vcc_lo
	v_min_f32_e32 v20, v21, v20
	s_delay_alu instid0(VALU_DEP_1) | instskip(SKIP_4) | instid1(VALU_DEP_1)
	v_cvt_f64_f32_e32 v[20:21], v20
	global_store_b64 v[0:1], v[20:21], off
	flat_load_b64 v[0:1], v[22:23]
	s_waitcnt vmcnt(0) lgkmcnt(0)
	v_mul_f64 v[0:1], v[0:1], s[10:11]
	v_cvt_f32_f64_e32 v0, v[0:1]
.LBB119_206:
	s_delay_alu instid0(VALU_DEP_1) | instskip(NEXT) | instid1(VALU_DEP_1)
	v_dual_max_f32 v1, v125, v125 :: v_dual_max_f32 v0, v0, v0
	v_min_f32_e32 v0, v0, v1
	v_add_co_u32 v1, vcc_lo, v16, v2
	v_add_co_ci_u32_e32 v2, vcc_lo, v17, v3, vcc_lo
	s_delay_alu instid0(VALU_DEP_3)
	v_cvt_f64_f32_e32 v[20:21], v0
	v_max_f32_e32 v0, v124, v124
	s_mov_b32 vcc_lo, s2
	global_store_b64 v[1:2], v[20:21], off
	s_cbranch_vccz .LBB119_209
; %bb.207:
	v_min_f32_e32 v1, 0, v0
	v_add_co_u32 v20, vcc_lo, v16, v4
	v_add_co_ci_u32_e32 v21, vcc_lo, v17, v5, vcc_lo
	s_delay_alu instid0(VALU_DEP_3)
	v_cvt_f64_f32_e32 v[1:2], v1
	s_mov_b32 s0, 0
	global_store_b64 v[20:21], v[1:2], off
	s_cbranch_execz .LBB119_210
; %bb.208:
	v_mov_b32_e32 v0, s0
	s_branch .LBB119_211
.LBB119_209:
	s_mov_b32 s0, -1
.LBB119_210:
	v_add_co_u32 v1, vcc_lo, v18, v4
	v_add_co_ci_u32_e32 v2, vcc_lo, v19, v5, vcc_lo
	flat_load_b64 v[1:2], v[1:2]
	s_waitcnt vmcnt(0) lgkmcnt(0)
	v_mul_f64 v[1:2], v[1:2], s[10:11]
	s_delay_alu instid0(VALU_DEP_1)
	v_cvt_f32_f64_e32 v1, v[1:2]
	v_add_co_u32 v2, vcc_lo, v16, v4
	v_add_co_ci_u32_e32 v3, vcc_lo, v17, v5, vcc_lo
	v_add_co_u32 v4, vcc_lo, v18, v6
	v_add_co_ci_u32_e32 v5, vcc_lo, v19, v7, vcc_lo
	v_min_f32_e32 v0, v1, v0
	s_delay_alu instid0(VALU_DEP_1) | instskip(SKIP_4) | instid1(VALU_DEP_1)
	v_cvt_f64_f32_e32 v[0:1], v0
	global_store_b64 v[2:3], v[0:1], off
	flat_load_b64 v[0:1], v[4:5]
	s_waitcnt vmcnt(0) lgkmcnt(0)
	v_mul_f64 v[0:1], v[0:1], s[10:11]
	v_cvt_f32_f64_e32 v0, v[0:1]
.LBB119_211:
	s_delay_alu instid0(VALU_DEP_1) | instskip(SKIP_2) | instid1(VALU_DEP_3)
	v_dual_max_f32 v1, v123, v123 :: v_dual_max_f32 v0, v0, v0
	v_add_co_u32 v3, vcc_lo, v16, v6
	v_add_co_ci_u32_e32 v4, vcc_lo, v17, v7, vcc_lo
	v_min_f32_e32 v0, v0, v1
	s_mov_b32 vcc_lo, s2
	s_delay_alu instid0(VALU_DEP_1)
	v_cvt_f64_f32_e32 v[1:2], v0
	v_max_f32_e32 v0, v122, v122
	global_store_b64 v[3:4], v[1:2], off
	s_cbranch_vccz .LBB119_214
; %bb.212:
	v_min_f32_e32 v1, 0, v0
	v_add_co_u32 v3, vcc_lo, v16, v8
	v_add_co_ci_u32_e32 v4, vcc_lo, v17, v9, vcc_lo
	s_delay_alu instid0(VALU_DEP_3)
	v_cvt_f64_f32_e32 v[1:2], v1
	s_mov_b32 s0, 0
	global_store_b64 v[3:4], v[1:2], off
	s_cbranch_execz .LBB119_215
; %bb.213:
	v_mov_b32_e32 v0, s0
	s_branch .LBB119_216
.LBB119_214:
	s_mov_b32 s0, -1
.LBB119_215:
	v_add_co_u32 v1, vcc_lo, v18, v8
	v_add_co_ci_u32_e32 v2, vcc_lo, v19, v9, vcc_lo
	flat_load_b64 v[1:2], v[1:2]
	s_waitcnt vmcnt(0) lgkmcnt(0)
	v_mul_f64 v[1:2], v[1:2], s[10:11]
	s_delay_alu instid0(VALU_DEP_1)
	v_cvt_f32_f64_e32 v1, v[1:2]
	v_add_co_u32 v2, vcc_lo, v16, v8
	v_add_co_ci_u32_e32 v3, vcc_lo, v17, v9, vcc_lo
	v_add_co_u32 v4, vcc_lo, v18, v10
	v_add_co_ci_u32_e32 v5, vcc_lo, v19, v11, vcc_lo
	v_min_f32_e32 v0, v1, v0
	s_delay_alu instid0(VALU_DEP_1) | instskip(SKIP_4) | instid1(VALU_DEP_1)
	v_cvt_f64_f32_e32 v[0:1], v0
	global_store_b64 v[2:3], v[0:1], off
	flat_load_b64 v[0:1], v[4:5]
	s_waitcnt vmcnt(0) lgkmcnt(0)
	v_mul_f64 v[0:1], v[0:1], s[10:11]
	v_cvt_f32_f64_e32 v0, v[0:1]
.LBB119_216:
	s_delay_alu instid0(VALU_DEP_1) | instskip(SKIP_2) | instid1(VALU_DEP_3)
	v_dual_max_f32 v1, v127, v127 :: v_dual_max_f32 v0, v0, v0
	v_add_co_u32 v3, vcc_lo, v16, v10
	v_add_co_ci_u32_e32 v4, vcc_lo, v17, v11, vcc_lo
	v_min_f32_e32 v0, v0, v1
	s_mov_b32 vcc_lo, s2
	s_delay_alu instid0(VALU_DEP_1)
	v_cvt_f64_f32_e32 v[1:2], v0
	v_max_f32_e32 v0, v120, v120
	global_store_b64 v[3:4], v[1:2], off
	s_cbranch_vccz .LBB119_219
; %bb.217:
	v_min_f32_e32 v1, 0, v0
	v_add_co_u32 v3, vcc_lo, v16, v12
	v_add_co_ci_u32_e32 v4, vcc_lo, v17, v13, vcc_lo
	s_delay_alu instid0(VALU_DEP_3)
	v_cvt_f64_f32_e32 v[1:2], v1
	s_mov_b32 s0, 0
	global_store_b64 v[3:4], v[1:2], off
	s_cbranch_execz .LBB119_220
; %bb.218:
	v_mov_b32_e32 v0, s0
	s_branch .LBB119_221
.LBB119_219:
	s_mov_b32 s0, -1
.LBB119_220:
	v_add_co_u32 v1, vcc_lo, v18, v12
	v_add_co_ci_u32_e32 v2, vcc_lo, v19, v13, vcc_lo
	flat_load_b64 v[1:2], v[1:2]
	s_waitcnt vmcnt(0) lgkmcnt(0)
	v_mul_f64 v[1:2], v[1:2], s[10:11]
	s_delay_alu instid0(VALU_DEP_1)
	v_cvt_f32_f64_e32 v1, v[1:2]
	v_add_co_u32 v2, vcc_lo, v16, v12
	v_add_co_ci_u32_e32 v3, vcc_lo, v17, v13, vcc_lo
	v_add_co_u32 v4, vcc_lo, v18, v14
	v_add_co_ci_u32_e32 v5, vcc_lo, v19, v15, vcc_lo
	v_min_f32_e32 v0, v1, v0
	s_delay_alu instid0(VALU_DEP_1) | instskip(SKIP_4) | instid1(VALU_DEP_1)
	v_cvt_f64_f32_e32 v[0:1], v0
	global_store_b64 v[2:3], v[0:1], off
	flat_load_b64 v[0:1], v[4:5]
	s_waitcnt vmcnt(0) lgkmcnt(0)
	v_mul_f64 v[0:1], v[0:1], s[10:11]
	v_cvt_f32_f64_e32 v0, v[0:1]
.LBB119_221:
	s_delay_alu instid0(VALU_DEP_1) | instskip(SKIP_2) | instid1(VALU_DEP_3)
	v_dual_max_f32 v1, v119, v119 :: v_dual_max_f32 v0, v0, v0
	v_add_co_u32 v2, vcc_lo, v16, v14
	v_add_co_ci_u32_e32 v3, vcc_lo, v17, v15, vcc_lo
	v_min_f32_e32 v0, v0, v1
	s_delay_alu instid0(VALU_DEP_1)
	v_cvt_f64_f32_e32 v[0:1], v0
	global_store_b64 v[2:3], v[0:1], off
	s_endpgm
	.section	.rodata,"a",@progbits
	.p2align	6, 0x0
	.amdhsa_kernel _ZN12_GLOBAL__N_120geam_min_plus_kernelId15HIP_vector_typeIdLj2EEdLi8ELi32ELi64ELi256ELi4ELi64ELi4ELi64ELi4ELc78ELc84ELb0ELb0ELb1EdKPKdKPdEEviiiT16_PT17_ilSA_ilS8_SA_ilPT18_ili26rocblas_geam_ex_operation_
		.amdhsa_group_segment_fixed_size 20480
		.amdhsa_private_segment_fixed_size 384
		.amdhsa_kernarg_size 136
		.amdhsa_user_sgpr_count 14
		.amdhsa_user_sgpr_dispatch_ptr 0
		.amdhsa_user_sgpr_queue_ptr 0
		.amdhsa_user_sgpr_kernarg_segment_ptr 1
		.amdhsa_user_sgpr_dispatch_id 0
		.amdhsa_user_sgpr_private_segment_size 0
		.amdhsa_wavefront_size32 1
		.amdhsa_uses_dynamic_stack 0
		.amdhsa_enable_private_segment 1
		.amdhsa_system_sgpr_workgroup_id_x 1
		.amdhsa_system_sgpr_workgroup_id_y 0
		.amdhsa_system_sgpr_workgroup_id_z 1
		.amdhsa_system_sgpr_workgroup_info 0
		.amdhsa_system_vgpr_workitem_id 1
		.amdhsa_next_free_vgpr 256
		.amdhsa_next_free_sgpr 28
		.amdhsa_reserve_vcc 1
		.amdhsa_float_round_mode_32 0
		.amdhsa_float_round_mode_16_64 0
		.amdhsa_float_denorm_mode_32 3
		.amdhsa_float_denorm_mode_16_64 3
		.amdhsa_dx10_clamp 1
		.amdhsa_ieee_mode 1
		.amdhsa_fp16_overflow 0
		.amdhsa_workgroup_processor_mode 1
		.amdhsa_memory_ordered 1
		.amdhsa_forward_progress 0
		.amdhsa_shared_vgpr_count 0
		.amdhsa_exception_fp_ieee_invalid_op 0
		.amdhsa_exception_fp_denorm_src 0
		.amdhsa_exception_fp_ieee_div_zero 0
		.amdhsa_exception_fp_ieee_overflow 0
		.amdhsa_exception_fp_ieee_underflow 0
		.amdhsa_exception_fp_ieee_inexact 0
		.amdhsa_exception_int_div_zero 0
	.end_amdhsa_kernel
	.section	.text._ZN12_GLOBAL__N_120geam_min_plus_kernelId15HIP_vector_typeIdLj2EEdLi8ELi32ELi64ELi256ELi4ELi64ELi4ELi64ELi4ELc78ELc84ELb0ELb0ELb1EdKPKdKPdEEviiiT16_PT17_ilSA_ilS8_SA_ilPT18_ili26rocblas_geam_ex_operation_,"axG",@progbits,_ZN12_GLOBAL__N_120geam_min_plus_kernelId15HIP_vector_typeIdLj2EEdLi8ELi32ELi64ELi256ELi4ELi64ELi4ELi64ELi4ELc78ELc84ELb0ELb0ELb1EdKPKdKPdEEviiiT16_PT17_ilSA_ilS8_SA_ilPT18_ili26rocblas_geam_ex_operation_,comdat
.Lfunc_end119:
	.size	_ZN12_GLOBAL__N_120geam_min_plus_kernelId15HIP_vector_typeIdLj2EEdLi8ELi32ELi64ELi256ELi4ELi64ELi4ELi64ELi4ELc78ELc84ELb0ELb0ELb1EdKPKdKPdEEviiiT16_PT17_ilSA_ilS8_SA_ilPT18_ili26rocblas_geam_ex_operation_, .Lfunc_end119-_ZN12_GLOBAL__N_120geam_min_plus_kernelId15HIP_vector_typeIdLj2EEdLi8ELi32ELi64ELi256ELi4ELi64ELi4ELi64ELi4ELc78ELc84ELb0ELb0ELb1EdKPKdKPdEEviiiT16_PT17_ilSA_ilS8_SA_ilPT18_ili26rocblas_geam_ex_operation_
                                        ; -- End function
	.section	.AMDGPU.csdata,"",@progbits
; Kernel info:
; codeLenInByte = 23992
; NumSgprs: 30
; NumVgprs: 256
; ScratchSize: 384
; MemoryBound: 1
; FloatMode: 240
; IeeeMode: 1
; LDSByteSize: 20480 bytes/workgroup (compile time only)
; SGPRBlocks: 3
; VGPRBlocks: 31
; NumSGPRsForWavesPerEU: 30
; NumVGPRsForWavesPerEU: 256
; Occupancy: 5
; WaveLimiterHint : 1
; COMPUTE_PGM_RSRC2:SCRATCH_EN: 1
; COMPUTE_PGM_RSRC2:USER_SGPR: 14
; COMPUTE_PGM_RSRC2:TRAP_HANDLER: 0
; COMPUTE_PGM_RSRC2:TGID_X_EN: 1
; COMPUTE_PGM_RSRC2:TGID_Y_EN: 0
; COMPUTE_PGM_RSRC2:TGID_Z_EN: 1
; COMPUTE_PGM_RSRC2:TIDIG_COMP_CNT: 1
	.section	.text._ZN12_GLOBAL__N_120geam_min_plus_kernelId15HIP_vector_typeIdLj2EEdLi8ELi32ELi64ELi256ELi4ELi64ELi4ELi64ELi4ELc78ELc84ELb0ELb1ELb1EPKdKS4_KPdEEviiiT16_PT17_ilSA_ilS8_SA_ilPT18_ili26rocblas_geam_ex_operation_,"axG",@progbits,_ZN12_GLOBAL__N_120geam_min_plus_kernelId15HIP_vector_typeIdLj2EEdLi8ELi32ELi64ELi256ELi4ELi64ELi4ELi64ELi4ELc78ELc84ELb0ELb1ELb1EPKdKS4_KPdEEviiiT16_PT17_ilSA_ilS8_SA_ilPT18_ili26rocblas_geam_ex_operation_,comdat
	.globl	_ZN12_GLOBAL__N_120geam_min_plus_kernelId15HIP_vector_typeIdLj2EEdLi8ELi32ELi64ELi256ELi4ELi64ELi4ELi64ELi4ELc78ELc84ELb0ELb1ELb1EPKdKS4_KPdEEviiiT16_PT17_ilSA_ilS8_SA_ilPT18_ili26rocblas_geam_ex_operation_ ; -- Begin function _ZN12_GLOBAL__N_120geam_min_plus_kernelId15HIP_vector_typeIdLj2EEdLi8ELi32ELi64ELi256ELi4ELi64ELi4ELi64ELi4ELc78ELc84ELb0ELb1ELb1EPKdKS4_KPdEEviiiT16_PT17_ilSA_ilS8_SA_ilPT18_ili26rocblas_geam_ex_operation_
	.p2align	8
	.type	_ZN12_GLOBAL__N_120geam_min_plus_kernelId15HIP_vector_typeIdLj2EEdLi8ELi32ELi64ELi256ELi4ELi64ELi4ELi64ELi4ELc78ELc84ELb0ELb1ELb1EPKdKS4_KPdEEviiiT16_PT17_ilSA_ilS8_SA_ilPT18_ili26rocblas_geam_ex_operation_,@function
_ZN12_GLOBAL__N_120geam_min_plus_kernelId15HIP_vector_typeIdLj2EEdLi8ELi32ELi64ELi256ELi4ELi64ELi4ELi64ELi4ELc78ELc84ELb0ELb1ELb1EPKdKS4_KPdEEviiiT16_PT17_ilSA_ilS8_SA_ilPT18_ili26rocblas_geam_ex_operation_: ; @_ZN12_GLOBAL__N_120geam_min_plus_kernelId15HIP_vector_typeIdLj2EEdLi8ELi32ELi64ELi256ELi4ELi64ELi4ELi64ELi4ELc78ELc84ELb0ELb1ELb1EPKdKS4_KPdEEviiiT16_PT17_ilSA_ilS8_SA_ilPT18_ili26rocblas_geam_ex_operation_
; %bb.0:
	s_clause 0x1
	s_load_b128 s[16:19], s[0:1], 0x10
	s_load_b128 s[4:7], s[0:1], 0x28
	s_mov_b32 s2, s15
	s_mov_b32 s3, 0
	s_mov_b64 s[22:23], 0
	s_lshl_b64 s[2:3], s[2:3], 3
	s_mov_b64 s[24:25], 0
	s_waitcnt lgkmcnt(0)
	s_add_u32 s8, s16, s2
	s_addc_u32 s9, s17, s3
	s_load_b64 s[20:21], s[8:9], 0x0
	s_clause 0x1
	s_load_b128 s[8:11], s[0:1], 0x40
	s_load_b64 s[16:17], s[0:1], 0x50
	s_waitcnt lgkmcnt(0)
	s_add_u32 s10, s10, s2
	v_cmp_eq_f64_e64 s26, s[20:21], 0
	v_cmp_neq_f64_e64 s12, s[20:21], 0
	s_addc_u32 s11, s11, s3
	s_delay_alu instid0(VALU_DEP_2)
	s_and_b32 vcc_lo, exec_lo, s26
	s_cbranch_vccnz .LBB120_2
; %bb.1:
	s_add_u32 s18, s18, s2
	s_addc_u32 s19, s19, s3
	s_lshl_b64 s[4:5], s[4:5], 3
	s_load_b64 s[18:19], s[18:19], 0x0
	s_waitcnt lgkmcnt(0)
	s_add_u32 s24, s18, s4
	s_addc_u32 s25, s19, s5
.LBB120_2:
	s_load_b64 s[10:11], s[10:11], 0x0
	s_delay_alu instid0(VALU_DEP_1)
	s_and_not1_b32 vcc_lo, exec_lo, s12
	s_cbranch_vccnz .LBB120_4
; %bb.3:
	s_add_u32 s4, s6, s2
	s_addc_u32 s5, s7, s3
	s_lshl_b64 s[6:7], s[8:9], 3
	s_load_b64 s[4:5], s[4:5], 0x0
	s_waitcnt lgkmcnt(0)
	s_add_u32 s22, s4, s6
	s_addc_u32 s23, s5, s7
.LBB120_4:
	s_waitcnt lgkmcnt(0)
	v_cmp_eq_f64_e64 s8, s[10:11], 0
	v_cmp_neq_f64_e64 s9, s[10:11], 0
	s_load_b128 s[4:7], s[0:1], 0x60
	s_mov_b64 s[12:13], 0
	s_delay_alu instid0(VALU_DEP_2)
	s_and_b32 vcc_lo, exec_lo, s8
	s_cbranch_vccnz .LBB120_6
; %bb.5:
	s_add_u32 s12, s16, s2
	s_addc_u32 s13, s17, s3
	s_waitcnt lgkmcnt(0)
	s_lshl_b64 s[4:5], s[4:5], 3
	s_load_b64 s[12:13], s[12:13], 0x0
	s_waitcnt lgkmcnt(0)
	s_add_u32 s12, s12, s4
	s_addc_u32 s13, s13, s5
.LBB120_6:
	s_clause 0x1
	s_load_b32 s27, s[0:1], 0x20
	s_load_b128 s[16:19], s[0:1], 0x0
	v_and_b32_e32 v63, 0x3ff, v0
	v_bfe_u32 v214, v0, 10, 10
	s_delay_alu instid0(VALU_DEP_1) | instskip(NEXT) | instid1(VALU_DEP_1)
	v_lshl_add_u32 v0, v214, 3, v63
	v_and_b32_e32 v77, 63, v0
	v_lshrrev_b32_e32 v24, 6, v0
	s_waitcnt lgkmcnt(0)
	s_ashr_i32 s28, s27, 31
	s_add_u32 s2, s6, s2
	s_addc_u32 s3, s7, s3
	s_add_i32 s5, s16, -1
	v_cmp_le_i32_e32 vcc_lo, s18, v24
	s_ashr_i32 s4, s5, 31
	s_delay_alu instid0(SALU_CYCLE_1) | instskip(NEXT) | instid1(SALU_CYCLE_1)
	s_lshr_b32 s4, s4, 26
	s_add_i32 s4, s5, s4
	s_delay_alu instid0(SALU_CYCLE_1) | instskip(NEXT) | instid1(SALU_CYCLE_1)
	s_ashr_i32 s4, s4, 6
	s_add_i32 s6, s4, 1
	s_not_b32 s4, s4
	v_cvt_f32_u32_e32 v1, s6
	s_delay_alu instid0(VALU_DEP_1) | instskip(SKIP_2) | instid1(VALU_DEP_1)
	v_rcp_iflag_f32_e32 v1, v1
	s_waitcnt_depctr 0xfff
	v_mul_f32_e32 v1, 0x4f7ffffe, v1
	v_cvt_u32_f32_e32 v1, v1
	s_delay_alu instid0(VALU_DEP_1) | instskip(NEXT) | instid1(VALU_DEP_1)
	v_readfirstlane_b32 s7, v1
	s_mul_i32 s4, s4, s7
	s_delay_alu instid0(SALU_CYCLE_1) | instskip(NEXT) | instid1(SALU_CYCLE_1)
	s_mul_hi_u32 s4, s7, s4
	s_add_i32 s7, s7, s4
	s_delay_alu instid0(SALU_CYCLE_1) | instskip(NEXT) | instid1(SALU_CYCLE_1)
	s_mul_hi_u32 s4, s14, s7
	s_mul_i32 s7, s4, s6
	s_add_i32 s8, s4, 1
	s_sub_i32 s7, s14, s7
	s_delay_alu instid0(SALU_CYCLE_1)
	s_sub_i32 s15, s7, s6
	s_cmp_ge_u32 s7, s6
	s_cselect_b32 s4, s8, s4
	s_cselect_b32 s7, s15, s7
	s_add_i32 s8, s4, 1
	s_cmp_ge_u32 s7, s6
	s_cselect_b32 s4, s8, s4
	s_add_i32 s29, s18, -1
	s_mul_i32 s6, s4, s6
	v_min_i32_e32 v2, s29, v24
	s_sub_i32 s6, s14, s6
	s_load_b64 s[14:15], s[2:3], 0x0
	s_lshl_b32 s8, s6, 6
	s_delay_alu instid0(SALU_CYCLE_1) | instskip(SKIP_1) | instid1(VALU_DEP_2)
	v_or_b32_e32 v0, s8, v77
	v_ashrrev_i32_e32 v3, 31, v2
	v_cmp_le_i32_e64 s2, s16, v0
	v_min_i32_e32 v215, s5, v0
                                        ; implicit-def: $vgpr0_vgpr1
	s_delay_alu instid0(VALU_DEP_2) | instskip(NEXT) | instid1(VALU_DEP_1)
	s_or_b32 s5, s2, vcc_lo
	v_ashrrev_i32_e32 v216, 31, v215
	s_or_b32 s3, s26, s5
	s_delay_alu instid0(SALU_CYCLE_1) | instskip(NEXT) | instid1(SALU_CYCLE_1)
	s_xor_b32 s3, s3, -1
	s_and_saveexec_b32 s6, s3
	s_delay_alu instid0(SALU_CYCLE_1)
	s_xor_b32 s6, exec_lo, s6
	s_cbranch_execz .LBB120_8
; %bb.7:
	v_mad_i64_i32 v[0:1], null, s27, v2, 0
	v_lshlrev_b64 v[6:7], 3, v[215:216]
	s_delay_alu instid0(VALU_DEP_2) | instskip(NEXT) | instid1(VALU_DEP_1)
	v_lshlrev_b64 v[0:1], 3, v[0:1]
	v_add_co_u32 v0, s3, s24, v0
	s_delay_alu instid0(VALU_DEP_1) | instskip(NEXT) | instid1(VALU_DEP_2)
	v_add_co_ci_u32_e64 v1, s3, s25, v1, s3
	v_add_co_u32 v0, s3, v0, v6
	s_delay_alu instid0(VALU_DEP_1)
	v_add_co_ci_u32_e64 v1, s3, v1, v7, s3
	flat_load_b64 v[0:1], v[0:1]
	s_waitcnt vmcnt(0) lgkmcnt(0)
	v_mul_f64 v[0:1], s[20:21], v[0:1]
.LBB120_8:
	s_and_not1_saveexec_b32 s3, s6
; %bb.9:
	v_cndmask_b32_e64 v1, 0, 0x7fefffff, s5
	v_cndmask_b32_e64 v0, 0, -1, s5
; %bb.10:
	s_or_b32 exec_lo, exec_lo, s3
	s_load_b32 s30, s[0:1], 0x38
	s_lshl_b32 s19, s4, 8
	s_delay_alu instid0(SALU_CYCLE_1) | instskip(NEXT) | instid1(VALU_DEP_1)
	v_or_b32_e32 v217, s19, v77
	v_cmp_le_i32_e64 s3, s17, v217
	v_ashrrev_i32_e32 v218, 31, v217
	s_delay_alu instid0(VALU_DEP_2)
	s_or_b32 s5, s3, vcc_lo
	s_waitcnt lgkmcnt(0)
	s_ashr_i32 s31, s30, 31
	v_mul_lo_u32 v3, v3, s30
	v_mad_u64_u32 v[7:8], null, v2, s30, 0
	v_mul_lo_u32 v2, v2, s31
	s_delay_alu instid0(VALU_DEP_1) | instskip(SKIP_2) | instid1(VALU_DEP_3)
	v_add3_u32 v8, v8, v2, v3
	v_cndmask_b32_e64 v3, 0, 0x7fefffff, s5
	v_cndmask_b32_e64 v2, 0, -1, s5
	v_lshlrev_b64 v[8:9], 3, v[7:8]
	s_delay_alu instid0(VALU_DEP_1) | instskip(NEXT) | instid1(VALU_DEP_1)
	v_add_co_u32 v8, s4, s22, v8
	v_add_co_ci_u32_e64 v9, s4, s23, v9, s4
	s_or_b32 s4, s26, s5
	s_delay_alu instid0(SALU_CYCLE_1) | instskip(NEXT) | instid1(SALU_CYCLE_1)
	s_xor_b32 s4, s4, -1
	s_and_saveexec_b32 s5, s4
	s_cbranch_execz .LBB120_12
; %bb.11:
	v_lshlrev_b64 v[2:3], 3, v[217:218]
	s_delay_alu instid0(VALU_DEP_1) | instskip(NEXT) | instid1(VALU_DEP_1)
	v_add_co_u32 v2, s4, v8, v2
	v_add_co_ci_u32_e64 v3, s4, v9, v3, s4
	flat_load_b64 v[2:3], v[2:3]
	s_waitcnt vmcnt(0) lgkmcnt(0)
	v_mul_f64 v[2:3], s[20:21], v[2:3]
.LBB120_12:
	s_or_b32 exec_lo, exec_lo, s5
	v_or_b32_e32 v4, 64, v217
	s_delay_alu instid0(VALU_DEP_1) | instskip(NEXT) | instid1(VALU_DEP_1)
	v_cmp_le_i32_e64 s4, s17, v4
	s_or_b32 s5, s4, vcc_lo
	s_delay_alu instid0(SALU_CYCLE_1) | instskip(SKIP_2) | instid1(SALU_CYCLE_1)
	v_cndmask_b32_e64 v19, 0, 0x7fefffff, s5
	v_cndmask_b32_e64 v18, 0, -1, s5
	s_or_b32 s5, s26, s5
	s_xor_b32 s5, s5, -1
	s_delay_alu instid0(SALU_CYCLE_1)
	s_and_saveexec_b32 s6, s5
	s_cbranch_execz .LBB120_14
; %bb.13:
	v_lshlrev_b64 v[10:11], 3, v[217:218]
	s_delay_alu instid0(VALU_DEP_1) | instskip(NEXT) | instid1(VALU_DEP_1)
	v_add_co_u32 v10, s5, v8, v10
	v_add_co_ci_u32_e64 v11, s5, v9, v11, s5
	flat_load_b64 v[10:11], v[10:11] offset:512
	s_waitcnt vmcnt(0) lgkmcnt(0)
	v_mul_f64 v[18:19], s[20:21], v[10:11]
.LBB120_14:
	s_or_b32 exec_lo, exec_lo, s6
	v_or_b32_e32 v4, 0x80, v217
	s_delay_alu instid0(VALU_DEP_1) | instskip(NEXT) | instid1(VALU_DEP_1)
	v_cmp_le_i32_e64 s5, s17, v4
	s_or_b32 s6, s5, vcc_lo
	s_delay_alu instid0(SALU_CYCLE_1) | instskip(SKIP_2) | instid1(SALU_CYCLE_1)
	v_cndmask_b32_e64 v21, 0, 0x7fefffff, s6
	v_cndmask_b32_e64 v20, 0, -1, s6
	s_or_b32 s6, s26, s6
	s_xor_b32 s6, s6, -1
	s_delay_alu instid0(SALU_CYCLE_1)
	s_and_saveexec_b32 s7, s6
	s_cbranch_execz .LBB120_16
; %bb.15:
	v_lshlrev_b64 v[10:11], 3, v[217:218]
	s_delay_alu instid0(VALU_DEP_1) | instskip(NEXT) | instid1(VALU_DEP_1)
	v_add_co_u32 v10, s6, v8, v10
	v_add_co_ci_u32_e64 v11, s6, v9, v11, s6
	flat_load_b64 v[10:11], v[10:11] offset:1024
	s_waitcnt vmcnt(0) lgkmcnt(0)
	v_mul_f64 v[20:21], s[20:21], v[10:11]
.LBB120_16:
	s_or_b32 exec_lo, exec_lo, s7
	v_or_b32_e32 v4, 0xc0, v217
	s_delay_alu instid0(VALU_DEP_1) | instskip(NEXT) | instid1(VALU_DEP_1)
	v_cmp_le_i32_e64 s6, s17, v4
	s_or_b32 s7, s6, vcc_lo
	s_delay_alu instid0(SALU_CYCLE_1) | instskip(SKIP_2) | instid1(SALU_CYCLE_1)
	v_cndmask_b32_e64 v23, 0, 0x7fefffff, s7
	v_cndmask_b32_e64 v22, 0, -1, s7
	s_or_b32 s7, s26, s7
	s_xor_b32 s33, s7, -1
	s_delay_alu instid0(SALU_CYCLE_1)
	s_and_saveexec_b32 s7, s33
	s_cbranch_execz .LBB120_18
; %bb.17:
	v_lshlrev_b64 v[10:11], 3, v[217:218]
	s_delay_alu instid0(VALU_DEP_1) | instskip(NEXT) | instid1(VALU_DEP_2)
	v_add_co_u32 v8, vcc_lo, v8, v10
	v_add_co_ci_u32_e32 v9, vcc_lo, v9, v11, vcc_lo
	flat_load_b64 v[8:9], v[8:9] offset:1536
	s_waitcnt vmcnt(0) lgkmcnt(0)
	v_mul_f64 v[22:23], s[20:21], v[8:9]
.LBB120_18:
	s_or_b32 exec_lo, exec_lo, s7
	v_add_nc_u32_e32 v4, 4, v24
	s_delay_alu instid0(VALU_DEP_1) | instskip(SKIP_2) | instid1(VALU_DEP_1)
	v_cmp_le_i32_e32 vcc_lo, s18, v4
	v_min_i32_e32 v10, s29, v4
                                        ; implicit-def: $vgpr4_vgpr5
                                        ; kill: killed $vgpr4_vgpr5
	s_or_b32 s33, s2, vcc_lo
	v_ashrrev_i32_e32 v11, 31, v10
	s_or_b32 s7, s26, s33
	s_delay_alu instid0(SALU_CYCLE_1) | instskip(NEXT) | instid1(SALU_CYCLE_1)
	s_xor_b32 s7, s7, -1
	s_and_saveexec_b32 s34, s7
	s_delay_alu instid0(SALU_CYCLE_1)
	s_xor_b32 s34, exec_lo, s34
	s_cbranch_execz .LBB120_20
; %bb.19:
	v_mad_i64_i32 v[8:9], null, s27, v10, 0
	v_lshlrev_b64 v[12:13], 3, v[215:216]
	s_delay_alu instid0(VALU_DEP_2) | instskip(NEXT) | instid1(VALU_DEP_1)
	v_lshlrev_b64 v[8:9], 3, v[8:9]
	v_add_co_u32 v4, s7, s24, v8
	s_delay_alu instid0(VALU_DEP_1) | instskip(NEXT) | instid1(VALU_DEP_2)
	v_add_co_ci_u32_e64 v5, s7, s25, v9, s7
	v_add_co_u32 v8, s7, v4, v12
	s_delay_alu instid0(VALU_DEP_1)
	v_add_co_ci_u32_e64 v9, s7, v5, v13, s7
	flat_load_b64 v[8:9], v[8:9]
	s_waitcnt vmcnt(0) lgkmcnt(0)
	v_mul_f64 v[4:5], s[20:21], v[8:9]
	scratch_store_b64 off, v[4:5], off offset:304 ; 8-byte Folded Spill
.LBB120_20:
	s_and_not1_saveexec_b32 s7, s34
	s_cbranch_execz .LBB120_22
; %bb.21:
	v_cndmask_b32_e64 v5, 0, 0x7fefffff, s33
	v_cndmask_b32_e64 v4, 0, -1, s33
	scratch_store_b64 off, v[4:5], off offset:304 ; 8-byte Folded Spill
.LBB120_22:
	s_or_b32 exec_lo, exec_lo, s7
	v_mul_lo_u32 v4, v11, s30
	v_mul_lo_u32 v5, v10, s31
	v_mad_u64_u32 v[11:12], null, v10, s30, 0
	s_or_b32 s31, s3, vcc_lo
	s_delay_alu instid0(VALU_DEP_1) | instskip(SKIP_2) | instid1(VALU_DEP_3)
	v_add3_u32 v12, v12, v5, v4
	v_cndmask_b32_e64 v5, 0, 0x7fefffff, s31
	v_cndmask_b32_e64 v4, 0, -1, s31
	v_lshlrev_b64 v[12:13], 3, v[11:12]
	s_delay_alu instid0(VALU_DEP_1) | instskip(NEXT) | instid1(VALU_DEP_1)
	v_add_co_u32 v25, s7, s22, v12
	v_add_co_ci_u32_e64 v26, s7, s23, v13, s7
	s_or_b32 s7, s26, s31
	s_delay_alu instid0(SALU_CYCLE_1) | instskip(NEXT) | instid1(SALU_CYCLE_1)
	s_xor_b32 s7, s7, -1
	s_and_saveexec_b32 s31, s7
	s_cbranch_execz .LBB120_24
; %bb.23:
	v_lshlrev_b64 v[10:11], 3, v[217:218]
	s_delay_alu instid0(VALU_DEP_1) | instskip(NEXT) | instid1(VALU_DEP_1)
	v_add_co_u32 v10, s7, v25, v10
	v_add_co_ci_u32_e64 v11, s7, v26, v11, s7
	flat_load_b64 v[10:11], v[10:11]
	s_waitcnt vmcnt(0) lgkmcnt(0)
	v_mul_f64 v[4:5], s[20:21], v[10:11]
.LBB120_24:
	s_or_b32 exec_lo, exec_lo, s31
	s_or_b32 s7, s4, vcc_lo
	s_delay_alu instid0(SALU_CYCLE_1) | instskip(SKIP_2) | instid1(SALU_CYCLE_1)
	v_cndmask_b32_e64 v7, 0, 0x7fefffff, s7
	v_cndmask_b32_e64 v6, 0, -1, s7
	s_or_b32 s7, s26, s7
	s_xor_b32 s7, s7, -1
	s_delay_alu instid0(SALU_CYCLE_1)
	s_and_saveexec_b32 s31, s7
	s_cbranch_execz .LBB120_26
; %bb.25:
	v_lshlrev_b64 v[12:13], 3, v[217:218]
	s_delay_alu instid0(VALU_DEP_1) | instskip(NEXT) | instid1(VALU_DEP_1)
	v_add_co_u32 v12, s7, v25, v12
	v_add_co_ci_u32_e64 v13, s7, v26, v13, s7
	flat_load_b64 v[12:13], v[12:13] offset:512
	s_waitcnt vmcnt(0) lgkmcnt(0)
	v_mul_f64 v[6:7], s[20:21], v[12:13]
.LBB120_26:
	s_or_b32 exec_lo, exec_lo, s31
	s_or_b32 s7, s5, vcc_lo
	scratch_store_b64 off, v[4:5], off offset:316 ; 8-byte Folded Spill
	v_cndmask_b32_e64 v5, 0, 0x7fefffff, s7
	v_cndmask_b32_e64 v4, 0, -1, s7
	s_or_b32 s7, s26, s7
	s_delay_alu instid0(SALU_CYCLE_1) | instskip(NEXT) | instid1(SALU_CYCLE_1)
	s_xor_b32 s7, s7, -1
	s_and_saveexec_b32 s31, s7
	s_cbranch_execz .LBB120_28
; %bb.27:
	v_lshlrev_b64 v[14:15], 3, v[217:218]
	s_delay_alu instid0(VALU_DEP_1) | instskip(NEXT) | instid1(VALU_DEP_1)
	v_add_co_u32 v14, s7, v25, v14
	v_add_co_ci_u32_e64 v15, s7, v26, v15, s7
	flat_load_b64 v[14:15], v[14:15] offset:1024
	s_waitcnt vmcnt(0) lgkmcnt(0)
	v_mul_f64 v[4:5], s[20:21], v[14:15]
.LBB120_28:
	s_or_b32 exec_lo, exec_lo, s31
	s_or_b32 s7, s6, vcc_lo
	s_clause 0x1
	scratch_store_b64 off, v[4:5], off offset:332
	scratch_store_b64 off, v[6:7], off offset:324
	v_cndmask_b32_e64 v5, 0, 0x7fefffff, s7
	v_cndmask_b32_e64 v4, 0, -1, s7
	s_or_b32 s31, s26, s7
	s_mov_b32 s7, -1
	s_xor_b32 s33, s31, -1
	s_delay_alu instid0(SALU_CYCLE_1)
	s_and_saveexec_b32 s31, s33
	s_cbranch_execz .LBB120_30
; %bb.29:
	v_lshlrev_b64 v[16:17], 3, v[217:218]
	s_delay_alu instid0(VALU_DEP_1) | instskip(NEXT) | instid1(VALU_DEP_2)
	v_add_co_u32 v16, vcc_lo, v25, v16
	v_add_co_ci_u32_e32 v17, vcc_lo, v26, v17, vcc_lo
	flat_load_b64 v[16:17], v[16:17] offset:1536
	s_waitcnt vmcnt(0) lgkmcnt(0)
	v_mul_f64 v[4:5], s[20:21], v[16:17]
.LBB120_30:
	s_or_b32 exec_lo, exec_lo, s31
	s_clause 0x1
	scratch_store_b64 off, v[4:5], off offset:340
	scratch_store_b32 off, v24, off offset:364
	v_dual_mov_b32 v133, 0x7f800000 :: v_dual_lshlrev_b32 v4, 3, v24
	v_dual_mov_b32 v122, 0x7f800000 :: v_dual_mov_b32 v135, 0x7f800000
	v_dual_mov_b32 v124, 0x7f800000 :: v_dual_mov_b32 v197, 0x7f800000
	s_delay_alu instid0(VALU_DEP_3) | instskip(SKIP_2) | instid1(VALU_DEP_3)
	v_lshl_add_u32 v4, v77, 5, v4
	v_dual_mov_b32 v126, 0x7f800000 :: v_dual_mov_b32 v185, 0x7f800000
	v_dual_mov_b32 v128, 0x7f800000 :: v_dual_mov_b32 v255, 0x7f800000
	v_or_b32_e32 v5, 0x4000, v4
	v_dual_mov_b32 v130, 0x7f800000 :: v_dual_mov_b32 v139, 0x7f800000
	v_dual_mov_b32 v132, 0x7f800000 :: v_dual_mov_b32 v113, 0x7f800000
	scratch_store_b32 off, v5, off offset:372 ; 4-byte Folded Spill
	ds_store_b64 v4, v[0:1] offset:16384
	ds_store_2addr_stride64_b64 v4, v[2:3], v[18:19] offset1:4
	v_dual_mov_b32 v0, 0x7f800000 :: v_dual_mov_b32 v195, 0x7f800000
	scratch_store_b32 off, v4, off offset:368 ; 4-byte Folded Spill
	v_dual_mov_b32 v134, 0x7f800000 :: v_dual_mov_b32 v53, 0x7f800000
	scratch_store_b32 off, v0, off          ; 4-byte Folded Spill
	v_dual_mov_b32 v0, 0x7f800000 :: v_dual_mov_b32 v117, 0x7f800000
	v_dual_mov_b32 v136, 0x7f800000 :: v_dual_mov_b32 v55, 0x7f800000
	;; [unrolled: 1-line block ×22, first 2 shown]
	v_mov_b32_e32 v198, 0x7f800000
	v_mov_b32_e32 v186, 0x7f800000
	;; [unrolled: 1-line block ×3, first 2 shown]
	s_mov_b32 s31, 0
	ds_store_2addr_stride64_b64 v4, v[20:21], v[22:23] offset0:8 offset1:12
	scratch_store_b32 off, v0, off offset:4 ; 4-byte Folded Spill
	s_waitcnt lgkmcnt(0)
	s_waitcnt_vscnt null, 0x0
	s_barrier
	buffer_gl0_inv
	scratch_store_b32 off, v63, off offset:312 ; 4-byte Folded Spill
.LBB120_31:                             ; =>This Inner Loop Header: Depth=1
	s_lshl_b32 s31, s31, 3
	v_dual_mov_b32 v115, v53 :: v_dual_mov_b32 v118, v55
	v_lshl_add_u32 v4, v214, 5, s31
	v_lshl_add_u32 v5, v63, 5, s31
	v_dual_mov_b32 v121, v56 :: v_dual_mov_b32 v188, v61
	ds_load_b128 v[18:21], v4
	ds_load_b128 v[0:3], v5 offset:16384
	ds_load_b128 v[108:111], v5 offset:16640
	;; [unrolled: 1-line block ×3, first 2 shown]
	v_mov_b32_e32 v213, v62
	s_mov_b32 s31, 2
	s_and_not1_b32 vcc_lo, exec_lo, s7
	s_mov_b32 s7, 0
	s_waitcnt lgkmcnt(2)
	v_add_f64 v[6:7], v[2:3], v[20:21]
	scratch_store_b64 off, v[6:7], off offset:40 ; 8-byte Folded Spill
	v_add_f64 v[6:7], v[0:1], v[18:19]
	scratch_store_b64 off, v[6:7], off offset:104 ; 8-byte Folded Spill
	s_waitcnt lgkmcnt(1)
	v_add_f64 v[6:7], v[110:111], v[20:21]
	scratch_store_b64 off, v[6:7], off offset:8 ; 8-byte Folded Spill
	v_add_f64 v[6:7], v[108:109], v[18:19]
	scratch_store_b64 off, v[6:7], off offset:72 ; 8-byte Folded Spill
	ds_load_b128 v[33:36], v5 offset:16896
	ds_load_b128 v[37:40], v5 offset:17152
	s_waitcnt lgkmcnt(1)
	v_add_f64 v[6:7], v[35:36], v[20:21]
	scratch_store_b64 off, v[6:7], off offset:48 ; 8-byte Folded Spill
	v_add_f64 v[6:7], v[33:34], v[18:19]
	scratch_store_b64 off, v[6:7], off offset:112 ; 8-byte Folded Spill
	s_waitcnt lgkmcnt(0)
	v_add_f64 v[6:7], v[39:40], v[20:21]
	scratch_store_b64 off, v[6:7], off offset:16 ; 8-byte Folded Spill
	v_add_f64 v[6:7], v[37:38], v[18:19]
	scratch_store_b64 off, v[6:7], off offset:80 ; 8-byte Folded Spill
	ds_load_b128 v[41:44], v5 offset:17408
	ds_load_b128 v[45:48], v5 offset:17664
	;; [unrolled: 1-line block ×4, first 2 shown]
	s_waitcnt lgkmcnt(3)
	v_add_f64 v[6:7], v[43:44], v[20:21]
	scratch_store_b64 off, v[6:7], off offset:56 ; 8-byte Folded Spill
	v_add_f64 v[6:7], v[41:42], v[18:19]
	scratch_store_b64 off, v[6:7], off offset:120 ; 8-byte Folded Spill
	s_waitcnt lgkmcnt(2)
	v_add_f64 v[6:7], v[47:48], v[20:21]
	scratch_store_b64 off, v[6:7], off offset:24 ; 8-byte Folded Spill
	v_add_f64 v[6:7], v[45:46], v[18:19]
	scratch_store_b64 off, v[6:7], off offset:88 ; 8-byte Folded Spill
	;; [unrolled: 5-line block ×4, first 2 shown]
	v_add_f64 v[5:6], v[2:3], v[31:32]
	scratch_store_b64 off, v[5:6], off offset:136 ; 8-byte Folded Spill
	v_add_f64 v[5:6], v[0:1], v[29:30]
	scratch_store_b64 off, v[5:6], off offset:144 ; 8-byte Folded Spill
	;; [unrolled: 2-line block ×16, first 2 shown]
	ds_load_b128 v[18:21], v4 offset:2048
	ds_load_b128 v[29:32], v4 offset:3072
	s_waitcnt lgkmcnt(1)
	v_add_f64 v[5:6], v[43:44], v[20:21]
	v_add_f64 v[98:99], v[2:3], v[20:21]
	v_add_f64 v[88:89], v[0:1], v[18:19]
	v_add_f64 v[92:93], v[110:111], v[20:21]
	v_add_f64 v[90:91], v[108:109], v[18:19]
	v_add_f64 v[86:87], v[35:36], v[20:21]
	v_add_f64 v[84:85], v[33:34], v[18:19]
	v_add_f64 v[82:83], v[39:40], v[20:21]
	v_add_f64 v[80:81], v[37:38], v[18:19]
	v_add_f64 v[26:27], v[41:42], v[18:19]
	v_add_f64 v[61:62], v[45:46], v[18:19]
	v_add_f64 v[219:220], v[49:50], v[18:19]
	s_waitcnt lgkmcnt(0)
	v_add_f64 v[221:222], v[2:3], v[31:32]
	v_add_f64 v[223:224], v[0:1], v[29:30]
	;; [unrolled: 1-line block ×16, first 2 shown]
	scratch_store_b64 off, v[5:6], off offset:296 ; 8-byte Folded Spill
	v_add_f64 v[5:6], v[47:48], v[20:21]
	v_cvt_f32_f64_e32 v26, v[26:27]
	scratch_store_b64 off, v[5:6], off offset:280 ; 8-byte Folded Spill
	v_add_f64 v[5:6], v[51:52], v[20:21]
	scratch_store_b64 off, v[5:6], off offset:272 ; 8-byte Folded Spill
	v_add_f64 v[5:6], v[55:56], v[20:21]
	;; [unrolled: 2-line block ×3, first 2 shown]
	scratch_store_b64 off, v[5:6], off offset:288 ; 8-byte Folded Spill
	ds_load_b128 v[18:21], v4 offset:4096
	ds_load_b128 v[29:32], v4 offset:5120
	s_waitcnt lgkmcnt(1)
	v_add_f64 v[253:254], v[2:3], v[20:21]
	v_add_f64 v[69:70], v[0:1], v[18:19]
	;; [unrolled: 1-line block ×16, first 2 shown]
	s_waitcnt lgkmcnt(0)
	v_add_f64 v[94:95], v[2:3], v[31:32]
	v_add_f64 v[96:97], v[0:1], v[29:30]
	;; [unrolled: 1-line block ×16, first 2 shown]
	ds_load_b128 v[18:21], v4 offset:6144
	ds_load_b128 v[29:32], v4 offset:7168
	s_waitcnt lgkmcnt(1)
	v_add_f64 v[4:5], v[0:1], v[18:19]
	v_add_f64 v[6:7], v[108:109], v[18:19]
	;; [unrolled: 1-line block ×8, first 2 shown]
	s_waitcnt lgkmcnt(0)
	v_add_f64 v[0:1], v[0:1], v[29:30]
	v_add_f64 v[24:25], v[108:109], v[29:30]
	;; [unrolled: 1-line block ×8, first 2 shown]
	s_clause 0x1
	scratch_load_b64 v[53:54], off, off offset:104
	scratch_load_b64 v[108:109], off, off offset:40
	v_add_f64 v[8:9], v[2:3], v[20:21]
	v_add_f64 v[12:13], v[110:111], v[20:21]
	;; [unrolled: 1-line block ×16, first 2 shown]
	v_dual_mov_b32 v56, v121 :: v_dual_mov_b32 v55, v118
	v_cvt_f32_f64_e32 v4, v[4:5]
	v_cvt_f32_f64_e32 v0, v[0:1]
	v_cvt_f32_f64_e32 v5, v[8:9]
	v_cvt_f32_f64_e32 v1, v[2:3]
	scratch_load_b32 v2, off, off           ; 4-byte Folded Reload
	v_min3_f32 v133, v0, v1, v133
	v_cvt_f32_f64_e32 v0, v[24:25]
	v_cvt_f32_f64_e32 v1, v[110:111]
	s_delay_alu instid0(VALU_DEP_1)
	v_min3_f32 v132, v0, v1, v132
	v_cvt_f32_f64_e32 v0, v[33:34]
	v_cvt_f32_f64_e32 v1, v[35:36]
	s_waitcnt vmcnt(2)
	v_cvt_f32_f64_e32 v53, v[53:54]
	s_waitcnt vmcnt(1)
	v_cvt_f32_f64_e32 v54, v[108:109]
	scratch_load_b64 v[108:109], off, off offset:8 ; 8-byte Folded Reload
	v_min3_f32 v141, v53, v54, v141
	scratch_load_b64 v[53:54], off, off offset:72 ; 8-byte Folded Reload
	s_waitcnt vmcnt(2)
	v_min3_f32 v2, v0, v1, v2
	v_cvt_f32_f64_e32 v0, v[37:38]
	v_cvt_f32_f64_e32 v1, v[39:40]
	scratch_store_b32 off, v2, off          ; 4-byte Folded Spill
	v_min3_f32 v130, v0, v1, v130
	v_cvt_f32_f64_e32 v0, v[41:42]
	v_cvt_f32_f64_e32 v1, v[43:44]
	s_delay_alu instid0(VALU_DEP_1) | instskip(SKIP_2) | instid1(VALU_DEP_1)
	v_min3_f32 v128, v0, v1, v128
	v_cvt_f32_f64_e32 v0, v[45:46]
	v_cvt_f32_f64_e32 v1, v[47:48]
	v_min3_f32 v126, v0, v1, v126
	v_cvt_f32_f64_e32 v0, v[49:50]
	v_cvt_f32_f64_e32 v1, v[51:52]
	s_delay_alu instid0(VALU_DEP_1) | instskip(SKIP_2) | instid1(VALU_DEP_1)
	v_min3_f32 v124, v0, v1, v124
	v_cvt_f32_f64_e32 v0, v[29:30]
	v_cvt_f32_f64_e32 v1, v[31:32]
	v_min3_f32 v122, v0, v1, v122
	s_waitcnt vmcnt(0)
	v_cvt_f32_f64_e32 v53, v[53:54]
	v_cvt_f32_f64_e32 v54, v[108:109]
	scratch_load_b64 v[108:109], off, off offset:48 ; 8-byte Folded Reload
	v_min3_f32 v140, v53, v54, v140
	scratch_load_b64 v[53:54], off, off offset:112 ; 8-byte Folded Reload
	s_waitcnt vmcnt(0)
	v_cvt_f32_f64_e32 v53, v[53:54]
	v_cvt_f32_f64_e32 v54, v[108:109]
	scratch_load_b64 v[108:109], off, off offset:16 ; 8-byte Folded Reload
	v_min3_f32 v131, v53, v54, v131
	scratch_load_b64 v[53:54], off, off offset:80 ; 8-byte Folded Reload
	;; [unrolled: 6-line block ×14, first 2 shown]
	s_waitcnt vmcnt(0)
	v_cvt_f32_f64_e32 v53, v[53:54]
	v_cvt_f32_f64_e32 v54, v[108:109]
	s_delay_alu instid0(VALU_DEP_1) | instskip(SKIP_2) | instid1(VALU_DEP_1)
	v_min3_f32 v209, v53, v54, v209
	v_cvt_f32_f64_e32 v53, v[88:89]
	v_cvt_f32_f64_e32 v54, v[98:99]
	v_min3_f32 v208, v53, v54, v208
	v_cvt_f32_f64_e32 v53, v[90:91]
	v_cvt_f32_f64_e32 v54, v[92:93]
	s_delay_alu instid0(VALU_DEP_1) | instskip(SKIP_2) | instid1(VALU_DEP_1)
	v_min3_f32 v207, v53, v54, v207
	v_cvt_f32_f64_e32 v53, v[84:85]
	v_cvt_f32_f64_e32 v54, v[86:87]
	v_min3_f32 v206, v53, v54, v206
	v_cvt_f32_f64_e32 v53, v[80:81]
	scratch_load_b64 v[80:81], off, off offset:296 ; 8-byte Folded Reload
	v_cvt_f32_f64_e32 v54, v[82:83]
	s_delay_alu instid0(VALU_DEP_1)
	v_min3_f32 v205, v53, v54, v205
	v_mov_b32_e32 v53, v115
	s_waitcnt vmcnt(0)
	v_cvt_f32_f64_e32 v27, v[80:81]
	scratch_load_b64 v[80:81], off, off offset:280 ; 8-byte Folded Reload
	v_min3_f32 v112, v26, v27, v112
	v_cvt_f32_f64_e32 v26, v[61:62]
	v_dual_mov_b32 v62, v213 :: v_dual_mov_b32 v61, v188
	s_delay_alu instid0(VALU_DEP_1) | instskip(SKIP_3) | instid1(VALU_DEP_1)
	v_min3_f32 v62, v4, v5, v62
	v_cvt_f32_f64_e32 v4, v[6:7]
	scratch_load_b32 v6, off, off offset:4  ; 4-byte Folded Reload
	v_cvt_f32_f64_e32 v5, v[12:13]
	v_min3_f32 v255, v4, v5, v255
	v_cvt_f32_f64_e32 v4, v[10:11]
	v_cvt_f32_f64_e32 v5, v[16:17]
	s_delay_alu instid0(VALU_DEP_1) | instskip(SKIP_2) | instid1(VALU_DEP_1)
	v_min3_f32 v185, v4, v5, v185
	v_cvt_f32_f64_e32 v4, v[14:15]
	v_cvt_f32_f64_e32 v5, v[22:23]
	v_min3_f32 v136, v4, v5, v136
	v_cvt_f32_f64_e32 v4, v[75:76]
	v_cvt_f32_f64_e32 v5, v[59:60]
	s_waitcnt vmcnt(1)
	v_cvt_f32_f64_e32 v27, v[80:81]
	scratch_load_b64 v[80:81], off, off offset:272 ; 8-byte Folded Reload
	v_min3_f32 v204, v26, v27, v204
	v_cvt_f32_f64_e32 v26, v[219:220]
	s_waitcnt vmcnt(1)
	v_min3_f32 v6, v4, v5, v6
	v_cvt_f32_f64_e32 v5, v[63:64]
	scratch_load_b32 v63, off, off offset:312 ; 4-byte Folded Reload
	v_cvt_f32_f64_e32 v4, v[57:58]
	scratch_store_b32 off, v6, off offset:4 ; 4-byte Folded Spill
	v_min3_f32 v197, v4, v5, v197
	v_cvt_f32_f64_e32 v4, v[78:79]
	v_cvt_f32_f64_e32 v5, v[67:68]
	s_delay_alu instid0(VALU_DEP_1) | instskip(SKIP_2) | instid1(VALU_DEP_1)
	v_min3_f32 v135, v4, v5, v135
	v_cvt_f32_f64_e32 v4, v[18:19]
	v_cvt_f32_f64_e32 v5, v[20:21]
	v_min3_f32 v134, v4, v5, v134
	s_waitcnt vmcnt(1)
	v_cvt_f32_f64_e32 v27, v[80:81]
	scratch_load_b64 v[80:81], off, off offset:264 ; 8-byte Folded Reload
	v_min3_f32 v196, v26, v27, v196
	scratch_load_b64 v[26:27], off, off offset:288 ; 8-byte Folded Reload
	s_waitcnt vmcnt(0)
	v_cvt_f32_f64_e32 v26, v[26:27]
	v_cvt_f32_f64_e32 v27, v[80:81]
	s_delay_alu instid0(VALU_DEP_1) | instskip(SKIP_2) | instid1(VALU_DEP_1)
	v_min3_f32 v193, v26, v27, v193
	v_cvt_f32_f64_e32 v26, v[223:224]
	v_cvt_f32_f64_e32 v27, v[221:222]
	v_min3_f32 v192, v26, v27, v192
	v_cvt_f32_f64_e32 v26, v[227:228]
	v_cvt_f32_f64_e32 v27, v[225:226]
	s_delay_alu instid0(VALU_DEP_1) | instskip(SKIP_2) | instid1(VALU_DEP_1)
	v_min3_f32 v191, v26, v27, v191
	v_cvt_f32_f64_e32 v26, v[231:232]
	v_cvt_f32_f64_e32 v27, v[229:230]
	v_min3_f32 v203, v26, v27, v203
	v_cvt_f32_f64_e32 v26, v[235:236]
	v_cvt_f32_f64_e32 v27, v[233:234]
	s_delay_alu instid0(VALU_DEP_1) | instskip(SKIP_2) | instid1(VALU_DEP_1)
	v_min3_f32 v190, v26, v27, v190
	v_cvt_f32_f64_e32 v26, v[239:240]
	v_cvt_f32_f64_e32 v27, v[237:238]
	v_min3_f32 v200, v26, v27, v200
	v_cvt_f32_f64_e32 v26, v[243:244]
	v_cvt_f32_f64_e32 v27, v[241:242]
	s_delay_alu instid0(VALU_DEP_1) | instskip(SKIP_2) | instid1(VALU_DEP_1)
	v_min3_f32 v189, v26, v27, v189
	v_cvt_f32_f64_e32 v26, v[247:248]
	v_cvt_f32_f64_e32 v27, v[245:246]
	v_min3_f32 v61, v26, v27, v61
	v_cvt_f32_f64_e32 v26, v[251:252]
	v_cvt_f32_f64_e32 v27, v[249:250]
	s_delay_alu instid0(VALU_DEP_1) | instskip(SKIP_2) | instid1(VALU_DEP_1)
	v_min3_f32 v187, v26, v27, v187
	v_cvt_f32_f64_e32 v26, v[69:70]
	v_cvt_f32_f64_e32 v27, v[253:254]
	v_min3_f32 v199, v26, v27, v199
	v_cvt_f32_f64_e32 v26, v[71:72]
	v_cvt_f32_f64_e32 v27, v[144:145]
	s_delay_alu instid0(VALU_DEP_1) | instskip(SKIP_2) | instid1(VALU_DEP_1)
	v_min3_f32 v194, v26, v27, v194
	v_cvt_f32_f64_e32 v26, v[73:74]
	v_cvt_f32_f64_e32 v27, v[148:149]
	v_min3_f32 v138, v26, v27, v138
	v_cvt_f32_f64_e32 v26, v[142:143]
	v_cvt_f32_f64_e32 v27, v[150:151]
	s_delay_alu instid0(VALU_DEP_1) | instskip(SKIP_2) | instid1(VALU_DEP_1)
	v_min3_f32 v56, v26, v27, v56
	v_cvt_f32_f64_e32 v26, v[146:147]
	v_cvt_f32_f64_e32 v27, v[154:155]
	v_min3_f32 v120, v26, v27, v120
	v_cvt_f32_f64_e32 v26, v[152:153]
	v_cvt_f32_f64_e32 v27, v[158:159]
	s_delay_alu instid0(VALU_DEP_1) | instskip(SKIP_2) | instid1(VALU_DEP_1)
	v_min3_f32 v119, v26, v27, v119
	v_cvt_f32_f64_e32 v26, v[156:157]
	v_cvt_f32_f64_e32 v27, v[162:163]
	v_min3_f32 v55, v26, v27, v55
	v_cvt_f32_f64_e32 v26, v[160:161]
	v_cvt_f32_f64_e32 v27, v[164:165]
	s_delay_alu instid0(VALU_DEP_1) | instskip(SKIP_2) | instid1(VALU_DEP_1)
	v_min3_f32 v117, v26, v27, v117
	v_cvt_f32_f64_e32 v26, v[96:97]
	v_cvt_f32_f64_e32 v27, v[94:95]
	v_min3_f32 v116, v26, v27, v116
	v_cvt_f32_f64_e32 v26, v[100:101]
	v_cvt_f32_f64_e32 v27, v[106:107]
	s_delay_alu instid0(VALU_DEP_1) | instskip(SKIP_2) | instid1(VALU_DEP_1)
	v_min3_f32 v53, v26, v27, v53
	v_cvt_f32_f64_e32 v26, v[104:105]
	v_cvt_f32_f64_e32 v27, v[102:103]
	v_min3_f32 v114, v26, v27, v114
	v_cvt_f32_f64_e32 v26, v[182:183]
	v_cvt_f32_f64_e32 v27, v[65:66]
	s_delay_alu instid0(VALU_DEP_1) | instskip(SKIP_2) | instid1(VALU_DEP_1)
	v_min3_f32 v113, v26, v27, v113
	v_cvt_f32_f64_e32 v26, v[178:179]
	v_cvt_f32_f64_e32 v27, v[180:181]
	v_min3_f32 v184, v26, v27, v184
	v_cvt_f32_f64_e32 v26, v[174:175]
	v_cvt_f32_f64_e32 v27, v[176:177]
	s_delay_alu instid0(VALU_DEP_1) | instskip(SKIP_2) | instid1(VALU_DEP_1)
	v_min3_f32 v195, v26, v27, v195
	v_cvt_f32_f64_e32 v26, v[170:171]
	v_cvt_f32_f64_e32 v27, v[172:173]
	v_min3_f32 v202, v26, v27, v202
	v_cvt_f32_f64_e32 v26, v[166:167]
	v_cvt_f32_f64_e32 v27, v[168:169]
	s_delay_alu instid0(VALU_DEP_1)
	v_min3_f32 v139, v26, v27, v139
	s_cbranch_vccz .LBB120_31
; %bb.32:
	s_clause 0x1
	scratch_load_b32 v95, off, off offset:364
	scratch_load_b64 v[1:2], off, off offset:304
	v_dual_mov_b32 v73, v191 :: v_dual_lshlrev_b32 v0, 5, v77
	v_dual_mov_b32 v109, v212 :: v_dual_mov_b32 v32, v209
	v_dual_mov_b32 v99, v210 :: v_dual_mov_b32 v38, v207
	;; [unrolled: 1-line block ×4, first 2 shown]
	v_mov_b32_e32 v71, v190
	v_mov_b32_e32 v69, v189
	;; [unrolled: 1-line block ×6, first 2 shown]
	s_mov_b32 s31, 8
	s_cmp_gt_i32 s18, 8
	s_waitcnt vmcnt(1)
	v_lshl_add_u32 v0, v95, 3, v0
	s_waitcnt vmcnt(0)
	ds_store_b64 v0, v[1:2] offset:18432
	s_clause 0x1
	scratch_load_b64 v[1:2], off, off offset:316
	scratch_load_b64 v[3:4], off, off offset:324
	s_waitcnt vmcnt(0)
	ds_store_2addr_stride64_b64 v0, v[1:2], v[3:4] offset0:16 offset1:20
	s_clause 0x1
	scratch_load_b64 v[1:2], off, off offset:332
	scratch_load_b64 v[3:4], off, off offset:340
	s_waitcnt vmcnt(0)
	ds_store_2addr_stride64_b64 v0, v[1:2], v[3:4] offset0:24 offset1:28
	s_waitcnt lgkmcnt(0)
	s_waitcnt_vscnt null, 0x0
	s_barrier
	buffer_gl0_inv
	scratch_store_b32 off, v214, off offset:8 ; 4-byte Folded Spill
	s_cbranch_scc0 .LBB120_61
; %bb.33:
	v_lshlrev_b64 v[1:2], 3, v[215:216]
	v_add_nc_u32_e32 v3, 0x4800, v0
	v_or_b32_e32 v0, 0x2000, v0
	v_lshlrev_b64 v[4:5], 3, v[217:218]
	v_mov_b32_e32 v37, v110
	v_mov_b32_e32 v35, v109
	s_clause 0x1
	scratch_store_b32 off, v3, off offset:376
	scratch_store_b32 off, v0, off offset:380
	v_add_co_u32 v0, vcc_lo, s24, v1
	s_add_i32 s24, s18, -8
	s_clause 0x1
	scratch_store_b64 off, v[4:5], off offset:316
	scratch_store_b32 off, v0, off offset:384
	v_add_co_ci_u32_e32 v0, vcc_lo, s25, v2, vcc_lo
	s_mov_b32 s25, 0
	scratch_store_b32 off, v0, off offset:388 ; 4-byte Folded Spill
.LBB120_34:                             ; =>This Loop Header: Depth=1
                                        ;     Child Loop BB120_45 Depth 2
                                        ;     Child Loop BB120_57 Depth 2
	v_add_nc_u32_e32 v0, s31, v95
	s_delay_alu instid0(VALU_DEP_1) | instskip(SKIP_1) | instid1(SALU_CYCLE_1)
	v_cmp_le_i32_e32 vcc_lo, s18, v0
	s_or_b32 s7, s2, vcc_lo
	v_cndmask_b32_e64 v7, 0, 0x7fefffff, s7
	v_cndmask_b32_e64 v6, 0, -1, s7
	s_or_b32 s7, s26, s7
	s_delay_alu instid0(SALU_CYCLE_1)
	s_xor_b32 s7, s7, -1
	s_mov_b32 s33, exec_lo
	v_mov_b32_e32 v41, v112
	v_mov_b32_e32 v39, v103
	;; [unrolled: 1-line block ×3, first 2 shown]
	s_and_b32 s7, s33, s7
	s_delay_alu instid0(SALU_CYCLE_1)
	s_mov_b32 exec_lo, s7
	s_cbranch_execz .LBB120_36
; %bb.35:                               ;   in Loop: Header=BB120_34 Depth=1
	v_mad_u64_u32 v[1:2], null, v0, s27, 0
	s_delay_alu instid0(VALU_DEP_1) | instskip(SKIP_2) | instid1(VALU_DEP_1)
	v_mad_u64_u32 v[6:7], null, v0, s28, v[2:3]
	scratch_load_b32 v3, off, off offset:384 ; 4-byte Folded Reload
	v_mov_b32_e32 v2, v6
	v_lshlrev_b64 v[1:2], 3, v[1:2]
	s_waitcnt vmcnt(0)
	s_delay_alu instid0(VALU_DEP_1)
	v_add_co_u32 v1, s7, v3, v1
	scratch_load_b32 v3, off, off offset:388 ; 4-byte Folded Reload
	s_waitcnt vmcnt(0)
	v_add_co_ci_u32_e64 v2, s7, v3, v2, s7
	flat_load_b64 v[1:2], v[1:2]
	s_waitcnt vmcnt(0) lgkmcnt(0)
	v_mul_f64 v[6:7], s[20:21], v[1:2]
.LBB120_36:                             ;   in Loop: Header=BB120_34 Depth=1
	s_or_b32 exec_lo, exec_lo, s33
	v_min_i32_e32 v2, s29, v0
	s_or_b32 s33, s3, vcc_lo
	s_delay_alu instid0(SALU_CYCLE_1) | instskip(SKIP_1) | instid1(VALU_DEP_3)
	v_cndmask_b32_e64 v9, 0, 0x7fefffff, s33
	v_cndmask_b32_e64 v8, 0, -1, s33
	v_mad_i64_i32 v[0:1], null, v2, s30, 0
	s_delay_alu instid0(VALU_DEP_1) | instskip(NEXT) | instid1(VALU_DEP_1)
	v_lshlrev_b64 v[0:1], 3, v[0:1]
	v_add_co_u32 v0, s7, s22, v0
	s_delay_alu instid0(VALU_DEP_1) | instskip(SKIP_1) | instid1(SALU_CYCLE_1)
	v_add_co_ci_u32_e64 v1, s7, s23, v1, s7
	s_or_b32 s7, s26, s33
	s_xor_b32 s7, s7, -1
	s_delay_alu instid0(SALU_CYCLE_1)
	s_and_saveexec_b32 s33, s7
	s_cbranch_execz .LBB120_38
; %bb.37:                               ;   in Loop: Header=BB120_34 Depth=1
	s_waitcnt vmcnt(0)
	v_add_co_u32 v2, s7, v0, v4
	s_delay_alu instid0(VALU_DEP_1)
	v_add_co_ci_u32_e64 v3, s7, v1, v5, s7
	flat_load_b64 v[2:3], v[2:3]
	s_waitcnt vmcnt(0) lgkmcnt(0)
	v_mul_f64 v[8:9], s[20:21], v[2:3]
.LBB120_38:                             ;   in Loop: Header=BB120_34 Depth=1
	s_or_b32 exec_lo, exec_lo, s33
	s_or_b32 s7, s4, vcc_lo
	s_delay_alu instid0(SALU_CYCLE_1) | instskip(SKIP_2) | instid1(SALU_CYCLE_1)
	v_cndmask_b32_e64 v11, 0, 0x7fefffff, s7
	v_cndmask_b32_e64 v10, 0, -1, s7
	s_or_b32 s7, s26, s7
	s_xor_b32 s7, s7, -1
	s_delay_alu instid0(SALU_CYCLE_1)
	s_and_saveexec_b32 s33, s7
	s_cbranch_execz .LBB120_40
; %bb.39:                               ;   in Loop: Header=BB120_34 Depth=1
	s_waitcnt vmcnt(0)
	v_add_co_u32 v2, s7, v0, v4
	s_delay_alu instid0(VALU_DEP_1)
	v_add_co_ci_u32_e64 v3, s7, v1, v5, s7
	flat_load_b64 v[2:3], v[2:3] offset:512
	s_waitcnt vmcnt(0) lgkmcnt(0)
	v_mul_f64 v[10:11], s[20:21], v[2:3]
.LBB120_40:                             ;   in Loop: Header=BB120_34 Depth=1
	s_or_b32 exec_lo, exec_lo, s33
	s_or_b32 s7, s5, vcc_lo
	s_clause 0x1
	scratch_store_b64 off, v[8:9], off offset:332
	scratch_store_b64 off, v[6:7], off offset:324
	v_cndmask_b32_e64 v3, 0, 0x7fefffff, s7
	v_cndmask_b32_e64 v2, 0, -1, s7
	s_or_b32 s7, s26, s7
	s_delay_alu instid0(SALU_CYCLE_1) | instskip(NEXT) | instid1(SALU_CYCLE_1)
	s_xor_b32 s7, s7, -1
	s_and_saveexec_b32 s33, s7
	s_cbranch_execz .LBB120_42
; %bb.41:                               ;   in Loop: Header=BB120_34 Depth=1
	s_waitcnt vmcnt(0)
	v_add_co_u32 v2, s7, v0, v4
	s_delay_alu instid0(VALU_DEP_1)
	v_add_co_ci_u32_e64 v3, s7, v1, v5, s7
	flat_load_b64 v[2:3], v[2:3] offset:1024
	s_waitcnt vmcnt(0) lgkmcnt(0)
	v_mul_f64 v[2:3], s[20:21], v[2:3]
.LBB120_42:                             ;   in Loop: Header=BB120_34 Depth=1
	s_or_b32 exec_lo, exec_lo, s33
	s_or_b32 s7, s6, vcc_lo
	v_mov_b32_e32 v40, v204
	v_dual_mov_b32 v74, v193 :: v_dual_mov_b32 v43, v56
	v_mov_b32_e32 v72, v203
	v_mov_b32_e32 v70, v200
	;; [unrolled: 1-line block ×3, first 2 shown]
	v_cndmask_b32_e64 v7, 0, 0x7fefffff, s7
	v_cndmask_b32_e64 v6, 0, -1, s7
	s_or_b32 s7, s26, s7
	scratch_store_b64 off, v[10:11], off offset:340 ; 8-byte Folded Spill
	s_xor_b32 s33, s7, -1
	s_delay_alu instid0(SALU_CYCLE_1)
	s_and_saveexec_b32 s7, s33
	s_cbranch_execz .LBB120_44
; %bb.43:                               ;   in Loop: Header=BB120_34 Depth=1
	s_waitcnt vmcnt(0)
	v_add_co_u32 v0, vcc_lo, v0, v4
	v_add_co_ci_u32_e32 v1, vcc_lo, v1, v5, vcc_lo
	flat_load_b64 v[0:1], v[0:1] offset:1536
	s_waitcnt vmcnt(0) lgkmcnt(0)
	v_mul_f64 v[6:7], s[20:21], v[0:1]
.LBB120_44:                             ;   in Loop: Header=BB120_34 Depth=1
	s_or_b32 exec_lo, exec_lo, s7
	v_dual_mov_b32 v51, v113 :: v_dual_mov_b32 v52, v114
	v_dual_mov_b32 v48, v57 :: v_dual_mov_b32 v193, v59
	v_mov_b32_e32 v68, v61
	v_mov_b32_e32 v34, v211
	s_mov_b32 s33, 0
	s_mov_b32 s7, -1
	s_clause 0x1
	scratch_store_b64 off, v[6:7], off offset:356
	scratch_store_b64 off, v[2:3], off offset:348
.LBB120_45:                             ;   Parent Loop BB120_34 Depth=1
                                        ; =>  This Inner Loop Header: Depth=2
	s_lshl_b32 s33, s33, 3
	v_mov_b32_e32 v148, v49
	v_lshl_add_u32 v29, v214, 5, s33
	s_waitcnt vmcnt(0)
	v_lshl_add_u32 v4, v63, 5, s33
	s_mov_b32 s33, 2
	s_and_not1_b32 vcc_lo, exec_lo, s7
	s_mov_b32 s7, 0
	ds_load_b128 v[44:47], v29 offset:8192
	ds_load_b128 v[0:3], v4 offset:18432
	;; [unrolled: 1-line block ×4, first 2 shown]
	s_waitcnt lgkmcnt(2)
	v_add_f64 v[142:143], v[2:3], v[46:47]
	s_waitcnt lgkmcnt(1)
	v_add_f64 v[5:6], v[151:152], v[46:47]
	v_add_f64 v[66:67], v[0:1], v[44:45]
	scratch_store_b64 off, v[5:6], off offset:16 ; 8-byte Folded Spill
	v_add_f64 v[5:6], v[149:150], v[44:45]
	scratch_store_b64 off, v[5:6], off offset:72 ; 8-byte Folded Spill
	ds_load_b128 v[157:160], v4 offset:18944
	ds_load_b128 v[161:164], v4 offset:19200
	s_waitcnt lgkmcnt(1)
	v_add_f64 v[5:6], v[159:160], v[46:47]
	scratch_store_b64 off, v[5:6], off offset:48 ; 8-byte Folded Spill
	v_add_f64 v[5:6], v[157:158], v[44:45]
	scratch_store_b64 off, v[5:6], off offset:104 ; 8-byte Folded Spill
	s_waitcnt lgkmcnt(0)
	v_add_f64 v[5:6], v[163:164], v[46:47]
	scratch_store_b64 off, v[5:6], off offset:24 ; 8-byte Folded Spill
	v_add_f64 v[5:6], v[161:162], v[44:45]
	scratch_store_b64 off, v[5:6], off offset:80 ; 8-byte Folded Spill
	ds_load_b128 v[165:168], v4 offset:19456
	ds_load_b128 v[169:172], v4 offset:19712
	s_waitcnt lgkmcnt(1)
	v_add_f64 v[5:6], v[167:168], v[46:47]
	scratch_store_b64 off, v[5:6], off offset:56 ; 8-byte Folded Spill
	v_add_f64 v[5:6], v[165:166], v[44:45]
	scratch_store_b64 off, v[5:6], off offset:112 ; 8-byte Folded Spill
	s_waitcnt lgkmcnt(0)
	;; [unrolled: 12-line block ×3, first 2 shown]
	v_add_f64 v[4:5], v[179:180], v[46:47]
	v_dual_mov_b32 v47, v192 :: v_dual_mov_b32 v54, v119
	v_mov_b32_e32 v138, v184
	ds_load_b128 v[181:184], v29 offset:11264
	s_waitcnt lgkmcnt(0)
	v_add_f64 v[219:220], v[2:3], v[183:184]
	v_add_f64 v[221:222], v[0:1], v[181:182]
	;; [unrolled: 1-line block ×14, first 2 shown]
	scratch_store_b64 off, v[4:5], off offset:40 ; 8-byte Folded Spill
	v_add_f64 v[4:5], v[177:178], v[44:45]
	v_add_f64 v[247:248], v[179:180], v[183:184]
	;; [unrolled: 1-line block ×3, first 2 shown]
	scratch_store_b64 off, v[4:5], off offset:96 ; 8-byte Folded Spill
	v_add_f64 v[4:5], v[2:3], v[155:156]
	scratch_store_b64 off, v[4:5], off offset:128 ; 8-byte Folded Spill
	v_add_f64 v[4:5], v[0:1], v[153:154]
	;; [unrolled: 2-line block ×16, first 2 shown]
	ds_load_b128 v[153:156], v29 offset:10240
	s_waitcnt lgkmcnt(0)
	v_add_f64 v[16:17], v[2:3], v[155:156]
	v_add_f64 v[118:119], v[0:1], v[153:154]
	;; [unrolled: 1-line block ×9, first 2 shown]
	scratch_store_b64 off, v[4:5], off offset:248 ; 8-byte Folded Spill
	v_add_f64 v[4:5], v[167:168], v[155:156]
	scratch_store_b64 off, v[4:5], off offset:288 ; 8-byte Folded Spill
	v_add_f64 v[4:5], v[165:166], v[153:154]
	;; [unrolled: 2-line block ×7, first 2 shown]
	scratch_store_b64 off, v[4:5], off offset:280 ; 8-byte Folded Spill
	ds_load_b128 v[153:156], v29 offset:12288
	ds_load_b128 v[181:184], v29 offset:13312
	s_waitcnt lgkmcnt(1)
	v_add_f64 v[251:252], v[2:3], v[155:156]
	v_add_f64 v[253:254], v[0:1], v[153:154]
	;; [unrolled: 1-line block ×16, first 2 shown]
	s_waitcnt lgkmcnt(0)
	v_add_f64 v[88:89], v[2:3], v[183:184]
	v_add_f64 v[90:91], v[0:1], v[181:182]
	;; [unrolled: 1-line block ×16, first 2 shown]
	ds_load_b128 v[153:156], v29 offset:14336
	ds_load_b128 v[181:184], v29 offset:15360
	scratch_load_b64 v[49:50], off, off offset:72 ; 8-byte Folded Reload
	v_cvt_f32_f64_e32 v29, v[66:67]
	v_cvt_f32_f64_e32 v66, v[142:143]
	;; [unrolled: 1-line block ×5, first 2 shown]
	s_waitcnt lgkmcnt(1)
	v_add_f64 v[108:109], v[2:3], v[155:156]
	v_add_f64 v[112:113], v[151:152], v[155:156]
	;; [unrolled: 1-line block ×8, first 2 shown]
	s_waitcnt lgkmcnt(0)
	v_add_f64 v[2:3], v[2:3], v[183:184]
	v_add_f64 v[151:152], v[151:152], v[183:184]
	;; [unrolled: 1-line block ×14, first 2 shown]
	v_min3_f32 v141, v29, v66, v141
	v_add_f64 v[149:150], v[149:150], v[181:182]
	v_add_f64 v[157:158], v[157:158], v[181:182]
	;; [unrolled: 1-line block ×8, first 2 shown]
	v_min3_f32 v193, v6, v4, v193
	v_cvt_f32_f64_e32 v4, v[10:11]
	v_add_f64 v[153:154], v[177:178], v[153:154]
	v_add_f64 v[177:178], v[177:178], v[181:182]
	scratch_load_b32 v6, off, off offset:4  ; 4-byte Folded Reload
	v_cvt_f32_f64_e32 v0, v[0:1]
	v_cvt_f32_f64_e32 v1, v[2:3]
	scratch_load_b32 v2, off, off           ; 4-byte Folded Reload
	v_min3_f32 v43, v4, v5, v43
	v_cvt_f32_f64_e32 v4, v[14:15]
	v_cvt_f32_f64_e32 v5, v[26:27]
	v_min3_f32 v133, v0, v1, v133
	v_cvt_f32_f64_e32 v0, v[149:150]
	v_cvt_f32_f64_e32 v1, v[151:152]
	s_delay_alu instid0(VALU_DEP_4) | instskip(SKIP_2) | instid1(VALU_DEP_4)
	v_min3_f32 v48, v4, v5, v48
	v_cvt_f32_f64_e32 v4, v[78:79]
	v_cvt_f32_f64_e32 v5, v[76:77]
	v_min3_f32 v132, v0, v1, v132
	v_cvt_f32_f64_e32 v0, v[157:158]
	v_cvt_f32_f64_e32 v1, v[159:160]
	s_waitcnt vmcnt(2)
	v_cvt_f32_f64_e32 v29, v[49:50]
	scratch_load_b64 v[49:50], off, off offset:16 ; 8-byte Folded Reload
	s_waitcnt vmcnt(1)
	v_min3_f32 v2, v0, v1, v2
	v_cvt_f32_f64_e32 v0, v[161:162]
	v_cvt_f32_f64_e32 v1, v[163:164]
	scratch_store_b32 off, v2, off          ; 4-byte Folded Spill
	v_min3_f32 v130, v0, v1, v130
	v_cvt_f32_f64_e32 v0, v[165:166]
	v_cvt_f32_f64_e32 v1, v[167:168]
	s_delay_alu instid0(VALU_DEP_1) | instskip(SKIP_2) | instid1(VALU_DEP_1)
	v_min3_f32 v128, v0, v1, v128
	v_cvt_f32_f64_e32 v0, v[169:170]
	v_cvt_f32_f64_e32 v1, v[171:172]
	v_min3_f32 v126, v0, v1, v126
	v_cvt_f32_f64_e32 v0, v[173:174]
	v_cvt_f32_f64_e32 v1, v[175:176]
	s_delay_alu instid0(VALU_DEP_1) | instskip(SKIP_2) | instid1(VALU_DEP_1)
	v_min3_f32 v124, v0, v1, v124
	v_cvt_f32_f64_e32 v0, v[177:178]
	v_cvt_f32_f64_e32 v1, v[179:180]
	v_min3_f32 v122, v0, v1, v122
	s_waitcnt vmcnt(0)
	v_cvt_f32_f64_e32 v66, v[49:50]
	scratch_load_b64 v[49:50], off, off offset:104 ; 8-byte Folded Reload
	v_min3_f32 v140, v29, v66, v140
	s_waitcnt vmcnt(0)
	v_cvt_f32_f64_e32 v29, v[49:50]
	scratch_load_b64 v[49:50], off, off offset:48 ; 8-byte Folded Reload
	s_waitcnt vmcnt(0)
	v_cvt_f32_f64_e32 v66, v[49:50]
	scratch_load_b64 v[49:50], off, off offset:80 ; 8-byte Folded Reload
	v_min3_f32 v131, v29, v66, v131
	s_waitcnt vmcnt(0)
	v_cvt_f32_f64_e32 v29, v[49:50]
	scratch_load_b64 v[49:50], off, off offset:24 ; 8-byte Folded Reload
	;; [unrolled: 7-line block ×7, first 2 shown]
	s_waitcnt vmcnt(0)
	v_cvt_f32_f64_e32 v66, v[49:50]
	scratch_load_b64 v[49:50], off, off offset:152 ; 8-byte Folded Reload
	v_min3_f32 v28, v29, v66, v28
	scratch_load_b64 v[66:67], off, off offset:200 ; 8-byte Folded Reload
	s_waitcnt vmcnt(1)
	v_cvt_f32_f64_e32 v29, v[49:50]
	scratch_load_b64 v[49:50], off, off offset:144 ; 8-byte Folded Reload
	s_waitcnt vmcnt(0)
	v_cvt_f32_f64_e32 v50, v[49:50]
	s_delay_alu instid0(VALU_DEP_1)
	v_min3_f32 v127, v29, v50, v127
	scratch_load_b64 v[49:50], off, off offset:168 ; 8-byte Folded Reload
	s_waitcnt vmcnt(0)
	v_cvt_f32_f64_e32 v29, v[49:50]
	scratch_load_b64 v[49:50], off, off offset:160 ; 8-byte Folded Reload
	s_waitcnt vmcnt(0)
	v_cvt_f32_f64_e32 v50, v[49:50]
	s_delay_alu instid0(VALU_DEP_1)
	v_min3_f32 v201, v29, v50, v201
	scratch_load_b64 v[49:50], off, off offset:184 ; 8-byte Folded Reload
	s_waitcnt vmcnt(0)
	v_cvt_f32_f64_e32 v29, v[49:50]
	scratch_load_b64 v[49:50], off, off offset:176 ; 8-byte Folded Reload
	s_waitcnt vmcnt(0)
	v_cvt_f32_f64_e32 v44, v[49:50]
	v_mov_b32_e32 v49, v148
	s_delay_alu instid0(VALU_DEP_2)
	v_min3_f32 v137, v29, v44, v137
	v_cvt_f32_f64_e32 v29, v[66:67]
	scratch_load_b64 v[66:67], off, off offset:192 ; 8-byte Folded Reload
	s_waitcnt vmcnt(0)
	v_cvt_f32_f64_e32 v42, v[66:67]
	scratch_load_b64 v[66:67], off, off offset:216 ; 8-byte Folded Reload
	v_min3_f32 v35, v29, v42, v35
	s_waitcnt vmcnt(0)
	v_cvt_f32_f64_e32 v29, v[66:67]
	scratch_load_b64 v[66:67], off, off offset:208 ; 8-byte Folded Reload
	s_waitcnt vmcnt(0)
	v_cvt_f32_f64_e32 v42, v[66:67]
	scratch_load_b64 v[66:67], off, off offset:232 ; 8-byte Folded Reload
	v_min3_f32 v34, v29, v42, v34
	s_waitcnt vmcnt(0)
	;; [unrolled: 7-line block ×3, first 2 shown]
	v_cvt_f32_f64_e32 v29, v[66:67]
	scratch_load_b64 v[66:67], off, off offset:240 ; 8-byte Folded Reload
	s_waitcnt vmcnt(0)
	v_cvt_f32_f64_e32 v42, v[66:67]
	s_delay_alu instid0(VALU_DEP_1)
	v_min3_f32 v32, v29, v42, v32
	v_cvt_f32_f64_e32 v29, v[118:119]
	v_cvt_f32_f64_e32 v42, v[16:17]
	v_cvt_f32_f64_e32 v16, v[20:21]
	v_cvt_f32_f64_e32 v17, v[30:31]
	scratch_load_b64 v[20:21], off, off offset:288 ; 8-byte Folded Reload
	v_mov_b32_e32 v119, v54
	v_mov_b32_e32 v184, v138
	s_delay_alu instid0(VALU_DEP_2) | instskip(SKIP_4) | instid1(VALU_DEP_3)
	v_min3_f32 v119, v4, v5, v119
	v_cvt_f32_f64_e32 v4, v[82:83]
	v_cvt_f32_f64_e32 v5, v[80:81]
	v_min3_f32 v39, v29, v42, v39
	v_cvt_f32_f64_e32 v29, v[187:188]
	v_min3_f32 v55, v4, v5, v55
	v_cvt_f32_f64_e32 v4, v[86:87]
	v_cvt_f32_f64_e32 v5, v[84:85]
	s_delay_alu instid0(VALU_DEP_4) | instskip(SKIP_1) | instid1(VALU_DEP_3)
	v_min3_f32 v38, v29, v16, v38
	v_cvt_f32_f64_e32 v16, v[189:190]
	v_min3_f32 v117, v4, v5, v117
	v_cvt_f32_f64_e32 v4, v[90:91]
	v_cvt_f32_f64_e32 v5, v[88:89]
	s_delay_alu instid0(VALU_DEP_4) | instskip(SKIP_2) | instid1(VALU_DEP_4)
	v_min3_f32 v37, v16, v17, v37
	v_cvt_f32_f64_e32 v16, v[120:121]
	v_cvt_f32_f64_e32 v17, v[45:46]
	v_min3_f32 v116, v4, v5, v116
	v_cvt_f32_f64_e32 v4, v[94:95]
	v_cvt_f32_f64_e32 v5, v[92:93]
	s_delay_alu instid0(VALU_DEP_4) | instskip(SKIP_4) | instid1(VALU_DEP_1)
	v_min3_f32 v36, v16, v17, v36
	scratch_load_b64 v[16:17], off, off offset:304 ; 8-byte Folded Reload
	v_min3_f32 v53, v4, v5, v53
	v_cvt_f32_f64_e32 v4, v[24:25]
	v_cvt_f32_f64_e32 v5, v[22:23]
	v_min3_f32 v52, v4, v5, v52
	v_cvt_f32_f64_e32 v4, v[98:99]
	v_cvt_f32_f64_e32 v5, v[96:97]
	s_delay_alu instid0(VALU_DEP_1) | instskip(SKIP_2) | instid1(VALU_DEP_1)
	v_min3_f32 v51, v4, v5, v51
	v_cvt_f32_f64_e32 v4, v[58:59]
	v_cvt_f32_f64_e32 v5, v[56:57]
	v_min3_f32 v184, v4, v5, v184
	v_cvt_f32_f64_e32 v4, v[100:101]
	v_cvt_f32_f64_e32 v5, v[60:61]
	s_delay_alu instid0(VALU_DEP_1) | instskip(SKIP_2) | instid1(VALU_DEP_1)
	;; [unrolled: 7-line block ×3, first 2 shown]
	v_min3_f32 v139, v4, v5, v139
	v_cvt_f32_f64_e32 v4, v[110:111]
	v_cvt_f32_f64_e32 v5, v[108:109]
	v_min3_f32 v62, v4, v5, v62
	v_cvt_f32_f64_e32 v4, v[215:216]
	v_cvt_f32_f64_e32 v5, v[112:113]
	s_waitcnt vmcnt(0)
	v_cvt_f32_f64_e32 v16, v[16:17]
	v_cvt_f32_f64_e32 v17, v[20:21]
	scratch_load_b64 v[20:21], off, off offset:272 ; 8-byte Folded Reload
	v_min3_f32 v255, v4, v5, v255
	v_cvt_f32_f64_e32 v4, v[114:115]
	v_cvt_f32_f64_e32 v5, v[211:212]
	v_min3_f32 v41, v16, v17, v41
	v_cvt_f32_f64_e32 v16, v[191:192]
	v_mov_b32_e32 v192, v47
	s_delay_alu instid0(VALU_DEP_4) | instskip(SKIP_2) | instid1(VALU_DEP_1)
	v_min3_f32 v185, v4, v5, v185
	v_cvt_f32_f64_e32 v4, v[217:218]
	v_cvt_f32_f64_e32 v5, v[207:208]
	v_min3_f32 v136, v4, v5, v136
	v_cvt_f32_f64_e32 v4, v[213:214]
	scratch_load_b32 v214, off, off offset:8 ; 4-byte Folded Reload
	v_cvt_f32_f64_e32 v5, v[203:204]
	s_delay_alu instid0(VALU_DEP_1)
	v_min3_f32 v6, v4, v5, v6
	v_cvt_f32_f64_e32 v4, v[209:210]
	v_cvt_f32_f64_e32 v5, v[199:200]
	scratch_store_b32 off, v6, off offset:4 ; 4-byte Folded Spill
	v_min3_f32 v197, v4, v5, v197
	v_cvt_f32_f64_e32 v4, v[205:206]
	v_cvt_f32_f64_e32 v5, v[195:196]
	s_delay_alu instid0(VALU_DEP_1) | instskip(SKIP_2) | instid1(VALU_DEP_1)
	v_min3_f32 v135, v4, v5, v135
	v_cvt_f32_f64_e32 v4, v[153:154]
	v_cvt_f32_f64_e32 v5, v[155:156]
	v_min3_f32 v134, v4, v5, v134
	s_waitcnt vmcnt(1)
	v_cvt_f32_f64_e32 v17, v[20:21]
	scratch_load_b64 v[20:21], off, off offset:264 ; 8-byte Folded Reload
	v_min3_f32 v40, v16, v17, v40
	scratch_load_b64 v[16:17], off, off offset:296 ; 8-byte Folded Reload
	s_waitcnt vmcnt(0)
	v_cvt_f32_f64_e32 v16, v[16:17]
	v_cvt_f32_f64_e32 v17, v[20:21]
	scratch_load_b64 v[20:21], off, off offset:256 ; 8-byte Folded Reload
	v_min3_f32 v75, v16, v17, v75
	scratch_load_b64 v[16:17], off, off offset:280 ; 8-byte Folded Reload
	s_waitcnt vmcnt(0)
	v_cvt_f32_f64_e32 v16, v[16:17]
	v_cvt_f32_f64_e32 v17, v[20:21]
	s_delay_alu instid0(VALU_DEP_1) | instskip(SKIP_2) | instid1(VALU_DEP_1)
	v_min3_f32 v74, v16, v17, v74
	v_cvt_f32_f64_e32 v16, v[221:222]
	v_cvt_f32_f64_e32 v17, v[219:220]
	v_min3_f32 v192, v16, v17, v192
	v_cvt_f32_f64_e32 v16, v[225:226]
	v_cvt_f32_f64_e32 v17, v[223:224]
	s_delay_alu instid0(VALU_DEP_1) | instskip(SKIP_2) | instid1(VALU_DEP_1)
	v_min3_f32 v73, v16, v17, v73
	v_cvt_f32_f64_e32 v16, v[229:230]
	v_cvt_f32_f64_e32 v17, v[227:228]
	v_min3_f32 v72, v16, v17, v72
	;; [unrolled: 7-line block ×5, first 2 shown]
	v_cvt_f32_f64_e32 v16, v[146:147]
	v_cvt_f32_f64_e32 v17, v[144:145]
	s_delay_alu instid0(VALU_DEP_1)
	v_min3_f32 v194, v16, v17, v194
	s_cbranch_vccz .LBB120_45
; %bb.46:                               ;   in Loop: Header=BB120_34 Depth=1
	s_clause 0x2
	scratch_load_b32 v95, off, off offset:364
	scratch_load_b32 v1, off, off offset:372
	scratch_load_b64 v[2:3], off, off offset:324
	v_dual_mov_b32 v94, v68 :: v_dual_mov_b32 v59, v193
	v_mov_b32_e32 v57, v48
	v_dual_mov_b32 v114, v52 :: v_dual_mov_b32 v113, v51
	s_waitcnt vmcnt(2)
	v_add3_u32 v0, v95, s31, 4
	s_waitcnt vmcnt(0)
	ds_store_b64 v1, v[2:3]
	s_clause 0x2
	scratch_load_b32 v1, off, off offset:368
	scratch_load_b64 v[2:3], off, off offset:332
	scratch_load_b64 v[4:5], off, off offset:340
	v_cmp_le_i32_e32 vcc_lo, s18, v0
	s_or_b32 s7, s2, vcc_lo
	s_delay_alu instid0(SALU_CYCLE_1) | instskip(SKIP_2) | instid1(SALU_CYCLE_1)
	v_cndmask_b32_e64 v7, 0, 0x7fefffff, s7
	v_cndmask_b32_e64 v6, 0, -1, s7
	s_or_b32 s7, s26, s7
	s_xor_b32 s7, s7, -1
	s_waitcnt vmcnt(0)
	ds_store_2addr_stride64_b64 v1, v[2:3], v[4:5] offset1:4
	s_clause 0x1
	scratch_load_b64 v[2:3], off, off offset:348
	scratch_load_b64 v[4:5], off, off offset:356
	s_waitcnt vmcnt(0)
	ds_store_2addr_stride64_b64 v1, v[2:3], v[4:5] offset0:8 offset1:12
	s_waitcnt lgkmcnt(0)
	s_waitcnt_vscnt null, 0x0
	s_barrier
	buffer_gl0_inv
	s_and_saveexec_b32 s33, s7
	s_cbranch_execz .LBB120_48
; %bb.47:                               ;   in Loop: Header=BB120_34 Depth=1
	v_mad_u64_u32 v[1:2], null, v0, s27, 0
	s_delay_alu instid0(VALU_DEP_1) | instskip(SKIP_2) | instid1(VALU_DEP_1)
	v_mad_u64_u32 v[6:7], null, v0, s28, v[2:3]
	scratch_load_b32 v3, off, off offset:384 ; 4-byte Folded Reload
	v_mov_b32_e32 v2, v6
	v_lshlrev_b64 v[1:2], 3, v[1:2]
	s_waitcnt vmcnt(0)
	s_delay_alu instid0(VALU_DEP_1)
	v_add_co_u32 v1, s7, v3, v1
	scratch_load_b32 v3, off, off offset:388 ; 4-byte Folded Reload
	s_waitcnt vmcnt(0)
	v_add_co_ci_u32_e64 v2, s7, v3, v2, s7
	flat_load_b64 v[1:2], v[1:2]
	s_waitcnt vmcnt(0) lgkmcnt(0)
	v_mul_f64 v[6:7], s[20:21], v[1:2]
.LBB120_48:                             ;   in Loop: Header=BB120_34 Depth=1
	s_or_b32 exec_lo, exec_lo, s33
	v_min_i32_e32 v2, s29, v0
	s_or_b32 s33, s3, vcc_lo
	s_delay_alu instid0(SALU_CYCLE_1) | instskip(SKIP_1) | instid1(VALU_DEP_3)
	v_cndmask_b32_e64 v9, 0, 0x7fefffff, s33
	v_cndmask_b32_e64 v8, 0, -1, s33
	v_mad_i64_i32 v[0:1], null, v2, s30, 0
	s_delay_alu instid0(VALU_DEP_1) | instskip(NEXT) | instid1(VALU_DEP_1)
	v_lshlrev_b64 v[0:1], 3, v[0:1]
	v_add_co_u32 v0, s7, s22, v0
	s_delay_alu instid0(VALU_DEP_1) | instskip(SKIP_1) | instid1(SALU_CYCLE_1)
	v_add_co_ci_u32_e64 v1, s7, s23, v1, s7
	s_or_b32 s7, s26, s33
	s_xor_b32 s7, s7, -1
	s_mov_b32 s33, exec_lo
	scratch_load_b64 v[4:5], off, off offset:316 ; 8-byte Folded Reload
	v_mov_b32_e32 v199, v64
	s_and_b32 s7, s33, s7
	s_delay_alu instid0(SALU_CYCLE_1)
	s_mov_b32 exec_lo, s7
	s_cbranch_execz .LBB120_50
; %bb.49:                               ;   in Loop: Header=BB120_34 Depth=1
	s_waitcnt vmcnt(0)
	v_add_co_u32 v2, s7, v0, v4
	s_delay_alu instid0(VALU_DEP_1)
	v_add_co_ci_u32_e64 v3, s7, v1, v5, s7
	flat_load_b64 v[2:3], v[2:3]
	s_waitcnt vmcnt(0) lgkmcnt(0)
	v_mul_f64 v[8:9], s[20:21], v[2:3]
.LBB120_50:                             ;   in Loop: Header=BB120_34 Depth=1
	s_or_b32 exec_lo, exec_lo, s33
	s_or_b32 s7, s4, vcc_lo
	s_delay_alu instid0(SALU_CYCLE_1) | instskip(SKIP_2) | instid1(SALU_CYCLE_1)
	v_cndmask_b32_e64 v11, 0, 0x7fefffff, s7
	v_cndmask_b32_e64 v10, 0, -1, s7
	s_or_b32 s7, s26, s7
	s_xor_b32 s7, s7, -1
	s_delay_alu instid0(SALU_CYCLE_1)
	s_and_saveexec_b32 s33, s7
	s_cbranch_execz .LBB120_52
; %bb.51:                               ;   in Loop: Header=BB120_34 Depth=1
	s_waitcnt vmcnt(0)
	v_add_co_u32 v2, s7, v0, v4
	s_delay_alu instid0(VALU_DEP_1)
	v_add_co_ci_u32_e64 v3, s7, v1, v5, s7
	flat_load_b64 v[2:3], v[2:3] offset:512
	s_waitcnt vmcnt(0) lgkmcnt(0)
	v_mul_f64 v[10:11], s[20:21], v[2:3]
.LBB120_52:                             ;   in Loop: Header=BB120_34 Depth=1
	s_or_b32 exec_lo, exec_lo, s33
	s_or_b32 s7, s5, vcc_lo
	s_clause 0x1
	scratch_store_b64 off, v[8:9], off offset:296
	scratch_store_b64 off, v[6:7], off offset:288
	v_cndmask_b32_e64 v3, 0, 0x7fefffff, s7
	v_cndmask_b32_e64 v2, 0, -1, s7
	s_or_b32 s7, s26, s7
	s_delay_alu instid0(SALU_CYCLE_1) | instskip(NEXT) | instid1(SALU_CYCLE_1)
	s_xor_b32 s7, s7, -1
	s_and_saveexec_b32 s33, s7
	s_cbranch_execz .LBB120_54
; %bb.53:                               ;   in Loop: Header=BB120_34 Depth=1
	s_waitcnt vmcnt(0)
	v_add_co_u32 v2, s7, v0, v4
	s_delay_alu instid0(VALU_DEP_1)
	v_add_co_ci_u32_e64 v3, s7, v1, v5, s7
	flat_load_b64 v[2:3], v[2:3] offset:1024
	s_waitcnt vmcnt(0) lgkmcnt(0)
	v_mul_f64 v[2:3], s[20:21], v[2:3]
.LBB120_54:                             ;   in Loop: Header=BB120_34 Depth=1
	s_or_b32 exec_lo, exec_lo, s33
	s_or_b32 s7, s6, vcc_lo
	v_mov_b32_e32 v112, v41
	v_mov_b32_e32 v50, v194
	;; [unrolled: 1-line block ×3, first 2 shown]
	v_cndmask_b32_e64 v7, 0, 0x7fefffff, s7
	v_cndmask_b32_e64 v6, 0, -1, s7
	s_or_b32 s7, s26, s7
	scratch_store_b64 off, v[10:11], off offset:304 ; 8-byte Folded Spill
	s_xor_b32 s33, s7, -1
	s_delay_alu instid0(SALU_CYCLE_1)
	s_and_saveexec_b32 s7, s33
	s_cbranch_execz .LBB120_56
; %bb.55:                               ;   in Loop: Header=BB120_34 Depth=1
	s_waitcnt vmcnt(0)
	v_add_co_u32 v0, vcc_lo, v0, v4
	v_add_co_ci_u32_e32 v1, vcc_lo, v1, v5, vcc_lo
	flat_load_b64 v[0:1], v[0:1] offset:1536
	s_waitcnt vmcnt(0) lgkmcnt(0)
	v_mul_f64 v[6:7], s[20:21], v[0:1]
.LBB120_56:                             ;   in Loop: Header=BB120_34 Depth=1
	s_or_b32 exec_lo, exec_lo, s7
	v_dual_mov_b32 v254, v62 :: v_dual_mov_b32 v103, v39
	v_dual_mov_b32 v148, v139 :: v_dual_mov_b32 v61, v74
	;; [unrolled: 1-line block ×3, first 2 shown]
	v_mov_b32_e32 v52, v116
	v_mov_b32_e32 v54, v117
	;; [unrolled: 1-line block ×12, first 2 shown]
	s_mov_b32 s33, 0
	s_mov_b32 s7, -1
	s_clause 0x1
	scratch_store_b64 off, v[6:7], off offset:332
	scratch_store_b64 off, v[2:3], off offset:324
.LBB120_57:                             ;   Parent Loop BB120_34 Depth=1
                                        ; =>  This Inner Loop Header: Depth=2
	s_lshl_b32 s33, s33, 3
	v_dual_mov_b32 v107, v37 :: v_dual_mov_b32 v8, v184
	v_lshl_add_u32 v26, v214, 5, s33
	s_waitcnt vmcnt(0)
	v_lshl_add_u32 v4, v63, 5, s33
	v_mov_b32_e32 v109, v35
	v_mov_b32_e32 v51, v199
	ds_load_b128 v[44:47], v26
	ds_load_b128 v[0:3], v4 offset:16384
	ds_load_b128 v[149:152], v4 offset:16640
	;; [unrolled: 1-line block ×3, first 2 shown]
	v_mov_b32_e32 v11, v132
	v_mov_b32_e32 v43, v133
	s_mov_b32 s33, 2
	s_and_not1_b32 vcc_lo, exec_lo, s7
	s_mov_b32 s7, 0
	s_waitcnt lgkmcnt(2)
	v_add_f64 v[62:63], v[2:3], v[46:47]
	s_waitcnt lgkmcnt(1)
	v_add_f64 v[5:6], v[151:152], v[46:47]
	v_add_f64 v[37:38], v[0:1], v[44:45]
	s_delay_alu instid0(VALU_DEP_3)
	v_cvt_f32_f64_e32 v62, v[62:63]
	scratch_store_b64 off, v[5:6], off offset:16 ; 8-byte Folded Spill
	v_add_f64 v[5:6], v[149:150], v[44:45]
	v_cvt_f32_f64_e32 v37, v[37:38]
	scratch_store_b64 off, v[5:6], off offset:72 ; 8-byte Folded Spill
	ds_load_b128 v[157:160], v4 offset:16896
	ds_load_b128 v[161:164], v4 offset:17152
	v_min3_f32 v141, v37, v62, v141
	s_waitcnt lgkmcnt(1)
	v_add_f64 v[5:6], v[159:160], v[46:47]
	s_waitcnt lgkmcnt(0)
	v_add_f64 v[35:36], v[161:162], v[153:154]
	scratch_store_b64 off, v[5:6], off offset:48 ; 8-byte Folded Spill
	v_add_f64 v[5:6], v[157:158], v[44:45]
	scratch_store_b64 off, v[5:6], off offset:104 ; 8-byte Folded Spill
	v_add_f64 v[5:6], v[163:164], v[46:47]
	scratch_store_b64 off, v[5:6], off offset:24 ; 8-byte Folded Spill
	v_add_f64 v[5:6], v[161:162], v[44:45]
	scratch_store_b64 off, v[5:6], off offset:80 ; 8-byte Folded Spill
	ds_load_b128 v[165:168], v4 offset:17408
	ds_load_b128 v[169:172], v4 offset:17664
	s_waitcnt lgkmcnt(1)
	v_add_f64 v[5:6], v[167:168], v[46:47]
	s_waitcnt lgkmcnt(0)
	v_add_f64 v[29:30], v[169:170], v[153:154]
	scratch_store_b64 off, v[5:6], off offset:56 ; 8-byte Folded Spill
	v_add_f64 v[5:6], v[165:166], v[44:45]
	v_cvt_f32_f64_e32 v29, v[29:30]
	scratch_store_b64 off, v[5:6], off offset:112 ; 8-byte Folded Spill
	v_add_f64 v[5:6], v[171:172], v[46:47]
	scratch_store_b64 off, v[5:6], off offset:32 ; 8-byte Folded Spill
	v_add_f64 v[5:6], v[169:170], v[44:45]
	scratch_store_b64 off, v[5:6], off offset:88 ; 8-byte Folded Spill
	ds_load_b128 v[173:176], v4 offset:17920
	ds_load_b128 v[177:180], v4 offset:18176
	;; [unrolled: 1-line block ×3, first 2 shown]
	s_waitcnt lgkmcnt(2)
	v_add_f64 v[4:5], v[175:176], v[46:47]
	s_waitcnt lgkmcnt(0)
	v_add_f64 v[110:111], v[2:3], v[183:184]
	v_add_f64 v[78:79], v[151:152], v[183:184]
	;; [unrolled: 1-line block ×14, first 2 shown]
	scratch_store_b64 off, v[4:5], off offset:64 ; 8-byte Folded Spill
	v_add_f64 v[4:5], v[173:174], v[44:45]
	v_cvt_f32_f64_e32 v24, v[24:25]
	v_cvt_f32_f64_e32 v20, v[20:21]
	;; [unrolled: 1-line block ×5, first 2 shown]
	scratch_store_b64 off, v[4:5], off offset:120 ; 8-byte Folded Spill
	v_add_f64 v[4:5], v[179:180], v[46:47]
	v_add_f64 v[46:47], v[0:1], v[181:182]
	v_min3_f32 v68, v20, v21, v68
	v_cvt_f32_f64_e32 v20, v[195:196]
	v_cvt_f32_f64_e32 v21, v[33:34]
	scratch_store_b64 off, v[4:5], off offset:40 ; 8-byte Folded Spill
	v_add_f64 v[4:5], v[177:178], v[44:45]
	v_add_f64 v[44:45], v[163:164], v[183:184]
	v_min3_f32 v69, v20, v21, v69
	v_cvt_f32_f64_e32 v20, v[199:200]
	v_mov_b32_e32 v199, v51
	scratch_store_b64 off, v[4:5], off offset:96 ; 8-byte Folded Spill
	v_add_f64 v[4:5], v[2:3], v[155:156]
	v_cvt_f32_f64_e32 v25, v[44:45]
	v_min3_f32 v94, v20, v18, v94
	v_cvt_f32_f64_e32 v18, v[204:205]
	scratch_store_b64 off, v[4:5], off offset:128 ; 8-byte Folded Spill
	v_add_f64 v[4:5], v[0:1], v[153:154]
	v_min3_f32 v71, v24, v25, v71
	v_min3_f32 v60, v18, v16, v60
	scratch_store_b64 off, v[4:5], off offset:136 ; 8-byte Folded Spill
	v_add_f64 v[4:5], v[151:152], v[155:156]
	scratch_store_b64 off, v[4:5], off offset:144 ; 8-byte Folded Spill
	v_add_f64 v[4:5], v[149:150], v[153:154]
	scratch_store_b64 off, v[4:5], off offset:152 ; 8-byte Folded Spill
	v_add_f64 v[4:5], v[159:160], v[155:156]
	scratch_store_b64 off, v[4:5], off offset:160 ; 8-byte Folded Spill
	v_add_f64 v[4:5], v[157:158], v[153:154]
	scratch_store_b64 off, v[4:5], off offset:168 ; 8-byte Folded Spill
	v_add_f64 v[4:5], v[163:164], v[155:156]
	scratch_store_b64 off, v[4:5], off offset:176 ; 8-byte Folded Spill
	v_add_f64 v[4:5], v[167:168], v[155:156]
	scratch_store_b64 off, v[4:5], off offset:184 ; 8-byte Folded Spill
	v_add_f64 v[4:5], v[165:166], v[153:154]
	scratch_store_b64 off, v[4:5], off offset:192 ; 8-byte Folded Spill
	v_add_f64 v[4:5], v[171:172], v[155:156]
	scratch_store_b64 off, v[4:5], off offset:200 ; 8-byte Folded Spill
	v_add_f64 v[4:5], v[175:176], v[155:156]
	scratch_store_b64 off, v[4:5], off offset:208 ; 8-byte Folded Spill
	v_add_f64 v[4:5], v[173:174], v[153:154]
	scratch_store_b64 off, v[4:5], off offset:216 ; 8-byte Folded Spill
	v_add_f64 v[4:5], v[179:180], v[155:156]
	scratch_store_b64 off, v[4:5], off offset:224 ; 8-byte Folded Spill
	v_add_f64 v[4:5], v[177:178], v[153:154]
	ds_load_b128 v[153:156], v26 offset:2048
	s_waitcnt lgkmcnt(0)
	v_add_f64 v[82:83], v[2:3], v[155:156]
	v_add_f64 v[80:81], v[0:1], v[153:154]
	;; [unrolled: 1-line block ×10, first 2 shown]
	scratch_store_b64 off, v[4:5], off offset:232 ; 8-byte Folded Spill
	v_add_f64 v[4:5], v[167:168], v[155:156]
	scratch_store_b64 off, v[4:5], off offset:272 ; 8-byte Folded Spill
	v_add_f64 v[4:5], v[171:172], v[155:156]
	;; [unrolled: 2-line block ×6, first 2 shown]
	scratch_store_b64 off, v[4:5], off offset:264 ; 8-byte Folded Spill
	ds_load_b128 v[153:156], v26 offset:4096
	ds_load_b128 v[181:184], v26 offset:5120
	s_waitcnt lgkmcnt(1)
	v_add_f64 v[206:207], v[2:3], v[155:156]
	v_add_f64 v[208:209], v[0:1], v[153:154]
	v_add_f64 v[210:211], v[151:152], v[155:156]
	v_add_f64 v[212:213], v[149:150], v[153:154]
	v_add_f64 v[214:215], v[159:160], v[155:156]
	v_add_f64 v[216:217], v[157:158], v[153:154]
	v_add_f64 v[218:219], v[163:164], v[155:156]
	v_add_f64 v[220:221], v[161:162], v[153:154]
	v_add_f64 v[222:223], v[167:168], v[155:156]
	v_add_f64 v[224:225], v[165:166], v[153:154]
	v_add_f64 v[226:227], v[171:172], v[155:156]
	v_add_f64 v[228:229], v[169:170], v[153:154]
	v_add_f64 v[230:231], v[175:176], v[155:156]
	v_add_f64 v[232:233], v[173:174], v[153:154]
	v_add_f64 v[234:235], v[179:180], v[155:156]
	v_add_f64 v[236:237], v[177:178], v[153:154]
	s_waitcnt lgkmcnt(0)
	v_add_f64 v[238:239], v[2:3], v[183:184]
	v_add_f64 v[240:241], v[0:1], v[181:182]
	;; [unrolled: 1-line block ×16, first 2 shown]
	ds_load_b128 v[153:156], v26 offset:6144
	ds_load_b128 v[181:184], v26 offset:7168
	s_clause 0x1
	scratch_load_b32 v63, off, off offset:312
	scratch_load_b64 v[37:38], off, off offset:72
	v_cvt_f32_f64_e32 v17, v[206:207]
	v_cvt_f32_f64_e32 v16, v[208:209]
	s_waitcnt lgkmcnt(1)
	v_add_f64 v[187:188], v[0:1], v[153:154]
	v_add_f64 v[191:192], v[149:150], v[153:154]
	;; [unrolled: 1-line block ×8, first 2 shown]
	s_waitcnt lgkmcnt(0)
	v_add_f64 v[0:1], v[0:1], v[181:182]
	v_add_f64 v[149:150], v[149:150], v[181:182]
	;; [unrolled: 1-line block ×8, first 2 shown]
	scratch_load_b64 v[181:182], off, off offset:16 ; 8-byte Folded Reload
	v_add_f64 v[118:119], v[2:3], v[155:156]
	v_add_f64 v[189:190], v[151:152], v[155:156]
	;; [unrolled: 1-line block ×9, first 2 shown]
	v_min3_f32 v199, v16, v17, v199
	v_cvt_f32_f64_e32 v16, v[212:213]
	v_cvt_f32_f64_e32 v17, v[210:211]
	v_add_f64 v[151:152], v[151:152], v[183:184]
	v_add_f64 v[159:160], v[159:160], v[183:184]
	;; [unrolled: 1-line block ×7, first 2 shown]
	v_mov_b32_e32 v184, v8
	v_cvt_f32_f64_e32 v8, v[6:7]
	v_cvt_f32_f64_e32 v6, v[31:32]
	;; [unrolled: 1-line block ×7, first 2 shown]
	scratch_load_b32 v2, off, off           ; 4-byte Folded Reload
	v_min3_f32 v50, v16, v17, v50
	v_cvt_f32_f64_e32 v17, v[214:215]
	scratch_load_b32 v214, off, off offset:8 ; 4-byte Folded Reload
	v_cvt_f32_f64_e32 v16, v[216:217]
	v_min3_f32 v184, v8, v6, v184
	v_cvt_f32_f64_e32 v6, v[22:23]
	v_min3_f32 v48, v4, v5, v48
	v_cvt_f32_f64_e32 v4, v[116:117]
	v_cvt_f32_f64_e32 v5, v[12:13]
	v_min3_f32 v59, v16, v17, v59
	v_cvt_f32_f64_e32 v16, v[220:221]
	v_cvt_f32_f64_e32 v17, v[218:219]
	v_min3_f32 v49, v6, v7, v49
	scratch_load_b32 v6, off, off offset:4  ; 4-byte Folded Reload
	v_min3_f32 v148, v4, v5, v148
	v_cvt_f32_f64_e32 v4, v[187:188]
	v_cvt_f32_f64_e32 v5, v[118:119]
	v_min3_f32 v58, v16, v17, v58
	v_cvt_f32_f64_e32 v16, v[224:225]
	v_cvt_f32_f64_e32 v17, v[222:223]
	s_delay_alu instid0(VALU_DEP_4) | instskip(SKIP_2) | instid1(VALU_DEP_4)
	v_min3_f32 v254, v4, v5, v254
	v_cvt_f32_f64_e32 v4, v[191:192]
	v_cvt_f32_f64_e32 v5, v[189:190]
	v_min3_f32 v57, v16, v17, v57
	v_cvt_f32_f64_e32 v16, v[228:229]
	v_cvt_f32_f64_e32 v17, v[226:227]
	s_delay_alu instid0(VALU_DEP_4) | instskip(SKIP_2) | instid1(VALU_DEP_4)
	;; [unrolled: 7-line block ×4, first 2 shown]
	v_min3_f32 v136, v4, v5, v136
	v_cvt_f32_f64_e32 v4, v[64:65]
	v_cvt_f32_f64_e32 v5, v[202:203]
	v_min3_f32 v54, v16, v17, v54
	v_cvt_f32_f64_e32 v16, v[240:241]
	v_cvt_f32_f64_e32 v17, v[238:239]
	s_waitcnt vmcnt(3)
	v_cvt_f32_f64_e32 v62, v[181:182]
	scratch_load_b64 v[181:182], off, off offset:48 ; 8-byte Folded Reload
	v_cvt_f32_f64_e32 v37, v[37:38]
	v_min3_f32 v52, v16, v17, v52
	v_cvt_f32_f64_e32 v16, v[244:245]
	v_cvt_f32_f64_e32 v17, v[242:243]
	s_delay_alu instid0(VALU_DEP_4) | instskip(SKIP_4) | instid1(VALU_DEP_1)
	v_min3_f32 v140, v37, v62, v140
	scratch_load_b64 v[37:38], off, off offset:104 ; 8-byte Folded Reload
	v_min3_f32 v53, v16, v17, v53
	v_cvt_f32_f64_e32 v16, v[248:249]
	v_cvt_f32_f64_e32 v17, v[246:247]
	v_min3_f32 v114, v16, v17, v114
	v_cvt_f32_f64_e32 v16, v[252:253]
	v_cvt_f32_f64_e32 v17, v[250:251]
	s_waitcnt vmcnt(2)
	v_min3_f32 v6, v4, v5, v6
	v_cvt_f32_f64_e32 v4, v[76:77]
	v_cvt_f32_f64_e32 v5, v[66:67]
	s_delay_alu instid0(VALU_DEP_4) | instskip(NEXT) | instid1(VALU_DEP_2)
	v_min3_f32 v113, v16, v17, v113
	v_min3_f32 v197, v4, v5, v197
	v_cvt_f32_f64_e32 v4, v[132:133]
	v_mov_b32_e32 v132, v11
	v_mov_b32_e32 v133, v43
	v_cvt_f32_f64_e32 v5, v[9:10]
	s_delay_alu instid0(VALU_DEP_2) | instskip(SKIP_2) | instid1(VALU_DEP_4)
	v_min3_f32 v133, v0, v1, v133
	v_cvt_f32_f64_e32 v0, v[149:150]
	v_cvt_f32_f64_e32 v1, v[151:152]
	v_min3_f32 v135, v4, v5, v135
	v_cvt_f32_f64_e32 v4, v[153:154]
	v_cvt_f32_f64_e32 v5, v[155:156]
	s_delay_alu instid0(VALU_DEP_4) | instskip(SKIP_2) | instid1(VALU_DEP_4)
	v_min3_f32 v132, v0, v1, v132
	v_cvt_f32_f64_e32 v0, v[157:158]
	v_cvt_f32_f64_e32 v1, v[159:160]
	v_min3_f32 v134, v4, v5, v134
	s_delay_alu instid0(VALU_DEP_2)
	v_min3_f32 v2, v0, v1, v2
	v_cvt_f32_f64_e32 v0, v[161:162]
	v_cvt_f32_f64_e32 v1, v[163:164]
	s_clause 0x1
	scratch_store_b32 off, v6, off offset:4
	scratch_store_b32 off, v2, off
	v_min3_f32 v130, v0, v1, v130
	v_cvt_f32_f64_e32 v0, v[165:166]
	v_cvt_f32_f64_e32 v1, v[167:168]
	s_delay_alu instid0(VALU_DEP_1) | instskip(SKIP_2) | instid1(VALU_DEP_1)
	v_min3_f32 v128, v0, v1, v128
	v_cvt_f32_f64_e32 v0, v[169:170]
	v_cvt_f32_f64_e32 v1, v[171:172]
	v_min3_f32 v126, v0, v1, v126
	v_cvt_f32_f64_e32 v0, v[173:174]
	v_cvt_f32_f64_e32 v1, v[175:176]
	s_waitcnt vmcnt(0)
	v_cvt_f32_f64_e32 v37, v[37:38]
	v_cvt_f32_f64_e32 v38, v[181:182]
	scratch_load_b64 v[181:182], off, off offset:24 ; 8-byte Folded Reload
	v_min3_f32 v124, v0, v1, v124
	v_cvt_f32_f64_e32 v0, v[177:178]
	v_cvt_f32_f64_e32 v1, v[179:180]
	v_min3_f32 v131, v37, v38, v131
	scratch_load_b64 v[37:38], off, off offset:80 ; 8-byte Folded Reload
	v_min3_f32 v122, v0, v1, v122
	s_waitcnt vmcnt(0)
	v_cvt_f32_f64_e32 v37, v[37:38]
	v_cvt_f32_f64_e32 v38, v[181:182]
	scratch_load_b64 v[181:182], off, off offset:56 ; 8-byte Folded Reload
	v_min3_f32 v186, v37, v38, v186
	scratch_load_b64 v[37:38], off, off offset:112 ; 8-byte Folded Reload
	s_waitcnt vmcnt(0)
	v_cvt_f32_f64_e32 v37, v[37:38]
	v_cvt_f32_f64_e32 v38, v[181:182]
	scratch_load_b64 v[181:182], off, off offset:32 ; 8-byte Folded Reload
	v_min3_f32 v125, v37, v38, v125
	scratch_load_b64 v[37:38], off, off offset:88 ; 8-byte Folded Reload
	;; [unrolled: 6-line block ×7, first 2 shown]
	s_waitcnt vmcnt(0)
	v_cvt_f32_f64_e32 v37, v[37:38]
	v_cvt_f32_f64_e32 v38, v[181:182]
	scratch_load_b64 v[181:182], off, off offset:184 ; 8-byte Folded Reload
	v_min3_f32 v201, v37, v38, v201
	v_cvt_f32_f64_e32 v37, v[35:36]
	scratch_load_b64 v[35:36], off, off offset:176 ; 8-byte Folded Reload
	s_waitcnt vmcnt(0)
	v_cvt_f32_f64_e32 v35, v[35:36]
	s_delay_alu instid0(VALU_DEP_1)
	v_min3_f32 v137, v37, v35, v137
	scratch_load_b64 v[35:36], off, off offset:192 ; 8-byte Folded Reload
	v_mov_b32_e32 v37, v107
	s_waitcnt vmcnt(0)
	v_cvt_f32_f64_e32 v35, v[35:36]
	v_cvt_f32_f64_e32 v36, v[181:182]
	scratch_load_b64 v[181:182], off, off offset:200 ; 8-byte Folded Reload
	v_min3_f32 v109, v35, v36, v109
	s_delay_alu instid0(VALU_DEP_1)
	v_mov_b32_e32 v35, v109
	s_waitcnt vmcnt(0)
	v_cvt_f32_f64_e32 v30, v[181:182]
	scratch_load_b64 v[181:182], off, off offset:208 ; 8-byte Folded Reload
	v_min3_f32 v108, v29, v30, v108
	scratch_load_b64 v[29:30], off, off offset:216 ; 8-byte Folded Reload
	s_waitcnt vmcnt(0)
	v_cvt_f32_f64_e32 v29, v[29:30]
	v_cvt_f32_f64_e32 v30, v[181:182]
	scratch_load_b64 v[181:182], off, off offset:224 ; 8-byte Folded Reload
	v_min3_f32 v99, v29, v30, v99
	scratch_load_b64 v[29:30], off, off offset:232 ; 8-byte Folded Reload
	s_waitcnt vmcnt(0)
	v_cvt_f32_f64_e32 v29, v[29:30]
	v_cvt_f32_f64_e32 v30, v[181:182]
	s_delay_alu instid0(VALU_DEP_1) | instskip(SKIP_3) | instid1(VALU_DEP_1)
	v_min3_f32 v98, v29, v30, v98
	v_cvt_f32_f64_e32 v29, v[80:81]
	scratch_load_b64 v[80:81], off, off offset:272 ; 8-byte Folded Reload
	v_cvt_f32_f64_e32 v30, v[82:83]
	v_min3_f32 v103, v29, v30, v103
	v_cvt_f32_f64_e32 v29, v[84:85]
	v_cvt_f32_f64_e32 v30, v[86:87]
	s_delay_alu instid0(VALU_DEP_1) | instskip(SKIP_2) | instid1(VALU_DEP_1)
	v_min3_f32 v102, v29, v30, v102
	v_cvt_f32_f64_e32 v29, v[88:89]
	v_cvt_f32_f64_e32 v30, v[90:91]
	v_min3_f32 v37, v29, v30, v37
	v_cvt_f32_f64_e32 v29, v[92:93]
	v_cvt_f32_f64_e32 v30, v[104:105]
	s_delay_alu instid0(VALU_DEP_1)
	v_min3_f32 v106, v29, v30, v106
	v_cvt_f32_f64_e32 v29, v[96:97]
	s_waitcnt vmcnt(0)
	v_cvt_f32_f64_e32 v30, v[80:81]
	scratch_load_b64 v[80:81], off, off offset:256 ; 8-byte Folded Reload
	v_min3_f32 v112, v29, v30, v112
	v_cvt_f32_f64_e32 v29, v[100:101]
	s_waitcnt vmcnt(0)
	v_cvt_f32_f64_e32 v30, v[80:81]
	scratch_load_b64 v[80:81], off, off offset:248 ; 8-byte Folded Reload
	v_min3_f32 v74, v29, v30, v74
	scratch_load_b64 v[29:30], off, off offset:280 ; 8-byte Folded Reload
	s_waitcnt vmcnt(0)
	v_cvt_f32_f64_e32 v29, v[29:30]
	v_cvt_f32_f64_e32 v30, v[80:81]
	scratch_load_b64 v[80:81], off, off offset:240 ; 8-byte Folded Reload
	v_min3_f32 v75, v29, v30, v75
	scratch_load_b64 v[29:30], off, off offset:264 ; 8-byte Folded Reload
	s_waitcnt vmcnt(0)
	v_cvt_f32_f64_e32 v29, v[29:30]
	v_cvt_f32_f64_e32 v30, v[80:81]
	s_delay_alu instid0(VALU_DEP_1) | instskip(SKIP_2) | instid1(VALU_DEP_1)
	v_min3_f32 v61, v29, v30, v61
	v_cvt_f32_f64_e32 v29, v[46:47]
	v_cvt_f32_f64_e32 v30, v[110:111]
	v_min3_f32 v72, v29, v30, v72
	v_cvt_f32_f64_e32 v29, v[142:143]
	v_cvt_f32_f64_e32 v30, v[78:79]
	s_delay_alu instid0(VALU_DEP_1) | instskip(SKIP_2) | instid1(VALU_DEP_1)
	v_min3_f32 v73, v29, v30, v73
	v_cvt_f32_f64_e32 v29, v[146:147]
	v_cvt_f32_f64_e32 v30, v[144:145]
	v_min3_f32 v70, v29, v30, v70
	s_cbranch_vccz .LBB120_57
; %bb.58:                               ;   in Loop: Header=BB120_34 Depth=1
	s_clause 0x1
	scratch_load_b32 v0, off, off offset:376
	scratch_load_b64 v[1:2], off, off offset:288
	v_dual_mov_b32 v211, v108 :: v_dual_mov_b32 v32, v98
	v_dual_mov_b32 v38, v102 :: v_dual_mov_b32 v65, v60
	;; [unrolled: 1-line block ×4, first 2 shown]
	v_mov_b32_e32 v202, v48
	v_mov_b32_e32 v62, v254
	s_add_i32 s25, s25, 8
	s_add_i32 s31, s31, 8
	s_cmp_ge_i32 s25, s24
	s_waitcnt vmcnt(0)
	ds_store_b64 v0, v[1:2]
	s_clause 0x2
	scratch_load_b32 v0, off, off offset:380
	scratch_load_b64 v[1:2], off, off offset:296
	scratch_load_b64 v[3:4], off, off offset:304
	s_waitcnt vmcnt(0)
	ds_store_2addr_stride64_b64 v0, v[1:2], v[3:4] offset1:4
	s_clause 0x1
	scratch_load_b64 v[1:2], off, off offset:324
	scratch_load_b64 v[3:4], off, off offset:332
	s_waitcnt vmcnt(0)
	ds_store_2addr_stride64_b64 v0, v[1:2], v[3:4] offset0:8 offset1:12
	s_waitcnt lgkmcnt(0)
	s_waitcnt_vscnt null, 0x0
	s_barrier
	buffer_gl0_inv
	s_cbranch_scc1 .LBB120_60
; %bb.59:                               ;   in Loop: Header=BB120_34 Depth=1
	scratch_load_b64 v[4:5], off, off offset:316 ; 8-byte Folded Reload
	v_dual_mov_b32 v119, v56 :: v_dual_mov_b32 v56, v58
	v_dual_mov_b32 v194, v50 :: v_dual_mov_b32 v193, v61
	;; [unrolled: 1-line block ×4, first 2 shown]
	v_mov_b32_e32 v204, v74
	s_branch .LBB120_34
.LBB120_60:
	v_dual_mov_b32 v110, v37 :: v_dual_mov_b32 v119, v56
	v_dual_mov_b32 v56, v58 :: v_dual_mov_b32 v193, v61
	v_mov_b32_e32 v194, v50
	v_dual_mov_b32 v200, v68 :: v_dual_mov_b32 v203, v70
	v_dual_mov_b32 v192, v72 :: v_dual_mov_b32 v61, v94
	v_mov_b32_e32 v204, v74
.LBB120_61:
	scratch_load_b32 v210, off, off offset:312 ; 4-byte Folded Reload
	v_dual_mov_b32 v106, v204 :: v_dual_mov_b32 v63, v193
	v_dual_mov_b32 v31, v192 :: v_dual_mov_b32 v58, v194
	;; [unrolled: 1-line block ×5, first 2 shown]
	v_mov_b32_e32 v112, v36
	v_dual_mov_b32 v102, v103 :: v_dual_mov_b32 v103, v32
	v_mov_b32_e32 v108, v99
	s_mov_b32 s3, 0
	s_mov_b32 s2, -1
.LBB120_62:                             ; =>This Inner Loop Header: Depth=1
	s_lshl_b32 s3, s3, 3
	v_mov_b32_e32 v54, v119
	s_waitcnt vmcnt(0)
	v_lshl_add_u32 v4, v214, 5, s3
	s_waitcnt vmcnt(0)
	v_lshl_add_u32 v5, v210, 5, s3
	v_mov_b32_e32 v138, v199
	v_dual_mov_b32 v196, v135 :: v_dual_mov_b32 v199, v62
	ds_load_b128 v[32:35], v4 offset:8192
	ds_load_b128 v[0:3], v5 offset:18432
	;; [unrolled: 1-line block ×4, first 2 shown]
	s_mov_b32 s3, 2
	s_and_not1_b32 vcc_lo, exec_lo, s2
	s_mov_b32 s2, 0
	v_mov_b32_e32 v187, v255
	s_waitcnt lgkmcnt(2)
	v_add_f64 v[26:27], v[2:3], v[34:35]
	s_waitcnt lgkmcnt(1)
	v_add_f64 v[6:7], v[80:81], v[34:35]
	v_add_f64 v[29:30], v[0:1], v[32:33]
	s_delay_alu instid0(VALU_DEP_3)
	v_cvt_f32_f64_e32 v64, v[26:27]
	scratch_store_b64 off, v[6:7], off offset:16 ; 8-byte Folded Spill
	v_add_f64 v[6:7], v[78:79], v[32:33]
	v_cvt_f32_f64_e32 v29, v[29:30]
	scratch_store_b64 off, v[6:7], off offset:72 ; 8-byte Folded Spill
	ds_load_b128 v[72:75], v5 offset:18944
	ds_load_b128 v[142:145], v5 offset:19200
	v_min3_f32 v141, v29, v64, v141
	s_waitcnt lgkmcnt(1)
	v_add_f64 v[6:7], v[74:75], v[34:35]
	scratch_store_b64 off, v[6:7], off offset:48 ; 8-byte Folded Spill
	v_add_f64 v[6:7], v[72:73], v[32:33]
	scratch_store_b64 off, v[6:7], off offset:104 ; 8-byte Folded Spill
	s_waitcnt lgkmcnt(0)
	v_add_f64 v[6:7], v[144:145], v[34:35]
	scratch_store_b64 off, v[6:7], off offset:24 ; 8-byte Folded Spill
	v_add_f64 v[6:7], v[142:143], v[32:33]
	scratch_store_b64 off, v[6:7], off offset:80 ; 8-byte Folded Spill
	ds_load_b128 v[146:149], v5 offset:19456
	ds_load_b128 v[150:153], v5 offset:19712
	s_waitcnt lgkmcnt(1)
	v_add_f64 v[6:7], v[148:149], v[34:35]
	scratch_store_b64 off, v[6:7], off offset:56 ; 8-byte Folded Spill
	v_add_f64 v[6:7], v[146:147], v[32:33]
	scratch_store_b64 off, v[6:7], off offset:112 ; 8-byte Folded Spill
	s_waitcnt lgkmcnt(0)
	v_add_f64 v[6:7], v[152:153], v[34:35]
	scratch_store_b64 off, v[6:7], off offset:32 ; 8-byte Folded Spill
	v_add_f64 v[6:7], v[150:151], v[32:33]
	scratch_store_b64 off, v[6:7], off offset:88 ; 8-byte Folded Spill
	ds_load_b128 v[154:157], v5 offset:19968
	ds_load_b128 v[158:161], v5 offset:20224
	s_waitcnt lgkmcnt(1)
	v_add_f64 v[5:6], v[156:157], v[34:35]
	scratch_store_b64 off, v[5:6], off offset:64 ; 8-byte Folded Spill
	v_add_f64 v[5:6], v[154:155], v[32:33]
	scratch_store_b64 off, v[5:6], off offset:120 ; 8-byte Folded Spill
	s_waitcnt lgkmcnt(0)
	v_add_f64 v[5:6], v[160:161], v[34:35]
	scratch_store_b64 off, v[5:6], off offset:40 ; 8-byte Folded Spill
	v_add_f64 v[5:6], v[158:159], v[32:33]
	v_mov_b32_e32 v32, v114
	scratch_store_b64 off, v[5:6], off offset:96 ; 8-byte Folded Spill
	v_add_f64 v[5:6], v[2:3], v[70:71]
	scratch_store_b64 off, v[5:6], off offset:128 ; 8-byte Folded Spill
	v_add_f64 v[5:6], v[0:1], v[68:69]
	;; [unrolled: 2-line block ×16, first 2 shown]
	scratch_store_b64 off, v[5:6], off offset:248 ; 8-byte Folded Spill
	ds_load_b128 v[68:71], v4 offset:10240
	ds_load_b128 v[162:165], v4 offset:11264
	s_waitcnt lgkmcnt(1)
	v_add_f64 v[5:6], v[144:145], v[70:71]
	v_add_f64 v[90:91], v[2:3], v[70:71]
	;; [unrolled: 1-line block ×10, first 2 shown]
	s_waitcnt lgkmcnt(0)
	v_add_f64 v[114:115], v[2:3], v[164:165]
	v_add_f64 v[84:85], v[0:1], v[162:163]
	;; [unrolled: 1-line block ×16, first 2 shown]
	scratch_store_b64 off, v[5:6], off offset:304 ; 8-byte Folded Spill
	v_add_f64 v[5:6], v[148:149], v[70:71]
	scratch_store_b64 off, v[5:6], off offset:288 ; 8-byte Folded Spill
	v_add_f64 v[5:6], v[152:153], v[70:71]
	;; [unrolled: 2-line block ×6, first 2 shown]
	scratch_store_b64 off, v[5:6], off offset:280 ; 8-byte Folded Spill
	v_mov_b32_e32 v5, v184
	ds_load_b128 v[68:71], v4 offset:12288
	ds_load_b128 v[162:165], v4 offset:13312
	v_mov_b32_e32 v6, v200
	v_mov_b32_e32 v184, v136
	s_waitcnt lgkmcnt(1)
	v_add_f64 v[66:67], v[2:3], v[70:71]
	v_add_f64 v[40:41], v[0:1], v[68:69]
	;; [unrolled: 1-line block ×16, first 2 shown]
	s_waitcnt lgkmcnt(0)
	v_add_f64 v[218:219], v[2:3], v[164:165]
	v_add_f64 v[220:221], v[0:1], v[162:163]
	;; [unrolled: 1-line block ×16, first 2 shown]
	ds_load_b128 v[68:71], v4 offset:14336
	ds_load_b128 v[162:165], v4 offset:15360
	scratch_load_b64 v[26:27], off, off offset:72 ; 8-byte Folded Reload
	s_waitcnt lgkmcnt(1)
	v_add_f64 v[250:251], v[2:3], v[70:71]
	v_add_f64 v[252:253], v[0:1], v[68:69]
	s_waitcnt lgkmcnt(0)
	v_add_f64 v[2:3], v[2:3], v[164:165]
	v_add_f64 v[0:1], v[0:1], v[162:163]
	;; [unrolled: 1-line block ×30, first 2 shown]
	v_cvt_f32_f64_e32 v0, v[0:1]
	v_cvt_f32_f64_e32 v1, v[2:3]
	v_cvt_f32_f64_e32 v4, v[8:9]
	s_delay_alu instid0(VALU_DEP_2) | instskip(SKIP_2) | instid1(VALU_DEP_1)
	v_min3_f32 v133, v0, v1, v133
	v_cvt_f32_f64_e32 v0, v[78:79]
	v_cvt_f32_f64_e32 v1, v[80:81]
	v_min3_f32 v132, v0, v1, v132
	v_cvt_f32_f64_e32 v0, v[72:73]
	v_cvt_f32_f64_e32 v1, v[74:75]
	s_waitcnt vmcnt(0)
	v_cvt_f32_f64_e32 v29, v[26:27]
	scratch_load_b64 v[26:27], off, off offset:16 ; 8-byte Folded Reload
	s_waitcnt vmcnt(0)
	v_cvt_f32_f64_e32 v64, v[26:27]
	scratch_load_b64 v[26:27], off, off offset:104 ; 8-byte Folded Reload
	v_min3_f32 v140, v29, v64, v140
	s_waitcnt vmcnt(0)
	v_cvt_f32_f64_e32 v29, v[26:27]
	scratch_load_b64 v[26:27], off, off offset:48 ; 8-byte Folded Reload
	s_waitcnt vmcnt(0)
	v_cvt_f32_f64_e32 v62, v[26:27]
	scratch_load_b64 v[26:27], off, off offset:80 ; 8-byte Folded Reload
	v_min3_f32 v131, v29, v62, v131
	;; [unrolled: 7-line block ×5, first 2 shown]
	v_mov_b32_e32 v62, v199
	s_waitcnt vmcnt(0)
	v_cvt_f32_f64_e32 v29, v[26:27]
	scratch_load_b64 v[26:27], off, off offset:64 ; 8-byte Folded Reload
	s_waitcnt vmcnt(0)
	v_cvt_f32_f64_e32 v30, v[26:27]
	scratch_load_b64 v[26:27], off, off offset:96 ; 8-byte Folded Reload
	v_min3_f32 v123, v29, v30, v123
	s_waitcnt vmcnt(0)
	v_cvt_f32_f64_e32 v29, v[26:27]
	scratch_load_b64 v[26:27], off, off offset:40 ; 8-byte Folded Reload
	s_waitcnt vmcnt(0)
	v_cvt_f32_f64_e32 v30, v[26:27]
	scratch_load_b64 v[26:27], off, off offset:136 ; 8-byte Folded Reload
	v_min3_f32 v129, v29, v30, v129
	s_waitcnt vmcnt(0)
	v_cvt_f32_f64_e32 v29, v[26:27]
	scratch_load_b64 v[26:27], off, off offset:128 ; 8-byte Folded Reload
	s_waitcnt vmcnt(0)
	v_cvt_f32_f64_e32 v30, v[26:27]
	scratch_load_b64 v[26:27], off, off offset:152 ; 8-byte Folded Reload
	v_min3_f32 v28, v29, v30, v28
	s_waitcnt vmcnt(0)
	v_cvt_f32_f64_e32 v29, v[26:27]
	scratch_load_b64 v[26:27], off, off offset:144 ; 8-byte Folded Reload
	s_waitcnt vmcnt(0)
	v_cvt_f32_f64_e32 v30, v[26:27]
	scratch_load_b64 v[26:27], off, off offset:168 ; 8-byte Folded Reload
	v_min3_f32 v127, v29, v30, v127
	s_waitcnt vmcnt(0)
	v_cvt_f32_f64_e32 v29, v[26:27]
	scratch_load_b64 v[26:27], off, off offset:160 ; 8-byte Folded Reload
	s_waitcnt vmcnt(0)
	v_cvt_f32_f64_e32 v30, v[26:27]
	scratch_load_b64 v[26:27], off, off offset:184 ; 8-byte Folded Reload
	v_min3_f32 v201, v29, v30, v201
	s_waitcnt vmcnt(0)
	v_cvt_f32_f64_e32 v29, v[26:27]
	scratch_load_b64 v[26:27], off, off offset:176 ; 8-byte Folded Reload
	s_waitcnt vmcnt(0)
	v_cvt_f32_f64_e32 v30, v[26:27]
	scratch_load_b64 v[26:27], off, off offset:200 ; 8-byte Folded Reload
	v_min3_f32 v137, v29, v30, v137
	s_waitcnt vmcnt(0)
	v_cvt_f32_f64_e32 v29, v[26:27]
	scratch_load_b64 v[26:27], off, off offset:192 ; 8-byte Folded Reload
	s_waitcnt vmcnt(0)
	v_cvt_f32_f64_e32 v30, v[26:27]
	scratch_load_b64 v[26:27], off, off offset:216 ; 8-byte Folded Reload
	v_min3_f32 v109, v29, v30, v109
	s_waitcnt vmcnt(0)
	v_cvt_f32_f64_e32 v29, v[26:27]
	scratch_load_b64 v[26:27], off, off offset:208 ; 8-byte Folded Reload
	s_waitcnt vmcnt(0)
	v_cvt_f32_f64_e32 v30, v[26:27]
	scratch_load_b64 v[26:27], off, off offset:232 ; 8-byte Folded Reload
	v_min3_f32 v211, v29, v30, v211
	s_waitcnt vmcnt(0)
	v_cvt_f32_f64_e32 v29, v[26:27]
	scratch_load_b64 v[26:27], off, off offset:224 ; 8-byte Folded Reload
	s_waitcnt vmcnt(0)
	v_cvt_f32_f64_e32 v26, v[26:27]
	s_delay_alu instid0(VALU_DEP_1)
	v_min3_f32 v108, v29, v26, v108
	s_clause 0x1
	scratch_load_b64 v[26:27], off, off offset:248
	scratch_load_b64 v[29:30], off, off offset:240
	s_waitcnt vmcnt(1)
	v_cvt_f32_f64_e32 v26, v[26:27]
	s_waitcnt vmcnt(0)
	v_cvt_f32_f64_e32 v27, v[29:30]
	scratch_load_b64 v[29:30], off, off offset:304 ; 8-byte Folded Reload
	v_min3_f32 v103, v26, v27, v103
	v_cvt_f32_f64_e32 v26, v[86:87]
	v_cvt_f32_f64_e32 v27, v[90:91]
	s_delay_alu instid0(VALU_DEP_1) | instskip(SKIP_2) | instid1(VALU_DEP_1)
	v_min3_f32 v102, v26, v27, v102
	v_cvt_f32_f64_e32 v26, v[88:89]
	v_cvt_f32_f64_e32 v27, v[94:95]
	v_min3_f32 v111, v26, v27, v111
	v_cvt_f32_f64_e32 v26, v[92:93]
	v_cvt_f32_f64_e32 v27, v[98:99]
	s_delay_alu instid0(VALU_DEP_1)
	v_min3_f32 v110, v26, v27, v110
	v_cvt_f32_f64_e32 v26, v[96:97]
	s_waitcnt vmcnt(0)
	v_cvt_f32_f64_e32 v27, v[29:30]
	scratch_load_b64 v[29:30], off, off offset:288 ; 8-byte Folded Reload
	v_min3_f32 v112, v26, v27, v112
	v_cvt_f32_f64_e32 v26, v[100:101]
	s_waitcnt vmcnt(0)
	v_cvt_f32_f64_e32 v27, v[29:30]
	scratch_load_b64 v[29:30], off, off offset:272 ; 8-byte Folded Reload
	;; [unrolled: 5-line block ×3, first 2 shown]
	v_min3_f32 v106, v26, v27, v106
	scratch_load_b64 v[26:27], off, off offset:296 ; 8-byte Folded Reload
	s_waitcnt vmcnt(0)
	v_cvt_f32_f64_e32 v26, v[26:27]
	v_cvt_f32_f64_e32 v27, v[29:30]
	scratch_load_b64 v[29:30], off, off offset:256 ; 8-byte Folded Reload
	v_min3_f32 v48, v26, v27, v48
	scratch_load_b64 v[26:27], off, off offset:280 ; 8-byte Folded Reload
	s_waitcnt vmcnt(0)
	v_cvt_f32_f64_e32 v26, v[26:27]
	v_cvt_f32_f64_e32 v27, v[29:30]
	s_clause 0x1
	scratch_load_b32 v29, off, off
	scratch_load_b32 v30, off, off offset:4
	v_min3_f32 v63, v26, v27, v63
	v_cvt_f32_f64_e32 v26, v[84:85]
	v_cvt_f32_f64_e32 v27, v[114:115]
	v_mov_b32_e32 v114, v32
	s_delay_alu instid0(VALU_DEP_2)
	v_min3_f32 v31, v26, v27, v31
	v_cvt_f32_f64_e32 v26, v[120:121]
	v_cvt_f32_f64_e32 v27, v[118:119]
	v_mov_b32_e32 v119, v54
	v_mov_b32_e32 v199, v138
	;; [unrolled: 1-line block ×3, first 2 shown]
	s_delay_alu instid0(VALU_DEP_4) | instskip(SKIP_2) | instid1(VALU_DEP_1)
	v_min3_f32 v12, v26, v27, v12
	v_cvt_f32_f64_e32 v26, v[50:51]
	v_cvt_f32_f64_e32 v27, v[82:83]
	v_min3_f32 v203, v26, v27, v203
	v_cvt_f32_f64_e32 v26, v[166:167]
	v_cvt_f32_f64_e32 v27, v[76:77]
	s_delay_alu instid0(VALU_DEP_1) | instskip(SKIP_2) | instid1(VALU_DEP_1)
	v_min3_f32 v13, v26, v27, v13
	v_cvt_f32_f64_e32 v26, v[170:171]
	v_cvt_f32_f64_e32 v27, v[168:169]
	v_min3_f32 v200, v26, v27, v200
	v_cvt_f32_f64_e32 v26, v[174:175]
	v_cvt_f32_f64_e32 v27, v[172:173]
	s_delay_alu instid0(VALU_DEP_1) | instskip(SKIP_2) | instid1(VALU_DEP_1)
	v_min3_f32 v60, v26, v27, v60
	v_cvt_f32_f64_e32 v26, v[178:179]
	v_cvt_f32_f64_e32 v27, v[176:177]
	v_min3_f32 v61, v26, v27, v61
	v_cvt_f32_f64_e32 v26, v[182:183]
	v_cvt_f32_f64_e32 v27, v[180:181]
	s_delay_alu instid0(VALU_DEP_1) | instskip(SKIP_2) | instid1(VALU_DEP_1)
	v_min3_f32 v65, v26, v27, v65
	v_cvt_f32_f64_e32 v26, v[40:41]
	v_cvt_f32_f64_e32 v27, v[66:67]
	v_min3_f32 v199, v26, v27, v199
	v_cvt_f32_f64_e32 v26, v[190:191]
	v_cvt_f32_f64_e32 v27, v[188:189]
	s_delay_alu instid0(VALU_DEP_1) | instskip(SKIP_2) | instid1(VALU_DEP_1)
	v_min3_f32 v58, v26, v27, v58
	v_cvt_f32_f64_e32 v26, v[194:195]
	v_cvt_f32_f64_e32 v27, v[192:193]
	v_min3_f32 v59, v26, v27, v59
	v_cvt_f32_f64_e32 v26, v[42:43]
	v_cvt_f32_f64_e32 v27, v[135:136]
	v_mov_b32_e32 v135, v196
	v_mov_b32_e32 v136, v184
	;; [unrolled: 1-line block ×3, first 2 shown]
	v_cvt_f32_f64_e32 v5, v[254:255]
	v_mov_b32_e32 v255, v187
	v_min3_f32 v56, v26, v27, v56
	v_cvt_f32_f64_e32 v26, v[204:205]
	v_cvt_f32_f64_e32 v27, v[44:45]
	s_delay_alu instid0(VALU_DEP_4) | instskip(SKIP_2) | instid1(VALU_DEP_4)
	v_min3_f32 v255, v4, v5, v255
	v_cvt_f32_f64_e32 v4, v[10:11]
	v_cvt_f32_f64_e32 v5, v[18:19]
	v_min3_f32 v57, v26, v27, v57
	v_cvt_f32_f64_e32 v26, v[208:209]
	v_cvt_f32_f64_e32 v27, v[206:207]
	s_delay_alu instid0(VALU_DEP_4) | instskip(SKIP_2) | instid1(VALU_DEP_4)
	v_min3_f32 v185, v4, v5, v185
	v_cvt_f32_f64_e32 v4, v[14:15]
	v_cvt_f32_f64_e32 v5, v[22:23]
	;; [unrolled: 7-line block ×3, first 2 shown]
	v_min3_f32 v55, v26, v27, v55
	v_cvt_f32_f64_e32 v26, v[216:217]
	v_cvt_f32_f64_e32 v27, v[214:215]
	scratch_load_b32 v214, off, off offset:8 ; 4-byte Folded Reload
	s_waitcnt vmcnt(2)
	v_min3_f32 v29, v0, v1, v29
	v_cvt_f32_f64_e32 v0, v[142:143]
	v_cvt_f32_f64_e32 v1, v[144:145]
	s_waitcnt vmcnt(1)
	v_min3_f32 v30, v4, v5, v30
	v_cvt_f32_f64_e32 v4, v[20:21]
	v_cvt_f32_f64_e32 v5, v[36:37]
	s_clause 0x1
	scratch_store_b32 off, v29, off
	scratch_store_b32 off, v30, off offset:4
	v_min3_f32 v117, v26, v27, v117
	v_cvt_f32_f64_e32 v26, v[220:221]
	v_cvt_f32_f64_e32 v27, v[218:219]
	v_min3_f32 v130, v0, v1, v130
	v_cvt_f32_f64_e32 v0, v[146:147]
	v_cvt_f32_f64_e32 v1, v[148:149]
	;; [unrolled: 3-line block ×8, first 2 shown]
	v_min3_f32 v134, v4, v5, v134
	v_min3_f32 v114, v26, v27, v114
	v_cvt_f32_f64_e32 v26, v[232:233]
	v_cvt_f32_f64_e32 v27, v[230:231]
	v_min3_f32 v124, v0, v1, v124
	v_cvt_f32_f64_e32 v0, v[158:159]
	v_cvt_f32_f64_e32 v1, v[160:161]
	s_delay_alu instid0(VALU_DEP_4) | instskip(SKIP_2) | instid1(VALU_DEP_4)
	v_min3_f32 v113, v26, v27, v113
	v_cvt_f32_f64_e32 v26, v[236:237]
	v_cvt_f32_f64_e32 v27, v[234:235]
	v_min3_f32 v122, v0, v1, v122
	s_delay_alu instid0(VALU_DEP_2) | instskip(SKIP_2) | instid1(VALU_DEP_1)
	v_min3_f32 v184, v26, v27, v184
	v_cvt_f32_f64_e32 v26, v[240:241]
	v_cvt_f32_f64_e32 v27, v[238:239]
	v_min3_f32 v49, v26, v27, v49
	v_cvt_f32_f64_e32 v26, v[244:245]
	v_cvt_f32_f64_e32 v27, v[242:243]
	s_delay_alu instid0(VALU_DEP_1) | instskip(SKIP_2) | instid1(VALU_DEP_1)
	v_min3_f32 v202, v26, v27, v202
	v_cvt_f32_f64_e32 v26, v[248:249]
	v_cvt_f32_f64_e32 v27, v[246:247]
	v_min3_f32 v139, v26, v27, v139
	v_cvt_f32_f64_e32 v26, v[252:253]
	v_cvt_f32_f64_e32 v27, v[250:251]
	s_delay_alu instid0(VALU_DEP_1)
	v_min3_f32 v62, v26, v27, v62
	s_cbranch_vccz .LBB120_62
; %bb.63:
	s_clause 0x2
	s_load_b32 s20, s[0:1], 0x58
	s_load_b32 s18, s[0:1], 0x70
	s_load_b64 s[2:3], s[0:1], 0x78
	s_waitcnt vmcnt(0)
	v_add_nc_u32_e32 v19, s19, v214
	v_add_nc_u32_e32 v0, s8, v210
	v_cndmask_b32_e64 v18, 0, 1, s9
	s_delay_alu instid0(VALU_DEP_3) | instskip(NEXT) | instid1(VALU_DEP_3)
	v_cmp_gt_i32_e64 s8, s17, v19
	v_cmp_gt_i32_e64 s0, s16, v0
	v_ashrrev_i32_e32 v1, 31, v0
	s_waitcnt lgkmcnt(0)
	v_mad_i64_i32 v[2:3], null, v19, s20, 0
	v_mad_i64_i32 v[4:5], null, v19, s18, 0
	s_lshl_b64 s[2:3], s[2:3], 3
	s_delay_alu instid0(SALU_CYCLE_1) | instskip(SKIP_1) | instid1(VALU_DEP_2)
	s_add_u32 s14, s14, s2
	s_addc_u32 s15, s15, s3
	v_lshlrev_b64 v[2:3], 3, v[2:3]
	s_and_b32 s2, s0, s8
	s_delay_alu instid0(VALU_DEP_2) | instskip(NEXT) | instid1(VALU_DEP_2)
	v_lshlrev_b64 v[4:5], 3, v[4:5]
	v_add_co_u32 v16, vcc_lo, s12, v2
	s_delay_alu instid0(VALU_DEP_3) | instskip(NEXT) | instid1(VALU_DEP_3)
	v_add_co_ci_u32_e32 v17, vcc_lo, s13, v3, vcc_lo
	v_add_co_u32 v20, vcc_lo, s14, v4
	s_delay_alu instid0(VALU_DEP_4) | instskip(SKIP_4) | instid1(SALU_CYCLE_1)
	v_add_co_ci_u32_e32 v21, vcc_lo, s15, v5, vcc_lo
	s_mov_b32 s1, exec_lo
	v_dual_mov_b32 v26, v58 :: v_dual_mov_b32 v27, v60
	v_dual_mov_b32 v29, v13 :: v_dual_mov_b32 v30, v12
	s_and_b32 s2, s1, s2
	s_mov_b32 exec_lo, s2
	s_cbranch_execz .LBB120_68
; %bb.64:
	s_and_not1_b32 vcc_lo, exec_lo, s9
	s_cbranch_vccnz .LBB120_66
; %bb.65:
	v_lshlrev_b64 v[2:3], 3, v[0:1]
	s_delay_alu instid0(VALU_DEP_1) | instskip(NEXT) | instid1(VALU_DEP_2)
	v_add_co_u32 v2, vcc_lo, v16, v2
	v_add_co_ci_u32_e32 v3, vcc_lo, v17, v3, vcc_lo
	flat_load_b64 v[2:3], v[2:3]
	s_waitcnt vmcnt(0) lgkmcnt(0)
	v_mul_f64 v[2:3], s[10:11], v[2:3]
	s_branch .LBB120_67
.LBB120_66:
	v_mov_b32_e32 v2, 0
	v_mov_b32_e32 v3, 0
.LBB120_67:
	s_delay_alu instid0(VALU_DEP_1) | instskip(SKIP_2) | instid1(VALU_DEP_1)
	v_cvt_f32_f64_e32 v2, v[2:3]
	v_max_f32_e32 v3, v141, v141
	v_lshlrev_b64 v[4:5], 3, v[0:1]
	v_add_co_u32 v4, vcc_lo, v20, v4
	s_delay_alu instid0(VALU_DEP_2) | instskip(NEXT) | instid1(VALU_DEP_4)
	v_add_co_ci_u32_e32 v5, vcc_lo, v21, v5, vcc_lo
	v_min_f32_e32 v2, v2, v3
	s_delay_alu instid0(VALU_DEP_1)
	v_cvt_f64_f32_e32 v[2:3], v2
	global_store_b64 v[4:5], v[2:3], off
.LBB120_68:
	s_or_b32 exec_lo, exec_lo, s1
	v_add_nc_u32_e32 v2, 8, v0
	s_delay_alu instid0(VALU_DEP_1) | instskip(SKIP_1) | instid1(VALU_DEP_2)
	v_cmp_gt_i32_e64 s1, s16, v2
	v_ashrrev_i32_e32 v3, 31, v2
	s_and_b32 s3, s1, s8
	s_delay_alu instid0(SALU_CYCLE_1)
	s_and_saveexec_b32 s2, s3
	s_cbranch_execz .LBB120_73
; %bb.69:
	v_cmp_ne_u32_e32 vcc_lo, 1, v18
	s_cbranch_vccnz .LBB120_71
; %bb.70:
	v_lshlrev_b64 v[4:5], 3, v[2:3]
	s_delay_alu instid0(VALU_DEP_1) | instskip(NEXT) | instid1(VALU_DEP_2)
	v_add_co_u32 v4, vcc_lo, v16, v4
	v_add_co_ci_u32_e32 v5, vcc_lo, v17, v5, vcc_lo
	flat_load_b64 v[4:5], v[4:5]
	s_waitcnt vmcnt(0) lgkmcnt(0)
	v_mul_f64 v[4:5], s[10:11], v[4:5]
	s_branch .LBB120_72
.LBB120_71:
	v_mov_b32_e32 v4, 0
	v_mov_b32_e32 v5, 0
.LBB120_72:
	s_delay_alu instid0(VALU_DEP_1) | instskip(SKIP_2) | instid1(VALU_DEP_1)
	v_cvt_f32_f64_e32 v4, v[4:5]
	v_max_f32_e32 v5, v140, v140
	v_lshlrev_b64 v[6:7], 3, v[2:3]
	v_add_co_u32 v6, vcc_lo, v20, v6
	s_delay_alu instid0(VALU_DEP_2) | instskip(NEXT) | instid1(VALU_DEP_4)
	v_add_co_ci_u32_e32 v7, vcc_lo, v21, v7, vcc_lo
	v_min_f32_e32 v4, v4, v5
	s_delay_alu instid0(VALU_DEP_1)
	v_cvt_f64_f32_e32 v[4:5], v4
	global_store_b64 v[6:7], v[4:5], off
.LBB120_73:
	s_or_b32 exec_lo, exec_lo, s2
	v_add_nc_u32_e32 v4, 16, v0
	s_delay_alu instid0(VALU_DEP_1) | instskip(SKIP_1) | instid1(VALU_DEP_2)
	v_cmp_gt_i32_e64 s2, s16, v4
	v_ashrrev_i32_e32 v5, 31, v4
	s_and_b32 s4, s2, s8
	s_delay_alu instid0(SALU_CYCLE_1)
	s_and_saveexec_b32 s3, s4
	s_cbranch_execz .LBB120_78
; %bb.74:
	v_cmp_ne_u32_e32 vcc_lo, 1, v18
	s_cbranch_vccnz .LBB120_76
; %bb.75:
	v_lshlrev_b64 v[6:7], 3, v[4:5]
	s_delay_alu instid0(VALU_DEP_1) | instskip(NEXT) | instid1(VALU_DEP_2)
	v_add_co_u32 v6, vcc_lo, v16, v6
	v_add_co_ci_u32_e32 v7, vcc_lo, v17, v7, vcc_lo
	flat_load_b64 v[6:7], v[6:7]
	s_waitcnt vmcnt(0) lgkmcnt(0)
	v_mul_f64 v[6:7], s[10:11], v[6:7]
	s_branch .LBB120_77
.LBB120_76:
	v_mov_b32_e32 v6, 0
	v_mov_b32_e32 v7, 0
.LBB120_77:
	s_delay_alu instid0(VALU_DEP_1) | instskip(SKIP_2) | instid1(VALU_DEP_1)
	v_cvt_f32_f64_e32 v6, v[6:7]
	v_max_f32_e32 v7, v131, v131
	v_lshlrev_b64 v[8:9], 3, v[4:5]
	v_add_co_u32 v8, vcc_lo, v20, v8
	s_delay_alu instid0(VALU_DEP_2) | instskip(NEXT) | instid1(VALU_DEP_4)
	v_add_co_ci_u32_e32 v9, vcc_lo, v21, v9, vcc_lo
	v_min_f32_e32 v6, v6, v7
	s_delay_alu instid0(VALU_DEP_1)
	v_cvt_f64_f32_e32 v[6:7], v6
	global_store_b64 v[8:9], v[6:7], off
.LBB120_78:
	;; [unrolled: 37-line block ×7, first 2 shown]
	s_or_b32 exec_lo, exec_lo, s8
	v_add_nc_u32_e32 v22, 32, v19
	s_delay_alu instid0(VALU_DEP_1) | instskip(SKIP_2) | instid1(VALU_DEP_3)
	v_mad_i64_i32 v[16:17], null, v22, s20, 0
	v_mad_i64_i32 v[20:21], null, v22, s18, 0
	v_cmp_gt_i32_e64 s8, s17, v22
	v_lshlrev_b64 v[16:17], 3, v[16:17]
	s_delay_alu instid0(VALU_DEP_2) | instskip(NEXT) | instid1(VALU_DEP_3)
	s_and_b32 s16, s0, s8
	v_lshlrev_b64 v[20:21], 3, v[20:21]
	s_delay_alu instid0(VALU_DEP_2) | instskip(NEXT) | instid1(VALU_DEP_3)
	v_add_co_u32 v22, vcc_lo, s12, v16
	v_add_co_ci_u32_e32 v25, vcc_lo, s13, v17, vcc_lo
	s_delay_alu instid0(VALU_DEP_3) | instskip(NEXT) | instid1(VALU_DEP_4)
	v_add_co_u32 v20, vcc_lo, s14, v20
	v_add_co_ci_u32_e32 v21, vcc_lo, s15, v21, vcc_lo
	s_and_saveexec_b32 s9, s16
	s_cbranch_execnz .LBB120_111
; %bb.104:
	s_or_b32 exec_lo, exec_lo, s9
	s_and_b32 s16, s1, s8
	s_delay_alu instid0(SALU_CYCLE_1)
	s_and_saveexec_b32 s9, s16
	s_cbranch_execnz .LBB120_115
.LBB120_105:
	s_or_b32 exec_lo, exec_lo, s9
	s_and_b32 s16, s2, s8
	s_delay_alu instid0(SALU_CYCLE_1)
	s_and_saveexec_b32 s9, s16
	s_cbranch_execnz .LBB120_119
.LBB120_106:
	s_or_b32 exec_lo, exec_lo, s9
	s_and_b32 s16, s3, s8
	s_delay_alu instid0(SALU_CYCLE_1)
	s_and_saveexec_b32 s9, s16
	s_cbranch_execnz .LBB120_123
.LBB120_107:
	s_or_b32 exec_lo, exec_lo, s9
	s_and_b32 s16, s4, s8
	s_delay_alu instid0(SALU_CYCLE_1)
	s_and_saveexec_b32 s9, s16
	s_cbranch_execnz .LBB120_127
.LBB120_108:
	s_or_b32 exec_lo, exec_lo, s9
	s_and_b32 s16, s5, s8
	s_delay_alu instid0(SALU_CYCLE_1)
	s_and_saveexec_b32 s9, s16
	s_cbranch_execnz .LBB120_131
.LBB120_109:
	s_or_b32 exec_lo, exec_lo, s9
	s_and_b32 s16, s6, s8
	s_delay_alu instid0(SALU_CYCLE_1)
	s_and_saveexec_b32 s9, s16
	s_cbranch_execnz .LBB120_135
.LBB120_110:
	s_or_b32 exec_lo, exec_lo, s9
	s_and_b32 s9, s7, s8
	s_delay_alu instid0(SALU_CYCLE_1)
	s_and_saveexec_b32 s8, s9
	s_cbranch_execnz .LBB120_139
	s_branch .LBB120_143
.LBB120_111:
	v_cmp_ne_u32_e32 vcc_lo, 1, v18
	s_cbranch_vccnz .LBB120_113
; %bb.112:
	v_lshlrev_b64 v[16:17], 3, v[0:1]
	s_delay_alu instid0(VALU_DEP_1) | instskip(NEXT) | instid1(VALU_DEP_2)
	v_add_co_u32 v16, vcc_lo, v22, v16
	v_add_co_ci_u32_e32 v17, vcc_lo, v25, v17, vcc_lo
	flat_load_b64 v[16:17], v[16:17]
	s_waitcnt vmcnt(0) lgkmcnt(0)
	v_mul_f64 v[16:17], s[10:11], v[16:17]
	s_branch .LBB120_114
.LBB120_113:
	v_mov_b32_e32 v16, 0
	v_mov_b32_e32 v17, 0
.LBB120_114:
	s_delay_alu instid0(VALU_DEP_1) | instskip(SKIP_2) | instid1(VALU_DEP_1)
	v_cvt_f32_f64_e32 v16, v[16:17]
	v_max_f32_e32 v17, v28, v28
	v_lshlrev_b64 v[23:24], 3, v[0:1]
	v_add_co_u32 v23, vcc_lo, v20, v23
	s_delay_alu instid0(VALU_DEP_2) | instskip(NEXT) | instid1(VALU_DEP_4)
	v_add_co_ci_u32_e32 v24, vcc_lo, v21, v24, vcc_lo
	v_min_f32_e32 v16, v16, v17
	s_delay_alu instid0(VALU_DEP_1) | instskip(SKIP_3) | instid1(SALU_CYCLE_1)
	v_cvt_f64_f32_e32 v[16:17], v16
	global_store_b64 v[23:24], v[16:17], off
	s_or_b32 exec_lo, exec_lo, s9
	s_and_b32 s16, s1, s8
	s_and_saveexec_b32 s9, s16
	s_cbranch_execz .LBB120_105
.LBB120_115:
	v_cmp_ne_u32_e32 vcc_lo, 1, v18
	s_cbranch_vccnz .LBB120_117
; %bb.116:
	v_lshlrev_b64 v[16:17], 3, v[2:3]
	s_delay_alu instid0(VALU_DEP_1) | instskip(NEXT) | instid1(VALU_DEP_2)
	v_add_co_u32 v16, vcc_lo, v22, v16
	v_add_co_ci_u32_e32 v17, vcc_lo, v25, v17, vcc_lo
	flat_load_b64 v[16:17], v[16:17]
	s_waitcnt vmcnt(0) lgkmcnt(0)
	v_mul_f64 v[16:17], s[10:11], v[16:17]
	s_branch .LBB120_118
.LBB120_117:
	v_mov_b32_e32 v16, 0
	v_mov_b32_e32 v17, 0
.LBB120_118:
	s_delay_alu instid0(VALU_DEP_1) | instskip(SKIP_2) | instid1(VALU_DEP_1)
	v_cvt_f32_f64_e32 v16, v[16:17]
	v_max_f32_e32 v17, v127, v127
	v_lshlrev_b64 v[23:24], 3, v[2:3]
	v_add_co_u32 v23, vcc_lo, v20, v23
	s_delay_alu instid0(VALU_DEP_2) | instskip(NEXT) | instid1(VALU_DEP_4)
	v_add_co_ci_u32_e32 v24, vcc_lo, v21, v24, vcc_lo
	v_min_f32_e32 v16, v16, v17
	s_delay_alu instid0(VALU_DEP_1) | instskip(SKIP_3) | instid1(SALU_CYCLE_1)
	v_cvt_f64_f32_e32 v[16:17], v16
	global_store_b64 v[23:24], v[16:17], off
	s_or_b32 exec_lo, exec_lo, s9
	s_and_b32 s16, s2, s8
	s_and_saveexec_b32 s9, s16
	s_cbranch_execz .LBB120_106
.LBB120_119:
	v_cmp_ne_u32_e32 vcc_lo, 1, v18
	s_cbranch_vccnz .LBB120_121
; %bb.120:
	v_lshlrev_b64 v[16:17], 3, v[4:5]
	s_delay_alu instid0(VALU_DEP_1) | instskip(NEXT) | instid1(VALU_DEP_2)
	v_add_co_u32 v16, vcc_lo, v22, v16
	v_add_co_ci_u32_e32 v17, vcc_lo, v25, v17, vcc_lo
	flat_load_b64 v[16:17], v[16:17]
	s_waitcnt vmcnt(0) lgkmcnt(0)
	v_mul_f64 v[16:17], s[10:11], v[16:17]
	s_branch .LBB120_122
.LBB120_121:
	v_mov_b32_e32 v16, 0
	v_mov_b32_e32 v17, 0
.LBB120_122:
	s_delay_alu instid0(VALU_DEP_1) | instskip(SKIP_2) | instid1(VALU_DEP_1)
	v_cvt_f32_f64_e32 v16, v[16:17]
	v_max_f32_e32 v17, v201, v201
	v_lshlrev_b64 v[23:24], 3, v[4:5]
	v_add_co_u32 v23, vcc_lo, v20, v23
	s_delay_alu instid0(VALU_DEP_2) | instskip(NEXT) | instid1(VALU_DEP_4)
	v_add_co_ci_u32_e32 v24, vcc_lo, v21, v24, vcc_lo
	v_min_f32_e32 v16, v16, v17
	s_delay_alu instid0(VALU_DEP_1) | instskip(SKIP_3) | instid1(SALU_CYCLE_1)
	v_cvt_f64_f32_e32 v[16:17], v16
	global_store_b64 v[23:24], v[16:17], off
	s_or_b32 exec_lo, exec_lo, s9
	s_and_b32 s16, s3, s8
	s_and_saveexec_b32 s9, s16
	s_cbranch_execz .LBB120_107
.LBB120_123:
	v_cmp_ne_u32_e32 vcc_lo, 1, v18
	s_cbranch_vccnz .LBB120_125
; %bb.124:
	v_lshlrev_b64 v[16:17], 3, v[6:7]
	s_delay_alu instid0(VALU_DEP_1) | instskip(NEXT) | instid1(VALU_DEP_2)
	v_add_co_u32 v16, vcc_lo, v22, v16
	v_add_co_ci_u32_e32 v17, vcc_lo, v25, v17, vcc_lo
	flat_load_b64 v[16:17], v[16:17]
	s_waitcnt vmcnt(0) lgkmcnt(0)
	v_mul_f64 v[16:17], s[10:11], v[16:17]
	s_branch .LBB120_126
.LBB120_125:
	v_mov_b32_e32 v16, 0
	v_mov_b32_e32 v17, 0
.LBB120_126:
	s_delay_alu instid0(VALU_DEP_1) | instskip(SKIP_2) | instid1(VALU_DEP_1)
	v_cvt_f32_f64_e32 v16, v[16:17]
	v_max_f32_e32 v17, v137, v137
	v_lshlrev_b64 v[23:24], 3, v[6:7]
	v_add_co_u32 v23, vcc_lo, v20, v23
	s_delay_alu instid0(VALU_DEP_2) | instskip(NEXT) | instid1(VALU_DEP_4)
	v_add_co_ci_u32_e32 v24, vcc_lo, v21, v24, vcc_lo
	v_min_f32_e32 v16, v16, v17
	s_delay_alu instid0(VALU_DEP_1) | instskip(SKIP_3) | instid1(SALU_CYCLE_1)
	v_cvt_f64_f32_e32 v[16:17], v16
	global_store_b64 v[23:24], v[16:17], off
	s_or_b32 exec_lo, exec_lo, s9
	s_and_b32 s16, s4, s8
	s_and_saveexec_b32 s9, s16
	s_cbranch_execz .LBB120_108
.LBB120_127:
	v_cmp_ne_u32_e32 vcc_lo, 1, v18
	s_cbranch_vccnz .LBB120_129
; %bb.128:
	v_lshlrev_b64 v[16:17], 3, v[8:9]
	s_delay_alu instid0(VALU_DEP_1) | instskip(NEXT) | instid1(VALU_DEP_2)
	v_add_co_u32 v16, vcc_lo, v22, v16
	v_add_co_ci_u32_e32 v17, vcc_lo, v25, v17, vcc_lo
	flat_load_b64 v[16:17], v[16:17]
	s_waitcnt vmcnt(0) lgkmcnt(0)
	v_mul_f64 v[16:17], s[10:11], v[16:17]
	s_branch .LBB120_130
.LBB120_129:
	v_mov_b32_e32 v16, 0
	v_mov_b32_e32 v17, 0
.LBB120_130:
	s_delay_alu instid0(VALU_DEP_1) | instskip(SKIP_2) | instid1(VALU_DEP_1)
	v_cvt_f32_f64_e32 v16, v[16:17]
	v_max_f32_e32 v17, v109, v109
	v_lshlrev_b64 v[23:24], 3, v[8:9]
	v_add_co_u32 v23, vcc_lo, v20, v23
	s_delay_alu instid0(VALU_DEP_2) | instskip(NEXT) | instid1(VALU_DEP_4)
	v_add_co_ci_u32_e32 v24, vcc_lo, v21, v24, vcc_lo
	v_min_f32_e32 v16, v16, v17
	s_delay_alu instid0(VALU_DEP_1) | instskip(SKIP_3) | instid1(SALU_CYCLE_1)
	v_cvt_f64_f32_e32 v[16:17], v16
	global_store_b64 v[23:24], v[16:17], off
	s_or_b32 exec_lo, exec_lo, s9
	s_and_b32 s16, s5, s8
	s_and_saveexec_b32 s9, s16
	s_cbranch_execz .LBB120_109
.LBB120_131:
	v_cmp_ne_u32_e32 vcc_lo, 1, v18
	s_cbranch_vccnz .LBB120_133
; %bb.132:
	v_lshlrev_b64 v[16:17], 3, v[10:11]
	s_delay_alu instid0(VALU_DEP_1) | instskip(NEXT) | instid1(VALU_DEP_2)
	v_add_co_u32 v16, vcc_lo, v22, v16
	v_add_co_ci_u32_e32 v17, vcc_lo, v25, v17, vcc_lo
	flat_load_b64 v[16:17], v[16:17]
	s_waitcnt vmcnt(0) lgkmcnt(0)
	v_mul_f64 v[16:17], s[10:11], v[16:17]
	s_branch .LBB120_134
.LBB120_133:
	v_mov_b32_e32 v16, 0
	v_mov_b32_e32 v17, 0
.LBB120_134:
	s_delay_alu instid0(VALU_DEP_1) | instskip(SKIP_2) | instid1(VALU_DEP_1)
	v_cvt_f32_f64_e32 v16, v[16:17]
	v_max_f32_e32 v17, v211, v211
	v_lshlrev_b64 v[23:24], 3, v[10:11]
	v_add_co_u32 v23, vcc_lo, v20, v23
	s_delay_alu instid0(VALU_DEP_2) | instskip(NEXT) | instid1(VALU_DEP_4)
	v_add_co_ci_u32_e32 v24, vcc_lo, v21, v24, vcc_lo
	v_min_f32_e32 v16, v16, v17
	s_delay_alu instid0(VALU_DEP_1) | instskip(SKIP_3) | instid1(SALU_CYCLE_1)
	v_cvt_f64_f32_e32 v[16:17], v16
	global_store_b64 v[23:24], v[16:17], off
	s_or_b32 exec_lo, exec_lo, s9
	s_and_b32 s16, s6, s8
	s_and_saveexec_b32 s9, s16
	s_cbranch_execz .LBB120_110
.LBB120_135:
	v_cmp_ne_u32_e32 vcc_lo, 1, v18
	s_cbranch_vccnz .LBB120_137
; %bb.136:
	v_lshlrev_b64 v[16:17], 3, v[12:13]
	s_delay_alu instid0(VALU_DEP_1) | instskip(NEXT) | instid1(VALU_DEP_2)
	v_add_co_u32 v16, vcc_lo, v22, v16
	v_add_co_ci_u32_e32 v17, vcc_lo, v25, v17, vcc_lo
	flat_load_b64 v[16:17], v[16:17]
	s_waitcnt vmcnt(0) lgkmcnt(0)
	v_mul_f64 v[16:17], s[10:11], v[16:17]
	s_branch .LBB120_138
.LBB120_137:
	v_mov_b32_e32 v16, 0
	v_mov_b32_e32 v17, 0
.LBB120_138:
	s_delay_alu instid0(VALU_DEP_1) | instskip(SKIP_2) | instid1(VALU_DEP_1)
	v_cvt_f32_f64_e32 v16, v[16:17]
	v_max_f32_e32 v17, v108, v108
	v_lshlrev_b64 v[23:24], 3, v[12:13]
	v_add_co_u32 v23, vcc_lo, v20, v23
	s_delay_alu instid0(VALU_DEP_2) | instskip(NEXT) | instid1(VALU_DEP_4)
	v_add_co_ci_u32_e32 v24, vcc_lo, v21, v24, vcc_lo
	v_min_f32_e32 v16, v16, v17
	s_delay_alu instid0(VALU_DEP_1) | instskip(SKIP_3) | instid1(SALU_CYCLE_1)
	v_cvt_f64_f32_e32 v[16:17], v16
	global_store_b64 v[23:24], v[16:17], off
	s_or_b32 exec_lo, exec_lo, s9
	s_and_b32 s9, s7, s8
	s_and_saveexec_b32 s8, s9
	s_cbranch_execz .LBB120_143
.LBB120_139:
	v_cmp_ne_u32_e32 vcc_lo, 1, v18
	s_cbranch_vccnz .LBB120_141
; %bb.140:
	v_lshlrev_b64 v[16:17], 3, v[14:15]
	s_delay_alu instid0(VALU_DEP_1) | instskip(NEXT) | instid1(VALU_DEP_2)
	v_add_co_u32 v16, vcc_lo, v22, v16
	v_add_co_ci_u32_e32 v17, vcc_lo, v25, v17, vcc_lo
	flat_load_b64 v[16:17], v[16:17]
	s_waitcnt vmcnt(0) lgkmcnt(0)
	v_mul_f64 v[16:17], s[10:11], v[16:17]
	s_branch .LBB120_142
.LBB120_141:
	v_mov_b32_e32 v16, 0
	v_mov_b32_e32 v17, 0
.LBB120_142:
	s_delay_alu instid0(VALU_DEP_1) | instskip(SKIP_2) | instid1(VALU_DEP_1)
	v_cvt_f32_f64_e32 v16, v[16:17]
	v_max_f32_e32 v17, v103, v103
	v_lshlrev_b64 v[22:23], 3, v[14:15]
	v_add_co_u32 v20, vcc_lo, v20, v22
	s_delay_alu instid0(VALU_DEP_2) | instskip(NEXT) | instid1(VALU_DEP_4)
	v_add_co_ci_u32_e32 v21, vcc_lo, v21, v23, vcc_lo
	v_min_f32_e32 v16, v16, v17
	s_delay_alu instid0(VALU_DEP_1)
	v_cvt_f64_f32_e32 v[16:17], v16
	global_store_b64 v[20:21], v[16:17], off
.LBB120_143:
	s_or_b32 exec_lo, exec_lo, s8
	v_add_nc_u32_e32 v22, 64, v19
	s_delay_alu instid0(VALU_DEP_1) | instskip(SKIP_2) | instid1(VALU_DEP_3)
	v_mad_i64_i32 v[16:17], null, v22, s20, 0
	v_mad_i64_i32 v[20:21], null, v22, s18, 0
	v_cmp_gt_i32_e64 s8, s17, v22
	v_lshlrev_b64 v[16:17], 3, v[16:17]
	s_delay_alu instid0(VALU_DEP_2) | instskip(NEXT) | instid1(VALU_DEP_3)
	s_and_b32 s16, s0, s8
	v_lshlrev_b64 v[20:21], 3, v[20:21]
	s_delay_alu instid0(VALU_DEP_2) | instskip(NEXT) | instid1(VALU_DEP_3)
	v_add_co_u32 v22, vcc_lo, s12, v16
	v_add_co_ci_u32_e32 v25, vcc_lo, s13, v17, vcc_lo
	s_delay_alu instid0(VALU_DEP_3) | instskip(NEXT) | instid1(VALU_DEP_4)
	v_add_co_u32 v20, vcc_lo, s14, v20
	v_add_co_ci_u32_e32 v21, vcc_lo, s15, v21, vcc_lo
	s_and_saveexec_b32 s9, s16
	s_cbranch_execnz .LBB120_151
; %bb.144:
	s_or_b32 exec_lo, exec_lo, s9
	s_and_b32 s16, s1, s8
	s_delay_alu instid0(SALU_CYCLE_1)
	s_and_saveexec_b32 s9, s16
	s_cbranch_execnz .LBB120_155
.LBB120_145:
	s_or_b32 exec_lo, exec_lo, s9
	s_and_b32 s16, s2, s8
	s_delay_alu instid0(SALU_CYCLE_1)
	s_and_saveexec_b32 s9, s16
	s_cbranch_execnz .LBB120_159
.LBB120_146:
	s_or_b32 exec_lo, exec_lo, s9
	s_and_b32 s16, s3, s8
	s_delay_alu instid0(SALU_CYCLE_1)
	s_and_saveexec_b32 s9, s16
	s_cbranch_execnz .LBB120_163
.LBB120_147:
	s_or_b32 exec_lo, exec_lo, s9
	s_and_b32 s16, s4, s8
	s_delay_alu instid0(SALU_CYCLE_1)
	s_and_saveexec_b32 s9, s16
	s_cbranch_execnz .LBB120_167
.LBB120_148:
	s_or_b32 exec_lo, exec_lo, s9
	s_and_b32 s16, s5, s8
	s_delay_alu instid0(SALU_CYCLE_1)
	s_and_saveexec_b32 s9, s16
	s_cbranch_execnz .LBB120_171
.LBB120_149:
	s_or_b32 exec_lo, exec_lo, s9
	s_and_b32 s16, s6, s8
	s_delay_alu instid0(SALU_CYCLE_1)
	s_and_saveexec_b32 s9, s16
	s_cbranch_execnz .LBB120_175
.LBB120_150:
	s_or_b32 exec_lo, exec_lo, s9
	s_and_b32 s9, s7, s8
	s_delay_alu instid0(SALU_CYCLE_1)
	s_and_saveexec_b32 s8, s9
	s_cbranch_execnz .LBB120_179
	s_branch .LBB120_183
.LBB120_151:
	v_cmp_ne_u32_e32 vcc_lo, 1, v18
	s_cbranch_vccnz .LBB120_153
; %bb.152:
	v_lshlrev_b64 v[16:17], 3, v[0:1]
	s_delay_alu instid0(VALU_DEP_1) | instskip(NEXT) | instid1(VALU_DEP_2)
	v_add_co_u32 v16, vcc_lo, v22, v16
	v_add_co_ci_u32_e32 v17, vcc_lo, v25, v17, vcc_lo
	flat_load_b64 v[16:17], v[16:17]
	s_waitcnt vmcnt(0) lgkmcnt(0)
	v_mul_f64 v[16:17], s[10:11], v[16:17]
	s_branch .LBB120_154
.LBB120_153:
	v_mov_b32_e32 v16, 0
	v_mov_b32_e32 v17, 0
.LBB120_154:
	s_delay_alu instid0(VALU_DEP_1) | instskip(SKIP_2) | instid1(VALU_DEP_1)
	v_cvt_f32_f64_e32 v16, v[16:17]
	v_max_f32_e32 v17, v102, v102
	v_lshlrev_b64 v[23:24], 3, v[0:1]
	v_add_co_u32 v23, vcc_lo, v20, v23
	s_delay_alu instid0(VALU_DEP_2) | instskip(NEXT) | instid1(VALU_DEP_4)
	v_add_co_ci_u32_e32 v24, vcc_lo, v21, v24, vcc_lo
	v_min_f32_e32 v16, v16, v17
	s_delay_alu instid0(VALU_DEP_1) | instskip(SKIP_3) | instid1(SALU_CYCLE_1)
	v_cvt_f64_f32_e32 v[16:17], v16
	global_store_b64 v[23:24], v[16:17], off
	s_or_b32 exec_lo, exec_lo, s9
	s_and_b32 s16, s1, s8
	s_and_saveexec_b32 s9, s16
	s_cbranch_execz .LBB120_145
.LBB120_155:
	v_cmp_ne_u32_e32 vcc_lo, 1, v18
	s_cbranch_vccnz .LBB120_157
; %bb.156:
	v_lshlrev_b64 v[16:17], 3, v[2:3]
	s_delay_alu instid0(VALU_DEP_1) | instskip(NEXT) | instid1(VALU_DEP_2)
	v_add_co_u32 v16, vcc_lo, v22, v16
	v_add_co_ci_u32_e32 v17, vcc_lo, v25, v17, vcc_lo
	flat_load_b64 v[16:17], v[16:17]
	s_waitcnt vmcnt(0) lgkmcnt(0)
	v_mul_f64 v[16:17], s[10:11], v[16:17]
	s_branch .LBB120_158
.LBB120_157:
	v_mov_b32_e32 v16, 0
	v_mov_b32_e32 v17, 0
.LBB120_158:
	s_delay_alu instid0(VALU_DEP_1) | instskip(SKIP_2) | instid1(VALU_DEP_1)
	v_cvt_f32_f64_e32 v16, v[16:17]
	v_max_f32_e32 v17, v111, v111
	v_lshlrev_b64 v[23:24], 3, v[2:3]
	v_add_co_u32 v23, vcc_lo, v20, v23
	s_delay_alu instid0(VALU_DEP_2) | instskip(NEXT) | instid1(VALU_DEP_4)
	v_add_co_ci_u32_e32 v24, vcc_lo, v21, v24, vcc_lo
	v_min_f32_e32 v16, v16, v17
	s_delay_alu instid0(VALU_DEP_1) | instskip(SKIP_3) | instid1(SALU_CYCLE_1)
	v_cvt_f64_f32_e32 v[16:17], v16
	global_store_b64 v[23:24], v[16:17], off
	s_or_b32 exec_lo, exec_lo, s9
	s_and_b32 s16, s2, s8
	s_and_saveexec_b32 s9, s16
	s_cbranch_execz .LBB120_146
.LBB120_159:
	v_cmp_ne_u32_e32 vcc_lo, 1, v18
	s_cbranch_vccnz .LBB120_161
; %bb.160:
	v_lshlrev_b64 v[16:17], 3, v[4:5]
	s_delay_alu instid0(VALU_DEP_1) | instskip(NEXT) | instid1(VALU_DEP_2)
	v_add_co_u32 v16, vcc_lo, v22, v16
	v_add_co_ci_u32_e32 v17, vcc_lo, v25, v17, vcc_lo
	flat_load_b64 v[16:17], v[16:17]
	s_waitcnt vmcnt(0) lgkmcnt(0)
	v_mul_f64 v[16:17], s[10:11], v[16:17]
	s_branch .LBB120_162
.LBB120_161:
	v_mov_b32_e32 v16, 0
	v_mov_b32_e32 v17, 0
.LBB120_162:
	s_delay_alu instid0(VALU_DEP_1) | instskip(SKIP_2) | instid1(VALU_DEP_1)
	v_cvt_f32_f64_e32 v16, v[16:17]
	v_max_f32_e32 v17, v110, v110
	v_lshlrev_b64 v[23:24], 3, v[4:5]
	v_add_co_u32 v23, vcc_lo, v20, v23
	s_delay_alu instid0(VALU_DEP_2) | instskip(NEXT) | instid1(VALU_DEP_4)
	v_add_co_ci_u32_e32 v24, vcc_lo, v21, v24, vcc_lo
	v_min_f32_e32 v16, v16, v17
	s_delay_alu instid0(VALU_DEP_1) | instskip(SKIP_3) | instid1(SALU_CYCLE_1)
	v_cvt_f64_f32_e32 v[16:17], v16
	global_store_b64 v[23:24], v[16:17], off
	s_or_b32 exec_lo, exec_lo, s9
	s_and_b32 s16, s3, s8
	s_and_saveexec_b32 s9, s16
	s_cbranch_execz .LBB120_147
.LBB120_163:
	v_cmp_ne_u32_e32 vcc_lo, 1, v18
	s_cbranch_vccnz .LBB120_165
; %bb.164:
	v_lshlrev_b64 v[16:17], 3, v[6:7]
	s_delay_alu instid0(VALU_DEP_1) | instskip(NEXT) | instid1(VALU_DEP_2)
	v_add_co_u32 v16, vcc_lo, v22, v16
	v_add_co_ci_u32_e32 v17, vcc_lo, v25, v17, vcc_lo
	flat_load_b64 v[16:17], v[16:17]
	s_waitcnt vmcnt(0) lgkmcnt(0)
	v_mul_f64 v[16:17], s[10:11], v[16:17]
	s_branch .LBB120_166
.LBB120_165:
	v_mov_b32_e32 v16, 0
	v_mov_b32_e32 v17, 0
.LBB120_166:
	s_delay_alu instid0(VALU_DEP_1) | instskip(SKIP_2) | instid1(VALU_DEP_1)
	v_cvt_f32_f64_e32 v16, v[16:17]
	v_max_f32_e32 v17, v112, v112
	v_lshlrev_b64 v[23:24], 3, v[6:7]
	v_add_co_u32 v23, vcc_lo, v20, v23
	s_delay_alu instid0(VALU_DEP_2) | instskip(NEXT) | instid1(VALU_DEP_4)
	v_add_co_ci_u32_e32 v24, vcc_lo, v21, v24, vcc_lo
	v_min_f32_e32 v16, v16, v17
	s_delay_alu instid0(VALU_DEP_1) | instskip(SKIP_3) | instid1(SALU_CYCLE_1)
	v_cvt_f64_f32_e32 v[16:17], v16
	global_store_b64 v[23:24], v[16:17], off
	s_or_b32 exec_lo, exec_lo, s9
	s_and_b32 s16, s4, s8
	s_and_saveexec_b32 s9, s16
	s_cbranch_execz .LBB120_148
.LBB120_167:
	v_cmp_ne_u32_e32 vcc_lo, 1, v18
	s_cbranch_vccnz .LBB120_169
; %bb.168:
	v_lshlrev_b64 v[16:17], 3, v[8:9]
	s_delay_alu instid0(VALU_DEP_1) | instskip(NEXT) | instid1(VALU_DEP_2)
	v_add_co_u32 v16, vcc_lo, v22, v16
	v_add_co_ci_u32_e32 v17, vcc_lo, v25, v17, vcc_lo
	flat_load_b64 v[16:17], v[16:17]
	s_waitcnt vmcnt(0) lgkmcnt(0)
	v_mul_f64 v[16:17], s[10:11], v[16:17]
	s_branch .LBB120_170
.LBB120_169:
	v_mov_b32_e32 v16, 0
	v_mov_b32_e32 v17, 0
.LBB120_170:
	s_delay_alu instid0(VALU_DEP_1) | instskip(SKIP_2) | instid1(VALU_DEP_1)
	v_cvt_f32_f64_e32 v16, v[16:17]
	v_max_f32_e32 v17, v107, v107
	v_lshlrev_b64 v[23:24], 3, v[8:9]
	v_add_co_u32 v23, vcc_lo, v20, v23
	s_delay_alu instid0(VALU_DEP_2) | instskip(NEXT) | instid1(VALU_DEP_4)
	v_add_co_ci_u32_e32 v24, vcc_lo, v21, v24, vcc_lo
	v_min_f32_e32 v16, v16, v17
	s_delay_alu instid0(VALU_DEP_1) | instskip(SKIP_3) | instid1(SALU_CYCLE_1)
	v_cvt_f64_f32_e32 v[16:17], v16
	global_store_b64 v[23:24], v[16:17], off
	s_or_b32 exec_lo, exec_lo, s9
	s_and_b32 s16, s5, s8
	s_and_saveexec_b32 s9, s16
	s_cbranch_execz .LBB120_149
.LBB120_171:
	v_cmp_ne_u32_e32 vcc_lo, 1, v18
	s_cbranch_vccnz .LBB120_173
; %bb.172:
	v_lshlrev_b64 v[16:17], 3, v[10:11]
	s_delay_alu instid0(VALU_DEP_1) | instskip(NEXT) | instid1(VALU_DEP_2)
	v_add_co_u32 v16, vcc_lo, v22, v16
	v_add_co_ci_u32_e32 v17, vcc_lo, v25, v17, vcc_lo
	flat_load_b64 v[16:17], v[16:17]
	s_waitcnt vmcnt(0) lgkmcnt(0)
	v_mul_f64 v[16:17], s[10:11], v[16:17]
	s_branch .LBB120_174
.LBB120_173:
	v_mov_b32_e32 v16, 0
	v_mov_b32_e32 v17, 0
.LBB120_174:
	s_delay_alu instid0(VALU_DEP_1) | instskip(SKIP_2) | instid1(VALU_DEP_1)
	v_cvt_f32_f64_e32 v16, v[16:17]
	v_max_f32_e32 v17, v106, v106
	v_lshlrev_b64 v[23:24], 3, v[10:11]
	v_add_co_u32 v23, vcc_lo, v20, v23
	s_delay_alu instid0(VALU_DEP_2) | instskip(NEXT) | instid1(VALU_DEP_4)
	v_add_co_ci_u32_e32 v24, vcc_lo, v21, v24, vcc_lo
	v_min_f32_e32 v16, v16, v17
	s_delay_alu instid0(VALU_DEP_1) | instskip(SKIP_3) | instid1(SALU_CYCLE_1)
	v_cvt_f64_f32_e32 v[16:17], v16
	global_store_b64 v[23:24], v[16:17], off
	s_or_b32 exec_lo, exec_lo, s9
	s_and_b32 s16, s6, s8
	s_and_saveexec_b32 s9, s16
	s_cbranch_execz .LBB120_150
.LBB120_175:
	v_cmp_ne_u32_e32 vcc_lo, 1, v18
	s_cbranch_vccnz .LBB120_177
; %bb.176:
	v_lshlrev_b64 v[16:17], 3, v[12:13]
	s_delay_alu instid0(VALU_DEP_1) | instskip(NEXT) | instid1(VALU_DEP_2)
	v_add_co_u32 v16, vcc_lo, v22, v16
	v_add_co_ci_u32_e32 v17, vcc_lo, v25, v17, vcc_lo
	flat_load_b64 v[16:17], v[16:17]
	s_waitcnt vmcnt(0) lgkmcnt(0)
	v_mul_f64 v[16:17], s[10:11], v[16:17]
	s_branch .LBB120_178
.LBB120_177:
	v_mov_b32_e32 v16, 0
	v_mov_b32_e32 v17, 0
.LBB120_178:
	s_delay_alu instid0(VALU_DEP_1) | instskip(SKIP_2) | instid1(VALU_DEP_1)
	v_cvt_f32_f64_e32 v16, v[16:17]
	v_max_f32_e32 v17, v48, v48
	v_lshlrev_b64 v[23:24], 3, v[12:13]
	v_add_co_u32 v23, vcc_lo, v20, v23
	s_delay_alu instid0(VALU_DEP_2) | instskip(NEXT) | instid1(VALU_DEP_4)
	v_add_co_ci_u32_e32 v24, vcc_lo, v21, v24, vcc_lo
	v_min_f32_e32 v16, v16, v17
	s_delay_alu instid0(VALU_DEP_1) | instskip(SKIP_3) | instid1(SALU_CYCLE_1)
	v_cvt_f64_f32_e32 v[16:17], v16
	global_store_b64 v[23:24], v[16:17], off
	s_or_b32 exec_lo, exec_lo, s9
	s_and_b32 s9, s7, s8
	s_and_saveexec_b32 s8, s9
	s_cbranch_execz .LBB120_183
.LBB120_179:
	v_cmp_ne_u32_e32 vcc_lo, 1, v18
	s_cbranch_vccnz .LBB120_181
; %bb.180:
	v_lshlrev_b64 v[16:17], 3, v[14:15]
	s_delay_alu instid0(VALU_DEP_1) | instskip(NEXT) | instid1(VALU_DEP_2)
	v_add_co_u32 v16, vcc_lo, v22, v16
	v_add_co_ci_u32_e32 v17, vcc_lo, v25, v17, vcc_lo
	flat_load_b64 v[16:17], v[16:17]
	s_waitcnt vmcnt(0) lgkmcnt(0)
	v_mul_f64 v[16:17], s[10:11], v[16:17]
	s_branch .LBB120_182
.LBB120_181:
	v_mov_b32_e32 v16, 0
	v_mov_b32_e32 v17, 0
.LBB120_182:
	s_delay_alu instid0(VALU_DEP_1) | instskip(SKIP_2) | instid1(VALU_DEP_1)
	v_cvt_f32_f64_e32 v16, v[16:17]
	v_max_f32_e32 v17, v63, v63
	v_lshlrev_b64 v[22:23], 3, v[14:15]
	v_add_co_u32 v20, vcc_lo, v20, v22
	s_delay_alu instid0(VALU_DEP_2) | instskip(NEXT) | instid1(VALU_DEP_4)
	v_add_co_ci_u32_e32 v21, vcc_lo, v21, v23, vcc_lo
	v_min_f32_e32 v16, v16, v17
	s_delay_alu instid0(VALU_DEP_1)
	v_cvt_f64_f32_e32 v[16:17], v16
	global_store_b64 v[20:21], v[16:17], off
.LBB120_183:
	s_or_b32 exec_lo, exec_lo, s8
	v_add_nc_u32_e32 v22, 0x60, v19
	s_delay_alu instid0(VALU_DEP_1) | instskip(SKIP_2) | instid1(VALU_DEP_3)
	v_mad_i64_i32 v[16:17], null, v22, s20, 0
	v_mad_i64_i32 v[20:21], null, v22, s18, 0
	v_cmp_gt_i32_e64 s8, s17, v22
	v_lshlrev_b64 v[16:17], 3, v[16:17]
	s_delay_alu instid0(VALU_DEP_2) | instskip(NEXT) | instid1(VALU_DEP_3)
	s_and_b32 s16, s0, s8
	v_lshlrev_b64 v[20:21], 3, v[20:21]
	s_delay_alu instid0(VALU_DEP_2) | instskip(NEXT) | instid1(VALU_DEP_3)
	v_add_co_u32 v22, vcc_lo, s12, v16
	v_add_co_ci_u32_e32 v25, vcc_lo, s13, v17, vcc_lo
	s_delay_alu instid0(VALU_DEP_3) | instskip(NEXT) | instid1(VALU_DEP_4)
	v_add_co_u32 v20, vcc_lo, s14, v20
	v_add_co_ci_u32_e32 v21, vcc_lo, s15, v21, vcc_lo
	s_and_saveexec_b32 s9, s16
	s_cbranch_execnz .LBB120_191
; %bb.184:
	s_or_b32 exec_lo, exec_lo, s9
	s_and_b32 s16, s1, s8
	s_delay_alu instid0(SALU_CYCLE_1)
	s_and_saveexec_b32 s9, s16
	s_cbranch_execnz .LBB120_195
.LBB120_185:
	s_or_b32 exec_lo, exec_lo, s9
	s_and_b32 s16, s2, s8
	s_delay_alu instid0(SALU_CYCLE_1)
	s_and_saveexec_b32 s9, s16
	s_cbranch_execnz .LBB120_199
.LBB120_186:
	s_or_b32 exec_lo, exec_lo, s9
	s_and_b32 s16, s3, s8
	s_delay_alu instid0(SALU_CYCLE_1)
	s_and_saveexec_b32 s9, s16
	s_cbranch_execnz .LBB120_203
.LBB120_187:
	s_or_b32 exec_lo, exec_lo, s9
	s_and_b32 s16, s4, s8
	s_delay_alu instid0(SALU_CYCLE_1)
	s_and_saveexec_b32 s9, s16
	s_cbranch_execnz .LBB120_207
.LBB120_188:
	s_or_b32 exec_lo, exec_lo, s9
	s_and_b32 s16, s5, s8
	s_delay_alu instid0(SALU_CYCLE_1)
	s_and_saveexec_b32 s9, s16
	s_cbranch_execnz .LBB120_211
.LBB120_189:
	s_or_b32 exec_lo, exec_lo, s9
	s_and_b32 s16, s6, s8
	s_delay_alu instid0(SALU_CYCLE_1)
	s_and_saveexec_b32 s9, s16
	s_cbranch_execnz .LBB120_215
.LBB120_190:
	s_or_b32 exec_lo, exec_lo, s9
	s_and_b32 s9, s7, s8
	s_delay_alu instid0(SALU_CYCLE_1)
	s_and_saveexec_b32 s8, s9
	s_cbranch_execnz .LBB120_219
	s_branch .LBB120_223
.LBB120_191:
	v_cmp_ne_u32_e32 vcc_lo, 1, v18
	s_cbranch_vccnz .LBB120_193
; %bb.192:
	v_lshlrev_b64 v[16:17], 3, v[0:1]
	s_delay_alu instid0(VALU_DEP_1) | instskip(NEXT) | instid1(VALU_DEP_2)
	v_add_co_u32 v16, vcc_lo, v22, v16
	v_add_co_ci_u32_e32 v17, vcc_lo, v25, v17, vcc_lo
	flat_load_b64 v[16:17], v[16:17]
	s_waitcnt vmcnt(0) lgkmcnt(0)
	v_mul_f64 v[16:17], s[10:11], v[16:17]
	s_branch .LBB120_194
.LBB120_193:
	v_mov_b32_e32 v16, 0
	v_mov_b32_e32 v17, 0
.LBB120_194:
	s_delay_alu instid0(VALU_DEP_1) | instskip(SKIP_2) | instid1(VALU_DEP_1)
	v_cvt_f32_f64_e32 v16, v[16:17]
	v_max_f32_e32 v17, v31, v31
	v_lshlrev_b64 v[23:24], 3, v[0:1]
	v_add_co_u32 v23, vcc_lo, v20, v23
	s_delay_alu instid0(VALU_DEP_2) | instskip(NEXT) | instid1(VALU_DEP_4)
	v_add_co_ci_u32_e32 v24, vcc_lo, v21, v24, vcc_lo
	v_min_f32_e32 v16, v16, v17
	s_delay_alu instid0(VALU_DEP_1) | instskip(SKIP_3) | instid1(SALU_CYCLE_1)
	v_cvt_f64_f32_e32 v[16:17], v16
	global_store_b64 v[23:24], v[16:17], off
	s_or_b32 exec_lo, exec_lo, s9
	s_and_b32 s16, s1, s8
	s_and_saveexec_b32 s9, s16
	s_cbranch_execz .LBB120_185
.LBB120_195:
	v_cmp_ne_u32_e32 vcc_lo, 1, v18
	s_cbranch_vccnz .LBB120_197
; %bb.196:
	v_lshlrev_b64 v[16:17], 3, v[2:3]
	s_delay_alu instid0(VALU_DEP_1) | instskip(NEXT) | instid1(VALU_DEP_2)
	v_add_co_u32 v16, vcc_lo, v22, v16
	v_add_co_ci_u32_e32 v17, vcc_lo, v25, v17, vcc_lo
	flat_load_b64 v[16:17], v[16:17]
	s_waitcnt vmcnt(0) lgkmcnt(0)
	v_mul_f64 v[16:17], s[10:11], v[16:17]
	s_branch .LBB120_198
.LBB120_197:
	v_mov_b32_e32 v16, 0
	v_mov_b32_e32 v17, 0
.LBB120_198:
	s_delay_alu instid0(VALU_DEP_1) | instskip(SKIP_2) | instid1(VALU_DEP_1)
	v_cvt_f32_f64_e32 v16, v[16:17]
	v_max_f32_e32 v17, v30, v30
	v_lshlrev_b64 v[23:24], 3, v[2:3]
	v_add_co_u32 v23, vcc_lo, v20, v23
	s_delay_alu instid0(VALU_DEP_2) | instskip(NEXT) | instid1(VALU_DEP_4)
	v_add_co_ci_u32_e32 v24, vcc_lo, v21, v24, vcc_lo
	v_min_f32_e32 v16, v16, v17
	s_delay_alu instid0(VALU_DEP_1) | instskip(SKIP_3) | instid1(SALU_CYCLE_1)
	v_cvt_f64_f32_e32 v[16:17], v16
	global_store_b64 v[23:24], v[16:17], off
	s_or_b32 exec_lo, exec_lo, s9
	s_and_b32 s16, s2, s8
	s_and_saveexec_b32 s9, s16
	s_cbranch_execz .LBB120_186
.LBB120_199:
	v_cmp_ne_u32_e32 vcc_lo, 1, v18
	s_cbranch_vccnz .LBB120_201
; %bb.200:
	v_lshlrev_b64 v[16:17], 3, v[4:5]
	s_delay_alu instid0(VALU_DEP_1) | instskip(NEXT) | instid1(VALU_DEP_2)
	v_add_co_u32 v16, vcc_lo, v22, v16
	v_add_co_ci_u32_e32 v17, vcc_lo, v25, v17, vcc_lo
	flat_load_b64 v[16:17], v[16:17]
	s_waitcnt vmcnt(0) lgkmcnt(0)
	v_mul_f64 v[16:17], s[10:11], v[16:17]
	s_branch .LBB120_202
.LBB120_201:
	v_mov_b32_e32 v16, 0
	v_mov_b32_e32 v17, 0
.LBB120_202:
	s_delay_alu instid0(VALU_DEP_1) | instskip(SKIP_2) | instid1(VALU_DEP_1)
	v_cvt_f32_f64_e32 v16, v[16:17]
	v_max_f32_e32 v17, v203, v203
	v_lshlrev_b64 v[23:24], 3, v[4:5]
	v_add_co_u32 v23, vcc_lo, v20, v23
	s_delay_alu instid0(VALU_DEP_2) | instskip(NEXT) | instid1(VALU_DEP_4)
	v_add_co_ci_u32_e32 v24, vcc_lo, v21, v24, vcc_lo
	v_min_f32_e32 v16, v16, v17
	s_delay_alu instid0(VALU_DEP_1) | instskip(SKIP_3) | instid1(SALU_CYCLE_1)
	v_cvt_f64_f32_e32 v[16:17], v16
	global_store_b64 v[23:24], v[16:17], off
	s_or_b32 exec_lo, exec_lo, s9
	s_and_b32 s16, s3, s8
	s_and_saveexec_b32 s9, s16
	s_cbranch_execz .LBB120_187
.LBB120_203:
	v_cmp_ne_u32_e32 vcc_lo, 1, v18
	s_cbranch_vccnz .LBB120_205
; %bb.204:
	v_lshlrev_b64 v[16:17], 3, v[6:7]
	s_delay_alu instid0(VALU_DEP_1) | instskip(NEXT) | instid1(VALU_DEP_2)
	v_add_co_u32 v16, vcc_lo, v22, v16
	v_add_co_ci_u32_e32 v17, vcc_lo, v25, v17, vcc_lo
	flat_load_b64 v[16:17], v[16:17]
	s_waitcnt vmcnt(0) lgkmcnt(0)
	v_mul_f64 v[16:17], s[10:11], v[16:17]
	s_branch .LBB120_206
.LBB120_205:
	v_mov_b32_e32 v16, 0
	v_mov_b32_e32 v17, 0
.LBB120_206:
	s_delay_alu instid0(VALU_DEP_1) | instskip(SKIP_2) | instid1(VALU_DEP_1)
	v_cvt_f32_f64_e32 v16, v[16:17]
	v_max_f32_e32 v17, v29, v29
	v_lshlrev_b64 v[23:24], 3, v[6:7]
	v_add_co_u32 v23, vcc_lo, v20, v23
	s_delay_alu instid0(VALU_DEP_2) | instskip(NEXT) | instid1(VALU_DEP_4)
	v_add_co_ci_u32_e32 v24, vcc_lo, v21, v24, vcc_lo
	v_min_f32_e32 v16, v16, v17
	s_delay_alu instid0(VALU_DEP_1) | instskip(SKIP_3) | instid1(SALU_CYCLE_1)
	v_cvt_f64_f32_e32 v[16:17], v16
	global_store_b64 v[23:24], v[16:17], off
	s_or_b32 exec_lo, exec_lo, s9
	s_and_b32 s16, s4, s8
	s_and_saveexec_b32 s9, s16
	s_cbranch_execz .LBB120_188
.LBB120_207:
	v_cmp_ne_u32_e32 vcc_lo, 1, v18
	s_cbranch_vccnz .LBB120_209
; %bb.208:
	v_lshlrev_b64 v[16:17], 3, v[8:9]
	s_delay_alu instid0(VALU_DEP_1) | instskip(NEXT) | instid1(VALU_DEP_2)
	v_add_co_u32 v16, vcc_lo, v22, v16
	v_add_co_ci_u32_e32 v17, vcc_lo, v25, v17, vcc_lo
	flat_load_b64 v[16:17], v[16:17]
	s_waitcnt vmcnt(0) lgkmcnt(0)
	v_mul_f64 v[16:17], s[10:11], v[16:17]
	s_branch .LBB120_210
.LBB120_209:
	v_mov_b32_e32 v16, 0
	v_mov_b32_e32 v17, 0
.LBB120_210:
	s_delay_alu instid0(VALU_DEP_1) | instskip(SKIP_2) | instid1(VALU_DEP_1)
	v_cvt_f32_f64_e32 v16, v[16:17]
	v_max_f32_e32 v17, v200, v200
	v_lshlrev_b64 v[23:24], 3, v[8:9]
	v_add_co_u32 v23, vcc_lo, v20, v23
	s_delay_alu instid0(VALU_DEP_2) | instskip(NEXT) | instid1(VALU_DEP_4)
	v_add_co_ci_u32_e32 v24, vcc_lo, v21, v24, vcc_lo
	v_min_f32_e32 v16, v16, v17
	s_delay_alu instid0(VALU_DEP_1) | instskip(SKIP_3) | instid1(SALU_CYCLE_1)
	v_cvt_f64_f32_e32 v[16:17], v16
	global_store_b64 v[23:24], v[16:17], off
	s_or_b32 exec_lo, exec_lo, s9
	s_and_b32 s16, s5, s8
	s_and_saveexec_b32 s9, s16
	s_cbranch_execz .LBB120_189
.LBB120_211:
	v_cmp_ne_u32_e32 vcc_lo, 1, v18
	s_cbranch_vccnz .LBB120_213
; %bb.212:
	v_lshlrev_b64 v[16:17], 3, v[10:11]
	s_delay_alu instid0(VALU_DEP_1) | instskip(NEXT) | instid1(VALU_DEP_2)
	v_add_co_u32 v16, vcc_lo, v22, v16
	v_add_co_ci_u32_e32 v17, vcc_lo, v25, v17, vcc_lo
	flat_load_b64 v[16:17], v[16:17]
	s_waitcnt vmcnt(0) lgkmcnt(0)
	v_mul_f64 v[16:17], s[10:11], v[16:17]
	s_branch .LBB120_214
.LBB120_213:
	v_mov_b32_e32 v16, 0
	v_mov_b32_e32 v17, 0
.LBB120_214:
	s_delay_alu instid0(VALU_DEP_1) | instskip(SKIP_2) | instid1(VALU_DEP_1)
	v_cvt_f32_f64_e32 v16, v[16:17]
	v_max_f32_e32 v17, v27, v27
	v_lshlrev_b64 v[23:24], 3, v[10:11]
	v_add_co_u32 v23, vcc_lo, v20, v23
	s_delay_alu instid0(VALU_DEP_2) | instskip(NEXT) | instid1(VALU_DEP_4)
	v_add_co_ci_u32_e32 v24, vcc_lo, v21, v24, vcc_lo
	v_min_f32_e32 v16, v16, v17
	s_delay_alu instid0(VALU_DEP_1) | instskip(SKIP_3) | instid1(SALU_CYCLE_1)
	v_cvt_f64_f32_e32 v[16:17], v16
	global_store_b64 v[23:24], v[16:17], off
	s_or_b32 exec_lo, exec_lo, s9
	s_and_b32 s16, s6, s8
	s_and_saveexec_b32 s9, s16
	s_cbranch_execz .LBB120_190
.LBB120_215:
	v_cmp_ne_u32_e32 vcc_lo, 1, v18
	s_cbranch_vccnz .LBB120_217
; %bb.216:
	v_lshlrev_b64 v[16:17], 3, v[12:13]
	s_delay_alu instid0(VALU_DEP_1) | instskip(NEXT) | instid1(VALU_DEP_2)
	v_add_co_u32 v16, vcc_lo, v22, v16
	v_add_co_ci_u32_e32 v17, vcc_lo, v25, v17, vcc_lo
	flat_load_b64 v[16:17], v[16:17]
	s_waitcnt vmcnt(0) lgkmcnt(0)
	v_mul_f64 v[16:17], s[10:11], v[16:17]
	s_branch .LBB120_218
.LBB120_217:
	v_mov_b32_e32 v16, 0
	v_mov_b32_e32 v17, 0
.LBB120_218:
	s_delay_alu instid0(VALU_DEP_1) | instskip(SKIP_2) | instid1(VALU_DEP_1)
	v_cvt_f32_f64_e32 v16, v[16:17]
	v_max_f32_e32 v17, v61, v61
	v_lshlrev_b64 v[23:24], 3, v[12:13]
	v_add_co_u32 v23, vcc_lo, v20, v23
	s_delay_alu instid0(VALU_DEP_2) | instskip(NEXT) | instid1(VALU_DEP_4)
	v_add_co_ci_u32_e32 v24, vcc_lo, v21, v24, vcc_lo
	v_min_f32_e32 v16, v16, v17
	s_delay_alu instid0(VALU_DEP_1) | instskip(SKIP_3) | instid1(SALU_CYCLE_1)
	v_cvt_f64_f32_e32 v[16:17], v16
	global_store_b64 v[23:24], v[16:17], off
	s_or_b32 exec_lo, exec_lo, s9
	s_and_b32 s9, s7, s8
	s_and_saveexec_b32 s8, s9
	s_cbranch_execz .LBB120_223
.LBB120_219:
	v_cmp_ne_u32_e32 vcc_lo, 1, v18
	s_cbranch_vccnz .LBB120_221
; %bb.220:
	v_lshlrev_b64 v[16:17], 3, v[14:15]
	s_delay_alu instid0(VALU_DEP_1) | instskip(NEXT) | instid1(VALU_DEP_2)
	v_add_co_u32 v16, vcc_lo, v22, v16
	v_add_co_ci_u32_e32 v17, vcc_lo, v25, v17, vcc_lo
	flat_load_b64 v[16:17], v[16:17]
	s_waitcnt vmcnt(0) lgkmcnt(0)
	v_mul_f64 v[16:17], s[10:11], v[16:17]
	s_branch .LBB120_222
.LBB120_221:
	v_mov_b32_e32 v16, 0
	v_mov_b32_e32 v17, 0
.LBB120_222:
	s_delay_alu instid0(VALU_DEP_1) | instskip(SKIP_2) | instid1(VALU_DEP_1)
	v_cvt_f32_f64_e32 v16, v[16:17]
	v_max_f32_e32 v17, v65, v65
	v_lshlrev_b64 v[22:23], 3, v[14:15]
	v_add_co_u32 v20, vcc_lo, v20, v22
	s_delay_alu instid0(VALU_DEP_2) | instskip(NEXT) | instid1(VALU_DEP_4)
	v_add_co_ci_u32_e32 v21, vcc_lo, v21, v23, vcc_lo
	v_min_f32_e32 v16, v16, v17
	s_delay_alu instid0(VALU_DEP_1)
	v_cvt_f64_f32_e32 v[16:17], v16
	global_store_b64 v[20:21], v[16:17], off
.LBB120_223:
	s_or_b32 exec_lo, exec_lo, s8
	v_add_nc_u32_e32 v22, 0x80, v19
	s_delay_alu instid0(VALU_DEP_1) | instskip(SKIP_2) | instid1(VALU_DEP_3)
	v_mad_i64_i32 v[16:17], null, v22, s20, 0
	v_mad_i64_i32 v[20:21], null, v22, s18, 0
	v_cmp_gt_i32_e64 s8, s17, v22
	v_lshlrev_b64 v[16:17], 3, v[16:17]
	s_delay_alu instid0(VALU_DEP_2) | instskip(NEXT) | instid1(VALU_DEP_3)
	s_and_b32 s16, s0, s8
	v_lshlrev_b64 v[20:21], 3, v[20:21]
	s_delay_alu instid0(VALU_DEP_2) | instskip(NEXT) | instid1(VALU_DEP_3)
	v_add_co_u32 v22, vcc_lo, s12, v16
	v_add_co_ci_u32_e32 v25, vcc_lo, s13, v17, vcc_lo
	s_delay_alu instid0(VALU_DEP_3) | instskip(NEXT) | instid1(VALU_DEP_4)
	v_add_co_u32 v20, vcc_lo, s14, v20
	v_add_co_ci_u32_e32 v21, vcc_lo, s15, v21, vcc_lo
	s_and_saveexec_b32 s9, s16
	s_cbranch_execnz .LBB120_231
; %bb.224:
	s_or_b32 exec_lo, exec_lo, s9
	s_and_b32 s16, s1, s8
	s_delay_alu instid0(SALU_CYCLE_1)
	s_and_saveexec_b32 s9, s16
	s_cbranch_execnz .LBB120_235
.LBB120_225:
	s_or_b32 exec_lo, exec_lo, s9
	s_and_b32 s16, s2, s8
	s_delay_alu instid0(SALU_CYCLE_1)
	s_and_saveexec_b32 s9, s16
	s_cbranch_execnz .LBB120_239
.LBB120_226:
	s_or_b32 exec_lo, exec_lo, s9
	s_and_b32 s16, s3, s8
	s_delay_alu instid0(SALU_CYCLE_1)
	s_and_saveexec_b32 s9, s16
	s_cbranch_execnz .LBB120_243
.LBB120_227:
	s_or_b32 exec_lo, exec_lo, s9
	s_and_b32 s16, s4, s8
	s_delay_alu instid0(SALU_CYCLE_1)
	s_and_saveexec_b32 s9, s16
	s_cbranch_execnz .LBB120_247
.LBB120_228:
	s_or_b32 exec_lo, exec_lo, s9
	s_and_b32 s16, s5, s8
	s_delay_alu instid0(SALU_CYCLE_1)
	s_and_saveexec_b32 s9, s16
	s_cbranch_execnz .LBB120_251
.LBB120_229:
	s_or_b32 exec_lo, exec_lo, s9
	s_and_b32 s16, s6, s8
	s_delay_alu instid0(SALU_CYCLE_1)
	s_and_saveexec_b32 s9, s16
	s_cbranch_execnz .LBB120_255
.LBB120_230:
	s_or_b32 exec_lo, exec_lo, s9
	s_and_b32 s9, s7, s8
	s_delay_alu instid0(SALU_CYCLE_1)
	s_and_saveexec_b32 s8, s9
	s_cbranch_execnz .LBB120_259
	s_branch .LBB120_263
.LBB120_231:
	v_cmp_ne_u32_e32 vcc_lo, 1, v18
	s_cbranch_vccnz .LBB120_233
; %bb.232:
	v_lshlrev_b64 v[16:17], 3, v[0:1]
	s_delay_alu instid0(VALU_DEP_1) | instskip(NEXT) | instid1(VALU_DEP_2)
	v_add_co_u32 v16, vcc_lo, v22, v16
	v_add_co_ci_u32_e32 v17, vcc_lo, v25, v17, vcc_lo
	flat_load_b64 v[16:17], v[16:17]
	s_waitcnt vmcnt(0) lgkmcnt(0)
	v_mul_f64 v[16:17], s[10:11], v[16:17]
	s_branch .LBB120_234
.LBB120_233:
	v_mov_b32_e32 v16, 0
	v_mov_b32_e32 v17, 0
.LBB120_234:
	s_delay_alu instid0(VALU_DEP_1) | instskip(SKIP_2) | instid1(VALU_DEP_1)
	v_cvt_f32_f64_e32 v16, v[16:17]
	v_max_f32_e32 v17, v199, v199
	v_lshlrev_b64 v[23:24], 3, v[0:1]
	v_add_co_u32 v23, vcc_lo, v20, v23
	s_delay_alu instid0(VALU_DEP_2) | instskip(NEXT) | instid1(VALU_DEP_4)
	v_add_co_ci_u32_e32 v24, vcc_lo, v21, v24, vcc_lo
	v_min_f32_e32 v16, v16, v17
	s_delay_alu instid0(VALU_DEP_1) | instskip(SKIP_3) | instid1(SALU_CYCLE_1)
	v_cvt_f64_f32_e32 v[16:17], v16
	global_store_b64 v[23:24], v[16:17], off
	s_or_b32 exec_lo, exec_lo, s9
	s_and_b32 s16, s1, s8
	s_and_saveexec_b32 s9, s16
	s_cbranch_execz .LBB120_225
.LBB120_235:
	v_cmp_ne_u32_e32 vcc_lo, 1, v18
	s_cbranch_vccnz .LBB120_237
; %bb.236:
	v_lshlrev_b64 v[16:17], 3, v[2:3]
	s_delay_alu instid0(VALU_DEP_1) | instskip(NEXT) | instid1(VALU_DEP_2)
	v_add_co_u32 v16, vcc_lo, v22, v16
	v_add_co_ci_u32_e32 v17, vcc_lo, v25, v17, vcc_lo
	flat_load_b64 v[16:17], v[16:17]
	s_waitcnt vmcnt(0) lgkmcnt(0)
	v_mul_f64 v[16:17], s[10:11], v[16:17]
	s_branch .LBB120_238
.LBB120_237:
	v_mov_b32_e32 v16, 0
	v_mov_b32_e32 v17, 0
.LBB120_238:
	s_delay_alu instid0(VALU_DEP_1) | instskip(SKIP_2) | instid1(VALU_DEP_1)
	v_cvt_f32_f64_e32 v16, v[16:17]
	v_max_f32_e32 v17, v26, v26
	v_lshlrev_b64 v[23:24], 3, v[2:3]
	v_add_co_u32 v23, vcc_lo, v20, v23
	s_delay_alu instid0(VALU_DEP_2) | instskip(NEXT) | instid1(VALU_DEP_4)
	v_add_co_ci_u32_e32 v24, vcc_lo, v21, v24, vcc_lo
	v_min_f32_e32 v16, v16, v17
	s_delay_alu instid0(VALU_DEP_1) | instskip(SKIP_3) | instid1(SALU_CYCLE_1)
	v_cvt_f64_f32_e32 v[16:17], v16
	global_store_b64 v[23:24], v[16:17], off
	s_or_b32 exec_lo, exec_lo, s9
	s_and_b32 s16, s2, s8
	s_and_saveexec_b32 s9, s16
	s_cbranch_execz .LBB120_226
.LBB120_239:
	v_cmp_ne_u32_e32 vcc_lo, 1, v18
	s_cbranch_vccnz .LBB120_241
; %bb.240:
	v_lshlrev_b64 v[16:17], 3, v[4:5]
	s_delay_alu instid0(VALU_DEP_1) | instskip(NEXT) | instid1(VALU_DEP_2)
	v_add_co_u32 v16, vcc_lo, v22, v16
	v_add_co_ci_u32_e32 v17, vcc_lo, v25, v17, vcc_lo
	flat_load_b64 v[16:17], v[16:17]
	s_waitcnt vmcnt(0) lgkmcnt(0)
	v_mul_f64 v[16:17], s[10:11], v[16:17]
	s_branch .LBB120_242
.LBB120_241:
	v_mov_b32_e32 v16, 0
	v_mov_b32_e32 v17, 0
.LBB120_242:
	s_delay_alu instid0(VALU_DEP_1) | instskip(SKIP_2) | instid1(VALU_DEP_1)
	v_cvt_f32_f64_e32 v16, v[16:17]
	v_max_f32_e32 v17, v59, v59
	v_lshlrev_b64 v[23:24], 3, v[4:5]
	v_add_co_u32 v23, vcc_lo, v20, v23
	s_delay_alu instid0(VALU_DEP_2) | instskip(NEXT) | instid1(VALU_DEP_4)
	v_add_co_ci_u32_e32 v24, vcc_lo, v21, v24, vcc_lo
	v_min_f32_e32 v16, v16, v17
	s_delay_alu instid0(VALU_DEP_1) | instskip(SKIP_3) | instid1(SALU_CYCLE_1)
	v_cvt_f64_f32_e32 v[16:17], v16
	global_store_b64 v[23:24], v[16:17], off
	s_or_b32 exec_lo, exec_lo, s9
	s_and_b32 s16, s3, s8
	s_and_saveexec_b32 s9, s16
	s_cbranch_execz .LBB120_227
.LBB120_243:
	v_cmp_ne_u32_e32 vcc_lo, 1, v18
	s_cbranch_vccnz .LBB120_245
; %bb.244:
	v_lshlrev_b64 v[16:17], 3, v[6:7]
	s_delay_alu instid0(VALU_DEP_1) | instskip(NEXT) | instid1(VALU_DEP_2)
	v_add_co_u32 v16, vcc_lo, v22, v16
	v_add_co_ci_u32_e32 v17, vcc_lo, v25, v17, vcc_lo
	flat_load_b64 v[16:17], v[16:17]
	s_waitcnt vmcnt(0) lgkmcnt(0)
	v_mul_f64 v[16:17], s[10:11], v[16:17]
	s_branch .LBB120_246
.LBB120_245:
	v_mov_b32_e32 v16, 0
	v_mov_b32_e32 v17, 0
.LBB120_246:
	s_delay_alu instid0(VALU_DEP_1) | instskip(SKIP_2) | instid1(VALU_DEP_1)
	v_cvt_f32_f64_e32 v16, v[16:17]
	v_max_f32_e32 v17, v56, v56
	v_lshlrev_b64 v[23:24], 3, v[6:7]
	v_add_co_u32 v23, vcc_lo, v20, v23
	s_delay_alu instid0(VALU_DEP_2) | instskip(NEXT) | instid1(VALU_DEP_4)
	v_add_co_ci_u32_e32 v24, vcc_lo, v21, v24, vcc_lo
	v_min_f32_e32 v16, v16, v17
	s_delay_alu instid0(VALU_DEP_1) | instskip(SKIP_3) | instid1(SALU_CYCLE_1)
	v_cvt_f64_f32_e32 v[16:17], v16
	global_store_b64 v[23:24], v[16:17], off
	s_or_b32 exec_lo, exec_lo, s9
	s_and_b32 s16, s4, s8
	s_and_saveexec_b32 s9, s16
	s_cbranch_execz .LBB120_228
.LBB120_247:
	v_cmp_ne_u32_e32 vcc_lo, 1, v18
	s_cbranch_vccnz .LBB120_249
; %bb.248:
	v_lshlrev_b64 v[16:17], 3, v[8:9]
	s_delay_alu instid0(VALU_DEP_1) | instskip(NEXT) | instid1(VALU_DEP_2)
	v_add_co_u32 v16, vcc_lo, v22, v16
	v_add_co_ci_u32_e32 v17, vcc_lo, v25, v17, vcc_lo
	flat_load_b64 v[16:17], v[16:17]
	s_waitcnt vmcnt(0) lgkmcnt(0)
	v_mul_f64 v[16:17], s[10:11], v[16:17]
	s_branch .LBB120_250
.LBB120_249:
	v_mov_b32_e32 v16, 0
	v_mov_b32_e32 v17, 0
.LBB120_250:
	s_delay_alu instid0(VALU_DEP_1) | instskip(SKIP_2) | instid1(VALU_DEP_1)
	v_cvt_f32_f64_e32 v16, v[16:17]
	v_max_f32_e32 v17, v57, v57
	v_lshlrev_b64 v[23:24], 3, v[8:9]
	v_add_co_u32 v23, vcc_lo, v20, v23
	s_delay_alu instid0(VALU_DEP_2) | instskip(NEXT) | instid1(VALU_DEP_4)
	v_add_co_ci_u32_e32 v24, vcc_lo, v21, v24, vcc_lo
	v_min_f32_e32 v16, v16, v17
	s_delay_alu instid0(VALU_DEP_1) | instskip(SKIP_3) | instid1(SALU_CYCLE_1)
	v_cvt_f64_f32_e32 v[16:17], v16
	global_store_b64 v[23:24], v[16:17], off
	s_or_b32 exec_lo, exec_lo, s9
	s_and_b32 s16, s5, s8
	s_and_saveexec_b32 s9, s16
	s_cbranch_execz .LBB120_229
.LBB120_251:
	v_cmp_ne_u32_e32 vcc_lo, 1, v18
	s_cbranch_vccnz .LBB120_253
; %bb.252:
	v_lshlrev_b64 v[16:17], 3, v[10:11]
	s_delay_alu instid0(VALU_DEP_1) | instskip(NEXT) | instid1(VALU_DEP_2)
	v_add_co_u32 v16, vcc_lo, v22, v16
	v_add_co_ci_u32_e32 v17, vcc_lo, v25, v17, vcc_lo
	flat_load_b64 v[16:17], v[16:17]
	s_waitcnt vmcnt(0) lgkmcnt(0)
	v_mul_f64 v[16:17], s[10:11], v[16:17]
	s_branch .LBB120_254
.LBB120_253:
	v_mov_b32_e32 v16, 0
	v_mov_b32_e32 v17, 0
.LBB120_254:
	s_delay_alu instid0(VALU_DEP_1) | instskip(SKIP_2) | instid1(VALU_DEP_1)
	v_cvt_f32_f64_e32 v16, v[16:17]
	v_max_f32_e32 v17, v119, v119
	v_lshlrev_b64 v[23:24], 3, v[10:11]
	v_add_co_u32 v23, vcc_lo, v20, v23
	s_delay_alu instid0(VALU_DEP_2) | instskip(NEXT) | instid1(VALU_DEP_4)
	v_add_co_ci_u32_e32 v24, vcc_lo, v21, v24, vcc_lo
	v_min_f32_e32 v16, v16, v17
	s_delay_alu instid0(VALU_DEP_1) | instskip(SKIP_3) | instid1(SALU_CYCLE_1)
	v_cvt_f64_f32_e32 v[16:17], v16
	global_store_b64 v[23:24], v[16:17], off
	s_or_b32 exec_lo, exec_lo, s9
	s_and_b32 s16, s6, s8
	s_and_saveexec_b32 s9, s16
	s_cbranch_execz .LBB120_230
.LBB120_255:
	v_cmp_ne_u32_e32 vcc_lo, 1, v18
	s_cbranch_vccnz .LBB120_257
; %bb.256:
	v_lshlrev_b64 v[16:17], 3, v[12:13]
	s_delay_alu instid0(VALU_DEP_1) | instskip(NEXT) | instid1(VALU_DEP_2)
	v_add_co_u32 v16, vcc_lo, v22, v16
	v_add_co_ci_u32_e32 v17, vcc_lo, v25, v17, vcc_lo
	flat_load_b64 v[16:17], v[16:17]
	s_waitcnt vmcnt(0) lgkmcnt(0)
	v_mul_f64 v[16:17], s[10:11], v[16:17]
	s_branch .LBB120_258
.LBB120_257:
	v_mov_b32_e32 v16, 0
	v_mov_b32_e32 v17, 0
.LBB120_258:
	s_delay_alu instid0(VALU_DEP_1) | instskip(SKIP_2) | instid1(VALU_DEP_1)
	v_cvt_f32_f64_e32 v16, v[16:17]
	v_max_f32_e32 v17, v55, v55
	v_lshlrev_b64 v[23:24], 3, v[12:13]
	v_add_co_u32 v23, vcc_lo, v20, v23
	s_delay_alu instid0(VALU_DEP_2) | instskip(NEXT) | instid1(VALU_DEP_4)
	v_add_co_ci_u32_e32 v24, vcc_lo, v21, v24, vcc_lo
	v_min_f32_e32 v16, v16, v17
	s_delay_alu instid0(VALU_DEP_1) | instskip(SKIP_3) | instid1(SALU_CYCLE_1)
	v_cvt_f64_f32_e32 v[16:17], v16
	global_store_b64 v[23:24], v[16:17], off
	s_or_b32 exec_lo, exec_lo, s9
	s_and_b32 s9, s7, s8
	s_and_saveexec_b32 s8, s9
	s_cbranch_execz .LBB120_263
.LBB120_259:
	v_cmp_ne_u32_e32 vcc_lo, 1, v18
	s_cbranch_vccnz .LBB120_261
; %bb.260:
	v_lshlrev_b64 v[16:17], 3, v[14:15]
	s_delay_alu instid0(VALU_DEP_1) | instskip(NEXT) | instid1(VALU_DEP_2)
	v_add_co_u32 v16, vcc_lo, v22, v16
	v_add_co_ci_u32_e32 v17, vcc_lo, v25, v17, vcc_lo
	flat_load_b64 v[16:17], v[16:17]
	s_waitcnt vmcnt(0) lgkmcnt(0)
	v_mul_f64 v[16:17], s[10:11], v[16:17]
	s_branch .LBB120_262
.LBB120_261:
	v_mov_b32_e32 v16, 0
	v_mov_b32_e32 v17, 0
.LBB120_262:
	s_delay_alu instid0(VALU_DEP_1) | instskip(SKIP_2) | instid1(VALU_DEP_1)
	v_cvt_f32_f64_e32 v16, v[16:17]
	v_max_f32_e32 v17, v117, v117
	v_lshlrev_b64 v[22:23], 3, v[14:15]
	v_add_co_u32 v20, vcc_lo, v20, v22
	s_delay_alu instid0(VALU_DEP_2) | instskip(NEXT) | instid1(VALU_DEP_4)
	v_add_co_ci_u32_e32 v21, vcc_lo, v21, v23, vcc_lo
	v_min_f32_e32 v16, v16, v17
	s_delay_alu instid0(VALU_DEP_1)
	v_cvt_f64_f32_e32 v[16:17], v16
	global_store_b64 v[20:21], v[16:17], off
.LBB120_263:
	s_or_b32 exec_lo, exec_lo, s8
	v_add_nc_u32_e32 v22, 0xa0, v19
	s_delay_alu instid0(VALU_DEP_1) | instskip(SKIP_2) | instid1(VALU_DEP_3)
	v_mad_i64_i32 v[16:17], null, v22, s20, 0
	v_mad_i64_i32 v[20:21], null, v22, s18, 0
	v_cmp_gt_i32_e64 s8, s17, v22
	v_lshlrev_b64 v[16:17], 3, v[16:17]
	s_delay_alu instid0(VALU_DEP_2) | instskip(NEXT) | instid1(VALU_DEP_3)
	s_and_b32 s16, s0, s8
	v_lshlrev_b64 v[20:21], 3, v[20:21]
	s_delay_alu instid0(VALU_DEP_2) | instskip(NEXT) | instid1(VALU_DEP_3)
	v_add_co_u32 v22, vcc_lo, s12, v16
	v_add_co_ci_u32_e32 v25, vcc_lo, s13, v17, vcc_lo
	s_delay_alu instid0(VALU_DEP_3) | instskip(NEXT) | instid1(VALU_DEP_4)
	v_add_co_u32 v20, vcc_lo, s14, v20
	v_add_co_ci_u32_e32 v21, vcc_lo, s15, v21, vcc_lo
	s_and_saveexec_b32 s9, s16
	s_cbranch_execnz .LBB120_271
; %bb.264:
	s_or_b32 exec_lo, exec_lo, s9
	s_and_b32 s16, s1, s8
	s_delay_alu instid0(SALU_CYCLE_1)
	s_and_saveexec_b32 s9, s16
	s_cbranch_execnz .LBB120_275
.LBB120_265:
	s_or_b32 exec_lo, exec_lo, s9
	s_and_b32 s16, s2, s8
	s_delay_alu instid0(SALU_CYCLE_1)
	s_and_saveexec_b32 s9, s16
	s_cbranch_execnz .LBB120_279
.LBB120_266:
	s_or_b32 exec_lo, exec_lo, s9
	s_and_b32 s16, s3, s8
	s_delay_alu instid0(SALU_CYCLE_1)
	s_and_saveexec_b32 s9, s16
	s_cbranch_execnz .LBB120_283
.LBB120_267:
	s_or_b32 exec_lo, exec_lo, s9
	s_and_b32 s16, s4, s8
	s_delay_alu instid0(SALU_CYCLE_1)
	s_and_saveexec_b32 s9, s16
	s_cbranch_execnz .LBB120_287
.LBB120_268:
	s_or_b32 exec_lo, exec_lo, s9
	s_and_b32 s16, s5, s8
	s_delay_alu instid0(SALU_CYCLE_1)
	s_and_saveexec_b32 s9, s16
	s_cbranch_execnz .LBB120_291
.LBB120_269:
	s_or_b32 exec_lo, exec_lo, s9
	s_and_b32 s16, s6, s8
	s_delay_alu instid0(SALU_CYCLE_1)
	s_and_saveexec_b32 s9, s16
	s_cbranch_execnz .LBB120_295
.LBB120_270:
	s_or_b32 exec_lo, exec_lo, s9
	s_and_b32 s9, s7, s8
	s_delay_alu instid0(SALU_CYCLE_1)
	s_and_saveexec_b32 s8, s9
	s_cbranch_execnz .LBB120_299
	s_branch .LBB120_303
.LBB120_271:
	v_cmp_ne_u32_e32 vcc_lo, 1, v18
	s_cbranch_vccnz .LBB120_273
; %bb.272:
	v_lshlrev_b64 v[16:17], 3, v[0:1]
	s_delay_alu instid0(VALU_DEP_1) | instskip(NEXT) | instid1(VALU_DEP_2)
	v_add_co_u32 v16, vcc_lo, v22, v16
	v_add_co_ci_u32_e32 v17, vcc_lo, v25, v17, vcc_lo
	flat_load_b64 v[16:17], v[16:17]
	s_waitcnt vmcnt(0) lgkmcnt(0)
	v_mul_f64 v[16:17], s[10:11], v[16:17]
	s_branch .LBB120_274
.LBB120_273:
	v_mov_b32_e32 v16, 0
	v_mov_b32_e32 v17, 0
.LBB120_274:
	s_delay_alu instid0(VALU_DEP_1) | instskip(SKIP_2) | instid1(VALU_DEP_1)
	v_cvt_f32_f64_e32 v16, v[16:17]
	v_max_f32_e32 v17, v116, v116
	v_lshlrev_b64 v[23:24], 3, v[0:1]
	v_add_co_u32 v23, vcc_lo, v20, v23
	s_delay_alu instid0(VALU_DEP_2) | instskip(NEXT) | instid1(VALU_DEP_4)
	v_add_co_ci_u32_e32 v24, vcc_lo, v21, v24, vcc_lo
	v_min_f32_e32 v16, v16, v17
	s_delay_alu instid0(VALU_DEP_1) | instskip(SKIP_3) | instid1(SALU_CYCLE_1)
	v_cvt_f64_f32_e32 v[16:17], v16
	global_store_b64 v[23:24], v[16:17], off
	s_or_b32 exec_lo, exec_lo, s9
	s_and_b32 s16, s1, s8
	s_and_saveexec_b32 s9, s16
	s_cbranch_execz .LBB120_265
.LBB120_275:
	v_cmp_ne_u32_e32 vcc_lo, 1, v18
	s_cbranch_vccnz .LBB120_277
; %bb.276:
	v_lshlrev_b64 v[16:17], 3, v[2:3]
	s_delay_alu instid0(VALU_DEP_1) | instskip(NEXT) | instid1(VALU_DEP_2)
	v_add_co_u32 v16, vcc_lo, v22, v16
	v_add_co_ci_u32_e32 v17, vcc_lo, v25, v17, vcc_lo
	flat_load_b64 v[16:17], v[16:17]
	s_waitcnt vmcnt(0) lgkmcnt(0)
	v_mul_f64 v[16:17], s[10:11], v[16:17]
	s_branch .LBB120_278
.LBB120_277:
	v_mov_b32_e32 v16, 0
	v_mov_b32_e32 v17, 0
.LBB120_278:
	s_delay_alu instid0(VALU_DEP_1) | instskip(SKIP_2) | instid1(VALU_DEP_1)
	v_cvt_f32_f64_e32 v16, v[16:17]
	v_max_f32_e32 v17, v53, v53
	v_lshlrev_b64 v[23:24], 3, v[2:3]
	v_add_co_u32 v23, vcc_lo, v20, v23
	s_delay_alu instid0(VALU_DEP_2) | instskip(NEXT) | instid1(VALU_DEP_4)
	v_add_co_ci_u32_e32 v24, vcc_lo, v21, v24, vcc_lo
	v_min_f32_e32 v16, v16, v17
	s_delay_alu instid0(VALU_DEP_1) | instskip(SKIP_3) | instid1(SALU_CYCLE_1)
	v_cvt_f64_f32_e32 v[16:17], v16
	global_store_b64 v[23:24], v[16:17], off
	s_or_b32 exec_lo, exec_lo, s9
	s_and_b32 s16, s2, s8
	s_and_saveexec_b32 s9, s16
	s_cbranch_execz .LBB120_266
.LBB120_279:
	v_cmp_ne_u32_e32 vcc_lo, 1, v18
	s_cbranch_vccnz .LBB120_281
; %bb.280:
	v_lshlrev_b64 v[16:17], 3, v[4:5]
	s_delay_alu instid0(VALU_DEP_1) | instskip(NEXT) | instid1(VALU_DEP_2)
	v_add_co_u32 v16, vcc_lo, v22, v16
	v_add_co_ci_u32_e32 v17, vcc_lo, v25, v17, vcc_lo
	flat_load_b64 v[16:17], v[16:17]
	s_waitcnt vmcnt(0) lgkmcnt(0)
	v_mul_f64 v[16:17], s[10:11], v[16:17]
	s_branch .LBB120_282
.LBB120_281:
	v_mov_b32_e32 v16, 0
	v_mov_b32_e32 v17, 0
.LBB120_282:
	s_delay_alu instid0(VALU_DEP_1) | instskip(SKIP_2) | instid1(VALU_DEP_1)
	v_cvt_f32_f64_e32 v16, v[16:17]
	v_max_f32_e32 v17, v114, v114
	v_lshlrev_b64 v[23:24], 3, v[4:5]
	v_add_co_u32 v23, vcc_lo, v20, v23
	s_delay_alu instid0(VALU_DEP_2) | instskip(NEXT) | instid1(VALU_DEP_4)
	v_add_co_ci_u32_e32 v24, vcc_lo, v21, v24, vcc_lo
	v_min_f32_e32 v16, v16, v17
	s_delay_alu instid0(VALU_DEP_1) | instskip(SKIP_3) | instid1(SALU_CYCLE_1)
	v_cvt_f64_f32_e32 v[16:17], v16
	global_store_b64 v[23:24], v[16:17], off
	s_or_b32 exec_lo, exec_lo, s9
	s_and_b32 s16, s3, s8
	s_and_saveexec_b32 s9, s16
	s_cbranch_execz .LBB120_267
.LBB120_283:
	v_cmp_ne_u32_e32 vcc_lo, 1, v18
	s_cbranch_vccnz .LBB120_285
; %bb.284:
	v_lshlrev_b64 v[16:17], 3, v[6:7]
	s_delay_alu instid0(VALU_DEP_1) | instskip(NEXT) | instid1(VALU_DEP_2)
	v_add_co_u32 v16, vcc_lo, v22, v16
	v_add_co_ci_u32_e32 v17, vcc_lo, v25, v17, vcc_lo
	flat_load_b64 v[16:17], v[16:17]
	s_waitcnt vmcnt(0) lgkmcnt(0)
	v_mul_f64 v[16:17], s[10:11], v[16:17]
	s_branch .LBB120_286
.LBB120_285:
	v_mov_b32_e32 v16, 0
	v_mov_b32_e32 v17, 0
.LBB120_286:
	s_delay_alu instid0(VALU_DEP_1) | instskip(SKIP_2) | instid1(VALU_DEP_1)
	v_cvt_f32_f64_e32 v16, v[16:17]
	v_max_f32_e32 v17, v113, v113
	v_lshlrev_b64 v[23:24], 3, v[6:7]
	v_add_co_u32 v23, vcc_lo, v20, v23
	s_delay_alu instid0(VALU_DEP_2) | instskip(NEXT) | instid1(VALU_DEP_4)
	v_add_co_ci_u32_e32 v24, vcc_lo, v21, v24, vcc_lo
	v_min_f32_e32 v16, v16, v17
	s_delay_alu instid0(VALU_DEP_1) | instskip(SKIP_3) | instid1(SALU_CYCLE_1)
	v_cvt_f64_f32_e32 v[16:17], v16
	global_store_b64 v[23:24], v[16:17], off
	s_or_b32 exec_lo, exec_lo, s9
	s_and_b32 s16, s4, s8
	s_and_saveexec_b32 s9, s16
	s_cbranch_execz .LBB120_268
.LBB120_287:
	v_cmp_ne_u32_e32 vcc_lo, 1, v18
	s_cbranch_vccnz .LBB120_289
; %bb.288:
	v_lshlrev_b64 v[16:17], 3, v[8:9]
	s_delay_alu instid0(VALU_DEP_1) | instskip(NEXT) | instid1(VALU_DEP_2)
	v_add_co_u32 v16, vcc_lo, v22, v16
	v_add_co_ci_u32_e32 v17, vcc_lo, v25, v17, vcc_lo
	flat_load_b64 v[16:17], v[16:17]
	s_waitcnt vmcnt(0) lgkmcnt(0)
	v_mul_f64 v[16:17], s[10:11], v[16:17]
	s_branch .LBB120_290
.LBB120_289:
	v_mov_b32_e32 v16, 0
	v_mov_b32_e32 v17, 0
.LBB120_290:
	s_delay_alu instid0(VALU_DEP_1) | instskip(SKIP_2) | instid1(VALU_DEP_1)
	v_cvt_f32_f64_e32 v16, v[16:17]
	v_max_f32_e32 v17, v184, v184
	v_lshlrev_b64 v[23:24], 3, v[8:9]
	v_add_co_u32 v23, vcc_lo, v20, v23
	s_delay_alu instid0(VALU_DEP_2) | instskip(NEXT) | instid1(VALU_DEP_4)
	v_add_co_ci_u32_e32 v24, vcc_lo, v21, v24, vcc_lo
	v_min_f32_e32 v16, v16, v17
	s_delay_alu instid0(VALU_DEP_1) | instskip(SKIP_3) | instid1(SALU_CYCLE_1)
	v_cvt_f64_f32_e32 v[16:17], v16
	global_store_b64 v[23:24], v[16:17], off
	s_or_b32 exec_lo, exec_lo, s9
	s_and_b32 s16, s5, s8
	s_and_saveexec_b32 s9, s16
	s_cbranch_execz .LBB120_269
.LBB120_291:
	v_cmp_ne_u32_e32 vcc_lo, 1, v18
	s_cbranch_vccnz .LBB120_293
; %bb.292:
	v_lshlrev_b64 v[16:17], 3, v[10:11]
	s_delay_alu instid0(VALU_DEP_1) | instskip(NEXT) | instid1(VALU_DEP_2)
	v_add_co_u32 v16, vcc_lo, v22, v16
	v_add_co_ci_u32_e32 v17, vcc_lo, v25, v17, vcc_lo
	flat_load_b64 v[16:17], v[16:17]
	s_waitcnt vmcnt(0) lgkmcnt(0)
	v_mul_f64 v[16:17], s[10:11], v[16:17]
	s_branch .LBB120_294
.LBB120_293:
	v_mov_b32_e32 v16, 0
	v_mov_b32_e32 v17, 0
.LBB120_294:
	s_delay_alu instid0(VALU_DEP_1) | instskip(SKIP_2) | instid1(VALU_DEP_1)
	v_cvt_f32_f64_e32 v16, v[16:17]
	v_max_f32_e32 v17, v49, v49
	v_lshlrev_b64 v[23:24], 3, v[10:11]
	v_add_co_u32 v23, vcc_lo, v20, v23
	s_delay_alu instid0(VALU_DEP_2) | instskip(NEXT) | instid1(VALU_DEP_4)
	v_add_co_ci_u32_e32 v24, vcc_lo, v21, v24, vcc_lo
	v_min_f32_e32 v16, v16, v17
	s_delay_alu instid0(VALU_DEP_1) | instskip(SKIP_3) | instid1(SALU_CYCLE_1)
	v_cvt_f64_f32_e32 v[16:17], v16
	global_store_b64 v[23:24], v[16:17], off
	s_or_b32 exec_lo, exec_lo, s9
	s_and_b32 s16, s6, s8
	s_and_saveexec_b32 s9, s16
	s_cbranch_execz .LBB120_270
.LBB120_295:
	v_cmp_ne_u32_e32 vcc_lo, 1, v18
	s_cbranch_vccnz .LBB120_297
; %bb.296:
	v_lshlrev_b64 v[16:17], 3, v[12:13]
	s_delay_alu instid0(VALU_DEP_1) | instskip(NEXT) | instid1(VALU_DEP_2)
	v_add_co_u32 v16, vcc_lo, v22, v16
	v_add_co_ci_u32_e32 v17, vcc_lo, v25, v17, vcc_lo
	flat_load_b64 v[16:17], v[16:17]
	s_waitcnt vmcnt(0) lgkmcnt(0)
	v_mul_f64 v[16:17], s[10:11], v[16:17]
	s_branch .LBB120_298
.LBB120_297:
	v_mov_b32_e32 v16, 0
	v_mov_b32_e32 v17, 0
.LBB120_298:
	s_delay_alu instid0(VALU_DEP_1) | instskip(SKIP_2) | instid1(VALU_DEP_1)
	v_cvt_f32_f64_e32 v16, v[16:17]
	v_max_f32_e32 v17, v202, v202
	v_lshlrev_b64 v[23:24], 3, v[12:13]
	v_add_co_u32 v23, vcc_lo, v20, v23
	s_delay_alu instid0(VALU_DEP_2) | instskip(NEXT) | instid1(VALU_DEP_4)
	v_add_co_ci_u32_e32 v24, vcc_lo, v21, v24, vcc_lo
	v_min_f32_e32 v16, v16, v17
	s_delay_alu instid0(VALU_DEP_1) | instskip(SKIP_3) | instid1(SALU_CYCLE_1)
	v_cvt_f64_f32_e32 v[16:17], v16
	global_store_b64 v[23:24], v[16:17], off
	s_or_b32 exec_lo, exec_lo, s9
	s_and_b32 s9, s7, s8
	s_and_saveexec_b32 s8, s9
	s_cbranch_execz .LBB120_303
.LBB120_299:
	v_cmp_ne_u32_e32 vcc_lo, 1, v18
	s_cbranch_vccnz .LBB120_301
; %bb.300:
	v_lshlrev_b64 v[16:17], 3, v[14:15]
	s_delay_alu instid0(VALU_DEP_1) | instskip(NEXT) | instid1(VALU_DEP_2)
	v_add_co_u32 v16, vcc_lo, v22, v16
	v_add_co_ci_u32_e32 v17, vcc_lo, v25, v17, vcc_lo
	flat_load_b64 v[16:17], v[16:17]
	s_waitcnt vmcnt(0) lgkmcnt(0)
	v_mul_f64 v[16:17], s[10:11], v[16:17]
	s_branch .LBB120_302
.LBB120_301:
	v_mov_b32_e32 v16, 0
	v_mov_b32_e32 v17, 0
.LBB120_302:
	s_delay_alu instid0(VALU_DEP_1) | instskip(SKIP_2) | instid1(VALU_DEP_1)
	v_cvt_f32_f64_e32 v16, v[16:17]
	v_max_f32_e32 v17, v139, v139
	v_lshlrev_b64 v[22:23], 3, v[14:15]
	v_add_co_u32 v20, vcc_lo, v20, v22
	s_delay_alu instid0(VALU_DEP_2) | instskip(NEXT) | instid1(VALU_DEP_4)
	v_add_co_ci_u32_e32 v21, vcc_lo, v21, v23, vcc_lo
	v_min_f32_e32 v16, v16, v17
	s_delay_alu instid0(VALU_DEP_1)
	v_cvt_f64_f32_e32 v[16:17], v16
	global_store_b64 v[20:21], v[16:17], off
.LBB120_303:
	s_or_b32 exec_lo, exec_lo, s8
	v_add_nc_u32_e32 v22, 0xc0, v19
	s_delay_alu instid0(VALU_DEP_1) | instskip(SKIP_2) | instid1(VALU_DEP_3)
	v_mad_i64_i32 v[16:17], null, v22, s20, 0
	v_mad_i64_i32 v[20:21], null, v22, s18, 0
	v_cmp_gt_i32_e64 s8, s17, v22
	v_lshlrev_b64 v[16:17], 3, v[16:17]
	s_delay_alu instid0(VALU_DEP_2) | instskip(NEXT) | instid1(VALU_DEP_3)
	s_and_b32 s16, s0, s8
	v_lshlrev_b64 v[20:21], 3, v[20:21]
	s_delay_alu instid0(VALU_DEP_2) | instskip(NEXT) | instid1(VALU_DEP_3)
	v_add_co_u32 v22, vcc_lo, s12, v16
	v_add_co_ci_u32_e32 v23, vcc_lo, s13, v17, vcc_lo
	s_delay_alu instid0(VALU_DEP_3) | instskip(NEXT) | instid1(VALU_DEP_4)
	v_add_co_u32 v20, vcc_lo, s14, v20
	v_add_co_ci_u32_e32 v21, vcc_lo, s15, v21, vcc_lo
	s_and_saveexec_b32 s9, s16
	s_cbranch_execnz .LBB120_311
; %bb.304:
	s_or_b32 exec_lo, exec_lo, s9
	s_and_b32 s16, s1, s8
	s_delay_alu instid0(SALU_CYCLE_1)
	s_and_saveexec_b32 s9, s16
	s_cbranch_execnz .LBB120_315
.LBB120_305:
	s_or_b32 exec_lo, exec_lo, s9
	s_and_b32 s16, s2, s8
	s_delay_alu instid0(SALU_CYCLE_1)
	s_and_saveexec_b32 s9, s16
	s_cbranch_execnz .LBB120_319
.LBB120_306:
	s_or_b32 exec_lo, exec_lo, s9
	s_and_b32 s16, s3, s8
	s_delay_alu instid0(SALU_CYCLE_1)
	s_and_saveexec_b32 s9, s16
	s_cbranch_execnz .LBB120_323
.LBB120_307:
	s_or_b32 exec_lo, exec_lo, s9
	s_and_b32 s16, s4, s8
	s_delay_alu instid0(SALU_CYCLE_1)
	s_and_saveexec_b32 s9, s16
	s_cbranch_execnz .LBB120_327
.LBB120_308:
	s_or_b32 exec_lo, exec_lo, s9
	s_and_b32 s16, s5, s8
	s_delay_alu instid0(SALU_CYCLE_1)
	s_and_saveexec_b32 s9, s16
	s_cbranch_execnz .LBB120_331
.LBB120_309:
	s_or_b32 exec_lo, exec_lo, s9
	s_and_b32 s16, s6, s8
	s_delay_alu instid0(SALU_CYCLE_1)
	s_and_saveexec_b32 s9, s16
	s_cbranch_execnz .LBB120_335
.LBB120_310:
	s_or_b32 exec_lo, exec_lo, s9
	s_and_b32 s9, s7, s8
	s_delay_alu instid0(SALU_CYCLE_1)
	s_and_saveexec_b32 s8, s9
	s_cbranch_execnz .LBB120_339
	s_branch .LBB120_343
.LBB120_311:
	v_cmp_ne_u32_e32 vcc_lo, 1, v18
	s_cbranch_vccnz .LBB120_313
; %bb.312:
	v_lshlrev_b64 v[16:17], 3, v[0:1]
	s_delay_alu instid0(VALU_DEP_1) | instskip(NEXT) | instid1(VALU_DEP_2)
	v_add_co_u32 v16, vcc_lo, v22, v16
	v_add_co_ci_u32_e32 v17, vcc_lo, v23, v17, vcc_lo
	flat_load_b64 v[16:17], v[16:17]
	s_waitcnt vmcnt(0) lgkmcnt(0)
	v_mul_f64 v[16:17], s[10:11], v[16:17]
	s_branch .LBB120_314
.LBB120_313:
	v_mov_b32_e32 v16, 0
	v_mov_b32_e32 v17, 0
.LBB120_314:
	s_delay_alu instid0(VALU_DEP_1) | instskip(SKIP_2) | instid1(VALU_DEP_1)
	v_cvt_f32_f64_e32 v16, v[16:17]
	v_max_f32_e32 v17, v62, v62
	v_lshlrev_b64 v[24:25], 3, v[0:1]
	v_add_co_u32 v24, vcc_lo, v20, v24
	s_delay_alu instid0(VALU_DEP_2) | instskip(NEXT) | instid1(VALU_DEP_4)
	v_add_co_ci_u32_e32 v25, vcc_lo, v21, v25, vcc_lo
	v_min_f32_e32 v16, v16, v17
	s_delay_alu instid0(VALU_DEP_1) | instskip(SKIP_3) | instid1(SALU_CYCLE_1)
	v_cvt_f64_f32_e32 v[16:17], v16
	global_store_b64 v[24:25], v[16:17], off
	s_or_b32 exec_lo, exec_lo, s9
	s_and_b32 s16, s1, s8
	s_and_saveexec_b32 s9, s16
	s_cbranch_execz .LBB120_305
.LBB120_315:
	v_cmp_ne_u32_e32 vcc_lo, 1, v18
	s_cbranch_vccnz .LBB120_317
; %bb.316:
	v_lshlrev_b64 v[16:17], 3, v[2:3]
	s_delay_alu instid0(VALU_DEP_1) | instskip(NEXT) | instid1(VALU_DEP_2)
	v_add_co_u32 v16, vcc_lo, v22, v16
	v_add_co_ci_u32_e32 v17, vcc_lo, v23, v17, vcc_lo
	flat_load_b64 v[16:17], v[16:17]
	s_waitcnt vmcnt(0) lgkmcnt(0)
	v_mul_f64 v[16:17], s[10:11], v[16:17]
	s_branch .LBB120_318
.LBB120_317:
	v_mov_b32_e32 v16, 0
	v_mov_b32_e32 v17, 0
.LBB120_318:
	s_delay_alu instid0(VALU_DEP_1) | instskip(SKIP_2) | instid1(VALU_DEP_1)
	v_cvt_f32_f64_e32 v16, v[16:17]
	v_max_f32_e32 v17, v255, v255
	v_lshlrev_b64 v[24:25], 3, v[2:3]
	v_add_co_u32 v24, vcc_lo, v20, v24
	s_delay_alu instid0(VALU_DEP_2) | instskip(NEXT) | instid1(VALU_DEP_4)
	v_add_co_ci_u32_e32 v25, vcc_lo, v21, v25, vcc_lo
	v_min_f32_e32 v16, v16, v17
	s_delay_alu instid0(VALU_DEP_1) | instskip(SKIP_3) | instid1(SALU_CYCLE_1)
	v_cvt_f64_f32_e32 v[16:17], v16
	global_store_b64 v[24:25], v[16:17], off
	s_or_b32 exec_lo, exec_lo, s9
	s_and_b32 s16, s2, s8
	s_and_saveexec_b32 s9, s16
	s_cbranch_execz .LBB120_306
.LBB120_319:
	v_cmp_ne_u32_e32 vcc_lo, 1, v18
	s_cbranch_vccnz .LBB120_321
; %bb.320:
	v_lshlrev_b64 v[16:17], 3, v[4:5]
	s_delay_alu instid0(VALU_DEP_1) | instskip(NEXT) | instid1(VALU_DEP_2)
	v_add_co_u32 v16, vcc_lo, v22, v16
	v_add_co_ci_u32_e32 v17, vcc_lo, v23, v17, vcc_lo
	flat_load_b64 v[16:17], v[16:17]
	s_waitcnt vmcnt(0) lgkmcnt(0)
	v_mul_f64 v[16:17], s[10:11], v[16:17]
	s_branch .LBB120_322
.LBB120_321:
	v_mov_b32_e32 v16, 0
	v_mov_b32_e32 v17, 0
.LBB120_322:
	s_delay_alu instid0(VALU_DEP_1) | instskip(SKIP_2) | instid1(VALU_DEP_1)
	v_cvt_f32_f64_e32 v16, v[16:17]
	v_max_f32_e32 v17, v185, v185
	v_lshlrev_b64 v[24:25], 3, v[4:5]
	v_add_co_u32 v24, vcc_lo, v20, v24
	s_delay_alu instid0(VALU_DEP_2) | instskip(NEXT) | instid1(VALU_DEP_4)
	v_add_co_ci_u32_e32 v25, vcc_lo, v21, v25, vcc_lo
	v_min_f32_e32 v16, v16, v17
	s_delay_alu instid0(VALU_DEP_1) | instskip(SKIP_3) | instid1(SALU_CYCLE_1)
	v_cvt_f64_f32_e32 v[16:17], v16
	global_store_b64 v[24:25], v[16:17], off
	s_or_b32 exec_lo, exec_lo, s9
	s_and_b32 s16, s3, s8
	s_and_saveexec_b32 s9, s16
	s_cbranch_execz .LBB120_307
.LBB120_323:
	v_cmp_ne_u32_e32 vcc_lo, 1, v18
	s_cbranch_vccnz .LBB120_325
; %bb.324:
	v_lshlrev_b64 v[16:17], 3, v[6:7]
	s_delay_alu instid0(VALU_DEP_1) | instskip(NEXT) | instid1(VALU_DEP_2)
	v_add_co_u32 v16, vcc_lo, v22, v16
	v_add_co_ci_u32_e32 v17, vcc_lo, v23, v17, vcc_lo
	flat_load_b64 v[16:17], v[16:17]
	s_waitcnt vmcnt(0) lgkmcnt(0)
	v_mul_f64 v[16:17], s[10:11], v[16:17]
	s_branch .LBB120_326
.LBB120_325:
	v_mov_b32_e32 v16, 0
	v_mov_b32_e32 v17, 0
.LBB120_326:
	s_delay_alu instid0(VALU_DEP_1) | instskip(SKIP_2) | instid1(VALU_DEP_1)
	v_cvt_f32_f64_e32 v16, v[16:17]
	v_max_f32_e32 v17, v136, v136
	v_lshlrev_b64 v[24:25], 3, v[6:7]
	v_add_co_u32 v24, vcc_lo, v20, v24
	s_delay_alu instid0(VALU_DEP_2) | instskip(NEXT) | instid1(VALU_DEP_4)
	v_add_co_ci_u32_e32 v25, vcc_lo, v21, v25, vcc_lo
	v_min_f32_e32 v16, v16, v17
	s_delay_alu instid0(VALU_DEP_1) | instskip(SKIP_3) | instid1(SALU_CYCLE_1)
	v_cvt_f64_f32_e32 v[16:17], v16
	global_store_b64 v[24:25], v[16:17], off
	s_or_b32 exec_lo, exec_lo, s9
	s_and_b32 s16, s4, s8
	s_and_saveexec_b32 s9, s16
	s_cbranch_execz .LBB120_308
.LBB120_327:
	v_cmp_ne_u32_e32 vcc_lo, 1, v18
	s_cbranch_vccnz .LBB120_329
; %bb.328:
	v_lshlrev_b64 v[16:17], 3, v[8:9]
	s_delay_alu instid0(VALU_DEP_1) | instskip(NEXT) | instid1(VALU_DEP_2)
	v_add_co_u32 v16, vcc_lo, v22, v16
	v_add_co_ci_u32_e32 v17, vcc_lo, v23, v17, vcc_lo
	flat_load_b64 v[16:17], v[16:17]
	s_waitcnt vmcnt(0) lgkmcnt(0)
	v_mul_f64 v[16:17], s[10:11], v[16:17]
	s_branch .LBB120_330
.LBB120_329:
	v_mov_b32_e32 v16, 0
	v_mov_b32_e32 v17, 0
.LBB120_330:
	s_delay_alu instid0(VALU_DEP_1) | instskip(SKIP_2) | instid1(VALU_DEP_1)
	v_cvt_f32_f64_e32 v16, v[16:17]
	scratch_load_b32 v17, off, off offset:4 ; 4-byte Folded Reload
	v_lshlrev_b64 v[24:25], 3, v[8:9]
	v_add_co_u32 v24, vcc_lo, v20, v24
	s_delay_alu instid0(VALU_DEP_2) | instskip(SKIP_2) | instid1(VALU_DEP_1)
	v_add_co_ci_u32_e32 v25, vcc_lo, v21, v25, vcc_lo
	s_waitcnt vmcnt(0)
	v_max_f32_e32 v17, v17, v17
	v_min_f32_e32 v16, v16, v17
	s_delay_alu instid0(VALU_DEP_1) | instskip(SKIP_3) | instid1(SALU_CYCLE_1)
	v_cvt_f64_f32_e32 v[16:17], v16
	global_store_b64 v[24:25], v[16:17], off
	s_or_b32 exec_lo, exec_lo, s9
	s_and_b32 s16, s5, s8
	s_and_saveexec_b32 s9, s16
	s_cbranch_execz .LBB120_309
.LBB120_331:
	v_cmp_ne_u32_e32 vcc_lo, 1, v18
	s_cbranch_vccnz .LBB120_333
; %bb.332:
	v_lshlrev_b64 v[16:17], 3, v[10:11]
	s_delay_alu instid0(VALU_DEP_1) | instskip(NEXT) | instid1(VALU_DEP_2)
	v_add_co_u32 v16, vcc_lo, v22, v16
	v_add_co_ci_u32_e32 v17, vcc_lo, v23, v17, vcc_lo
	flat_load_b64 v[16:17], v[16:17]
	s_waitcnt vmcnt(0) lgkmcnt(0)
	v_mul_f64 v[16:17], s[10:11], v[16:17]
	s_branch .LBB120_334
.LBB120_333:
	v_mov_b32_e32 v16, 0
	v_mov_b32_e32 v17, 0
.LBB120_334:
	s_delay_alu instid0(VALU_DEP_1) | instskip(SKIP_2) | instid1(VALU_DEP_1)
	v_cvt_f32_f64_e32 v16, v[16:17]
	v_max_f32_e32 v17, v197, v197
	v_lshlrev_b64 v[24:25], 3, v[10:11]
	v_add_co_u32 v24, vcc_lo, v20, v24
	s_delay_alu instid0(VALU_DEP_2) | instskip(NEXT) | instid1(VALU_DEP_4)
	v_add_co_ci_u32_e32 v25, vcc_lo, v21, v25, vcc_lo
	v_min_f32_e32 v16, v16, v17
	s_delay_alu instid0(VALU_DEP_1) | instskip(SKIP_3) | instid1(SALU_CYCLE_1)
	v_cvt_f64_f32_e32 v[16:17], v16
	global_store_b64 v[24:25], v[16:17], off
	s_or_b32 exec_lo, exec_lo, s9
	s_and_b32 s16, s6, s8
	s_and_saveexec_b32 s9, s16
	s_cbranch_execz .LBB120_310
.LBB120_335:
	v_cmp_ne_u32_e32 vcc_lo, 1, v18
	s_cbranch_vccnz .LBB120_337
; %bb.336:
	v_lshlrev_b64 v[16:17], 3, v[12:13]
	s_delay_alu instid0(VALU_DEP_1) | instskip(NEXT) | instid1(VALU_DEP_2)
	v_add_co_u32 v16, vcc_lo, v22, v16
	v_add_co_ci_u32_e32 v17, vcc_lo, v23, v17, vcc_lo
	flat_load_b64 v[16:17], v[16:17]
	s_waitcnt vmcnt(0) lgkmcnt(0)
	v_mul_f64 v[16:17], s[10:11], v[16:17]
	s_branch .LBB120_338
.LBB120_337:
	v_mov_b32_e32 v16, 0
	v_mov_b32_e32 v17, 0
.LBB120_338:
	s_delay_alu instid0(VALU_DEP_1) | instskip(SKIP_2) | instid1(VALU_DEP_1)
	v_cvt_f32_f64_e32 v16, v[16:17]
	v_max_f32_e32 v17, v135, v135
	v_lshlrev_b64 v[24:25], 3, v[12:13]
	v_add_co_u32 v24, vcc_lo, v20, v24
	s_delay_alu instid0(VALU_DEP_2) | instskip(NEXT) | instid1(VALU_DEP_4)
	v_add_co_ci_u32_e32 v25, vcc_lo, v21, v25, vcc_lo
	v_min_f32_e32 v16, v16, v17
	s_delay_alu instid0(VALU_DEP_1) | instskip(SKIP_3) | instid1(SALU_CYCLE_1)
	v_cvt_f64_f32_e32 v[16:17], v16
	global_store_b64 v[24:25], v[16:17], off
	s_or_b32 exec_lo, exec_lo, s9
	s_and_b32 s9, s7, s8
	s_and_saveexec_b32 s8, s9
	s_cbranch_execz .LBB120_343
.LBB120_339:
	v_cmp_ne_u32_e32 vcc_lo, 1, v18
	s_cbranch_vccnz .LBB120_341
; %bb.340:
	v_lshlrev_b64 v[16:17], 3, v[14:15]
	s_delay_alu instid0(VALU_DEP_1) | instskip(NEXT) | instid1(VALU_DEP_2)
	v_add_co_u32 v16, vcc_lo, v22, v16
	v_add_co_ci_u32_e32 v17, vcc_lo, v23, v17, vcc_lo
	flat_load_b64 v[16:17], v[16:17]
	s_waitcnt vmcnt(0) lgkmcnt(0)
	v_mul_f64 v[16:17], s[10:11], v[16:17]
	s_branch .LBB120_342
.LBB120_341:
	v_mov_b32_e32 v16, 0
	v_mov_b32_e32 v17, 0
.LBB120_342:
	s_delay_alu instid0(VALU_DEP_1) | instskip(SKIP_2) | instid1(VALU_DEP_1)
	v_cvt_f32_f64_e32 v16, v[16:17]
	v_max_f32_e32 v17, v134, v134
	v_lshlrev_b64 v[22:23], 3, v[14:15]
	v_add_co_u32 v20, vcc_lo, v20, v22
	s_delay_alu instid0(VALU_DEP_2) | instskip(NEXT) | instid1(VALU_DEP_4)
	v_add_co_ci_u32_e32 v21, vcc_lo, v21, v23, vcc_lo
	v_min_f32_e32 v16, v16, v17
	s_delay_alu instid0(VALU_DEP_1)
	v_cvt_f64_f32_e32 v[16:17], v16
	global_store_b64 v[20:21], v[16:17], off
.LBB120_343:
	s_or_b32 exec_lo, exec_lo, s8
	v_add_nc_u32_e32 v21, 0xe0, v19
	s_delay_alu instid0(VALU_DEP_1) | instskip(SKIP_2) | instid1(VALU_DEP_3)
	v_mad_i64_i32 v[16:17], null, v21, s20, 0
	v_mad_i64_i32 v[19:20], null, v21, s18, 0
	v_cmp_gt_i32_e64 s8, s17, v21
	v_lshlrev_b64 v[16:17], 3, v[16:17]
	s_delay_alu instid0(VALU_DEP_2) | instskip(NEXT) | instid1(VALU_DEP_3)
	s_and_b32 s9, s0, s8
	v_lshlrev_b64 v[21:22], 3, v[19:20]
	s_delay_alu instid0(VALU_DEP_2) | instskip(NEXT) | instid1(VALU_DEP_3)
	v_add_co_u32 v19, vcc_lo, s12, v16
	v_add_co_ci_u32_e32 v20, vcc_lo, s13, v17, vcc_lo
	s_delay_alu instid0(VALU_DEP_3) | instskip(NEXT) | instid1(VALU_DEP_4)
	v_add_co_u32 v16, vcc_lo, s14, v21
	v_add_co_ci_u32_e32 v17, vcc_lo, s15, v22, vcc_lo
	s_and_saveexec_b32 s0, s9
	s_cbranch_execnz .LBB120_352
; %bb.344:
	s_or_b32 exec_lo, exec_lo, s0
	s_and_b32 s1, s1, s8
	s_delay_alu instid0(SALU_CYCLE_1)
	s_and_saveexec_b32 s0, s1
	s_cbranch_execnz .LBB120_356
.LBB120_345:
	s_or_b32 exec_lo, exec_lo, s0
	s_and_b32 s1, s2, s8
	s_delay_alu instid0(SALU_CYCLE_1)
	s_and_saveexec_b32 s0, s1
	s_cbranch_execnz .LBB120_360
.LBB120_346:
	s_or_b32 exec_lo, exec_lo, s0
	s_and_b32 s1, s3, s8
	s_delay_alu instid0(SALU_CYCLE_1)
	s_and_saveexec_b32 s0, s1
	s_cbranch_execnz .LBB120_364
.LBB120_347:
	s_or_b32 exec_lo, exec_lo, s0
	s_and_b32 s1, s4, s8
	s_delay_alu instid0(SALU_CYCLE_1)
	s_and_saveexec_b32 s0, s1
	s_cbranch_execnz .LBB120_368
.LBB120_348:
	s_or_b32 exec_lo, exec_lo, s0
	s_and_b32 s1, s5, s8
	s_delay_alu instid0(SALU_CYCLE_1)
	s_and_saveexec_b32 s0, s1
	s_cbranch_execnz .LBB120_372
.LBB120_349:
	s_or_b32 exec_lo, exec_lo, s0
	s_and_b32 s1, s6, s8
	s_delay_alu instid0(SALU_CYCLE_1)
	s_and_saveexec_b32 s0, s1
	s_cbranch_execnz .LBB120_376
.LBB120_350:
	s_or_b32 exec_lo, exec_lo, s0
	s_and_b32 s0, s7, s8
	s_delay_alu instid0(SALU_CYCLE_1)
	s_and_saveexec_b32 s1, s0
	s_cbranch_execnz .LBB120_380
.LBB120_351:
	s_endpgm
.LBB120_352:
	v_cmp_ne_u32_e32 vcc_lo, 1, v18
	v_lshlrev_b64 v[0:1], 3, v[0:1]
	s_cbranch_vccnz .LBB120_354
; %bb.353:
	s_delay_alu instid0(VALU_DEP_1) | instskip(NEXT) | instid1(VALU_DEP_2)
	v_add_co_u32 v21, vcc_lo, v19, v0
	v_add_co_ci_u32_e32 v22, vcc_lo, v20, v1, vcc_lo
	flat_load_b64 v[21:22], v[21:22]
	s_waitcnt vmcnt(0) lgkmcnt(0)
	v_mul_f64 v[21:22], s[10:11], v[21:22]
	s_delay_alu instid0(VALU_DEP_1)
	v_cvt_f32_f64_e32 v21, v[21:22]
	s_branch .LBB120_355
.LBB120_354:
	v_mov_b32_e32 v21, 0
.LBB120_355:
	v_max_f32_e32 v22, v133, v133
	s_delay_alu instid0(VALU_DEP_2) | instskip(NEXT) | instid1(VALU_DEP_4)
	v_max_f32_e32 v21, v21, v21
	v_add_co_u32 v0, vcc_lo, v16, v0
	v_add_co_ci_u32_e32 v1, vcc_lo, v17, v1, vcc_lo
	s_delay_alu instid0(VALU_DEP_3) | instskip(NEXT) | instid1(VALU_DEP_1)
	v_min_f32_e32 v21, v21, v22
	v_cvt_f64_f32_e32 v[21:22], v21
	global_store_b64 v[0:1], v[21:22], off
	s_or_b32 exec_lo, exec_lo, s0
	s_and_b32 s1, s1, s8
	s_delay_alu instid0(SALU_CYCLE_1)
	s_and_saveexec_b32 s0, s1
	s_cbranch_execz .LBB120_345
.LBB120_356:
	v_cmp_ne_u32_e32 vcc_lo, 1, v18
	v_lshlrev_b64 v[0:1], 3, v[2:3]
	s_cbranch_vccnz .LBB120_358
; %bb.357:
	s_delay_alu instid0(VALU_DEP_1) | instskip(NEXT) | instid1(VALU_DEP_2)
	v_add_co_u32 v2, vcc_lo, v19, v0
	v_add_co_ci_u32_e32 v3, vcc_lo, v20, v1, vcc_lo
	flat_load_b64 v[2:3], v[2:3]
	s_waitcnt vmcnt(0) lgkmcnt(0)
	v_mul_f64 v[2:3], s[10:11], v[2:3]
	s_delay_alu instid0(VALU_DEP_1)
	v_cvt_f32_f64_e32 v2, v[2:3]
	s_branch .LBB120_359
.LBB120_358:
	v_mov_b32_e32 v2, 0
.LBB120_359:
	s_delay_alu instid0(VALU_DEP_1) | instskip(NEXT) | instid1(VALU_DEP_3)
	v_dual_max_f32 v3, v132, v132 :: v_dual_max_f32 v2, v2, v2
	v_add_co_u32 v0, vcc_lo, v16, v0
	s_delay_alu instid0(VALU_DEP_4) | instskip(NEXT) | instid1(VALU_DEP_3)
	v_add_co_ci_u32_e32 v1, vcc_lo, v17, v1, vcc_lo
	v_min_f32_e32 v2, v2, v3
	s_delay_alu instid0(VALU_DEP_1) | instskip(SKIP_3) | instid1(SALU_CYCLE_1)
	v_cvt_f64_f32_e32 v[2:3], v2
	global_store_b64 v[0:1], v[2:3], off
	s_or_b32 exec_lo, exec_lo, s0
	s_and_b32 s1, s2, s8
	s_and_saveexec_b32 s0, s1
	s_cbranch_execz .LBB120_346
.LBB120_360:
	v_cmp_ne_u32_e32 vcc_lo, 1, v18
	v_lshlrev_b64 v[0:1], 3, v[4:5]
	s_cbranch_vccnz .LBB120_362
; %bb.361:
	s_delay_alu instid0(VALU_DEP_1) | instskip(NEXT) | instid1(VALU_DEP_2)
	v_add_co_u32 v2, vcc_lo, v19, v0
	v_add_co_ci_u32_e32 v3, vcc_lo, v20, v1, vcc_lo
	flat_load_b64 v[2:3], v[2:3]
	s_waitcnt vmcnt(0) lgkmcnt(0)
	v_mul_f64 v[2:3], s[10:11], v[2:3]
	s_delay_alu instid0(VALU_DEP_1)
	v_cvt_f32_f64_e32 v2, v[2:3]
	s_branch .LBB120_363
.LBB120_362:
	v_mov_b32_e32 v2, 0
.LBB120_363:
	scratch_load_b32 v3, off, off           ; 4-byte Folded Reload
	v_add_co_u32 v0, vcc_lo, v16, v0
	v_add_co_ci_u32_e32 v1, vcc_lo, v17, v1, vcc_lo
	s_waitcnt vmcnt(0)
	v_dual_max_f32 v2, v2, v2 :: v_dual_max_f32 v3, v3, v3
	s_delay_alu instid0(VALU_DEP_1) | instskip(NEXT) | instid1(VALU_DEP_1)
	v_min_f32_e32 v2, v2, v3
	v_cvt_f64_f32_e32 v[2:3], v2
	global_store_b64 v[0:1], v[2:3], off
	s_or_b32 exec_lo, exec_lo, s0
	s_and_b32 s1, s3, s8
	s_delay_alu instid0(SALU_CYCLE_1)
	s_and_saveexec_b32 s0, s1
	s_cbranch_execz .LBB120_347
.LBB120_364:
	v_cmp_ne_u32_e32 vcc_lo, 1, v18
	v_lshlrev_b64 v[0:1], 3, v[6:7]
	s_cbranch_vccnz .LBB120_366
; %bb.365:
	s_delay_alu instid0(VALU_DEP_1) | instskip(NEXT) | instid1(VALU_DEP_2)
	v_add_co_u32 v2, vcc_lo, v19, v0
	v_add_co_ci_u32_e32 v3, vcc_lo, v20, v1, vcc_lo
	flat_load_b64 v[2:3], v[2:3]
	s_waitcnt vmcnt(0) lgkmcnt(0)
	v_mul_f64 v[2:3], s[10:11], v[2:3]
	s_delay_alu instid0(VALU_DEP_1)
	v_cvt_f32_f64_e32 v2, v[2:3]
	s_branch .LBB120_367
.LBB120_366:
	v_mov_b32_e32 v2, 0
.LBB120_367:
	v_max_f32_e32 v3, v130, v130
	s_delay_alu instid0(VALU_DEP_2) | instskip(NEXT) | instid1(VALU_DEP_4)
	v_max_f32_e32 v2, v2, v2
	v_add_co_u32 v0, vcc_lo, v16, v0
	v_add_co_ci_u32_e32 v1, vcc_lo, v17, v1, vcc_lo
	s_delay_alu instid0(VALU_DEP_3) | instskip(NEXT) | instid1(VALU_DEP_1)
	v_min_f32_e32 v2, v2, v3
	v_cvt_f64_f32_e32 v[2:3], v2
	global_store_b64 v[0:1], v[2:3], off
	s_or_b32 exec_lo, exec_lo, s0
	s_and_b32 s1, s4, s8
	s_delay_alu instid0(SALU_CYCLE_1)
	s_and_saveexec_b32 s0, s1
	s_cbranch_execz .LBB120_348
.LBB120_368:
	v_cmp_ne_u32_e32 vcc_lo, 1, v18
	v_lshlrev_b64 v[0:1], 3, v[8:9]
	s_cbranch_vccnz .LBB120_370
; %bb.369:
	s_delay_alu instid0(VALU_DEP_1) | instskip(NEXT) | instid1(VALU_DEP_2)
	v_add_co_u32 v2, vcc_lo, v19, v0
	v_add_co_ci_u32_e32 v3, vcc_lo, v20, v1, vcc_lo
	flat_load_b64 v[2:3], v[2:3]
	s_waitcnt vmcnt(0) lgkmcnt(0)
	v_mul_f64 v[2:3], s[10:11], v[2:3]
	s_delay_alu instid0(VALU_DEP_1)
	v_cvt_f32_f64_e32 v2, v[2:3]
	s_branch .LBB120_371
.LBB120_370:
	v_mov_b32_e32 v2, 0
.LBB120_371:
	s_delay_alu instid0(VALU_DEP_1) | instskip(NEXT) | instid1(VALU_DEP_3)
	v_dual_max_f32 v3, v128, v128 :: v_dual_max_f32 v2, v2, v2
	v_add_co_u32 v0, vcc_lo, v16, v0
	s_delay_alu instid0(VALU_DEP_4) | instskip(NEXT) | instid1(VALU_DEP_3)
	v_add_co_ci_u32_e32 v1, vcc_lo, v17, v1, vcc_lo
	v_min_f32_e32 v2, v2, v3
	s_delay_alu instid0(VALU_DEP_1) | instskip(SKIP_3) | instid1(SALU_CYCLE_1)
	v_cvt_f64_f32_e32 v[2:3], v2
	global_store_b64 v[0:1], v[2:3], off
	s_or_b32 exec_lo, exec_lo, s0
	s_and_b32 s1, s5, s8
	s_and_saveexec_b32 s0, s1
	s_cbranch_execz .LBB120_349
.LBB120_372:
	v_cmp_ne_u32_e32 vcc_lo, 1, v18
	v_lshlrev_b64 v[0:1], 3, v[10:11]
	s_cbranch_vccnz .LBB120_374
; %bb.373:
	s_delay_alu instid0(VALU_DEP_1) | instskip(NEXT) | instid1(VALU_DEP_2)
	v_add_co_u32 v2, vcc_lo, v19, v0
	v_add_co_ci_u32_e32 v3, vcc_lo, v20, v1, vcc_lo
	flat_load_b64 v[2:3], v[2:3]
	s_waitcnt vmcnt(0) lgkmcnt(0)
	v_mul_f64 v[2:3], s[10:11], v[2:3]
	s_delay_alu instid0(VALU_DEP_1)
	v_cvt_f32_f64_e32 v2, v[2:3]
	s_branch .LBB120_375
.LBB120_374:
	v_mov_b32_e32 v2, 0
.LBB120_375:
	v_max_f32_e32 v3, v126, v126
	s_delay_alu instid0(VALU_DEP_2) | instskip(NEXT) | instid1(VALU_DEP_4)
	v_max_f32_e32 v2, v2, v2
	v_add_co_u32 v0, vcc_lo, v16, v0
	v_add_co_ci_u32_e32 v1, vcc_lo, v17, v1, vcc_lo
	s_delay_alu instid0(VALU_DEP_3) | instskip(NEXT) | instid1(VALU_DEP_1)
	v_min_f32_e32 v2, v2, v3
	v_cvt_f64_f32_e32 v[2:3], v2
	global_store_b64 v[0:1], v[2:3], off
	s_or_b32 exec_lo, exec_lo, s0
	s_and_b32 s1, s6, s8
	s_delay_alu instid0(SALU_CYCLE_1)
	s_and_saveexec_b32 s0, s1
	s_cbranch_execz .LBB120_350
.LBB120_376:
	v_cmp_ne_u32_e32 vcc_lo, 1, v18
	v_lshlrev_b64 v[0:1], 3, v[12:13]
	s_cbranch_vccnz .LBB120_378
; %bb.377:
	s_delay_alu instid0(VALU_DEP_1) | instskip(NEXT) | instid1(VALU_DEP_2)
	v_add_co_u32 v2, vcc_lo, v19, v0
	v_add_co_ci_u32_e32 v3, vcc_lo, v20, v1, vcc_lo
	flat_load_b64 v[2:3], v[2:3]
	s_waitcnt vmcnt(0) lgkmcnt(0)
	v_mul_f64 v[2:3], s[10:11], v[2:3]
	s_delay_alu instid0(VALU_DEP_1)
	v_cvt_f32_f64_e32 v2, v[2:3]
	s_branch .LBB120_379
.LBB120_378:
	v_mov_b32_e32 v2, 0
.LBB120_379:
	s_delay_alu instid0(VALU_DEP_1) | instskip(NEXT) | instid1(VALU_DEP_3)
	v_dual_max_f32 v3, v124, v124 :: v_dual_max_f32 v2, v2, v2
	v_add_co_u32 v0, vcc_lo, v16, v0
	s_delay_alu instid0(VALU_DEP_4) | instskip(NEXT) | instid1(VALU_DEP_3)
	v_add_co_ci_u32_e32 v1, vcc_lo, v17, v1, vcc_lo
	v_min_f32_e32 v2, v2, v3
	s_delay_alu instid0(VALU_DEP_1) | instskip(SKIP_3) | instid1(SALU_CYCLE_1)
	v_cvt_f64_f32_e32 v[2:3], v2
	global_store_b64 v[0:1], v[2:3], off
	s_or_b32 exec_lo, exec_lo, s0
	s_and_b32 s0, s7, s8
	s_and_saveexec_b32 s1, s0
	s_cbranch_execz .LBB120_351
.LBB120_380:
	v_cmp_ne_u32_e32 vcc_lo, 1, v18
	v_lshlrev_b64 v[0:1], 3, v[14:15]
	s_cbranch_vccnz .LBB120_382
; %bb.381:
	s_delay_alu instid0(VALU_DEP_1) | instskip(NEXT) | instid1(VALU_DEP_2)
	v_add_co_u32 v2, vcc_lo, v19, v0
	v_add_co_ci_u32_e32 v3, vcc_lo, v20, v1, vcc_lo
	flat_load_b64 v[2:3], v[2:3]
	s_waitcnt vmcnt(0) lgkmcnt(0)
	v_mul_f64 v[2:3], s[10:11], v[2:3]
	s_delay_alu instid0(VALU_DEP_1)
	v_cvt_f32_f64_e32 v2, v[2:3]
	s_branch .LBB120_383
.LBB120_382:
	v_mov_b32_e32 v2, 0
.LBB120_383:
	v_max_f32_e32 v3, v122, v122
	s_delay_alu instid0(VALU_DEP_2) | instskip(NEXT) | instid1(VALU_DEP_4)
	v_max_f32_e32 v2, v2, v2
	v_add_co_u32 v0, vcc_lo, v16, v0
	v_add_co_ci_u32_e32 v1, vcc_lo, v17, v1, vcc_lo
	s_delay_alu instid0(VALU_DEP_3) | instskip(NEXT) | instid1(VALU_DEP_1)
	v_min_f32_e32 v2, v2, v3
	v_cvt_f64_f32_e32 v[2:3], v2
	global_store_b64 v[0:1], v[2:3], off
	s_endpgm
	.section	.rodata,"a",@progbits
	.p2align	6, 0x0
	.amdhsa_kernel _ZN12_GLOBAL__N_120geam_min_plus_kernelId15HIP_vector_typeIdLj2EEdLi8ELi32ELi64ELi256ELi4ELi64ELi4ELi64ELi4ELc78ELc84ELb0ELb1ELb1EPKdKS4_KPdEEviiiT16_PT17_ilSA_ilS8_SA_ilPT18_ili26rocblas_geam_ex_operation_
		.amdhsa_group_segment_fixed_size 20480
		.amdhsa_private_segment_fixed_size 396
		.amdhsa_kernarg_size 136
		.amdhsa_user_sgpr_count 14
		.amdhsa_user_sgpr_dispatch_ptr 0
		.amdhsa_user_sgpr_queue_ptr 0
		.amdhsa_user_sgpr_kernarg_segment_ptr 1
		.amdhsa_user_sgpr_dispatch_id 0
		.amdhsa_user_sgpr_private_segment_size 0
		.amdhsa_wavefront_size32 1
		.amdhsa_uses_dynamic_stack 0
		.amdhsa_enable_private_segment 1
		.amdhsa_system_sgpr_workgroup_id_x 1
		.amdhsa_system_sgpr_workgroup_id_y 0
		.amdhsa_system_sgpr_workgroup_id_z 1
		.amdhsa_system_sgpr_workgroup_info 0
		.amdhsa_system_vgpr_workitem_id 1
		.amdhsa_next_free_vgpr 256
		.amdhsa_next_free_sgpr 35
		.amdhsa_reserve_vcc 1
		.amdhsa_float_round_mode_32 0
		.amdhsa_float_round_mode_16_64 0
		.amdhsa_float_denorm_mode_32 3
		.amdhsa_float_denorm_mode_16_64 3
		.amdhsa_dx10_clamp 1
		.amdhsa_ieee_mode 1
		.amdhsa_fp16_overflow 0
		.amdhsa_workgroup_processor_mode 1
		.amdhsa_memory_ordered 1
		.amdhsa_forward_progress 0
		.amdhsa_shared_vgpr_count 0
		.amdhsa_exception_fp_ieee_invalid_op 0
		.amdhsa_exception_fp_denorm_src 0
		.amdhsa_exception_fp_ieee_div_zero 0
		.amdhsa_exception_fp_ieee_overflow 0
		.amdhsa_exception_fp_ieee_underflow 0
		.amdhsa_exception_fp_ieee_inexact 0
		.amdhsa_exception_int_div_zero 0
	.end_amdhsa_kernel
	.section	.text._ZN12_GLOBAL__N_120geam_min_plus_kernelId15HIP_vector_typeIdLj2EEdLi8ELi32ELi64ELi256ELi4ELi64ELi4ELi64ELi4ELc78ELc84ELb0ELb1ELb1EPKdKS4_KPdEEviiiT16_PT17_ilSA_ilS8_SA_ilPT18_ili26rocblas_geam_ex_operation_,"axG",@progbits,_ZN12_GLOBAL__N_120geam_min_plus_kernelId15HIP_vector_typeIdLj2EEdLi8ELi32ELi64ELi256ELi4ELi64ELi4ELi64ELi4ELc78ELc84ELb0ELb1ELb1EPKdKS4_KPdEEviiiT16_PT17_ilSA_ilS8_SA_ilPT18_ili26rocblas_geam_ex_operation_,comdat
.Lfunc_end120:
	.size	_ZN12_GLOBAL__N_120geam_min_plus_kernelId15HIP_vector_typeIdLj2EEdLi8ELi32ELi64ELi256ELi4ELi64ELi4ELi64ELi4ELc78ELc84ELb0ELb1ELb1EPKdKS4_KPdEEviiiT16_PT17_ilSA_ilS8_SA_ilPT18_ili26rocblas_geam_ex_operation_, .Lfunc_end120-_ZN12_GLOBAL__N_120geam_min_plus_kernelId15HIP_vector_typeIdLj2EEdLi8ELi32ELi64ELi256ELi4ELi64ELi4ELi64ELi4ELc78ELc84ELb0ELb1ELb1EPKdKS4_KPdEEviiiT16_PT17_ilSA_ilS8_SA_ilPT18_ili26rocblas_geam_ex_operation_
                                        ; -- End function
	.section	.AMDGPU.csdata,"",@progbits
; Kernel info:
; codeLenInByte = 27920
; NumSgprs: 37
; NumVgprs: 256
; ScratchSize: 396
; MemoryBound: 0
; FloatMode: 240
; IeeeMode: 1
; LDSByteSize: 20480 bytes/workgroup (compile time only)
; SGPRBlocks: 4
; VGPRBlocks: 31
; NumSGPRsForWavesPerEU: 37
; NumVGPRsForWavesPerEU: 256
; Occupancy: 5
; WaveLimiterHint : 1
; COMPUTE_PGM_RSRC2:SCRATCH_EN: 1
; COMPUTE_PGM_RSRC2:USER_SGPR: 14
; COMPUTE_PGM_RSRC2:TRAP_HANDLER: 0
; COMPUTE_PGM_RSRC2:TGID_X_EN: 1
; COMPUTE_PGM_RSRC2:TGID_Y_EN: 0
; COMPUTE_PGM_RSRC2:TGID_Z_EN: 1
; COMPUTE_PGM_RSRC2:TIDIG_COMP_CNT: 1
	.section	.text._ZN12_GLOBAL__N_120geam_min_plus_kernelId15HIP_vector_typeIdLj2EEdLi8ELi32ELi64ELi256ELi4ELi64ELi4ELi64ELi4ELc78ELc84ELb1ELb1ELb1EdKPKdKPdEEviiiT16_PT17_ilSA_ilS8_SA_ilPT18_ili26rocblas_geam_ex_operation_,"axG",@progbits,_ZN12_GLOBAL__N_120geam_min_plus_kernelId15HIP_vector_typeIdLj2EEdLi8ELi32ELi64ELi256ELi4ELi64ELi4ELi64ELi4ELc78ELc84ELb1ELb1ELb1EdKPKdKPdEEviiiT16_PT17_ilSA_ilS8_SA_ilPT18_ili26rocblas_geam_ex_operation_,comdat
	.globl	_ZN12_GLOBAL__N_120geam_min_plus_kernelId15HIP_vector_typeIdLj2EEdLi8ELi32ELi64ELi256ELi4ELi64ELi4ELi64ELi4ELc78ELc84ELb1ELb1ELb1EdKPKdKPdEEviiiT16_PT17_ilSA_ilS8_SA_ilPT18_ili26rocblas_geam_ex_operation_ ; -- Begin function _ZN12_GLOBAL__N_120geam_min_plus_kernelId15HIP_vector_typeIdLj2EEdLi8ELi32ELi64ELi256ELi4ELi64ELi4ELi64ELi4ELc78ELc84ELb1ELb1ELb1EdKPKdKPdEEviiiT16_PT17_ilSA_ilS8_SA_ilPT18_ili26rocblas_geam_ex_operation_
	.p2align	8
	.type	_ZN12_GLOBAL__N_120geam_min_plus_kernelId15HIP_vector_typeIdLj2EEdLi8ELi32ELi64ELi256ELi4ELi64ELi4ELi64ELi4ELc78ELc84ELb1ELb1ELb1EdKPKdKPdEEviiiT16_PT17_ilSA_ilS8_SA_ilPT18_ili26rocblas_geam_ex_operation_,@function
_ZN12_GLOBAL__N_120geam_min_plus_kernelId15HIP_vector_typeIdLj2EEdLi8ELi32ELi64ELi256ELi4ELi64ELi4ELi64ELi4ELc78ELc84ELb1ELb1ELb1EdKPKdKPdEEviiiT16_PT17_ilSA_ilS8_SA_ilPT18_ili26rocblas_geam_ex_operation_: ; @_ZN12_GLOBAL__N_120geam_min_plus_kernelId15HIP_vector_typeIdLj2EEdLi8ELi32ELi64ELi256ELi4ELi64ELi4ELi64ELi4ELc78ELc84ELb1ELb1ELb1EdKPKdKPdEEviiiT16_PT17_ilSA_ilS8_SA_ilPT18_ili26rocblas_geam_ex_operation_
; %bb.0:
	s_clause 0x1
	s_load_b128 s[8:11], s[0:1], 0x10
	s_load_b128 s[4:7], s[0:1], 0x28
	s_mov_b32 s2, s15
	s_mov_b64 s[24:25], 0
	s_waitcnt lgkmcnt(0)
	v_cmp_eq_f64_e64 s12, s[8:9], 0
	s_delay_alu instid0(VALU_DEP_1)
	s_and_b32 vcc_lo, exec_lo, s12
	s_cbranch_vccnz .LBB121_2
; %bb.1:
	s_mov_b32 s3, 0
	s_delay_alu instid0(SALU_CYCLE_1) | instskip(NEXT) | instid1(SALU_CYCLE_1)
	s_lshl_b64 s[8:9], s[2:3], 3
	s_add_u32 s8, s10, s8
	s_addc_u32 s9, s11, s9
	s_lshl_b64 s[4:5], s[4:5], 3
	s_load_b64 s[8:9], s[8:9], 0x0
	s_waitcnt lgkmcnt(0)
	s_add_u32 s24, s8, s4
	s_addc_u32 s25, s9, s5
.LBB121_2:
	s_clause 0x1
	s_load_b128 s[8:11], s[0:1], 0x40
	s_load_b64 s[16:17], s[0:1], 0x50
	s_and_not1_b32 vcc_lo, exec_lo, s12
	s_cbranch_vccnz .LBB121_4
; %bb.3:
	s_mov_b32 s3, 0
	s_mov_b64 s[22:23], 0
	s_cbranch_execz .LBB121_5
	s_branch .LBB121_6
.LBB121_4:
	s_mov_b32 s3, -1
                                        ; implicit-def: $sgpr22_sgpr23
.LBB121_5:
	s_mov_b32 s3, 0
	s_delay_alu instid0(SALU_CYCLE_1) | instskip(NEXT) | instid1(SALU_CYCLE_1)
	s_lshl_b64 s[4:5], s[2:3], 3
	s_add_u32 s4, s6, s4
	s_addc_u32 s5, s7, s5
	s_waitcnt lgkmcnt(0)
	s_lshl_b64 s[6:7], s[8:9], 3
	s_load_b64 s[4:5], s[4:5], 0x0
	s_waitcnt lgkmcnt(0)
	s_add_u32 s22, s4, s6
	s_addc_u32 s23, s5, s7
.LBB121_6:
	s_waitcnt lgkmcnt(0)
	v_cmp_eq_f64_e64 s8, s[10:11], 0
	v_cmp_neq_f64_e64 s15, s[10:11], 0
	s_load_b128 s[4:7], s[0:1], 0x60
	s_mov_b64 s[12:13], 0
	s_delay_alu instid0(VALU_DEP_2)
	s_and_b32 vcc_lo, exec_lo, s8
	s_cbranch_vccnz .LBB121_8
; %bb.7:
	s_lshl_b64 s[8:9], s[2:3], 3
	s_delay_alu instid0(SALU_CYCLE_1)
	s_add_u32 s8, s16, s8
	s_addc_u32 s9, s17, s9
	s_waitcnt lgkmcnt(0)
	s_lshl_b64 s[4:5], s[4:5], 3
	s_load_b64 s[8:9], s[8:9], 0x0
	s_waitcnt lgkmcnt(0)
	s_add_u32 s12, s8, s4
	s_addc_u32 s13, s9, s5
.LBB121_8:
	s_clause 0x1
	s_load_b32 s26, s[0:1], 0x20
	s_load_b128 s[16:19], s[0:1], 0x0
	s_lshl_b64 s[2:3], s[2:3], 3
	v_bfe_u32 v215, v0, 10, 10
	s_waitcnt lgkmcnt(0)
	s_ashr_i32 s27, s26, 31
	s_add_u32 s2, s6, s2
	s_addc_u32 s3, s7, s3
	s_add_i32 s4, s16, -1
	s_load_b64 s[20:21], s[2:3], 0x0
	s_ashr_i32 s5, s4, 31
	s_delay_alu instid0(SALU_CYCLE_1) | instskip(NEXT) | instid1(SALU_CYCLE_1)
	s_lshr_b32 s5, s5, 26
	s_add_i32 s4, s4, s5
	s_delay_alu instid0(SALU_CYCLE_1) | instskip(NEXT) | instid1(SALU_CYCLE_1)
	s_ashr_i32 s4, s4, 6
	s_add_i32 s5, s4, 1
	s_not_b32 s4, s4
	v_cvt_f32_u32_e32 v1, s5
	s_delay_alu instid0(VALU_DEP_1) | instskip(SKIP_2) | instid1(VALU_DEP_1)
	v_rcp_iflag_f32_e32 v1, v1
	s_waitcnt_depctr 0xfff
	v_mul_f32_e32 v1, 0x4f7ffffe, v1
	v_cvt_u32_f32_e32 v1, v1
	s_delay_alu instid0(VALU_DEP_1) | instskip(NEXT) | instid1(VALU_DEP_1)
	v_readfirstlane_b32 s6, v1
	s_mul_i32 s4, s4, s6
	s_delay_alu instid0(SALU_CYCLE_1) | instskip(NEXT) | instid1(SALU_CYCLE_1)
	s_mul_hi_u32 s4, s6, s4
	s_add_i32 s6, s6, s4
	s_delay_alu instid0(SALU_CYCLE_1) | instskip(NEXT) | instid1(SALU_CYCLE_1)
	s_mul_hi_u32 s4, s14, s6
	s_mul_i32 s6, s4, s5
	s_add_i32 s7, s4, 1
	s_sub_i32 s6, s14, s6
	s_delay_alu instid0(SALU_CYCLE_1)
	s_sub_i32 s8, s6, s5
	s_cmp_ge_u32 s6, s5
	s_cselect_b32 s4, s7, s4
	s_cselect_b32 s6, s8, s6
	s_add_i32 s7, s4, 1
	s_cmp_ge_u32 s6, s5
	s_cselect_b32 s6, s7, s4
	s_delay_alu instid0(SALU_CYCLE_1) | instskip(NEXT) | instid1(SALU_CYCLE_1)
	s_mul_i32 s4, s6, s5
	s_sub_i32 s2, s14, s4
	s_mov_b32 s4, -1
	s_mov_b32 s5, 0x7fefffff
	v_and_b32_e32 v214, 0x3ff, v0
	s_lshl_b32 s14, s2, 6
	s_delay_alu instid0(VALU_DEP_1) | instskip(NEXT) | instid1(VALU_DEP_1)
	v_lshl_add_u32 v0, v215, 3, v214
	v_and_b32_e32 v75, 63, v0
	v_lshrrev_b32_e32 v6, 6, v0
	v_dual_mov_b32 v0, s4 :: v_dual_mov_b32 v1, s5
	s_delay_alu instid0(VALU_DEP_3) | instskip(NEXT) | instid1(VALU_DEP_3)
	v_or_b32_e32 v216, s14, v75
	v_cmp_le_i32_e32 vcc_lo, s18, v6
	s_delay_alu instid0(VALU_DEP_2) | instskip(SKIP_1) | instid1(VALU_DEP_2)
	v_cmp_le_i32_e64 s2, s16, v216
	v_ashrrev_i32_e32 v217, 31, v216
	s_or_b32 s3, s2, vcc_lo
	s_delay_alu instid0(SALU_CYCLE_1) | instskip(NEXT) | instid1(SALU_CYCLE_1)
	s_xor_b32 s3, s3, -1
	s_and_saveexec_b32 s7, s3
	s_cbranch_execz .LBB121_10
; %bb.9:
	v_mad_i64_i32 v[0:1], null, s26, v6, 0
	v_lshlrev_b64 v[2:3], 3, v[216:217]
	s_delay_alu instid0(VALU_DEP_2) | instskip(NEXT) | instid1(VALU_DEP_1)
	v_lshlrev_b64 v[0:1], 3, v[0:1]
	v_add_co_u32 v0, s3, s24, v0
	s_delay_alu instid0(VALU_DEP_1) | instskip(NEXT) | instid1(VALU_DEP_2)
	v_add_co_ci_u32_e64 v1, s3, s25, v1, s3
	v_add_co_u32 v0, s3, v0, v2
	s_delay_alu instid0(VALU_DEP_1)
	v_add_co_ci_u32_e64 v1, s3, v1, v3, s3
	flat_load_b64 v[0:1], v[0:1]
.LBB121_10:
	s_or_b32 exec_lo, exec_lo, s7
	s_load_b32 s28, s[0:1], 0x38
	s_lshl_b32 s19, s6, 8
	s_delay_alu instid0(SALU_CYCLE_1) | instskip(NEXT) | instid1(VALU_DEP_1)
	v_or_b32_e32 v27, s19, v75
	v_cmp_le_i32_e64 s3, s17, v27
	v_ashrrev_i32_e32 v28, 31, v27
	s_waitcnt lgkmcnt(0)
	v_mad_i64_i32 v[2:3], null, v6, s28, 0
	s_delay_alu instid0(VALU_DEP_1) | instskip(SKIP_1) | instid1(VALU_DEP_2)
	v_lshlrev_b64 v[8:9], 3, v[2:3]
	v_dual_mov_b32 v2, s4 :: v_dual_mov_b32 v3, s5
	v_add_co_u32 v8, s4, s22, v8
	s_delay_alu instid0(VALU_DEP_1) | instskip(SKIP_1) | instid1(SALU_CYCLE_1)
	v_add_co_ci_u32_e64 v9, s4, s23, v9, s4
	s_or_b32 s4, s3, vcc_lo
	s_xor_b32 s4, s4, -1
	s_delay_alu instid0(SALU_CYCLE_1)
	s_and_saveexec_b32 s5, s4
	s_cbranch_execz .LBB121_12
; %bb.11:
	v_lshlrev_b64 v[2:3], 3, v[27:28]
	s_delay_alu instid0(VALU_DEP_1) | instskip(NEXT) | instid1(VALU_DEP_1)
	v_add_co_u32 v2, s4, v8, v2
	v_add_co_ci_u32_e64 v3, s4, v9, v3, s4
	flat_load_b64 v[2:3], v[2:3]
.LBB121_12:
	s_or_b32 exec_lo, exec_lo, s5
	v_or_b32_e32 v4, 64, v27
	s_mov_b32 s6, -1
	s_mov_b32 s7, 0x7fefffff
	s_delay_alu instid0(SALU_CYCLE_1) | instskip(NEXT) | instid1(VALU_DEP_2)
	v_dual_mov_b32 v19, s7 :: v_dual_mov_b32 v18, s6
	v_cmp_le_i32_e64 s4, s17, v4
	s_delay_alu instid0(VALU_DEP_1) | instskip(NEXT) | instid1(SALU_CYCLE_1)
	s_or_b32 s5, s4, vcc_lo
	s_xor_b32 s5, s5, -1
	s_delay_alu instid0(SALU_CYCLE_1)
	s_and_saveexec_b32 s8, s5
	s_cbranch_execz .LBB121_14
; %bb.13:
	v_lshlrev_b64 v[10:11], 3, v[27:28]
	s_delay_alu instid0(VALU_DEP_1) | instskip(NEXT) | instid1(VALU_DEP_1)
	v_add_co_u32 v10, s5, v8, v10
	v_add_co_ci_u32_e64 v11, s5, v9, v11, s5
	flat_load_b64 v[18:19], v[10:11] offset:512
.LBB121_14:
	s_or_b32 exec_lo, exec_lo, s8
	v_or_b32_e32 v4, 0x80, v27
	v_dual_mov_b32 v21, s7 :: v_dual_mov_b32 v20, s6
	s_ashr_i32 s29, s28, 31
	s_delay_alu instid0(VALU_DEP_2) | instskip(NEXT) | instid1(VALU_DEP_1)
	v_cmp_le_i32_e64 s5, s17, v4
	s_or_b32 s6, s5, vcc_lo
	s_delay_alu instid0(SALU_CYCLE_1) | instskip(NEXT) | instid1(SALU_CYCLE_1)
	s_xor_b32 s6, s6, -1
	s_and_saveexec_b32 s7, s6
	s_cbranch_execz .LBB121_16
; %bb.15:
	v_lshlrev_b64 v[10:11], 3, v[27:28]
	s_delay_alu instid0(VALU_DEP_1) | instskip(NEXT) | instid1(VALU_DEP_1)
	v_add_co_u32 v10, s6, v8, v10
	v_add_co_ci_u32_e64 v11, s6, v9, v11, s6
	flat_load_b64 v[20:21], v[10:11] offset:1024
.LBB121_16:
	s_or_b32 exec_lo, exec_lo, s7
	v_or_b32_e32 v4, 0xc0, v27
	s_mov_b32 s8, -1
	s_mov_b32 s9, 0x7fefffff
	s_delay_alu instid0(SALU_CYCLE_1) | instskip(NEXT) | instid1(VALU_DEP_2)
	v_dual_mov_b32 v23, s9 :: v_dual_mov_b32 v22, s8
	v_cmp_le_i32_e64 s6, s17, v4
	s_delay_alu instid0(VALU_DEP_1) | instskip(NEXT) | instid1(SALU_CYCLE_1)
	s_or_b32 s7, s6, vcc_lo
	s_xor_b32 s30, s7, -1
	s_delay_alu instid0(SALU_CYCLE_1)
	s_and_saveexec_b32 s7, s30
	s_cbranch_execz .LBB121_18
; %bb.17:
	v_lshlrev_b64 v[10:11], 3, v[27:28]
	s_delay_alu instid0(VALU_DEP_1) | instskip(NEXT) | instid1(VALU_DEP_2)
	v_add_co_u32 v8, vcc_lo, v8, v10
	v_add_co_ci_u32_e32 v9, vcc_lo, v9, v11, vcc_lo
	flat_load_b64 v[22:23], v[8:9] offset:1536
.LBB121_18:
	s_or_b32 exec_lo, exec_lo, s7
	v_add_nc_u32_e32 v10, 4, v6
	v_dual_mov_b32 v4, s8 :: v_dual_mov_b32 v5, s9
	s_delay_alu instid0(VALU_DEP_2) | instskip(SKIP_1) | instid1(SALU_CYCLE_1)
	v_cmp_le_i32_e32 vcc_lo, s18, v10
	s_or_b32 s7, s2, vcc_lo
	s_xor_b32 s7, s7, -1
	s_delay_alu instid0(SALU_CYCLE_1)
	s_and_saveexec_b32 s8, s7
	s_cbranch_execz .LBB121_20
; %bb.19:
	v_mad_i64_i32 v[8:9], null, s26, v10, 0
	v_lshlrev_b64 v[11:12], 3, v[216:217]
	s_delay_alu instid0(VALU_DEP_2) | instskip(NEXT) | instid1(VALU_DEP_1)
	v_lshlrev_b64 v[8:9], 3, v[8:9]
	v_add_co_u32 v4, s7, s24, v8
	s_delay_alu instid0(VALU_DEP_1) | instskip(NEXT) | instid1(VALU_DEP_2)
	v_add_co_ci_u32_e64 v5, s7, s25, v9, s7
	v_add_co_u32 v8, s7, v4, v11
	s_delay_alu instid0(VALU_DEP_1)
	v_add_co_ci_u32_e64 v9, s7, v5, v12, s7
	flat_load_b64 v[4:5], v[8:9]
.LBB121_20:
	s_or_b32 exec_lo, exec_lo, s8
	v_mad_i64_i32 v[11:12], null, v10, s28, 0
	s_mov_b32 s8, -1
	s_mov_b32 s9, 0x7fefffff
	s_delay_alu instid0(SALU_CYCLE_1) | instskip(NEXT) | instid1(VALU_DEP_2)
	v_dual_mov_b32 v7, s8 :: v_dual_mov_b32 v8, s9
	v_lshlrev_b64 v[10:11], 3, v[11:12]
	s_delay_alu instid0(VALU_DEP_1) | instskip(NEXT) | instid1(VALU_DEP_1)
	v_add_co_u32 v25, s7, s22, v10
	v_add_co_ci_u32_e64 v26, s7, s23, v11, s7
	s_or_b32 s7, s3, vcc_lo
	s_delay_alu instid0(SALU_CYCLE_1) | instskip(NEXT) | instid1(SALU_CYCLE_1)
	s_xor_b32 s7, s7, -1
	s_and_saveexec_b32 s30, s7
	s_cbranch_execz .LBB121_22
; %bb.21:
	v_lshlrev_b64 v[10:11], 3, v[27:28]
	s_delay_alu instid0(VALU_DEP_1) | instskip(NEXT) | instid1(VALU_DEP_1)
	v_add_co_u32 v10, s7, v25, v10
	v_add_co_ci_u32_e64 v11, s7, v26, v11, s7
	flat_load_b64 v[7:8], v[10:11]
.LBB121_22:
	s_or_b32 exec_lo, exec_lo, s30
	v_dual_mov_b32 v10, s9 :: v_dual_mov_b32 v9, s8
	s_or_b32 s7, s4, vcc_lo
	s_delay_alu instid0(SALU_CYCLE_1) | instskip(NEXT) | instid1(SALU_CYCLE_1)
	s_xor_b32 s7, s7, -1
	s_and_saveexec_b32 s8, s7
	s_cbranch_execz .LBB121_24
; %bb.23:
	v_lshlrev_b64 v[12:13], 3, v[27:28]
	s_delay_alu instid0(VALU_DEP_1) | instskip(NEXT) | instid1(VALU_DEP_1)
	v_add_co_u32 v12, s7, v25, v12
	v_add_co_ci_u32_e64 v13, s7, v26, v13, s7
	flat_load_b64 v[9:10], v[12:13] offset:512
.LBB121_24:
	s_or_b32 exec_lo, exec_lo, s8
	s_mov_b32 s8, -1
	s_mov_b32 s9, 0x7fefffff
	s_waitcnt vmcnt(0) lgkmcnt(0)
	s_clause 0x1
	scratch_store_b64 off, v[7:8], off offset:320
	scratch_store_b64 off, v[4:5], off offset:312
	v_dual_mov_b32 v4, s8 :: v_dual_mov_b32 v5, s9
	s_or_b32 s7, s5, vcc_lo
	s_delay_alu instid0(SALU_CYCLE_1) | instskip(NEXT) | instid1(SALU_CYCLE_1)
	s_xor_b32 s7, s7, -1
	s_and_saveexec_b32 s30, s7
	s_cbranch_execz .LBB121_26
; %bb.25:
	v_lshlrev_b64 v[14:15], 3, v[27:28]
	s_delay_alu instid0(VALU_DEP_1) | instskip(NEXT) | instid1(VALU_DEP_1)
	v_add_co_u32 v14, s7, v25, v14
	v_add_co_ci_u32_e64 v15, s7, v26, v15, s7
	flat_load_b64 v[4:5], v[14:15] offset:1024
.LBB121_26:
	s_or_b32 exec_lo, exec_lo, s30
	s_waitcnt vmcnt(0) lgkmcnt(0)
	s_clause 0x1
	scratch_store_b64 off, v[4:5], off offset:336
	scratch_store_b64 off, v[9:10], off offset:328
	v_dual_mov_b32 v4, s8 :: v_dual_mov_b32 v5, s9
	s_or_b32 s7, s6, vcc_lo
	s_delay_alu instid0(SALU_CYCLE_1) | instskip(NEXT) | instid1(SALU_CYCLE_1)
	s_xor_b32 s8, s7, -1
	s_and_saveexec_b32 s7, s8
	s_cbranch_execz .LBB121_28
; %bb.27:
	v_lshlrev_b64 v[16:17], 3, v[27:28]
	s_delay_alu instid0(VALU_DEP_1) | instskip(NEXT) | instid1(VALU_DEP_2)
	v_add_co_u32 v16, vcc_lo, v25, v16
	v_add_co_ci_u32_e32 v17, vcc_lo, v26, v17, vcc_lo
	flat_load_b64 v[4:5], v[16:17] offset:1536
.LBB121_28:
	s_or_b32 exec_lo, exec_lo, s7
	s_waitcnt vmcnt(0) lgkmcnt(0)
	s_clause 0x2
	scratch_store_b64 off, v[4:5], off offset:356
	scratch_store_b64 off, v[27:28], off offset:368
	scratch_store_b32 off, v6, off offset:344
	v_dual_mov_b32 v119, 0x7f800000 :: v_dual_lshlrev_b32 v4, 3, v6
	v_mov_b32_e32 v131, 0x7f800000
	v_mov_b32_e32 v135, 0x7f800000
	;; [unrolled: 1-line block ×3, first 2 shown]
	s_delay_alu instid0(VALU_DEP_4)
	v_lshl_add_u32 v5, v75, 5, v4
	v_dual_mov_b32 v4, 0x7f800000 :: v_dual_mov_b32 v129, 0x7f800000
	v_dual_mov_b32 v122, 0x7f800000 :: v_dual_mov_b32 v83, 0x7f800000
	v_mov_b32_e32 v124, 0x7f800000
	scratch_store_b32 off, v4, off offset:12 ; 4-byte Folded Spill
	v_or_b32_e32 v4, 0x4000, v5
	v_dual_mov_b32 v125, 0x7f800000 :: v_dual_mov_b32 v136, 0x7f800000
	v_mov_b32_e32 v197, 0x7f800000
	v_dual_mov_b32 v237, 0x7f800000 :: v_dual_mov_b32 v134, 0x7f800000
	scratch_store_b32 off, v4, off offset:352 ; 4-byte Folded Spill
	ds_store_b64 v5, v[0:1] offset:16384
	ds_store_2addr_stride64_b64 v5, v[2:3], v[18:19] offset1:4
	v_mov_b32_e32 v0, 0x7f800000
	scratch_store_b32 off, v5, off offset:348 ; 4-byte Folded Spill
	ds_store_2addr_stride64_b64 v5, v[20:21], v[22:23] offset0:8 offset1:12
	s_waitcnt lgkmcnt(0)
	s_waitcnt_vscnt null, 0x0
	v_dual_mov_b32 v184, 0x7f800000 :: v_dual_mov_b32 v85, 0x7f800000
	scratch_store_b32 off, v0, off          ; 4-byte Folded Spill
	v_mov_b32_e32 v0, 0x7f800000
	v_dual_mov_b32 v234, 0x7f800000 :: v_dual_mov_b32 v255, 0x7f800000
	v_dual_mov_b32 v132, 0x7f800000 :: v_dual_mov_b32 v195, 0x7f800000
	scratch_store_b32 off, v0, off offset:8 ; 4-byte Folded Spill
	v_mov_b32_e32 v0, 0x7f800000
	v_dual_mov_b32 v196, 0x7f800000 :: v_dual_mov_b32 v229, 0x7f800000
	v_dual_mov_b32 v84, 0x7f800000 :: v_dual_mov_b32 v81, 0x7f800000
	;; [unrolled: 1-line block ×18, first 2 shown]
	v_mov_b32_e32 v118, 0x7f800000
	v_mov_b32_e32 v82, 0x7f800000
	;; [unrolled: 1-line block ×5, first 2 shown]
	s_mov_b32 s8, 0
	s_mov_b32 s7, -1
	scratch_store_b32 off, v0, off offset:4 ; 4-byte Folded Spill
	s_waitcnt_vscnt null, 0x0
	s_barrier
	buffer_gl0_inv
.LBB121_29:                             ; =>This Inner Loop Header: Depth=1
	s_lshl_b32 s8, s8, 3
	v_mov_b32_e32 v123, v111
	v_lshl_add_u32 v22, v215, 5, s8
	v_lshl_add_u32 v4, v214, 5, s8
	s_mov_b32 s8, 2
	s_and_not1_b32 vcc_lo, exec_lo, s7
	s_mov_b32 s7, 0
	ds_load_b128 v[18:21], v22
	ds_load_b128 v[0:3], v4 offset:16384
	ds_load_b128 v[108:111], v4 offset:16640
	;; [unrolled: 1-line block ×3, first 2 shown]
	s_waitcnt lgkmcnt(2)
	v_add_f64 v[5:6], v[2:3], v[20:21]
	scratch_store_b64 off, v[5:6], off offset:48 ; 8-byte Folded Spill
	v_add_f64 v[5:6], v[0:1], v[18:19]
	scratch_store_b64 off, v[5:6], off offset:112 ; 8-byte Folded Spill
	s_waitcnt lgkmcnt(1)
	v_add_f64 v[5:6], v[110:111], v[20:21]
	scratch_store_b64 off, v[5:6], off offset:16 ; 8-byte Folded Spill
	v_add_f64 v[5:6], v[108:109], v[18:19]
	scratch_store_b64 off, v[5:6], off offset:80 ; 8-byte Folded Spill
	ds_load_b128 v[33:36], v4 offset:16896
	ds_load_b128 v[37:40], v4 offset:17152
	s_waitcnt lgkmcnt(1)
	v_add_f64 v[5:6], v[35:36], v[20:21]
	scratch_store_b64 off, v[5:6], off offset:56 ; 8-byte Folded Spill
	v_add_f64 v[5:6], v[33:34], v[18:19]
	scratch_store_b64 off, v[5:6], off offset:120 ; 8-byte Folded Spill
	s_waitcnt lgkmcnt(0)
	v_add_f64 v[5:6], v[39:40], v[20:21]
	scratch_store_b64 off, v[5:6], off offset:24 ; 8-byte Folded Spill
	v_add_f64 v[5:6], v[37:38], v[18:19]
	scratch_store_b64 off, v[5:6], off offset:88 ; 8-byte Folded Spill
	ds_load_b128 v[41:44], v4 offset:17408
	ds_load_b128 v[45:48], v4 offset:17664
	;; [unrolled: 12-line block ×3, first 2 shown]
	s_waitcnt lgkmcnt(1)
	v_add_f64 v[4:5], v[51:52], v[20:21]
	scratch_store_b64 off, v[4:5], off offset:72 ; 8-byte Folded Spill
	v_add_f64 v[4:5], v[49:50], v[18:19]
	scratch_store_b64 off, v[4:5], off offset:136 ; 8-byte Folded Spill
	s_waitcnt lgkmcnt(0)
	v_add_f64 v[4:5], v[55:56], v[20:21]
	scratch_store_b64 off, v[4:5], off offset:40 ; 8-byte Folded Spill
	v_add_f64 v[4:5], v[53:54], v[18:19]
	scratch_store_b64 off, v[4:5], off offset:104 ; 8-byte Folded Spill
	;; [unrolled: 2-line block ×18, first 2 shown]
	ds_load_b128 v[18:21], v22 offset:2048
	ds_load_b128 v[29:32], v22 offset:3072
	s_waitcnt lgkmcnt(1)
	v_add_f64 v[4:5], v[47:48], v[20:21]
	v_add_f64 v[166:167], v[2:3], v[20:21]
	;; [unrolled: 1-line block ×12, first 2 shown]
	s_waitcnt lgkmcnt(0)
	v_add_f64 v[172:173], v[2:3], v[31:32]
	v_add_f64 v[207:208], v[0:1], v[29:30]
	;; [unrolled: 1-line block ×16, first 2 shown]
	scratch_store_b64 off, v[4:5], off offset:288 ; 8-byte Folded Spill
	v_add_f64 v[4:5], v[51:52], v[20:21]
	scratch_store_b64 off, v[4:5], off offset:280 ; 8-byte Folded Spill
	v_add_f64 v[4:5], v[49:50], v[18:19]
	;; [unrolled: 2-line block ×4, first 2 shown]
	scratch_store_b64 off, v[4:5], off offset:296 ; 8-byte Folded Spill
	ds_load_b128 v[18:21], v22 offset:4096
	ds_load_b128 v[29:32], v22 offset:5120
	s_waitcnt lgkmcnt(1)
	v_add_f64 v[253:254], v[2:3], v[20:21]
	v_add_f64 v[8:9], v[0:1], v[18:19]
	;; [unrolled: 1-line block ×16, first 2 shown]
	s_waitcnt lgkmcnt(0)
	v_add_f64 v[160:161], v[2:3], v[31:32]
	v_add_f64 v[158:159], v[0:1], v[29:30]
	;; [unrolled: 1-line block ×16, first 2 shown]
	ds_load_b128 v[18:21], v22 offset:6144
	ds_load_b128 v[29:32], v22 offset:7168
	v_cvt_f32_f64_e32 v8, v[8:9]
	v_cvt_f32_f64_e32 v9, v[253:254]
	v_cvt_f32_f64_e32 v4, v[4:5]
	v_cvt_f32_f64_e32 v5, v[6:7]
	scratch_load_b32 v6, off, off offset:4  ; 4-byte Folded Reload
	s_waitcnt lgkmcnt(1)
	v_add_f64 v[90:91], v[0:1], v[18:19]
	v_add_f64 v[94:95], v[108:109], v[18:19]
	;; [unrolled: 1-line block ×8, first 2 shown]
	s_waitcnt lgkmcnt(0)
	v_add_f64 v[0:1], v[0:1], v[29:30]
	v_add_f64 v[108:109], v[108:109], v[29:30]
	;; [unrolled: 1-line block ×8, first 2 shown]
	scratch_load_b64 v[53:54], off, off offset:112 ; 8-byte Folded Reload
	v_add_f64 v[205:206], v[2:3], v[20:21]
	v_add_f64 v[211:212], v[110:111], v[20:21]
	;; [unrolled: 1-line block ×6, first 2 shown]
	v_mov_b32_e32 v111, v123
	v_add_f64 v[35:36], v[35:36], v[31:32]
	v_add_f64 v[39:40], v[39:40], v[31:32]
	;; [unrolled: 1-line block ×3, first 2 shown]
	v_min3_f32 v80, v8, v9, v80
	v_cvt_f32_f64_e32 v8, v[12:13]
	v_cvt_f32_f64_e32 v9, v[10:11]
	v_add_f64 v[43:44], v[43:44], v[31:32]
	v_add_f64 v[126:127], v[47:48], v[20:21]
	;; [unrolled: 1-line block ×7, first 2 shown]
	v_cvt_f32_f64_e32 v0, v[0:1]
	v_cvt_f32_f64_e32 v1, v[2:3]
	scratch_load_b32 v2, off, off offset:12 ; 4-byte Folded Reload
	v_min3_f32 v226, v8, v9, v226
	v_cvt_f32_f64_e32 v8, v[16:17]
	v_cvt_f32_f64_e32 v9, v[14:15]
	v_min3_f32 v135, v0, v1, v135
	v_cvt_f32_f64_e32 v0, v[108:109]
	v_cvt_f32_f64_e32 v1, v[25:26]
	s_delay_alu instid0(VALU_DEP_4) | instskip(SKIP_1) | instid1(VALU_DEP_3)
	v_min3_f32 v239, v8, v9, v239
	v_cvt_f32_f64_e32 v8, v[142:143]
	v_min3_f32 v122, v0, v1, v122
	v_cvt_f32_f64_e32 v0, v[33:34]
	v_cvt_f32_f64_e32 v1, v[35:36]
	s_delay_alu instid0(VALU_DEP_4) | instskip(SKIP_1) | instid1(VALU_DEP_3)
	v_min3_f32 v81, v8, v4, v81
	v_cvt_f32_f64_e32 v4, v[65:66]
	v_min3_f32 v131, v0, v1, v131
	v_cvt_f32_f64_e32 v0, v[37:38]
	v_cvt_f32_f64_e32 v1, v[39:40]
	s_delay_alu instid0(VALU_DEP_4) | instskip(SKIP_2) | instid1(VALU_DEP_4)
	v_min3_f32 v229, v4, v5, v229
	v_cvt_f32_f64_e32 v4, v[98:99]
	v_cvt_f32_f64_e32 v5, v[23:24]
	v_min3_f32 v83, v0, v1, v83
	v_cvt_f32_f64_e32 v0, v[41:42]
	v_cvt_f32_f64_e32 v1, v[43:44]
	s_delay_alu instid0(VALU_DEP_4) | instskip(SKIP_2) | instid1(VALU_DEP_4)
	v_min3_f32 v240, v4, v5, v240
	v_cvt_f32_f64_e32 v4, v[100:101]
	;; [unrolled: 7-line block ×3, first 2 shown]
	v_cvt_f32_f64_e32 v5, v[116:117]
	v_min3_f32 v133, v0, v1, v133
	v_cvt_f32_f64_e32 v0, v[49:50]
	v_cvt_f32_f64_e32 v1, v[51:52]
	s_delay_alu instid0(VALU_DEP_4)
	v_min3_f32 v230, v4, v5, v230
	v_cvt_f32_f64_e32 v4, v[158:159]
	v_cvt_f32_f64_e32 v5, v[160:161]
	s_waitcnt vmcnt(1)
	v_cvt_f32_f64_e32 v22, v[53:54]
	scratch_load_b64 v[53:54], off, off offset:48 ; 8-byte Folded Reload
	v_min3_f32 v119, v0, v1, v119
	v_cvt_f32_f64_e32 v0, v[29:30]
	v_cvt_f32_f64_e32 v1, v[31:32]
	v_min3_f32 v84, v4, v5, v84
	v_cvt_f32_f64_e32 v4, v[154:155]
	v_cvt_f32_f64_e32 v5, v[156:157]
	s_waitcnt vmcnt(1)
	s_delay_alu instid0(VALU_DEP_4) | instskip(NEXT) | instid1(VALU_DEP_2)
	v_min3_f32 v2, v0, v1, v2
	v_min3_f32 v196, v4, v5, v196
	v_cvt_f32_f64_e32 v4, v[150:151]
	v_cvt_f32_f64_e32 v5, v[152:153]
	scratch_store_b32 off, v2, off offset:12 ; 4-byte Folded Spill
	v_min3_f32 v255, v4, v5, v255
	v_cvt_f32_f64_e32 v4, v[146:147]
	v_cvt_f32_f64_e32 v5, v[148:149]
	s_delay_alu instid0(VALU_DEP_1) | instskip(SKIP_2) | instid1(VALU_DEP_1)
	v_min3_f32 v85, v4, v5, v85
	v_cvt_f32_f64_e32 v4, v[73:74]
	v_cvt_f32_f64_e32 v5, v[144:145]
	v_min3_f32 v132, v4, v5, v132
	v_cvt_f32_f64_e32 v4, v[69:70]
	v_cvt_f32_f64_e32 v5, v[71:72]
	s_delay_alu instid0(VALU_DEP_1) | instskip(SKIP_2) | instid1(VALU_DEP_1)
	v_min3_f32 v234, v4, v5, v234
	v_cvt_f32_f64_e32 v4, v[63:64]
	v_cvt_f32_f64_e32 v5, v[67:68]
	v_min3_f32 v184, v4, v5, v184
	v_cvt_f32_f64_e32 v4, v[57:58]
	v_cvt_f32_f64_e32 v5, v[27:28]
	s_delay_alu instid0(VALU_DEP_1) | instskip(SKIP_4) | instid1(VALU_DEP_2)
	v_min3_f32 v134, v4, v5, v134
	v_cvt_f32_f64_e32 v4, v[90:91]
	v_cvt_f32_f64_e32 v5, v[205:206]
	s_waitcnt vmcnt(0)
	v_cvt_f32_f64_e32 v53, v[53:54]
	v_min3_f32 v6, v4, v5, v6
	v_cvt_f32_f64_e32 v4, v[94:95]
	v_cvt_f32_f64_e32 v5, v[211:212]
	scratch_store_b32 off, v6, off offset:4 ; 4-byte Folded Spill
	scratch_load_b32 v6, off, off offset:8  ; 4-byte Folded Reload
	v_min3_f32 v141, v22, v53, v141
	scratch_load_b64 v[53:54], off, off offset:80 ; 8-byte Folded Reload
	v_min3_f32 v136, v4, v5, v136
	v_cvt_f32_f64_e32 v4, v[106:107]
	v_cvt_f32_f64_e32 v5, v[59:60]
	s_delay_alu instid0(VALU_DEP_1) | instskip(SKIP_3) | instid1(VALU_DEP_1)
	v_min3_f32 v237, v4, v5, v237
	v_cvt_f32_f64_e32 v4, v[104:105]
	v_cvt_f32_f64_e32 v5, v[61:62]
	s_waitcnt vmcnt(1)
	v_min3_f32 v6, v4, v5, v6
	v_cvt_f32_f64_e32 v4, v[92:93]
	v_cvt_f32_f64_e32 v5, v[187:188]
	scratch_store_b32 off, v6, off offset:8 ; 4-byte Folded Spill
	scratch_load_b32 v6, off, off           ; 4-byte Folded Reload
	s_waitcnt vmcnt(1)
	v_cvt_f32_f64_e32 v22, v[53:54]
	scratch_load_b64 v[53:54], off, off offset:16 ; 8-byte Folded Reload
	v_min3_f32 v197, v4, v5, v197
	v_cvt_f32_f64_e32 v4, v[199:200]
	v_cvt_f32_f64_e32 v5, v[126:127]
	s_waitcnt vmcnt(1)
	s_delay_alu instid0(VALU_DEP_1)
	v_min3_f32 v6, v4, v5, v6
	v_cvt_f32_f64_e32 v4, v[88:89]
	v_cvt_f32_f64_e32 v5, v[96:97]
	scratch_store_b32 off, v6, off          ; 4-byte Folded Spill
	s_waitcnt vmcnt(0)
	v_cvt_f32_f64_e32 v53, v[53:54]
	v_min3_f32 v125, v4, v5, v125
	v_cvt_f32_f64_e32 v4, v[18:19]
	v_cvt_f32_f64_e32 v5, v[20:21]
	s_delay_alu instid0(VALU_DEP_4)
	v_min3_f32 v140, v22, v53, v140
	scratch_load_b64 v[53:54], off, off offset:120 ; 8-byte Folded Reload
	v_min3_f32 v124, v4, v5, v124
	s_waitcnt vmcnt(0)
	v_cvt_f32_f64_e32 v22, v[53:54]
	scratch_load_b64 v[53:54], off, off offset:56 ; 8-byte Folded Reload
	s_waitcnt vmcnt(0)
	v_cvt_f32_f64_e32 v53, v[53:54]
	s_delay_alu instid0(VALU_DEP_1)
	v_min3_f32 v139, v22, v53, v139
	scratch_load_b64 v[53:54], off, off offset:88 ; 8-byte Folded Reload
	s_waitcnt vmcnt(0)
	v_cvt_f32_f64_e32 v22, v[53:54]
	scratch_load_b64 v[53:54], off, off offset:24 ; 8-byte Folded Reload
	s_waitcnt vmcnt(0)
	v_cvt_f32_f64_e32 v53, v[53:54]
	s_delay_alu instid0(VALU_DEP_1)
	v_min3_f32 v233, v22, v53, v233
	scratch_load_b64 v[53:54], off, off offset:128 ; 8-byte Folded Reload
	;; [unrolled: 8-line block ×13, first 2 shown]
	s_waitcnt vmcnt(0)
	v_cvt_f32_f64_e32 v22, v[53:54]
	scratch_load_b64 v[53:54], off, off offset:256 ; 8-byte Folded Reload
	s_waitcnt vmcnt(0)
	v_cvt_f32_f64_e32 v53, v[53:54]
	s_delay_alu instid0(VALU_DEP_1) | instskip(SKIP_2) | instid1(VALU_DEP_1)
	v_min3_f32 v223, v22, v53, v223
	v_cvt_f32_f64_e32 v22, v[102:103]
	v_cvt_f32_f64_e32 v53, v[166:167]
	v_min3_f32 v242, v22, v53, v242
	v_cvt_f32_f64_e32 v22, v[162:163]
	v_cvt_f32_f64_e32 v53, v[168:169]
	s_delay_alu instid0(VALU_DEP_1) | instskip(SKIP_2) | instid1(VALU_DEP_1)
	v_min3_f32 v86, v22, v53, v86
	v_cvt_f32_f64_e32 v22, v[164:165]
	v_cvt_f32_f64_e32 v53, v[174:175]
	v_min3_f32 v224, v22, v53, v224
	v_cvt_f32_f64_e32 v22, v[170:171]
	v_cvt_f32_f64_e32 v53, v[178:179]
	s_delay_alu instid0(VALU_DEP_1) | instskip(SKIP_2) | instid1(VALU_DEP_1)
	v_min3_f32 v227, v22, v53, v227
	v_cvt_f32_f64_e32 v22, v[176:177]
	v_cvt_f32_f64_e32 v53, v[182:183]
	v_min3_f32 v87, v22, v53, v87
	scratch_load_b64 v[53:54], off, off offset:288 ; 8-byte Folded Reload
	v_cvt_f32_f64_e32 v22, v[180:181]
	s_waitcnt vmcnt(0)
	v_cvt_f32_f64_e32 v53, v[53:54]
	s_delay_alu instid0(VALU_DEP_1)
	v_min3_f32 v128, v22, v53, v128
	scratch_load_b64 v[53:54], off, off offset:304 ; 8-byte Folded Reload
	s_waitcnt vmcnt(0)
	v_cvt_f32_f64_e32 v22, v[53:54]
	scratch_load_b64 v[53:54], off, off offset:280 ; 8-byte Folded Reload
	s_waitcnt vmcnt(0)
	v_cvt_f32_f64_e32 v53, v[53:54]
	s_delay_alu instid0(VALU_DEP_1)
	v_min3_f32 v228, v22, v53, v228
	scratch_load_b64 v[53:54], off, off offset:296 ; 8-byte Folded Reload
	s_waitcnt vmcnt(0)
	v_cvt_f32_f64_e32 v22, v[53:54]
	scratch_load_b64 v[53:54], off, off offset:272 ; 8-byte Folded Reload
	s_waitcnt vmcnt(0)
	v_cvt_f32_f64_e32 v53, v[53:54]
	s_delay_alu instid0(VALU_DEP_1) | instskip(SKIP_2) | instid1(VALU_DEP_1)
	v_min3_f32 v231, v22, v53, v231
	v_cvt_f32_f64_e32 v22, v[207:208]
	v_cvt_f32_f64_e32 v53, v[172:173]
	v_min3_f32 v221, v22, v53, v221
	v_cvt_f32_f64_e32 v22, v[203:204]
	v_cvt_f32_f64_e32 v53, v[189:190]
	s_delay_alu instid0(VALU_DEP_1) | instskip(SKIP_2) | instid1(VALU_DEP_1)
	v_min3_f32 v232, v22, v53, v232
	v_cvt_f32_f64_e32 v22, v[201:202]
	v_cvt_f32_f64_e32 v53, v[137:138]
	v_min3_f32 v76, v22, v53, v76
	v_cvt_f32_f64_e32 v22, v[191:192]
	;; [unrolled: 7-line block ×4, first 2 shown]
	v_cvt_f32_f64_e32 v53, v[249:250]
	s_delay_alu instid0(VALU_DEP_1)
	v_min3_f32 v236, v22, v53, v236
	s_cbranch_vccz .LBB121_29
; %bb.30:
	v_dual_mov_b32 v109, v118 :: v_dual_lshlrev_b32 v0, 5, v75
	s_clause 0x1
	scratch_load_b32 v118, off, off offset:344
	scratch_load_b64 v[1:2], off, off offset:312
	s_mov_b32 s30, 8
	s_cmp_gt_i32 s18, 8
	s_waitcnt vmcnt(1)
	v_lshl_add_u32 v0, v118, 3, v0
	s_waitcnt vmcnt(0)
	ds_store_b64 v0, v[1:2] offset:18432
	s_clause 0x1
	scratch_load_b64 v[1:2], off, off offset:320
	scratch_load_b64 v[3:4], off, off offset:328
	s_waitcnt vmcnt(0)
	ds_store_2addr_stride64_b64 v0, v[1:2], v[3:4] offset0:16 offset1:20
	s_clause 0x1
	scratch_load_b64 v[1:2], off, off offset:336
	scratch_load_b64 v[3:4], off, off offset:356
	s_waitcnt vmcnt(0)
	ds_store_2addr_stride64_b64 v0, v[1:2], v[3:4] offset0:24 offset1:28
	s_waitcnt lgkmcnt(0)
	s_waitcnt_vscnt null, 0x0
	s_barrier
	buffer_gl0_inv
	s_clause 0x1
	scratch_store_b32 off, v214, off offset:16
	scratch_store_b32 off, v215, off offset:24
	s_cbranch_scc0 .LBB121_58
; %bb.31:
	scratch_load_b64 v[3:4], off, off offset:368 ; 8-byte Folded Reload
	v_add_nc_u32_e32 v1, 0x4800, v0
	v_or_b32_e32 v0, 0x2000, v0
	s_mov_b32 s8, -1
	s_mov_b32 s9, 0x7fefffff
	scratch_store_b32 off, v0, off offset:364 ; 4-byte Folded Spill
	s_waitcnt vmcnt(0)
	v_lshlrev_b64 v[4:5], 3, v[3:4]
	scratch_store_b32 off, v1, off offset:356 ; 4-byte Folded Spill
	v_lshlrev_b64 v[1:2], 3, v[216:217]
	scratch_store_b64 off, v[4:5], off offset:296 ; 8-byte Folded Spill
	v_add_co_u32 v0, vcc_lo, s24, v1
	s_add_i32 s24, s18, -8
	scratch_store_b32 off, v0, off offset:368 ; 4-byte Folded Spill
	v_add_co_ci_u32_e32 v0, vcc_lo, s25, v2, vcc_lo
	s_mov_b32 s25, 0
	scratch_store_b32 off, v0, off offset:376 ; 4-byte Folded Spill
.LBB121_32:                             ; =>This Loop Header: Depth=1
                                        ;     Child Loop BB121_43 Depth 2
                                        ;     Child Loop BB121_55 Depth 2
	v_add_nc_u32_e32 v0, s30, v118
	v_dual_mov_b32 v6, s8 :: v_dual_mov_b32 v7, s9
	s_delay_alu instid0(VALU_DEP_2) | instskip(SKIP_1) | instid1(SALU_CYCLE_1)
	v_cmp_le_i32_e32 vcc_lo, s18, v0
	s_or_b32 s7, s2, vcc_lo
	s_xor_b32 s7, s7, -1
	s_delay_alu instid0(SALU_CYCLE_1)
	s_and_saveexec_b32 s31, s7
	s_cbranch_execz .LBB121_34
; %bb.33:                               ;   in Loop: Header=BB121_32 Depth=1
	v_mad_u64_u32 v[1:2], null, v0, s26, 0
	s_delay_alu instid0(VALU_DEP_1) | instskip(SKIP_2) | instid1(VALU_DEP_1)
	v_mad_u64_u32 v[6:7], null, v0, s27, v[2:3]
	scratch_load_b32 v3, off, off offset:368 ; 4-byte Folded Reload
	v_mov_b32_e32 v2, v6
	v_lshlrev_b64 v[1:2], 3, v[1:2]
	s_waitcnt vmcnt(0)
	s_delay_alu instid0(VALU_DEP_1)
	v_add_co_u32 v1, s7, v3, v1
	scratch_load_b32 v3, off, off offset:376 ; 4-byte Folded Reload
	s_waitcnt vmcnt(0)
	v_add_co_ci_u32_e64 v2, s7, v3, v2, s7
	flat_load_b64 v[6:7], v[1:2]
.LBB121_34:                             ;   in Loop: Header=BB121_32 Depth=1
	s_or_b32 exec_lo, exec_lo, s31
	v_mad_u64_u32 v[1:2], null, v0, s28, 0
	s_delay_alu instid0(VALU_DEP_1) | instskip(NEXT) | instid1(VALU_DEP_1)
	v_mad_u64_u32 v[8:9], null, v0, s29, v[2:3]
	v_mov_b32_e32 v2, v8
	v_dual_mov_b32 v8, s8 :: v_dual_mov_b32 v9, s9
	s_delay_alu instid0(VALU_DEP_2) | instskip(NEXT) | instid1(VALU_DEP_1)
	v_lshlrev_b64 v[0:1], 3, v[1:2]
	v_add_co_u32 v0, s7, s22, v0
	s_delay_alu instid0(VALU_DEP_1) | instskip(SKIP_1) | instid1(SALU_CYCLE_1)
	v_add_co_ci_u32_e64 v1, s7, s23, v1, s7
	s_or_b32 s7, s3, vcc_lo
	s_xor_b32 s7, s7, -1
	s_delay_alu instid0(SALU_CYCLE_1)
	s_and_saveexec_b32 s31, s7
	s_cbranch_execz .LBB121_36
; %bb.35:                               ;   in Loop: Header=BB121_32 Depth=1
	s_waitcnt vmcnt(0)
	v_add_co_u32 v2, s7, v0, v4
	s_delay_alu instid0(VALU_DEP_1)
	v_add_co_ci_u32_e64 v3, s7, v1, v5, s7
	flat_load_b64 v[8:9], v[2:3]
.LBB121_36:                             ;   in Loop: Header=BB121_32 Depth=1
	s_or_b32 exec_lo, exec_lo, s31
	v_dual_mov_b32 v11, s9 :: v_dual_mov_b32 v10, s8
	s_or_b32 s7, s4, vcc_lo
	s_delay_alu instid0(SALU_CYCLE_1) | instskip(NEXT) | instid1(SALU_CYCLE_1)
	s_xor_b32 s7, s7, -1
	s_and_saveexec_b32 s31, s7
	s_cbranch_execz .LBB121_38
; %bb.37:                               ;   in Loop: Header=BB121_32 Depth=1
	s_waitcnt vmcnt(0)
	v_add_co_u32 v2, s7, v0, v4
	s_delay_alu instid0(VALU_DEP_1)
	v_add_co_ci_u32_e64 v3, s7, v1, v5, s7
	flat_load_b64 v[10:11], v[2:3] offset:512
.LBB121_38:                             ;   in Loop: Header=BB121_32 Depth=1
	s_or_b32 exec_lo, exec_lo, s31
	v_dual_mov_b32 v2, s8 :: v_dual_mov_b32 v3, s9
	s_or_b32 s7, s5, vcc_lo
	s_waitcnt vmcnt(0) lgkmcnt(0)
	s_clause 0x1
	scratch_store_b64 off, v[8:9], off offset:304
	scratch_store_b64 off, v[6:7], off offset:288
	s_xor_b32 s7, s7, -1
	s_delay_alu instid0(SALU_CYCLE_1)
	s_and_saveexec_b32 s31, s7
	s_cbranch_execz .LBB121_40
; %bb.39:                               ;   in Loop: Header=BB121_32 Depth=1
	v_add_co_u32 v2, s7, v0, v4
	s_delay_alu instid0(VALU_DEP_1)
	v_add_co_ci_u32_e64 v3, s7, v1, v5, s7
	flat_load_b64 v[2:3], v[2:3] offset:1024
.LBB121_40:                             ;   in Loop: Header=BB121_32 Depth=1
	s_or_b32 exec_lo, exec_lo, s31
	v_dual_mov_b32 v123, v111 :: v_dual_mov_b32 v6, s8
	v_mov_b32_e32 v7, s9
	s_or_b32 s7, s6, vcc_lo
	scratch_store_b64 off, v[10:11], off offset:312 ; 8-byte Folded Spill
	s_xor_b32 s31, s7, -1
	s_delay_alu instid0(SALU_CYCLE_1)
	s_and_saveexec_b32 s7, s31
	s_cbranch_execz .LBB121_42
; %bb.41:                               ;   in Loop: Header=BB121_32 Depth=1
	v_add_co_u32 v0, vcc_lo, v0, v4
	v_add_co_ci_u32_e32 v1, vcc_lo, v1, v5, vcc_lo
	flat_load_b64 v[6:7], v[0:1] offset:1536
.LBB121_42:                             ;   in Loop: Header=BB121_32 Depth=1
	s_or_b32 exec_lo, exec_lo, s7
	v_mov_b32_e32 v148, v109
	s_mov_b32 s31, 0
	s_mov_b32 s7, -1
	s_waitcnt vmcnt(0) lgkmcnt(0)
	s_clause 0x1
	scratch_store_b64 off, v[6:7], off offset:328
	scratch_store_b64 off, v[2:3], off offset:320
.LBB121_43:                             ;   Parent Loop BB121_32 Depth=1
                                        ; =>  This Inner Loop Header: Depth=2
	s_lshl_b32 s31, s31, 3
	v_mov_b32_e32 v118, v184
	v_lshl_add_u32 v106, v215, 5, s31
	v_lshl_add_u32 v4, v214, 5, s31
	s_mov_b32 s31, 2
	s_and_not1_b32 vcc_lo, exec_lo, s7
	s_mov_b32 s7, 0
	ds_load_b128 v[44:47], v106 offset:8192
	ds_load_b128 v[0:3], v4 offset:18432
	;; [unrolled: 1-line block ×4, first 2 shown]
	s_waitcnt lgkmcnt(2)
	v_add_f64 v[142:143], v[0:1], v[44:45]
	s_waitcnt lgkmcnt(1)
	v_add_f64 v[5:6], v[151:152], v[46:47]
	;; [unrolled: 2-line block ×3, first 2 shown]
	v_add_f64 v[66:67], v[2:3], v[46:47]
	scratch_store_b64 off, v[5:6], off offset:32 ; 8-byte Folded Spill
	v_add_f64 v[5:6], v[149:150], v[44:45]
	v_cvt_f32_f64_e32 v66, v[66:67]
	v_cvt_f32_f64_e32 v50, v[50:51]
	scratch_store_b64 off, v[5:6], off offset:88 ; 8-byte Folded Spill
	ds_load_b128 v[157:160], v4 offset:18944
	ds_load_b128 v[161:164], v4 offset:19200
	s_waitcnt lgkmcnt(1)
	v_add_f64 v[5:6], v[159:160], v[46:47]
	scratch_store_b64 off, v[5:6], off offset:64 ; 8-byte Folded Spill
	v_add_f64 v[5:6], v[157:158], v[44:45]
	scratch_store_b64 off, v[5:6], off offset:120 ; 8-byte Folded Spill
	s_waitcnt lgkmcnt(0)
	v_add_f64 v[5:6], v[163:164], v[46:47]
	scratch_store_b64 off, v[5:6], off offset:40 ; 8-byte Folded Spill
	v_add_f64 v[5:6], v[161:162], v[44:45]
	scratch_store_b64 off, v[5:6], off offset:96 ; 8-byte Folded Spill
	ds_load_b128 v[165:168], v4 offset:19456
	ds_load_b128 v[169:172], v4 offset:19712
	s_waitcnt lgkmcnt(1)
	v_add_f64 v[5:6], v[167:168], v[46:47]
	v_add_f64 v[42:43], v[165:166], v[153:154]
	s_waitcnt lgkmcnt(0)
	v_add_f64 v[28:29], v[169:170], v[153:154]
	scratch_store_b64 off, v[5:6], off offset:72 ; 8-byte Folded Spill
	v_add_f64 v[5:6], v[165:166], v[44:45]
	v_cvt_f32_f64_e32 v42, v[42:43]
	scratch_store_b64 off, v[5:6], off offset:128 ; 8-byte Folded Spill
	v_add_f64 v[5:6], v[171:172], v[46:47]
	scratch_store_b64 off, v[5:6], off offset:48 ; 8-byte Folded Spill
	v_add_f64 v[5:6], v[169:170], v[44:45]
	scratch_store_b64 off, v[5:6], off offset:104 ; 8-byte Folded Spill
	ds_load_b128 v[173:176], v4 offset:19968
	ds_load_b128 v[177:180], v4 offset:20224
	;; [unrolled: 1-line block ×3, first 2 shown]
	s_waitcnt lgkmcnt(2)
	v_add_f64 v[4:5], v[175:176], v[46:47]
	s_waitcnt lgkmcnt(0)
	v_add_f64 v[68:69], v[2:3], v[183:184]
	v_add_f64 v[64:65], v[0:1], v[181:182]
	;; [unrolled: 1-line block ×15, first 2 shown]
	scratch_store_b64 off, v[4:5], off offset:80 ; 8-byte Folded Spill
	v_add_f64 v[4:5], v[173:174], v[44:45]
	scratch_store_b64 off, v[4:5], off offset:136 ; 8-byte Folded Spill
	v_add_f64 v[4:5], v[179:180], v[46:47]
	v_add_f64 v[46:47], v[163:164], v[183:184]
	scratch_store_b64 off, v[4:5], off offset:56 ; 8-byte Folded Spill
	v_add_f64 v[4:5], v[177:178], v[44:45]
	;; [unrolled: 3-line block ×3, first 2 shown]
	v_cvt_f32_f64_e32 v44, v[44:45]
	scratch_store_b64 off, v[4:5], off offset:144 ; 8-byte Folded Spill
	v_add_f64 v[4:5], v[0:1], v[153:154]
	scratch_store_b64 off, v[4:5], off offset:152 ; 8-byte Folded Spill
	v_add_f64 v[4:5], v[151:152], v[155:156]
	;; [unrolled: 2-line block ×11, first 2 shown]
	ds_load_b128 v[153:156], v106 offset:10240
	s_waitcnt lgkmcnt(0)
	v_add_f64 v[114:115], v[2:3], v[155:156]
	v_add_f64 v[185:186], v[0:1], v[153:154]
	;; [unrolled: 1-line block ×10, first 2 shown]
	scratch_store_b64 off, v[4:5], off offset:232 ; 8-byte Folded Spill
	v_add_f64 v[4:5], v[167:168], v[155:156]
	v_cvt_f32_f64_e32 v16, v[16:17]
	v_cvt_f32_f64_e32 v17, v[70:71]
	scratch_store_b64 off, v[4:5], off offset:272 ; 8-byte Folded Spill
	v_add_f64 v[4:5], v[171:172], v[155:156]
	scratch_store_b64 off, v[4:5], off offset:256 ; 8-byte Folded Spill
	v_add_f64 v[4:5], v[175:176], v[155:156]
	;; [unrolled: 2-line block ×5, first 2 shown]
	scratch_store_b64 off, v[4:5], off offset:264 ; 8-byte Folded Spill
	ds_load_b128 v[153:156], v106 offset:12288
	ds_load_b128 v[181:184], v106 offset:13312
	s_waitcnt lgkmcnt(1)
	v_add_f64 v[251:252], v[2:3], v[155:156]
	v_add_f64 v[253:254], v[0:1], v[153:154]
	;; [unrolled: 1-line block ×16, first 2 shown]
	s_waitcnt lgkmcnt(0)
	v_add_f64 v[8:9], v[2:3], v[183:184]
	v_add_f64 v[88:89], v[0:1], v[181:182]
	;; [unrolled: 1-line block ×16, first 2 shown]
	ds_load_b128 v[153:156], v106 offset:14336
	ds_load_b128 v[181:184], v106 offset:15360
	v_cvt_f32_f64_e32 v4, v[4:5]
	v_cvt_f32_f64_e32 v6, v[6:7]
	;; [unrolled: 1-line block ×3, first 2 shown]
	s_waitcnt lgkmcnt(1)
	v_add_f64 v[106:107], v[2:3], v[155:156]
	v_add_f64 v[215:216], v[151:152], v[155:156]
	;; [unrolled: 1-line block ×8, first 2 shown]
	s_waitcnt lgkmcnt(0)
	v_add_f64 v[2:3], v[2:3], v[183:184]
	v_add_f64 v[151:152], v[151:152], v[183:184]
	;; [unrolled: 1-line block ×8, first 2 shown]
	v_mov_b32_e32 v184, v118
	v_cvt_f32_f64_e32 v118, v[142:143]
	scratch_load_b64 v[142:143], off, off offset:32 ; 8-byte Folded Reload
	v_add_f64 v[108:109], v[0:1], v[153:154]
	v_add_f64 v[110:111], v[149:150], v[153:154]
	;; [unrolled: 1-line block ×11, first 2 shown]
	v_min3_f32 v239, v6, v4, v239
	scratch_load_b32 v6, off, off offset:4  ; 4-byte Folded Reload
	v_cvt_f32_f64_e32 v4, v[10:11]
	v_add_f64 v[169:170], v[169:170], v[181:182]
	v_add_f64 v[112:113], v[173:174], v[153:154]
	;; [unrolled: 1-line block ×5, first 2 shown]
	v_min3_f32 v141, v118, v66, v141
	scratch_load_b64 v[66:67], off, off offset:88 ; 8-byte Folded Reload
	v_cvt_f32_f64_e32 v0, v[0:1]
	v_cvt_f32_f64_e32 v1, v[2:3]
	scratch_load_b32 v2, off, off offset:12 ; 4-byte Folded Reload
	v_min3_f32 v81, v4, v5, v81
	v_cvt_f32_f64_e32 v4, v[14:15]
	v_cvt_f32_f64_e32 v5, v[20:21]
	v_min3_f32 v135, v0, v1, v135
	v_cvt_f32_f64_e32 v0, v[149:150]
	v_cvt_f32_f64_e32 v1, v[151:152]
	s_delay_alu instid0(VALU_DEP_4) | instskip(SKIP_2) | instid1(VALU_DEP_4)
	v_min3_f32 v229, v4, v5, v229
	v_cvt_f32_f64_e32 v4, v[12:13]
	v_cvt_f32_f64_e32 v5, v[30:31]
	v_min3_f32 v122, v0, v1, v122
	v_cvt_f32_f64_e32 v0, v[157:158]
	v_cvt_f32_f64_e32 v1, v[159:160]
	s_delay_alu instid0(VALU_DEP_4) | instskip(SKIP_2) | instid1(VALU_DEP_4)
	;; [unrolled: 7-line block ×6, first 2 shown]
	v_min3_f32 v196, v4, v5, v196
	v_cvt_f32_f64_e32 v4, v[22:23]
	v_cvt_f32_f64_e32 v5, v[92:93]
	v_min3_f32 v119, v0, v1, v119
	v_cvt_f32_f64_e32 v0, v[177:178]
	v_cvt_f32_f64_e32 v1, v[179:180]
	s_delay_alu instid0(VALU_DEP_4)
	v_min3_f32 v255, v4, v5, v255
	v_cvt_f32_f64_e32 v4, v[56:57]
	v_cvt_f32_f64_e32 v5, v[94:95]
	s_waitcnt vmcnt(1)
	v_cvt_f32_f64_e32 v66, v[66:67]
	v_cvt_f32_f64_e32 v67, v[142:143]
	scratch_load_b64 v[142:143], off, off offset:64 ; 8-byte Folded Reload
	s_waitcnt vmcnt(1)
	v_min3_f32 v2, v0, v1, v2
	scratch_store_b32 off, v2, off offset:12 ; 4-byte Folded Spill
	v_min3_f32 v85, v4, v5, v85
	v_cvt_f32_f64_e32 v4, v[58:59]
	v_cvt_f32_f64_e32 v5, v[96:97]
	v_min3_f32 v140, v66, v67, v140
	scratch_load_b64 v[66:67], off, off offset:120 ; 8-byte Folded Reload
	v_min3_f32 v132, v4, v5, v132
	v_cvt_f32_f64_e32 v4, v[62:63]
	v_cvt_f32_f64_e32 v5, v[60:61]
	s_delay_alu instid0(VALU_DEP_1) | instskip(SKIP_2) | instid1(VALU_DEP_1)
	v_min3_f32 v234, v4, v5, v234
	v_cvt_f32_f64_e32 v4, v[100:101]
	v_cvt_f32_f64_e32 v5, v[98:99]
	v_min3_f32 v184, v4, v5, v184
	v_cvt_f32_f64_e32 v4, v[104:105]
	v_cvt_f32_f64_e32 v5, v[102:103]
	s_delay_alu instid0(VALU_DEP_1) | instskip(SKIP_2) | instid1(VALU_DEP_1)
	v_min3_f32 v134, v4, v5, v134
	v_cvt_f32_f64_e32 v4, v[108:109]
	v_cvt_f32_f64_e32 v5, v[106:107]
	v_min3_f32 v6, v4, v5, v6
	v_cvt_f32_f64_e32 v5, v[215:216]
	scratch_load_b32 v215, off, off offset:24 ; 4-byte Folded Reload
	v_cvt_f32_f64_e32 v4, v[110:111]
	scratch_store_b32 off, v6, off offset:4 ; 4-byte Folded Spill
	scratch_load_b32 v6, off, off offset:8  ; 4-byte Folded Reload
	v_min3_f32 v136, v4, v5, v136
	v_cvt_f32_f64_e32 v4, v[207:208]
	v_cvt_f32_f64_e32 v5, v[211:212]
	s_delay_alu instid0(VALU_DEP_1)
	v_min3_f32 v237, v4, v5, v237
	v_cvt_f32_f64_e32 v4, v[203:204]
	v_cvt_f32_f64_e32 v5, v[217:218]
	s_waitcnt vmcnt(2)
	v_cvt_f32_f64_e32 v66, v[66:67]
	v_cvt_f32_f64_e32 v67, v[142:143]
	scratch_load_b64 v[142:143], off, off offset:40 ; 8-byte Folded Reload
	v_min3_f32 v139, v66, v67, v139
	scratch_load_b64 v[66:67], off, off offset:96 ; 8-byte Folded Reload
	s_waitcnt vmcnt(2)
	v_min3_f32 v6, v4, v5, v6
	v_cvt_f32_f64_e32 v5, v[213:214]
	scratch_load_b32 v214, off, off offset:16 ; 4-byte Folded Reload
	v_cvt_f32_f64_e32 v4, v[199:200]
	scratch_store_b32 off, v6, off offset:8 ; 4-byte Folded Spill
	scratch_load_b32 v6, off, off           ; 4-byte Folded Reload
	v_min3_f32 v197, v4, v5, v197
	v_cvt_f32_f64_e32 v4, v[193:194]
	v_cvt_f32_f64_e32 v5, v[209:210]
	s_waitcnt vmcnt(2)
	v_cvt_f32_f64_e32 v66, v[66:67]
	v_cvt_f32_f64_e32 v67, v[142:143]
	scratch_load_b64 v[142:143], off, off offset:72 ; 8-byte Folded Reload
	v_min3_f32 v233, v66, v67, v233
	scratch_load_b64 v[66:67], off, off offset:128 ; 8-byte Folded Reload
	s_waitcnt vmcnt(2)
	v_min3_f32 v6, v4, v5, v6
	v_cvt_f32_f64_e32 v4, v[112:113]
	v_cvt_f32_f64_e32 v5, v[205:206]
	scratch_store_b32 off, v6, off          ; 4-byte Folded Spill
	v_min3_f32 v125, v4, v5, v125
	v_cvt_f32_f64_e32 v4, v[153:154]
	v_cvt_f32_f64_e32 v5, v[155:156]
	s_delay_alu instid0(VALU_DEP_1)
	v_min3_f32 v124, v4, v5, v124
	s_waitcnt vmcnt(0)
	v_cvt_f32_f64_e32 v66, v[66:67]
	v_cvt_f32_f64_e32 v67, v[142:143]
	scratch_load_b64 v[142:143], off, off offset:48 ; 8-byte Folded Reload
	v_min3_f32 v198, v66, v67, v198
	scratch_load_b64 v[66:67], off, off offset:104 ; 8-byte Folded Reload
	s_waitcnt vmcnt(0)
	v_cvt_f32_f64_e32 v66, v[66:67]
	v_cvt_f32_f64_e32 v67, v[142:143]
	scratch_load_b64 v[142:143], off, off offset:80 ; 8-byte Folded Reload
	v_min3_f32 v238, v66, v67, v238
	scratch_load_b64 v[66:67], off, off offset:136 ; 8-byte Folded Reload
	;; [unrolled: 6-line block ×4, first 2 shown]
	s_waitcnt vmcnt(0)
	v_cvt_f32_f64_e32 v66, v[66:67]
	v_cvt_f32_f64_e32 v67, v[142:143]
	s_delay_alu instid0(VALU_DEP_1)
	v_min3_f32 v123, v66, v67, v123
	scratch_load_b64 v[66:67], off, off offset:160 ; 8-byte Folded Reload
	s_waitcnt vmcnt(0)
	v_cvt_f32_f64_e32 v51, v[66:67]
	scratch_load_b64 v[66:67], off, off offset:168 ; 8-byte Folded Reload
	v_min3_f32 v148, v50, v51, v148
	scratch_load_b64 v[50:51], off, off offset:176 ; 8-byte Folded Reload
	s_waitcnt vmcnt(0)
	v_cvt_f32_f64_e32 v50, v[50:51]
	v_cvt_f32_f64_e32 v51, v[66:67]
	s_delay_alu instid0(VALU_DEP_1) | instskip(SKIP_3) | instid1(VALU_DEP_1)
	v_min3_f32 v78, v50, v51, v78
	scratch_load_b64 v[50:51], off, off offset:184 ; 8-byte Folded Reload
	s_waitcnt vmcnt(0)
	v_cvt_f32_f64_e32 v45, v[50:51]
	v_min3_f32 v130, v44, v45, v130
	scratch_load_b64 v[43:44], off, off offset:192 ; 8-byte Folded Reload
	s_waitcnt vmcnt(0)
	v_cvt_f32_f64_e32 v43, v[43:44]
	s_delay_alu instid0(VALU_DEP_1) | instskip(SKIP_4) | instid1(VALU_DEP_1)
	v_min3_f32 v219, v42, v43, v219
	v_cvt_f32_f64_e32 v42, v[28:29]
	scratch_load_b64 v[28:29], off, off offset:200 ; 8-byte Folded Reload
	s_waitcnt vmcnt(0)
	v_cvt_f32_f64_e32 v28, v[28:29]
	v_min3_f32 v241, v42, v28, v241
	s_clause 0x1
	scratch_load_b64 v[28:29], off, off offset:216
	scratch_load_b64 v[42:43], off, off offset:208
	s_waitcnt vmcnt(1)
	v_cvt_f32_f64_e32 v28, v[28:29]
	s_waitcnt vmcnt(0)
	v_cvt_f32_f64_e32 v29, v[42:43]
	scratch_load_b64 v[42:43], off, off offset:224 ; 8-byte Folded Reload
	v_min3_f32 v220, v28, v29, v220
	scratch_load_b64 v[28:29], off, off offset:232 ; 8-byte Folded Reload
	s_waitcnt vmcnt(0)
	v_cvt_f32_f64_e32 v28, v[28:29]
	v_cvt_f32_f64_e32 v29, v[42:43]
	s_delay_alu instid0(VALU_DEP_1) | instskip(SKIP_2) | instid1(VALU_DEP_1)
	v_min3_f32 v223, v28, v29, v223
	v_cvt_f32_f64_e32 v28, v[185:186]
	v_cvt_f32_f64_e32 v29, v[114:115]
	v_min3_f32 v242, v28, v29, v242
	v_cvt_f32_f64_e32 v28, v[187:188]
	s_delay_alu instid0(VALU_DEP_1) | instskip(SKIP_2) | instid1(VALU_DEP_1)
	v_min3_f32 v86, v28, v16, v86
	scratch_load_b64 v[28:29], off, off offset:272 ; 8-byte Folded Reload
	v_cvt_f32_f64_e32 v16, v[116:117]
	v_min3_f32 v224, v16, v17, v224
	v_cvt_f32_f64_e32 v16, v[189:190]
	v_cvt_f32_f64_e32 v17, v[74:75]
	s_delay_alu instid0(VALU_DEP_1)
	v_min3_f32 v227, v16, v17, v227
	v_cvt_f32_f64_e32 v16, v[72:73]
	s_waitcnt vmcnt(0)
	v_cvt_f32_f64_e32 v17, v[28:29]
	scratch_load_b64 v[28:29], off, off offset:256 ; 8-byte Folded Reload
	v_min3_f32 v87, v16, v17, v87
	v_cvt_f32_f64_e32 v16, v[191:192]
	s_waitcnt vmcnt(0)
	v_cvt_f32_f64_e32 v17, v[28:29]
	scratch_load_b64 v[28:29], off, off offset:248 ; 8-byte Folded Reload
	v_min3_f32 v128, v16, v17, v128
	scratch_load_b64 v[16:17], off, off offset:280 ; 8-byte Folded Reload
	s_waitcnt vmcnt(0)
	v_cvt_f32_f64_e32 v16, v[16:17]
	v_cvt_f32_f64_e32 v17, v[28:29]
	scratch_load_b64 v[28:29], off, off offset:240 ; 8-byte Folded Reload
	v_min3_f32 v228, v16, v17, v228
	scratch_load_b64 v[16:17], off, off offset:264 ; 8-byte Folded Reload
	s_waitcnt vmcnt(0)
	v_cvt_f32_f64_e32 v16, v[16:17]
	v_cvt_f32_f64_e32 v17, v[28:29]
	s_delay_alu instid0(VALU_DEP_1) | instskip(SKIP_2) | instid1(VALU_DEP_1)
	v_min3_f32 v231, v16, v17, v231
	v_cvt_f32_f64_e32 v16, v[64:65]
	v_cvt_f32_f64_e32 v17, v[68:69]
	v_min3_f32 v221, v16, v17, v221
	v_cvt_f32_f64_e32 v16, v[48:49]
	v_cvt_f32_f64_e32 v17, v[54:55]
	s_delay_alu instid0(VALU_DEP_1) | instskip(SKIP_2) | instid1(VALU_DEP_1)
	v_min3_f32 v232, v16, v17, v232
	v_cvt_f32_f64_e32 v16, v[40:41]
	v_cvt_f32_f64_e32 v17, v[52:53]
	v_min3_f32 v76, v16, v17, v76
	;; [unrolled: 7-line block ×5, first 2 shown]
	v_cvt_f32_f64_e32 v16, v[146:147]
	v_cvt_f32_f64_e32 v17, v[144:145]
	s_delay_alu instid0(VALU_DEP_1)
	v_min3_f32 v226, v16, v17, v226
	s_cbranch_vccz .LBB121_43
; %bb.44:                               ;   in Loop: Header=BB121_32 Depth=1
	s_clause 0x2
	scratch_load_b32 v118, off, off offset:344
	scratch_load_b32 v1, off, off offset:352
	scratch_load_b64 v[2:3], off, off offset:288
	v_dual_mov_b32 v110, v123 :: v_dual_mov_b32 v109, v148
	v_dual_mov_b32 v6, s8 :: v_dual_mov_b32 v7, s9
	s_waitcnt vmcnt(2)
	v_add3_u32 v0, v118, s30, 4
	s_waitcnt vmcnt(0)
	ds_store_b64 v1, v[2:3]
	s_clause 0x2
	scratch_load_b32 v1, off, off offset:348
	scratch_load_b64 v[2:3], off, off offset:304
	scratch_load_b64 v[4:5], off, off offset:312
	v_cmp_le_i32_e32 vcc_lo, s18, v0
	s_or_b32 s7, s2, vcc_lo
	s_delay_alu instid0(SALU_CYCLE_1)
	s_xor_b32 s7, s7, -1
	s_waitcnt vmcnt(0)
	ds_store_2addr_stride64_b64 v1, v[2:3], v[4:5] offset1:4
	s_clause 0x1
	scratch_load_b64 v[2:3], off, off offset:320
	scratch_load_b64 v[4:5], off, off offset:328
	s_waitcnt vmcnt(0)
	ds_store_2addr_stride64_b64 v1, v[2:3], v[4:5] offset0:8 offset1:12
	s_waitcnt lgkmcnt(0)
	s_waitcnt_vscnt null, 0x0
	s_barrier
	buffer_gl0_inv
	s_and_saveexec_b32 s31, s7
	s_cbranch_execz .LBB121_46
; %bb.45:                               ;   in Loop: Header=BB121_32 Depth=1
	v_mad_u64_u32 v[1:2], null, v0, s26, 0
	s_delay_alu instid0(VALU_DEP_1) | instskip(SKIP_2) | instid1(VALU_DEP_1)
	v_mad_u64_u32 v[6:7], null, v0, s27, v[2:3]
	scratch_load_b32 v3, off, off offset:368 ; 4-byte Folded Reload
	v_mov_b32_e32 v2, v6
	v_lshlrev_b64 v[1:2], 3, v[1:2]
	s_waitcnt vmcnt(0)
	s_delay_alu instid0(VALU_DEP_1)
	v_add_co_u32 v1, s7, v3, v1
	scratch_load_b32 v3, off, off offset:376 ; 4-byte Folded Reload
	s_waitcnt vmcnt(0)
	v_add_co_ci_u32_e64 v2, s7, v3, v2, s7
	flat_load_b64 v[6:7], v[1:2]
.LBB121_46:                             ;   in Loop: Header=BB121_32 Depth=1
	s_or_b32 exec_lo, exec_lo, s31
	v_mad_u64_u32 v[1:2], null, v0, s28, 0
	s_delay_alu instid0(VALU_DEP_1) | instskip(NEXT) | instid1(VALU_DEP_1)
	v_mad_u64_u32 v[8:9], null, v0, s29, v[2:3]
	v_mov_b32_e32 v2, v8
	v_dual_mov_b32 v8, s8 :: v_dual_mov_b32 v9, s9
	s_delay_alu instid0(VALU_DEP_2) | instskip(NEXT) | instid1(VALU_DEP_1)
	v_lshlrev_b64 v[0:1], 3, v[1:2]
	v_add_co_u32 v0, s7, s22, v0
	s_delay_alu instid0(VALU_DEP_1) | instskip(SKIP_1) | instid1(SALU_CYCLE_1)
	v_add_co_ci_u32_e64 v1, s7, s23, v1, s7
	s_or_b32 s7, s3, vcc_lo
	s_xor_b32 s7, s7, -1
	s_mov_b32 s31, exec_lo
	scratch_load_b64 v[4:5], off, off offset:296 ; 8-byte Folded Reload
	s_and_b32 s7, s31, s7
	s_delay_alu instid0(SALU_CYCLE_1)
	s_mov_b32 exec_lo, s7
	s_cbranch_execz .LBB121_48
; %bb.47:                               ;   in Loop: Header=BB121_32 Depth=1
	s_waitcnt vmcnt(0)
	v_add_co_u32 v2, s7, v0, v4
	s_delay_alu instid0(VALU_DEP_1)
	v_add_co_ci_u32_e64 v3, s7, v1, v5, s7
	flat_load_b64 v[8:9], v[2:3]
.LBB121_48:                             ;   in Loop: Header=BB121_32 Depth=1
	s_or_b32 exec_lo, exec_lo, s31
	v_dual_mov_b32 v11, s9 :: v_dual_mov_b32 v10, s8
	s_or_b32 s7, s4, vcc_lo
	s_delay_alu instid0(SALU_CYCLE_1) | instskip(NEXT) | instid1(SALU_CYCLE_1)
	s_xor_b32 s7, s7, -1
	s_and_saveexec_b32 s31, s7
	s_cbranch_execz .LBB121_50
; %bb.49:                               ;   in Loop: Header=BB121_32 Depth=1
	s_waitcnt vmcnt(0)
	v_add_co_u32 v2, s7, v0, v4
	s_delay_alu instid0(VALU_DEP_1)
	v_add_co_ci_u32_e64 v3, s7, v1, v5, s7
	flat_load_b64 v[10:11], v[2:3] offset:512
.LBB121_50:                             ;   in Loop: Header=BB121_32 Depth=1
	s_or_b32 exec_lo, exec_lo, s31
	v_dual_mov_b32 v2, s8 :: v_dual_mov_b32 v3, s9
	s_or_b32 s7, s5, vcc_lo
	s_waitcnt vmcnt(0) lgkmcnt(0)
	s_clause 0x1
	scratch_store_b64 off, v[8:9], off offset:312
	scratch_store_b64 off, v[6:7], off offset:304
	s_xor_b32 s7, s7, -1
	s_delay_alu instid0(SALU_CYCLE_1)
	s_and_saveexec_b32 s31, s7
	s_cbranch_execz .LBB121_52
; %bb.51:                               ;   in Loop: Header=BB121_32 Depth=1
	v_add_co_u32 v2, s7, v0, v4
	s_delay_alu instid0(VALU_DEP_1)
	v_add_co_ci_u32_e64 v3, s7, v1, v5, s7
	flat_load_b64 v[2:3], v[2:3] offset:1024
.LBB121_52:                             ;   in Loop: Header=BB121_32 Depth=1
	s_or_b32 exec_lo, exec_lo, s31
	v_mov_b32_e32 v6, s8
	v_dual_mov_b32 v108, v78 :: v_dual_mov_b32 v7, s9
	s_or_b32 s7, s6, vcc_lo
	scratch_store_b64 off, v[10:11], off offset:320 ; 8-byte Folded Spill
	s_xor_b32 s31, s7, -1
	s_delay_alu instid0(SALU_CYCLE_1)
	s_and_saveexec_b32 s7, s31
	s_cbranch_execz .LBB121_54
; %bb.53:                               ;   in Loop: Header=BB121_32 Depth=1
	v_add_co_u32 v0, vcc_lo, v0, v4
	v_add_co_ci_u32_e32 v1, vcc_lo, v1, v5, vcc_lo
	flat_load_b64 v[6:7], v[0:1] offset:1536
.LBB121_54:                             ;   in Loop: Header=BB121_32 Depth=1
	s_or_b32 exec_lo, exec_lo, s7
	v_mov_b32_e32 v148, v134
	s_mov_b32 s31, 0
	s_mov_b32 s7, -1
	s_waitcnt vmcnt(0) lgkmcnt(0)
	s_clause 0x1
	scratch_store_b64 off, v[6:7], off offset:336
	scratch_store_b64 off, v[2:3], off offset:328
.LBB121_55:                             ;   Parent Loop BB121_32 Depth=1
                                        ; =>  This Inner Loop Header: Depth=2
	s_lshl_b32 s31, s31, 3
	v_mov_b32_e32 v78, v130
	s_waitcnt vmcnt(0)
	v_lshl_add_u32 v26, v215, 5, s31
	v_lshl_add_u32 v4, v214, 5, s31
	v_dual_mov_b32 v130, v219 :: v_dual_mov_b32 v219, v241
	v_mov_b32_e32 v241, v223
	ds_load_b128 v[44:47], v26
	ds_load_b128 v[0:3], v4 offset:16384
	ds_load_b128 v[149:152], v4 offset:16640
	;; [unrolled: 1-line block ×3, first 2 shown]
	v_dual_mov_b32 v223, v86 :: v_dual_mov_b32 v86, v227
	v_dual_mov_b32 v227, v128 :: v_dual_mov_b32 v128, v231
	v_mov_b32_e32 v231, v221
	v_dual_mov_b32 v221, v76 :: v_dual_mov_b32 v76, v77
	v_mov_b32_e32 v77, v235
	v_mov_b32_e32 v235, v225
	v_dual_mov_b32 v225, v80 :: v_dual_mov_b32 v80, v81
	v_mov_b32_e32 v81, v239
	v_dual_mov_b32 v239, v229 :: v_dual_mov_b32 v134, v124
	;; [unrolled: 2-line block ×3, first 2 shown]
	v_mov_b32_e32 v85, v255
	s_waitcnt lgkmcnt(1)
	v_add_f64 v[5:6], v[151:152], v[46:47]
	v_dual_mov_b32 v255, v132 :: v_dual_mov_b32 v132, v234
	v_dual_mov_b32 v234, v184 :: v_dual_mov_b32 v89, v87
	v_add_f64 v[62:63], v[2:3], v[46:47]
	v_add_f64 v[16:17], v[0:1], v[44:45]
	s_mov_b32 s31, 2
	s_and_not1_b32 vcc_lo, exec_lo, s7
	s_mov_b32 s7, 0
	scratch_store_b64 off, v[5:6], off offset:32 ; 8-byte Folded Spill
	v_add_f64 v[5:6], v[149:150], v[44:45]
	v_cvt_f32_f64_e32 v62, v[62:63]
	scratch_store_b64 off, v[5:6], off offset:88 ; 8-byte Folded Spill
	ds_load_b128 v[157:160], v4 offset:16896
	ds_load_b128 v[161:164], v4 offset:17152
	s_waitcnt lgkmcnt(1)
	v_add_f64 v[5:6], v[159:160], v[46:47]
	v_add_f64 v[38:39], v[157:158], v[44:45]
	scratch_store_b64 off, v[5:6], off offset:64 ; 8-byte Folded Spill
	s_waitcnt lgkmcnt(0)
	v_add_f64 v[5:6], v[163:164], v[46:47]
	v_cvt_f32_f64_e32 v38, v[38:39]
	scratch_store_b64 off, v[5:6], off offset:40 ; 8-byte Folded Spill
	v_add_f64 v[5:6], v[161:162], v[44:45]
	scratch_store_b64 off, v[5:6], off offset:96 ; 8-byte Folded Spill
	ds_load_b128 v[165:168], v4 offset:17408
	ds_load_b128 v[169:172], v4 offset:17664
	s_waitcnt lgkmcnt(1)
	v_add_f64 v[5:6], v[167:168], v[46:47]
	s_waitcnt lgkmcnt(0)
	v_add_f64 v[32:33], v[169:170], v[153:154]
	v_add_f64 v[36:37], v[165:166], v[44:45]
	scratch_store_b64 off, v[5:6], off offset:72 ; 8-byte Folded Spill
	v_add_f64 v[5:6], v[171:172], v[46:47]
	v_cvt_f32_f64_e32 v32, v[32:33]
	scratch_store_b64 off, v[5:6], off offset:48 ; 8-byte Folded Spill
	v_add_f64 v[5:6], v[169:170], v[44:45]
	scratch_store_b64 off, v[5:6], off offset:104 ; 8-byte Folded Spill
	ds_load_b128 v[173:176], v4 offset:17920
	ds_load_b128 v[177:180], v4 offset:18176
	;; [unrolled: 1-line block ×3, first 2 shown]
	s_waitcnt lgkmcnt(2)
	v_add_f64 v[4:5], v[175:176], v[46:47]
	s_waitcnt lgkmcnt(0)
	v_add_f64 v[112:113], v[2:3], v[183:184]
	v_add_f64 v[30:31], v[0:1], v[181:182]
	;; [unrolled: 1-line block ×16, first 2 shown]
	scratch_store_b64 off, v[4:5], off offset:80 ; 8-byte Folded Spill
	v_add_f64 v[4:5], v[173:174], v[44:45]
	v_cvt_f32_f64_e32 v30, v[30:31]
	v_cvt_f32_f64_e32 v31, v[112:113]
	;; [unrolled: 1-line block ×7, first 2 shown]
	scratch_store_b64 off, v[4:5], off offset:120 ; 8-byte Folded Spill
	v_add_f64 v[4:5], v[179:180], v[46:47]
	v_min3_f32 v222, v20, v21, v222
	v_cvt_f32_f64_e32 v20, v[72:73]
	v_cvt_f32_f64_e32 v21, v[193:194]
	scratch_store_b64 off, v[4:5], off offset:56 ; 8-byte Folded Spill
	v_add_f64 v[4:5], v[177:178], v[44:45]
	scratch_store_b64 off, v[4:5], off offset:112 ; 8-byte Folded Spill
	v_add_f64 v[4:5], v[2:3], v[155:156]
	;; [unrolled: 2-line block ×16, first 2 shown]
	ds_load_b128 v[153:156], v26 offset:2048
	s_waitcnt lgkmcnt(0)
	v_add_f64 v[92:93], v[2:3], v[155:156]
	v_add_f64 v[90:91], v[0:1], v[153:154]
	;; [unrolled: 1-line block ×10, first 2 shown]
	scratch_store_b64 off, v[4:5], off offset:240 ; 8-byte Folded Spill
	v_add_f64 v[4:5], v[167:168], v[155:156]
	scratch_store_b64 off, v[4:5], off offset:280 ; 8-byte Folded Spill
	v_add_f64 v[4:5], v[171:172], v[155:156]
	;; [unrolled: 2-line block ×6, first 2 shown]
	scratch_store_b64 off, v[4:5], off offset:272 ; 8-byte Folded Spill
	ds_load_b128 v[153:156], v26 offset:4096
	ds_load_b128 v[181:184], v26 offset:5120
	s_waitcnt lgkmcnt(1)
	v_add_f64 v[209:210], v[2:3], v[155:156]
	v_add_f64 v[211:212], v[0:1], v[153:154]
	v_add_f64 v[213:214], v[151:152], v[155:156]
	v_add_f64 v[215:216], v[149:150], v[153:154]
	v_add_f64 v[217:218], v[159:160], v[155:156]
	v_add_f64 v[40:41], v[157:158], v[153:154]
	v_add_f64 v[48:49], v[163:164], v[155:156]
	v_add_f64 v[44:45], v[161:162], v[153:154]
	v_add_f64 v[52:53], v[167:168], v[155:156]
	v_add_f64 v[46:47], v[165:166], v[153:154]
	v_add_f64 v[56:57], v[171:172], v[155:156]
	v_add_f64 v[50:51], v[169:170], v[153:154]
	v_add_f64 v[60:61], v[175:176], v[155:156]
	v_add_f64 v[54:55], v[173:174], v[153:154]
	v_add_f64 v[68:69], v[179:180], v[155:156]
	v_add_f64 v[58:59], v[177:178], v[153:154]
	s_waitcnt lgkmcnt(0)
	v_add_f64 v[42:43], v[2:3], v[183:184]
	v_add_f64 v[243:244], v[0:1], v[181:182]
	;; [unrolled: 1-line block ×16, first 2 shown]
	ds_load_b128 v[153:156], v26 offset:6144
	ds_load_b128 v[181:184], v26 offset:7168
	s_waitcnt lgkmcnt(1)
	v_add_f64 v[187:188], v[2:3], v[155:156]
	v_add_f64 v[116:117], v[151:152], v[155:156]
	;; [unrolled: 1-line block ×8, first 2 shown]
	s_waitcnt lgkmcnt(0)
	v_add_f64 v[2:3], v[2:3], v[183:184]
	v_add_f64 v[151:152], v[151:152], v[183:184]
	v_add_f64 v[159:160], v[159:160], v[183:184]
	v_add_f64 v[163:164], v[163:164], v[183:184]
	v_add_f64 v[167:168], v[167:168], v[183:184]
	v_add_f64 v[171:172], v[171:172], v[183:184]
	v_add_f64 v[175:176], v[175:176], v[183:184]
	v_add_f64 v[179:180], v[179:180], v[183:184]
	v_mov_b32_e32 v184, v234
	v_mov_b32_e32 v234, v132
	v_dual_mov_b32 v132, v255 :: v_dual_mov_b32 v255, v85
	v_dual_mov_b32 v85, v84 :: v_dual_mov_b32 v84, v195
	v_mov_b32_e32 v195, v229
	v_mov_b32_e32 v229, v239
	;; [unrolled: 1-line block ×3, first 2 shown]
	v_dual_mov_b32 v81, v80 :: v_dual_mov_b32 v80, v225
	v_mov_b32_e32 v225, v235
	v_mov_b32_e32 v235, v77
	v_dual_mov_b32 v77, v76 :: v_dual_mov_b32 v76, v221
	v_mov_b32_e32 v221, v231
	v_dual_mov_b32 v231, v128 :: v_dual_mov_b32 v128, v227
	v_dual_mov_b32 v227, v86 :: v_dual_mov_b32 v86, v223
	v_mov_b32_e32 v223, v241
	v_mov_b32_e32 v241, v219
	v_mov_b32_e32 v219, v130
	v_mov_b32_e32 v130, v78
	v_cvt_f32_f64_e32 v78, v[16:17]
	v_min3_f32 v235, v20, v21, v235
	v_cvt_f32_f64_e32 v20, v[199:200]
	v_cvt_f32_f64_e32 v6, v[6:7]
	;; [unrolled: 1-line block ×4, first 2 shown]
	v_add_f64 v[191:192], v[0:1], v[153:154]
	v_cvt_f32_f64_e32 v5, v[114:115]
	v_add_f64 v[137:138], v[149:150], v[153:154]
	v_add_f64 v[26:27], v[157:158], v[153:154]
	v_add_f64 v[64:65], v[161:162], v[153:154]
	v_add_f64 v[8:9], v[165:166], v[153:154]
	v_add_f64 v[0:1], v[0:1], v[181:182]
	v_add_f64 v[10:11], v[169:170], v[153:154]
	v_add_f64 v[149:150], v[149:150], v[181:182]
	v_add_f64 v[157:158], v[157:158], v[181:182]
	v_add_f64 v[161:162], v[161:162], v[181:182]
	v_add_f64 v[165:166], v[165:166], v[181:182]
	v_add_f64 v[169:170], v[169:170], v[181:182]
	v_add_f64 v[126:127], v[173:174], v[153:154]
	v_add_f64 v[173:174], v[173:174], v[181:182]
	v_add_f64 v[153:154], v[177:178], v[153:154]
	v_add_f64 v[177:178], v[177:178], v[181:182]
	v_min3_f32 v221, v30, v31, v221
	v_cvt_f32_f64_e32 v30, v[144:145]
	v_cvt_f32_f64_e32 v31, v[142:143]
	v_min3_f32 v76, v24, v25, v76
	v_min3_f32 v141, v78, v62, v141
	s_clause 0x1
	scratch_load_b32 v78, off, off offset:8
	scratch_load_b64 v[16:17], off, off offset:88
	v_min3_f32 v77, v20, v18, v77
	v_cvt_f32_f64_e32 v18, v[203:204]
	v_min3_f32 v85, v6, v7, v85
	v_cvt_f32_f64_e32 v6, v[22:23]
	v_cvt_f32_f64_e32 v7, v[34:35]
	;; [unrolled: 1-line block ×4, first 2 shown]
	v_min3_f32 v232, v30, v31, v232
	s_delay_alu instid0(VALU_DEP_4)
	v_min3_f32 v132, v6, v7, v132
	v_cvt_f32_f64_e32 v6, v[14:15]
	v_cvt_f32_f64_e32 v7, v[12:13]
	v_min3_f32 v135, v0, v1, v135
	v_cvt_f32_f64_e32 v0, v[149:150]
	v_cvt_f32_f64_e32 v1, v[151:152]
	s_delay_alu instid0(VALU_DEP_4)
	v_min3_f32 v234, v6, v7, v234
	v_cvt_f32_f64_e32 v6, v[189:190]
	scratch_load_b32 v7, off, off offset:12 ; 4-byte Folded Reload
	v_min3_f32 v122, v0, v1, v122
	v_cvt_f32_f64_e32 v0, v[157:158]
	v_cvt_f32_f64_e32 v1, v[159:160]
	v_min3_f32 v184, v6, v4, v184
	scratch_load_b32 v6, off, off offset:4  ; 4-byte Folded Reload
	v_cvt_f32_f64_e32 v4, v[185:186]
	v_min3_f32 v131, v0, v1, v131
	v_cvt_f32_f64_e32 v0, v[161:162]
	v_cvt_f32_f64_e32 v1, v[163:164]
	s_delay_alu instid0(VALU_DEP_4) | instskip(SKIP_2) | instid1(VALU_DEP_4)
	v_min3_f32 v148, v4, v5, v148
	v_cvt_f32_f64_e32 v4, v[191:192]
	v_cvt_f32_f64_e32 v5, v[187:188]
	v_min3_f32 v83, v0, v1, v83
	v_cvt_f32_f64_e32 v0, v[165:166]
	v_cvt_f32_f64_e32 v1, v[167:168]
	s_delay_alu instid0(VALU_DEP_1) | instskip(SKIP_2) | instid1(VALU_DEP_1)
	v_min3_f32 v129, v0, v1, v129
	v_cvt_f32_f64_e32 v0, v[169:170]
	v_cvt_f32_f64_e32 v1, v[171:172]
	v_min3_f32 v133, v0, v1, v133
	v_cvt_f32_f64_e32 v0, v[173:174]
	v_cvt_f32_f64_e32 v1, v[175:176]
	s_delay_alu instid0(VALU_DEP_1)
	v_min3_f32 v119, v0, v1, v119
	v_cvt_f32_f64_e32 v0, v[177:178]
	v_cvt_f32_f64_e32 v1, v[179:180]
	s_waitcnt vmcnt(2)
	v_cvt_f32_f64_e32 v62, v[16:17]
	scratch_load_b64 v[16:17], off, off offset:32 ; 8-byte Folded Reload
	s_waitcnt vmcnt(1)
	v_min3_f32 v6, v4, v5, v6
	v_cvt_f32_f64_e32 v4, v[137:138]
	v_cvt_f32_f64_e32 v5, v[116:117]
	scratch_store_b32 off, v6, off offset:4 ; 4-byte Folded Spill
	scratch_load_b32 v6, off, off           ; 4-byte Folded Reload
	v_min3_f32 v7, v0, v1, v7
	scratch_store_b32 off, v7, off offset:12 ; 4-byte Folded Spill
	v_min3_f32 v136, v4, v5, v136
	v_cvt_f32_f64_e32 v4, v[26:27]
	v_cvt_f32_f64_e32 v5, v[201:202]
	s_delay_alu instid0(VALU_DEP_1) | instskip(SKIP_2) | instid1(VALU_DEP_1)
	v_min3_f32 v237, v4, v5, v237
	v_cvt_f32_f64_e32 v4, v[64:65]
	v_cvt_f32_f64_e32 v5, v[28:29]
	v_min3_f32 v78, v4, v5, v78
	v_cvt_f32_f64_e32 v4, v[8:9]
	v_cvt_f32_f64_e32 v5, v[66:67]
	s_delay_alu instid0(VALU_DEP_1)
	v_min3_f32 v197, v4, v5, v197
	v_cvt_f32_f64_e32 v4, v[10:11]
	v_cvt_f32_f64_e32 v5, v[120:121]
	s_waitcnt vmcnt(1)
	v_cvt_f32_f64_e32 v63, v[16:17]
	scratch_load_b64 v[16:17], off, off offset:64 ; 8-byte Folded Reload
	v_min3_f32 v140, v62, v63, v140
	s_waitcnt vmcnt(1)
	v_min3_f32 v6, v4, v5, v6
	v_cvt_f32_f64_e32 v5, v[123:124]
	v_mov_b32_e32 v124, v134
	v_cvt_f32_f64_e32 v4, v[126:127]
	s_clause 0x1
	scratch_store_b32 off, v78, off offset:8
	scratch_store_b32 off, v6, off
	v_min3_f32 v125, v4, v5, v125
	v_cvt_f32_f64_e32 v4, v[153:154]
	v_cvt_f32_f64_e32 v5, v[155:156]
	s_delay_alu instid0(VALU_DEP_1)
	v_min3_f32 v124, v4, v5, v124
	s_waitcnt vmcnt(0)
	v_cvt_f32_f64_e32 v39, v[16:17]
	scratch_load_b64 v[16:17], off, off offset:96 ; 8-byte Folded Reload
	v_min3_f32 v139, v38, v39, v139
	s_waitcnt vmcnt(0)
	v_cvt_f32_f64_e32 v38, v[16:17]
	scratch_load_b64 v[16:17], off, off offset:40 ; 8-byte Folded Reload
	s_waitcnt vmcnt(0)
	v_cvt_f32_f64_e32 v39, v[16:17]
	scratch_load_b64 v[16:17], off, off offset:72 ; 8-byte Folded Reload
	v_min3_f32 v233, v38, v39, v233
	v_cvt_f32_f64_e32 v38, v[36:37]
	s_waitcnt vmcnt(0)
	v_cvt_f32_f64_e32 v39, v[16:17]
	scratch_load_b64 v[16:17], off, off offset:104 ; 8-byte Folded Reload
	v_min3_f32 v198, v38, v39, v198
	s_waitcnt vmcnt(0)
	v_cvt_f32_f64_e32 v38, v[16:17]
	scratch_load_b64 v[16:17], off, off offset:48 ; 8-byte Folded Reload
	s_waitcnt vmcnt(0)
	v_cvt_f32_f64_e32 v39, v[16:17]
	scratch_load_b64 v[16:17], off, off offset:120 ; 8-byte Folded Reload
	v_min3_f32 v238, v38, v39, v238
	s_waitcnt vmcnt(0)
	v_cvt_f32_f64_e32 v38, v[16:17]
	scratch_load_b64 v[16:17], off, off offset:80 ; 8-byte Folded Reload
	;; [unrolled: 7-line block ×9, first 2 shown]
	v_min3_f32 v241, v32, v33, v241
	s_waitcnt vmcnt(0)
	v_cvt_f32_f64_e32 v32, v[16:17]
	scratch_load_b64 v[16:17], off, off offset:216 ; 8-byte Folded Reload
	s_waitcnt vmcnt(0)
	v_cvt_f32_f64_e32 v33, v[16:17]
	scratch_load_b64 v[16:17], off, off offset:240 ; 8-byte Folded Reload
	v_min3_f32 v220, v32, v33, v220
	s_waitcnt vmcnt(0)
	v_cvt_f32_f64_e32 v32, v[16:17]
	scratch_load_b64 v[16:17], off, off offset:232 ; 8-byte Folded Reload
	s_waitcnt vmcnt(0)
	v_cvt_f32_f64_e32 v33, v[16:17]
	scratch_load_b64 v[16:17], off, off offset:280 ; 8-byte Folded Reload
	v_min3_f32 v223, v32, v33, v223
	v_cvt_f32_f64_e32 v32, v[90:91]
	v_cvt_f32_f64_e32 v33, v[92:93]
	s_delay_alu instid0(VALU_DEP_1) | instskip(SKIP_3) | instid1(VALU_DEP_2)
	v_min3_f32 v242, v32, v33, v242
	v_cvt_f32_f64_e32 v32, v[87:88]
	v_cvt_f32_f64_e32 v33, v[96:97]
	v_mov_b32_e32 v87, v89
	v_min3_f32 v86, v32, v33, v86
	v_cvt_f32_f64_e32 v32, v[94:95]
	v_cvt_f32_f64_e32 v33, v[100:101]
	s_delay_alu instid0(VALU_DEP_1) | instskip(SKIP_2) | instid1(VALU_DEP_1)
	v_min3_f32 v224, v32, v33, v224
	v_cvt_f32_f64_e32 v32, v[98:99]
	v_cvt_f32_f64_e32 v33, v[104:105]
	v_min3_f32 v227, v32, v33, v227
	v_cvt_f32_f64_e32 v32, v[102:103]
	s_waitcnt vmcnt(0)
	v_cvt_f32_f64_e32 v33, v[16:17]
	scratch_load_b64 v[16:17], off, off offset:264 ; 8-byte Folded Reload
	v_min3_f32 v87, v32, v33, v87
	v_cvt_f32_f64_e32 v32, v[106:107]
	s_waitcnt vmcnt(0)
	v_cvt_f32_f64_e32 v33, v[16:17]
	scratch_load_b64 v[16:17], off, off offset:288 ; 8-byte Folded Reload
	v_min3_f32 v128, v32, v33, v128
	s_waitcnt vmcnt(0)
	v_cvt_f32_f64_e32 v32, v[16:17]
	scratch_load_b64 v[16:17], off, off offset:256 ; 8-byte Folded Reload
	s_waitcnt vmcnt(0)
	v_cvt_f32_f64_e32 v33, v[16:17]
	scratch_load_b64 v[16:17], off, off offset:272 ; 8-byte Folded Reload
	v_min3_f32 v228, v32, v33, v228
	s_waitcnt vmcnt(0)
	v_cvt_f32_f64_e32 v32, v[16:17]
	scratch_load_b64 v[16:17], off, off offset:248 ; 8-byte Folded Reload
	s_waitcnt vmcnt(0)
	v_cvt_f32_f64_e32 v33, v[16:17]
	v_cvt_f32_f64_e32 v16, v[70:71]
	;; [unrolled: 1-line block ×3, first 2 shown]
	s_delay_alu instid0(VALU_DEP_3) | instskip(NEXT) | instid1(VALU_DEP_3)
	v_min3_f32 v231, v32, v33, v231
	v_min3_f32 v225, v18, v16, v225
	v_cvt_f32_f64_e32 v16, v[207:208]
	s_delay_alu instid0(VALU_DEP_1) | instskip(SKIP_2) | instid1(VALU_DEP_1)
	v_min3_f32 v236, v16, v17, v236
	v_cvt_f32_f64_e32 v16, v[211:212]
	v_cvt_f32_f64_e32 v17, v[209:210]
	v_min3_f32 v80, v16, v17, v80
	v_cvt_f32_f64_e32 v17, v[213:214]
	scratch_load_b32 v214, off, off offset:16 ; 4-byte Folded Reload
	v_cvt_f32_f64_e32 v16, v[215:216]
	scratch_load_b32 v215, off, off offset:24 ; 4-byte Folded Reload
	v_min3_f32 v226, v16, v17, v226
	v_cvt_f32_f64_e32 v16, v[40:41]
	v_cvt_f32_f64_e32 v17, v[217:218]
	s_delay_alu instid0(VALU_DEP_1) | instskip(SKIP_2) | instid1(VALU_DEP_1)
	v_min3_f32 v239, v16, v17, v239
	v_cvt_f32_f64_e32 v16, v[44:45]
	v_cvt_f32_f64_e32 v17, v[48:49]
	v_min3_f32 v81, v16, v17, v81
	v_cvt_f32_f64_e32 v16, v[46:47]
	v_cvt_f32_f64_e32 v17, v[52:53]
	s_delay_alu instid0(VALU_DEP_1) | instskip(SKIP_2) | instid1(VALU_DEP_1)
	v_min3_f32 v229, v16, v17, v229
	v_cvt_f32_f64_e32 v16, v[50:51]
	v_cvt_f32_f64_e32 v17, v[56:57]
	;; [unrolled: 7-line block ×4, first 2 shown]
	v_min3_f32 v196, v16, v17, v196
	v_cvt_f32_f64_e32 v16, v[251:252]
	v_cvt_f32_f64_e32 v17, v[249:250]
	s_delay_alu instid0(VALU_DEP_1)
	v_min3_f32 v255, v16, v17, v255
	s_cbranch_vccz .LBB121_55
; %bb.56:                               ;   in Loop: Header=BB121_32 Depth=1
	s_clause 0x1
	scratch_load_b32 v0, off, off offset:356
	scratch_load_b64 v[1:2], off, off offset:304
	v_mov_b32_e32 v134, v148
	s_add_i32 s25, s25, 8
	s_add_i32 s30, s30, 8
	s_cmp_ge_i32 s25, s24
	s_waitcnt vmcnt(0)
	ds_store_b64 v0, v[1:2]
	s_clause 0x2
	scratch_load_b32 v0, off, off offset:364
	scratch_load_b64 v[1:2], off, off offset:312
	scratch_load_b64 v[3:4], off, off offset:320
	s_waitcnt vmcnt(0)
	ds_store_2addr_stride64_b64 v0, v[1:2], v[3:4] offset1:4
	s_clause 0x1
	scratch_load_b64 v[1:2], off, off offset:328
	scratch_load_b64 v[3:4], off, off offset:336
	s_waitcnt vmcnt(0)
	ds_store_2addr_stride64_b64 v0, v[1:2], v[3:4] offset0:8 offset1:12
	s_waitcnt lgkmcnt(0)
	s_waitcnt_vscnt null, 0x0
	s_barrier
	buffer_gl0_inv
	s_cbranch_scc1 .LBB121_59
; %bb.57:                               ;   in Loop: Header=BB121_32 Depth=1
	scratch_load_b64 v[4:5], off, off offset:296 ; 8-byte Folded Reload
	v_dual_mov_b32 v78, v108 :: v_dual_mov_b32 v111, v110
	s_branch .LBB121_32
.LBB121_58:
	v_dual_mov_b32 v0, v86 :: v_dual_mov_b32 v63, v228
	v_mov_b32_e32 v86, v224
	v_dual_mov_b32 v36, v225 :: v_dual_mov_b32 v225, v236
	s_branch .LBB121_60
.LBB121_59:
	v_dual_mov_b32 v0, v86 :: v_dual_mov_b32 v63, v228
	v_dual_mov_b32 v86, v224 :: v_dual_mov_b32 v111, v110
	;; [unrolled: 1-line block ×3, first 2 shown]
	v_mov_b32_e32 v78, v108
.LBB121_60:
	v_mov_b32_e32 v110, v109
	v_mov_b32_e32 v28, v223
	v_dual_mov_b32 v62, v221 :: v_dual_mov_b32 v39, v222
	v_dual_mov_b32 v224, v80 :: v_dual_mov_b32 v223, v242
	v_mov_b32_e32 v236, v229
	v_mov_b32_e32 v228, v195
	;; [unrolled: 1-line block ×3, first 2 shown]
	v_dual_mov_b32 v84, v196 :: v_dual_mov_b32 v195, v230
	v_dual_mov_b32 v229, v240 :: v_dual_mov_b32 v80, v226
	v_mov_b32_e32 v230, v232
	v_mov_b32_e32 v222, v0
	;; [unrolled: 1-line block ×4, first 2 shown]
	s_mov_b32 s3, 0
	s_mov_b32 s2, -1
.LBB121_61:                             ; =>This Inner Loop Header: Depth=1
	s_lshl_b32 s3, s3, 3
	v_dual_mov_b32 v29, v119 :: v_dual_mov_b32 v254, v122
	v_lshl_add_u32 v8, v215, 5, s3
	v_lshl_add_u32 v9, v214, 5, s3
	v_mov_b32_e32 v122, v124
	v_mov_b32_e32 v232, v184
	ds_load_b128 v[32:35], v8 offset:8192
	ds_load_b128 v[4:7], v9 offset:18432
	;; [unrolled: 1-line block ×4, first 2 shown]
	v_mov_b32_e32 v196, v136
	s_mov_b32 s3, 2
	s_and_not1_b32 vcc_lo, exec_lo, s2
	s_mov_b32 s2, 0
	s_waitcnt lgkmcnt(2)
	v_add_f64 v[66:67], v[6:7], v[34:35]
	s_waitcnt lgkmcnt(1)
	v_add_f64 v[10:11], v[2:3], v[34:35]
	v_add_f64 v[26:27], v[4:5], v[32:33]
	scratch_store_b64 off, v[10:11], off offset:32 ; 8-byte Folded Spill
	v_add_f64 v[10:11], v[0:1], v[32:33]
	v_cvt_f32_f64_e32 v26, v[26:27]
	v_cvt_f32_f64_e32 v27, v[66:67]
	scratch_store_b64 off, v[10:11], off offset:88 ; 8-byte Folded Spill
	ds_load_b128 v[72:75], v9 offset:18944
	ds_load_b128 v[142:145], v9 offset:19200
	v_min3_f32 v141, v26, v27, v141
	s_waitcnt lgkmcnt(1)
	v_add_f64 v[10:11], v[74:75], v[34:35]
	scratch_store_b64 off, v[10:11], off offset:64 ; 8-byte Folded Spill
	v_add_f64 v[10:11], v[72:73], v[32:33]
	scratch_store_b64 off, v[10:11], off offset:120 ; 8-byte Folded Spill
	s_waitcnt lgkmcnt(0)
	v_add_f64 v[10:11], v[144:145], v[34:35]
	scratch_store_b64 off, v[10:11], off offset:40 ; 8-byte Folded Spill
	v_add_f64 v[10:11], v[142:143], v[32:33]
	scratch_store_b64 off, v[10:11], off offset:96 ; 8-byte Folded Spill
	ds_load_b128 v[146:149], v9 offset:19456
	ds_load_b128 v[150:153], v9 offset:19712
	s_waitcnt lgkmcnt(1)
	v_add_f64 v[10:11], v[148:149], v[34:35]
	scratch_store_b64 off, v[10:11], off offset:72 ; 8-byte Folded Spill
	v_add_f64 v[10:11], v[146:147], v[32:33]
	scratch_store_b64 off, v[10:11], off offset:128 ; 8-byte Folded Spill
	s_waitcnt lgkmcnt(0)
	v_add_f64 v[10:11], v[152:153], v[34:35]
	scratch_store_b64 off, v[10:11], off offset:48 ; 8-byte Folded Spill
	v_add_f64 v[10:11], v[150:151], v[32:33]
	scratch_store_b64 off, v[10:11], off offset:104 ; 8-byte Folded Spill
	ds_load_b128 v[154:157], v9 offset:19968
	ds_load_b128 v[158:161], v9 offset:20224
	s_waitcnt lgkmcnt(1)
	v_add_f64 v[9:10], v[156:157], v[34:35]
	scratch_store_b64 off, v[9:10], off offset:80 ; 8-byte Folded Spill
	v_add_f64 v[9:10], v[154:155], v[32:33]
	scratch_store_b64 off, v[9:10], off offset:136 ; 8-byte Folded Spill
	s_waitcnt lgkmcnt(0)
	v_add_f64 v[9:10], v[160:161], v[34:35]
	scratch_store_b64 off, v[9:10], off offset:56 ; 8-byte Folded Spill
	v_add_f64 v[9:10], v[158:159], v[32:33]
	scratch_store_b64 off, v[9:10], off offset:112 ; 8-byte Folded Spill
	;; [unrolled: 2-line block ×18, first 2 shown]
	ds_load_b128 v[68:71], v8 offset:10240
	ds_load_b128 v[162:165], v8 offset:11264
	s_waitcnt lgkmcnt(1)
	v_add_f64 v[9:10], v[148:149], v[70:71]
	v_add_f64 v[94:95], v[6:7], v[70:71]
	;; [unrolled: 1-line block ×12, first 2 shown]
	s_waitcnt lgkmcnt(0)
	v_add_f64 v[114:115], v[6:7], v[164:165]
	v_add_f64 v[116:117], v[4:5], v[162:163]
	;; [unrolled: 1-line block ×16, first 2 shown]
	scratch_store_b64 off, v[9:10], off offset:304 ; 8-byte Folded Spill
	v_add_f64 v[9:10], v[152:153], v[70:71]
	scratch_store_b64 off, v[9:10], off offset:288 ; 8-byte Folded Spill
	v_add_f64 v[9:10], v[156:157], v[70:71]
	;; [unrolled: 2-line block ×4, first 2 shown]
	scratch_store_b64 off, v[9:10], off offset:296 ; 8-byte Folded Spill
	ds_load_b128 v[68:71], v8 offset:12288
	ds_load_b128 v[162:165], v8 offset:13312
	s_waitcnt lgkmcnt(1)
	v_add_f64 v[184:185], v[6:7], v[70:71]
	v_add_f64 v[186:187], v[4:5], v[68:69]
	;; [unrolled: 1-line block ×16, first 2 shown]
	s_waitcnt lgkmcnt(0)
	v_add_f64 v[216:217], v[6:7], v[164:165]
	v_add_f64 v[240:241], v[4:5], v[162:163]
	;; [unrolled: 1-line block ×16, first 2 shown]
	ds_load_b128 v[68:71], v8 offset:14336
	ds_load_b128 v[162:165], v8 offset:15360
	s_waitcnt lgkmcnt(1)
	v_add_f64 v[248:249], v[6:7], v[70:71]
	v_add_f64 v[252:253], v[2:3], v[70:71]
	v_add_f64 v[8:9], v[0:1], v[68:69]
	s_waitcnt lgkmcnt(0)
	v_add_f64 v[14:15], v[6:7], v[164:165]
	v_add_f64 v[6:7], v[2:3], v[164:165]
	;; [unrolled: 1-line block ×3, first 2 shown]
	scratch_load_b64 v[0:1], off, off offset:88 ; 8-byte Folded Reload
	v_add_f64 v[250:251], v[4:5], v[68:69]
	v_add_f64 v[18:19], v[74:75], v[70:71]
	;; [unrolled: 1-line block ×26, first 2 shown]
	v_cvt_f32_f64_e32 v5, v[252:253]
	v_cvt_f32_f64_e32 v4, v[8:9]
	s_waitcnt vmcnt(0)
	v_cvt_f32_f64_e32 v26, v[0:1]
	scratch_load_b64 v[0:1], off, off offset:32 ; 8-byte Folded Reload
	s_waitcnt vmcnt(0)
	v_cvt_f32_f64_e32 v27, v[0:1]
	scratch_load_b64 v[0:1], off, off offset:120 ; 8-byte Folded Reload
	v_min3_f32 v140, v26, v27, v140
	s_waitcnt vmcnt(0)
	v_cvt_f32_f64_e32 v26, v[0:1]
	scratch_load_b64 v[0:1], off, off offset:64 ; 8-byte Folded Reload
	s_waitcnt vmcnt(0)
	v_cvt_f32_f64_e32 v27, v[0:1]
	scratch_load_b64 v[0:1], off, off offset:96 ; 8-byte Folded Reload
	v_min3_f32 v139, v26, v27, v139
	;; [unrolled: 7-line block ×15, first 2 shown]
	v_cvt_f32_f64_e32 v26, v[90:91]
	v_cvt_f32_f64_e32 v27, v[94:95]
	s_delay_alu instid0(VALU_DEP_1) | instskip(SKIP_2) | instid1(VALU_DEP_1)
	v_min3_f32 v223, v26, v27, v223
	v_cvt_f32_f64_e32 v26, v[92:93]
	v_cvt_f32_f64_e32 v27, v[98:99]
	v_min3_f32 v222, v26, v27, v222
	v_cvt_f32_f64_e32 v26, v[96:97]
	v_cvt_f32_f64_e32 v27, v[102:103]
	s_delay_alu instid0(VALU_DEP_1) | instskip(SKIP_2) | instid1(VALU_DEP_1)
	v_min3_f32 v86, v26, v27, v86
	v_cvt_f32_f64_e32 v26, v[100:101]
	v_cvt_f32_f64_e32 v27, v[106:107]
	v_min3_f32 v227, v26, v27, v227
	v_cvt_f32_f64_e32 v26, v[104:105]
	s_waitcnt vmcnt(0)
	v_cvt_f32_f64_e32 v27, v[0:1]
	scratch_load_b64 v[0:1], off, off offset:288 ; 8-byte Folded Reload
	v_min3_f32 v87, v26, v27, v87
	v_cvt_f32_f64_e32 v26, v[108:109]
	s_waitcnt vmcnt(0)
	v_cvt_f32_f64_e32 v27, v[0:1]
	scratch_load_b64 v[0:1], off, off offset:280 ; 8-byte Folded Reload
	;; [unrolled: 5-line block ×3, first 2 shown]
	v_min3_f32 v63, v26, v27, v63
	s_waitcnt vmcnt(0)
	v_cvt_f32_f64_e32 v26, v[0:1]
	scratch_load_b64 v[0:1], off, off offset:272 ; 8-byte Folded Reload
	s_waitcnt vmcnt(0)
	v_cvt_f32_f64_e32 v27, v[0:1]
	s_delay_alu instid0(VALU_DEP_1) | instskip(SKIP_2) | instid1(VALU_DEP_1)
	v_min3_f32 v231, v26, v27, v231
	v_cvt_f32_f64_e32 v26, v[116:117]
	v_cvt_f32_f64_e32 v27, v[114:115]
	v_min3_f32 v62, v26, v27, v62
	v_cvt_f32_f64_e32 v26, v[120:121]
	v_cvt_f32_f64_e32 v27, v[118:119]
	v_mov_b32_e32 v119, v29
	s_delay_alu instid0(VALU_DEP_2) | instskip(SKIP_4) | instid1(VALU_DEP_3)
	v_min3_f32 v230, v26, v27, v230
	v_cvt_f32_f64_e32 v26, v[123:124]
	v_cvt_f32_f64_e32 v27, v[88:89]
	v_mov_b32_e32 v124, v122
	v_mov_b32_e32 v122, v254
	v_min3_f32 v76, v26, v27, v76
	v_cvt_f32_f64_e32 v26, v[166:167]
	v_cvt_f32_f64_e32 v27, v[126:127]
	s_delay_alu instid0(VALU_DEP_1) | instskip(SKIP_2) | instid1(VALU_DEP_1)
	v_min3_f32 v39, v26, v27, v39
	v_cvt_f32_f64_e32 v26, v[170:171]
	v_cvt_f32_f64_e32 v27, v[168:169]
	v_min3_f32 v235, v26, v27, v235
	v_cvt_f32_f64_e32 v26, v[174:175]
	v_cvt_f32_f64_e32 v27, v[172:173]
	s_delay_alu instid0(VALU_DEP_1) | instskip(SKIP_2) | instid1(VALU_DEP_1)
	v_min3_f32 v77, v26, v27, v77
	v_cvt_f32_f64_e32 v26, v[178:179]
	v_cvt_f32_f64_e32 v27, v[176:177]
	v_min3_f32 v36, v26, v27, v36
	v_cvt_f32_f64_e32 v26, v[182:183]
	v_cvt_f32_f64_e32 v27, v[180:181]
	s_delay_alu instid0(VALU_DEP_1) | instskip(SKIP_3) | instid1(VALU_DEP_2)
	v_min3_f32 v225, v26, v27, v225
	v_cvt_f32_f64_e32 v26, v[186:187]
	v_cvt_f32_f64_e32 v27, v[184:185]
	v_mov_b32_e32 v184, v232
	v_min3_f32 v224, v26, v27, v224
	v_cvt_f32_f64_e32 v26, v[190:191]
	v_cvt_f32_f64_e32 v27, v[188:189]
	s_delay_alu instid0(VALU_DEP_1) | instskip(SKIP_2) | instid1(VALU_DEP_1)
	v_min3_f32 v80, v26, v27, v80
	v_cvt_f32_f64_e32 v26, v[58:59]
	v_cvt_f32_f64_e32 v27, v[192:193]
	v_min3_f32 v239, v26, v27, v239
	v_cvt_f32_f64_e32 v26, v[60:61]
	v_cvt_f32_f64_e32 v27, v[64:65]
	s_delay_alu instid0(VALU_DEP_1) | instskip(SKIP_2) | instid1(VALU_DEP_1)
	v_min3_f32 v81, v26, v27, v81
	v_cvt_f32_f64_e32 v26, v[202:203]
	v_cvt_f32_f64_e32 v27, v[200:201]
	v_min3_f32 v236, v26, v27, v236
	v_cvt_f32_f64_e32 v26, v[206:207]
	v_cvt_f32_f64_e32 v27, v[204:205]
	s_delay_alu instid0(VALU_DEP_1) | instskip(SKIP_2) | instid1(VALU_DEP_1)
	v_min3_f32 v229, v26, v27, v229
	v_cvt_f32_f64_e32 v26, v[210:211]
	v_cvt_f32_f64_e32 v27, v[208:209]
	v_min3_f32 v228, v26, v27, v228
	v_cvt_f32_f64_e32 v26, v[214:215]
	v_cvt_f32_f64_e32 v27, v[212:213]
	s_clause 0x3
	scratch_load_b32 v215, off, off offset:24
	scratch_load_b32 v214, off, off offset:16
	;; [unrolled: 1-line block ×3, first 2 shown]
	scratch_load_b32 v0, off, off
	v_min3_f32 v195, v26, v27, v195
	v_cvt_f32_f64_e32 v26, v[240:241]
	v_cvt_f32_f64_e32 v27, v[216:217]
	s_delay_alu instid0(VALU_DEP_1) | instskip(SKIP_2) | instid1(VALU_DEP_1)
	v_min3_f32 v194, v26, v27, v194
	v_cvt_f32_f64_e32 v26, v[52:53]
	v_cvt_f32_f64_e32 v27, v[56:57]
	v_min3_f32 v84, v26, v27, v84
	v_cvt_f32_f64_e32 v26, v[48:49]
	v_cvt_f32_f64_e32 v27, v[54:55]
	s_delay_alu instid0(VALU_DEP_1) | instskip(SKIP_2) | instid1(VALU_DEP_1)
	v_min3_f32 v255, v26, v27, v255
	v_cvt_f32_f64_e32 v26, v[220:221]
	v_cvt_f32_f64_e32 v27, v[50:51]
	v_min3_f32 v85, v26, v27, v85
	v_cvt_f32_f64_e32 v26, v[44:45]
	v_cvt_f32_f64_e32 v27, v[46:47]
	s_delay_alu instid0(VALU_DEP_1) | instskip(SKIP_3) | instid1(VALU_DEP_1)
	v_min3_f32 v132, v26, v27, v132
	v_cvt_f32_f64_e32 v26, v[136:137]
	v_cvt_f32_f64_e32 v27, v[42:43]
	v_mov_b32_e32 v136, v196
	v_min3_f32 v136, v4, v5, v136
	v_cvt_f32_f64_e32 v4, v[10:11]
	v_cvt_f32_f64_e32 v5, v[18:19]
	v_min3_f32 v234, v26, v27, v234
	v_cvt_f32_f64_e32 v26, v[242:243]
	v_cvt_f32_f64_e32 v27, v[40:41]
	s_delay_alu instid0(VALU_DEP_4) | instskip(SKIP_2) | instid1(VALU_DEP_4)
	v_min3_f32 v237, v4, v5, v237
	v_cvt_f32_f64_e32 v4, v[12:13]
	v_cvt_f32_f64_e32 v5, v[22:23]
	v_min3_f32 v184, v26, v27, v184
	v_cvt_f32_f64_e32 v26, v[246:247]
	v_cvt_f32_f64_e32 v27, v[244:245]
	s_delay_alu instid0(VALU_DEP_1) | instskip(SKIP_3) | instid1(VALU_DEP_1)
	v_min3_f32 v134, v26, v27, v134
	v_cvt_f32_f64_e32 v26, v[250:251]
	v_cvt_f32_f64_e32 v27, v[248:249]
	s_waitcnt vmcnt(1)
	v_min3_f32 v1, v26, v27, v1
	scratch_store_b32 off, v1, off offset:4 ; 4-byte Folded Spill
	scratch_load_b32 v1, off, off offset:8  ; 4-byte Folded Reload
	s_waitcnt vmcnt(0)
	v_min3_f32 v1, v4, v5, v1
	v_cvt_f32_f64_e32 v4, v[16:17]
	v_cvt_f32_f64_e32 v5, v[24:25]
	s_delay_alu instid0(VALU_DEP_1) | instskip(SKIP_2) | instid1(VALU_DEP_1)
	v_min3_f32 v197, v4, v5, v197
	v_cvt_f32_f64_e32 v4, v[20:21]
	v_cvt_f32_f64_e32 v5, v[30:31]
	v_min3_f32 v0, v4, v5, v0
	scratch_store_b32 off, v1, off offset:8 ; 4-byte Folded Spill
	v_cvt_f32_f64_e32 v1, v[14:15]
	v_cvt_f32_f64_e32 v4, v[32:33]
	;; [unrolled: 1-line block ×3, first 2 shown]
	scratch_store_b32 off, v0, off          ; 4-byte Folded Spill
	v_cvt_f32_f64_e32 v0, v[34:35]
	v_min3_f32 v125, v4, v5, v125
	v_cvt_f32_f64_e32 v4, v[68:69]
	s_delay_alu instid0(VALU_DEP_3) | instskip(SKIP_4) | instid1(VALU_DEP_2)
	v_min3_f32 v135, v0, v1, v135
	v_cvt_f32_f64_e32 v0, v[2:3]
	scratch_load_b32 v2, off, off offset:12 ; 4-byte Folded Reload
	v_cvt_f32_f64_e32 v1, v[6:7]
	v_cvt_f32_f64_e32 v5, v[70:71]
	v_min3_f32 v122, v0, v1, v122
	v_cvt_f32_f64_e32 v0, v[72:73]
	v_cvt_f32_f64_e32 v1, v[74:75]
	s_delay_alu instid0(VALU_DEP_4) | instskip(NEXT) | instid1(VALU_DEP_2)
	v_min3_f32 v124, v4, v5, v124
	v_min3_f32 v131, v0, v1, v131
	v_cvt_f32_f64_e32 v0, v[142:143]
	v_cvt_f32_f64_e32 v1, v[144:145]
	s_delay_alu instid0(VALU_DEP_1) | instskip(SKIP_2) | instid1(VALU_DEP_1)
	v_min3_f32 v83, v0, v1, v83
	v_cvt_f32_f64_e32 v0, v[146:147]
	v_cvt_f32_f64_e32 v1, v[148:149]
	v_min3_f32 v129, v0, v1, v129
	v_cvt_f32_f64_e32 v0, v[150:151]
	v_cvt_f32_f64_e32 v1, v[152:153]
	s_delay_alu instid0(VALU_DEP_1) | instskip(SKIP_2) | instid1(VALU_DEP_1)
	v_min3_f32 v133, v0, v1, v133
	v_cvt_f32_f64_e32 v0, v[154:155]
	v_cvt_f32_f64_e32 v1, v[156:157]
	v_min3_f32 v119, v0, v1, v119
	v_cvt_f32_f64_e32 v0, v[158:159]
	v_cvt_f32_f64_e32 v1, v[160:161]
	s_waitcnt vmcnt(0)
	s_delay_alu instid0(VALU_DEP_1)
	v_min3_f32 v2, v0, v1, v2
	scratch_store_b32 off, v2, off offset:12 ; 4-byte Folded Spill
	s_cbranch_vccz .LBB121_61
; %bb.62:
	s_clause 0x2
	s_load_b32 s18, s[0:1], 0x58
	s_load_b32 s9, s[0:1], 0x70
	s_load_b64 s[2:3], s[0:1], 0x78
	v_dual_mov_b32 v40, v28 :: v_dual_add_nc_u32 v19, s19, v215
	v_add_nc_u32_e32 v0, s14, v214
	v_cndmask_b32_e64 v18, 0, 1, s15
	s_delay_alu instid0(VALU_DEP_3) | instskip(NEXT) | instid1(VALU_DEP_3)
	v_cmp_gt_i32_e64 s8, s17, v19
	v_cmp_gt_i32_e64 s0, s16, v0
	v_ashrrev_i32_e32 v1, 31, v0
	s_waitcnt lgkmcnt(0)
	v_mad_i64_i32 v[2:3], null, v19, s18, 0
	v_mad_i64_i32 v[4:5], null, v19, s9, 0
	s_lshl_b64 s[2:3], s[2:3], 3
	s_delay_alu instid0(SALU_CYCLE_1) | instskip(SKIP_1) | instid1(VALU_DEP_2)
	s_add_u32 s14, s20, s2
	s_addc_u32 s19, s21, s3
	v_lshlrev_b64 v[2:3], 3, v[2:3]
	s_and_b32 s2, s0, s8
	s_delay_alu instid0(VALU_DEP_2) | instskip(NEXT) | instid1(VALU_DEP_2)
	v_lshlrev_b64 v[4:5], 3, v[4:5]
	v_add_co_u32 v16, vcc_lo, s12, v2
	s_delay_alu instid0(VALU_DEP_3) | instskip(NEXT) | instid1(VALU_DEP_3)
	v_add_co_ci_u32_e32 v17, vcc_lo, s13, v3, vcc_lo
	v_add_co_u32 v20, vcc_lo, s14, v4
	s_delay_alu instid0(VALU_DEP_4)
	v_add_co_ci_u32_e32 v21, vcc_lo, s19, v5, vcc_lo
	s_mov_b32 s1, exec_lo
	v_dual_mov_b32 v27, v84 :: v_dual_mov_b32 v28, v194
	v_dual_mov_b32 v29, v195 :: v_dual_mov_b32 v30, v228
	;; [unrolled: 1-line block ×5, first 2 shown]
	v_mov_b32_e32 v37, v39
	s_and_b32 s2, s1, s2
	s_delay_alu instid0(SALU_CYCLE_1)
	s_mov_b32 exec_lo, s2
	s_cbranch_execz .LBB121_67
; %bb.63:
	s_and_not1_b32 vcc_lo, exec_lo, s15
	s_cbranch_vccnz .LBB121_65
; %bb.64:
	v_lshlrev_b64 v[2:3], 3, v[0:1]
	s_delay_alu instid0(VALU_DEP_1) | instskip(NEXT) | instid1(VALU_DEP_2)
	v_add_co_u32 v2, vcc_lo, v16, v2
	v_add_co_ci_u32_e32 v3, vcc_lo, v17, v3, vcc_lo
	flat_load_b64 v[2:3], v[2:3]
	s_waitcnt vmcnt(0) lgkmcnt(0)
	v_mul_f64 v[2:3], v[2:3], s[10:11]
	s_branch .LBB121_66
.LBB121_65:
	v_mov_b32_e32 v2, 0
	v_mov_b32_e32 v3, 0
.LBB121_66:
	s_delay_alu instid0(VALU_DEP_1) | instskip(SKIP_2) | instid1(VALU_DEP_1)
	v_cvt_f32_f64_e32 v2, v[2:3]
	v_max_f32_e32 v3, v141, v141
	v_lshlrev_b64 v[4:5], 3, v[0:1]
	v_add_co_u32 v4, vcc_lo, v20, v4
	s_delay_alu instid0(VALU_DEP_2) | instskip(NEXT) | instid1(VALU_DEP_4)
	v_add_co_ci_u32_e32 v5, vcc_lo, v21, v5, vcc_lo
	v_min_f32_e32 v2, v2, v3
	s_delay_alu instid0(VALU_DEP_1)
	v_cvt_f64_f32_e32 v[2:3], v2
	global_store_b64 v[4:5], v[2:3], off
.LBB121_67:
	s_or_b32 exec_lo, exec_lo, s1
	v_add_nc_u32_e32 v2, 8, v0
	s_delay_alu instid0(VALU_DEP_1) | instskip(SKIP_1) | instid1(VALU_DEP_2)
	v_cmp_gt_i32_e64 s1, s16, v2
	v_ashrrev_i32_e32 v3, 31, v2
	s_and_b32 s3, s1, s8
	s_delay_alu instid0(SALU_CYCLE_1)
	s_and_saveexec_b32 s2, s3
	s_cbranch_execz .LBB121_72
; %bb.68:
	v_cmp_ne_u32_e32 vcc_lo, 1, v18
	s_cbranch_vccnz .LBB121_70
; %bb.69:
	v_lshlrev_b64 v[4:5], 3, v[2:3]
	s_delay_alu instid0(VALU_DEP_1) | instskip(NEXT) | instid1(VALU_DEP_2)
	v_add_co_u32 v4, vcc_lo, v16, v4
	v_add_co_ci_u32_e32 v5, vcc_lo, v17, v5, vcc_lo
	flat_load_b64 v[4:5], v[4:5]
	s_waitcnt vmcnt(0) lgkmcnt(0)
	v_mul_f64 v[4:5], v[4:5], s[10:11]
	s_branch .LBB121_71
.LBB121_70:
	v_mov_b32_e32 v4, 0
	v_mov_b32_e32 v5, 0
.LBB121_71:
	s_delay_alu instid0(VALU_DEP_1) | instskip(SKIP_2) | instid1(VALU_DEP_1)
	v_cvt_f32_f64_e32 v4, v[4:5]
	v_max_f32_e32 v5, v140, v140
	v_lshlrev_b64 v[6:7], 3, v[2:3]
	v_add_co_u32 v6, vcc_lo, v20, v6
	s_delay_alu instid0(VALU_DEP_2) | instskip(NEXT) | instid1(VALU_DEP_4)
	v_add_co_ci_u32_e32 v7, vcc_lo, v21, v7, vcc_lo
	v_min_f32_e32 v4, v4, v5
	s_delay_alu instid0(VALU_DEP_1)
	v_cvt_f64_f32_e32 v[4:5], v4
	global_store_b64 v[6:7], v[4:5], off
.LBB121_72:
	s_or_b32 exec_lo, exec_lo, s2
	v_add_nc_u32_e32 v4, 16, v0
	s_delay_alu instid0(VALU_DEP_1) | instskip(SKIP_1) | instid1(VALU_DEP_2)
	v_cmp_gt_i32_e64 s2, s16, v4
	v_ashrrev_i32_e32 v5, 31, v4
	s_and_b32 s4, s2, s8
	s_delay_alu instid0(SALU_CYCLE_1)
	s_and_saveexec_b32 s3, s4
	s_cbranch_execz .LBB121_77
; %bb.73:
	v_cmp_ne_u32_e32 vcc_lo, 1, v18
	s_cbranch_vccnz .LBB121_75
; %bb.74:
	v_lshlrev_b64 v[6:7], 3, v[4:5]
	s_delay_alu instid0(VALU_DEP_1) | instskip(NEXT) | instid1(VALU_DEP_2)
	v_add_co_u32 v6, vcc_lo, v16, v6
	v_add_co_ci_u32_e32 v7, vcc_lo, v17, v7, vcc_lo
	flat_load_b64 v[6:7], v[6:7]
	s_waitcnt vmcnt(0) lgkmcnt(0)
	v_mul_f64 v[6:7], v[6:7], s[10:11]
	s_branch .LBB121_76
.LBB121_75:
	v_mov_b32_e32 v6, 0
	v_mov_b32_e32 v7, 0
.LBB121_76:
	s_delay_alu instid0(VALU_DEP_1) | instskip(SKIP_2) | instid1(VALU_DEP_1)
	v_cvt_f32_f64_e32 v6, v[6:7]
	v_max_f32_e32 v7, v139, v139
	v_lshlrev_b64 v[8:9], 3, v[4:5]
	v_add_co_u32 v8, vcc_lo, v20, v8
	s_delay_alu instid0(VALU_DEP_2) | instskip(NEXT) | instid1(VALU_DEP_4)
	v_add_co_ci_u32_e32 v9, vcc_lo, v21, v9, vcc_lo
	v_min_f32_e32 v6, v6, v7
	s_delay_alu instid0(VALU_DEP_1)
	v_cvt_f64_f32_e32 v[6:7], v6
	global_store_b64 v[8:9], v[6:7], off
.LBB121_77:
	;; [unrolled: 37-line block ×7, first 2 shown]
	s_or_b32 exec_lo, exec_lo, s8
	v_add_nc_u32_e32 v22, 32, v19
	s_delay_alu instid0(VALU_DEP_1) | instskip(SKIP_2) | instid1(VALU_DEP_3)
	v_mad_i64_i32 v[16:17], null, v22, s18, 0
	v_mad_i64_i32 v[20:21], null, v22, s9, 0
	v_cmp_gt_i32_e64 s8, s17, v22
	v_lshlrev_b64 v[16:17], 3, v[16:17]
	s_delay_alu instid0(VALU_DEP_2) | instskip(NEXT) | instid1(VALU_DEP_3)
	s_and_b32 s16, s0, s8
	v_lshlrev_b64 v[20:21], 3, v[20:21]
	s_delay_alu instid0(VALU_DEP_2) | instskip(NEXT) | instid1(VALU_DEP_3)
	v_add_co_u32 v24, vcc_lo, s12, v16
	v_add_co_ci_u32_e32 v23, vcc_lo, s13, v17, vcc_lo
	s_delay_alu instid0(VALU_DEP_3) | instskip(NEXT) | instid1(VALU_DEP_4)
	v_add_co_u32 v20, vcc_lo, s14, v20
	v_add_co_ci_u32_e32 v21, vcc_lo, s19, v21, vcc_lo
	s_and_saveexec_b32 s15, s16
	s_cbranch_execnz .LBB121_110
; %bb.103:
	s_or_b32 exec_lo, exec_lo, s15
	s_and_b32 s16, s1, s8
	s_delay_alu instid0(SALU_CYCLE_1)
	s_and_saveexec_b32 s15, s16
	s_cbranch_execnz .LBB121_114
.LBB121_104:
	s_or_b32 exec_lo, exec_lo, s15
	s_and_b32 s16, s2, s8
	s_delay_alu instid0(SALU_CYCLE_1)
	s_and_saveexec_b32 s15, s16
	s_cbranch_execnz .LBB121_118
.LBB121_105:
	s_or_b32 exec_lo, exec_lo, s15
	s_and_b32 s16, s3, s8
	s_delay_alu instid0(SALU_CYCLE_1)
	s_and_saveexec_b32 s15, s16
	s_cbranch_execnz .LBB121_122
.LBB121_106:
	s_or_b32 exec_lo, exec_lo, s15
	s_and_b32 s16, s4, s8
	s_delay_alu instid0(SALU_CYCLE_1)
	s_and_saveexec_b32 s15, s16
	s_cbranch_execnz .LBB121_126
.LBB121_107:
	s_or_b32 exec_lo, exec_lo, s15
	s_and_b32 s16, s5, s8
	s_delay_alu instid0(SALU_CYCLE_1)
	s_and_saveexec_b32 s15, s16
	s_cbranch_execnz .LBB121_130
.LBB121_108:
	s_or_b32 exec_lo, exec_lo, s15
	s_and_b32 s16, s6, s8
	s_delay_alu instid0(SALU_CYCLE_1)
	s_and_saveexec_b32 s15, s16
	s_cbranch_execnz .LBB121_134
.LBB121_109:
	s_or_b32 exec_lo, exec_lo, s15
	s_and_b32 s15, s7, s8
	s_delay_alu instid0(SALU_CYCLE_1)
	s_and_saveexec_b32 s8, s15
	s_cbranch_execnz .LBB121_138
	s_branch .LBB121_142
.LBB121_110:
	v_cmp_ne_u32_e32 vcc_lo, 1, v18
	s_cbranch_vccnz .LBB121_112
; %bb.111:
	v_lshlrev_b64 v[16:17], 3, v[0:1]
	s_delay_alu instid0(VALU_DEP_1) | instskip(NEXT) | instid1(VALU_DEP_2)
	v_add_co_u32 v16, vcc_lo, v24, v16
	v_add_co_ci_u32_e32 v17, vcc_lo, v23, v17, vcc_lo
	flat_load_b64 v[16:17], v[16:17]
	s_waitcnt vmcnt(0) lgkmcnt(0)
	v_mul_f64 v[16:17], v[16:17], s[10:11]
	s_branch .LBB121_113
.LBB121_112:
	v_mov_b32_e32 v16, 0
	v_mov_b32_e32 v17, 0
.LBB121_113:
	s_delay_alu instid0(VALU_DEP_1) | instskip(SKIP_2) | instid1(VALU_DEP_1)
	v_cvt_f32_f64_e32 v16, v[16:17]
	v_max_f32_e32 v17, v111, v111
	v_lshlrev_b64 v[25:26], 3, v[0:1]
	v_add_co_u32 v25, vcc_lo, v20, v25
	s_delay_alu instid0(VALU_DEP_2) | instskip(NEXT) | instid1(VALU_DEP_4)
	v_add_co_ci_u32_e32 v26, vcc_lo, v21, v26, vcc_lo
	v_min_f32_e32 v16, v16, v17
	s_delay_alu instid0(VALU_DEP_1) | instskip(SKIP_3) | instid1(SALU_CYCLE_1)
	v_cvt_f64_f32_e32 v[16:17], v16
	global_store_b64 v[25:26], v[16:17], off
	s_or_b32 exec_lo, exec_lo, s15
	s_and_b32 s16, s1, s8
	s_and_saveexec_b32 s15, s16
	s_cbranch_execz .LBB121_104
.LBB121_114:
	v_cmp_ne_u32_e32 vcc_lo, 1, v18
	s_cbranch_vccnz .LBB121_116
; %bb.115:
	v_lshlrev_b64 v[16:17], 3, v[2:3]
	s_delay_alu instid0(VALU_DEP_1) | instskip(NEXT) | instid1(VALU_DEP_2)
	v_add_co_u32 v16, vcc_lo, v24, v16
	v_add_co_ci_u32_e32 v17, vcc_lo, v23, v17, vcc_lo
	flat_load_b64 v[16:17], v[16:17]
	s_waitcnt vmcnt(0) lgkmcnt(0)
	v_mul_f64 v[16:17], v[16:17], s[10:11]
	s_branch .LBB121_117
.LBB121_116:
	v_mov_b32_e32 v16, 0
	v_mov_b32_e32 v17, 0
.LBB121_117:
	s_delay_alu instid0(VALU_DEP_1) | instskip(SKIP_2) | instid1(VALU_DEP_1)
	v_cvt_f32_f64_e32 v16, v[16:17]
	v_max_f32_e32 v17, v110, v110
	v_lshlrev_b64 v[25:26], 3, v[2:3]
	v_add_co_u32 v25, vcc_lo, v20, v25
	s_delay_alu instid0(VALU_DEP_2) | instskip(NEXT) | instid1(VALU_DEP_4)
	v_add_co_ci_u32_e32 v26, vcc_lo, v21, v26, vcc_lo
	v_min_f32_e32 v16, v16, v17
	s_delay_alu instid0(VALU_DEP_1) | instskip(SKIP_3) | instid1(SALU_CYCLE_1)
	v_cvt_f64_f32_e32 v[16:17], v16
	global_store_b64 v[25:26], v[16:17], off
	s_or_b32 exec_lo, exec_lo, s15
	s_and_b32 s16, s2, s8
	s_and_saveexec_b32 s15, s16
	s_cbranch_execz .LBB121_105
.LBB121_118:
	v_cmp_ne_u32_e32 vcc_lo, 1, v18
	s_cbranch_vccnz .LBB121_120
; %bb.119:
	v_lshlrev_b64 v[16:17], 3, v[4:5]
	s_delay_alu instid0(VALU_DEP_1) | instskip(NEXT) | instid1(VALU_DEP_2)
	v_add_co_u32 v16, vcc_lo, v24, v16
	v_add_co_ci_u32_e32 v17, vcc_lo, v23, v17, vcc_lo
	flat_load_b64 v[16:17], v[16:17]
	s_waitcnt vmcnt(0) lgkmcnt(0)
	v_mul_f64 v[16:17], v[16:17], s[10:11]
	s_branch .LBB121_121
.LBB121_120:
	v_mov_b32_e32 v16, 0
	v_mov_b32_e32 v17, 0
.LBB121_121:
	s_delay_alu instid0(VALU_DEP_1) | instskip(SKIP_2) | instid1(VALU_DEP_1)
	v_cvt_f32_f64_e32 v16, v[16:17]
	v_max_f32_e32 v17, v78, v78
	v_lshlrev_b64 v[25:26], 3, v[4:5]
	v_add_co_u32 v25, vcc_lo, v20, v25
	s_delay_alu instid0(VALU_DEP_2) | instskip(NEXT) | instid1(VALU_DEP_4)
	v_add_co_ci_u32_e32 v26, vcc_lo, v21, v26, vcc_lo
	v_min_f32_e32 v16, v16, v17
	s_delay_alu instid0(VALU_DEP_1) | instskip(SKIP_3) | instid1(SALU_CYCLE_1)
	v_cvt_f64_f32_e32 v[16:17], v16
	global_store_b64 v[25:26], v[16:17], off
	s_or_b32 exec_lo, exec_lo, s15
	s_and_b32 s16, s3, s8
	s_and_saveexec_b32 s15, s16
	s_cbranch_execz .LBB121_106
.LBB121_122:
	v_cmp_ne_u32_e32 vcc_lo, 1, v18
	s_cbranch_vccnz .LBB121_124
; %bb.123:
	v_lshlrev_b64 v[16:17], 3, v[6:7]
	s_delay_alu instid0(VALU_DEP_1) | instskip(NEXT) | instid1(VALU_DEP_2)
	v_add_co_u32 v16, vcc_lo, v24, v16
	v_add_co_ci_u32_e32 v17, vcc_lo, v23, v17, vcc_lo
	flat_load_b64 v[16:17], v[16:17]
	s_waitcnt vmcnt(0) lgkmcnt(0)
	v_mul_f64 v[16:17], v[16:17], s[10:11]
	s_branch .LBB121_125
.LBB121_124:
	v_mov_b32_e32 v16, 0
	v_mov_b32_e32 v17, 0
.LBB121_125:
	s_delay_alu instid0(VALU_DEP_1) | instskip(SKIP_2) | instid1(VALU_DEP_1)
	v_cvt_f32_f64_e32 v16, v[16:17]
	v_max_f32_e32 v17, v130, v130
	v_lshlrev_b64 v[25:26], 3, v[6:7]
	v_add_co_u32 v25, vcc_lo, v20, v25
	s_delay_alu instid0(VALU_DEP_2) | instskip(NEXT) | instid1(VALU_DEP_4)
	v_add_co_ci_u32_e32 v26, vcc_lo, v21, v26, vcc_lo
	v_min_f32_e32 v16, v16, v17
	s_delay_alu instid0(VALU_DEP_1) | instskip(SKIP_3) | instid1(SALU_CYCLE_1)
	v_cvt_f64_f32_e32 v[16:17], v16
	global_store_b64 v[25:26], v[16:17], off
	s_or_b32 exec_lo, exec_lo, s15
	s_and_b32 s16, s4, s8
	s_and_saveexec_b32 s15, s16
	s_cbranch_execz .LBB121_107
.LBB121_126:
	v_cmp_ne_u32_e32 vcc_lo, 1, v18
	s_cbranch_vccnz .LBB121_128
; %bb.127:
	v_lshlrev_b64 v[16:17], 3, v[8:9]
	s_delay_alu instid0(VALU_DEP_1) | instskip(NEXT) | instid1(VALU_DEP_2)
	v_add_co_u32 v16, vcc_lo, v24, v16
	v_add_co_ci_u32_e32 v17, vcc_lo, v23, v17, vcc_lo
	flat_load_b64 v[16:17], v[16:17]
	s_waitcnt vmcnt(0) lgkmcnt(0)
	v_mul_f64 v[16:17], v[16:17], s[10:11]
	s_branch .LBB121_129
.LBB121_128:
	v_mov_b32_e32 v16, 0
	v_mov_b32_e32 v17, 0
.LBB121_129:
	s_delay_alu instid0(VALU_DEP_1) | instskip(SKIP_2) | instid1(VALU_DEP_1)
	v_cvt_f32_f64_e32 v16, v[16:17]
	v_max_f32_e32 v17, v219, v219
	v_lshlrev_b64 v[25:26], 3, v[8:9]
	v_add_co_u32 v25, vcc_lo, v20, v25
	s_delay_alu instid0(VALU_DEP_2) | instskip(NEXT) | instid1(VALU_DEP_4)
	v_add_co_ci_u32_e32 v26, vcc_lo, v21, v26, vcc_lo
	v_min_f32_e32 v16, v16, v17
	s_delay_alu instid0(VALU_DEP_1) | instskip(SKIP_3) | instid1(SALU_CYCLE_1)
	v_cvt_f64_f32_e32 v[16:17], v16
	global_store_b64 v[25:26], v[16:17], off
	s_or_b32 exec_lo, exec_lo, s15
	s_and_b32 s16, s5, s8
	s_and_saveexec_b32 s15, s16
	s_cbranch_execz .LBB121_108
.LBB121_130:
	v_cmp_ne_u32_e32 vcc_lo, 1, v18
	s_cbranch_vccnz .LBB121_132
; %bb.131:
	v_lshlrev_b64 v[16:17], 3, v[10:11]
	s_delay_alu instid0(VALU_DEP_1) | instskip(NEXT) | instid1(VALU_DEP_2)
	v_add_co_u32 v16, vcc_lo, v24, v16
	v_add_co_ci_u32_e32 v17, vcc_lo, v23, v17, vcc_lo
	flat_load_b64 v[16:17], v[16:17]
	s_waitcnt vmcnt(0) lgkmcnt(0)
	v_mul_f64 v[16:17], v[16:17], s[10:11]
	s_branch .LBB121_133
.LBB121_132:
	v_mov_b32_e32 v16, 0
	v_mov_b32_e32 v17, 0
.LBB121_133:
	s_delay_alu instid0(VALU_DEP_1) | instskip(SKIP_2) | instid1(VALU_DEP_1)
	v_cvt_f32_f64_e32 v16, v[16:17]
	v_max_f32_e32 v17, v226, v226
	v_lshlrev_b64 v[25:26], 3, v[10:11]
	v_add_co_u32 v25, vcc_lo, v20, v25
	s_delay_alu instid0(VALU_DEP_2) | instskip(NEXT) | instid1(VALU_DEP_4)
	v_add_co_ci_u32_e32 v26, vcc_lo, v21, v26, vcc_lo
	v_min_f32_e32 v16, v16, v17
	s_delay_alu instid0(VALU_DEP_1) | instskip(SKIP_3) | instid1(SALU_CYCLE_1)
	v_cvt_f64_f32_e32 v[16:17], v16
	global_store_b64 v[25:26], v[16:17], off
	s_or_b32 exec_lo, exec_lo, s15
	s_and_b32 s16, s6, s8
	s_and_saveexec_b32 s15, s16
	s_cbranch_execz .LBB121_109
.LBB121_134:
	v_cmp_ne_u32_e32 vcc_lo, 1, v18
	s_cbranch_vccnz .LBB121_136
; %bb.135:
	v_lshlrev_b64 v[16:17], 3, v[12:13]
	s_delay_alu instid0(VALU_DEP_1) | instskip(NEXT) | instid1(VALU_DEP_2)
	v_add_co_u32 v16, vcc_lo, v24, v16
	v_add_co_ci_u32_e32 v17, vcc_lo, v23, v17, vcc_lo
	flat_load_b64 v[16:17], v[16:17]
	s_waitcnt vmcnt(0) lgkmcnt(0)
	v_mul_f64 v[16:17], v[16:17], s[10:11]
	s_branch .LBB121_137
.LBB121_136:
	v_mov_b32_e32 v16, 0
	v_mov_b32_e32 v17, 0
.LBB121_137:
	s_delay_alu instid0(VALU_DEP_1) | instskip(SKIP_2) | instid1(VALU_DEP_1)
	v_cvt_f32_f64_e32 v16, v[16:17]
	v_max_f32_e32 v17, v218, v218
	v_lshlrev_b64 v[25:26], 3, v[12:13]
	v_add_co_u32 v25, vcc_lo, v20, v25
	s_delay_alu instid0(VALU_DEP_2) | instskip(NEXT) | instid1(VALU_DEP_4)
	v_add_co_ci_u32_e32 v26, vcc_lo, v21, v26, vcc_lo
	v_min_f32_e32 v16, v16, v17
	s_delay_alu instid0(VALU_DEP_1) | instskip(SKIP_3) | instid1(SALU_CYCLE_1)
	v_cvt_f64_f32_e32 v[16:17], v16
	global_store_b64 v[25:26], v[16:17], off
	s_or_b32 exec_lo, exec_lo, s15
	s_and_b32 s15, s7, s8
	s_and_saveexec_b32 s8, s15
	s_cbranch_execz .LBB121_142
.LBB121_138:
	v_cmp_ne_u32_e32 vcc_lo, 1, v18
	s_cbranch_vccnz .LBB121_140
; %bb.139:
	v_lshlrev_b64 v[16:17], 3, v[14:15]
	s_delay_alu instid0(VALU_DEP_1) | instskip(NEXT) | instid1(VALU_DEP_2)
	v_add_co_u32 v16, vcc_lo, v24, v16
	v_add_co_ci_u32_e32 v17, vcc_lo, v23, v17, vcc_lo
	flat_load_b64 v[16:17], v[16:17]
	s_waitcnt vmcnt(0) lgkmcnt(0)
	v_mul_f64 v[16:17], v[16:17], s[10:11]
	s_branch .LBB121_141
.LBB121_140:
	v_mov_b32_e32 v16, 0
	v_mov_b32_e32 v17, 0
.LBB121_141:
	s_delay_alu instid0(VALU_DEP_1) | instskip(SKIP_2) | instid1(VALU_DEP_1)
	v_cvt_f32_f64_e32 v16, v[16:17]
	v_max_f32_e32 v17, v40, v40
	v_lshlrev_b64 v[22:23], 3, v[14:15]
	v_add_co_u32 v20, vcc_lo, v20, v22
	s_delay_alu instid0(VALU_DEP_2) | instskip(NEXT) | instid1(VALU_DEP_4)
	v_add_co_ci_u32_e32 v21, vcc_lo, v21, v23, vcc_lo
	v_min_f32_e32 v16, v16, v17
	s_delay_alu instid0(VALU_DEP_1)
	v_cvt_f64_f32_e32 v[16:17], v16
	global_store_b64 v[20:21], v[16:17], off
.LBB121_142:
	s_or_b32 exec_lo, exec_lo, s8
	v_add_nc_u32_e32 v22, 64, v19
	s_delay_alu instid0(VALU_DEP_1) | instskip(SKIP_2) | instid1(VALU_DEP_3)
	v_mad_i64_i32 v[16:17], null, v22, s18, 0
	v_mad_i64_i32 v[20:21], null, v22, s9, 0
	v_cmp_gt_i32_e64 s8, s17, v22
	v_lshlrev_b64 v[16:17], 3, v[16:17]
	s_delay_alu instid0(VALU_DEP_2) | instskip(NEXT) | instid1(VALU_DEP_3)
	s_and_b32 s16, s0, s8
	v_lshlrev_b64 v[20:21], 3, v[20:21]
	s_delay_alu instid0(VALU_DEP_2) | instskip(NEXT) | instid1(VALU_DEP_3)
	v_add_co_u32 v24, vcc_lo, s12, v16
	v_add_co_ci_u32_e32 v23, vcc_lo, s13, v17, vcc_lo
	s_delay_alu instid0(VALU_DEP_3) | instskip(NEXT) | instid1(VALU_DEP_4)
	v_add_co_u32 v20, vcc_lo, s14, v20
	v_add_co_ci_u32_e32 v21, vcc_lo, s19, v21, vcc_lo
	s_and_saveexec_b32 s15, s16
	s_cbranch_execnz .LBB121_150
; %bb.143:
	s_or_b32 exec_lo, exec_lo, s15
	s_and_b32 s16, s1, s8
	s_delay_alu instid0(SALU_CYCLE_1)
	s_and_saveexec_b32 s15, s16
	s_cbranch_execnz .LBB121_154
.LBB121_144:
	s_or_b32 exec_lo, exec_lo, s15
	s_and_b32 s16, s2, s8
	s_delay_alu instid0(SALU_CYCLE_1)
	s_and_saveexec_b32 s15, s16
	s_cbranch_execnz .LBB121_158
.LBB121_145:
	s_or_b32 exec_lo, exec_lo, s15
	s_and_b32 s16, s3, s8
	s_delay_alu instid0(SALU_CYCLE_1)
	s_and_saveexec_b32 s15, s16
	s_cbranch_execnz .LBB121_162
.LBB121_146:
	s_or_b32 exec_lo, exec_lo, s15
	s_and_b32 s16, s4, s8
	s_delay_alu instid0(SALU_CYCLE_1)
	s_and_saveexec_b32 s15, s16
	s_cbranch_execnz .LBB121_166
.LBB121_147:
	s_or_b32 exec_lo, exec_lo, s15
	s_and_b32 s16, s5, s8
	s_delay_alu instid0(SALU_CYCLE_1)
	s_and_saveexec_b32 s15, s16
	s_cbranch_execnz .LBB121_170
.LBB121_148:
	s_or_b32 exec_lo, exec_lo, s15
	s_and_b32 s16, s6, s8
	s_delay_alu instid0(SALU_CYCLE_1)
	s_and_saveexec_b32 s15, s16
	s_cbranch_execnz .LBB121_174
.LBB121_149:
	s_or_b32 exec_lo, exec_lo, s15
	s_and_b32 s15, s7, s8
	s_delay_alu instid0(SALU_CYCLE_1)
	s_and_saveexec_b32 s8, s15
	s_cbranch_execnz .LBB121_178
	s_branch .LBB121_182
.LBB121_150:
	v_cmp_ne_u32_e32 vcc_lo, 1, v18
	s_cbranch_vccnz .LBB121_152
; %bb.151:
	v_lshlrev_b64 v[16:17], 3, v[0:1]
	s_delay_alu instid0(VALU_DEP_1) | instskip(NEXT) | instid1(VALU_DEP_2)
	v_add_co_u32 v16, vcc_lo, v24, v16
	v_add_co_ci_u32_e32 v17, vcc_lo, v23, v17, vcc_lo
	flat_load_b64 v[16:17], v[16:17]
	s_waitcnt vmcnt(0) lgkmcnt(0)
	v_mul_f64 v[16:17], v[16:17], s[10:11]
	s_branch .LBB121_153
.LBB121_152:
	v_mov_b32_e32 v16, 0
	v_mov_b32_e32 v17, 0
.LBB121_153:
	s_delay_alu instid0(VALU_DEP_1) | instskip(SKIP_2) | instid1(VALU_DEP_1)
	v_cvt_f32_f64_e32 v16, v[16:17]
	v_max_f32_e32 v17, v223, v223
	v_lshlrev_b64 v[25:26], 3, v[0:1]
	v_add_co_u32 v25, vcc_lo, v20, v25
	s_delay_alu instid0(VALU_DEP_2) | instskip(NEXT) | instid1(VALU_DEP_4)
	v_add_co_ci_u32_e32 v26, vcc_lo, v21, v26, vcc_lo
	v_min_f32_e32 v16, v16, v17
	s_delay_alu instid0(VALU_DEP_1) | instskip(SKIP_3) | instid1(SALU_CYCLE_1)
	v_cvt_f64_f32_e32 v[16:17], v16
	global_store_b64 v[25:26], v[16:17], off
	s_or_b32 exec_lo, exec_lo, s15
	s_and_b32 s16, s1, s8
	s_and_saveexec_b32 s15, s16
	s_cbranch_execz .LBB121_144
.LBB121_154:
	v_cmp_ne_u32_e32 vcc_lo, 1, v18
	s_cbranch_vccnz .LBB121_156
; %bb.155:
	v_lshlrev_b64 v[16:17], 3, v[2:3]
	s_delay_alu instid0(VALU_DEP_1) | instskip(NEXT) | instid1(VALU_DEP_2)
	v_add_co_u32 v16, vcc_lo, v24, v16
	v_add_co_ci_u32_e32 v17, vcc_lo, v23, v17, vcc_lo
	flat_load_b64 v[16:17], v[16:17]
	s_waitcnt vmcnt(0) lgkmcnt(0)
	v_mul_f64 v[16:17], v[16:17], s[10:11]
	s_branch .LBB121_157
.LBB121_156:
	v_mov_b32_e32 v16, 0
	v_mov_b32_e32 v17, 0
.LBB121_157:
	s_delay_alu instid0(VALU_DEP_1) | instskip(SKIP_2) | instid1(VALU_DEP_1)
	v_cvt_f32_f64_e32 v16, v[16:17]
	v_max_f32_e32 v17, v222, v222
	v_lshlrev_b64 v[25:26], 3, v[2:3]
	v_add_co_u32 v25, vcc_lo, v20, v25
	s_delay_alu instid0(VALU_DEP_2) | instskip(NEXT) | instid1(VALU_DEP_4)
	v_add_co_ci_u32_e32 v26, vcc_lo, v21, v26, vcc_lo
	v_min_f32_e32 v16, v16, v17
	s_delay_alu instid0(VALU_DEP_1) | instskip(SKIP_3) | instid1(SALU_CYCLE_1)
	v_cvt_f64_f32_e32 v[16:17], v16
	global_store_b64 v[25:26], v[16:17], off
	s_or_b32 exec_lo, exec_lo, s15
	s_and_b32 s16, s2, s8
	s_and_saveexec_b32 s15, s16
	s_cbranch_execz .LBB121_145
.LBB121_158:
	v_cmp_ne_u32_e32 vcc_lo, 1, v18
	s_cbranch_vccnz .LBB121_160
; %bb.159:
	v_lshlrev_b64 v[16:17], 3, v[4:5]
	s_delay_alu instid0(VALU_DEP_1) | instskip(NEXT) | instid1(VALU_DEP_2)
	v_add_co_u32 v16, vcc_lo, v24, v16
	v_add_co_ci_u32_e32 v17, vcc_lo, v23, v17, vcc_lo
	flat_load_b64 v[16:17], v[16:17]
	s_waitcnt vmcnt(0) lgkmcnt(0)
	v_mul_f64 v[16:17], v[16:17], s[10:11]
	s_branch .LBB121_161
.LBB121_160:
	v_mov_b32_e32 v16, 0
	v_mov_b32_e32 v17, 0
.LBB121_161:
	s_delay_alu instid0(VALU_DEP_1) | instskip(SKIP_2) | instid1(VALU_DEP_1)
	v_cvt_f32_f64_e32 v16, v[16:17]
	v_max_f32_e32 v17, v86, v86
	v_lshlrev_b64 v[25:26], 3, v[4:5]
	v_add_co_u32 v25, vcc_lo, v20, v25
	s_delay_alu instid0(VALU_DEP_2) | instskip(NEXT) | instid1(VALU_DEP_4)
	v_add_co_ci_u32_e32 v26, vcc_lo, v21, v26, vcc_lo
	v_min_f32_e32 v16, v16, v17
	s_delay_alu instid0(VALU_DEP_1) | instskip(SKIP_3) | instid1(SALU_CYCLE_1)
	v_cvt_f64_f32_e32 v[16:17], v16
	global_store_b64 v[25:26], v[16:17], off
	s_or_b32 exec_lo, exec_lo, s15
	s_and_b32 s16, s3, s8
	s_and_saveexec_b32 s15, s16
	s_cbranch_execz .LBB121_146
.LBB121_162:
	v_cmp_ne_u32_e32 vcc_lo, 1, v18
	s_cbranch_vccnz .LBB121_164
; %bb.163:
	v_lshlrev_b64 v[16:17], 3, v[6:7]
	s_delay_alu instid0(VALU_DEP_1) | instskip(NEXT) | instid1(VALU_DEP_2)
	v_add_co_u32 v16, vcc_lo, v24, v16
	v_add_co_ci_u32_e32 v17, vcc_lo, v23, v17, vcc_lo
	flat_load_b64 v[16:17], v[16:17]
	s_waitcnt vmcnt(0) lgkmcnt(0)
	v_mul_f64 v[16:17], v[16:17], s[10:11]
	s_branch .LBB121_165
.LBB121_164:
	v_mov_b32_e32 v16, 0
	v_mov_b32_e32 v17, 0
.LBB121_165:
	s_delay_alu instid0(VALU_DEP_1) | instskip(SKIP_2) | instid1(VALU_DEP_1)
	v_cvt_f32_f64_e32 v16, v[16:17]
	v_max_f32_e32 v17, v227, v227
	v_lshlrev_b64 v[25:26], 3, v[6:7]
	v_add_co_u32 v25, vcc_lo, v20, v25
	s_delay_alu instid0(VALU_DEP_2) | instskip(NEXT) | instid1(VALU_DEP_4)
	v_add_co_ci_u32_e32 v26, vcc_lo, v21, v26, vcc_lo
	v_min_f32_e32 v16, v16, v17
	s_delay_alu instid0(VALU_DEP_1) | instskip(SKIP_3) | instid1(SALU_CYCLE_1)
	v_cvt_f64_f32_e32 v[16:17], v16
	global_store_b64 v[25:26], v[16:17], off
	s_or_b32 exec_lo, exec_lo, s15
	s_and_b32 s16, s4, s8
	s_and_saveexec_b32 s15, s16
	s_cbranch_execz .LBB121_147
.LBB121_166:
	v_cmp_ne_u32_e32 vcc_lo, 1, v18
	s_cbranch_vccnz .LBB121_168
; %bb.167:
	v_lshlrev_b64 v[16:17], 3, v[8:9]
	s_delay_alu instid0(VALU_DEP_1) | instskip(NEXT) | instid1(VALU_DEP_2)
	v_add_co_u32 v16, vcc_lo, v24, v16
	v_add_co_ci_u32_e32 v17, vcc_lo, v23, v17, vcc_lo
	flat_load_b64 v[16:17], v[16:17]
	s_waitcnt vmcnt(0) lgkmcnt(0)
	v_mul_f64 v[16:17], v[16:17], s[10:11]
	s_branch .LBB121_169
.LBB121_168:
	v_mov_b32_e32 v16, 0
	v_mov_b32_e32 v17, 0
.LBB121_169:
	s_delay_alu instid0(VALU_DEP_1) | instskip(SKIP_2) | instid1(VALU_DEP_1)
	v_cvt_f32_f64_e32 v16, v[16:17]
	v_max_f32_e32 v17, v87, v87
	v_lshlrev_b64 v[25:26], 3, v[8:9]
	v_add_co_u32 v25, vcc_lo, v20, v25
	s_delay_alu instid0(VALU_DEP_2) | instskip(NEXT) | instid1(VALU_DEP_4)
	v_add_co_ci_u32_e32 v26, vcc_lo, v21, v26, vcc_lo
	v_min_f32_e32 v16, v16, v17
	s_delay_alu instid0(VALU_DEP_1) | instskip(SKIP_3) | instid1(SALU_CYCLE_1)
	v_cvt_f64_f32_e32 v[16:17], v16
	global_store_b64 v[25:26], v[16:17], off
	s_or_b32 exec_lo, exec_lo, s15
	s_and_b32 s16, s5, s8
	s_and_saveexec_b32 s15, s16
	s_cbranch_execz .LBB121_148
.LBB121_170:
	v_cmp_ne_u32_e32 vcc_lo, 1, v18
	s_cbranch_vccnz .LBB121_172
; %bb.171:
	v_lshlrev_b64 v[16:17], 3, v[10:11]
	s_delay_alu instid0(VALU_DEP_1) | instskip(NEXT) | instid1(VALU_DEP_2)
	v_add_co_u32 v16, vcc_lo, v24, v16
	v_add_co_ci_u32_e32 v17, vcc_lo, v23, v17, vcc_lo
	flat_load_b64 v[16:17], v[16:17]
	s_waitcnt vmcnt(0) lgkmcnt(0)
	v_mul_f64 v[16:17], v[16:17], s[10:11]
	s_branch .LBB121_173
.LBB121_172:
	v_mov_b32_e32 v16, 0
	v_mov_b32_e32 v17, 0
.LBB121_173:
	s_delay_alu instid0(VALU_DEP_1) | instskip(SKIP_2) | instid1(VALU_DEP_1)
	v_cvt_f32_f64_e32 v16, v[16:17]
	v_max_f32_e32 v17, v128, v128
	v_lshlrev_b64 v[25:26], 3, v[10:11]
	v_add_co_u32 v25, vcc_lo, v20, v25
	s_delay_alu instid0(VALU_DEP_2) | instskip(NEXT) | instid1(VALU_DEP_4)
	v_add_co_ci_u32_e32 v26, vcc_lo, v21, v26, vcc_lo
	v_min_f32_e32 v16, v16, v17
	s_delay_alu instid0(VALU_DEP_1) | instskip(SKIP_3) | instid1(SALU_CYCLE_1)
	v_cvt_f64_f32_e32 v[16:17], v16
	global_store_b64 v[25:26], v[16:17], off
	s_or_b32 exec_lo, exec_lo, s15
	s_and_b32 s16, s6, s8
	s_and_saveexec_b32 s15, s16
	s_cbranch_execz .LBB121_149
.LBB121_174:
	v_cmp_ne_u32_e32 vcc_lo, 1, v18
	s_cbranch_vccnz .LBB121_176
; %bb.175:
	v_lshlrev_b64 v[16:17], 3, v[12:13]
	s_delay_alu instid0(VALU_DEP_1) | instskip(NEXT) | instid1(VALU_DEP_2)
	v_add_co_u32 v16, vcc_lo, v24, v16
	v_add_co_ci_u32_e32 v17, vcc_lo, v23, v17, vcc_lo
	flat_load_b64 v[16:17], v[16:17]
	s_waitcnt vmcnt(0) lgkmcnt(0)
	v_mul_f64 v[16:17], v[16:17], s[10:11]
	s_branch .LBB121_177
.LBB121_176:
	v_mov_b32_e32 v16, 0
	v_mov_b32_e32 v17, 0
.LBB121_177:
	s_delay_alu instid0(VALU_DEP_1) | instskip(SKIP_2) | instid1(VALU_DEP_1)
	v_cvt_f32_f64_e32 v16, v[16:17]
	v_max_f32_e32 v17, v63, v63
	v_lshlrev_b64 v[25:26], 3, v[12:13]
	v_add_co_u32 v25, vcc_lo, v20, v25
	s_delay_alu instid0(VALU_DEP_2) | instskip(NEXT) | instid1(VALU_DEP_4)
	v_add_co_ci_u32_e32 v26, vcc_lo, v21, v26, vcc_lo
	v_min_f32_e32 v16, v16, v17
	s_delay_alu instid0(VALU_DEP_1) | instskip(SKIP_3) | instid1(SALU_CYCLE_1)
	v_cvt_f64_f32_e32 v[16:17], v16
	global_store_b64 v[25:26], v[16:17], off
	s_or_b32 exec_lo, exec_lo, s15
	s_and_b32 s15, s7, s8
	s_and_saveexec_b32 s8, s15
	s_cbranch_execz .LBB121_182
.LBB121_178:
	v_cmp_ne_u32_e32 vcc_lo, 1, v18
	s_cbranch_vccnz .LBB121_180
; %bb.179:
	v_lshlrev_b64 v[16:17], 3, v[14:15]
	s_delay_alu instid0(VALU_DEP_1) | instskip(NEXT) | instid1(VALU_DEP_2)
	v_add_co_u32 v16, vcc_lo, v24, v16
	v_add_co_ci_u32_e32 v17, vcc_lo, v23, v17, vcc_lo
	flat_load_b64 v[16:17], v[16:17]
	s_waitcnt vmcnt(0) lgkmcnt(0)
	v_mul_f64 v[16:17], v[16:17], s[10:11]
	s_branch .LBB121_181
.LBB121_180:
	v_mov_b32_e32 v16, 0
	v_mov_b32_e32 v17, 0
.LBB121_181:
	s_delay_alu instid0(VALU_DEP_1) | instskip(SKIP_2) | instid1(VALU_DEP_1)
	v_cvt_f32_f64_e32 v16, v[16:17]
	v_max_f32_e32 v17, v231, v231
	v_lshlrev_b64 v[22:23], 3, v[14:15]
	v_add_co_u32 v20, vcc_lo, v20, v22
	s_delay_alu instid0(VALU_DEP_2) | instskip(NEXT) | instid1(VALU_DEP_4)
	v_add_co_ci_u32_e32 v21, vcc_lo, v21, v23, vcc_lo
	v_min_f32_e32 v16, v16, v17
	s_delay_alu instid0(VALU_DEP_1)
	v_cvt_f64_f32_e32 v[16:17], v16
	global_store_b64 v[20:21], v[16:17], off
.LBB121_182:
	s_or_b32 exec_lo, exec_lo, s8
	v_add_nc_u32_e32 v22, 0x60, v19
	s_delay_alu instid0(VALU_DEP_1) | instskip(SKIP_2) | instid1(VALU_DEP_3)
	v_mad_i64_i32 v[16:17], null, v22, s18, 0
	v_mad_i64_i32 v[20:21], null, v22, s9, 0
	v_cmp_gt_i32_e64 s8, s17, v22
	v_lshlrev_b64 v[16:17], 3, v[16:17]
	s_delay_alu instid0(VALU_DEP_2) | instskip(NEXT) | instid1(VALU_DEP_3)
	s_and_b32 s16, s0, s8
	v_lshlrev_b64 v[20:21], 3, v[20:21]
	s_delay_alu instid0(VALU_DEP_2) | instskip(NEXT) | instid1(VALU_DEP_3)
	v_add_co_u32 v24, vcc_lo, s12, v16
	v_add_co_ci_u32_e32 v23, vcc_lo, s13, v17, vcc_lo
	s_delay_alu instid0(VALU_DEP_3) | instskip(NEXT) | instid1(VALU_DEP_4)
	v_add_co_u32 v20, vcc_lo, s14, v20
	v_add_co_ci_u32_e32 v21, vcc_lo, s19, v21, vcc_lo
	s_and_saveexec_b32 s15, s16
	s_cbranch_execnz .LBB121_190
; %bb.183:
	s_or_b32 exec_lo, exec_lo, s15
	s_and_b32 s16, s1, s8
	s_delay_alu instid0(SALU_CYCLE_1)
	s_and_saveexec_b32 s15, s16
	s_cbranch_execnz .LBB121_194
.LBB121_184:
	s_or_b32 exec_lo, exec_lo, s15
	s_and_b32 s16, s2, s8
	s_delay_alu instid0(SALU_CYCLE_1)
	s_and_saveexec_b32 s15, s16
	s_cbranch_execnz .LBB121_198
.LBB121_185:
	s_or_b32 exec_lo, exec_lo, s15
	s_and_b32 s16, s3, s8
	s_delay_alu instid0(SALU_CYCLE_1)
	s_and_saveexec_b32 s15, s16
	s_cbranch_execnz .LBB121_202
.LBB121_186:
	s_or_b32 exec_lo, exec_lo, s15
	s_and_b32 s16, s4, s8
	s_delay_alu instid0(SALU_CYCLE_1)
	s_and_saveexec_b32 s15, s16
	s_cbranch_execnz .LBB121_206
.LBB121_187:
	s_or_b32 exec_lo, exec_lo, s15
	s_and_b32 s16, s5, s8
	s_delay_alu instid0(SALU_CYCLE_1)
	s_and_saveexec_b32 s15, s16
	s_cbranch_execnz .LBB121_210
.LBB121_188:
	s_or_b32 exec_lo, exec_lo, s15
	s_and_b32 s16, s6, s8
	s_delay_alu instid0(SALU_CYCLE_1)
	s_and_saveexec_b32 s15, s16
	s_cbranch_execnz .LBB121_214
.LBB121_189:
	s_or_b32 exec_lo, exec_lo, s15
	s_and_b32 s15, s7, s8
	s_delay_alu instid0(SALU_CYCLE_1)
	s_and_saveexec_b32 s8, s15
	s_cbranch_execnz .LBB121_218
	s_branch .LBB121_222
.LBB121_190:
	v_cmp_ne_u32_e32 vcc_lo, 1, v18
	s_cbranch_vccnz .LBB121_192
; %bb.191:
	v_lshlrev_b64 v[16:17], 3, v[0:1]
	s_delay_alu instid0(VALU_DEP_1) | instskip(NEXT) | instid1(VALU_DEP_2)
	v_add_co_u32 v16, vcc_lo, v24, v16
	v_add_co_ci_u32_e32 v17, vcc_lo, v23, v17, vcc_lo
	flat_load_b64 v[16:17], v[16:17]
	s_waitcnt vmcnt(0) lgkmcnt(0)
	v_mul_f64 v[16:17], v[16:17], s[10:11]
	s_branch .LBB121_193
.LBB121_192:
	v_mov_b32_e32 v16, 0
	v_mov_b32_e32 v17, 0
.LBB121_193:
	s_delay_alu instid0(VALU_DEP_1) | instskip(SKIP_2) | instid1(VALU_DEP_1)
	v_cvt_f32_f64_e32 v16, v[16:17]
	v_max_f32_e32 v17, v62, v62
	v_lshlrev_b64 v[25:26], 3, v[0:1]
	v_add_co_u32 v25, vcc_lo, v20, v25
	s_delay_alu instid0(VALU_DEP_2) | instskip(NEXT) | instid1(VALU_DEP_4)
	v_add_co_ci_u32_e32 v26, vcc_lo, v21, v26, vcc_lo
	v_min_f32_e32 v16, v16, v17
	s_delay_alu instid0(VALU_DEP_1) | instskip(SKIP_3) | instid1(SALU_CYCLE_1)
	v_cvt_f64_f32_e32 v[16:17], v16
	global_store_b64 v[25:26], v[16:17], off
	s_or_b32 exec_lo, exec_lo, s15
	s_and_b32 s16, s1, s8
	s_and_saveexec_b32 s15, s16
	s_cbranch_execz .LBB121_184
.LBB121_194:
	v_cmp_ne_u32_e32 vcc_lo, 1, v18
	s_cbranch_vccnz .LBB121_196
; %bb.195:
	v_lshlrev_b64 v[16:17], 3, v[2:3]
	s_delay_alu instid0(VALU_DEP_1) | instskip(NEXT) | instid1(VALU_DEP_2)
	v_add_co_u32 v16, vcc_lo, v24, v16
	v_add_co_ci_u32_e32 v17, vcc_lo, v23, v17, vcc_lo
	flat_load_b64 v[16:17], v[16:17]
	s_waitcnt vmcnt(0) lgkmcnt(0)
	v_mul_f64 v[16:17], v[16:17], s[10:11]
	s_branch .LBB121_197
.LBB121_196:
	v_mov_b32_e32 v16, 0
	v_mov_b32_e32 v17, 0
.LBB121_197:
	s_delay_alu instid0(VALU_DEP_1) | instskip(SKIP_2) | instid1(VALU_DEP_1)
	v_cvt_f32_f64_e32 v16, v[16:17]
	v_max_f32_e32 v17, v38, v38
	v_lshlrev_b64 v[25:26], 3, v[2:3]
	v_add_co_u32 v25, vcc_lo, v20, v25
	s_delay_alu instid0(VALU_DEP_2) | instskip(NEXT) | instid1(VALU_DEP_4)
	v_add_co_ci_u32_e32 v26, vcc_lo, v21, v26, vcc_lo
	v_min_f32_e32 v16, v16, v17
	s_delay_alu instid0(VALU_DEP_1) | instskip(SKIP_3) | instid1(SALU_CYCLE_1)
	v_cvt_f64_f32_e32 v[16:17], v16
	global_store_b64 v[25:26], v[16:17], off
	s_or_b32 exec_lo, exec_lo, s15
	s_and_b32 s16, s2, s8
	s_and_saveexec_b32 s15, s16
	s_cbranch_execz .LBB121_185
.LBB121_198:
	v_cmp_ne_u32_e32 vcc_lo, 1, v18
	s_cbranch_vccnz .LBB121_200
; %bb.199:
	v_lshlrev_b64 v[16:17], 3, v[4:5]
	s_delay_alu instid0(VALU_DEP_1) | instskip(NEXT) | instid1(VALU_DEP_2)
	v_add_co_u32 v16, vcc_lo, v24, v16
	v_add_co_ci_u32_e32 v17, vcc_lo, v23, v17, vcc_lo
	flat_load_b64 v[16:17], v[16:17]
	s_waitcnt vmcnt(0) lgkmcnt(0)
	v_mul_f64 v[16:17], v[16:17], s[10:11]
	s_branch .LBB121_201
.LBB121_200:
	v_mov_b32_e32 v16, 0
	v_mov_b32_e32 v17, 0
.LBB121_201:
	s_delay_alu instid0(VALU_DEP_1) | instskip(SKIP_2) | instid1(VALU_DEP_1)
	v_cvt_f32_f64_e32 v16, v[16:17]
	v_max_f32_e32 v17, v76, v76
	v_lshlrev_b64 v[25:26], 3, v[4:5]
	v_add_co_u32 v25, vcc_lo, v20, v25
	s_delay_alu instid0(VALU_DEP_2) | instskip(NEXT) | instid1(VALU_DEP_4)
	v_add_co_ci_u32_e32 v26, vcc_lo, v21, v26, vcc_lo
	v_min_f32_e32 v16, v16, v17
	s_delay_alu instid0(VALU_DEP_1) | instskip(SKIP_3) | instid1(SALU_CYCLE_1)
	v_cvt_f64_f32_e32 v[16:17], v16
	global_store_b64 v[25:26], v[16:17], off
	s_or_b32 exec_lo, exec_lo, s15
	s_and_b32 s16, s3, s8
	s_and_saveexec_b32 s15, s16
	s_cbranch_execz .LBB121_186
.LBB121_202:
	v_cmp_ne_u32_e32 vcc_lo, 1, v18
	s_cbranch_vccnz .LBB121_204
; %bb.203:
	v_lshlrev_b64 v[16:17], 3, v[6:7]
	s_delay_alu instid0(VALU_DEP_1) | instskip(NEXT) | instid1(VALU_DEP_2)
	v_add_co_u32 v16, vcc_lo, v24, v16
	v_add_co_ci_u32_e32 v17, vcc_lo, v23, v17, vcc_lo
	flat_load_b64 v[16:17], v[16:17]
	s_waitcnt vmcnt(0) lgkmcnt(0)
	v_mul_f64 v[16:17], v[16:17], s[10:11]
	s_branch .LBB121_205
.LBB121_204:
	v_mov_b32_e32 v16, 0
	v_mov_b32_e32 v17, 0
.LBB121_205:
	s_delay_alu instid0(VALU_DEP_1) | instskip(SKIP_2) | instid1(VALU_DEP_1)
	v_cvt_f32_f64_e32 v16, v[16:17]
	v_max_f32_e32 v17, v37, v37
	v_lshlrev_b64 v[25:26], 3, v[6:7]
	v_add_co_u32 v25, vcc_lo, v20, v25
	s_delay_alu instid0(VALU_DEP_2) | instskip(NEXT) | instid1(VALU_DEP_4)
	v_add_co_ci_u32_e32 v26, vcc_lo, v21, v26, vcc_lo
	v_min_f32_e32 v16, v16, v17
	s_delay_alu instid0(VALU_DEP_1) | instskip(SKIP_3) | instid1(SALU_CYCLE_1)
	v_cvt_f64_f32_e32 v[16:17], v16
	global_store_b64 v[25:26], v[16:17], off
	s_or_b32 exec_lo, exec_lo, s15
	s_and_b32 s16, s4, s8
	s_and_saveexec_b32 s15, s16
	s_cbranch_execz .LBB121_187
.LBB121_206:
	v_cmp_ne_u32_e32 vcc_lo, 1, v18
	s_cbranch_vccnz .LBB121_208
; %bb.207:
	v_lshlrev_b64 v[16:17], 3, v[8:9]
	s_delay_alu instid0(VALU_DEP_1) | instskip(NEXT) | instid1(VALU_DEP_2)
	v_add_co_u32 v16, vcc_lo, v24, v16
	v_add_co_ci_u32_e32 v17, vcc_lo, v23, v17, vcc_lo
	flat_load_b64 v[16:17], v[16:17]
	s_waitcnt vmcnt(0) lgkmcnt(0)
	v_mul_f64 v[16:17], v[16:17], s[10:11]
	s_branch .LBB121_209
.LBB121_208:
	v_mov_b32_e32 v16, 0
	v_mov_b32_e32 v17, 0
.LBB121_209:
	s_delay_alu instid0(VALU_DEP_1) | instskip(SKIP_2) | instid1(VALU_DEP_1)
	v_cvt_f32_f64_e32 v16, v[16:17]
	v_max_f32_e32 v17, v235, v235
	v_lshlrev_b64 v[25:26], 3, v[8:9]
	v_add_co_u32 v25, vcc_lo, v20, v25
	s_delay_alu instid0(VALU_DEP_2) | instskip(NEXT) | instid1(VALU_DEP_4)
	v_add_co_ci_u32_e32 v26, vcc_lo, v21, v26, vcc_lo
	v_min_f32_e32 v16, v16, v17
	s_delay_alu instid0(VALU_DEP_1) | instskip(SKIP_3) | instid1(SALU_CYCLE_1)
	v_cvt_f64_f32_e32 v[16:17], v16
	global_store_b64 v[25:26], v[16:17], off
	s_or_b32 exec_lo, exec_lo, s15
	s_and_b32 s16, s5, s8
	s_and_saveexec_b32 s15, s16
	s_cbranch_execz .LBB121_188
.LBB121_210:
	v_cmp_ne_u32_e32 vcc_lo, 1, v18
	s_cbranch_vccnz .LBB121_212
; %bb.211:
	v_lshlrev_b64 v[16:17], 3, v[10:11]
	s_delay_alu instid0(VALU_DEP_1) | instskip(NEXT) | instid1(VALU_DEP_2)
	v_add_co_u32 v16, vcc_lo, v24, v16
	v_add_co_ci_u32_e32 v17, vcc_lo, v23, v17, vcc_lo
	flat_load_b64 v[16:17], v[16:17]
	s_waitcnt vmcnt(0) lgkmcnt(0)
	v_mul_f64 v[16:17], v[16:17], s[10:11]
	s_branch .LBB121_213
.LBB121_212:
	v_mov_b32_e32 v16, 0
	v_mov_b32_e32 v17, 0
.LBB121_213:
	s_delay_alu instid0(VALU_DEP_1) | instskip(SKIP_2) | instid1(VALU_DEP_1)
	v_cvt_f32_f64_e32 v16, v[16:17]
	v_max_f32_e32 v17, v77, v77
	v_lshlrev_b64 v[25:26], 3, v[10:11]
	v_add_co_u32 v25, vcc_lo, v20, v25
	s_delay_alu instid0(VALU_DEP_2) | instskip(NEXT) | instid1(VALU_DEP_4)
	v_add_co_ci_u32_e32 v26, vcc_lo, v21, v26, vcc_lo
	v_min_f32_e32 v16, v16, v17
	s_delay_alu instid0(VALU_DEP_1) | instskip(SKIP_3) | instid1(SALU_CYCLE_1)
	v_cvt_f64_f32_e32 v[16:17], v16
	global_store_b64 v[25:26], v[16:17], off
	s_or_b32 exec_lo, exec_lo, s15
	s_and_b32 s16, s6, s8
	s_and_saveexec_b32 s15, s16
	s_cbranch_execz .LBB121_189
.LBB121_214:
	v_cmp_ne_u32_e32 vcc_lo, 1, v18
	s_cbranch_vccnz .LBB121_216
; %bb.215:
	v_lshlrev_b64 v[16:17], 3, v[12:13]
	s_delay_alu instid0(VALU_DEP_1) | instskip(NEXT) | instid1(VALU_DEP_2)
	v_add_co_u32 v16, vcc_lo, v24, v16
	v_add_co_ci_u32_e32 v17, vcc_lo, v23, v17, vcc_lo
	flat_load_b64 v[16:17], v[16:17]
	s_waitcnt vmcnt(0) lgkmcnt(0)
	v_mul_f64 v[16:17], v[16:17], s[10:11]
	s_branch .LBB121_217
.LBB121_216:
	v_mov_b32_e32 v16, 0
	v_mov_b32_e32 v17, 0
.LBB121_217:
	s_delay_alu instid0(VALU_DEP_1) | instskip(SKIP_2) | instid1(VALU_DEP_1)
	v_cvt_f32_f64_e32 v16, v[16:17]
	v_max_f32_e32 v17, v36, v36
	v_lshlrev_b64 v[25:26], 3, v[12:13]
	v_add_co_u32 v25, vcc_lo, v20, v25
	s_delay_alu instid0(VALU_DEP_2) | instskip(NEXT) | instid1(VALU_DEP_4)
	v_add_co_ci_u32_e32 v26, vcc_lo, v21, v26, vcc_lo
	v_min_f32_e32 v16, v16, v17
	s_delay_alu instid0(VALU_DEP_1) | instskip(SKIP_3) | instid1(SALU_CYCLE_1)
	v_cvt_f64_f32_e32 v[16:17], v16
	global_store_b64 v[25:26], v[16:17], off
	s_or_b32 exec_lo, exec_lo, s15
	s_and_b32 s15, s7, s8
	s_and_saveexec_b32 s8, s15
	s_cbranch_execz .LBB121_222
.LBB121_218:
	v_cmp_ne_u32_e32 vcc_lo, 1, v18
	s_cbranch_vccnz .LBB121_220
; %bb.219:
	v_lshlrev_b64 v[16:17], 3, v[14:15]
	s_delay_alu instid0(VALU_DEP_1) | instskip(NEXT) | instid1(VALU_DEP_2)
	v_add_co_u32 v16, vcc_lo, v24, v16
	v_add_co_ci_u32_e32 v17, vcc_lo, v23, v17, vcc_lo
	flat_load_b64 v[16:17], v[16:17]
	s_waitcnt vmcnt(0) lgkmcnt(0)
	v_mul_f64 v[16:17], v[16:17], s[10:11]
	s_branch .LBB121_221
.LBB121_220:
	v_mov_b32_e32 v16, 0
	v_mov_b32_e32 v17, 0
.LBB121_221:
	s_delay_alu instid0(VALU_DEP_1) | instskip(SKIP_2) | instid1(VALU_DEP_1)
	v_cvt_f32_f64_e32 v16, v[16:17]
	v_max_f32_e32 v17, v35, v35
	v_lshlrev_b64 v[22:23], 3, v[14:15]
	v_add_co_u32 v20, vcc_lo, v20, v22
	s_delay_alu instid0(VALU_DEP_2) | instskip(NEXT) | instid1(VALU_DEP_4)
	v_add_co_ci_u32_e32 v21, vcc_lo, v21, v23, vcc_lo
	v_min_f32_e32 v16, v16, v17
	s_delay_alu instid0(VALU_DEP_1)
	v_cvt_f64_f32_e32 v[16:17], v16
	global_store_b64 v[20:21], v[16:17], off
.LBB121_222:
	s_or_b32 exec_lo, exec_lo, s8
	v_add_nc_u32_e32 v22, 0x80, v19
	s_delay_alu instid0(VALU_DEP_1) | instskip(SKIP_2) | instid1(VALU_DEP_3)
	v_mad_i64_i32 v[16:17], null, v22, s18, 0
	v_mad_i64_i32 v[20:21], null, v22, s9, 0
	v_cmp_gt_i32_e64 s8, s17, v22
	v_lshlrev_b64 v[16:17], 3, v[16:17]
	s_delay_alu instid0(VALU_DEP_2) | instskip(NEXT) | instid1(VALU_DEP_3)
	s_and_b32 s16, s0, s8
	v_lshlrev_b64 v[20:21], 3, v[20:21]
	s_delay_alu instid0(VALU_DEP_2) | instskip(NEXT) | instid1(VALU_DEP_3)
	v_add_co_u32 v24, vcc_lo, s12, v16
	v_add_co_ci_u32_e32 v23, vcc_lo, s13, v17, vcc_lo
	s_delay_alu instid0(VALU_DEP_3) | instskip(NEXT) | instid1(VALU_DEP_4)
	v_add_co_u32 v20, vcc_lo, s14, v20
	v_add_co_ci_u32_e32 v21, vcc_lo, s19, v21, vcc_lo
	s_and_saveexec_b32 s15, s16
	s_cbranch_execnz .LBB121_230
; %bb.223:
	s_or_b32 exec_lo, exec_lo, s15
	s_and_b32 s16, s1, s8
	s_delay_alu instid0(SALU_CYCLE_1)
	s_and_saveexec_b32 s15, s16
	s_cbranch_execnz .LBB121_234
.LBB121_224:
	s_or_b32 exec_lo, exec_lo, s15
	s_and_b32 s16, s2, s8
	s_delay_alu instid0(SALU_CYCLE_1)
	s_and_saveexec_b32 s15, s16
	s_cbranch_execnz .LBB121_238
.LBB121_225:
	s_or_b32 exec_lo, exec_lo, s15
	s_and_b32 s16, s3, s8
	s_delay_alu instid0(SALU_CYCLE_1)
	s_and_saveexec_b32 s15, s16
	s_cbranch_execnz .LBB121_242
.LBB121_226:
	s_or_b32 exec_lo, exec_lo, s15
	s_and_b32 s16, s4, s8
	s_delay_alu instid0(SALU_CYCLE_1)
	s_and_saveexec_b32 s15, s16
	s_cbranch_execnz .LBB121_246
.LBB121_227:
	s_or_b32 exec_lo, exec_lo, s15
	s_and_b32 s16, s5, s8
	s_delay_alu instid0(SALU_CYCLE_1)
	s_and_saveexec_b32 s15, s16
	s_cbranch_execnz .LBB121_250
.LBB121_228:
	s_or_b32 exec_lo, exec_lo, s15
	s_and_b32 s16, s6, s8
	s_delay_alu instid0(SALU_CYCLE_1)
	s_and_saveexec_b32 s15, s16
	s_cbranch_execnz .LBB121_254
.LBB121_229:
	s_or_b32 exec_lo, exec_lo, s15
	s_and_b32 s15, s7, s8
	s_delay_alu instid0(SALU_CYCLE_1)
	s_and_saveexec_b32 s8, s15
	s_cbranch_execnz .LBB121_258
	s_branch .LBB121_262
.LBB121_230:
	v_cmp_ne_u32_e32 vcc_lo, 1, v18
	s_cbranch_vccnz .LBB121_232
; %bb.231:
	v_lshlrev_b64 v[16:17], 3, v[0:1]
	s_delay_alu instid0(VALU_DEP_1) | instskip(NEXT) | instid1(VALU_DEP_2)
	v_add_co_u32 v16, vcc_lo, v24, v16
	v_add_co_ci_u32_e32 v17, vcc_lo, v23, v17, vcc_lo
	flat_load_b64 v[16:17], v[16:17]
	s_waitcnt vmcnt(0) lgkmcnt(0)
	v_mul_f64 v[16:17], v[16:17], s[10:11]
	s_branch .LBB121_233
.LBB121_232:
	v_mov_b32_e32 v16, 0
	v_mov_b32_e32 v17, 0
.LBB121_233:
	s_delay_alu instid0(VALU_DEP_1) | instskip(SKIP_2) | instid1(VALU_DEP_1)
	v_cvt_f32_f64_e32 v16, v[16:17]
	v_max_f32_e32 v17, v34, v34
	v_lshlrev_b64 v[25:26], 3, v[0:1]
	v_add_co_u32 v25, vcc_lo, v20, v25
	s_delay_alu instid0(VALU_DEP_2) | instskip(NEXT) | instid1(VALU_DEP_4)
	v_add_co_ci_u32_e32 v26, vcc_lo, v21, v26, vcc_lo
	v_min_f32_e32 v16, v16, v17
	s_delay_alu instid0(VALU_DEP_1) | instskip(SKIP_3) | instid1(SALU_CYCLE_1)
	v_cvt_f64_f32_e32 v[16:17], v16
	global_store_b64 v[25:26], v[16:17], off
	s_or_b32 exec_lo, exec_lo, s15
	s_and_b32 s16, s1, s8
	s_and_saveexec_b32 s15, s16
	s_cbranch_execz .LBB121_224
.LBB121_234:
	v_cmp_ne_u32_e32 vcc_lo, 1, v18
	s_cbranch_vccnz .LBB121_236
; %bb.235:
	v_lshlrev_b64 v[16:17], 3, v[2:3]
	s_delay_alu instid0(VALU_DEP_1) | instskip(NEXT) | instid1(VALU_DEP_2)
	v_add_co_u32 v16, vcc_lo, v24, v16
	v_add_co_ci_u32_e32 v17, vcc_lo, v23, v17, vcc_lo
	flat_load_b64 v[16:17], v[16:17]
	s_waitcnt vmcnt(0) lgkmcnt(0)
	v_mul_f64 v[16:17], v[16:17], s[10:11]
	s_branch .LBB121_237
.LBB121_236:
	v_mov_b32_e32 v16, 0
	v_mov_b32_e32 v17, 0
.LBB121_237:
	s_delay_alu instid0(VALU_DEP_1) | instskip(SKIP_2) | instid1(VALU_DEP_1)
	v_cvt_f32_f64_e32 v16, v[16:17]
	v_max_f32_e32 v17, v33, v33
	v_lshlrev_b64 v[25:26], 3, v[2:3]
	v_add_co_u32 v25, vcc_lo, v20, v25
	s_delay_alu instid0(VALU_DEP_2) | instskip(NEXT) | instid1(VALU_DEP_4)
	v_add_co_ci_u32_e32 v26, vcc_lo, v21, v26, vcc_lo
	v_min_f32_e32 v16, v16, v17
	s_delay_alu instid0(VALU_DEP_1) | instskip(SKIP_3) | instid1(SALU_CYCLE_1)
	v_cvt_f64_f32_e32 v[16:17], v16
	global_store_b64 v[25:26], v[16:17], off
	s_or_b32 exec_lo, exec_lo, s15
	s_and_b32 s16, s2, s8
	s_and_saveexec_b32 s15, s16
	s_cbranch_execz .LBB121_225
.LBB121_238:
	v_cmp_ne_u32_e32 vcc_lo, 1, v18
	s_cbranch_vccnz .LBB121_240
; %bb.239:
	v_lshlrev_b64 v[16:17], 3, v[4:5]
	s_delay_alu instid0(VALU_DEP_1) | instskip(NEXT) | instid1(VALU_DEP_2)
	v_add_co_u32 v16, vcc_lo, v24, v16
	v_add_co_ci_u32_e32 v17, vcc_lo, v23, v17, vcc_lo
	flat_load_b64 v[16:17], v[16:17]
	s_waitcnt vmcnt(0) lgkmcnt(0)
	v_mul_f64 v[16:17], v[16:17], s[10:11]
	s_branch .LBB121_241
.LBB121_240:
	v_mov_b32_e32 v16, 0
	v_mov_b32_e32 v17, 0
.LBB121_241:
	s_delay_alu instid0(VALU_DEP_1) | instskip(SKIP_2) | instid1(VALU_DEP_1)
	v_cvt_f32_f64_e32 v16, v[16:17]
	v_max_f32_e32 v17, v239, v239
	v_lshlrev_b64 v[25:26], 3, v[4:5]
	v_add_co_u32 v25, vcc_lo, v20, v25
	s_delay_alu instid0(VALU_DEP_2) | instskip(NEXT) | instid1(VALU_DEP_4)
	v_add_co_ci_u32_e32 v26, vcc_lo, v21, v26, vcc_lo
	v_min_f32_e32 v16, v16, v17
	s_delay_alu instid0(VALU_DEP_1) | instskip(SKIP_3) | instid1(SALU_CYCLE_1)
	v_cvt_f64_f32_e32 v[16:17], v16
	global_store_b64 v[25:26], v[16:17], off
	s_or_b32 exec_lo, exec_lo, s15
	s_and_b32 s16, s3, s8
	s_and_saveexec_b32 s15, s16
	s_cbranch_execz .LBB121_226
.LBB121_242:
	v_cmp_ne_u32_e32 vcc_lo, 1, v18
	s_cbranch_vccnz .LBB121_244
; %bb.243:
	v_lshlrev_b64 v[16:17], 3, v[6:7]
	s_delay_alu instid0(VALU_DEP_1) | instskip(NEXT) | instid1(VALU_DEP_2)
	v_add_co_u32 v16, vcc_lo, v24, v16
	v_add_co_ci_u32_e32 v17, vcc_lo, v23, v17, vcc_lo
	flat_load_b64 v[16:17], v[16:17]
	s_waitcnt vmcnt(0) lgkmcnt(0)
	v_mul_f64 v[16:17], v[16:17], s[10:11]
	s_branch .LBB121_245
.LBB121_244:
	v_mov_b32_e32 v16, 0
	v_mov_b32_e32 v17, 0
.LBB121_245:
	s_delay_alu instid0(VALU_DEP_1) | instskip(SKIP_2) | instid1(VALU_DEP_1)
	v_cvt_f32_f64_e32 v16, v[16:17]
	v_max_f32_e32 v17, v81, v81
	v_lshlrev_b64 v[25:26], 3, v[6:7]
	v_add_co_u32 v25, vcc_lo, v20, v25
	s_delay_alu instid0(VALU_DEP_2) | instskip(NEXT) | instid1(VALU_DEP_4)
	v_add_co_ci_u32_e32 v26, vcc_lo, v21, v26, vcc_lo
	v_min_f32_e32 v16, v16, v17
	s_delay_alu instid0(VALU_DEP_1) | instskip(SKIP_3) | instid1(SALU_CYCLE_1)
	v_cvt_f64_f32_e32 v[16:17], v16
	global_store_b64 v[25:26], v[16:17], off
	s_or_b32 exec_lo, exec_lo, s15
	s_and_b32 s16, s4, s8
	s_and_saveexec_b32 s15, s16
	s_cbranch_execz .LBB121_227
.LBB121_246:
	v_cmp_ne_u32_e32 vcc_lo, 1, v18
	s_cbranch_vccnz .LBB121_248
; %bb.247:
	v_lshlrev_b64 v[16:17], 3, v[8:9]
	s_delay_alu instid0(VALU_DEP_1) | instskip(NEXT) | instid1(VALU_DEP_2)
	v_add_co_u32 v16, vcc_lo, v24, v16
	v_add_co_ci_u32_e32 v17, vcc_lo, v23, v17, vcc_lo
	flat_load_b64 v[16:17], v[16:17]
	s_waitcnt vmcnt(0) lgkmcnt(0)
	v_mul_f64 v[16:17], v[16:17], s[10:11]
	s_branch .LBB121_249
.LBB121_248:
	v_mov_b32_e32 v16, 0
	v_mov_b32_e32 v17, 0
.LBB121_249:
	s_delay_alu instid0(VALU_DEP_1) | instskip(SKIP_2) | instid1(VALU_DEP_1)
	v_cvt_f32_f64_e32 v16, v[16:17]
	v_max_f32_e32 v17, v32, v32
	v_lshlrev_b64 v[25:26], 3, v[8:9]
	v_add_co_u32 v25, vcc_lo, v20, v25
	s_delay_alu instid0(VALU_DEP_2) | instskip(NEXT) | instid1(VALU_DEP_4)
	v_add_co_ci_u32_e32 v26, vcc_lo, v21, v26, vcc_lo
	v_min_f32_e32 v16, v16, v17
	s_delay_alu instid0(VALU_DEP_1) | instskip(SKIP_3) | instid1(SALU_CYCLE_1)
	v_cvt_f64_f32_e32 v[16:17], v16
	global_store_b64 v[25:26], v[16:17], off
	s_or_b32 exec_lo, exec_lo, s15
	s_and_b32 s16, s5, s8
	s_and_saveexec_b32 s15, s16
	s_cbranch_execz .LBB121_228
.LBB121_250:
	v_cmp_ne_u32_e32 vcc_lo, 1, v18
	s_cbranch_vccnz .LBB121_252
; %bb.251:
	v_lshlrev_b64 v[16:17], 3, v[10:11]
	s_delay_alu instid0(VALU_DEP_1) | instskip(NEXT) | instid1(VALU_DEP_2)
	v_add_co_u32 v16, vcc_lo, v24, v16
	v_add_co_ci_u32_e32 v17, vcc_lo, v23, v17, vcc_lo
	flat_load_b64 v[16:17], v[16:17]
	s_waitcnt vmcnt(0) lgkmcnt(0)
	v_mul_f64 v[16:17], v[16:17], s[10:11]
	s_branch .LBB121_253
.LBB121_252:
	v_mov_b32_e32 v16, 0
	v_mov_b32_e32 v17, 0
.LBB121_253:
	s_delay_alu instid0(VALU_DEP_1) | instskip(SKIP_2) | instid1(VALU_DEP_1)
	v_cvt_f32_f64_e32 v16, v[16:17]
	v_max_f32_e32 v17, v31, v31
	v_lshlrev_b64 v[25:26], 3, v[10:11]
	v_add_co_u32 v25, vcc_lo, v20, v25
	s_delay_alu instid0(VALU_DEP_2) | instskip(NEXT) | instid1(VALU_DEP_4)
	v_add_co_ci_u32_e32 v26, vcc_lo, v21, v26, vcc_lo
	v_min_f32_e32 v16, v16, v17
	s_delay_alu instid0(VALU_DEP_1) | instskip(SKIP_3) | instid1(SALU_CYCLE_1)
	v_cvt_f64_f32_e32 v[16:17], v16
	global_store_b64 v[25:26], v[16:17], off
	s_or_b32 exec_lo, exec_lo, s15
	s_and_b32 s16, s6, s8
	s_and_saveexec_b32 s15, s16
	s_cbranch_execz .LBB121_229
.LBB121_254:
	v_cmp_ne_u32_e32 vcc_lo, 1, v18
	s_cbranch_vccnz .LBB121_256
; %bb.255:
	v_lshlrev_b64 v[16:17], 3, v[12:13]
	s_delay_alu instid0(VALU_DEP_1) | instskip(NEXT) | instid1(VALU_DEP_2)
	v_add_co_u32 v16, vcc_lo, v24, v16
	v_add_co_ci_u32_e32 v17, vcc_lo, v23, v17, vcc_lo
	flat_load_b64 v[16:17], v[16:17]
	s_waitcnt vmcnt(0) lgkmcnt(0)
	v_mul_f64 v[16:17], v[16:17], s[10:11]
	s_branch .LBB121_257
.LBB121_256:
	v_mov_b32_e32 v16, 0
	v_mov_b32_e32 v17, 0
.LBB121_257:
	s_delay_alu instid0(VALU_DEP_1) | instskip(SKIP_2) | instid1(VALU_DEP_1)
	v_cvt_f32_f64_e32 v16, v[16:17]
	v_max_f32_e32 v17, v30, v30
	v_lshlrev_b64 v[25:26], 3, v[12:13]
	v_add_co_u32 v25, vcc_lo, v20, v25
	s_delay_alu instid0(VALU_DEP_2) | instskip(NEXT) | instid1(VALU_DEP_4)
	v_add_co_ci_u32_e32 v26, vcc_lo, v21, v26, vcc_lo
	v_min_f32_e32 v16, v16, v17
	s_delay_alu instid0(VALU_DEP_1) | instskip(SKIP_3) | instid1(SALU_CYCLE_1)
	v_cvt_f64_f32_e32 v[16:17], v16
	global_store_b64 v[25:26], v[16:17], off
	s_or_b32 exec_lo, exec_lo, s15
	s_and_b32 s15, s7, s8
	s_and_saveexec_b32 s8, s15
	s_cbranch_execz .LBB121_262
.LBB121_258:
	v_cmp_ne_u32_e32 vcc_lo, 1, v18
	s_cbranch_vccnz .LBB121_260
; %bb.259:
	v_lshlrev_b64 v[16:17], 3, v[14:15]
	s_delay_alu instid0(VALU_DEP_1) | instskip(NEXT) | instid1(VALU_DEP_2)
	v_add_co_u32 v16, vcc_lo, v24, v16
	v_add_co_ci_u32_e32 v17, vcc_lo, v23, v17, vcc_lo
	flat_load_b64 v[16:17], v[16:17]
	s_waitcnt vmcnt(0) lgkmcnt(0)
	v_mul_f64 v[16:17], v[16:17], s[10:11]
	s_branch .LBB121_261
.LBB121_260:
	v_mov_b32_e32 v16, 0
	v_mov_b32_e32 v17, 0
.LBB121_261:
	s_delay_alu instid0(VALU_DEP_1) | instskip(SKIP_2) | instid1(VALU_DEP_1)
	v_cvt_f32_f64_e32 v16, v[16:17]
	v_max_f32_e32 v17, v29, v29
	v_lshlrev_b64 v[22:23], 3, v[14:15]
	v_add_co_u32 v20, vcc_lo, v20, v22
	s_delay_alu instid0(VALU_DEP_2) | instskip(NEXT) | instid1(VALU_DEP_4)
	v_add_co_ci_u32_e32 v21, vcc_lo, v21, v23, vcc_lo
	v_min_f32_e32 v16, v16, v17
	s_delay_alu instid0(VALU_DEP_1)
	v_cvt_f64_f32_e32 v[16:17], v16
	global_store_b64 v[20:21], v[16:17], off
.LBB121_262:
	s_or_b32 exec_lo, exec_lo, s8
	v_add_nc_u32_e32 v22, 0xa0, v19
	s_delay_alu instid0(VALU_DEP_1) | instskip(SKIP_2) | instid1(VALU_DEP_3)
	v_mad_i64_i32 v[16:17], null, v22, s18, 0
	v_mad_i64_i32 v[20:21], null, v22, s9, 0
	v_cmp_gt_i32_e64 s8, s17, v22
	v_lshlrev_b64 v[16:17], 3, v[16:17]
	s_delay_alu instid0(VALU_DEP_2) | instskip(NEXT) | instid1(VALU_DEP_3)
	s_and_b32 s16, s0, s8
	v_lshlrev_b64 v[20:21], 3, v[20:21]
	s_delay_alu instid0(VALU_DEP_2) | instskip(NEXT) | instid1(VALU_DEP_3)
	v_add_co_u32 v24, vcc_lo, s12, v16
	v_add_co_ci_u32_e32 v23, vcc_lo, s13, v17, vcc_lo
	s_delay_alu instid0(VALU_DEP_3) | instskip(NEXT) | instid1(VALU_DEP_4)
	v_add_co_u32 v20, vcc_lo, s14, v20
	v_add_co_ci_u32_e32 v21, vcc_lo, s19, v21, vcc_lo
	s_and_saveexec_b32 s15, s16
	s_cbranch_execnz .LBB121_270
; %bb.263:
	s_or_b32 exec_lo, exec_lo, s15
	s_and_b32 s16, s1, s8
	s_delay_alu instid0(SALU_CYCLE_1)
	s_and_saveexec_b32 s15, s16
	s_cbranch_execnz .LBB121_274
.LBB121_264:
	s_or_b32 exec_lo, exec_lo, s15
	s_and_b32 s16, s2, s8
	s_delay_alu instid0(SALU_CYCLE_1)
	s_and_saveexec_b32 s15, s16
	s_cbranch_execnz .LBB121_278
.LBB121_265:
	s_or_b32 exec_lo, exec_lo, s15
	s_and_b32 s16, s3, s8
	s_delay_alu instid0(SALU_CYCLE_1)
	s_and_saveexec_b32 s15, s16
	s_cbranch_execnz .LBB121_282
.LBB121_266:
	s_or_b32 exec_lo, exec_lo, s15
	s_and_b32 s16, s4, s8
	s_delay_alu instid0(SALU_CYCLE_1)
	s_and_saveexec_b32 s15, s16
	s_cbranch_execnz .LBB121_286
.LBB121_267:
	s_or_b32 exec_lo, exec_lo, s15
	s_and_b32 s16, s5, s8
	s_delay_alu instid0(SALU_CYCLE_1)
	s_and_saveexec_b32 s15, s16
	s_cbranch_execnz .LBB121_290
.LBB121_268:
	s_or_b32 exec_lo, exec_lo, s15
	s_and_b32 s16, s6, s8
	s_delay_alu instid0(SALU_CYCLE_1)
	s_and_saveexec_b32 s15, s16
	s_cbranch_execnz .LBB121_294
.LBB121_269:
	s_or_b32 exec_lo, exec_lo, s15
	s_and_b32 s15, s7, s8
	s_delay_alu instid0(SALU_CYCLE_1)
	s_and_saveexec_b32 s8, s15
	s_cbranch_execnz .LBB121_298
	s_branch .LBB121_302
.LBB121_270:
	v_cmp_ne_u32_e32 vcc_lo, 1, v18
	s_cbranch_vccnz .LBB121_272
; %bb.271:
	v_lshlrev_b64 v[16:17], 3, v[0:1]
	s_delay_alu instid0(VALU_DEP_1) | instskip(NEXT) | instid1(VALU_DEP_2)
	v_add_co_u32 v16, vcc_lo, v24, v16
	v_add_co_ci_u32_e32 v17, vcc_lo, v23, v17, vcc_lo
	flat_load_b64 v[16:17], v[16:17]
	s_waitcnt vmcnt(0) lgkmcnt(0)
	v_mul_f64 v[16:17], v[16:17], s[10:11]
	s_branch .LBB121_273
.LBB121_272:
	v_mov_b32_e32 v16, 0
	v_mov_b32_e32 v17, 0
.LBB121_273:
	s_delay_alu instid0(VALU_DEP_1) | instskip(SKIP_2) | instid1(VALU_DEP_1)
	v_cvt_f32_f64_e32 v16, v[16:17]
	v_max_f32_e32 v17, v28, v28
	v_lshlrev_b64 v[25:26], 3, v[0:1]
	v_add_co_u32 v25, vcc_lo, v20, v25
	s_delay_alu instid0(VALU_DEP_2) | instskip(NEXT) | instid1(VALU_DEP_4)
	v_add_co_ci_u32_e32 v26, vcc_lo, v21, v26, vcc_lo
	v_min_f32_e32 v16, v16, v17
	s_delay_alu instid0(VALU_DEP_1) | instskip(SKIP_3) | instid1(SALU_CYCLE_1)
	v_cvt_f64_f32_e32 v[16:17], v16
	global_store_b64 v[25:26], v[16:17], off
	s_or_b32 exec_lo, exec_lo, s15
	s_and_b32 s16, s1, s8
	s_and_saveexec_b32 s15, s16
	s_cbranch_execz .LBB121_264
.LBB121_274:
	v_cmp_ne_u32_e32 vcc_lo, 1, v18
	s_cbranch_vccnz .LBB121_276
; %bb.275:
	v_lshlrev_b64 v[16:17], 3, v[2:3]
	s_delay_alu instid0(VALU_DEP_1) | instskip(NEXT) | instid1(VALU_DEP_2)
	v_add_co_u32 v16, vcc_lo, v24, v16
	v_add_co_ci_u32_e32 v17, vcc_lo, v23, v17, vcc_lo
	flat_load_b64 v[16:17], v[16:17]
	s_waitcnt vmcnt(0) lgkmcnt(0)
	v_mul_f64 v[16:17], v[16:17], s[10:11]
	s_branch .LBB121_277
.LBB121_276:
	v_mov_b32_e32 v16, 0
	v_mov_b32_e32 v17, 0
.LBB121_277:
	s_delay_alu instid0(VALU_DEP_1) | instskip(SKIP_2) | instid1(VALU_DEP_1)
	v_cvt_f32_f64_e32 v16, v[16:17]
	v_max_f32_e32 v17, v27, v27
	v_lshlrev_b64 v[25:26], 3, v[2:3]
	v_add_co_u32 v25, vcc_lo, v20, v25
	s_delay_alu instid0(VALU_DEP_2) | instskip(NEXT) | instid1(VALU_DEP_4)
	v_add_co_ci_u32_e32 v26, vcc_lo, v21, v26, vcc_lo
	v_min_f32_e32 v16, v16, v17
	s_delay_alu instid0(VALU_DEP_1) | instskip(SKIP_3) | instid1(SALU_CYCLE_1)
	v_cvt_f64_f32_e32 v[16:17], v16
	global_store_b64 v[25:26], v[16:17], off
	s_or_b32 exec_lo, exec_lo, s15
	s_and_b32 s16, s2, s8
	s_and_saveexec_b32 s15, s16
	s_cbranch_execz .LBB121_265
.LBB121_278:
	v_cmp_ne_u32_e32 vcc_lo, 1, v18
	s_cbranch_vccnz .LBB121_280
; %bb.279:
	v_lshlrev_b64 v[16:17], 3, v[4:5]
	s_delay_alu instid0(VALU_DEP_1) | instskip(NEXT) | instid1(VALU_DEP_2)
	v_add_co_u32 v16, vcc_lo, v24, v16
	v_add_co_ci_u32_e32 v17, vcc_lo, v23, v17, vcc_lo
	flat_load_b64 v[16:17], v[16:17]
	s_waitcnt vmcnt(0) lgkmcnt(0)
	v_mul_f64 v[16:17], v[16:17], s[10:11]
	s_branch .LBB121_281
.LBB121_280:
	v_mov_b32_e32 v16, 0
	v_mov_b32_e32 v17, 0
.LBB121_281:
	s_delay_alu instid0(VALU_DEP_1) | instskip(SKIP_2) | instid1(VALU_DEP_1)
	v_cvt_f32_f64_e32 v16, v[16:17]
	v_max_f32_e32 v17, v255, v255
	v_lshlrev_b64 v[25:26], 3, v[4:5]
	v_add_co_u32 v25, vcc_lo, v20, v25
	s_delay_alu instid0(VALU_DEP_2) | instskip(NEXT) | instid1(VALU_DEP_4)
	v_add_co_ci_u32_e32 v26, vcc_lo, v21, v26, vcc_lo
	v_min_f32_e32 v16, v16, v17
	s_delay_alu instid0(VALU_DEP_1) | instskip(SKIP_3) | instid1(SALU_CYCLE_1)
	v_cvt_f64_f32_e32 v[16:17], v16
	global_store_b64 v[25:26], v[16:17], off
	s_or_b32 exec_lo, exec_lo, s15
	s_and_b32 s16, s3, s8
	s_and_saveexec_b32 s15, s16
	s_cbranch_execz .LBB121_266
.LBB121_282:
	v_cmp_ne_u32_e32 vcc_lo, 1, v18
	s_cbranch_vccnz .LBB121_284
; %bb.283:
	v_lshlrev_b64 v[16:17], 3, v[6:7]
	s_delay_alu instid0(VALU_DEP_1) | instskip(NEXT) | instid1(VALU_DEP_2)
	v_add_co_u32 v16, vcc_lo, v24, v16
	v_add_co_ci_u32_e32 v17, vcc_lo, v23, v17, vcc_lo
	flat_load_b64 v[16:17], v[16:17]
	s_waitcnt vmcnt(0) lgkmcnt(0)
	v_mul_f64 v[16:17], v[16:17], s[10:11]
	s_branch .LBB121_285
.LBB121_284:
	v_mov_b32_e32 v16, 0
	v_mov_b32_e32 v17, 0
.LBB121_285:
	s_delay_alu instid0(VALU_DEP_1) | instskip(SKIP_2) | instid1(VALU_DEP_1)
	v_cvt_f32_f64_e32 v16, v[16:17]
	v_max_f32_e32 v17, v85, v85
	v_lshlrev_b64 v[25:26], 3, v[6:7]
	v_add_co_u32 v25, vcc_lo, v20, v25
	s_delay_alu instid0(VALU_DEP_2) | instskip(NEXT) | instid1(VALU_DEP_4)
	v_add_co_ci_u32_e32 v26, vcc_lo, v21, v26, vcc_lo
	v_min_f32_e32 v16, v16, v17
	s_delay_alu instid0(VALU_DEP_1) | instskip(SKIP_3) | instid1(SALU_CYCLE_1)
	v_cvt_f64_f32_e32 v[16:17], v16
	global_store_b64 v[25:26], v[16:17], off
	s_or_b32 exec_lo, exec_lo, s15
	s_and_b32 s16, s4, s8
	s_and_saveexec_b32 s15, s16
	s_cbranch_execz .LBB121_267
.LBB121_286:
	v_cmp_ne_u32_e32 vcc_lo, 1, v18
	s_cbranch_vccnz .LBB121_288
; %bb.287:
	v_lshlrev_b64 v[16:17], 3, v[8:9]
	s_delay_alu instid0(VALU_DEP_1) | instskip(NEXT) | instid1(VALU_DEP_2)
	v_add_co_u32 v16, vcc_lo, v24, v16
	v_add_co_ci_u32_e32 v17, vcc_lo, v23, v17, vcc_lo
	flat_load_b64 v[16:17], v[16:17]
	s_waitcnt vmcnt(0) lgkmcnt(0)
	v_mul_f64 v[16:17], v[16:17], s[10:11]
	s_branch .LBB121_289
.LBB121_288:
	v_mov_b32_e32 v16, 0
	v_mov_b32_e32 v17, 0
.LBB121_289:
	s_delay_alu instid0(VALU_DEP_1) | instskip(SKIP_2) | instid1(VALU_DEP_1)
	v_cvt_f32_f64_e32 v16, v[16:17]
	v_max_f32_e32 v17, v132, v132
	v_lshlrev_b64 v[25:26], 3, v[8:9]
	v_add_co_u32 v25, vcc_lo, v20, v25
	s_delay_alu instid0(VALU_DEP_2) | instskip(NEXT) | instid1(VALU_DEP_4)
	v_add_co_ci_u32_e32 v26, vcc_lo, v21, v26, vcc_lo
	v_min_f32_e32 v16, v16, v17
	s_delay_alu instid0(VALU_DEP_1) | instskip(SKIP_3) | instid1(SALU_CYCLE_1)
	v_cvt_f64_f32_e32 v[16:17], v16
	global_store_b64 v[25:26], v[16:17], off
	s_or_b32 exec_lo, exec_lo, s15
	s_and_b32 s16, s5, s8
	s_and_saveexec_b32 s15, s16
	s_cbranch_execz .LBB121_268
.LBB121_290:
	v_cmp_ne_u32_e32 vcc_lo, 1, v18
	s_cbranch_vccnz .LBB121_292
; %bb.291:
	v_lshlrev_b64 v[16:17], 3, v[10:11]
	s_delay_alu instid0(VALU_DEP_1) | instskip(NEXT) | instid1(VALU_DEP_2)
	v_add_co_u32 v16, vcc_lo, v24, v16
	v_add_co_ci_u32_e32 v17, vcc_lo, v23, v17, vcc_lo
	flat_load_b64 v[16:17], v[16:17]
	s_waitcnt vmcnt(0) lgkmcnt(0)
	v_mul_f64 v[16:17], v[16:17], s[10:11]
	s_branch .LBB121_293
.LBB121_292:
	v_mov_b32_e32 v16, 0
	v_mov_b32_e32 v17, 0
.LBB121_293:
	s_delay_alu instid0(VALU_DEP_1) | instskip(SKIP_2) | instid1(VALU_DEP_1)
	v_cvt_f32_f64_e32 v16, v[16:17]
	v_max_f32_e32 v17, v234, v234
	v_lshlrev_b64 v[25:26], 3, v[10:11]
	v_add_co_u32 v25, vcc_lo, v20, v25
	s_delay_alu instid0(VALU_DEP_2) | instskip(NEXT) | instid1(VALU_DEP_4)
	v_add_co_ci_u32_e32 v26, vcc_lo, v21, v26, vcc_lo
	v_min_f32_e32 v16, v16, v17
	s_delay_alu instid0(VALU_DEP_1) | instskip(SKIP_3) | instid1(SALU_CYCLE_1)
	v_cvt_f64_f32_e32 v[16:17], v16
	global_store_b64 v[25:26], v[16:17], off
	s_or_b32 exec_lo, exec_lo, s15
	s_and_b32 s16, s6, s8
	s_and_saveexec_b32 s15, s16
	s_cbranch_execz .LBB121_269
.LBB121_294:
	v_cmp_ne_u32_e32 vcc_lo, 1, v18
	s_cbranch_vccnz .LBB121_296
; %bb.295:
	v_lshlrev_b64 v[16:17], 3, v[12:13]
	s_delay_alu instid0(VALU_DEP_1) | instskip(NEXT) | instid1(VALU_DEP_2)
	v_add_co_u32 v16, vcc_lo, v24, v16
	v_add_co_ci_u32_e32 v17, vcc_lo, v23, v17, vcc_lo
	flat_load_b64 v[16:17], v[16:17]
	s_waitcnt vmcnt(0) lgkmcnt(0)
	v_mul_f64 v[16:17], v[16:17], s[10:11]
	s_branch .LBB121_297
.LBB121_296:
	v_mov_b32_e32 v16, 0
	v_mov_b32_e32 v17, 0
.LBB121_297:
	s_delay_alu instid0(VALU_DEP_1) | instskip(SKIP_2) | instid1(VALU_DEP_1)
	v_cvt_f32_f64_e32 v16, v[16:17]
	v_max_f32_e32 v17, v184, v184
	v_lshlrev_b64 v[25:26], 3, v[12:13]
	v_add_co_u32 v25, vcc_lo, v20, v25
	s_delay_alu instid0(VALU_DEP_2) | instskip(NEXT) | instid1(VALU_DEP_4)
	v_add_co_ci_u32_e32 v26, vcc_lo, v21, v26, vcc_lo
	v_min_f32_e32 v16, v16, v17
	s_delay_alu instid0(VALU_DEP_1) | instskip(SKIP_3) | instid1(SALU_CYCLE_1)
	v_cvt_f64_f32_e32 v[16:17], v16
	global_store_b64 v[25:26], v[16:17], off
	s_or_b32 exec_lo, exec_lo, s15
	s_and_b32 s15, s7, s8
	s_and_saveexec_b32 s8, s15
	s_cbranch_execz .LBB121_302
.LBB121_298:
	v_cmp_ne_u32_e32 vcc_lo, 1, v18
	s_cbranch_vccnz .LBB121_300
; %bb.299:
	v_lshlrev_b64 v[16:17], 3, v[14:15]
	s_delay_alu instid0(VALU_DEP_1) | instskip(NEXT) | instid1(VALU_DEP_2)
	v_add_co_u32 v16, vcc_lo, v24, v16
	v_add_co_ci_u32_e32 v17, vcc_lo, v23, v17, vcc_lo
	flat_load_b64 v[16:17], v[16:17]
	s_waitcnt vmcnt(0) lgkmcnt(0)
	v_mul_f64 v[16:17], v[16:17], s[10:11]
	s_branch .LBB121_301
.LBB121_300:
	v_mov_b32_e32 v16, 0
	v_mov_b32_e32 v17, 0
.LBB121_301:
	s_delay_alu instid0(VALU_DEP_1) | instskip(SKIP_2) | instid1(VALU_DEP_1)
	v_cvt_f32_f64_e32 v16, v[16:17]
	v_max_f32_e32 v17, v134, v134
	v_lshlrev_b64 v[22:23], 3, v[14:15]
	v_add_co_u32 v20, vcc_lo, v20, v22
	s_delay_alu instid0(VALU_DEP_2) | instskip(NEXT) | instid1(VALU_DEP_4)
	v_add_co_ci_u32_e32 v21, vcc_lo, v21, v23, vcc_lo
	v_min_f32_e32 v16, v16, v17
	s_delay_alu instid0(VALU_DEP_1)
	v_cvt_f64_f32_e32 v[16:17], v16
	global_store_b64 v[20:21], v[16:17], off
.LBB121_302:
	s_or_b32 exec_lo, exec_lo, s8
	v_add_nc_u32_e32 v22, 0xc0, v19
	s_delay_alu instid0(VALU_DEP_1) | instskip(SKIP_2) | instid1(VALU_DEP_3)
	v_mad_i64_i32 v[16:17], null, v22, s18, 0
	v_mad_i64_i32 v[20:21], null, v22, s9, 0
	v_cmp_gt_i32_e64 s8, s17, v22
	v_lshlrev_b64 v[16:17], 3, v[16:17]
	s_delay_alu instid0(VALU_DEP_2) | instskip(NEXT) | instid1(VALU_DEP_3)
	s_and_b32 s16, s0, s8
	v_lshlrev_b64 v[20:21], 3, v[20:21]
	s_delay_alu instid0(VALU_DEP_2) | instskip(NEXT) | instid1(VALU_DEP_3)
	v_add_co_u32 v22, vcc_lo, s12, v16
	v_add_co_ci_u32_e32 v23, vcc_lo, s13, v17, vcc_lo
	s_delay_alu instid0(VALU_DEP_3) | instskip(NEXT) | instid1(VALU_DEP_4)
	v_add_co_u32 v20, vcc_lo, s14, v20
	v_add_co_ci_u32_e32 v21, vcc_lo, s19, v21, vcc_lo
	s_and_saveexec_b32 s15, s16
	s_cbranch_execnz .LBB121_310
; %bb.303:
	s_or_b32 exec_lo, exec_lo, s15
	s_and_b32 s16, s1, s8
	s_delay_alu instid0(SALU_CYCLE_1)
	s_and_saveexec_b32 s15, s16
	s_cbranch_execnz .LBB121_314
.LBB121_304:
	s_or_b32 exec_lo, exec_lo, s15
	s_and_b32 s16, s2, s8
	s_delay_alu instid0(SALU_CYCLE_1)
	s_and_saveexec_b32 s15, s16
	s_cbranch_execnz .LBB121_318
.LBB121_305:
	s_or_b32 exec_lo, exec_lo, s15
	s_and_b32 s16, s3, s8
	s_delay_alu instid0(SALU_CYCLE_1)
	s_and_saveexec_b32 s15, s16
	s_cbranch_execnz .LBB121_322
.LBB121_306:
	s_or_b32 exec_lo, exec_lo, s15
	s_and_b32 s16, s4, s8
	s_delay_alu instid0(SALU_CYCLE_1)
	s_and_saveexec_b32 s15, s16
	s_cbranch_execnz .LBB121_326
.LBB121_307:
	s_or_b32 exec_lo, exec_lo, s15
	s_and_b32 s16, s5, s8
	s_delay_alu instid0(SALU_CYCLE_1)
	s_and_saveexec_b32 s15, s16
	s_cbranch_execnz .LBB121_330
.LBB121_308:
	s_or_b32 exec_lo, exec_lo, s15
	s_and_b32 s16, s6, s8
	s_delay_alu instid0(SALU_CYCLE_1)
	s_and_saveexec_b32 s15, s16
	s_cbranch_execnz .LBB121_334
.LBB121_309:
	s_or_b32 exec_lo, exec_lo, s15
	s_and_b32 s15, s7, s8
	s_delay_alu instid0(SALU_CYCLE_1)
	s_and_saveexec_b32 s8, s15
	s_cbranch_execnz .LBB121_338
	s_branch .LBB121_342
.LBB121_310:
	v_cmp_ne_u32_e32 vcc_lo, 1, v18
	s_cbranch_vccnz .LBB121_312
; %bb.311:
	v_lshlrev_b64 v[16:17], 3, v[0:1]
	s_delay_alu instid0(VALU_DEP_1) | instskip(NEXT) | instid1(VALU_DEP_2)
	v_add_co_u32 v16, vcc_lo, v22, v16
	v_add_co_ci_u32_e32 v17, vcc_lo, v23, v17, vcc_lo
	flat_load_b64 v[16:17], v[16:17]
	s_waitcnt vmcnt(0) lgkmcnt(0)
	v_mul_f64 v[16:17], v[16:17], s[10:11]
	s_branch .LBB121_313
.LBB121_312:
	v_mov_b32_e32 v16, 0
	v_mov_b32_e32 v17, 0
.LBB121_313:
	s_delay_alu instid0(VALU_DEP_1) | instskip(SKIP_2) | instid1(VALU_DEP_1)
	v_cvt_f32_f64_e32 v16, v[16:17]
	scratch_load_b32 v17, off, off offset:4 ; 4-byte Folded Reload
	v_lshlrev_b64 v[24:25], 3, v[0:1]
	v_add_co_u32 v24, vcc_lo, v20, v24
	s_delay_alu instid0(VALU_DEP_2) | instskip(SKIP_2) | instid1(VALU_DEP_1)
	v_add_co_ci_u32_e32 v25, vcc_lo, v21, v25, vcc_lo
	s_waitcnt vmcnt(0)
	v_max_f32_e32 v17, v17, v17
	v_min_f32_e32 v16, v16, v17
	s_delay_alu instid0(VALU_DEP_1) | instskip(SKIP_3) | instid1(SALU_CYCLE_1)
	v_cvt_f64_f32_e32 v[16:17], v16
	global_store_b64 v[24:25], v[16:17], off
	s_or_b32 exec_lo, exec_lo, s15
	s_and_b32 s16, s1, s8
	s_and_saveexec_b32 s15, s16
	s_cbranch_execz .LBB121_304
.LBB121_314:
	v_cmp_ne_u32_e32 vcc_lo, 1, v18
	s_cbranch_vccnz .LBB121_316
; %bb.315:
	v_lshlrev_b64 v[16:17], 3, v[2:3]
	s_delay_alu instid0(VALU_DEP_1) | instskip(NEXT) | instid1(VALU_DEP_2)
	v_add_co_u32 v16, vcc_lo, v22, v16
	v_add_co_ci_u32_e32 v17, vcc_lo, v23, v17, vcc_lo
	flat_load_b64 v[16:17], v[16:17]
	s_waitcnt vmcnt(0) lgkmcnt(0)
	v_mul_f64 v[16:17], v[16:17], s[10:11]
	s_branch .LBB121_317
.LBB121_316:
	v_mov_b32_e32 v16, 0
	v_mov_b32_e32 v17, 0
.LBB121_317:
	s_delay_alu instid0(VALU_DEP_1) | instskip(SKIP_2) | instid1(VALU_DEP_1)
	v_cvt_f32_f64_e32 v16, v[16:17]
	v_max_f32_e32 v17, v136, v136
	v_lshlrev_b64 v[24:25], 3, v[2:3]
	v_add_co_u32 v24, vcc_lo, v20, v24
	s_delay_alu instid0(VALU_DEP_2) | instskip(NEXT) | instid1(VALU_DEP_4)
	v_add_co_ci_u32_e32 v25, vcc_lo, v21, v25, vcc_lo
	v_min_f32_e32 v16, v16, v17
	s_delay_alu instid0(VALU_DEP_1) | instskip(SKIP_3) | instid1(SALU_CYCLE_1)
	v_cvt_f64_f32_e32 v[16:17], v16
	global_store_b64 v[24:25], v[16:17], off
	s_or_b32 exec_lo, exec_lo, s15
	s_and_b32 s16, s2, s8
	s_and_saveexec_b32 s15, s16
	s_cbranch_execz .LBB121_305
.LBB121_318:
	v_cmp_ne_u32_e32 vcc_lo, 1, v18
	s_cbranch_vccnz .LBB121_320
; %bb.319:
	v_lshlrev_b64 v[16:17], 3, v[4:5]
	s_delay_alu instid0(VALU_DEP_1) | instskip(NEXT) | instid1(VALU_DEP_2)
	v_add_co_u32 v16, vcc_lo, v22, v16
	v_add_co_ci_u32_e32 v17, vcc_lo, v23, v17, vcc_lo
	flat_load_b64 v[16:17], v[16:17]
	s_waitcnt vmcnt(0) lgkmcnt(0)
	v_mul_f64 v[16:17], v[16:17], s[10:11]
	s_branch .LBB121_321
.LBB121_320:
	v_mov_b32_e32 v16, 0
	v_mov_b32_e32 v17, 0
.LBB121_321:
	s_delay_alu instid0(VALU_DEP_1) | instskip(SKIP_2) | instid1(VALU_DEP_1)
	v_cvt_f32_f64_e32 v16, v[16:17]
	v_max_f32_e32 v17, v237, v237
	v_lshlrev_b64 v[24:25], 3, v[4:5]
	v_add_co_u32 v24, vcc_lo, v20, v24
	s_delay_alu instid0(VALU_DEP_2) | instskip(NEXT) | instid1(VALU_DEP_4)
	v_add_co_ci_u32_e32 v25, vcc_lo, v21, v25, vcc_lo
	v_min_f32_e32 v16, v16, v17
	s_delay_alu instid0(VALU_DEP_1) | instskip(SKIP_3) | instid1(SALU_CYCLE_1)
	v_cvt_f64_f32_e32 v[16:17], v16
	global_store_b64 v[24:25], v[16:17], off
	s_or_b32 exec_lo, exec_lo, s15
	s_and_b32 s16, s3, s8
	s_and_saveexec_b32 s15, s16
	s_cbranch_execz .LBB121_306
.LBB121_322:
	v_cmp_ne_u32_e32 vcc_lo, 1, v18
	s_cbranch_vccnz .LBB121_324
; %bb.323:
	v_lshlrev_b64 v[16:17], 3, v[6:7]
	s_delay_alu instid0(VALU_DEP_1) | instskip(NEXT) | instid1(VALU_DEP_2)
	v_add_co_u32 v16, vcc_lo, v22, v16
	v_add_co_ci_u32_e32 v17, vcc_lo, v23, v17, vcc_lo
	flat_load_b64 v[16:17], v[16:17]
	s_waitcnt vmcnt(0) lgkmcnt(0)
	v_mul_f64 v[16:17], v[16:17], s[10:11]
	s_branch .LBB121_325
.LBB121_324:
	v_mov_b32_e32 v16, 0
	v_mov_b32_e32 v17, 0
.LBB121_325:
	s_delay_alu instid0(VALU_DEP_1) | instskip(SKIP_2) | instid1(VALU_DEP_1)
	v_cvt_f32_f64_e32 v16, v[16:17]
	scratch_load_b32 v17, off, off offset:8 ; 4-byte Folded Reload
	v_lshlrev_b64 v[24:25], 3, v[6:7]
	v_add_co_u32 v24, vcc_lo, v20, v24
	s_delay_alu instid0(VALU_DEP_2) | instskip(SKIP_2) | instid1(VALU_DEP_1)
	v_add_co_ci_u32_e32 v25, vcc_lo, v21, v25, vcc_lo
	s_waitcnt vmcnt(0)
	v_max_f32_e32 v17, v17, v17
	v_min_f32_e32 v16, v16, v17
	s_delay_alu instid0(VALU_DEP_1) | instskip(SKIP_3) | instid1(SALU_CYCLE_1)
	v_cvt_f64_f32_e32 v[16:17], v16
	global_store_b64 v[24:25], v[16:17], off
	s_or_b32 exec_lo, exec_lo, s15
	s_and_b32 s16, s4, s8
	s_and_saveexec_b32 s15, s16
	s_cbranch_execz .LBB121_307
.LBB121_326:
	v_cmp_ne_u32_e32 vcc_lo, 1, v18
	s_cbranch_vccnz .LBB121_328
; %bb.327:
	v_lshlrev_b64 v[16:17], 3, v[8:9]
	s_delay_alu instid0(VALU_DEP_1) | instskip(NEXT) | instid1(VALU_DEP_2)
	v_add_co_u32 v16, vcc_lo, v22, v16
	v_add_co_ci_u32_e32 v17, vcc_lo, v23, v17, vcc_lo
	flat_load_b64 v[16:17], v[16:17]
	s_waitcnt vmcnt(0) lgkmcnt(0)
	v_mul_f64 v[16:17], v[16:17], s[10:11]
	s_branch .LBB121_329
.LBB121_328:
	v_mov_b32_e32 v16, 0
	v_mov_b32_e32 v17, 0
.LBB121_329:
	s_delay_alu instid0(VALU_DEP_1) | instskip(SKIP_2) | instid1(VALU_DEP_1)
	v_cvt_f32_f64_e32 v16, v[16:17]
	v_max_f32_e32 v17, v197, v197
	v_lshlrev_b64 v[24:25], 3, v[8:9]
	v_add_co_u32 v24, vcc_lo, v20, v24
	s_delay_alu instid0(VALU_DEP_2) | instskip(NEXT) | instid1(VALU_DEP_4)
	v_add_co_ci_u32_e32 v25, vcc_lo, v21, v25, vcc_lo
	v_min_f32_e32 v16, v16, v17
	s_delay_alu instid0(VALU_DEP_1) | instskip(SKIP_3) | instid1(SALU_CYCLE_1)
	v_cvt_f64_f32_e32 v[16:17], v16
	global_store_b64 v[24:25], v[16:17], off
	s_or_b32 exec_lo, exec_lo, s15
	s_and_b32 s16, s5, s8
	s_and_saveexec_b32 s15, s16
	s_cbranch_execz .LBB121_308
.LBB121_330:
	v_cmp_ne_u32_e32 vcc_lo, 1, v18
	s_cbranch_vccnz .LBB121_332
; %bb.331:
	v_lshlrev_b64 v[16:17], 3, v[10:11]
	s_delay_alu instid0(VALU_DEP_1) | instskip(NEXT) | instid1(VALU_DEP_2)
	v_add_co_u32 v16, vcc_lo, v22, v16
	v_add_co_ci_u32_e32 v17, vcc_lo, v23, v17, vcc_lo
	flat_load_b64 v[16:17], v[16:17]
	s_waitcnt vmcnt(0) lgkmcnt(0)
	v_mul_f64 v[16:17], v[16:17], s[10:11]
	s_branch .LBB121_333
.LBB121_332:
	v_mov_b32_e32 v16, 0
	v_mov_b32_e32 v17, 0
.LBB121_333:
	s_delay_alu instid0(VALU_DEP_1) | instskip(SKIP_2) | instid1(VALU_DEP_1)
	v_cvt_f32_f64_e32 v16, v[16:17]
	scratch_load_b32 v17, off, off          ; 4-byte Folded Reload
	v_lshlrev_b64 v[24:25], 3, v[10:11]
	v_add_co_u32 v24, vcc_lo, v20, v24
	s_delay_alu instid0(VALU_DEP_2) | instskip(SKIP_2) | instid1(VALU_DEP_1)
	v_add_co_ci_u32_e32 v25, vcc_lo, v21, v25, vcc_lo
	s_waitcnt vmcnt(0)
	v_max_f32_e32 v17, v17, v17
	v_min_f32_e32 v16, v16, v17
	s_delay_alu instid0(VALU_DEP_1) | instskip(SKIP_3) | instid1(SALU_CYCLE_1)
	v_cvt_f64_f32_e32 v[16:17], v16
	global_store_b64 v[24:25], v[16:17], off
	s_or_b32 exec_lo, exec_lo, s15
	s_and_b32 s16, s6, s8
	s_and_saveexec_b32 s15, s16
	s_cbranch_execz .LBB121_309
.LBB121_334:
	v_cmp_ne_u32_e32 vcc_lo, 1, v18
	s_cbranch_vccnz .LBB121_336
; %bb.335:
	v_lshlrev_b64 v[16:17], 3, v[12:13]
	s_delay_alu instid0(VALU_DEP_1) | instskip(NEXT) | instid1(VALU_DEP_2)
	v_add_co_u32 v16, vcc_lo, v22, v16
	v_add_co_ci_u32_e32 v17, vcc_lo, v23, v17, vcc_lo
	flat_load_b64 v[16:17], v[16:17]
	s_waitcnt vmcnt(0) lgkmcnt(0)
	v_mul_f64 v[16:17], v[16:17], s[10:11]
	s_branch .LBB121_337
.LBB121_336:
	v_mov_b32_e32 v16, 0
	v_mov_b32_e32 v17, 0
.LBB121_337:
	s_delay_alu instid0(VALU_DEP_1) | instskip(SKIP_2) | instid1(VALU_DEP_1)
	v_cvt_f32_f64_e32 v16, v[16:17]
	v_max_f32_e32 v17, v125, v125
	v_lshlrev_b64 v[24:25], 3, v[12:13]
	v_add_co_u32 v24, vcc_lo, v20, v24
	s_delay_alu instid0(VALU_DEP_2) | instskip(NEXT) | instid1(VALU_DEP_4)
	v_add_co_ci_u32_e32 v25, vcc_lo, v21, v25, vcc_lo
	v_min_f32_e32 v16, v16, v17
	s_delay_alu instid0(VALU_DEP_1) | instskip(SKIP_3) | instid1(SALU_CYCLE_1)
	v_cvt_f64_f32_e32 v[16:17], v16
	global_store_b64 v[24:25], v[16:17], off
	s_or_b32 exec_lo, exec_lo, s15
	s_and_b32 s15, s7, s8
	s_and_saveexec_b32 s8, s15
	s_cbranch_execz .LBB121_342
.LBB121_338:
	v_cmp_ne_u32_e32 vcc_lo, 1, v18
	s_cbranch_vccnz .LBB121_340
; %bb.339:
	v_lshlrev_b64 v[16:17], 3, v[14:15]
	s_delay_alu instid0(VALU_DEP_1) | instskip(NEXT) | instid1(VALU_DEP_2)
	v_add_co_u32 v16, vcc_lo, v22, v16
	v_add_co_ci_u32_e32 v17, vcc_lo, v23, v17, vcc_lo
	flat_load_b64 v[16:17], v[16:17]
	s_waitcnt vmcnt(0) lgkmcnt(0)
	v_mul_f64 v[16:17], v[16:17], s[10:11]
	s_branch .LBB121_341
.LBB121_340:
	v_mov_b32_e32 v16, 0
	v_mov_b32_e32 v17, 0
.LBB121_341:
	s_delay_alu instid0(VALU_DEP_1) | instskip(SKIP_2) | instid1(VALU_DEP_1)
	v_cvt_f32_f64_e32 v16, v[16:17]
	v_max_f32_e32 v17, v124, v124
	v_lshlrev_b64 v[22:23], 3, v[14:15]
	v_add_co_u32 v20, vcc_lo, v20, v22
	s_delay_alu instid0(VALU_DEP_2) | instskip(NEXT) | instid1(VALU_DEP_4)
	v_add_co_ci_u32_e32 v21, vcc_lo, v21, v23, vcc_lo
	v_min_f32_e32 v16, v16, v17
	s_delay_alu instid0(VALU_DEP_1)
	v_cvt_f64_f32_e32 v[16:17], v16
	global_store_b64 v[20:21], v[16:17], off
.LBB121_342:
	s_or_b32 exec_lo, exec_lo, s8
	v_add_nc_u32_e32 v21, 0xe0, v19
	s_delay_alu instid0(VALU_DEP_1) | instskip(SKIP_2) | instid1(VALU_DEP_3)
	v_mad_i64_i32 v[16:17], null, v21, s18, 0
	v_mad_i64_i32 v[19:20], null, v21, s9, 0
	v_cmp_gt_i32_e64 s8, s17, v21
	v_lshlrev_b64 v[16:17], 3, v[16:17]
	s_delay_alu instid0(VALU_DEP_2) | instskip(NEXT) | instid1(VALU_DEP_3)
	s_and_b32 s9, s0, s8
	v_lshlrev_b64 v[21:22], 3, v[19:20]
	s_delay_alu instid0(VALU_DEP_2) | instskip(NEXT) | instid1(VALU_DEP_3)
	v_add_co_u32 v19, vcc_lo, s12, v16
	v_add_co_ci_u32_e32 v20, vcc_lo, s13, v17, vcc_lo
	s_delay_alu instid0(VALU_DEP_3) | instskip(NEXT) | instid1(VALU_DEP_4)
	v_add_co_u32 v16, vcc_lo, s14, v21
	v_add_co_ci_u32_e32 v17, vcc_lo, s19, v22, vcc_lo
	s_and_saveexec_b32 s0, s9
	s_cbranch_execnz .LBB121_351
; %bb.343:
	s_or_b32 exec_lo, exec_lo, s0
	s_and_b32 s1, s1, s8
	s_delay_alu instid0(SALU_CYCLE_1)
	s_and_saveexec_b32 s0, s1
	s_cbranch_execnz .LBB121_355
.LBB121_344:
	s_or_b32 exec_lo, exec_lo, s0
	s_and_b32 s1, s2, s8
	s_delay_alu instid0(SALU_CYCLE_1)
	s_and_saveexec_b32 s0, s1
	s_cbranch_execnz .LBB121_359
.LBB121_345:
	s_or_b32 exec_lo, exec_lo, s0
	s_and_b32 s1, s3, s8
	s_delay_alu instid0(SALU_CYCLE_1)
	s_and_saveexec_b32 s0, s1
	s_cbranch_execnz .LBB121_363
.LBB121_346:
	s_or_b32 exec_lo, exec_lo, s0
	s_and_b32 s1, s4, s8
	s_delay_alu instid0(SALU_CYCLE_1)
	s_and_saveexec_b32 s0, s1
	s_cbranch_execnz .LBB121_367
.LBB121_347:
	s_or_b32 exec_lo, exec_lo, s0
	s_and_b32 s1, s5, s8
	s_delay_alu instid0(SALU_CYCLE_1)
	s_and_saveexec_b32 s0, s1
	s_cbranch_execnz .LBB121_371
.LBB121_348:
	s_or_b32 exec_lo, exec_lo, s0
	s_and_b32 s1, s6, s8
	s_delay_alu instid0(SALU_CYCLE_1)
	s_and_saveexec_b32 s0, s1
	s_cbranch_execnz .LBB121_375
.LBB121_349:
	s_or_b32 exec_lo, exec_lo, s0
	s_and_b32 s0, s7, s8
	s_delay_alu instid0(SALU_CYCLE_1)
	s_and_saveexec_b32 s1, s0
	s_cbranch_execnz .LBB121_379
.LBB121_350:
	s_endpgm
.LBB121_351:
	v_cmp_ne_u32_e32 vcc_lo, 1, v18
	v_lshlrev_b64 v[0:1], 3, v[0:1]
	s_cbranch_vccnz .LBB121_353
; %bb.352:
	s_delay_alu instid0(VALU_DEP_1) | instskip(NEXT) | instid1(VALU_DEP_2)
	v_add_co_u32 v21, vcc_lo, v19, v0
	v_add_co_ci_u32_e32 v22, vcc_lo, v20, v1, vcc_lo
	flat_load_b64 v[21:22], v[21:22]
	s_waitcnt vmcnt(0) lgkmcnt(0)
	v_mul_f64 v[21:22], v[21:22], s[10:11]
	s_delay_alu instid0(VALU_DEP_1)
	v_cvt_f32_f64_e32 v21, v[21:22]
	s_branch .LBB121_354
.LBB121_353:
	v_mov_b32_e32 v21, 0
.LBB121_354:
	s_delay_alu instid0(VALU_DEP_1) | instskip(NEXT) | instid1(VALU_DEP_3)
	v_dual_max_f32 v22, v135, v135 :: v_dual_max_f32 v21, v21, v21
	v_add_co_u32 v0, vcc_lo, v16, v0
	s_delay_alu instid0(VALU_DEP_4) | instskip(NEXT) | instid1(VALU_DEP_3)
	v_add_co_ci_u32_e32 v1, vcc_lo, v17, v1, vcc_lo
	v_min_f32_e32 v21, v21, v22
	s_delay_alu instid0(VALU_DEP_1) | instskip(SKIP_3) | instid1(SALU_CYCLE_1)
	v_cvt_f64_f32_e32 v[21:22], v21
	global_store_b64 v[0:1], v[21:22], off
	s_or_b32 exec_lo, exec_lo, s0
	s_and_b32 s1, s1, s8
	s_and_saveexec_b32 s0, s1
	s_cbranch_execz .LBB121_344
.LBB121_355:
	v_cmp_ne_u32_e32 vcc_lo, 1, v18
	v_lshlrev_b64 v[0:1], 3, v[2:3]
	s_cbranch_vccnz .LBB121_357
; %bb.356:
	s_delay_alu instid0(VALU_DEP_1) | instskip(NEXT) | instid1(VALU_DEP_2)
	v_add_co_u32 v2, vcc_lo, v19, v0
	v_add_co_ci_u32_e32 v3, vcc_lo, v20, v1, vcc_lo
	flat_load_b64 v[2:3], v[2:3]
	s_waitcnt vmcnt(0) lgkmcnt(0)
	v_mul_f64 v[2:3], v[2:3], s[10:11]
	s_delay_alu instid0(VALU_DEP_1)
	v_cvt_f32_f64_e32 v2, v[2:3]
	s_branch .LBB121_358
.LBB121_357:
	v_mov_b32_e32 v2, 0
.LBB121_358:
	v_max_f32_e32 v3, v122, v122
	s_delay_alu instid0(VALU_DEP_2) | instskip(NEXT) | instid1(VALU_DEP_4)
	v_max_f32_e32 v2, v2, v2
	v_add_co_u32 v0, vcc_lo, v16, v0
	v_add_co_ci_u32_e32 v1, vcc_lo, v17, v1, vcc_lo
	s_delay_alu instid0(VALU_DEP_3) | instskip(NEXT) | instid1(VALU_DEP_1)
	v_min_f32_e32 v2, v2, v3
	v_cvt_f64_f32_e32 v[2:3], v2
	global_store_b64 v[0:1], v[2:3], off
	s_or_b32 exec_lo, exec_lo, s0
	s_and_b32 s1, s2, s8
	s_delay_alu instid0(SALU_CYCLE_1)
	s_and_saveexec_b32 s0, s1
	s_cbranch_execz .LBB121_345
.LBB121_359:
	v_cmp_ne_u32_e32 vcc_lo, 1, v18
	v_lshlrev_b64 v[0:1], 3, v[4:5]
	s_cbranch_vccnz .LBB121_361
; %bb.360:
	s_delay_alu instid0(VALU_DEP_1) | instskip(NEXT) | instid1(VALU_DEP_2)
	v_add_co_u32 v2, vcc_lo, v19, v0
	v_add_co_ci_u32_e32 v3, vcc_lo, v20, v1, vcc_lo
	flat_load_b64 v[2:3], v[2:3]
	s_waitcnt vmcnt(0) lgkmcnt(0)
	v_mul_f64 v[2:3], v[2:3], s[10:11]
	s_delay_alu instid0(VALU_DEP_1)
	v_cvt_f32_f64_e32 v2, v[2:3]
	s_branch .LBB121_362
.LBB121_361:
	v_mov_b32_e32 v2, 0
.LBB121_362:
	s_delay_alu instid0(VALU_DEP_1) | instskip(NEXT) | instid1(VALU_DEP_3)
	v_dual_max_f32 v3, v131, v131 :: v_dual_max_f32 v2, v2, v2
	v_add_co_u32 v0, vcc_lo, v16, v0
	s_delay_alu instid0(VALU_DEP_4) | instskip(NEXT) | instid1(VALU_DEP_3)
	v_add_co_ci_u32_e32 v1, vcc_lo, v17, v1, vcc_lo
	v_min_f32_e32 v2, v2, v3
	s_delay_alu instid0(VALU_DEP_1) | instskip(SKIP_3) | instid1(SALU_CYCLE_1)
	v_cvt_f64_f32_e32 v[2:3], v2
	global_store_b64 v[0:1], v[2:3], off
	s_or_b32 exec_lo, exec_lo, s0
	s_and_b32 s1, s3, s8
	s_and_saveexec_b32 s0, s1
	s_cbranch_execz .LBB121_346
.LBB121_363:
	v_cmp_ne_u32_e32 vcc_lo, 1, v18
	v_lshlrev_b64 v[0:1], 3, v[6:7]
	s_cbranch_vccnz .LBB121_365
; %bb.364:
	s_delay_alu instid0(VALU_DEP_1) | instskip(NEXT) | instid1(VALU_DEP_2)
	v_add_co_u32 v2, vcc_lo, v19, v0
	v_add_co_ci_u32_e32 v3, vcc_lo, v20, v1, vcc_lo
	flat_load_b64 v[2:3], v[2:3]
	s_waitcnt vmcnt(0) lgkmcnt(0)
	v_mul_f64 v[2:3], v[2:3], s[10:11]
	s_delay_alu instid0(VALU_DEP_1)
	v_cvt_f32_f64_e32 v2, v[2:3]
	s_branch .LBB121_366
.LBB121_365:
	v_mov_b32_e32 v2, 0
.LBB121_366:
	s_delay_alu instid0(VALU_DEP_1) | instskip(NEXT) | instid1(VALU_DEP_3)
	v_dual_max_f32 v3, v83, v83 :: v_dual_max_f32 v2, v2, v2
	v_add_co_u32 v0, vcc_lo, v16, v0
	s_delay_alu instid0(VALU_DEP_4) | instskip(NEXT) | instid1(VALU_DEP_3)
	v_add_co_ci_u32_e32 v1, vcc_lo, v17, v1, vcc_lo
	v_min_f32_e32 v2, v2, v3
	s_delay_alu instid0(VALU_DEP_1) | instskip(SKIP_3) | instid1(SALU_CYCLE_1)
	v_cvt_f64_f32_e32 v[2:3], v2
	global_store_b64 v[0:1], v[2:3], off
	s_or_b32 exec_lo, exec_lo, s0
	s_and_b32 s1, s4, s8
	s_and_saveexec_b32 s0, s1
	s_cbranch_execz .LBB121_347
.LBB121_367:
	v_cmp_ne_u32_e32 vcc_lo, 1, v18
	v_lshlrev_b64 v[0:1], 3, v[8:9]
	s_cbranch_vccnz .LBB121_369
; %bb.368:
	s_delay_alu instid0(VALU_DEP_1) | instskip(NEXT) | instid1(VALU_DEP_2)
	v_add_co_u32 v2, vcc_lo, v19, v0
	v_add_co_ci_u32_e32 v3, vcc_lo, v20, v1, vcc_lo
	flat_load_b64 v[2:3], v[2:3]
	s_waitcnt vmcnt(0) lgkmcnt(0)
	v_mul_f64 v[2:3], v[2:3], s[10:11]
	s_delay_alu instid0(VALU_DEP_1)
	v_cvt_f32_f64_e32 v2, v[2:3]
	s_branch .LBB121_370
.LBB121_369:
	v_mov_b32_e32 v2, 0
.LBB121_370:
	s_delay_alu instid0(VALU_DEP_1) | instskip(NEXT) | instid1(VALU_DEP_3)
	v_dual_max_f32 v3, v129, v129 :: v_dual_max_f32 v2, v2, v2
	v_add_co_u32 v0, vcc_lo, v16, v0
	s_delay_alu instid0(VALU_DEP_4) | instskip(NEXT) | instid1(VALU_DEP_3)
	v_add_co_ci_u32_e32 v1, vcc_lo, v17, v1, vcc_lo
	v_min_f32_e32 v2, v2, v3
	s_delay_alu instid0(VALU_DEP_1) | instskip(SKIP_3) | instid1(SALU_CYCLE_1)
	v_cvt_f64_f32_e32 v[2:3], v2
	global_store_b64 v[0:1], v[2:3], off
	s_or_b32 exec_lo, exec_lo, s0
	s_and_b32 s1, s5, s8
	s_and_saveexec_b32 s0, s1
	s_cbranch_execz .LBB121_348
.LBB121_371:
	v_cmp_ne_u32_e32 vcc_lo, 1, v18
	v_lshlrev_b64 v[0:1], 3, v[10:11]
	s_cbranch_vccnz .LBB121_373
; %bb.372:
	s_delay_alu instid0(VALU_DEP_1) | instskip(NEXT) | instid1(VALU_DEP_2)
	v_add_co_u32 v2, vcc_lo, v19, v0
	v_add_co_ci_u32_e32 v3, vcc_lo, v20, v1, vcc_lo
	flat_load_b64 v[2:3], v[2:3]
	s_waitcnt vmcnt(0) lgkmcnt(0)
	v_mul_f64 v[2:3], v[2:3], s[10:11]
	s_delay_alu instid0(VALU_DEP_1)
	v_cvt_f32_f64_e32 v2, v[2:3]
	s_branch .LBB121_374
.LBB121_373:
	v_mov_b32_e32 v2, 0
.LBB121_374:
	s_delay_alu instid0(VALU_DEP_1) | instskip(NEXT) | instid1(VALU_DEP_3)
	v_dual_max_f32 v3, v133, v133 :: v_dual_max_f32 v2, v2, v2
	v_add_co_u32 v0, vcc_lo, v16, v0
	s_delay_alu instid0(VALU_DEP_4) | instskip(NEXT) | instid1(VALU_DEP_3)
	v_add_co_ci_u32_e32 v1, vcc_lo, v17, v1, vcc_lo
	v_min_f32_e32 v2, v2, v3
	s_delay_alu instid0(VALU_DEP_1) | instskip(SKIP_3) | instid1(SALU_CYCLE_1)
	v_cvt_f64_f32_e32 v[2:3], v2
	global_store_b64 v[0:1], v[2:3], off
	s_or_b32 exec_lo, exec_lo, s0
	s_and_b32 s1, s6, s8
	s_and_saveexec_b32 s0, s1
	s_cbranch_execz .LBB121_349
.LBB121_375:
	v_cmp_ne_u32_e32 vcc_lo, 1, v18
	v_lshlrev_b64 v[0:1], 3, v[12:13]
	s_cbranch_vccnz .LBB121_377
; %bb.376:
	s_delay_alu instid0(VALU_DEP_1) | instskip(NEXT) | instid1(VALU_DEP_2)
	v_add_co_u32 v2, vcc_lo, v19, v0
	v_add_co_ci_u32_e32 v3, vcc_lo, v20, v1, vcc_lo
	flat_load_b64 v[2:3], v[2:3]
	s_waitcnt vmcnt(0) lgkmcnt(0)
	v_mul_f64 v[2:3], v[2:3], s[10:11]
	s_delay_alu instid0(VALU_DEP_1)
	v_cvt_f32_f64_e32 v2, v[2:3]
	s_branch .LBB121_378
.LBB121_377:
	v_mov_b32_e32 v2, 0
.LBB121_378:
	s_delay_alu instid0(VALU_DEP_1) | instskip(NEXT) | instid1(VALU_DEP_3)
	v_dual_max_f32 v3, v119, v119 :: v_dual_max_f32 v2, v2, v2
	v_add_co_u32 v0, vcc_lo, v16, v0
	s_delay_alu instid0(VALU_DEP_4) | instskip(NEXT) | instid1(VALU_DEP_3)
	v_add_co_ci_u32_e32 v1, vcc_lo, v17, v1, vcc_lo
	v_min_f32_e32 v2, v2, v3
	s_delay_alu instid0(VALU_DEP_1) | instskip(SKIP_3) | instid1(SALU_CYCLE_1)
	v_cvt_f64_f32_e32 v[2:3], v2
	global_store_b64 v[0:1], v[2:3], off
	s_or_b32 exec_lo, exec_lo, s0
	s_and_b32 s0, s7, s8
	s_and_saveexec_b32 s1, s0
	s_cbranch_execz .LBB121_350
.LBB121_379:
	v_cmp_ne_u32_e32 vcc_lo, 1, v18
	v_lshlrev_b64 v[0:1], 3, v[14:15]
	s_cbranch_vccnz .LBB121_381
; %bb.380:
	s_delay_alu instid0(VALU_DEP_1) | instskip(NEXT) | instid1(VALU_DEP_2)
	v_add_co_u32 v2, vcc_lo, v19, v0
	v_add_co_ci_u32_e32 v3, vcc_lo, v20, v1, vcc_lo
	flat_load_b64 v[2:3], v[2:3]
	s_waitcnt vmcnt(0) lgkmcnt(0)
	v_mul_f64 v[2:3], v[2:3], s[10:11]
	s_delay_alu instid0(VALU_DEP_1)
	v_cvt_f32_f64_e32 v2, v[2:3]
	s_branch .LBB121_382
.LBB121_381:
	v_mov_b32_e32 v2, 0
.LBB121_382:
	scratch_load_b32 v3, off, off offset:12 ; 4-byte Folded Reload
	v_add_co_u32 v0, vcc_lo, v16, v0
	v_add_co_ci_u32_e32 v1, vcc_lo, v17, v1, vcc_lo
	s_waitcnt vmcnt(0)
	v_dual_max_f32 v2, v2, v2 :: v_dual_max_f32 v3, v3, v3
	s_delay_alu instid0(VALU_DEP_1) | instskip(NEXT) | instid1(VALU_DEP_1)
	v_min_f32_e32 v2, v2, v3
	v_cvt_f64_f32_e32 v[2:3], v2
	global_store_b64 v[0:1], v[2:3], off
	s_endpgm
	.section	.rodata,"a",@progbits
	.p2align	6, 0x0
	.amdhsa_kernel _ZN12_GLOBAL__N_120geam_min_plus_kernelId15HIP_vector_typeIdLj2EEdLi8ELi32ELi64ELi256ELi4ELi64ELi4ELi64ELi4ELc78ELc84ELb1ELb1ELb1EdKPKdKPdEEviiiT16_PT17_ilSA_ilS8_SA_ilPT18_ili26rocblas_geam_ex_operation_
		.amdhsa_group_segment_fixed_size 20480
		.amdhsa_private_segment_fixed_size 384
		.amdhsa_kernarg_size 136
		.amdhsa_user_sgpr_count 14
		.amdhsa_user_sgpr_dispatch_ptr 0
		.amdhsa_user_sgpr_queue_ptr 0
		.amdhsa_user_sgpr_kernarg_segment_ptr 1
		.amdhsa_user_sgpr_dispatch_id 0
		.amdhsa_user_sgpr_private_segment_size 0
		.amdhsa_wavefront_size32 1
		.amdhsa_uses_dynamic_stack 0
		.amdhsa_enable_private_segment 1
		.amdhsa_system_sgpr_workgroup_id_x 1
		.amdhsa_system_sgpr_workgroup_id_y 0
		.amdhsa_system_sgpr_workgroup_id_z 1
		.amdhsa_system_sgpr_workgroup_info 0
		.amdhsa_system_vgpr_workitem_id 1
		.amdhsa_next_free_vgpr 256
		.amdhsa_next_free_sgpr 32
		.amdhsa_reserve_vcc 1
		.amdhsa_float_round_mode_32 0
		.amdhsa_float_round_mode_16_64 0
		.amdhsa_float_denorm_mode_32 3
		.amdhsa_float_denorm_mode_16_64 3
		.amdhsa_dx10_clamp 1
		.amdhsa_ieee_mode 1
		.amdhsa_fp16_overflow 0
		.amdhsa_workgroup_processor_mode 1
		.amdhsa_memory_ordered 1
		.amdhsa_forward_progress 0
		.amdhsa_shared_vgpr_count 0
		.amdhsa_exception_fp_ieee_invalid_op 0
		.amdhsa_exception_fp_denorm_src 0
		.amdhsa_exception_fp_ieee_div_zero 0
		.amdhsa_exception_fp_ieee_overflow 0
		.amdhsa_exception_fp_ieee_underflow 0
		.amdhsa_exception_fp_ieee_inexact 0
		.amdhsa_exception_int_div_zero 0
	.end_amdhsa_kernel
	.section	.text._ZN12_GLOBAL__N_120geam_min_plus_kernelId15HIP_vector_typeIdLj2EEdLi8ELi32ELi64ELi256ELi4ELi64ELi4ELi64ELi4ELc78ELc84ELb1ELb1ELb1EdKPKdKPdEEviiiT16_PT17_ilSA_ilS8_SA_ilPT18_ili26rocblas_geam_ex_operation_,"axG",@progbits,_ZN12_GLOBAL__N_120geam_min_plus_kernelId15HIP_vector_typeIdLj2EEdLi8ELi32ELi64ELi256ELi4ELi64ELi4ELi64ELi4ELc78ELc84ELb1ELb1ELb1EdKPKdKPdEEviiiT16_PT17_ilSA_ilS8_SA_ilPT18_ili26rocblas_geam_ex_operation_,comdat
.Lfunc_end121:
	.size	_ZN12_GLOBAL__N_120geam_min_plus_kernelId15HIP_vector_typeIdLj2EEdLi8ELi32ELi64ELi256ELi4ELi64ELi4ELi64ELi4ELc78ELc84ELb1ELb1ELb1EdKPKdKPdEEviiiT16_PT17_ilSA_ilS8_SA_ilPT18_ili26rocblas_geam_ex_operation_, .Lfunc_end121-_ZN12_GLOBAL__N_120geam_min_plus_kernelId15HIP_vector_typeIdLj2EEdLi8ELi32ELi64ELi256ELi4ELi64ELi4ELi64ELi4ELc78ELc84ELb1ELb1ELb1EdKPKdKPdEEviiiT16_PT17_ilSA_ilS8_SA_ilPT18_ili26rocblas_geam_ex_operation_
                                        ; -- End function
	.section	.AMDGPU.csdata,"",@progbits
; Kernel info:
; codeLenInByte = 27392
; NumSgprs: 34
; NumVgprs: 256
; ScratchSize: 384
; MemoryBound: 0
; FloatMode: 240
; IeeeMode: 1
; LDSByteSize: 20480 bytes/workgroup (compile time only)
; SGPRBlocks: 4
; VGPRBlocks: 31
; NumSGPRsForWavesPerEU: 34
; NumVGPRsForWavesPerEU: 256
; Occupancy: 5
; WaveLimiterHint : 1
; COMPUTE_PGM_RSRC2:SCRATCH_EN: 1
; COMPUTE_PGM_RSRC2:USER_SGPR: 14
; COMPUTE_PGM_RSRC2:TRAP_HANDLER: 0
; COMPUTE_PGM_RSRC2:TGID_X_EN: 1
; COMPUTE_PGM_RSRC2:TGID_Y_EN: 0
; COMPUTE_PGM_RSRC2:TGID_Z_EN: 1
; COMPUTE_PGM_RSRC2:TIDIG_COMP_CNT: 1
	.section	.text._ZN12_GLOBAL__N_120geam_min_plus_kernelId15HIP_vector_typeIdLj2EEdLi8ELi32ELi64ELi256ELi4ELi64ELi4ELi64ELi4ELc78ELc84ELb0ELb1ELb1EdKPKdKPdEEviiiT16_PT17_ilSA_ilS8_SA_ilPT18_ili26rocblas_geam_ex_operation_,"axG",@progbits,_ZN12_GLOBAL__N_120geam_min_plus_kernelId15HIP_vector_typeIdLj2EEdLi8ELi32ELi64ELi256ELi4ELi64ELi4ELi64ELi4ELc78ELc84ELb0ELb1ELb1EdKPKdKPdEEviiiT16_PT17_ilSA_ilS8_SA_ilPT18_ili26rocblas_geam_ex_operation_,comdat
	.globl	_ZN12_GLOBAL__N_120geam_min_plus_kernelId15HIP_vector_typeIdLj2EEdLi8ELi32ELi64ELi256ELi4ELi64ELi4ELi64ELi4ELc78ELc84ELb0ELb1ELb1EdKPKdKPdEEviiiT16_PT17_ilSA_ilS8_SA_ilPT18_ili26rocblas_geam_ex_operation_ ; -- Begin function _ZN12_GLOBAL__N_120geam_min_plus_kernelId15HIP_vector_typeIdLj2EEdLi8ELi32ELi64ELi256ELi4ELi64ELi4ELi64ELi4ELc78ELc84ELb0ELb1ELb1EdKPKdKPdEEviiiT16_PT17_ilSA_ilS8_SA_ilPT18_ili26rocblas_geam_ex_operation_
	.p2align	8
	.type	_ZN12_GLOBAL__N_120geam_min_plus_kernelId15HIP_vector_typeIdLj2EEdLi8ELi32ELi64ELi256ELi4ELi64ELi4ELi64ELi4ELc78ELc84ELb0ELb1ELb1EdKPKdKPdEEviiiT16_PT17_ilSA_ilS8_SA_ilPT18_ili26rocblas_geam_ex_operation_,@function
_ZN12_GLOBAL__N_120geam_min_plus_kernelId15HIP_vector_typeIdLj2EEdLi8ELi32ELi64ELi256ELi4ELi64ELi4ELi64ELi4ELc78ELc84ELb0ELb1ELb1EdKPKdKPdEEviiiT16_PT17_ilSA_ilS8_SA_ilPT18_ili26rocblas_geam_ex_operation_: ; @_ZN12_GLOBAL__N_120geam_min_plus_kernelId15HIP_vector_typeIdLj2EEdLi8ELi32ELi64ELi256ELi4ELi64ELi4ELi64ELi4ELc78ELc84ELb0ELb1ELb1EdKPKdKPdEEviiiT16_PT17_ilSA_ilS8_SA_ilPT18_ili26rocblas_geam_ex_operation_
; %bb.0:
	s_clause 0x1
	s_load_b128 s[20:23], s[0:1], 0x10
	s_load_b128 s[4:7], s[0:1], 0x28
	s_mov_b32 s2, s15
	s_mov_b64 s[24:25], 0
	s_waitcnt lgkmcnt(0)
	v_cmp_eq_f64_e64 s26, s[20:21], 0
	v_cmp_neq_f64_e64 s12, s[20:21], 0
	s_delay_alu instid0(VALU_DEP_2)
	s_and_b32 vcc_lo, exec_lo, s26
	s_cbranch_vccnz .LBB122_2
; %bb.1:
	s_mov_b32 s3, 0
	s_delay_alu instid0(SALU_CYCLE_1) | instskip(NEXT) | instid1(SALU_CYCLE_1)
	s_lshl_b64 s[8:9], s[2:3], 3
	s_add_u32 s8, s22, s8
	s_addc_u32 s9, s23, s9
	s_lshl_b64 s[4:5], s[4:5], 3
	s_load_b64 s[8:9], s[8:9], 0x0
	s_waitcnt lgkmcnt(0)
	s_add_u32 s24, s8, s4
	s_addc_u32 s25, s9, s5
.LBB122_2:
	s_clause 0x1
	s_load_b128 s[8:11], s[0:1], 0x40
	s_load_b64 s[16:17], s[0:1], 0x50
	s_delay_alu instid0(VALU_DEP_1)
	s_and_b32 vcc_lo, exec_lo, s12
	s_cbranch_vccz .LBB122_4
; %bb.3:
	s_mov_b32 s3, 0
	s_delay_alu instid0(SALU_CYCLE_1) | instskip(NEXT) | instid1(SALU_CYCLE_1)
	s_lshl_b64 s[4:5], s[2:3], 3
	s_add_u32 s4, s6, s4
	s_addc_u32 s5, s7, s5
	s_waitcnt lgkmcnt(0)
	s_lshl_b64 s[6:7], s[8:9], 3
	s_load_b64 s[4:5], s[4:5], 0x0
	s_waitcnt lgkmcnt(0)
	s_add_u32 s8, s4, s6
	s_addc_u32 s9, s5, s7
	s_cbranch_execz .LBB122_5
	s_branch .LBB122_6
.LBB122_4:
	s_mov_b32 s3, -1
                                        ; implicit-def: $sgpr8_sgpr9
.LBB122_5:
	s_mov_b32 s3, 0
	s_waitcnt lgkmcnt(0)
	s_mov_b64 s[8:9], 0
.LBB122_6:
	s_waitcnt lgkmcnt(0)
	v_cmp_eq_f64_e64 s12, s[10:11], 0
	v_cmp_neq_f64_e64 s22, s[10:11], 0
	s_load_b128 s[4:7], s[0:1], 0x60
	s_delay_alu instid0(VALU_DEP_2)
	s_and_b32 vcc_lo, exec_lo, s12
	s_mov_b64 s[12:13], 0
	s_cbranch_vccnz .LBB122_8
; %bb.7:
	s_lshl_b64 s[12:13], s[2:3], 3
	s_delay_alu instid0(SALU_CYCLE_1)
	s_add_u32 s12, s16, s12
	s_addc_u32 s13, s17, s13
	s_waitcnt lgkmcnt(0)
	s_lshl_b64 s[4:5], s[4:5], 3
	s_load_b64 s[12:13], s[12:13], 0x0
	s_waitcnt lgkmcnt(0)
	s_add_u32 s12, s12, s4
	s_addc_u32 s13, s13, s5
.LBB122_8:
	s_clause 0x1
	s_load_b32 s27, s[0:1], 0x20
	s_load_b128 s[16:19], s[0:1], 0x0
	s_lshl_b64 s[2:3], s[2:3], 3
	v_and_b32_e32 v63, 0x3ff, v0
	v_bfe_u32 v214, v0, 10, 10
	s_delay_alu instid0(VALU_DEP_1) | instskip(NEXT) | instid1(VALU_DEP_1)
	v_lshl_add_u32 v0, v214, 3, v63
	v_and_b32_e32 v77, 63, v0
	v_lshrrev_b32_e32 v24, 6, v0
	s_waitcnt lgkmcnt(0)
	s_ashr_i32 s28, s27, 31
	s_add_u32 s2, s6, s2
	s_addc_u32 s3, s7, s3
	s_add_i32 s5, s16, -1
	v_cmp_le_i32_e32 vcc_lo, s18, v24
	s_ashr_i32 s4, s5, 31
	s_delay_alu instid0(SALU_CYCLE_1) | instskip(NEXT) | instid1(SALU_CYCLE_1)
	s_lshr_b32 s4, s4, 26
	s_add_i32 s4, s5, s4
	s_delay_alu instid0(SALU_CYCLE_1) | instskip(NEXT) | instid1(SALU_CYCLE_1)
	s_ashr_i32 s4, s4, 6
	s_add_i32 s6, s4, 1
	s_not_b32 s4, s4
	v_cvt_f32_u32_e32 v1, s6
	s_delay_alu instid0(VALU_DEP_1) | instskip(SKIP_2) | instid1(VALU_DEP_1)
	v_rcp_iflag_f32_e32 v1, v1
	s_waitcnt_depctr 0xfff
	v_mul_f32_e32 v1, 0x4f7ffffe, v1
	v_cvt_u32_f32_e32 v1, v1
	s_delay_alu instid0(VALU_DEP_1) | instskip(NEXT) | instid1(VALU_DEP_1)
	v_readfirstlane_b32 s7, v1
	s_mul_i32 s4, s4, s7
	s_delay_alu instid0(SALU_CYCLE_1) | instskip(NEXT) | instid1(SALU_CYCLE_1)
	s_mul_hi_u32 s4, s7, s4
	s_add_i32 s7, s7, s4
	s_delay_alu instid0(SALU_CYCLE_1) | instskip(NEXT) | instid1(SALU_CYCLE_1)
	s_mul_hi_u32 s4, s14, s7
	s_mul_i32 s7, s4, s6
	s_add_i32 s15, s4, 1
	s_sub_i32 s7, s14, s7
	s_delay_alu instid0(SALU_CYCLE_1)
	s_sub_i32 s19, s7, s6
	s_cmp_ge_u32 s7, s6
	s_cselect_b32 s4, s15, s4
	s_cselect_b32 s7, s19, s7
	s_add_i32 s15, s4, 1
	s_cmp_ge_u32 s7, s6
	s_cselect_b32 s4, s15, s4
	s_add_i32 s29, s18, -1
	s_mul_i32 s6, s4, s6
	v_min_i32_e32 v2, s29, v24
	s_sub_i32 s6, s14, s6
	s_load_b64 s[14:15], s[2:3], 0x0
	s_lshl_b32 s19, s6, 6
	s_delay_alu instid0(SALU_CYCLE_1) | instskip(SKIP_1) | instid1(VALU_DEP_2)
	v_or_b32_e32 v0, s19, v77
	v_ashrrev_i32_e32 v3, 31, v2
	v_cmp_le_i32_e64 s2, s16, v0
	v_min_i32_e32 v215, s5, v0
                                        ; implicit-def: $vgpr0_vgpr1
	s_delay_alu instid0(VALU_DEP_2) | instskip(NEXT) | instid1(VALU_DEP_1)
	s_or_b32 s5, s2, vcc_lo
	v_ashrrev_i32_e32 v216, 31, v215
	s_or_b32 s3, s26, s5
	s_delay_alu instid0(SALU_CYCLE_1) | instskip(NEXT) | instid1(SALU_CYCLE_1)
	s_xor_b32 s3, s3, -1
	s_and_saveexec_b32 s6, s3
	s_delay_alu instid0(SALU_CYCLE_1)
	s_xor_b32 s6, exec_lo, s6
	s_cbranch_execz .LBB122_10
; %bb.9:
	v_mad_i64_i32 v[0:1], null, s27, v2, 0
	v_lshlrev_b64 v[6:7], 3, v[215:216]
	s_delay_alu instid0(VALU_DEP_2) | instskip(NEXT) | instid1(VALU_DEP_1)
	v_lshlrev_b64 v[0:1], 3, v[0:1]
	v_add_co_u32 v0, s3, s24, v0
	s_delay_alu instid0(VALU_DEP_1) | instskip(NEXT) | instid1(VALU_DEP_2)
	v_add_co_ci_u32_e64 v1, s3, s25, v1, s3
	v_add_co_u32 v0, s3, v0, v6
	s_delay_alu instid0(VALU_DEP_1)
	v_add_co_ci_u32_e64 v1, s3, v1, v7, s3
	flat_load_b64 v[0:1], v[0:1]
	s_waitcnt vmcnt(0) lgkmcnt(0)
	v_mul_f64 v[0:1], v[0:1], s[20:21]
.LBB122_10:
	s_and_not1_saveexec_b32 s3, s6
; %bb.11:
	v_cndmask_b32_e64 v1, 0, 0x7fefffff, s5
	v_cndmask_b32_e64 v0, 0, -1, s5
; %bb.12:
	s_or_b32 exec_lo, exec_lo, s3
	s_load_b32 s30, s[0:1], 0x38
	s_lshl_b32 s23, s4, 8
	s_delay_alu instid0(SALU_CYCLE_1) | instskip(NEXT) | instid1(VALU_DEP_1)
	v_or_b32_e32 v217, s23, v77
	v_cmp_le_i32_e64 s3, s17, v217
	v_ashrrev_i32_e32 v218, 31, v217
	s_delay_alu instid0(VALU_DEP_2)
	s_or_b32 s5, s3, vcc_lo
	s_waitcnt lgkmcnt(0)
	s_ashr_i32 s31, s30, 31
	v_mul_lo_u32 v3, v3, s30
	v_mad_u64_u32 v[7:8], null, v2, s30, 0
	v_mul_lo_u32 v2, v2, s31
	s_delay_alu instid0(VALU_DEP_1) | instskip(SKIP_2) | instid1(VALU_DEP_3)
	v_add3_u32 v8, v8, v2, v3
	v_cndmask_b32_e64 v3, 0, 0x7fefffff, s5
	v_cndmask_b32_e64 v2, 0, -1, s5
	v_lshlrev_b64 v[8:9], 3, v[7:8]
	s_delay_alu instid0(VALU_DEP_1) | instskip(NEXT) | instid1(VALU_DEP_1)
	v_add_co_u32 v8, s4, s8, v8
	v_add_co_ci_u32_e64 v9, s4, s9, v9, s4
	s_or_b32 s4, s26, s5
	s_delay_alu instid0(SALU_CYCLE_1) | instskip(NEXT) | instid1(SALU_CYCLE_1)
	s_xor_b32 s4, s4, -1
	s_and_saveexec_b32 s5, s4
	s_cbranch_execz .LBB122_14
; %bb.13:
	v_lshlrev_b64 v[2:3], 3, v[217:218]
	s_delay_alu instid0(VALU_DEP_1) | instskip(NEXT) | instid1(VALU_DEP_1)
	v_add_co_u32 v2, s4, v8, v2
	v_add_co_ci_u32_e64 v3, s4, v9, v3, s4
	flat_load_b64 v[2:3], v[2:3]
	s_waitcnt vmcnt(0) lgkmcnt(0)
	v_mul_f64 v[2:3], v[2:3], s[20:21]
.LBB122_14:
	s_or_b32 exec_lo, exec_lo, s5
	v_or_b32_e32 v4, 64, v217
	s_delay_alu instid0(VALU_DEP_1) | instskip(NEXT) | instid1(VALU_DEP_1)
	v_cmp_le_i32_e64 s4, s17, v4
	s_or_b32 s5, s4, vcc_lo
	s_delay_alu instid0(SALU_CYCLE_1) | instskip(SKIP_2) | instid1(SALU_CYCLE_1)
	v_cndmask_b32_e64 v19, 0, 0x7fefffff, s5
	v_cndmask_b32_e64 v18, 0, -1, s5
	s_or_b32 s5, s26, s5
	s_xor_b32 s5, s5, -1
	s_delay_alu instid0(SALU_CYCLE_1)
	s_and_saveexec_b32 s6, s5
	s_cbranch_execz .LBB122_16
; %bb.15:
	v_lshlrev_b64 v[10:11], 3, v[217:218]
	s_delay_alu instid0(VALU_DEP_1) | instskip(NEXT) | instid1(VALU_DEP_1)
	v_add_co_u32 v10, s5, v8, v10
	v_add_co_ci_u32_e64 v11, s5, v9, v11, s5
	flat_load_b64 v[10:11], v[10:11] offset:512
	s_waitcnt vmcnt(0) lgkmcnt(0)
	v_mul_f64 v[18:19], v[10:11], s[20:21]
.LBB122_16:
	s_or_b32 exec_lo, exec_lo, s6
	v_or_b32_e32 v4, 0x80, v217
	s_delay_alu instid0(VALU_DEP_1) | instskip(NEXT) | instid1(VALU_DEP_1)
	v_cmp_le_i32_e64 s5, s17, v4
	s_or_b32 s6, s5, vcc_lo
	s_delay_alu instid0(SALU_CYCLE_1) | instskip(SKIP_2) | instid1(SALU_CYCLE_1)
	v_cndmask_b32_e64 v21, 0, 0x7fefffff, s6
	v_cndmask_b32_e64 v20, 0, -1, s6
	s_or_b32 s6, s26, s6
	s_xor_b32 s6, s6, -1
	s_delay_alu instid0(SALU_CYCLE_1)
	s_and_saveexec_b32 s7, s6
	s_cbranch_execz .LBB122_18
; %bb.17:
	v_lshlrev_b64 v[10:11], 3, v[217:218]
	s_delay_alu instid0(VALU_DEP_1) | instskip(NEXT) | instid1(VALU_DEP_1)
	v_add_co_u32 v10, s6, v8, v10
	v_add_co_ci_u32_e64 v11, s6, v9, v11, s6
	flat_load_b64 v[10:11], v[10:11] offset:1024
	s_waitcnt vmcnt(0) lgkmcnt(0)
	v_mul_f64 v[20:21], v[10:11], s[20:21]
.LBB122_18:
	s_or_b32 exec_lo, exec_lo, s7
	v_or_b32_e32 v4, 0xc0, v217
	s_delay_alu instid0(VALU_DEP_1) | instskip(NEXT) | instid1(VALU_DEP_1)
	v_cmp_le_i32_e64 s6, s17, v4
	s_or_b32 s7, s6, vcc_lo
	s_delay_alu instid0(SALU_CYCLE_1) | instskip(SKIP_2) | instid1(SALU_CYCLE_1)
	v_cndmask_b32_e64 v23, 0, 0x7fefffff, s7
	v_cndmask_b32_e64 v22, 0, -1, s7
	s_or_b32 s7, s26, s7
	s_xor_b32 s33, s7, -1
	s_delay_alu instid0(SALU_CYCLE_1)
	s_and_saveexec_b32 s7, s33
	s_cbranch_execz .LBB122_20
; %bb.19:
	v_lshlrev_b64 v[10:11], 3, v[217:218]
	s_delay_alu instid0(VALU_DEP_1) | instskip(NEXT) | instid1(VALU_DEP_2)
	v_add_co_u32 v8, vcc_lo, v8, v10
	v_add_co_ci_u32_e32 v9, vcc_lo, v9, v11, vcc_lo
	flat_load_b64 v[8:9], v[8:9] offset:1536
	s_waitcnt vmcnt(0) lgkmcnt(0)
	v_mul_f64 v[22:23], v[8:9], s[20:21]
.LBB122_20:
	s_or_b32 exec_lo, exec_lo, s7
	v_add_nc_u32_e32 v4, 4, v24
	s_delay_alu instid0(VALU_DEP_1) | instskip(SKIP_2) | instid1(VALU_DEP_1)
	v_cmp_le_i32_e32 vcc_lo, s18, v4
	v_min_i32_e32 v10, s29, v4
                                        ; implicit-def: $vgpr4_vgpr5
                                        ; kill: killed $vgpr4_vgpr5
	s_or_b32 s33, s2, vcc_lo
	v_ashrrev_i32_e32 v11, 31, v10
	s_or_b32 s7, s26, s33
	s_delay_alu instid0(SALU_CYCLE_1) | instskip(NEXT) | instid1(SALU_CYCLE_1)
	s_xor_b32 s7, s7, -1
	s_and_saveexec_b32 s34, s7
	s_delay_alu instid0(SALU_CYCLE_1)
	s_xor_b32 s34, exec_lo, s34
	s_cbranch_execz .LBB122_22
; %bb.21:
	v_mad_i64_i32 v[8:9], null, s27, v10, 0
	v_lshlrev_b64 v[12:13], 3, v[215:216]
	s_delay_alu instid0(VALU_DEP_2) | instskip(NEXT) | instid1(VALU_DEP_1)
	v_lshlrev_b64 v[8:9], 3, v[8:9]
	v_add_co_u32 v4, s7, s24, v8
	s_delay_alu instid0(VALU_DEP_1) | instskip(NEXT) | instid1(VALU_DEP_2)
	v_add_co_ci_u32_e64 v5, s7, s25, v9, s7
	v_add_co_u32 v8, s7, v4, v12
	s_delay_alu instid0(VALU_DEP_1)
	v_add_co_ci_u32_e64 v9, s7, v5, v13, s7
	flat_load_b64 v[8:9], v[8:9]
	s_waitcnt vmcnt(0) lgkmcnt(0)
	v_mul_f64 v[4:5], v[8:9], s[20:21]
	scratch_store_b64 off, v[4:5], off offset:304 ; 8-byte Folded Spill
.LBB122_22:
	s_and_not1_saveexec_b32 s7, s34
	s_cbranch_execz .LBB122_24
; %bb.23:
	v_cndmask_b32_e64 v5, 0, 0x7fefffff, s33
	v_cndmask_b32_e64 v4, 0, -1, s33
	scratch_store_b64 off, v[4:5], off offset:304 ; 8-byte Folded Spill
.LBB122_24:
	s_or_b32 exec_lo, exec_lo, s7
	v_mul_lo_u32 v4, v11, s30
	v_mul_lo_u32 v5, v10, s31
	v_mad_u64_u32 v[11:12], null, v10, s30, 0
	s_or_b32 s31, s3, vcc_lo
	s_delay_alu instid0(VALU_DEP_1) | instskip(SKIP_2) | instid1(VALU_DEP_3)
	v_add3_u32 v12, v12, v5, v4
	v_cndmask_b32_e64 v5, 0, 0x7fefffff, s31
	v_cndmask_b32_e64 v4, 0, -1, s31
	v_lshlrev_b64 v[12:13], 3, v[11:12]
	s_delay_alu instid0(VALU_DEP_1) | instskip(NEXT) | instid1(VALU_DEP_1)
	v_add_co_u32 v25, s7, s8, v12
	v_add_co_ci_u32_e64 v26, s7, s9, v13, s7
	s_or_b32 s7, s26, s31
	s_delay_alu instid0(SALU_CYCLE_1) | instskip(NEXT) | instid1(SALU_CYCLE_1)
	s_xor_b32 s7, s7, -1
	s_and_saveexec_b32 s31, s7
	s_cbranch_execz .LBB122_26
; %bb.25:
	v_lshlrev_b64 v[10:11], 3, v[217:218]
	s_delay_alu instid0(VALU_DEP_1) | instskip(NEXT) | instid1(VALU_DEP_1)
	v_add_co_u32 v10, s7, v25, v10
	v_add_co_ci_u32_e64 v11, s7, v26, v11, s7
	flat_load_b64 v[10:11], v[10:11]
	s_waitcnt vmcnt(0) lgkmcnt(0)
	v_mul_f64 v[4:5], v[10:11], s[20:21]
.LBB122_26:
	s_or_b32 exec_lo, exec_lo, s31
	s_or_b32 s7, s4, vcc_lo
	s_delay_alu instid0(SALU_CYCLE_1) | instskip(SKIP_2) | instid1(SALU_CYCLE_1)
	v_cndmask_b32_e64 v7, 0, 0x7fefffff, s7
	v_cndmask_b32_e64 v6, 0, -1, s7
	s_or_b32 s7, s26, s7
	s_xor_b32 s7, s7, -1
	s_delay_alu instid0(SALU_CYCLE_1)
	s_and_saveexec_b32 s31, s7
	s_cbranch_execz .LBB122_28
; %bb.27:
	v_lshlrev_b64 v[12:13], 3, v[217:218]
	s_delay_alu instid0(VALU_DEP_1) | instskip(NEXT) | instid1(VALU_DEP_1)
	v_add_co_u32 v12, s7, v25, v12
	v_add_co_ci_u32_e64 v13, s7, v26, v13, s7
	flat_load_b64 v[12:13], v[12:13] offset:512
	s_waitcnt vmcnt(0) lgkmcnt(0)
	v_mul_f64 v[6:7], v[12:13], s[20:21]
.LBB122_28:
	s_or_b32 exec_lo, exec_lo, s31
	s_or_b32 s7, s5, vcc_lo
	scratch_store_b64 off, v[4:5], off offset:316 ; 8-byte Folded Spill
	v_cndmask_b32_e64 v5, 0, 0x7fefffff, s7
	v_cndmask_b32_e64 v4, 0, -1, s7
	s_or_b32 s7, s26, s7
	s_delay_alu instid0(SALU_CYCLE_1) | instskip(NEXT) | instid1(SALU_CYCLE_1)
	s_xor_b32 s7, s7, -1
	s_and_saveexec_b32 s31, s7
	s_cbranch_execz .LBB122_30
; %bb.29:
	v_lshlrev_b64 v[14:15], 3, v[217:218]
	s_delay_alu instid0(VALU_DEP_1) | instskip(NEXT) | instid1(VALU_DEP_1)
	v_add_co_u32 v14, s7, v25, v14
	v_add_co_ci_u32_e64 v15, s7, v26, v15, s7
	flat_load_b64 v[14:15], v[14:15] offset:1024
	s_waitcnt vmcnt(0) lgkmcnt(0)
	v_mul_f64 v[4:5], v[14:15], s[20:21]
.LBB122_30:
	s_or_b32 exec_lo, exec_lo, s31
	s_or_b32 s7, s6, vcc_lo
	s_clause 0x1
	scratch_store_b64 off, v[4:5], off offset:332
	scratch_store_b64 off, v[6:7], off offset:324
	v_cndmask_b32_e64 v5, 0, 0x7fefffff, s7
	v_cndmask_b32_e64 v4, 0, -1, s7
	s_or_b32 s31, s26, s7
	s_mov_b32 s7, -1
	s_xor_b32 s33, s31, -1
	s_delay_alu instid0(SALU_CYCLE_1)
	s_and_saveexec_b32 s31, s33
	s_cbranch_execz .LBB122_32
; %bb.31:
	v_lshlrev_b64 v[16:17], 3, v[217:218]
	s_delay_alu instid0(VALU_DEP_1) | instskip(NEXT) | instid1(VALU_DEP_2)
	v_add_co_u32 v16, vcc_lo, v25, v16
	v_add_co_ci_u32_e32 v17, vcc_lo, v26, v17, vcc_lo
	flat_load_b64 v[16:17], v[16:17] offset:1536
	s_waitcnt vmcnt(0) lgkmcnt(0)
	v_mul_f64 v[4:5], v[16:17], s[20:21]
.LBB122_32:
	s_or_b32 exec_lo, exec_lo, s31
	s_clause 0x1
	scratch_store_b64 off, v[4:5], off offset:340
	scratch_store_b32 off, v24, off offset:364
	v_dual_mov_b32 v133, 0x7f800000 :: v_dual_lshlrev_b32 v4, 3, v24
	v_dual_mov_b32 v122, 0x7f800000 :: v_dual_mov_b32 v135, 0x7f800000
	v_dual_mov_b32 v124, 0x7f800000 :: v_dual_mov_b32 v197, 0x7f800000
	s_delay_alu instid0(VALU_DEP_3) | instskip(SKIP_2) | instid1(VALU_DEP_3)
	v_lshl_add_u32 v4, v77, 5, v4
	v_dual_mov_b32 v126, 0x7f800000 :: v_dual_mov_b32 v185, 0x7f800000
	v_dual_mov_b32 v128, 0x7f800000 :: v_dual_mov_b32 v255, 0x7f800000
	v_or_b32_e32 v5, 0x4000, v4
	v_dual_mov_b32 v130, 0x7f800000 :: v_dual_mov_b32 v139, 0x7f800000
	v_dual_mov_b32 v132, 0x7f800000 :: v_dual_mov_b32 v113, 0x7f800000
	scratch_store_b32 off, v5, off offset:372 ; 4-byte Folded Spill
	ds_store_b64 v4, v[0:1] offset:16384
	ds_store_2addr_stride64_b64 v4, v[2:3], v[18:19] offset1:4
	v_dual_mov_b32 v0, 0x7f800000 :: v_dual_mov_b32 v195, 0x7f800000
	scratch_store_b32 off, v4, off offset:368 ; 4-byte Folded Spill
	v_dual_mov_b32 v134, 0x7f800000 :: v_dual_mov_b32 v53, 0x7f800000
	scratch_store_b32 off, v0, off          ; 4-byte Folded Spill
	v_dual_mov_b32 v0, 0x7f800000 :: v_dual_mov_b32 v117, 0x7f800000
	v_dual_mov_b32 v136, 0x7f800000 :: v_dual_mov_b32 v55, 0x7f800000
	;; [unrolled: 1-line block ×22, first 2 shown]
	v_mov_b32_e32 v198, 0x7f800000
	v_mov_b32_e32 v186, 0x7f800000
	v_mov_b32_e32 v140, 0x7f800000
	s_mov_b32 s31, 0
	ds_store_2addr_stride64_b64 v4, v[20:21], v[22:23] offset0:8 offset1:12
	scratch_store_b32 off, v0, off offset:4 ; 4-byte Folded Spill
	s_waitcnt lgkmcnt(0)
	s_waitcnt_vscnt null, 0x0
	s_barrier
	buffer_gl0_inv
	scratch_store_b32 off, v63, off offset:312 ; 4-byte Folded Spill
.LBB122_33:                             ; =>This Inner Loop Header: Depth=1
	s_lshl_b32 s31, s31, 3
	v_dual_mov_b32 v115, v53 :: v_dual_mov_b32 v118, v55
	v_lshl_add_u32 v4, v214, 5, s31
	v_lshl_add_u32 v5, v63, 5, s31
	v_dual_mov_b32 v121, v56 :: v_dual_mov_b32 v188, v61
	ds_load_b128 v[18:21], v4
	ds_load_b128 v[0:3], v5 offset:16384
	ds_load_b128 v[108:111], v5 offset:16640
	;; [unrolled: 1-line block ×3, first 2 shown]
	v_mov_b32_e32 v213, v62
	s_mov_b32 s31, 2
	s_and_not1_b32 vcc_lo, exec_lo, s7
	s_mov_b32 s7, 0
	s_waitcnt lgkmcnt(2)
	v_add_f64 v[6:7], v[2:3], v[20:21]
	scratch_store_b64 off, v[6:7], off offset:40 ; 8-byte Folded Spill
	v_add_f64 v[6:7], v[0:1], v[18:19]
	scratch_store_b64 off, v[6:7], off offset:104 ; 8-byte Folded Spill
	s_waitcnt lgkmcnt(1)
	v_add_f64 v[6:7], v[110:111], v[20:21]
	scratch_store_b64 off, v[6:7], off offset:8 ; 8-byte Folded Spill
	v_add_f64 v[6:7], v[108:109], v[18:19]
	scratch_store_b64 off, v[6:7], off offset:72 ; 8-byte Folded Spill
	ds_load_b128 v[33:36], v5 offset:16896
	ds_load_b128 v[37:40], v5 offset:17152
	s_waitcnt lgkmcnt(1)
	v_add_f64 v[6:7], v[35:36], v[20:21]
	scratch_store_b64 off, v[6:7], off offset:48 ; 8-byte Folded Spill
	v_add_f64 v[6:7], v[33:34], v[18:19]
	scratch_store_b64 off, v[6:7], off offset:112 ; 8-byte Folded Spill
	s_waitcnt lgkmcnt(0)
	v_add_f64 v[6:7], v[39:40], v[20:21]
	scratch_store_b64 off, v[6:7], off offset:16 ; 8-byte Folded Spill
	v_add_f64 v[6:7], v[37:38], v[18:19]
	scratch_store_b64 off, v[6:7], off offset:80 ; 8-byte Folded Spill
	ds_load_b128 v[41:44], v5 offset:17408
	ds_load_b128 v[45:48], v5 offset:17664
	;; [unrolled: 1-line block ×4, first 2 shown]
	s_waitcnt lgkmcnt(3)
	v_add_f64 v[6:7], v[43:44], v[20:21]
	scratch_store_b64 off, v[6:7], off offset:56 ; 8-byte Folded Spill
	v_add_f64 v[6:7], v[41:42], v[18:19]
	scratch_store_b64 off, v[6:7], off offset:120 ; 8-byte Folded Spill
	s_waitcnt lgkmcnt(2)
	v_add_f64 v[6:7], v[47:48], v[20:21]
	scratch_store_b64 off, v[6:7], off offset:24 ; 8-byte Folded Spill
	v_add_f64 v[6:7], v[45:46], v[18:19]
	scratch_store_b64 off, v[6:7], off offset:88 ; 8-byte Folded Spill
	;; [unrolled: 5-line block ×4, first 2 shown]
	v_add_f64 v[5:6], v[2:3], v[31:32]
	scratch_store_b64 off, v[5:6], off offset:136 ; 8-byte Folded Spill
	v_add_f64 v[5:6], v[0:1], v[29:30]
	scratch_store_b64 off, v[5:6], off offset:144 ; 8-byte Folded Spill
	;; [unrolled: 2-line block ×16, first 2 shown]
	ds_load_b128 v[18:21], v4 offset:2048
	ds_load_b128 v[29:32], v4 offset:3072
	s_waitcnt lgkmcnt(1)
	v_add_f64 v[5:6], v[43:44], v[20:21]
	v_add_f64 v[98:99], v[2:3], v[20:21]
	;; [unrolled: 1-line block ×12, first 2 shown]
	s_waitcnt lgkmcnt(0)
	v_add_f64 v[221:222], v[2:3], v[31:32]
	v_add_f64 v[223:224], v[0:1], v[29:30]
	;; [unrolled: 1-line block ×16, first 2 shown]
	scratch_store_b64 off, v[5:6], off offset:296 ; 8-byte Folded Spill
	v_add_f64 v[5:6], v[47:48], v[20:21]
	v_cvt_f32_f64_e32 v26, v[26:27]
	scratch_store_b64 off, v[5:6], off offset:280 ; 8-byte Folded Spill
	v_add_f64 v[5:6], v[51:52], v[20:21]
	scratch_store_b64 off, v[5:6], off offset:272 ; 8-byte Folded Spill
	v_add_f64 v[5:6], v[55:56], v[20:21]
	;; [unrolled: 2-line block ×3, first 2 shown]
	scratch_store_b64 off, v[5:6], off offset:288 ; 8-byte Folded Spill
	ds_load_b128 v[18:21], v4 offset:4096
	ds_load_b128 v[29:32], v4 offset:5120
	s_waitcnt lgkmcnt(1)
	v_add_f64 v[253:254], v[2:3], v[20:21]
	v_add_f64 v[69:70], v[0:1], v[18:19]
	;; [unrolled: 1-line block ×16, first 2 shown]
	s_waitcnt lgkmcnt(0)
	v_add_f64 v[94:95], v[2:3], v[31:32]
	v_add_f64 v[96:97], v[0:1], v[29:30]
	;; [unrolled: 1-line block ×16, first 2 shown]
	ds_load_b128 v[18:21], v4 offset:6144
	ds_load_b128 v[29:32], v4 offset:7168
	s_waitcnt lgkmcnt(1)
	v_add_f64 v[4:5], v[0:1], v[18:19]
	v_add_f64 v[6:7], v[108:109], v[18:19]
	v_add_f64 v[10:11], v[33:34], v[18:19]
	v_add_f64 v[14:15], v[37:38], v[18:19]
	v_add_f64 v[75:76], v[41:42], v[18:19]
	v_add_f64 v[57:58], v[45:46], v[18:19]
	v_add_f64 v[78:79], v[49:50], v[18:19]
	v_add_f64 v[18:19], v[53:54], v[18:19]
	s_waitcnt lgkmcnt(0)
	v_add_f64 v[0:1], v[0:1], v[29:30]
	v_add_f64 v[24:25], v[108:109], v[29:30]
	v_add_f64 v[33:34], v[33:34], v[29:30]
	v_add_f64 v[37:38], v[37:38], v[29:30]
	v_add_f64 v[41:42], v[41:42], v[29:30]
	v_add_f64 v[45:46], v[45:46], v[29:30]
	v_add_f64 v[49:50], v[49:50], v[29:30]
	v_add_f64 v[29:30], v[53:54], v[29:30]
	s_clause 0x1
	scratch_load_b64 v[53:54], off, off offset:104
	scratch_load_b64 v[108:109], off, off offset:40
	v_add_f64 v[8:9], v[2:3], v[20:21]
	v_add_f64 v[12:13], v[110:111], v[20:21]
	;; [unrolled: 1-line block ×16, first 2 shown]
	v_dual_mov_b32 v56, v121 :: v_dual_mov_b32 v55, v118
	v_cvt_f32_f64_e32 v4, v[4:5]
	v_cvt_f32_f64_e32 v0, v[0:1]
	;; [unrolled: 1-line block ×4, first 2 shown]
	scratch_load_b32 v2, off, off           ; 4-byte Folded Reload
	v_min3_f32 v133, v0, v1, v133
	v_cvt_f32_f64_e32 v0, v[24:25]
	v_cvt_f32_f64_e32 v1, v[110:111]
	s_delay_alu instid0(VALU_DEP_1)
	v_min3_f32 v132, v0, v1, v132
	v_cvt_f32_f64_e32 v0, v[33:34]
	v_cvt_f32_f64_e32 v1, v[35:36]
	s_waitcnt vmcnt(2)
	v_cvt_f32_f64_e32 v53, v[53:54]
	s_waitcnt vmcnt(1)
	v_cvt_f32_f64_e32 v54, v[108:109]
	scratch_load_b64 v[108:109], off, off offset:8 ; 8-byte Folded Reload
	v_min3_f32 v141, v53, v54, v141
	scratch_load_b64 v[53:54], off, off offset:72 ; 8-byte Folded Reload
	s_waitcnt vmcnt(2)
	v_min3_f32 v2, v0, v1, v2
	v_cvt_f32_f64_e32 v0, v[37:38]
	v_cvt_f32_f64_e32 v1, v[39:40]
	scratch_store_b32 off, v2, off          ; 4-byte Folded Spill
	v_min3_f32 v130, v0, v1, v130
	v_cvt_f32_f64_e32 v0, v[41:42]
	v_cvt_f32_f64_e32 v1, v[43:44]
	s_delay_alu instid0(VALU_DEP_1) | instskip(SKIP_2) | instid1(VALU_DEP_1)
	v_min3_f32 v128, v0, v1, v128
	v_cvt_f32_f64_e32 v0, v[45:46]
	v_cvt_f32_f64_e32 v1, v[47:48]
	v_min3_f32 v126, v0, v1, v126
	v_cvt_f32_f64_e32 v0, v[49:50]
	v_cvt_f32_f64_e32 v1, v[51:52]
	s_delay_alu instid0(VALU_DEP_1) | instskip(SKIP_2) | instid1(VALU_DEP_1)
	v_min3_f32 v124, v0, v1, v124
	v_cvt_f32_f64_e32 v0, v[29:30]
	v_cvt_f32_f64_e32 v1, v[31:32]
	v_min3_f32 v122, v0, v1, v122
	s_waitcnt vmcnt(0)
	v_cvt_f32_f64_e32 v53, v[53:54]
	v_cvt_f32_f64_e32 v54, v[108:109]
	scratch_load_b64 v[108:109], off, off offset:48 ; 8-byte Folded Reload
	v_min3_f32 v140, v53, v54, v140
	scratch_load_b64 v[53:54], off, off offset:112 ; 8-byte Folded Reload
	s_waitcnt vmcnt(0)
	v_cvt_f32_f64_e32 v53, v[53:54]
	v_cvt_f32_f64_e32 v54, v[108:109]
	scratch_load_b64 v[108:109], off, off offset:16 ; 8-byte Folded Reload
	v_min3_f32 v131, v53, v54, v131
	scratch_load_b64 v[53:54], off, off offset:80 ; 8-byte Folded Reload
	;; [unrolled: 6-line block ×14, first 2 shown]
	s_waitcnt vmcnt(0)
	v_cvt_f32_f64_e32 v53, v[53:54]
	v_cvt_f32_f64_e32 v54, v[108:109]
	s_delay_alu instid0(VALU_DEP_1) | instskip(SKIP_2) | instid1(VALU_DEP_1)
	v_min3_f32 v209, v53, v54, v209
	v_cvt_f32_f64_e32 v53, v[88:89]
	v_cvt_f32_f64_e32 v54, v[98:99]
	v_min3_f32 v208, v53, v54, v208
	v_cvt_f32_f64_e32 v53, v[90:91]
	v_cvt_f32_f64_e32 v54, v[92:93]
	s_delay_alu instid0(VALU_DEP_1) | instskip(SKIP_2) | instid1(VALU_DEP_1)
	v_min3_f32 v207, v53, v54, v207
	v_cvt_f32_f64_e32 v53, v[84:85]
	v_cvt_f32_f64_e32 v54, v[86:87]
	v_min3_f32 v206, v53, v54, v206
	v_cvt_f32_f64_e32 v53, v[80:81]
	scratch_load_b64 v[80:81], off, off offset:296 ; 8-byte Folded Reload
	v_cvt_f32_f64_e32 v54, v[82:83]
	s_delay_alu instid0(VALU_DEP_1)
	v_min3_f32 v205, v53, v54, v205
	v_mov_b32_e32 v53, v115
	s_waitcnt vmcnt(0)
	v_cvt_f32_f64_e32 v27, v[80:81]
	scratch_load_b64 v[80:81], off, off offset:280 ; 8-byte Folded Reload
	v_min3_f32 v112, v26, v27, v112
	v_cvt_f32_f64_e32 v26, v[61:62]
	v_dual_mov_b32 v62, v213 :: v_dual_mov_b32 v61, v188
	s_delay_alu instid0(VALU_DEP_1) | instskip(SKIP_3) | instid1(VALU_DEP_1)
	v_min3_f32 v62, v4, v5, v62
	v_cvt_f32_f64_e32 v4, v[6:7]
	scratch_load_b32 v6, off, off offset:4  ; 4-byte Folded Reload
	v_cvt_f32_f64_e32 v5, v[12:13]
	v_min3_f32 v255, v4, v5, v255
	v_cvt_f32_f64_e32 v4, v[10:11]
	v_cvt_f32_f64_e32 v5, v[16:17]
	s_delay_alu instid0(VALU_DEP_1) | instskip(SKIP_2) | instid1(VALU_DEP_1)
	v_min3_f32 v185, v4, v5, v185
	v_cvt_f32_f64_e32 v4, v[14:15]
	v_cvt_f32_f64_e32 v5, v[22:23]
	v_min3_f32 v136, v4, v5, v136
	v_cvt_f32_f64_e32 v4, v[75:76]
	v_cvt_f32_f64_e32 v5, v[59:60]
	s_waitcnt vmcnt(1)
	v_cvt_f32_f64_e32 v27, v[80:81]
	scratch_load_b64 v[80:81], off, off offset:272 ; 8-byte Folded Reload
	v_min3_f32 v204, v26, v27, v204
	v_cvt_f32_f64_e32 v26, v[219:220]
	s_waitcnt vmcnt(1)
	v_min3_f32 v6, v4, v5, v6
	v_cvt_f32_f64_e32 v5, v[63:64]
	scratch_load_b32 v63, off, off offset:312 ; 4-byte Folded Reload
	v_cvt_f32_f64_e32 v4, v[57:58]
	scratch_store_b32 off, v6, off offset:4 ; 4-byte Folded Spill
	v_min3_f32 v197, v4, v5, v197
	v_cvt_f32_f64_e32 v4, v[78:79]
	v_cvt_f32_f64_e32 v5, v[67:68]
	s_delay_alu instid0(VALU_DEP_1) | instskip(SKIP_2) | instid1(VALU_DEP_1)
	v_min3_f32 v135, v4, v5, v135
	v_cvt_f32_f64_e32 v4, v[18:19]
	v_cvt_f32_f64_e32 v5, v[20:21]
	v_min3_f32 v134, v4, v5, v134
	s_waitcnt vmcnt(1)
	v_cvt_f32_f64_e32 v27, v[80:81]
	scratch_load_b64 v[80:81], off, off offset:264 ; 8-byte Folded Reload
	v_min3_f32 v196, v26, v27, v196
	scratch_load_b64 v[26:27], off, off offset:288 ; 8-byte Folded Reload
	s_waitcnt vmcnt(0)
	v_cvt_f32_f64_e32 v26, v[26:27]
	v_cvt_f32_f64_e32 v27, v[80:81]
	s_delay_alu instid0(VALU_DEP_1) | instskip(SKIP_2) | instid1(VALU_DEP_1)
	v_min3_f32 v193, v26, v27, v193
	v_cvt_f32_f64_e32 v26, v[223:224]
	v_cvt_f32_f64_e32 v27, v[221:222]
	v_min3_f32 v192, v26, v27, v192
	v_cvt_f32_f64_e32 v26, v[227:228]
	v_cvt_f32_f64_e32 v27, v[225:226]
	s_delay_alu instid0(VALU_DEP_1) | instskip(SKIP_2) | instid1(VALU_DEP_1)
	v_min3_f32 v191, v26, v27, v191
	v_cvt_f32_f64_e32 v26, v[231:232]
	v_cvt_f32_f64_e32 v27, v[229:230]
	v_min3_f32 v203, v26, v27, v203
	;; [unrolled: 7-line block ×12, first 2 shown]
	v_cvt_f32_f64_e32 v26, v[166:167]
	v_cvt_f32_f64_e32 v27, v[168:169]
	s_delay_alu instid0(VALU_DEP_1)
	v_min3_f32 v139, v26, v27, v139
	s_cbranch_vccz .LBB122_33
; %bb.34:
	s_clause 0x1
	scratch_load_b32 v95, off, off offset:364
	scratch_load_b64 v[1:2], off, off offset:304
	v_dual_mov_b32 v73, v191 :: v_dual_lshlrev_b32 v0, 5, v77
	v_dual_mov_b32 v109, v212 :: v_dual_mov_b32 v32, v209
	v_dual_mov_b32 v99, v210 :: v_dual_mov_b32 v38, v207
	;; [unrolled: 1-line block ×4, first 2 shown]
	v_mov_b32_e32 v71, v190
	v_mov_b32_e32 v69, v189
	;; [unrolled: 1-line block ×6, first 2 shown]
	s_mov_b32 s31, 8
	s_cmp_gt_i32 s18, 8
	s_waitcnt vmcnt(1)
	v_lshl_add_u32 v0, v95, 3, v0
	s_waitcnt vmcnt(0)
	ds_store_b64 v0, v[1:2] offset:18432
	s_clause 0x1
	scratch_load_b64 v[1:2], off, off offset:316
	scratch_load_b64 v[3:4], off, off offset:324
	s_waitcnt vmcnt(0)
	ds_store_2addr_stride64_b64 v0, v[1:2], v[3:4] offset0:16 offset1:20
	s_clause 0x1
	scratch_load_b64 v[1:2], off, off offset:332
	scratch_load_b64 v[3:4], off, off offset:340
	s_waitcnt vmcnt(0)
	ds_store_2addr_stride64_b64 v0, v[1:2], v[3:4] offset0:24 offset1:28
	s_waitcnt lgkmcnt(0)
	s_waitcnt_vscnt null, 0x0
	s_barrier
	buffer_gl0_inv
	scratch_store_b32 off, v214, off offset:8 ; 4-byte Folded Spill
	s_cbranch_scc0 .LBB122_63
; %bb.35:
	v_lshlrev_b64 v[1:2], 3, v[215:216]
	v_add_nc_u32_e32 v3, 0x4800, v0
	v_or_b32_e32 v0, 0x2000, v0
	v_lshlrev_b64 v[4:5], 3, v[217:218]
	v_mov_b32_e32 v37, v110
	v_mov_b32_e32 v35, v109
	s_clause 0x1
	scratch_store_b32 off, v3, off offset:376
	scratch_store_b32 off, v0, off offset:380
	v_add_co_u32 v0, vcc_lo, s24, v1
	s_add_i32 s24, s18, -8
	s_clause 0x1
	scratch_store_b64 off, v[4:5], off offset:316
	scratch_store_b32 off, v0, off offset:384
	v_add_co_ci_u32_e32 v0, vcc_lo, s25, v2, vcc_lo
	s_mov_b32 s25, 0
	scratch_store_b32 off, v0, off offset:388 ; 4-byte Folded Spill
.LBB122_36:                             ; =>This Loop Header: Depth=1
                                        ;     Child Loop BB122_47 Depth 2
                                        ;     Child Loop BB122_59 Depth 2
	v_add_nc_u32_e32 v0, s31, v95
	s_delay_alu instid0(VALU_DEP_1) | instskip(SKIP_1) | instid1(SALU_CYCLE_1)
	v_cmp_le_i32_e32 vcc_lo, s18, v0
	s_or_b32 s7, s2, vcc_lo
	v_cndmask_b32_e64 v7, 0, 0x7fefffff, s7
	v_cndmask_b32_e64 v6, 0, -1, s7
	s_or_b32 s7, s26, s7
	s_delay_alu instid0(SALU_CYCLE_1)
	s_xor_b32 s7, s7, -1
	s_mov_b32 s33, exec_lo
	v_mov_b32_e32 v41, v112
	v_mov_b32_e32 v39, v103
	;; [unrolled: 1-line block ×3, first 2 shown]
	s_and_b32 s7, s33, s7
	s_delay_alu instid0(SALU_CYCLE_1)
	s_mov_b32 exec_lo, s7
	s_cbranch_execz .LBB122_38
; %bb.37:                               ;   in Loop: Header=BB122_36 Depth=1
	v_mad_u64_u32 v[1:2], null, v0, s27, 0
	s_delay_alu instid0(VALU_DEP_1) | instskip(SKIP_2) | instid1(VALU_DEP_1)
	v_mad_u64_u32 v[6:7], null, v0, s28, v[2:3]
	scratch_load_b32 v3, off, off offset:384 ; 4-byte Folded Reload
	v_mov_b32_e32 v2, v6
	v_lshlrev_b64 v[1:2], 3, v[1:2]
	s_waitcnt vmcnt(0)
	s_delay_alu instid0(VALU_DEP_1)
	v_add_co_u32 v1, s7, v3, v1
	scratch_load_b32 v3, off, off offset:388 ; 4-byte Folded Reload
	s_waitcnt vmcnt(0)
	v_add_co_ci_u32_e64 v2, s7, v3, v2, s7
	flat_load_b64 v[1:2], v[1:2]
	s_waitcnt vmcnt(0) lgkmcnt(0)
	v_mul_f64 v[6:7], v[1:2], s[20:21]
.LBB122_38:                             ;   in Loop: Header=BB122_36 Depth=1
	s_or_b32 exec_lo, exec_lo, s33
	v_min_i32_e32 v2, s29, v0
	s_or_b32 s33, s3, vcc_lo
	s_delay_alu instid0(SALU_CYCLE_1) | instskip(SKIP_1) | instid1(VALU_DEP_3)
	v_cndmask_b32_e64 v9, 0, 0x7fefffff, s33
	v_cndmask_b32_e64 v8, 0, -1, s33
	v_mad_i64_i32 v[0:1], null, v2, s30, 0
	s_delay_alu instid0(VALU_DEP_1) | instskip(NEXT) | instid1(VALU_DEP_1)
	v_lshlrev_b64 v[0:1], 3, v[0:1]
	v_add_co_u32 v0, s7, s8, v0
	s_delay_alu instid0(VALU_DEP_1) | instskip(SKIP_1) | instid1(SALU_CYCLE_1)
	v_add_co_ci_u32_e64 v1, s7, s9, v1, s7
	s_or_b32 s7, s26, s33
	s_xor_b32 s7, s7, -1
	s_delay_alu instid0(SALU_CYCLE_1)
	s_and_saveexec_b32 s33, s7
	s_cbranch_execz .LBB122_40
; %bb.39:                               ;   in Loop: Header=BB122_36 Depth=1
	s_waitcnt vmcnt(0)
	v_add_co_u32 v2, s7, v0, v4
	s_delay_alu instid0(VALU_DEP_1)
	v_add_co_ci_u32_e64 v3, s7, v1, v5, s7
	flat_load_b64 v[2:3], v[2:3]
	s_waitcnt vmcnt(0) lgkmcnt(0)
	v_mul_f64 v[8:9], v[2:3], s[20:21]
.LBB122_40:                             ;   in Loop: Header=BB122_36 Depth=1
	s_or_b32 exec_lo, exec_lo, s33
	s_or_b32 s7, s4, vcc_lo
	s_delay_alu instid0(SALU_CYCLE_1) | instskip(SKIP_2) | instid1(SALU_CYCLE_1)
	v_cndmask_b32_e64 v11, 0, 0x7fefffff, s7
	v_cndmask_b32_e64 v10, 0, -1, s7
	s_or_b32 s7, s26, s7
	s_xor_b32 s7, s7, -1
	s_delay_alu instid0(SALU_CYCLE_1)
	s_and_saveexec_b32 s33, s7
	s_cbranch_execz .LBB122_42
; %bb.41:                               ;   in Loop: Header=BB122_36 Depth=1
	s_waitcnt vmcnt(0)
	v_add_co_u32 v2, s7, v0, v4
	s_delay_alu instid0(VALU_DEP_1)
	v_add_co_ci_u32_e64 v3, s7, v1, v5, s7
	flat_load_b64 v[2:3], v[2:3] offset:512
	s_waitcnt vmcnt(0) lgkmcnt(0)
	v_mul_f64 v[10:11], v[2:3], s[20:21]
.LBB122_42:                             ;   in Loop: Header=BB122_36 Depth=1
	s_or_b32 exec_lo, exec_lo, s33
	s_or_b32 s7, s5, vcc_lo
	s_clause 0x1
	scratch_store_b64 off, v[8:9], off offset:332
	scratch_store_b64 off, v[6:7], off offset:324
	v_cndmask_b32_e64 v3, 0, 0x7fefffff, s7
	v_cndmask_b32_e64 v2, 0, -1, s7
	s_or_b32 s7, s26, s7
	s_delay_alu instid0(SALU_CYCLE_1) | instskip(NEXT) | instid1(SALU_CYCLE_1)
	s_xor_b32 s7, s7, -1
	s_and_saveexec_b32 s33, s7
	s_cbranch_execz .LBB122_44
; %bb.43:                               ;   in Loop: Header=BB122_36 Depth=1
	s_waitcnt vmcnt(0)
	v_add_co_u32 v2, s7, v0, v4
	s_delay_alu instid0(VALU_DEP_1)
	v_add_co_ci_u32_e64 v3, s7, v1, v5, s7
	flat_load_b64 v[2:3], v[2:3] offset:1024
	s_waitcnt vmcnt(0) lgkmcnt(0)
	v_mul_f64 v[2:3], v[2:3], s[20:21]
.LBB122_44:                             ;   in Loop: Header=BB122_36 Depth=1
	s_or_b32 exec_lo, exec_lo, s33
	s_or_b32 s7, s6, vcc_lo
	v_mov_b32_e32 v40, v204
	v_dual_mov_b32 v74, v193 :: v_dual_mov_b32 v43, v56
	v_mov_b32_e32 v72, v203
	v_mov_b32_e32 v70, v200
	;; [unrolled: 1-line block ×3, first 2 shown]
	v_cndmask_b32_e64 v7, 0, 0x7fefffff, s7
	v_cndmask_b32_e64 v6, 0, -1, s7
	s_or_b32 s7, s26, s7
	scratch_store_b64 off, v[10:11], off offset:340 ; 8-byte Folded Spill
	s_xor_b32 s33, s7, -1
	s_delay_alu instid0(SALU_CYCLE_1)
	s_and_saveexec_b32 s7, s33
	s_cbranch_execz .LBB122_46
; %bb.45:                               ;   in Loop: Header=BB122_36 Depth=1
	s_waitcnt vmcnt(0)
	v_add_co_u32 v0, vcc_lo, v0, v4
	v_add_co_ci_u32_e32 v1, vcc_lo, v1, v5, vcc_lo
	flat_load_b64 v[0:1], v[0:1] offset:1536
	s_waitcnt vmcnt(0) lgkmcnt(0)
	v_mul_f64 v[6:7], v[0:1], s[20:21]
.LBB122_46:                             ;   in Loop: Header=BB122_36 Depth=1
	s_or_b32 exec_lo, exec_lo, s7
	v_dual_mov_b32 v51, v113 :: v_dual_mov_b32 v52, v114
	v_dual_mov_b32 v48, v57 :: v_dual_mov_b32 v193, v59
	v_mov_b32_e32 v68, v61
	v_mov_b32_e32 v34, v211
	s_mov_b32 s33, 0
	s_mov_b32 s7, -1
	s_clause 0x1
	scratch_store_b64 off, v[6:7], off offset:356
	scratch_store_b64 off, v[2:3], off offset:348
.LBB122_47:                             ;   Parent Loop BB122_36 Depth=1
                                        ; =>  This Inner Loop Header: Depth=2
	s_lshl_b32 s33, s33, 3
	v_mov_b32_e32 v148, v49
	v_lshl_add_u32 v29, v214, 5, s33
	s_waitcnt vmcnt(0)
	v_lshl_add_u32 v4, v63, 5, s33
	s_mov_b32 s33, 2
	s_and_not1_b32 vcc_lo, exec_lo, s7
	s_mov_b32 s7, 0
	ds_load_b128 v[44:47], v29 offset:8192
	ds_load_b128 v[0:3], v4 offset:18432
	;; [unrolled: 1-line block ×4, first 2 shown]
	s_waitcnt lgkmcnt(2)
	v_add_f64 v[142:143], v[2:3], v[46:47]
	s_waitcnt lgkmcnt(1)
	v_add_f64 v[5:6], v[151:152], v[46:47]
	v_add_f64 v[66:67], v[0:1], v[44:45]
	scratch_store_b64 off, v[5:6], off offset:16 ; 8-byte Folded Spill
	v_add_f64 v[5:6], v[149:150], v[44:45]
	scratch_store_b64 off, v[5:6], off offset:72 ; 8-byte Folded Spill
	ds_load_b128 v[157:160], v4 offset:18944
	ds_load_b128 v[161:164], v4 offset:19200
	s_waitcnt lgkmcnt(1)
	v_add_f64 v[5:6], v[159:160], v[46:47]
	scratch_store_b64 off, v[5:6], off offset:48 ; 8-byte Folded Spill
	v_add_f64 v[5:6], v[157:158], v[44:45]
	scratch_store_b64 off, v[5:6], off offset:104 ; 8-byte Folded Spill
	s_waitcnt lgkmcnt(0)
	v_add_f64 v[5:6], v[163:164], v[46:47]
	scratch_store_b64 off, v[5:6], off offset:24 ; 8-byte Folded Spill
	v_add_f64 v[5:6], v[161:162], v[44:45]
	scratch_store_b64 off, v[5:6], off offset:80 ; 8-byte Folded Spill
	ds_load_b128 v[165:168], v4 offset:19456
	ds_load_b128 v[169:172], v4 offset:19712
	s_waitcnt lgkmcnt(1)
	v_add_f64 v[5:6], v[167:168], v[46:47]
	scratch_store_b64 off, v[5:6], off offset:56 ; 8-byte Folded Spill
	v_add_f64 v[5:6], v[165:166], v[44:45]
	scratch_store_b64 off, v[5:6], off offset:112 ; 8-byte Folded Spill
	s_waitcnt lgkmcnt(0)
	;; [unrolled: 12-line block ×3, first 2 shown]
	v_add_f64 v[4:5], v[179:180], v[46:47]
	v_dual_mov_b32 v47, v192 :: v_dual_mov_b32 v54, v119
	v_mov_b32_e32 v138, v184
	ds_load_b128 v[181:184], v29 offset:11264
	s_waitcnt lgkmcnt(0)
	v_add_f64 v[219:220], v[2:3], v[183:184]
	v_add_f64 v[221:222], v[0:1], v[181:182]
	;; [unrolled: 1-line block ×14, first 2 shown]
	scratch_store_b64 off, v[4:5], off offset:40 ; 8-byte Folded Spill
	v_add_f64 v[4:5], v[177:178], v[44:45]
	v_add_f64 v[247:248], v[179:180], v[183:184]
	;; [unrolled: 1-line block ×3, first 2 shown]
	scratch_store_b64 off, v[4:5], off offset:96 ; 8-byte Folded Spill
	v_add_f64 v[4:5], v[2:3], v[155:156]
	scratch_store_b64 off, v[4:5], off offset:128 ; 8-byte Folded Spill
	v_add_f64 v[4:5], v[0:1], v[153:154]
	;; [unrolled: 2-line block ×16, first 2 shown]
	ds_load_b128 v[153:156], v29 offset:10240
	s_waitcnt lgkmcnt(0)
	v_add_f64 v[16:17], v[2:3], v[155:156]
	v_add_f64 v[118:119], v[0:1], v[153:154]
	;; [unrolled: 1-line block ×9, first 2 shown]
	scratch_store_b64 off, v[4:5], off offset:248 ; 8-byte Folded Spill
	v_add_f64 v[4:5], v[167:168], v[155:156]
	scratch_store_b64 off, v[4:5], off offset:288 ; 8-byte Folded Spill
	v_add_f64 v[4:5], v[165:166], v[153:154]
	;; [unrolled: 2-line block ×7, first 2 shown]
	scratch_store_b64 off, v[4:5], off offset:280 ; 8-byte Folded Spill
	ds_load_b128 v[153:156], v29 offset:12288
	ds_load_b128 v[181:184], v29 offset:13312
	s_waitcnt lgkmcnt(1)
	v_add_f64 v[251:252], v[2:3], v[155:156]
	v_add_f64 v[253:254], v[0:1], v[153:154]
	;; [unrolled: 1-line block ×16, first 2 shown]
	s_waitcnt lgkmcnt(0)
	v_add_f64 v[88:89], v[2:3], v[183:184]
	v_add_f64 v[90:91], v[0:1], v[181:182]
	;; [unrolled: 1-line block ×16, first 2 shown]
	ds_load_b128 v[153:156], v29 offset:14336
	ds_load_b128 v[181:184], v29 offset:15360
	scratch_load_b64 v[49:50], off, off offset:72 ; 8-byte Folded Reload
	v_cvt_f32_f64_e32 v29, v[66:67]
	v_cvt_f32_f64_e32 v66, v[142:143]
	;; [unrolled: 1-line block ×5, first 2 shown]
	s_waitcnt lgkmcnt(1)
	v_add_f64 v[108:109], v[2:3], v[155:156]
	v_add_f64 v[112:113], v[151:152], v[155:156]
	;; [unrolled: 1-line block ×8, first 2 shown]
	s_waitcnt lgkmcnt(0)
	v_add_f64 v[2:3], v[2:3], v[183:184]
	v_add_f64 v[151:152], v[151:152], v[183:184]
	;; [unrolled: 1-line block ×14, first 2 shown]
	v_min3_f32 v141, v29, v66, v141
	v_add_f64 v[149:150], v[149:150], v[181:182]
	v_add_f64 v[157:158], v[157:158], v[181:182]
	;; [unrolled: 1-line block ×8, first 2 shown]
	v_min3_f32 v193, v6, v4, v193
	v_cvt_f32_f64_e32 v4, v[10:11]
	v_add_f64 v[153:154], v[177:178], v[153:154]
	v_add_f64 v[177:178], v[177:178], v[181:182]
	scratch_load_b32 v6, off, off offset:4  ; 4-byte Folded Reload
	v_cvt_f32_f64_e32 v0, v[0:1]
	v_cvt_f32_f64_e32 v1, v[2:3]
	scratch_load_b32 v2, off, off           ; 4-byte Folded Reload
	v_min3_f32 v43, v4, v5, v43
	v_cvt_f32_f64_e32 v4, v[14:15]
	v_cvt_f32_f64_e32 v5, v[26:27]
	v_min3_f32 v133, v0, v1, v133
	v_cvt_f32_f64_e32 v0, v[149:150]
	v_cvt_f32_f64_e32 v1, v[151:152]
	s_delay_alu instid0(VALU_DEP_4) | instskip(SKIP_2) | instid1(VALU_DEP_4)
	v_min3_f32 v48, v4, v5, v48
	v_cvt_f32_f64_e32 v4, v[78:79]
	v_cvt_f32_f64_e32 v5, v[76:77]
	v_min3_f32 v132, v0, v1, v132
	v_cvt_f32_f64_e32 v0, v[157:158]
	v_cvt_f32_f64_e32 v1, v[159:160]
	s_waitcnt vmcnt(2)
	v_cvt_f32_f64_e32 v29, v[49:50]
	scratch_load_b64 v[49:50], off, off offset:16 ; 8-byte Folded Reload
	s_waitcnt vmcnt(1)
	v_min3_f32 v2, v0, v1, v2
	v_cvt_f32_f64_e32 v0, v[161:162]
	v_cvt_f32_f64_e32 v1, v[163:164]
	scratch_store_b32 off, v2, off          ; 4-byte Folded Spill
	v_min3_f32 v130, v0, v1, v130
	v_cvt_f32_f64_e32 v0, v[165:166]
	v_cvt_f32_f64_e32 v1, v[167:168]
	s_delay_alu instid0(VALU_DEP_1) | instskip(SKIP_2) | instid1(VALU_DEP_1)
	v_min3_f32 v128, v0, v1, v128
	v_cvt_f32_f64_e32 v0, v[169:170]
	v_cvt_f32_f64_e32 v1, v[171:172]
	v_min3_f32 v126, v0, v1, v126
	v_cvt_f32_f64_e32 v0, v[173:174]
	v_cvt_f32_f64_e32 v1, v[175:176]
	s_delay_alu instid0(VALU_DEP_1) | instskip(SKIP_2) | instid1(VALU_DEP_1)
	v_min3_f32 v124, v0, v1, v124
	v_cvt_f32_f64_e32 v0, v[177:178]
	v_cvt_f32_f64_e32 v1, v[179:180]
	v_min3_f32 v122, v0, v1, v122
	s_waitcnt vmcnt(0)
	v_cvt_f32_f64_e32 v66, v[49:50]
	scratch_load_b64 v[49:50], off, off offset:104 ; 8-byte Folded Reload
	v_min3_f32 v140, v29, v66, v140
	s_waitcnt vmcnt(0)
	v_cvt_f32_f64_e32 v29, v[49:50]
	scratch_load_b64 v[49:50], off, off offset:48 ; 8-byte Folded Reload
	s_waitcnt vmcnt(0)
	v_cvt_f32_f64_e32 v66, v[49:50]
	scratch_load_b64 v[49:50], off, off offset:80 ; 8-byte Folded Reload
	v_min3_f32 v131, v29, v66, v131
	s_waitcnt vmcnt(0)
	v_cvt_f32_f64_e32 v29, v[49:50]
	scratch_load_b64 v[49:50], off, off offset:24 ; 8-byte Folded Reload
	;; [unrolled: 7-line block ×7, first 2 shown]
	s_waitcnt vmcnt(0)
	v_cvt_f32_f64_e32 v66, v[49:50]
	scratch_load_b64 v[49:50], off, off offset:152 ; 8-byte Folded Reload
	v_min3_f32 v28, v29, v66, v28
	scratch_load_b64 v[66:67], off, off offset:200 ; 8-byte Folded Reload
	s_waitcnt vmcnt(1)
	v_cvt_f32_f64_e32 v29, v[49:50]
	scratch_load_b64 v[49:50], off, off offset:144 ; 8-byte Folded Reload
	s_waitcnt vmcnt(0)
	v_cvt_f32_f64_e32 v50, v[49:50]
	s_delay_alu instid0(VALU_DEP_1)
	v_min3_f32 v127, v29, v50, v127
	scratch_load_b64 v[49:50], off, off offset:168 ; 8-byte Folded Reload
	s_waitcnt vmcnt(0)
	v_cvt_f32_f64_e32 v29, v[49:50]
	scratch_load_b64 v[49:50], off, off offset:160 ; 8-byte Folded Reload
	s_waitcnt vmcnt(0)
	v_cvt_f32_f64_e32 v50, v[49:50]
	s_delay_alu instid0(VALU_DEP_1)
	v_min3_f32 v201, v29, v50, v201
	scratch_load_b64 v[49:50], off, off offset:184 ; 8-byte Folded Reload
	s_waitcnt vmcnt(0)
	v_cvt_f32_f64_e32 v29, v[49:50]
	scratch_load_b64 v[49:50], off, off offset:176 ; 8-byte Folded Reload
	s_waitcnt vmcnt(0)
	v_cvt_f32_f64_e32 v44, v[49:50]
	v_mov_b32_e32 v49, v148
	s_delay_alu instid0(VALU_DEP_2)
	v_min3_f32 v137, v29, v44, v137
	v_cvt_f32_f64_e32 v29, v[66:67]
	scratch_load_b64 v[66:67], off, off offset:192 ; 8-byte Folded Reload
	s_waitcnt vmcnt(0)
	v_cvt_f32_f64_e32 v42, v[66:67]
	scratch_load_b64 v[66:67], off, off offset:216 ; 8-byte Folded Reload
	v_min3_f32 v35, v29, v42, v35
	s_waitcnt vmcnt(0)
	v_cvt_f32_f64_e32 v29, v[66:67]
	scratch_load_b64 v[66:67], off, off offset:208 ; 8-byte Folded Reload
	s_waitcnt vmcnt(0)
	v_cvt_f32_f64_e32 v42, v[66:67]
	scratch_load_b64 v[66:67], off, off offset:232 ; 8-byte Folded Reload
	v_min3_f32 v34, v29, v42, v34
	s_waitcnt vmcnt(0)
	;; [unrolled: 7-line block ×3, first 2 shown]
	v_cvt_f32_f64_e32 v29, v[66:67]
	scratch_load_b64 v[66:67], off, off offset:240 ; 8-byte Folded Reload
	s_waitcnt vmcnt(0)
	v_cvt_f32_f64_e32 v42, v[66:67]
	s_delay_alu instid0(VALU_DEP_1)
	v_min3_f32 v32, v29, v42, v32
	v_cvt_f32_f64_e32 v29, v[118:119]
	v_cvt_f32_f64_e32 v42, v[16:17]
	;; [unrolled: 1-line block ×4, first 2 shown]
	scratch_load_b64 v[20:21], off, off offset:288 ; 8-byte Folded Reload
	v_mov_b32_e32 v119, v54
	v_mov_b32_e32 v184, v138
	s_delay_alu instid0(VALU_DEP_2) | instskip(SKIP_4) | instid1(VALU_DEP_3)
	v_min3_f32 v119, v4, v5, v119
	v_cvt_f32_f64_e32 v4, v[82:83]
	v_cvt_f32_f64_e32 v5, v[80:81]
	v_min3_f32 v39, v29, v42, v39
	v_cvt_f32_f64_e32 v29, v[187:188]
	v_min3_f32 v55, v4, v5, v55
	v_cvt_f32_f64_e32 v4, v[86:87]
	v_cvt_f32_f64_e32 v5, v[84:85]
	s_delay_alu instid0(VALU_DEP_4) | instskip(SKIP_1) | instid1(VALU_DEP_3)
	v_min3_f32 v38, v29, v16, v38
	v_cvt_f32_f64_e32 v16, v[189:190]
	v_min3_f32 v117, v4, v5, v117
	v_cvt_f32_f64_e32 v4, v[90:91]
	v_cvt_f32_f64_e32 v5, v[88:89]
	s_delay_alu instid0(VALU_DEP_4) | instskip(SKIP_2) | instid1(VALU_DEP_4)
	v_min3_f32 v37, v16, v17, v37
	v_cvt_f32_f64_e32 v16, v[120:121]
	v_cvt_f32_f64_e32 v17, v[45:46]
	v_min3_f32 v116, v4, v5, v116
	v_cvt_f32_f64_e32 v4, v[94:95]
	v_cvt_f32_f64_e32 v5, v[92:93]
	s_delay_alu instid0(VALU_DEP_4) | instskip(SKIP_4) | instid1(VALU_DEP_1)
	v_min3_f32 v36, v16, v17, v36
	scratch_load_b64 v[16:17], off, off offset:304 ; 8-byte Folded Reload
	v_min3_f32 v53, v4, v5, v53
	v_cvt_f32_f64_e32 v4, v[24:25]
	v_cvt_f32_f64_e32 v5, v[22:23]
	v_min3_f32 v52, v4, v5, v52
	v_cvt_f32_f64_e32 v4, v[98:99]
	v_cvt_f32_f64_e32 v5, v[96:97]
	s_delay_alu instid0(VALU_DEP_1) | instskip(SKIP_2) | instid1(VALU_DEP_1)
	v_min3_f32 v51, v4, v5, v51
	v_cvt_f32_f64_e32 v4, v[58:59]
	v_cvt_f32_f64_e32 v5, v[56:57]
	v_min3_f32 v184, v4, v5, v184
	v_cvt_f32_f64_e32 v4, v[100:101]
	v_cvt_f32_f64_e32 v5, v[60:61]
	s_delay_alu instid0(VALU_DEP_1) | instskip(SKIP_2) | instid1(VALU_DEP_1)
	;; [unrolled: 7-line block ×3, first 2 shown]
	v_min3_f32 v139, v4, v5, v139
	v_cvt_f32_f64_e32 v4, v[110:111]
	v_cvt_f32_f64_e32 v5, v[108:109]
	v_min3_f32 v62, v4, v5, v62
	v_cvt_f32_f64_e32 v4, v[215:216]
	v_cvt_f32_f64_e32 v5, v[112:113]
	s_waitcnt vmcnt(0)
	v_cvt_f32_f64_e32 v16, v[16:17]
	v_cvt_f32_f64_e32 v17, v[20:21]
	scratch_load_b64 v[20:21], off, off offset:272 ; 8-byte Folded Reload
	v_min3_f32 v255, v4, v5, v255
	v_cvt_f32_f64_e32 v4, v[114:115]
	v_cvt_f32_f64_e32 v5, v[211:212]
	v_min3_f32 v41, v16, v17, v41
	v_cvt_f32_f64_e32 v16, v[191:192]
	v_mov_b32_e32 v192, v47
	s_delay_alu instid0(VALU_DEP_4) | instskip(SKIP_2) | instid1(VALU_DEP_1)
	v_min3_f32 v185, v4, v5, v185
	v_cvt_f32_f64_e32 v4, v[217:218]
	v_cvt_f32_f64_e32 v5, v[207:208]
	v_min3_f32 v136, v4, v5, v136
	v_cvt_f32_f64_e32 v4, v[213:214]
	scratch_load_b32 v214, off, off offset:8 ; 4-byte Folded Reload
	v_cvt_f32_f64_e32 v5, v[203:204]
	s_delay_alu instid0(VALU_DEP_1)
	v_min3_f32 v6, v4, v5, v6
	v_cvt_f32_f64_e32 v4, v[209:210]
	v_cvt_f32_f64_e32 v5, v[199:200]
	scratch_store_b32 off, v6, off offset:4 ; 4-byte Folded Spill
	v_min3_f32 v197, v4, v5, v197
	v_cvt_f32_f64_e32 v4, v[205:206]
	v_cvt_f32_f64_e32 v5, v[195:196]
	s_delay_alu instid0(VALU_DEP_1) | instskip(SKIP_2) | instid1(VALU_DEP_1)
	v_min3_f32 v135, v4, v5, v135
	v_cvt_f32_f64_e32 v4, v[153:154]
	v_cvt_f32_f64_e32 v5, v[155:156]
	v_min3_f32 v134, v4, v5, v134
	s_waitcnt vmcnt(1)
	v_cvt_f32_f64_e32 v17, v[20:21]
	scratch_load_b64 v[20:21], off, off offset:264 ; 8-byte Folded Reload
	v_min3_f32 v40, v16, v17, v40
	scratch_load_b64 v[16:17], off, off offset:296 ; 8-byte Folded Reload
	s_waitcnt vmcnt(0)
	v_cvt_f32_f64_e32 v16, v[16:17]
	v_cvt_f32_f64_e32 v17, v[20:21]
	scratch_load_b64 v[20:21], off, off offset:256 ; 8-byte Folded Reload
	v_min3_f32 v75, v16, v17, v75
	scratch_load_b64 v[16:17], off, off offset:280 ; 8-byte Folded Reload
	s_waitcnt vmcnt(0)
	v_cvt_f32_f64_e32 v16, v[16:17]
	v_cvt_f32_f64_e32 v17, v[20:21]
	s_delay_alu instid0(VALU_DEP_1) | instskip(SKIP_2) | instid1(VALU_DEP_1)
	v_min3_f32 v74, v16, v17, v74
	v_cvt_f32_f64_e32 v16, v[221:222]
	v_cvt_f32_f64_e32 v17, v[219:220]
	v_min3_f32 v192, v16, v17, v192
	v_cvt_f32_f64_e32 v16, v[225:226]
	v_cvt_f32_f64_e32 v17, v[223:224]
	s_delay_alu instid0(VALU_DEP_1) | instskip(SKIP_2) | instid1(VALU_DEP_1)
	v_min3_f32 v73, v16, v17, v73
	v_cvt_f32_f64_e32 v16, v[229:230]
	v_cvt_f32_f64_e32 v17, v[227:228]
	v_min3_f32 v72, v16, v17, v72
	;; [unrolled: 7-line block ×5, first 2 shown]
	v_cvt_f32_f64_e32 v16, v[146:147]
	v_cvt_f32_f64_e32 v17, v[144:145]
	s_delay_alu instid0(VALU_DEP_1)
	v_min3_f32 v194, v16, v17, v194
	s_cbranch_vccz .LBB122_47
; %bb.48:                               ;   in Loop: Header=BB122_36 Depth=1
	s_clause 0x2
	scratch_load_b32 v95, off, off offset:364
	scratch_load_b32 v1, off, off offset:372
	scratch_load_b64 v[2:3], off, off offset:324
	v_dual_mov_b32 v94, v68 :: v_dual_mov_b32 v59, v193
	v_mov_b32_e32 v57, v48
	v_dual_mov_b32 v114, v52 :: v_dual_mov_b32 v113, v51
	s_waitcnt vmcnt(2)
	v_add3_u32 v0, v95, s31, 4
	s_waitcnt vmcnt(0)
	ds_store_b64 v1, v[2:3]
	s_clause 0x2
	scratch_load_b32 v1, off, off offset:368
	scratch_load_b64 v[2:3], off, off offset:332
	scratch_load_b64 v[4:5], off, off offset:340
	v_cmp_le_i32_e32 vcc_lo, s18, v0
	s_or_b32 s7, s2, vcc_lo
	s_delay_alu instid0(SALU_CYCLE_1) | instskip(SKIP_2) | instid1(SALU_CYCLE_1)
	v_cndmask_b32_e64 v7, 0, 0x7fefffff, s7
	v_cndmask_b32_e64 v6, 0, -1, s7
	s_or_b32 s7, s26, s7
	s_xor_b32 s7, s7, -1
	s_waitcnt vmcnt(0)
	ds_store_2addr_stride64_b64 v1, v[2:3], v[4:5] offset1:4
	s_clause 0x1
	scratch_load_b64 v[2:3], off, off offset:348
	scratch_load_b64 v[4:5], off, off offset:356
	s_waitcnt vmcnt(0)
	ds_store_2addr_stride64_b64 v1, v[2:3], v[4:5] offset0:8 offset1:12
	s_waitcnt lgkmcnt(0)
	s_waitcnt_vscnt null, 0x0
	s_barrier
	buffer_gl0_inv
	s_and_saveexec_b32 s33, s7
	s_cbranch_execz .LBB122_50
; %bb.49:                               ;   in Loop: Header=BB122_36 Depth=1
	v_mad_u64_u32 v[1:2], null, v0, s27, 0
	s_delay_alu instid0(VALU_DEP_1) | instskip(SKIP_2) | instid1(VALU_DEP_1)
	v_mad_u64_u32 v[6:7], null, v0, s28, v[2:3]
	scratch_load_b32 v3, off, off offset:384 ; 4-byte Folded Reload
	v_mov_b32_e32 v2, v6
	v_lshlrev_b64 v[1:2], 3, v[1:2]
	s_waitcnt vmcnt(0)
	s_delay_alu instid0(VALU_DEP_1)
	v_add_co_u32 v1, s7, v3, v1
	scratch_load_b32 v3, off, off offset:388 ; 4-byte Folded Reload
	s_waitcnt vmcnt(0)
	v_add_co_ci_u32_e64 v2, s7, v3, v2, s7
	flat_load_b64 v[1:2], v[1:2]
	s_waitcnt vmcnt(0) lgkmcnt(0)
	v_mul_f64 v[6:7], v[1:2], s[20:21]
.LBB122_50:                             ;   in Loop: Header=BB122_36 Depth=1
	s_or_b32 exec_lo, exec_lo, s33
	v_min_i32_e32 v2, s29, v0
	s_or_b32 s33, s3, vcc_lo
	s_delay_alu instid0(SALU_CYCLE_1) | instskip(SKIP_1) | instid1(VALU_DEP_3)
	v_cndmask_b32_e64 v9, 0, 0x7fefffff, s33
	v_cndmask_b32_e64 v8, 0, -1, s33
	v_mad_i64_i32 v[0:1], null, v2, s30, 0
	s_delay_alu instid0(VALU_DEP_1) | instskip(NEXT) | instid1(VALU_DEP_1)
	v_lshlrev_b64 v[0:1], 3, v[0:1]
	v_add_co_u32 v0, s7, s8, v0
	s_delay_alu instid0(VALU_DEP_1) | instskip(SKIP_1) | instid1(SALU_CYCLE_1)
	v_add_co_ci_u32_e64 v1, s7, s9, v1, s7
	s_or_b32 s7, s26, s33
	s_xor_b32 s7, s7, -1
	s_mov_b32 s33, exec_lo
	scratch_load_b64 v[4:5], off, off offset:316 ; 8-byte Folded Reload
	v_mov_b32_e32 v199, v64
	s_and_b32 s7, s33, s7
	s_delay_alu instid0(SALU_CYCLE_1)
	s_mov_b32 exec_lo, s7
	s_cbranch_execz .LBB122_52
; %bb.51:                               ;   in Loop: Header=BB122_36 Depth=1
	s_waitcnt vmcnt(0)
	v_add_co_u32 v2, s7, v0, v4
	s_delay_alu instid0(VALU_DEP_1)
	v_add_co_ci_u32_e64 v3, s7, v1, v5, s7
	flat_load_b64 v[2:3], v[2:3]
	s_waitcnt vmcnt(0) lgkmcnt(0)
	v_mul_f64 v[8:9], v[2:3], s[20:21]
.LBB122_52:                             ;   in Loop: Header=BB122_36 Depth=1
	s_or_b32 exec_lo, exec_lo, s33
	s_or_b32 s7, s4, vcc_lo
	s_delay_alu instid0(SALU_CYCLE_1) | instskip(SKIP_2) | instid1(SALU_CYCLE_1)
	v_cndmask_b32_e64 v11, 0, 0x7fefffff, s7
	v_cndmask_b32_e64 v10, 0, -1, s7
	s_or_b32 s7, s26, s7
	s_xor_b32 s7, s7, -1
	s_delay_alu instid0(SALU_CYCLE_1)
	s_and_saveexec_b32 s33, s7
	s_cbranch_execz .LBB122_54
; %bb.53:                               ;   in Loop: Header=BB122_36 Depth=1
	s_waitcnt vmcnt(0)
	v_add_co_u32 v2, s7, v0, v4
	s_delay_alu instid0(VALU_DEP_1)
	v_add_co_ci_u32_e64 v3, s7, v1, v5, s7
	flat_load_b64 v[2:3], v[2:3] offset:512
	s_waitcnt vmcnt(0) lgkmcnt(0)
	v_mul_f64 v[10:11], v[2:3], s[20:21]
.LBB122_54:                             ;   in Loop: Header=BB122_36 Depth=1
	s_or_b32 exec_lo, exec_lo, s33
	s_or_b32 s7, s5, vcc_lo
	s_clause 0x1
	scratch_store_b64 off, v[8:9], off offset:296
	scratch_store_b64 off, v[6:7], off offset:288
	v_cndmask_b32_e64 v3, 0, 0x7fefffff, s7
	v_cndmask_b32_e64 v2, 0, -1, s7
	s_or_b32 s7, s26, s7
	s_delay_alu instid0(SALU_CYCLE_1) | instskip(NEXT) | instid1(SALU_CYCLE_1)
	s_xor_b32 s7, s7, -1
	s_and_saveexec_b32 s33, s7
	s_cbranch_execz .LBB122_56
; %bb.55:                               ;   in Loop: Header=BB122_36 Depth=1
	s_waitcnt vmcnt(0)
	v_add_co_u32 v2, s7, v0, v4
	s_delay_alu instid0(VALU_DEP_1)
	v_add_co_ci_u32_e64 v3, s7, v1, v5, s7
	flat_load_b64 v[2:3], v[2:3] offset:1024
	s_waitcnt vmcnt(0) lgkmcnt(0)
	v_mul_f64 v[2:3], v[2:3], s[20:21]
.LBB122_56:                             ;   in Loop: Header=BB122_36 Depth=1
	s_or_b32 exec_lo, exec_lo, s33
	s_or_b32 s7, s6, vcc_lo
	v_mov_b32_e32 v112, v41
	v_mov_b32_e32 v50, v194
	;; [unrolled: 1-line block ×3, first 2 shown]
	v_cndmask_b32_e64 v7, 0, 0x7fefffff, s7
	v_cndmask_b32_e64 v6, 0, -1, s7
	s_or_b32 s7, s26, s7
	scratch_store_b64 off, v[10:11], off offset:304 ; 8-byte Folded Spill
	s_xor_b32 s33, s7, -1
	s_delay_alu instid0(SALU_CYCLE_1)
	s_and_saveexec_b32 s7, s33
	s_cbranch_execz .LBB122_58
; %bb.57:                               ;   in Loop: Header=BB122_36 Depth=1
	s_waitcnt vmcnt(0)
	v_add_co_u32 v0, vcc_lo, v0, v4
	v_add_co_ci_u32_e32 v1, vcc_lo, v1, v5, vcc_lo
	flat_load_b64 v[0:1], v[0:1] offset:1536
	s_waitcnt vmcnt(0) lgkmcnt(0)
	v_mul_f64 v[6:7], v[0:1], s[20:21]
.LBB122_58:                             ;   in Loop: Header=BB122_36 Depth=1
	s_or_b32 exec_lo, exec_lo, s7
	v_dual_mov_b32 v254, v62 :: v_dual_mov_b32 v103, v39
	v_dual_mov_b32 v148, v139 :: v_dual_mov_b32 v61, v74
	;; [unrolled: 1-line block ×3, first 2 shown]
	v_mov_b32_e32 v52, v116
	v_mov_b32_e32 v54, v117
	;; [unrolled: 1-line block ×12, first 2 shown]
	s_mov_b32 s33, 0
	s_mov_b32 s7, -1
	s_clause 0x1
	scratch_store_b64 off, v[6:7], off offset:332
	scratch_store_b64 off, v[2:3], off offset:324
.LBB122_59:                             ;   Parent Loop BB122_36 Depth=1
                                        ; =>  This Inner Loop Header: Depth=2
	s_lshl_b32 s33, s33, 3
	v_dual_mov_b32 v107, v37 :: v_dual_mov_b32 v8, v184
	v_lshl_add_u32 v26, v214, 5, s33
	s_waitcnt vmcnt(0)
	v_lshl_add_u32 v4, v63, 5, s33
	v_mov_b32_e32 v109, v35
	v_mov_b32_e32 v51, v199
	ds_load_b128 v[44:47], v26
	ds_load_b128 v[0:3], v4 offset:16384
	ds_load_b128 v[149:152], v4 offset:16640
	;; [unrolled: 1-line block ×3, first 2 shown]
	v_mov_b32_e32 v11, v132
	v_mov_b32_e32 v43, v133
	s_mov_b32 s33, 2
	s_and_not1_b32 vcc_lo, exec_lo, s7
	s_mov_b32 s7, 0
	s_waitcnt lgkmcnt(2)
	v_add_f64 v[62:63], v[2:3], v[46:47]
	s_waitcnt lgkmcnt(1)
	v_add_f64 v[5:6], v[151:152], v[46:47]
	v_add_f64 v[37:38], v[0:1], v[44:45]
	s_delay_alu instid0(VALU_DEP_3)
	v_cvt_f32_f64_e32 v62, v[62:63]
	scratch_store_b64 off, v[5:6], off offset:16 ; 8-byte Folded Spill
	v_add_f64 v[5:6], v[149:150], v[44:45]
	v_cvt_f32_f64_e32 v37, v[37:38]
	scratch_store_b64 off, v[5:6], off offset:72 ; 8-byte Folded Spill
	ds_load_b128 v[157:160], v4 offset:16896
	ds_load_b128 v[161:164], v4 offset:17152
	v_min3_f32 v141, v37, v62, v141
	s_waitcnt lgkmcnt(1)
	v_add_f64 v[5:6], v[159:160], v[46:47]
	s_waitcnt lgkmcnt(0)
	v_add_f64 v[35:36], v[161:162], v[153:154]
	scratch_store_b64 off, v[5:6], off offset:48 ; 8-byte Folded Spill
	v_add_f64 v[5:6], v[157:158], v[44:45]
	scratch_store_b64 off, v[5:6], off offset:104 ; 8-byte Folded Spill
	;; [unrolled: 2-line block ×4, first 2 shown]
	ds_load_b128 v[165:168], v4 offset:17408
	ds_load_b128 v[169:172], v4 offset:17664
	s_waitcnt lgkmcnt(1)
	v_add_f64 v[5:6], v[167:168], v[46:47]
	s_waitcnt lgkmcnt(0)
	v_add_f64 v[29:30], v[169:170], v[153:154]
	scratch_store_b64 off, v[5:6], off offset:56 ; 8-byte Folded Spill
	v_add_f64 v[5:6], v[165:166], v[44:45]
	v_cvt_f32_f64_e32 v29, v[29:30]
	scratch_store_b64 off, v[5:6], off offset:112 ; 8-byte Folded Spill
	v_add_f64 v[5:6], v[171:172], v[46:47]
	scratch_store_b64 off, v[5:6], off offset:32 ; 8-byte Folded Spill
	v_add_f64 v[5:6], v[169:170], v[44:45]
	scratch_store_b64 off, v[5:6], off offset:88 ; 8-byte Folded Spill
	ds_load_b128 v[173:176], v4 offset:17920
	ds_load_b128 v[177:180], v4 offset:18176
	;; [unrolled: 1-line block ×3, first 2 shown]
	s_waitcnt lgkmcnt(2)
	v_add_f64 v[4:5], v[175:176], v[46:47]
	s_waitcnt lgkmcnt(0)
	v_add_f64 v[110:111], v[2:3], v[183:184]
	v_add_f64 v[78:79], v[151:152], v[183:184]
	;; [unrolled: 1-line block ×14, first 2 shown]
	scratch_store_b64 off, v[4:5], off offset:64 ; 8-byte Folded Spill
	v_add_f64 v[4:5], v[173:174], v[44:45]
	v_cvt_f32_f64_e32 v24, v[24:25]
	v_cvt_f32_f64_e32 v20, v[20:21]
	;; [unrolled: 1-line block ×5, first 2 shown]
	scratch_store_b64 off, v[4:5], off offset:120 ; 8-byte Folded Spill
	v_add_f64 v[4:5], v[179:180], v[46:47]
	v_add_f64 v[46:47], v[0:1], v[181:182]
	v_min3_f32 v68, v20, v21, v68
	v_cvt_f32_f64_e32 v20, v[195:196]
	v_cvt_f32_f64_e32 v21, v[33:34]
	scratch_store_b64 off, v[4:5], off offset:40 ; 8-byte Folded Spill
	v_add_f64 v[4:5], v[177:178], v[44:45]
	v_add_f64 v[44:45], v[163:164], v[183:184]
	v_min3_f32 v69, v20, v21, v69
	v_cvt_f32_f64_e32 v20, v[199:200]
	v_mov_b32_e32 v199, v51
	scratch_store_b64 off, v[4:5], off offset:96 ; 8-byte Folded Spill
	v_add_f64 v[4:5], v[2:3], v[155:156]
	v_cvt_f32_f64_e32 v25, v[44:45]
	v_min3_f32 v94, v20, v18, v94
	v_cvt_f32_f64_e32 v18, v[204:205]
	scratch_store_b64 off, v[4:5], off offset:128 ; 8-byte Folded Spill
	v_add_f64 v[4:5], v[0:1], v[153:154]
	v_min3_f32 v71, v24, v25, v71
	v_min3_f32 v60, v18, v16, v60
	scratch_store_b64 off, v[4:5], off offset:136 ; 8-byte Folded Spill
	v_add_f64 v[4:5], v[151:152], v[155:156]
	scratch_store_b64 off, v[4:5], off offset:144 ; 8-byte Folded Spill
	v_add_f64 v[4:5], v[149:150], v[153:154]
	;; [unrolled: 2-line block ×12, first 2 shown]
	ds_load_b128 v[153:156], v26 offset:2048
	s_waitcnt lgkmcnt(0)
	v_add_f64 v[82:83], v[2:3], v[155:156]
	v_add_f64 v[80:81], v[0:1], v[153:154]
	;; [unrolled: 1-line block ×10, first 2 shown]
	scratch_store_b64 off, v[4:5], off offset:232 ; 8-byte Folded Spill
	v_add_f64 v[4:5], v[167:168], v[155:156]
	scratch_store_b64 off, v[4:5], off offset:272 ; 8-byte Folded Spill
	v_add_f64 v[4:5], v[171:172], v[155:156]
	;; [unrolled: 2-line block ×6, first 2 shown]
	scratch_store_b64 off, v[4:5], off offset:264 ; 8-byte Folded Spill
	ds_load_b128 v[153:156], v26 offset:4096
	ds_load_b128 v[181:184], v26 offset:5120
	s_waitcnt lgkmcnt(1)
	v_add_f64 v[206:207], v[2:3], v[155:156]
	v_add_f64 v[208:209], v[0:1], v[153:154]
	;; [unrolled: 1-line block ×16, first 2 shown]
	s_waitcnt lgkmcnt(0)
	v_add_f64 v[238:239], v[2:3], v[183:184]
	v_add_f64 v[240:241], v[0:1], v[181:182]
	;; [unrolled: 1-line block ×16, first 2 shown]
	ds_load_b128 v[153:156], v26 offset:6144
	ds_load_b128 v[181:184], v26 offset:7168
	s_clause 0x1
	scratch_load_b32 v63, off, off offset:312
	scratch_load_b64 v[37:38], off, off offset:72
	v_cvt_f32_f64_e32 v17, v[206:207]
	v_cvt_f32_f64_e32 v16, v[208:209]
	s_waitcnt lgkmcnt(1)
	v_add_f64 v[187:188], v[0:1], v[153:154]
	v_add_f64 v[191:192], v[149:150], v[153:154]
	;; [unrolled: 1-line block ×8, first 2 shown]
	s_waitcnt lgkmcnt(0)
	v_add_f64 v[0:1], v[0:1], v[181:182]
	v_add_f64 v[149:150], v[149:150], v[181:182]
	;; [unrolled: 1-line block ×8, first 2 shown]
	scratch_load_b64 v[181:182], off, off offset:16 ; 8-byte Folded Reload
	v_add_f64 v[118:119], v[2:3], v[155:156]
	v_add_f64 v[189:190], v[151:152], v[155:156]
	v_add_f64 v[193:194], v[159:160], v[155:156]
	v_add_f64 v[120:121], v[163:164], v[155:156]
	v_add_f64 v[202:203], v[167:168], v[155:156]
	v_add_f64 v[66:67], v[171:172], v[155:156]
	v_add_f64 v[9:10], v[175:176], v[155:156]
	v_add_f64 v[155:156], v[179:180], v[155:156]
	v_add_f64 v[2:3], v[2:3], v[183:184]
	v_min3_f32 v199, v16, v17, v199
	v_cvt_f32_f64_e32 v16, v[212:213]
	v_cvt_f32_f64_e32 v17, v[210:211]
	v_add_f64 v[151:152], v[151:152], v[183:184]
	v_add_f64 v[159:160], v[159:160], v[183:184]
	;; [unrolled: 1-line block ×7, first 2 shown]
	v_mov_b32_e32 v184, v8
	v_cvt_f32_f64_e32 v8, v[6:7]
	v_cvt_f32_f64_e32 v6, v[31:32]
	;; [unrolled: 1-line block ×7, first 2 shown]
	scratch_load_b32 v2, off, off           ; 4-byte Folded Reload
	v_min3_f32 v50, v16, v17, v50
	v_cvt_f32_f64_e32 v17, v[214:215]
	scratch_load_b32 v214, off, off offset:8 ; 4-byte Folded Reload
	v_cvt_f32_f64_e32 v16, v[216:217]
	v_min3_f32 v184, v8, v6, v184
	v_cvt_f32_f64_e32 v6, v[22:23]
	v_min3_f32 v48, v4, v5, v48
	v_cvt_f32_f64_e32 v4, v[116:117]
	v_cvt_f32_f64_e32 v5, v[12:13]
	v_min3_f32 v59, v16, v17, v59
	v_cvt_f32_f64_e32 v16, v[220:221]
	v_cvt_f32_f64_e32 v17, v[218:219]
	v_min3_f32 v49, v6, v7, v49
	scratch_load_b32 v6, off, off offset:4  ; 4-byte Folded Reload
	v_min3_f32 v148, v4, v5, v148
	v_cvt_f32_f64_e32 v4, v[187:188]
	v_cvt_f32_f64_e32 v5, v[118:119]
	v_min3_f32 v58, v16, v17, v58
	v_cvt_f32_f64_e32 v16, v[224:225]
	v_cvt_f32_f64_e32 v17, v[222:223]
	s_delay_alu instid0(VALU_DEP_4) | instskip(SKIP_2) | instid1(VALU_DEP_4)
	v_min3_f32 v254, v4, v5, v254
	v_cvt_f32_f64_e32 v4, v[191:192]
	v_cvt_f32_f64_e32 v5, v[189:190]
	v_min3_f32 v57, v16, v17, v57
	v_cvt_f32_f64_e32 v16, v[228:229]
	v_cvt_f32_f64_e32 v17, v[226:227]
	s_delay_alu instid0(VALU_DEP_4) | instskip(SKIP_2) | instid1(VALU_DEP_4)
	v_min3_f32 v255, v4, v5, v255
	v_cvt_f32_f64_e32 v4, v[138:139]
	v_cvt_f32_f64_e32 v5, v[193:194]
	v_min3_f32 v56, v16, v17, v56
	v_cvt_f32_f64_e32 v16, v[232:233]
	v_cvt_f32_f64_e32 v17, v[230:231]
	s_delay_alu instid0(VALU_DEP_4) | instskip(SKIP_2) | instid1(VALU_DEP_4)
	v_min3_f32 v185, v4, v5, v185
	v_cvt_f32_f64_e32 v4, v[26:27]
	v_cvt_f32_f64_e32 v5, v[120:121]
	v_min3_f32 v55, v16, v17, v55
	v_cvt_f32_f64_e32 v16, v[236:237]
	v_cvt_f32_f64_e32 v17, v[234:235]
	s_delay_alu instid0(VALU_DEP_4) | instskip(SKIP_2) | instid1(VALU_DEP_4)
	v_min3_f32 v136, v4, v5, v136
	v_cvt_f32_f64_e32 v4, v[64:65]
	v_cvt_f32_f64_e32 v5, v[202:203]
	v_min3_f32 v54, v16, v17, v54
	v_cvt_f32_f64_e32 v16, v[240:241]
	v_cvt_f32_f64_e32 v17, v[238:239]
	s_waitcnt vmcnt(3)
	v_cvt_f32_f64_e32 v62, v[181:182]
	scratch_load_b64 v[181:182], off, off offset:48 ; 8-byte Folded Reload
	v_cvt_f32_f64_e32 v37, v[37:38]
	v_min3_f32 v52, v16, v17, v52
	v_cvt_f32_f64_e32 v16, v[244:245]
	v_cvt_f32_f64_e32 v17, v[242:243]
	s_delay_alu instid0(VALU_DEP_4) | instskip(SKIP_4) | instid1(VALU_DEP_1)
	v_min3_f32 v140, v37, v62, v140
	scratch_load_b64 v[37:38], off, off offset:104 ; 8-byte Folded Reload
	v_min3_f32 v53, v16, v17, v53
	v_cvt_f32_f64_e32 v16, v[248:249]
	v_cvt_f32_f64_e32 v17, v[246:247]
	v_min3_f32 v114, v16, v17, v114
	v_cvt_f32_f64_e32 v16, v[252:253]
	v_cvt_f32_f64_e32 v17, v[250:251]
	s_waitcnt vmcnt(2)
	v_min3_f32 v6, v4, v5, v6
	v_cvt_f32_f64_e32 v4, v[76:77]
	v_cvt_f32_f64_e32 v5, v[66:67]
	s_delay_alu instid0(VALU_DEP_4) | instskip(NEXT) | instid1(VALU_DEP_2)
	v_min3_f32 v113, v16, v17, v113
	v_min3_f32 v197, v4, v5, v197
	v_cvt_f32_f64_e32 v4, v[132:133]
	v_mov_b32_e32 v132, v11
	v_mov_b32_e32 v133, v43
	v_cvt_f32_f64_e32 v5, v[9:10]
	s_delay_alu instid0(VALU_DEP_2) | instskip(SKIP_2) | instid1(VALU_DEP_4)
	v_min3_f32 v133, v0, v1, v133
	v_cvt_f32_f64_e32 v0, v[149:150]
	v_cvt_f32_f64_e32 v1, v[151:152]
	v_min3_f32 v135, v4, v5, v135
	v_cvt_f32_f64_e32 v4, v[153:154]
	v_cvt_f32_f64_e32 v5, v[155:156]
	s_delay_alu instid0(VALU_DEP_4) | instskip(SKIP_2) | instid1(VALU_DEP_4)
	v_min3_f32 v132, v0, v1, v132
	v_cvt_f32_f64_e32 v0, v[157:158]
	v_cvt_f32_f64_e32 v1, v[159:160]
	v_min3_f32 v134, v4, v5, v134
	s_delay_alu instid0(VALU_DEP_2)
	v_min3_f32 v2, v0, v1, v2
	v_cvt_f32_f64_e32 v0, v[161:162]
	v_cvt_f32_f64_e32 v1, v[163:164]
	s_clause 0x1
	scratch_store_b32 off, v6, off offset:4
	scratch_store_b32 off, v2, off
	v_min3_f32 v130, v0, v1, v130
	v_cvt_f32_f64_e32 v0, v[165:166]
	v_cvt_f32_f64_e32 v1, v[167:168]
	s_delay_alu instid0(VALU_DEP_1) | instskip(SKIP_2) | instid1(VALU_DEP_1)
	v_min3_f32 v128, v0, v1, v128
	v_cvt_f32_f64_e32 v0, v[169:170]
	v_cvt_f32_f64_e32 v1, v[171:172]
	v_min3_f32 v126, v0, v1, v126
	v_cvt_f32_f64_e32 v0, v[173:174]
	v_cvt_f32_f64_e32 v1, v[175:176]
	s_waitcnt vmcnt(0)
	v_cvt_f32_f64_e32 v37, v[37:38]
	v_cvt_f32_f64_e32 v38, v[181:182]
	scratch_load_b64 v[181:182], off, off offset:24 ; 8-byte Folded Reload
	v_min3_f32 v124, v0, v1, v124
	v_cvt_f32_f64_e32 v0, v[177:178]
	v_cvt_f32_f64_e32 v1, v[179:180]
	v_min3_f32 v131, v37, v38, v131
	scratch_load_b64 v[37:38], off, off offset:80 ; 8-byte Folded Reload
	v_min3_f32 v122, v0, v1, v122
	s_waitcnt vmcnt(0)
	v_cvt_f32_f64_e32 v37, v[37:38]
	v_cvt_f32_f64_e32 v38, v[181:182]
	scratch_load_b64 v[181:182], off, off offset:56 ; 8-byte Folded Reload
	v_min3_f32 v186, v37, v38, v186
	scratch_load_b64 v[37:38], off, off offset:112 ; 8-byte Folded Reload
	s_waitcnt vmcnt(0)
	v_cvt_f32_f64_e32 v37, v[37:38]
	v_cvt_f32_f64_e32 v38, v[181:182]
	scratch_load_b64 v[181:182], off, off offset:32 ; 8-byte Folded Reload
	v_min3_f32 v125, v37, v38, v125
	scratch_load_b64 v[37:38], off, off offset:88 ; 8-byte Folded Reload
	;; [unrolled: 6-line block ×7, first 2 shown]
	s_waitcnt vmcnt(0)
	v_cvt_f32_f64_e32 v37, v[37:38]
	v_cvt_f32_f64_e32 v38, v[181:182]
	scratch_load_b64 v[181:182], off, off offset:184 ; 8-byte Folded Reload
	v_min3_f32 v201, v37, v38, v201
	v_cvt_f32_f64_e32 v37, v[35:36]
	scratch_load_b64 v[35:36], off, off offset:176 ; 8-byte Folded Reload
	s_waitcnt vmcnt(0)
	v_cvt_f32_f64_e32 v35, v[35:36]
	s_delay_alu instid0(VALU_DEP_1)
	v_min3_f32 v137, v37, v35, v137
	scratch_load_b64 v[35:36], off, off offset:192 ; 8-byte Folded Reload
	v_mov_b32_e32 v37, v107
	s_waitcnt vmcnt(0)
	v_cvt_f32_f64_e32 v35, v[35:36]
	v_cvt_f32_f64_e32 v36, v[181:182]
	scratch_load_b64 v[181:182], off, off offset:200 ; 8-byte Folded Reload
	v_min3_f32 v109, v35, v36, v109
	s_delay_alu instid0(VALU_DEP_1)
	v_mov_b32_e32 v35, v109
	s_waitcnt vmcnt(0)
	v_cvt_f32_f64_e32 v30, v[181:182]
	scratch_load_b64 v[181:182], off, off offset:208 ; 8-byte Folded Reload
	v_min3_f32 v108, v29, v30, v108
	scratch_load_b64 v[29:30], off, off offset:216 ; 8-byte Folded Reload
	s_waitcnt vmcnt(0)
	v_cvt_f32_f64_e32 v29, v[29:30]
	v_cvt_f32_f64_e32 v30, v[181:182]
	scratch_load_b64 v[181:182], off, off offset:224 ; 8-byte Folded Reload
	v_min3_f32 v99, v29, v30, v99
	scratch_load_b64 v[29:30], off, off offset:232 ; 8-byte Folded Reload
	s_waitcnt vmcnt(0)
	v_cvt_f32_f64_e32 v29, v[29:30]
	v_cvt_f32_f64_e32 v30, v[181:182]
	s_delay_alu instid0(VALU_DEP_1) | instskip(SKIP_3) | instid1(VALU_DEP_1)
	v_min3_f32 v98, v29, v30, v98
	v_cvt_f32_f64_e32 v29, v[80:81]
	scratch_load_b64 v[80:81], off, off offset:272 ; 8-byte Folded Reload
	v_cvt_f32_f64_e32 v30, v[82:83]
	v_min3_f32 v103, v29, v30, v103
	v_cvt_f32_f64_e32 v29, v[84:85]
	v_cvt_f32_f64_e32 v30, v[86:87]
	s_delay_alu instid0(VALU_DEP_1) | instskip(SKIP_2) | instid1(VALU_DEP_1)
	v_min3_f32 v102, v29, v30, v102
	v_cvt_f32_f64_e32 v29, v[88:89]
	v_cvt_f32_f64_e32 v30, v[90:91]
	v_min3_f32 v37, v29, v30, v37
	v_cvt_f32_f64_e32 v29, v[92:93]
	v_cvt_f32_f64_e32 v30, v[104:105]
	s_delay_alu instid0(VALU_DEP_1)
	v_min3_f32 v106, v29, v30, v106
	v_cvt_f32_f64_e32 v29, v[96:97]
	s_waitcnt vmcnt(0)
	v_cvt_f32_f64_e32 v30, v[80:81]
	scratch_load_b64 v[80:81], off, off offset:256 ; 8-byte Folded Reload
	v_min3_f32 v112, v29, v30, v112
	v_cvt_f32_f64_e32 v29, v[100:101]
	s_waitcnt vmcnt(0)
	v_cvt_f32_f64_e32 v30, v[80:81]
	scratch_load_b64 v[80:81], off, off offset:248 ; 8-byte Folded Reload
	v_min3_f32 v74, v29, v30, v74
	scratch_load_b64 v[29:30], off, off offset:280 ; 8-byte Folded Reload
	s_waitcnt vmcnt(0)
	v_cvt_f32_f64_e32 v29, v[29:30]
	v_cvt_f32_f64_e32 v30, v[80:81]
	scratch_load_b64 v[80:81], off, off offset:240 ; 8-byte Folded Reload
	v_min3_f32 v75, v29, v30, v75
	scratch_load_b64 v[29:30], off, off offset:264 ; 8-byte Folded Reload
	s_waitcnt vmcnt(0)
	v_cvt_f32_f64_e32 v29, v[29:30]
	v_cvt_f32_f64_e32 v30, v[80:81]
	s_delay_alu instid0(VALU_DEP_1) | instskip(SKIP_2) | instid1(VALU_DEP_1)
	v_min3_f32 v61, v29, v30, v61
	v_cvt_f32_f64_e32 v29, v[46:47]
	v_cvt_f32_f64_e32 v30, v[110:111]
	v_min3_f32 v72, v29, v30, v72
	v_cvt_f32_f64_e32 v29, v[142:143]
	v_cvt_f32_f64_e32 v30, v[78:79]
	s_delay_alu instid0(VALU_DEP_1) | instskip(SKIP_2) | instid1(VALU_DEP_1)
	v_min3_f32 v73, v29, v30, v73
	v_cvt_f32_f64_e32 v29, v[146:147]
	v_cvt_f32_f64_e32 v30, v[144:145]
	v_min3_f32 v70, v29, v30, v70
	s_cbranch_vccz .LBB122_59
; %bb.60:                               ;   in Loop: Header=BB122_36 Depth=1
	s_clause 0x1
	scratch_load_b32 v0, off, off offset:376
	scratch_load_b64 v[1:2], off, off offset:288
	v_dual_mov_b32 v211, v108 :: v_dual_mov_b32 v32, v98
	v_dual_mov_b32 v38, v102 :: v_dual_mov_b32 v65, v60
	;; [unrolled: 1-line block ×4, first 2 shown]
	v_mov_b32_e32 v202, v48
	v_mov_b32_e32 v62, v254
	s_add_i32 s25, s25, 8
	s_add_i32 s31, s31, 8
	s_cmp_ge_i32 s25, s24
	s_waitcnt vmcnt(0)
	ds_store_b64 v0, v[1:2]
	s_clause 0x2
	scratch_load_b32 v0, off, off offset:380
	scratch_load_b64 v[1:2], off, off offset:296
	scratch_load_b64 v[3:4], off, off offset:304
	s_waitcnt vmcnt(0)
	ds_store_2addr_stride64_b64 v0, v[1:2], v[3:4] offset1:4
	s_clause 0x1
	scratch_load_b64 v[1:2], off, off offset:324
	scratch_load_b64 v[3:4], off, off offset:332
	s_waitcnt vmcnt(0)
	ds_store_2addr_stride64_b64 v0, v[1:2], v[3:4] offset0:8 offset1:12
	s_waitcnt lgkmcnt(0)
	s_waitcnt_vscnt null, 0x0
	s_barrier
	buffer_gl0_inv
	s_cbranch_scc1 .LBB122_62
; %bb.61:                               ;   in Loop: Header=BB122_36 Depth=1
	scratch_load_b64 v[4:5], off, off offset:316 ; 8-byte Folded Reload
	v_dual_mov_b32 v119, v56 :: v_dual_mov_b32 v56, v58
	v_dual_mov_b32 v194, v50 :: v_dual_mov_b32 v193, v61
	;; [unrolled: 1-line block ×4, first 2 shown]
	v_mov_b32_e32 v204, v74
	s_branch .LBB122_36
.LBB122_62:
	v_dual_mov_b32 v110, v37 :: v_dual_mov_b32 v119, v56
	v_dual_mov_b32 v56, v58 :: v_dual_mov_b32 v193, v61
	v_mov_b32_e32 v194, v50
	v_dual_mov_b32 v200, v68 :: v_dual_mov_b32 v203, v70
	v_dual_mov_b32 v192, v72 :: v_dual_mov_b32 v61, v94
	v_mov_b32_e32 v204, v74
.LBB122_63:
	scratch_load_b32 v210, off, off offset:312 ; 4-byte Folded Reload
	v_dual_mov_b32 v106, v204 :: v_dual_mov_b32 v63, v193
	v_dual_mov_b32 v31, v192 :: v_dual_mov_b32 v58, v194
	;; [unrolled: 1-line block ×5, first 2 shown]
	v_mov_b32_e32 v112, v36
	v_dual_mov_b32 v102, v103 :: v_dual_mov_b32 v103, v32
	v_mov_b32_e32 v108, v99
	s_mov_b32 s3, 0
	s_mov_b32 s2, -1
.LBB122_64:                             ; =>This Inner Loop Header: Depth=1
	s_lshl_b32 s3, s3, 3
	v_mov_b32_e32 v54, v119
	s_waitcnt vmcnt(0)
	v_lshl_add_u32 v4, v214, 5, s3
	s_waitcnt vmcnt(0)
	v_lshl_add_u32 v5, v210, 5, s3
	v_mov_b32_e32 v138, v199
	v_dual_mov_b32 v196, v135 :: v_dual_mov_b32 v199, v62
	ds_load_b128 v[32:35], v4 offset:8192
	ds_load_b128 v[0:3], v5 offset:18432
	;; [unrolled: 1-line block ×4, first 2 shown]
	s_mov_b32 s3, 2
	s_and_not1_b32 vcc_lo, exec_lo, s2
	s_mov_b32 s2, 0
	v_mov_b32_e32 v187, v255
	s_waitcnt lgkmcnt(2)
	v_add_f64 v[26:27], v[2:3], v[34:35]
	s_waitcnt lgkmcnt(1)
	v_add_f64 v[6:7], v[80:81], v[34:35]
	v_add_f64 v[29:30], v[0:1], v[32:33]
	s_delay_alu instid0(VALU_DEP_3)
	v_cvt_f32_f64_e32 v64, v[26:27]
	scratch_store_b64 off, v[6:7], off offset:16 ; 8-byte Folded Spill
	v_add_f64 v[6:7], v[78:79], v[32:33]
	v_cvt_f32_f64_e32 v29, v[29:30]
	scratch_store_b64 off, v[6:7], off offset:72 ; 8-byte Folded Spill
	ds_load_b128 v[72:75], v5 offset:18944
	ds_load_b128 v[142:145], v5 offset:19200
	v_min3_f32 v141, v29, v64, v141
	s_waitcnt lgkmcnt(1)
	v_add_f64 v[6:7], v[74:75], v[34:35]
	scratch_store_b64 off, v[6:7], off offset:48 ; 8-byte Folded Spill
	v_add_f64 v[6:7], v[72:73], v[32:33]
	scratch_store_b64 off, v[6:7], off offset:104 ; 8-byte Folded Spill
	s_waitcnt lgkmcnt(0)
	v_add_f64 v[6:7], v[144:145], v[34:35]
	scratch_store_b64 off, v[6:7], off offset:24 ; 8-byte Folded Spill
	v_add_f64 v[6:7], v[142:143], v[32:33]
	scratch_store_b64 off, v[6:7], off offset:80 ; 8-byte Folded Spill
	ds_load_b128 v[146:149], v5 offset:19456
	ds_load_b128 v[150:153], v5 offset:19712
	s_waitcnt lgkmcnt(1)
	v_add_f64 v[6:7], v[148:149], v[34:35]
	scratch_store_b64 off, v[6:7], off offset:56 ; 8-byte Folded Spill
	v_add_f64 v[6:7], v[146:147], v[32:33]
	scratch_store_b64 off, v[6:7], off offset:112 ; 8-byte Folded Spill
	s_waitcnt lgkmcnt(0)
	v_add_f64 v[6:7], v[152:153], v[34:35]
	scratch_store_b64 off, v[6:7], off offset:32 ; 8-byte Folded Spill
	v_add_f64 v[6:7], v[150:151], v[32:33]
	scratch_store_b64 off, v[6:7], off offset:88 ; 8-byte Folded Spill
	ds_load_b128 v[154:157], v5 offset:19968
	ds_load_b128 v[158:161], v5 offset:20224
	s_waitcnt lgkmcnt(1)
	v_add_f64 v[5:6], v[156:157], v[34:35]
	scratch_store_b64 off, v[5:6], off offset:64 ; 8-byte Folded Spill
	v_add_f64 v[5:6], v[154:155], v[32:33]
	scratch_store_b64 off, v[5:6], off offset:120 ; 8-byte Folded Spill
	s_waitcnt lgkmcnt(0)
	v_add_f64 v[5:6], v[160:161], v[34:35]
	scratch_store_b64 off, v[5:6], off offset:40 ; 8-byte Folded Spill
	v_add_f64 v[5:6], v[158:159], v[32:33]
	v_mov_b32_e32 v32, v114
	scratch_store_b64 off, v[5:6], off offset:96 ; 8-byte Folded Spill
	v_add_f64 v[5:6], v[2:3], v[70:71]
	scratch_store_b64 off, v[5:6], off offset:128 ; 8-byte Folded Spill
	v_add_f64 v[5:6], v[0:1], v[68:69]
	;; [unrolled: 2-line block ×16, first 2 shown]
	scratch_store_b64 off, v[5:6], off offset:248 ; 8-byte Folded Spill
	ds_load_b128 v[68:71], v4 offset:10240
	ds_load_b128 v[162:165], v4 offset:11264
	s_waitcnt lgkmcnt(1)
	v_add_f64 v[5:6], v[144:145], v[70:71]
	v_add_f64 v[90:91], v[2:3], v[70:71]
	;; [unrolled: 1-line block ×10, first 2 shown]
	s_waitcnt lgkmcnt(0)
	v_add_f64 v[114:115], v[2:3], v[164:165]
	v_add_f64 v[84:85], v[0:1], v[162:163]
	;; [unrolled: 1-line block ×16, first 2 shown]
	scratch_store_b64 off, v[5:6], off offset:304 ; 8-byte Folded Spill
	v_add_f64 v[5:6], v[148:149], v[70:71]
	scratch_store_b64 off, v[5:6], off offset:288 ; 8-byte Folded Spill
	v_add_f64 v[5:6], v[152:153], v[70:71]
	;; [unrolled: 2-line block ×6, first 2 shown]
	scratch_store_b64 off, v[5:6], off offset:280 ; 8-byte Folded Spill
	v_mov_b32_e32 v5, v184
	ds_load_b128 v[68:71], v4 offset:12288
	ds_load_b128 v[162:165], v4 offset:13312
	v_mov_b32_e32 v6, v200
	v_mov_b32_e32 v184, v136
	s_waitcnt lgkmcnt(1)
	v_add_f64 v[66:67], v[2:3], v[70:71]
	v_add_f64 v[40:41], v[0:1], v[68:69]
	;; [unrolled: 1-line block ×16, first 2 shown]
	s_waitcnt lgkmcnt(0)
	v_add_f64 v[218:219], v[2:3], v[164:165]
	v_add_f64 v[220:221], v[0:1], v[162:163]
	;; [unrolled: 1-line block ×16, first 2 shown]
	ds_load_b128 v[68:71], v4 offset:14336
	ds_load_b128 v[162:165], v4 offset:15360
	scratch_load_b64 v[26:27], off, off offset:72 ; 8-byte Folded Reload
	s_waitcnt lgkmcnt(1)
	v_add_f64 v[250:251], v[2:3], v[70:71]
	v_add_f64 v[252:253], v[0:1], v[68:69]
	s_waitcnt lgkmcnt(0)
	v_add_f64 v[2:3], v[2:3], v[164:165]
	v_add_f64 v[0:1], v[0:1], v[162:163]
	;; [unrolled: 1-line block ×30, first 2 shown]
	v_cvt_f32_f64_e32 v0, v[0:1]
	v_cvt_f32_f64_e32 v1, v[2:3]
	;; [unrolled: 1-line block ×3, first 2 shown]
	s_delay_alu instid0(VALU_DEP_2) | instskip(SKIP_2) | instid1(VALU_DEP_1)
	v_min3_f32 v133, v0, v1, v133
	v_cvt_f32_f64_e32 v0, v[78:79]
	v_cvt_f32_f64_e32 v1, v[80:81]
	v_min3_f32 v132, v0, v1, v132
	v_cvt_f32_f64_e32 v0, v[72:73]
	v_cvt_f32_f64_e32 v1, v[74:75]
	s_waitcnt vmcnt(0)
	v_cvt_f32_f64_e32 v29, v[26:27]
	scratch_load_b64 v[26:27], off, off offset:16 ; 8-byte Folded Reload
	s_waitcnt vmcnt(0)
	v_cvt_f32_f64_e32 v64, v[26:27]
	scratch_load_b64 v[26:27], off, off offset:104 ; 8-byte Folded Reload
	v_min3_f32 v140, v29, v64, v140
	s_waitcnt vmcnt(0)
	v_cvt_f32_f64_e32 v29, v[26:27]
	scratch_load_b64 v[26:27], off, off offset:48 ; 8-byte Folded Reload
	s_waitcnt vmcnt(0)
	v_cvt_f32_f64_e32 v62, v[26:27]
	scratch_load_b64 v[26:27], off, off offset:80 ; 8-byte Folded Reload
	v_min3_f32 v131, v29, v62, v131
	;; [unrolled: 7-line block ×5, first 2 shown]
	v_mov_b32_e32 v62, v199
	s_waitcnt vmcnt(0)
	v_cvt_f32_f64_e32 v29, v[26:27]
	scratch_load_b64 v[26:27], off, off offset:64 ; 8-byte Folded Reload
	s_waitcnt vmcnt(0)
	v_cvt_f32_f64_e32 v30, v[26:27]
	scratch_load_b64 v[26:27], off, off offset:96 ; 8-byte Folded Reload
	v_min3_f32 v123, v29, v30, v123
	s_waitcnt vmcnt(0)
	v_cvt_f32_f64_e32 v29, v[26:27]
	scratch_load_b64 v[26:27], off, off offset:40 ; 8-byte Folded Reload
	s_waitcnt vmcnt(0)
	v_cvt_f32_f64_e32 v30, v[26:27]
	scratch_load_b64 v[26:27], off, off offset:136 ; 8-byte Folded Reload
	v_min3_f32 v129, v29, v30, v129
	;; [unrolled: 7-line block ×8, first 2 shown]
	s_waitcnt vmcnt(0)
	v_cvt_f32_f64_e32 v29, v[26:27]
	scratch_load_b64 v[26:27], off, off offset:224 ; 8-byte Folded Reload
	s_waitcnt vmcnt(0)
	v_cvt_f32_f64_e32 v26, v[26:27]
	s_delay_alu instid0(VALU_DEP_1)
	v_min3_f32 v108, v29, v26, v108
	s_clause 0x1
	scratch_load_b64 v[26:27], off, off offset:248
	scratch_load_b64 v[29:30], off, off offset:240
	s_waitcnt vmcnt(1)
	v_cvt_f32_f64_e32 v26, v[26:27]
	s_waitcnt vmcnt(0)
	v_cvt_f32_f64_e32 v27, v[29:30]
	scratch_load_b64 v[29:30], off, off offset:304 ; 8-byte Folded Reload
	v_min3_f32 v103, v26, v27, v103
	v_cvt_f32_f64_e32 v26, v[86:87]
	v_cvt_f32_f64_e32 v27, v[90:91]
	s_delay_alu instid0(VALU_DEP_1) | instskip(SKIP_2) | instid1(VALU_DEP_1)
	v_min3_f32 v102, v26, v27, v102
	v_cvt_f32_f64_e32 v26, v[88:89]
	v_cvt_f32_f64_e32 v27, v[94:95]
	v_min3_f32 v111, v26, v27, v111
	v_cvt_f32_f64_e32 v26, v[92:93]
	v_cvt_f32_f64_e32 v27, v[98:99]
	s_delay_alu instid0(VALU_DEP_1)
	v_min3_f32 v110, v26, v27, v110
	v_cvt_f32_f64_e32 v26, v[96:97]
	s_waitcnt vmcnt(0)
	v_cvt_f32_f64_e32 v27, v[29:30]
	scratch_load_b64 v[29:30], off, off offset:288 ; 8-byte Folded Reload
	v_min3_f32 v112, v26, v27, v112
	v_cvt_f32_f64_e32 v26, v[100:101]
	s_waitcnt vmcnt(0)
	v_cvt_f32_f64_e32 v27, v[29:30]
	scratch_load_b64 v[29:30], off, off offset:272 ; 8-byte Folded Reload
	v_min3_f32 v107, v26, v27, v107
	v_cvt_f32_f64_e32 v26, v[104:105]
	s_waitcnt vmcnt(0)
	v_cvt_f32_f64_e32 v27, v[29:30]
	scratch_load_b64 v[29:30], off, off offset:264 ; 8-byte Folded Reload
	v_min3_f32 v106, v26, v27, v106
	scratch_load_b64 v[26:27], off, off offset:296 ; 8-byte Folded Reload
	s_waitcnt vmcnt(0)
	v_cvt_f32_f64_e32 v26, v[26:27]
	v_cvt_f32_f64_e32 v27, v[29:30]
	scratch_load_b64 v[29:30], off, off offset:256 ; 8-byte Folded Reload
	v_min3_f32 v48, v26, v27, v48
	scratch_load_b64 v[26:27], off, off offset:280 ; 8-byte Folded Reload
	s_waitcnt vmcnt(0)
	v_cvt_f32_f64_e32 v26, v[26:27]
	v_cvt_f32_f64_e32 v27, v[29:30]
	s_clause 0x1
	scratch_load_b32 v29, off, off
	scratch_load_b32 v30, off, off offset:4
	v_min3_f32 v63, v26, v27, v63
	v_cvt_f32_f64_e32 v26, v[84:85]
	v_cvt_f32_f64_e32 v27, v[114:115]
	v_mov_b32_e32 v114, v32
	s_delay_alu instid0(VALU_DEP_2)
	v_min3_f32 v31, v26, v27, v31
	v_cvt_f32_f64_e32 v26, v[120:121]
	v_cvt_f32_f64_e32 v27, v[118:119]
	v_mov_b32_e32 v119, v54
	v_mov_b32_e32 v199, v138
	;; [unrolled: 1-line block ×3, first 2 shown]
	s_delay_alu instid0(VALU_DEP_4) | instskip(SKIP_2) | instid1(VALU_DEP_1)
	v_min3_f32 v12, v26, v27, v12
	v_cvt_f32_f64_e32 v26, v[50:51]
	v_cvt_f32_f64_e32 v27, v[82:83]
	v_min3_f32 v203, v26, v27, v203
	v_cvt_f32_f64_e32 v26, v[166:167]
	v_cvt_f32_f64_e32 v27, v[76:77]
	s_delay_alu instid0(VALU_DEP_1) | instskip(SKIP_2) | instid1(VALU_DEP_1)
	v_min3_f32 v13, v26, v27, v13
	v_cvt_f32_f64_e32 v26, v[170:171]
	v_cvt_f32_f64_e32 v27, v[168:169]
	v_min3_f32 v200, v26, v27, v200
	v_cvt_f32_f64_e32 v26, v[174:175]
	v_cvt_f32_f64_e32 v27, v[172:173]
	s_delay_alu instid0(VALU_DEP_1) | instskip(SKIP_2) | instid1(VALU_DEP_1)
	;; [unrolled: 7-line block ×4, first 2 shown]
	v_min3_f32 v58, v26, v27, v58
	v_cvt_f32_f64_e32 v26, v[194:195]
	v_cvt_f32_f64_e32 v27, v[192:193]
	v_min3_f32 v59, v26, v27, v59
	v_cvt_f32_f64_e32 v26, v[42:43]
	v_cvt_f32_f64_e32 v27, v[135:136]
	v_mov_b32_e32 v135, v196
	v_mov_b32_e32 v136, v184
	;; [unrolled: 1-line block ×3, first 2 shown]
	v_cvt_f32_f64_e32 v5, v[254:255]
	v_mov_b32_e32 v255, v187
	v_min3_f32 v56, v26, v27, v56
	v_cvt_f32_f64_e32 v26, v[204:205]
	v_cvt_f32_f64_e32 v27, v[44:45]
	s_delay_alu instid0(VALU_DEP_4) | instskip(SKIP_2) | instid1(VALU_DEP_4)
	v_min3_f32 v255, v4, v5, v255
	v_cvt_f32_f64_e32 v4, v[10:11]
	v_cvt_f32_f64_e32 v5, v[18:19]
	v_min3_f32 v57, v26, v27, v57
	v_cvt_f32_f64_e32 v26, v[208:209]
	v_cvt_f32_f64_e32 v27, v[206:207]
	s_delay_alu instid0(VALU_DEP_4) | instskip(SKIP_2) | instid1(VALU_DEP_4)
	v_min3_f32 v185, v4, v5, v185
	v_cvt_f32_f64_e32 v4, v[14:15]
	v_cvt_f32_f64_e32 v5, v[22:23]
	;; [unrolled: 7-line block ×3, first 2 shown]
	v_min3_f32 v55, v26, v27, v55
	v_cvt_f32_f64_e32 v26, v[216:217]
	v_cvt_f32_f64_e32 v27, v[214:215]
	scratch_load_b32 v214, off, off offset:8 ; 4-byte Folded Reload
	s_waitcnt vmcnt(2)
	v_min3_f32 v29, v0, v1, v29
	v_cvt_f32_f64_e32 v0, v[142:143]
	v_cvt_f32_f64_e32 v1, v[144:145]
	s_waitcnt vmcnt(1)
	v_min3_f32 v30, v4, v5, v30
	v_cvt_f32_f64_e32 v4, v[20:21]
	v_cvt_f32_f64_e32 v5, v[36:37]
	s_clause 0x1
	scratch_store_b32 off, v29, off
	scratch_store_b32 off, v30, off offset:4
	v_min3_f32 v117, v26, v27, v117
	v_cvt_f32_f64_e32 v26, v[220:221]
	v_cvt_f32_f64_e32 v27, v[218:219]
	v_min3_f32 v130, v0, v1, v130
	v_cvt_f32_f64_e32 v0, v[146:147]
	v_cvt_f32_f64_e32 v1, v[148:149]
	;; [unrolled: 3-line block ×8, first 2 shown]
	v_min3_f32 v134, v4, v5, v134
	v_min3_f32 v114, v26, v27, v114
	v_cvt_f32_f64_e32 v26, v[232:233]
	v_cvt_f32_f64_e32 v27, v[230:231]
	v_min3_f32 v124, v0, v1, v124
	v_cvt_f32_f64_e32 v0, v[158:159]
	v_cvt_f32_f64_e32 v1, v[160:161]
	s_delay_alu instid0(VALU_DEP_4) | instskip(SKIP_2) | instid1(VALU_DEP_4)
	v_min3_f32 v113, v26, v27, v113
	v_cvt_f32_f64_e32 v26, v[236:237]
	v_cvt_f32_f64_e32 v27, v[234:235]
	v_min3_f32 v122, v0, v1, v122
	s_delay_alu instid0(VALU_DEP_2) | instskip(SKIP_2) | instid1(VALU_DEP_1)
	v_min3_f32 v184, v26, v27, v184
	v_cvt_f32_f64_e32 v26, v[240:241]
	v_cvt_f32_f64_e32 v27, v[238:239]
	v_min3_f32 v49, v26, v27, v49
	v_cvt_f32_f64_e32 v26, v[244:245]
	v_cvt_f32_f64_e32 v27, v[242:243]
	s_delay_alu instid0(VALU_DEP_1) | instskip(SKIP_2) | instid1(VALU_DEP_1)
	v_min3_f32 v202, v26, v27, v202
	v_cvt_f32_f64_e32 v26, v[248:249]
	v_cvt_f32_f64_e32 v27, v[246:247]
	v_min3_f32 v139, v26, v27, v139
	v_cvt_f32_f64_e32 v26, v[252:253]
	v_cvt_f32_f64_e32 v27, v[250:251]
	s_delay_alu instid0(VALU_DEP_1)
	v_min3_f32 v62, v26, v27, v62
	s_cbranch_vccz .LBB122_64
; %bb.65:
	s_clause 0x2
	s_load_b32 s18, s[0:1], 0x58
	s_load_b32 s9, s[0:1], 0x70
	s_load_b64 s[2:3], s[0:1], 0x78
	s_waitcnt vmcnt(0)
	v_add_nc_u32_e32 v19, s23, v214
	v_add_nc_u32_e32 v0, s19, v210
	v_cndmask_b32_e64 v18, 0, 1, s22
	s_delay_alu instid0(VALU_DEP_3) | instskip(NEXT) | instid1(VALU_DEP_3)
	v_cmp_gt_i32_e64 s8, s17, v19
	v_cmp_gt_i32_e64 s0, s16, v0
	v_ashrrev_i32_e32 v1, 31, v0
	s_waitcnt lgkmcnt(0)
	v_mad_i64_i32 v[2:3], null, v19, s18, 0
	v_mad_i64_i32 v[4:5], null, v19, s9, 0
	s_lshl_b64 s[2:3], s[2:3], 3
	s_delay_alu instid0(SALU_CYCLE_1) | instskip(SKIP_1) | instid1(VALU_DEP_2)
	s_add_u32 s14, s14, s2
	s_addc_u32 s15, s15, s3
	v_lshlrev_b64 v[2:3], 3, v[2:3]
	s_and_b32 s2, s0, s8
	s_delay_alu instid0(VALU_DEP_2) | instskip(NEXT) | instid1(VALU_DEP_2)
	v_lshlrev_b64 v[4:5], 3, v[4:5]
	v_add_co_u32 v16, vcc_lo, s12, v2
	s_delay_alu instid0(VALU_DEP_3) | instskip(NEXT) | instid1(VALU_DEP_3)
	v_add_co_ci_u32_e32 v17, vcc_lo, s13, v3, vcc_lo
	v_add_co_u32 v20, vcc_lo, s14, v4
	s_delay_alu instid0(VALU_DEP_4) | instskip(SKIP_4) | instid1(SALU_CYCLE_1)
	v_add_co_ci_u32_e32 v21, vcc_lo, s15, v5, vcc_lo
	s_mov_b32 s1, exec_lo
	v_dual_mov_b32 v26, v58 :: v_dual_mov_b32 v27, v60
	v_dual_mov_b32 v29, v13 :: v_dual_mov_b32 v30, v12
	s_and_b32 s2, s1, s2
	s_mov_b32 exec_lo, s2
	s_cbranch_execz .LBB122_70
; %bb.66:
	s_and_not1_b32 vcc_lo, exec_lo, s22
	s_cbranch_vccnz .LBB122_68
; %bb.67:
	v_lshlrev_b64 v[2:3], 3, v[0:1]
	s_delay_alu instid0(VALU_DEP_1) | instskip(NEXT) | instid1(VALU_DEP_2)
	v_add_co_u32 v2, vcc_lo, v16, v2
	v_add_co_ci_u32_e32 v3, vcc_lo, v17, v3, vcc_lo
	flat_load_b64 v[2:3], v[2:3]
	s_waitcnt vmcnt(0) lgkmcnt(0)
	v_mul_f64 v[2:3], v[2:3], s[10:11]
	s_branch .LBB122_69
.LBB122_68:
	v_mov_b32_e32 v2, 0
	v_mov_b32_e32 v3, 0
.LBB122_69:
	s_delay_alu instid0(VALU_DEP_1) | instskip(SKIP_2) | instid1(VALU_DEP_1)
	v_cvt_f32_f64_e32 v2, v[2:3]
	v_max_f32_e32 v3, v141, v141
	v_lshlrev_b64 v[4:5], 3, v[0:1]
	v_add_co_u32 v4, vcc_lo, v20, v4
	s_delay_alu instid0(VALU_DEP_2) | instskip(NEXT) | instid1(VALU_DEP_4)
	v_add_co_ci_u32_e32 v5, vcc_lo, v21, v5, vcc_lo
	v_min_f32_e32 v2, v2, v3
	s_delay_alu instid0(VALU_DEP_1)
	v_cvt_f64_f32_e32 v[2:3], v2
	global_store_b64 v[4:5], v[2:3], off
.LBB122_70:
	s_or_b32 exec_lo, exec_lo, s1
	v_add_nc_u32_e32 v2, 8, v0
	s_delay_alu instid0(VALU_DEP_1) | instskip(SKIP_1) | instid1(VALU_DEP_2)
	v_cmp_gt_i32_e64 s1, s16, v2
	v_ashrrev_i32_e32 v3, 31, v2
	s_and_b32 s3, s1, s8
	s_delay_alu instid0(SALU_CYCLE_1)
	s_and_saveexec_b32 s2, s3
	s_cbranch_execz .LBB122_75
; %bb.71:
	v_cmp_ne_u32_e32 vcc_lo, 1, v18
	s_cbranch_vccnz .LBB122_73
; %bb.72:
	v_lshlrev_b64 v[4:5], 3, v[2:3]
	s_delay_alu instid0(VALU_DEP_1) | instskip(NEXT) | instid1(VALU_DEP_2)
	v_add_co_u32 v4, vcc_lo, v16, v4
	v_add_co_ci_u32_e32 v5, vcc_lo, v17, v5, vcc_lo
	flat_load_b64 v[4:5], v[4:5]
	s_waitcnt vmcnt(0) lgkmcnt(0)
	v_mul_f64 v[4:5], v[4:5], s[10:11]
	s_branch .LBB122_74
.LBB122_73:
	v_mov_b32_e32 v4, 0
	v_mov_b32_e32 v5, 0
.LBB122_74:
	s_delay_alu instid0(VALU_DEP_1) | instskip(SKIP_2) | instid1(VALU_DEP_1)
	v_cvt_f32_f64_e32 v4, v[4:5]
	v_max_f32_e32 v5, v140, v140
	v_lshlrev_b64 v[6:7], 3, v[2:3]
	v_add_co_u32 v6, vcc_lo, v20, v6
	s_delay_alu instid0(VALU_DEP_2) | instskip(NEXT) | instid1(VALU_DEP_4)
	v_add_co_ci_u32_e32 v7, vcc_lo, v21, v7, vcc_lo
	v_min_f32_e32 v4, v4, v5
	s_delay_alu instid0(VALU_DEP_1)
	v_cvt_f64_f32_e32 v[4:5], v4
	global_store_b64 v[6:7], v[4:5], off
.LBB122_75:
	s_or_b32 exec_lo, exec_lo, s2
	v_add_nc_u32_e32 v4, 16, v0
	s_delay_alu instid0(VALU_DEP_1) | instskip(SKIP_1) | instid1(VALU_DEP_2)
	v_cmp_gt_i32_e64 s2, s16, v4
	v_ashrrev_i32_e32 v5, 31, v4
	s_and_b32 s4, s2, s8
	s_delay_alu instid0(SALU_CYCLE_1)
	s_and_saveexec_b32 s3, s4
	s_cbranch_execz .LBB122_80
; %bb.76:
	v_cmp_ne_u32_e32 vcc_lo, 1, v18
	s_cbranch_vccnz .LBB122_78
; %bb.77:
	v_lshlrev_b64 v[6:7], 3, v[4:5]
	s_delay_alu instid0(VALU_DEP_1) | instskip(NEXT) | instid1(VALU_DEP_2)
	v_add_co_u32 v6, vcc_lo, v16, v6
	v_add_co_ci_u32_e32 v7, vcc_lo, v17, v7, vcc_lo
	flat_load_b64 v[6:7], v[6:7]
	s_waitcnt vmcnt(0) lgkmcnt(0)
	v_mul_f64 v[6:7], v[6:7], s[10:11]
	s_branch .LBB122_79
.LBB122_78:
	v_mov_b32_e32 v6, 0
	v_mov_b32_e32 v7, 0
.LBB122_79:
	s_delay_alu instid0(VALU_DEP_1) | instskip(SKIP_2) | instid1(VALU_DEP_1)
	v_cvt_f32_f64_e32 v6, v[6:7]
	v_max_f32_e32 v7, v131, v131
	v_lshlrev_b64 v[8:9], 3, v[4:5]
	v_add_co_u32 v8, vcc_lo, v20, v8
	s_delay_alu instid0(VALU_DEP_2) | instskip(NEXT) | instid1(VALU_DEP_4)
	v_add_co_ci_u32_e32 v9, vcc_lo, v21, v9, vcc_lo
	v_min_f32_e32 v6, v6, v7
	s_delay_alu instid0(VALU_DEP_1)
	v_cvt_f64_f32_e32 v[6:7], v6
	global_store_b64 v[8:9], v[6:7], off
.LBB122_80:
	;; [unrolled: 37-line block ×7, first 2 shown]
	s_or_b32 exec_lo, exec_lo, s8
	v_add_nc_u32_e32 v22, 32, v19
	s_delay_alu instid0(VALU_DEP_1) | instskip(SKIP_2) | instid1(VALU_DEP_3)
	v_mad_i64_i32 v[16:17], null, v22, s18, 0
	v_mad_i64_i32 v[20:21], null, v22, s9, 0
	v_cmp_gt_i32_e64 s8, s17, v22
	v_lshlrev_b64 v[16:17], 3, v[16:17]
	s_delay_alu instid0(VALU_DEP_2) | instskip(NEXT) | instid1(VALU_DEP_3)
	s_and_b32 s19, s0, s8
	v_lshlrev_b64 v[20:21], 3, v[20:21]
	s_delay_alu instid0(VALU_DEP_2) | instskip(NEXT) | instid1(VALU_DEP_3)
	v_add_co_u32 v22, vcc_lo, s12, v16
	v_add_co_ci_u32_e32 v25, vcc_lo, s13, v17, vcc_lo
	s_delay_alu instid0(VALU_DEP_3) | instskip(NEXT) | instid1(VALU_DEP_4)
	v_add_co_u32 v20, vcc_lo, s14, v20
	v_add_co_ci_u32_e32 v21, vcc_lo, s15, v21, vcc_lo
	s_and_saveexec_b32 s16, s19
	s_cbranch_execnz .LBB122_113
; %bb.106:
	s_or_b32 exec_lo, exec_lo, s16
	s_and_b32 s19, s1, s8
	s_delay_alu instid0(SALU_CYCLE_1)
	s_and_saveexec_b32 s16, s19
	s_cbranch_execnz .LBB122_117
.LBB122_107:
	s_or_b32 exec_lo, exec_lo, s16
	s_and_b32 s19, s2, s8
	s_delay_alu instid0(SALU_CYCLE_1)
	s_and_saveexec_b32 s16, s19
	s_cbranch_execnz .LBB122_121
.LBB122_108:
	s_or_b32 exec_lo, exec_lo, s16
	s_and_b32 s19, s3, s8
	s_delay_alu instid0(SALU_CYCLE_1)
	s_and_saveexec_b32 s16, s19
	s_cbranch_execnz .LBB122_125
.LBB122_109:
	s_or_b32 exec_lo, exec_lo, s16
	s_and_b32 s19, s4, s8
	s_delay_alu instid0(SALU_CYCLE_1)
	s_and_saveexec_b32 s16, s19
	s_cbranch_execnz .LBB122_129
.LBB122_110:
	s_or_b32 exec_lo, exec_lo, s16
	s_and_b32 s19, s5, s8
	s_delay_alu instid0(SALU_CYCLE_1)
	s_and_saveexec_b32 s16, s19
	s_cbranch_execnz .LBB122_133
.LBB122_111:
	s_or_b32 exec_lo, exec_lo, s16
	s_and_b32 s19, s6, s8
	s_delay_alu instid0(SALU_CYCLE_1)
	s_and_saveexec_b32 s16, s19
	s_cbranch_execnz .LBB122_137
.LBB122_112:
	s_or_b32 exec_lo, exec_lo, s16
	s_and_b32 s16, s7, s8
	s_delay_alu instid0(SALU_CYCLE_1)
	s_and_saveexec_b32 s8, s16
	s_cbranch_execnz .LBB122_141
	s_branch .LBB122_145
.LBB122_113:
	v_cmp_ne_u32_e32 vcc_lo, 1, v18
	s_cbranch_vccnz .LBB122_115
; %bb.114:
	v_lshlrev_b64 v[16:17], 3, v[0:1]
	s_delay_alu instid0(VALU_DEP_1) | instskip(NEXT) | instid1(VALU_DEP_2)
	v_add_co_u32 v16, vcc_lo, v22, v16
	v_add_co_ci_u32_e32 v17, vcc_lo, v25, v17, vcc_lo
	flat_load_b64 v[16:17], v[16:17]
	s_waitcnt vmcnt(0) lgkmcnt(0)
	v_mul_f64 v[16:17], v[16:17], s[10:11]
	s_branch .LBB122_116
.LBB122_115:
	v_mov_b32_e32 v16, 0
	v_mov_b32_e32 v17, 0
.LBB122_116:
	s_delay_alu instid0(VALU_DEP_1) | instskip(SKIP_2) | instid1(VALU_DEP_1)
	v_cvt_f32_f64_e32 v16, v[16:17]
	v_max_f32_e32 v17, v28, v28
	v_lshlrev_b64 v[23:24], 3, v[0:1]
	v_add_co_u32 v23, vcc_lo, v20, v23
	s_delay_alu instid0(VALU_DEP_2) | instskip(NEXT) | instid1(VALU_DEP_4)
	v_add_co_ci_u32_e32 v24, vcc_lo, v21, v24, vcc_lo
	v_min_f32_e32 v16, v16, v17
	s_delay_alu instid0(VALU_DEP_1) | instskip(SKIP_3) | instid1(SALU_CYCLE_1)
	v_cvt_f64_f32_e32 v[16:17], v16
	global_store_b64 v[23:24], v[16:17], off
	s_or_b32 exec_lo, exec_lo, s16
	s_and_b32 s19, s1, s8
	s_and_saveexec_b32 s16, s19
	s_cbranch_execz .LBB122_107
.LBB122_117:
	v_cmp_ne_u32_e32 vcc_lo, 1, v18
	s_cbranch_vccnz .LBB122_119
; %bb.118:
	v_lshlrev_b64 v[16:17], 3, v[2:3]
	s_delay_alu instid0(VALU_DEP_1) | instskip(NEXT) | instid1(VALU_DEP_2)
	v_add_co_u32 v16, vcc_lo, v22, v16
	v_add_co_ci_u32_e32 v17, vcc_lo, v25, v17, vcc_lo
	flat_load_b64 v[16:17], v[16:17]
	s_waitcnt vmcnt(0) lgkmcnt(0)
	v_mul_f64 v[16:17], v[16:17], s[10:11]
	s_branch .LBB122_120
.LBB122_119:
	v_mov_b32_e32 v16, 0
	v_mov_b32_e32 v17, 0
.LBB122_120:
	s_delay_alu instid0(VALU_DEP_1) | instskip(SKIP_2) | instid1(VALU_DEP_1)
	v_cvt_f32_f64_e32 v16, v[16:17]
	v_max_f32_e32 v17, v127, v127
	v_lshlrev_b64 v[23:24], 3, v[2:3]
	v_add_co_u32 v23, vcc_lo, v20, v23
	s_delay_alu instid0(VALU_DEP_2) | instskip(NEXT) | instid1(VALU_DEP_4)
	v_add_co_ci_u32_e32 v24, vcc_lo, v21, v24, vcc_lo
	v_min_f32_e32 v16, v16, v17
	s_delay_alu instid0(VALU_DEP_1) | instskip(SKIP_3) | instid1(SALU_CYCLE_1)
	v_cvt_f64_f32_e32 v[16:17], v16
	global_store_b64 v[23:24], v[16:17], off
	s_or_b32 exec_lo, exec_lo, s16
	s_and_b32 s19, s2, s8
	s_and_saveexec_b32 s16, s19
	s_cbranch_execz .LBB122_108
.LBB122_121:
	v_cmp_ne_u32_e32 vcc_lo, 1, v18
	s_cbranch_vccnz .LBB122_123
; %bb.122:
	v_lshlrev_b64 v[16:17], 3, v[4:5]
	s_delay_alu instid0(VALU_DEP_1) | instskip(NEXT) | instid1(VALU_DEP_2)
	v_add_co_u32 v16, vcc_lo, v22, v16
	v_add_co_ci_u32_e32 v17, vcc_lo, v25, v17, vcc_lo
	flat_load_b64 v[16:17], v[16:17]
	s_waitcnt vmcnt(0) lgkmcnt(0)
	v_mul_f64 v[16:17], v[16:17], s[10:11]
	s_branch .LBB122_124
.LBB122_123:
	v_mov_b32_e32 v16, 0
	v_mov_b32_e32 v17, 0
.LBB122_124:
	s_delay_alu instid0(VALU_DEP_1) | instskip(SKIP_2) | instid1(VALU_DEP_1)
	v_cvt_f32_f64_e32 v16, v[16:17]
	v_max_f32_e32 v17, v201, v201
	v_lshlrev_b64 v[23:24], 3, v[4:5]
	v_add_co_u32 v23, vcc_lo, v20, v23
	s_delay_alu instid0(VALU_DEP_2) | instskip(NEXT) | instid1(VALU_DEP_4)
	v_add_co_ci_u32_e32 v24, vcc_lo, v21, v24, vcc_lo
	v_min_f32_e32 v16, v16, v17
	s_delay_alu instid0(VALU_DEP_1) | instskip(SKIP_3) | instid1(SALU_CYCLE_1)
	v_cvt_f64_f32_e32 v[16:17], v16
	global_store_b64 v[23:24], v[16:17], off
	s_or_b32 exec_lo, exec_lo, s16
	s_and_b32 s19, s3, s8
	s_and_saveexec_b32 s16, s19
	s_cbranch_execz .LBB122_109
.LBB122_125:
	v_cmp_ne_u32_e32 vcc_lo, 1, v18
	s_cbranch_vccnz .LBB122_127
; %bb.126:
	v_lshlrev_b64 v[16:17], 3, v[6:7]
	s_delay_alu instid0(VALU_DEP_1) | instskip(NEXT) | instid1(VALU_DEP_2)
	v_add_co_u32 v16, vcc_lo, v22, v16
	v_add_co_ci_u32_e32 v17, vcc_lo, v25, v17, vcc_lo
	flat_load_b64 v[16:17], v[16:17]
	s_waitcnt vmcnt(0) lgkmcnt(0)
	v_mul_f64 v[16:17], v[16:17], s[10:11]
	s_branch .LBB122_128
.LBB122_127:
	v_mov_b32_e32 v16, 0
	v_mov_b32_e32 v17, 0
.LBB122_128:
	s_delay_alu instid0(VALU_DEP_1) | instskip(SKIP_2) | instid1(VALU_DEP_1)
	v_cvt_f32_f64_e32 v16, v[16:17]
	v_max_f32_e32 v17, v137, v137
	v_lshlrev_b64 v[23:24], 3, v[6:7]
	v_add_co_u32 v23, vcc_lo, v20, v23
	s_delay_alu instid0(VALU_DEP_2) | instskip(NEXT) | instid1(VALU_DEP_4)
	v_add_co_ci_u32_e32 v24, vcc_lo, v21, v24, vcc_lo
	v_min_f32_e32 v16, v16, v17
	s_delay_alu instid0(VALU_DEP_1) | instskip(SKIP_3) | instid1(SALU_CYCLE_1)
	v_cvt_f64_f32_e32 v[16:17], v16
	global_store_b64 v[23:24], v[16:17], off
	s_or_b32 exec_lo, exec_lo, s16
	s_and_b32 s19, s4, s8
	s_and_saveexec_b32 s16, s19
	s_cbranch_execz .LBB122_110
.LBB122_129:
	v_cmp_ne_u32_e32 vcc_lo, 1, v18
	s_cbranch_vccnz .LBB122_131
; %bb.130:
	v_lshlrev_b64 v[16:17], 3, v[8:9]
	s_delay_alu instid0(VALU_DEP_1) | instskip(NEXT) | instid1(VALU_DEP_2)
	v_add_co_u32 v16, vcc_lo, v22, v16
	v_add_co_ci_u32_e32 v17, vcc_lo, v25, v17, vcc_lo
	flat_load_b64 v[16:17], v[16:17]
	s_waitcnt vmcnt(0) lgkmcnt(0)
	v_mul_f64 v[16:17], v[16:17], s[10:11]
	s_branch .LBB122_132
.LBB122_131:
	v_mov_b32_e32 v16, 0
	v_mov_b32_e32 v17, 0
.LBB122_132:
	s_delay_alu instid0(VALU_DEP_1) | instskip(SKIP_2) | instid1(VALU_DEP_1)
	v_cvt_f32_f64_e32 v16, v[16:17]
	v_max_f32_e32 v17, v109, v109
	v_lshlrev_b64 v[23:24], 3, v[8:9]
	v_add_co_u32 v23, vcc_lo, v20, v23
	s_delay_alu instid0(VALU_DEP_2) | instskip(NEXT) | instid1(VALU_DEP_4)
	v_add_co_ci_u32_e32 v24, vcc_lo, v21, v24, vcc_lo
	v_min_f32_e32 v16, v16, v17
	s_delay_alu instid0(VALU_DEP_1) | instskip(SKIP_3) | instid1(SALU_CYCLE_1)
	v_cvt_f64_f32_e32 v[16:17], v16
	global_store_b64 v[23:24], v[16:17], off
	s_or_b32 exec_lo, exec_lo, s16
	s_and_b32 s19, s5, s8
	s_and_saveexec_b32 s16, s19
	s_cbranch_execz .LBB122_111
.LBB122_133:
	v_cmp_ne_u32_e32 vcc_lo, 1, v18
	s_cbranch_vccnz .LBB122_135
; %bb.134:
	v_lshlrev_b64 v[16:17], 3, v[10:11]
	s_delay_alu instid0(VALU_DEP_1) | instskip(NEXT) | instid1(VALU_DEP_2)
	v_add_co_u32 v16, vcc_lo, v22, v16
	v_add_co_ci_u32_e32 v17, vcc_lo, v25, v17, vcc_lo
	flat_load_b64 v[16:17], v[16:17]
	s_waitcnt vmcnt(0) lgkmcnt(0)
	v_mul_f64 v[16:17], v[16:17], s[10:11]
	s_branch .LBB122_136
.LBB122_135:
	v_mov_b32_e32 v16, 0
	v_mov_b32_e32 v17, 0
.LBB122_136:
	s_delay_alu instid0(VALU_DEP_1) | instskip(SKIP_2) | instid1(VALU_DEP_1)
	v_cvt_f32_f64_e32 v16, v[16:17]
	v_max_f32_e32 v17, v211, v211
	v_lshlrev_b64 v[23:24], 3, v[10:11]
	v_add_co_u32 v23, vcc_lo, v20, v23
	s_delay_alu instid0(VALU_DEP_2) | instskip(NEXT) | instid1(VALU_DEP_4)
	v_add_co_ci_u32_e32 v24, vcc_lo, v21, v24, vcc_lo
	v_min_f32_e32 v16, v16, v17
	s_delay_alu instid0(VALU_DEP_1) | instskip(SKIP_3) | instid1(SALU_CYCLE_1)
	v_cvt_f64_f32_e32 v[16:17], v16
	global_store_b64 v[23:24], v[16:17], off
	s_or_b32 exec_lo, exec_lo, s16
	s_and_b32 s19, s6, s8
	s_and_saveexec_b32 s16, s19
	s_cbranch_execz .LBB122_112
.LBB122_137:
	v_cmp_ne_u32_e32 vcc_lo, 1, v18
	s_cbranch_vccnz .LBB122_139
; %bb.138:
	v_lshlrev_b64 v[16:17], 3, v[12:13]
	s_delay_alu instid0(VALU_DEP_1) | instskip(NEXT) | instid1(VALU_DEP_2)
	v_add_co_u32 v16, vcc_lo, v22, v16
	v_add_co_ci_u32_e32 v17, vcc_lo, v25, v17, vcc_lo
	flat_load_b64 v[16:17], v[16:17]
	s_waitcnt vmcnt(0) lgkmcnt(0)
	v_mul_f64 v[16:17], v[16:17], s[10:11]
	s_branch .LBB122_140
.LBB122_139:
	v_mov_b32_e32 v16, 0
	v_mov_b32_e32 v17, 0
.LBB122_140:
	s_delay_alu instid0(VALU_DEP_1) | instskip(SKIP_2) | instid1(VALU_DEP_1)
	v_cvt_f32_f64_e32 v16, v[16:17]
	v_max_f32_e32 v17, v108, v108
	v_lshlrev_b64 v[23:24], 3, v[12:13]
	v_add_co_u32 v23, vcc_lo, v20, v23
	s_delay_alu instid0(VALU_DEP_2) | instskip(NEXT) | instid1(VALU_DEP_4)
	v_add_co_ci_u32_e32 v24, vcc_lo, v21, v24, vcc_lo
	v_min_f32_e32 v16, v16, v17
	s_delay_alu instid0(VALU_DEP_1) | instskip(SKIP_3) | instid1(SALU_CYCLE_1)
	v_cvt_f64_f32_e32 v[16:17], v16
	global_store_b64 v[23:24], v[16:17], off
	s_or_b32 exec_lo, exec_lo, s16
	s_and_b32 s16, s7, s8
	s_and_saveexec_b32 s8, s16
	s_cbranch_execz .LBB122_145
.LBB122_141:
	v_cmp_ne_u32_e32 vcc_lo, 1, v18
	s_cbranch_vccnz .LBB122_143
; %bb.142:
	v_lshlrev_b64 v[16:17], 3, v[14:15]
	s_delay_alu instid0(VALU_DEP_1) | instskip(NEXT) | instid1(VALU_DEP_2)
	v_add_co_u32 v16, vcc_lo, v22, v16
	v_add_co_ci_u32_e32 v17, vcc_lo, v25, v17, vcc_lo
	flat_load_b64 v[16:17], v[16:17]
	s_waitcnt vmcnt(0) lgkmcnt(0)
	v_mul_f64 v[16:17], v[16:17], s[10:11]
	s_branch .LBB122_144
.LBB122_143:
	v_mov_b32_e32 v16, 0
	v_mov_b32_e32 v17, 0
.LBB122_144:
	s_delay_alu instid0(VALU_DEP_1) | instskip(SKIP_2) | instid1(VALU_DEP_1)
	v_cvt_f32_f64_e32 v16, v[16:17]
	v_max_f32_e32 v17, v103, v103
	v_lshlrev_b64 v[22:23], 3, v[14:15]
	v_add_co_u32 v20, vcc_lo, v20, v22
	s_delay_alu instid0(VALU_DEP_2) | instskip(NEXT) | instid1(VALU_DEP_4)
	v_add_co_ci_u32_e32 v21, vcc_lo, v21, v23, vcc_lo
	v_min_f32_e32 v16, v16, v17
	s_delay_alu instid0(VALU_DEP_1)
	v_cvt_f64_f32_e32 v[16:17], v16
	global_store_b64 v[20:21], v[16:17], off
.LBB122_145:
	s_or_b32 exec_lo, exec_lo, s8
	v_add_nc_u32_e32 v22, 64, v19
	s_delay_alu instid0(VALU_DEP_1) | instskip(SKIP_2) | instid1(VALU_DEP_3)
	v_mad_i64_i32 v[16:17], null, v22, s18, 0
	v_mad_i64_i32 v[20:21], null, v22, s9, 0
	v_cmp_gt_i32_e64 s8, s17, v22
	v_lshlrev_b64 v[16:17], 3, v[16:17]
	s_delay_alu instid0(VALU_DEP_2) | instskip(NEXT) | instid1(VALU_DEP_3)
	s_and_b32 s19, s0, s8
	v_lshlrev_b64 v[20:21], 3, v[20:21]
	s_delay_alu instid0(VALU_DEP_2) | instskip(NEXT) | instid1(VALU_DEP_3)
	v_add_co_u32 v22, vcc_lo, s12, v16
	v_add_co_ci_u32_e32 v25, vcc_lo, s13, v17, vcc_lo
	s_delay_alu instid0(VALU_DEP_3) | instskip(NEXT) | instid1(VALU_DEP_4)
	v_add_co_u32 v20, vcc_lo, s14, v20
	v_add_co_ci_u32_e32 v21, vcc_lo, s15, v21, vcc_lo
	s_and_saveexec_b32 s16, s19
	s_cbranch_execnz .LBB122_153
; %bb.146:
	s_or_b32 exec_lo, exec_lo, s16
	s_and_b32 s19, s1, s8
	s_delay_alu instid0(SALU_CYCLE_1)
	s_and_saveexec_b32 s16, s19
	s_cbranch_execnz .LBB122_157
.LBB122_147:
	s_or_b32 exec_lo, exec_lo, s16
	s_and_b32 s19, s2, s8
	s_delay_alu instid0(SALU_CYCLE_1)
	s_and_saveexec_b32 s16, s19
	s_cbranch_execnz .LBB122_161
.LBB122_148:
	s_or_b32 exec_lo, exec_lo, s16
	s_and_b32 s19, s3, s8
	s_delay_alu instid0(SALU_CYCLE_1)
	s_and_saveexec_b32 s16, s19
	s_cbranch_execnz .LBB122_165
.LBB122_149:
	s_or_b32 exec_lo, exec_lo, s16
	s_and_b32 s19, s4, s8
	s_delay_alu instid0(SALU_CYCLE_1)
	s_and_saveexec_b32 s16, s19
	s_cbranch_execnz .LBB122_169
.LBB122_150:
	s_or_b32 exec_lo, exec_lo, s16
	s_and_b32 s19, s5, s8
	s_delay_alu instid0(SALU_CYCLE_1)
	s_and_saveexec_b32 s16, s19
	s_cbranch_execnz .LBB122_173
.LBB122_151:
	s_or_b32 exec_lo, exec_lo, s16
	s_and_b32 s19, s6, s8
	s_delay_alu instid0(SALU_CYCLE_1)
	s_and_saveexec_b32 s16, s19
	s_cbranch_execnz .LBB122_177
.LBB122_152:
	s_or_b32 exec_lo, exec_lo, s16
	s_and_b32 s16, s7, s8
	s_delay_alu instid0(SALU_CYCLE_1)
	s_and_saveexec_b32 s8, s16
	s_cbranch_execnz .LBB122_181
	s_branch .LBB122_185
.LBB122_153:
	v_cmp_ne_u32_e32 vcc_lo, 1, v18
	s_cbranch_vccnz .LBB122_155
; %bb.154:
	v_lshlrev_b64 v[16:17], 3, v[0:1]
	s_delay_alu instid0(VALU_DEP_1) | instskip(NEXT) | instid1(VALU_DEP_2)
	v_add_co_u32 v16, vcc_lo, v22, v16
	v_add_co_ci_u32_e32 v17, vcc_lo, v25, v17, vcc_lo
	flat_load_b64 v[16:17], v[16:17]
	s_waitcnt vmcnt(0) lgkmcnt(0)
	v_mul_f64 v[16:17], v[16:17], s[10:11]
	s_branch .LBB122_156
.LBB122_155:
	v_mov_b32_e32 v16, 0
	v_mov_b32_e32 v17, 0
.LBB122_156:
	s_delay_alu instid0(VALU_DEP_1) | instskip(SKIP_2) | instid1(VALU_DEP_1)
	v_cvt_f32_f64_e32 v16, v[16:17]
	v_max_f32_e32 v17, v102, v102
	v_lshlrev_b64 v[23:24], 3, v[0:1]
	v_add_co_u32 v23, vcc_lo, v20, v23
	s_delay_alu instid0(VALU_DEP_2) | instskip(NEXT) | instid1(VALU_DEP_4)
	v_add_co_ci_u32_e32 v24, vcc_lo, v21, v24, vcc_lo
	v_min_f32_e32 v16, v16, v17
	s_delay_alu instid0(VALU_DEP_1) | instskip(SKIP_3) | instid1(SALU_CYCLE_1)
	v_cvt_f64_f32_e32 v[16:17], v16
	global_store_b64 v[23:24], v[16:17], off
	s_or_b32 exec_lo, exec_lo, s16
	s_and_b32 s19, s1, s8
	s_and_saveexec_b32 s16, s19
	s_cbranch_execz .LBB122_147
.LBB122_157:
	v_cmp_ne_u32_e32 vcc_lo, 1, v18
	s_cbranch_vccnz .LBB122_159
; %bb.158:
	v_lshlrev_b64 v[16:17], 3, v[2:3]
	s_delay_alu instid0(VALU_DEP_1) | instskip(NEXT) | instid1(VALU_DEP_2)
	v_add_co_u32 v16, vcc_lo, v22, v16
	v_add_co_ci_u32_e32 v17, vcc_lo, v25, v17, vcc_lo
	flat_load_b64 v[16:17], v[16:17]
	s_waitcnt vmcnt(0) lgkmcnt(0)
	v_mul_f64 v[16:17], v[16:17], s[10:11]
	s_branch .LBB122_160
.LBB122_159:
	v_mov_b32_e32 v16, 0
	v_mov_b32_e32 v17, 0
.LBB122_160:
	s_delay_alu instid0(VALU_DEP_1) | instskip(SKIP_2) | instid1(VALU_DEP_1)
	v_cvt_f32_f64_e32 v16, v[16:17]
	v_max_f32_e32 v17, v111, v111
	v_lshlrev_b64 v[23:24], 3, v[2:3]
	v_add_co_u32 v23, vcc_lo, v20, v23
	s_delay_alu instid0(VALU_DEP_2) | instskip(NEXT) | instid1(VALU_DEP_4)
	v_add_co_ci_u32_e32 v24, vcc_lo, v21, v24, vcc_lo
	v_min_f32_e32 v16, v16, v17
	s_delay_alu instid0(VALU_DEP_1) | instskip(SKIP_3) | instid1(SALU_CYCLE_1)
	v_cvt_f64_f32_e32 v[16:17], v16
	global_store_b64 v[23:24], v[16:17], off
	s_or_b32 exec_lo, exec_lo, s16
	s_and_b32 s19, s2, s8
	s_and_saveexec_b32 s16, s19
	s_cbranch_execz .LBB122_148
.LBB122_161:
	v_cmp_ne_u32_e32 vcc_lo, 1, v18
	s_cbranch_vccnz .LBB122_163
; %bb.162:
	v_lshlrev_b64 v[16:17], 3, v[4:5]
	s_delay_alu instid0(VALU_DEP_1) | instskip(NEXT) | instid1(VALU_DEP_2)
	v_add_co_u32 v16, vcc_lo, v22, v16
	v_add_co_ci_u32_e32 v17, vcc_lo, v25, v17, vcc_lo
	flat_load_b64 v[16:17], v[16:17]
	s_waitcnt vmcnt(0) lgkmcnt(0)
	v_mul_f64 v[16:17], v[16:17], s[10:11]
	s_branch .LBB122_164
.LBB122_163:
	v_mov_b32_e32 v16, 0
	v_mov_b32_e32 v17, 0
.LBB122_164:
	s_delay_alu instid0(VALU_DEP_1) | instskip(SKIP_2) | instid1(VALU_DEP_1)
	v_cvt_f32_f64_e32 v16, v[16:17]
	v_max_f32_e32 v17, v110, v110
	v_lshlrev_b64 v[23:24], 3, v[4:5]
	v_add_co_u32 v23, vcc_lo, v20, v23
	s_delay_alu instid0(VALU_DEP_2) | instskip(NEXT) | instid1(VALU_DEP_4)
	v_add_co_ci_u32_e32 v24, vcc_lo, v21, v24, vcc_lo
	v_min_f32_e32 v16, v16, v17
	s_delay_alu instid0(VALU_DEP_1) | instskip(SKIP_3) | instid1(SALU_CYCLE_1)
	v_cvt_f64_f32_e32 v[16:17], v16
	global_store_b64 v[23:24], v[16:17], off
	s_or_b32 exec_lo, exec_lo, s16
	s_and_b32 s19, s3, s8
	s_and_saveexec_b32 s16, s19
	s_cbranch_execz .LBB122_149
.LBB122_165:
	v_cmp_ne_u32_e32 vcc_lo, 1, v18
	s_cbranch_vccnz .LBB122_167
; %bb.166:
	v_lshlrev_b64 v[16:17], 3, v[6:7]
	s_delay_alu instid0(VALU_DEP_1) | instskip(NEXT) | instid1(VALU_DEP_2)
	v_add_co_u32 v16, vcc_lo, v22, v16
	v_add_co_ci_u32_e32 v17, vcc_lo, v25, v17, vcc_lo
	flat_load_b64 v[16:17], v[16:17]
	s_waitcnt vmcnt(0) lgkmcnt(0)
	v_mul_f64 v[16:17], v[16:17], s[10:11]
	s_branch .LBB122_168
.LBB122_167:
	v_mov_b32_e32 v16, 0
	v_mov_b32_e32 v17, 0
.LBB122_168:
	s_delay_alu instid0(VALU_DEP_1) | instskip(SKIP_2) | instid1(VALU_DEP_1)
	v_cvt_f32_f64_e32 v16, v[16:17]
	v_max_f32_e32 v17, v112, v112
	v_lshlrev_b64 v[23:24], 3, v[6:7]
	v_add_co_u32 v23, vcc_lo, v20, v23
	s_delay_alu instid0(VALU_DEP_2) | instskip(NEXT) | instid1(VALU_DEP_4)
	v_add_co_ci_u32_e32 v24, vcc_lo, v21, v24, vcc_lo
	v_min_f32_e32 v16, v16, v17
	s_delay_alu instid0(VALU_DEP_1) | instskip(SKIP_3) | instid1(SALU_CYCLE_1)
	v_cvt_f64_f32_e32 v[16:17], v16
	global_store_b64 v[23:24], v[16:17], off
	s_or_b32 exec_lo, exec_lo, s16
	s_and_b32 s19, s4, s8
	s_and_saveexec_b32 s16, s19
	s_cbranch_execz .LBB122_150
.LBB122_169:
	v_cmp_ne_u32_e32 vcc_lo, 1, v18
	s_cbranch_vccnz .LBB122_171
; %bb.170:
	v_lshlrev_b64 v[16:17], 3, v[8:9]
	s_delay_alu instid0(VALU_DEP_1) | instskip(NEXT) | instid1(VALU_DEP_2)
	v_add_co_u32 v16, vcc_lo, v22, v16
	v_add_co_ci_u32_e32 v17, vcc_lo, v25, v17, vcc_lo
	flat_load_b64 v[16:17], v[16:17]
	s_waitcnt vmcnt(0) lgkmcnt(0)
	v_mul_f64 v[16:17], v[16:17], s[10:11]
	s_branch .LBB122_172
.LBB122_171:
	v_mov_b32_e32 v16, 0
	v_mov_b32_e32 v17, 0
.LBB122_172:
	s_delay_alu instid0(VALU_DEP_1) | instskip(SKIP_2) | instid1(VALU_DEP_1)
	v_cvt_f32_f64_e32 v16, v[16:17]
	v_max_f32_e32 v17, v107, v107
	v_lshlrev_b64 v[23:24], 3, v[8:9]
	v_add_co_u32 v23, vcc_lo, v20, v23
	s_delay_alu instid0(VALU_DEP_2) | instskip(NEXT) | instid1(VALU_DEP_4)
	v_add_co_ci_u32_e32 v24, vcc_lo, v21, v24, vcc_lo
	v_min_f32_e32 v16, v16, v17
	s_delay_alu instid0(VALU_DEP_1) | instskip(SKIP_3) | instid1(SALU_CYCLE_1)
	v_cvt_f64_f32_e32 v[16:17], v16
	global_store_b64 v[23:24], v[16:17], off
	s_or_b32 exec_lo, exec_lo, s16
	s_and_b32 s19, s5, s8
	s_and_saveexec_b32 s16, s19
	s_cbranch_execz .LBB122_151
.LBB122_173:
	v_cmp_ne_u32_e32 vcc_lo, 1, v18
	s_cbranch_vccnz .LBB122_175
; %bb.174:
	v_lshlrev_b64 v[16:17], 3, v[10:11]
	s_delay_alu instid0(VALU_DEP_1) | instskip(NEXT) | instid1(VALU_DEP_2)
	v_add_co_u32 v16, vcc_lo, v22, v16
	v_add_co_ci_u32_e32 v17, vcc_lo, v25, v17, vcc_lo
	flat_load_b64 v[16:17], v[16:17]
	s_waitcnt vmcnt(0) lgkmcnt(0)
	v_mul_f64 v[16:17], v[16:17], s[10:11]
	s_branch .LBB122_176
.LBB122_175:
	v_mov_b32_e32 v16, 0
	v_mov_b32_e32 v17, 0
.LBB122_176:
	s_delay_alu instid0(VALU_DEP_1) | instskip(SKIP_2) | instid1(VALU_DEP_1)
	v_cvt_f32_f64_e32 v16, v[16:17]
	v_max_f32_e32 v17, v106, v106
	v_lshlrev_b64 v[23:24], 3, v[10:11]
	v_add_co_u32 v23, vcc_lo, v20, v23
	s_delay_alu instid0(VALU_DEP_2) | instskip(NEXT) | instid1(VALU_DEP_4)
	v_add_co_ci_u32_e32 v24, vcc_lo, v21, v24, vcc_lo
	v_min_f32_e32 v16, v16, v17
	s_delay_alu instid0(VALU_DEP_1) | instskip(SKIP_3) | instid1(SALU_CYCLE_1)
	v_cvt_f64_f32_e32 v[16:17], v16
	global_store_b64 v[23:24], v[16:17], off
	s_or_b32 exec_lo, exec_lo, s16
	s_and_b32 s19, s6, s8
	s_and_saveexec_b32 s16, s19
	s_cbranch_execz .LBB122_152
.LBB122_177:
	v_cmp_ne_u32_e32 vcc_lo, 1, v18
	s_cbranch_vccnz .LBB122_179
; %bb.178:
	v_lshlrev_b64 v[16:17], 3, v[12:13]
	s_delay_alu instid0(VALU_DEP_1) | instskip(NEXT) | instid1(VALU_DEP_2)
	v_add_co_u32 v16, vcc_lo, v22, v16
	v_add_co_ci_u32_e32 v17, vcc_lo, v25, v17, vcc_lo
	flat_load_b64 v[16:17], v[16:17]
	s_waitcnt vmcnt(0) lgkmcnt(0)
	v_mul_f64 v[16:17], v[16:17], s[10:11]
	s_branch .LBB122_180
.LBB122_179:
	v_mov_b32_e32 v16, 0
	v_mov_b32_e32 v17, 0
.LBB122_180:
	s_delay_alu instid0(VALU_DEP_1) | instskip(SKIP_2) | instid1(VALU_DEP_1)
	v_cvt_f32_f64_e32 v16, v[16:17]
	v_max_f32_e32 v17, v48, v48
	v_lshlrev_b64 v[23:24], 3, v[12:13]
	v_add_co_u32 v23, vcc_lo, v20, v23
	s_delay_alu instid0(VALU_DEP_2) | instskip(NEXT) | instid1(VALU_DEP_4)
	v_add_co_ci_u32_e32 v24, vcc_lo, v21, v24, vcc_lo
	v_min_f32_e32 v16, v16, v17
	s_delay_alu instid0(VALU_DEP_1) | instskip(SKIP_3) | instid1(SALU_CYCLE_1)
	v_cvt_f64_f32_e32 v[16:17], v16
	global_store_b64 v[23:24], v[16:17], off
	s_or_b32 exec_lo, exec_lo, s16
	s_and_b32 s16, s7, s8
	s_and_saveexec_b32 s8, s16
	s_cbranch_execz .LBB122_185
.LBB122_181:
	v_cmp_ne_u32_e32 vcc_lo, 1, v18
	s_cbranch_vccnz .LBB122_183
; %bb.182:
	v_lshlrev_b64 v[16:17], 3, v[14:15]
	s_delay_alu instid0(VALU_DEP_1) | instskip(NEXT) | instid1(VALU_DEP_2)
	v_add_co_u32 v16, vcc_lo, v22, v16
	v_add_co_ci_u32_e32 v17, vcc_lo, v25, v17, vcc_lo
	flat_load_b64 v[16:17], v[16:17]
	s_waitcnt vmcnt(0) lgkmcnt(0)
	v_mul_f64 v[16:17], v[16:17], s[10:11]
	s_branch .LBB122_184
.LBB122_183:
	v_mov_b32_e32 v16, 0
	v_mov_b32_e32 v17, 0
.LBB122_184:
	s_delay_alu instid0(VALU_DEP_1) | instskip(SKIP_2) | instid1(VALU_DEP_1)
	v_cvt_f32_f64_e32 v16, v[16:17]
	v_max_f32_e32 v17, v63, v63
	v_lshlrev_b64 v[22:23], 3, v[14:15]
	v_add_co_u32 v20, vcc_lo, v20, v22
	s_delay_alu instid0(VALU_DEP_2) | instskip(NEXT) | instid1(VALU_DEP_4)
	v_add_co_ci_u32_e32 v21, vcc_lo, v21, v23, vcc_lo
	v_min_f32_e32 v16, v16, v17
	s_delay_alu instid0(VALU_DEP_1)
	v_cvt_f64_f32_e32 v[16:17], v16
	global_store_b64 v[20:21], v[16:17], off
.LBB122_185:
	s_or_b32 exec_lo, exec_lo, s8
	v_add_nc_u32_e32 v22, 0x60, v19
	s_delay_alu instid0(VALU_DEP_1) | instskip(SKIP_2) | instid1(VALU_DEP_3)
	v_mad_i64_i32 v[16:17], null, v22, s18, 0
	v_mad_i64_i32 v[20:21], null, v22, s9, 0
	v_cmp_gt_i32_e64 s8, s17, v22
	v_lshlrev_b64 v[16:17], 3, v[16:17]
	s_delay_alu instid0(VALU_DEP_2) | instskip(NEXT) | instid1(VALU_DEP_3)
	s_and_b32 s19, s0, s8
	v_lshlrev_b64 v[20:21], 3, v[20:21]
	s_delay_alu instid0(VALU_DEP_2) | instskip(NEXT) | instid1(VALU_DEP_3)
	v_add_co_u32 v22, vcc_lo, s12, v16
	v_add_co_ci_u32_e32 v25, vcc_lo, s13, v17, vcc_lo
	s_delay_alu instid0(VALU_DEP_3) | instskip(NEXT) | instid1(VALU_DEP_4)
	v_add_co_u32 v20, vcc_lo, s14, v20
	v_add_co_ci_u32_e32 v21, vcc_lo, s15, v21, vcc_lo
	s_and_saveexec_b32 s16, s19
	s_cbranch_execnz .LBB122_193
; %bb.186:
	s_or_b32 exec_lo, exec_lo, s16
	s_and_b32 s19, s1, s8
	s_delay_alu instid0(SALU_CYCLE_1)
	s_and_saveexec_b32 s16, s19
	s_cbranch_execnz .LBB122_197
.LBB122_187:
	s_or_b32 exec_lo, exec_lo, s16
	s_and_b32 s19, s2, s8
	s_delay_alu instid0(SALU_CYCLE_1)
	s_and_saveexec_b32 s16, s19
	s_cbranch_execnz .LBB122_201
.LBB122_188:
	s_or_b32 exec_lo, exec_lo, s16
	s_and_b32 s19, s3, s8
	s_delay_alu instid0(SALU_CYCLE_1)
	s_and_saveexec_b32 s16, s19
	s_cbranch_execnz .LBB122_205
.LBB122_189:
	s_or_b32 exec_lo, exec_lo, s16
	s_and_b32 s19, s4, s8
	s_delay_alu instid0(SALU_CYCLE_1)
	s_and_saveexec_b32 s16, s19
	s_cbranch_execnz .LBB122_209
.LBB122_190:
	s_or_b32 exec_lo, exec_lo, s16
	s_and_b32 s19, s5, s8
	s_delay_alu instid0(SALU_CYCLE_1)
	s_and_saveexec_b32 s16, s19
	s_cbranch_execnz .LBB122_213
.LBB122_191:
	s_or_b32 exec_lo, exec_lo, s16
	s_and_b32 s19, s6, s8
	s_delay_alu instid0(SALU_CYCLE_1)
	s_and_saveexec_b32 s16, s19
	s_cbranch_execnz .LBB122_217
.LBB122_192:
	s_or_b32 exec_lo, exec_lo, s16
	s_and_b32 s16, s7, s8
	s_delay_alu instid0(SALU_CYCLE_1)
	s_and_saveexec_b32 s8, s16
	s_cbranch_execnz .LBB122_221
	s_branch .LBB122_225
.LBB122_193:
	v_cmp_ne_u32_e32 vcc_lo, 1, v18
	s_cbranch_vccnz .LBB122_195
; %bb.194:
	v_lshlrev_b64 v[16:17], 3, v[0:1]
	s_delay_alu instid0(VALU_DEP_1) | instskip(NEXT) | instid1(VALU_DEP_2)
	v_add_co_u32 v16, vcc_lo, v22, v16
	v_add_co_ci_u32_e32 v17, vcc_lo, v25, v17, vcc_lo
	flat_load_b64 v[16:17], v[16:17]
	s_waitcnt vmcnt(0) lgkmcnt(0)
	v_mul_f64 v[16:17], v[16:17], s[10:11]
	s_branch .LBB122_196
.LBB122_195:
	v_mov_b32_e32 v16, 0
	v_mov_b32_e32 v17, 0
.LBB122_196:
	s_delay_alu instid0(VALU_DEP_1) | instskip(SKIP_2) | instid1(VALU_DEP_1)
	v_cvt_f32_f64_e32 v16, v[16:17]
	v_max_f32_e32 v17, v31, v31
	v_lshlrev_b64 v[23:24], 3, v[0:1]
	v_add_co_u32 v23, vcc_lo, v20, v23
	s_delay_alu instid0(VALU_DEP_2) | instskip(NEXT) | instid1(VALU_DEP_4)
	v_add_co_ci_u32_e32 v24, vcc_lo, v21, v24, vcc_lo
	v_min_f32_e32 v16, v16, v17
	s_delay_alu instid0(VALU_DEP_1) | instskip(SKIP_3) | instid1(SALU_CYCLE_1)
	v_cvt_f64_f32_e32 v[16:17], v16
	global_store_b64 v[23:24], v[16:17], off
	s_or_b32 exec_lo, exec_lo, s16
	s_and_b32 s19, s1, s8
	s_and_saveexec_b32 s16, s19
	s_cbranch_execz .LBB122_187
.LBB122_197:
	v_cmp_ne_u32_e32 vcc_lo, 1, v18
	s_cbranch_vccnz .LBB122_199
; %bb.198:
	v_lshlrev_b64 v[16:17], 3, v[2:3]
	s_delay_alu instid0(VALU_DEP_1) | instskip(NEXT) | instid1(VALU_DEP_2)
	v_add_co_u32 v16, vcc_lo, v22, v16
	v_add_co_ci_u32_e32 v17, vcc_lo, v25, v17, vcc_lo
	flat_load_b64 v[16:17], v[16:17]
	s_waitcnt vmcnt(0) lgkmcnt(0)
	v_mul_f64 v[16:17], v[16:17], s[10:11]
	s_branch .LBB122_200
.LBB122_199:
	v_mov_b32_e32 v16, 0
	v_mov_b32_e32 v17, 0
.LBB122_200:
	s_delay_alu instid0(VALU_DEP_1) | instskip(SKIP_2) | instid1(VALU_DEP_1)
	v_cvt_f32_f64_e32 v16, v[16:17]
	v_max_f32_e32 v17, v30, v30
	v_lshlrev_b64 v[23:24], 3, v[2:3]
	v_add_co_u32 v23, vcc_lo, v20, v23
	s_delay_alu instid0(VALU_DEP_2) | instskip(NEXT) | instid1(VALU_DEP_4)
	v_add_co_ci_u32_e32 v24, vcc_lo, v21, v24, vcc_lo
	v_min_f32_e32 v16, v16, v17
	s_delay_alu instid0(VALU_DEP_1) | instskip(SKIP_3) | instid1(SALU_CYCLE_1)
	v_cvt_f64_f32_e32 v[16:17], v16
	global_store_b64 v[23:24], v[16:17], off
	s_or_b32 exec_lo, exec_lo, s16
	s_and_b32 s19, s2, s8
	s_and_saveexec_b32 s16, s19
	s_cbranch_execz .LBB122_188
.LBB122_201:
	v_cmp_ne_u32_e32 vcc_lo, 1, v18
	s_cbranch_vccnz .LBB122_203
; %bb.202:
	v_lshlrev_b64 v[16:17], 3, v[4:5]
	s_delay_alu instid0(VALU_DEP_1) | instskip(NEXT) | instid1(VALU_DEP_2)
	v_add_co_u32 v16, vcc_lo, v22, v16
	v_add_co_ci_u32_e32 v17, vcc_lo, v25, v17, vcc_lo
	flat_load_b64 v[16:17], v[16:17]
	s_waitcnt vmcnt(0) lgkmcnt(0)
	v_mul_f64 v[16:17], v[16:17], s[10:11]
	s_branch .LBB122_204
.LBB122_203:
	v_mov_b32_e32 v16, 0
	v_mov_b32_e32 v17, 0
.LBB122_204:
	s_delay_alu instid0(VALU_DEP_1) | instskip(SKIP_2) | instid1(VALU_DEP_1)
	v_cvt_f32_f64_e32 v16, v[16:17]
	v_max_f32_e32 v17, v203, v203
	v_lshlrev_b64 v[23:24], 3, v[4:5]
	v_add_co_u32 v23, vcc_lo, v20, v23
	s_delay_alu instid0(VALU_DEP_2) | instskip(NEXT) | instid1(VALU_DEP_4)
	v_add_co_ci_u32_e32 v24, vcc_lo, v21, v24, vcc_lo
	v_min_f32_e32 v16, v16, v17
	s_delay_alu instid0(VALU_DEP_1) | instskip(SKIP_3) | instid1(SALU_CYCLE_1)
	v_cvt_f64_f32_e32 v[16:17], v16
	global_store_b64 v[23:24], v[16:17], off
	s_or_b32 exec_lo, exec_lo, s16
	s_and_b32 s19, s3, s8
	s_and_saveexec_b32 s16, s19
	s_cbranch_execz .LBB122_189
.LBB122_205:
	v_cmp_ne_u32_e32 vcc_lo, 1, v18
	s_cbranch_vccnz .LBB122_207
; %bb.206:
	v_lshlrev_b64 v[16:17], 3, v[6:7]
	s_delay_alu instid0(VALU_DEP_1) | instskip(NEXT) | instid1(VALU_DEP_2)
	v_add_co_u32 v16, vcc_lo, v22, v16
	v_add_co_ci_u32_e32 v17, vcc_lo, v25, v17, vcc_lo
	flat_load_b64 v[16:17], v[16:17]
	s_waitcnt vmcnt(0) lgkmcnt(0)
	v_mul_f64 v[16:17], v[16:17], s[10:11]
	s_branch .LBB122_208
.LBB122_207:
	v_mov_b32_e32 v16, 0
	v_mov_b32_e32 v17, 0
.LBB122_208:
	s_delay_alu instid0(VALU_DEP_1) | instskip(SKIP_2) | instid1(VALU_DEP_1)
	v_cvt_f32_f64_e32 v16, v[16:17]
	v_max_f32_e32 v17, v29, v29
	v_lshlrev_b64 v[23:24], 3, v[6:7]
	v_add_co_u32 v23, vcc_lo, v20, v23
	s_delay_alu instid0(VALU_DEP_2) | instskip(NEXT) | instid1(VALU_DEP_4)
	v_add_co_ci_u32_e32 v24, vcc_lo, v21, v24, vcc_lo
	v_min_f32_e32 v16, v16, v17
	s_delay_alu instid0(VALU_DEP_1) | instskip(SKIP_3) | instid1(SALU_CYCLE_1)
	v_cvt_f64_f32_e32 v[16:17], v16
	global_store_b64 v[23:24], v[16:17], off
	s_or_b32 exec_lo, exec_lo, s16
	s_and_b32 s19, s4, s8
	s_and_saveexec_b32 s16, s19
	s_cbranch_execz .LBB122_190
.LBB122_209:
	v_cmp_ne_u32_e32 vcc_lo, 1, v18
	s_cbranch_vccnz .LBB122_211
; %bb.210:
	v_lshlrev_b64 v[16:17], 3, v[8:9]
	s_delay_alu instid0(VALU_DEP_1) | instskip(NEXT) | instid1(VALU_DEP_2)
	v_add_co_u32 v16, vcc_lo, v22, v16
	v_add_co_ci_u32_e32 v17, vcc_lo, v25, v17, vcc_lo
	flat_load_b64 v[16:17], v[16:17]
	s_waitcnt vmcnt(0) lgkmcnt(0)
	v_mul_f64 v[16:17], v[16:17], s[10:11]
	s_branch .LBB122_212
.LBB122_211:
	v_mov_b32_e32 v16, 0
	v_mov_b32_e32 v17, 0
.LBB122_212:
	s_delay_alu instid0(VALU_DEP_1) | instskip(SKIP_2) | instid1(VALU_DEP_1)
	v_cvt_f32_f64_e32 v16, v[16:17]
	v_max_f32_e32 v17, v200, v200
	v_lshlrev_b64 v[23:24], 3, v[8:9]
	v_add_co_u32 v23, vcc_lo, v20, v23
	s_delay_alu instid0(VALU_DEP_2) | instskip(NEXT) | instid1(VALU_DEP_4)
	v_add_co_ci_u32_e32 v24, vcc_lo, v21, v24, vcc_lo
	v_min_f32_e32 v16, v16, v17
	s_delay_alu instid0(VALU_DEP_1) | instskip(SKIP_3) | instid1(SALU_CYCLE_1)
	v_cvt_f64_f32_e32 v[16:17], v16
	global_store_b64 v[23:24], v[16:17], off
	s_or_b32 exec_lo, exec_lo, s16
	s_and_b32 s19, s5, s8
	s_and_saveexec_b32 s16, s19
	s_cbranch_execz .LBB122_191
.LBB122_213:
	v_cmp_ne_u32_e32 vcc_lo, 1, v18
	s_cbranch_vccnz .LBB122_215
; %bb.214:
	v_lshlrev_b64 v[16:17], 3, v[10:11]
	s_delay_alu instid0(VALU_DEP_1) | instskip(NEXT) | instid1(VALU_DEP_2)
	v_add_co_u32 v16, vcc_lo, v22, v16
	v_add_co_ci_u32_e32 v17, vcc_lo, v25, v17, vcc_lo
	flat_load_b64 v[16:17], v[16:17]
	s_waitcnt vmcnt(0) lgkmcnt(0)
	v_mul_f64 v[16:17], v[16:17], s[10:11]
	s_branch .LBB122_216
.LBB122_215:
	v_mov_b32_e32 v16, 0
	v_mov_b32_e32 v17, 0
.LBB122_216:
	s_delay_alu instid0(VALU_DEP_1) | instskip(SKIP_2) | instid1(VALU_DEP_1)
	v_cvt_f32_f64_e32 v16, v[16:17]
	v_max_f32_e32 v17, v27, v27
	v_lshlrev_b64 v[23:24], 3, v[10:11]
	v_add_co_u32 v23, vcc_lo, v20, v23
	s_delay_alu instid0(VALU_DEP_2) | instskip(NEXT) | instid1(VALU_DEP_4)
	v_add_co_ci_u32_e32 v24, vcc_lo, v21, v24, vcc_lo
	v_min_f32_e32 v16, v16, v17
	s_delay_alu instid0(VALU_DEP_1) | instskip(SKIP_3) | instid1(SALU_CYCLE_1)
	v_cvt_f64_f32_e32 v[16:17], v16
	global_store_b64 v[23:24], v[16:17], off
	s_or_b32 exec_lo, exec_lo, s16
	s_and_b32 s19, s6, s8
	s_and_saveexec_b32 s16, s19
	s_cbranch_execz .LBB122_192
.LBB122_217:
	v_cmp_ne_u32_e32 vcc_lo, 1, v18
	s_cbranch_vccnz .LBB122_219
; %bb.218:
	v_lshlrev_b64 v[16:17], 3, v[12:13]
	s_delay_alu instid0(VALU_DEP_1) | instskip(NEXT) | instid1(VALU_DEP_2)
	v_add_co_u32 v16, vcc_lo, v22, v16
	v_add_co_ci_u32_e32 v17, vcc_lo, v25, v17, vcc_lo
	flat_load_b64 v[16:17], v[16:17]
	s_waitcnt vmcnt(0) lgkmcnt(0)
	v_mul_f64 v[16:17], v[16:17], s[10:11]
	s_branch .LBB122_220
.LBB122_219:
	v_mov_b32_e32 v16, 0
	v_mov_b32_e32 v17, 0
.LBB122_220:
	s_delay_alu instid0(VALU_DEP_1) | instskip(SKIP_2) | instid1(VALU_DEP_1)
	v_cvt_f32_f64_e32 v16, v[16:17]
	v_max_f32_e32 v17, v61, v61
	v_lshlrev_b64 v[23:24], 3, v[12:13]
	v_add_co_u32 v23, vcc_lo, v20, v23
	s_delay_alu instid0(VALU_DEP_2) | instskip(NEXT) | instid1(VALU_DEP_4)
	v_add_co_ci_u32_e32 v24, vcc_lo, v21, v24, vcc_lo
	v_min_f32_e32 v16, v16, v17
	s_delay_alu instid0(VALU_DEP_1) | instskip(SKIP_3) | instid1(SALU_CYCLE_1)
	v_cvt_f64_f32_e32 v[16:17], v16
	global_store_b64 v[23:24], v[16:17], off
	s_or_b32 exec_lo, exec_lo, s16
	s_and_b32 s16, s7, s8
	s_and_saveexec_b32 s8, s16
	s_cbranch_execz .LBB122_225
.LBB122_221:
	v_cmp_ne_u32_e32 vcc_lo, 1, v18
	s_cbranch_vccnz .LBB122_223
; %bb.222:
	v_lshlrev_b64 v[16:17], 3, v[14:15]
	s_delay_alu instid0(VALU_DEP_1) | instskip(NEXT) | instid1(VALU_DEP_2)
	v_add_co_u32 v16, vcc_lo, v22, v16
	v_add_co_ci_u32_e32 v17, vcc_lo, v25, v17, vcc_lo
	flat_load_b64 v[16:17], v[16:17]
	s_waitcnt vmcnt(0) lgkmcnt(0)
	v_mul_f64 v[16:17], v[16:17], s[10:11]
	s_branch .LBB122_224
.LBB122_223:
	v_mov_b32_e32 v16, 0
	v_mov_b32_e32 v17, 0
.LBB122_224:
	s_delay_alu instid0(VALU_DEP_1) | instskip(SKIP_2) | instid1(VALU_DEP_1)
	v_cvt_f32_f64_e32 v16, v[16:17]
	v_max_f32_e32 v17, v65, v65
	v_lshlrev_b64 v[22:23], 3, v[14:15]
	v_add_co_u32 v20, vcc_lo, v20, v22
	s_delay_alu instid0(VALU_DEP_2) | instskip(NEXT) | instid1(VALU_DEP_4)
	v_add_co_ci_u32_e32 v21, vcc_lo, v21, v23, vcc_lo
	v_min_f32_e32 v16, v16, v17
	s_delay_alu instid0(VALU_DEP_1)
	v_cvt_f64_f32_e32 v[16:17], v16
	global_store_b64 v[20:21], v[16:17], off
.LBB122_225:
	s_or_b32 exec_lo, exec_lo, s8
	v_add_nc_u32_e32 v22, 0x80, v19
	s_delay_alu instid0(VALU_DEP_1) | instskip(SKIP_2) | instid1(VALU_DEP_3)
	v_mad_i64_i32 v[16:17], null, v22, s18, 0
	v_mad_i64_i32 v[20:21], null, v22, s9, 0
	v_cmp_gt_i32_e64 s8, s17, v22
	v_lshlrev_b64 v[16:17], 3, v[16:17]
	s_delay_alu instid0(VALU_DEP_2) | instskip(NEXT) | instid1(VALU_DEP_3)
	s_and_b32 s19, s0, s8
	v_lshlrev_b64 v[20:21], 3, v[20:21]
	s_delay_alu instid0(VALU_DEP_2) | instskip(NEXT) | instid1(VALU_DEP_3)
	v_add_co_u32 v22, vcc_lo, s12, v16
	v_add_co_ci_u32_e32 v25, vcc_lo, s13, v17, vcc_lo
	s_delay_alu instid0(VALU_DEP_3) | instskip(NEXT) | instid1(VALU_DEP_4)
	v_add_co_u32 v20, vcc_lo, s14, v20
	v_add_co_ci_u32_e32 v21, vcc_lo, s15, v21, vcc_lo
	s_and_saveexec_b32 s16, s19
	s_cbranch_execnz .LBB122_233
; %bb.226:
	s_or_b32 exec_lo, exec_lo, s16
	s_and_b32 s19, s1, s8
	s_delay_alu instid0(SALU_CYCLE_1)
	s_and_saveexec_b32 s16, s19
	s_cbranch_execnz .LBB122_237
.LBB122_227:
	s_or_b32 exec_lo, exec_lo, s16
	s_and_b32 s19, s2, s8
	s_delay_alu instid0(SALU_CYCLE_1)
	s_and_saveexec_b32 s16, s19
	s_cbranch_execnz .LBB122_241
.LBB122_228:
	s_or_b32 exec_lo, exec_lo, s16
	s_and_b32 s19, s3, s8
	s_delay_alu instid0(SALU_CYCLE_1)
	s_and_saveexec_b32 s16, s19
	s_cbranch_execnz .LBB122_245
.LBB122_229:
	s_or_b32 exec_lo, exec_lo, s16
	s_and_b32 s19, s4, s8
	s_delay_alu instid0(SALU_CYCLE_1)
	s_and_saveexec_b32 s16, s19
	s_cbranch_execnz .LBB122_249
.LBB122_230:
	s_or_b32 exec_lo, exec_lo, s16
	s_and_b32 s19, s5, s8
	s_delay_alu instid0(SALU_CYCLE_1)
	s_and_saveexec_b32 s16, s19
	s_cbranch_execnz .LBB122_253
.LBB122_231:
	s_or_b32 exec_lo, exec_lo, s16
	s_and_b32 s19, s6, s8
	s_delay_alu instid0(SALU_CYCLE_1)
	s_and_saveexec_b32 s16, s19
	s_cbranch_execnz .LBB122_257
.LBB122_232:
	s_or_b32 exec_lo, exec_lo, s16
	s_and_b32 s16, s7, s8
	s_delay_alu instid0(SALU_CYCLE_1)
	s_and_saveexec_b32 s8, s16
	s_cbranch_execnz .LBB122_261
	s_branch .LBB122_265
.LBB122_233:
	v_cmp_ne_u32_e32 vcc_lo, 1, v18
	s_cbranch_vccnz .LBB122_235
; %bb.234:
	v_lshlrev_b64 v[16:17], 3, v[0:1]
	s_delay_alu instid0(VALU_DEP_1) | instskip(NEXT) | instid1(VALU_DEP_2)
	v_add_co_u32 v16, vcc_lo, v22, v16
	v_add_co_ci_u32_e32 v17, vcc_lo, v25, v17, vcc_lo
	flat_load_b64 v[16:17], v[16:17]
	s_waitcnt vmcnt(0) lgkmcnt(0)
	v_mul_f64 v[16:17], v[16:17], s[10:11]
	s_branch .LBB122_236
.LBB122_235:
	v_mov_b32_e32 v16, 0
	v_mov_b32_e32 v17, 0
.LBB122_236:
	s_delay_alu instid0(VALU_DEP_1) | instskip(SKIP_2) | instid1(VALU_DEP_1)
	v_cvt_f32_f64_e32 v16, v[16:17]
	v_max_f32_e32 v17, v199, v199
	v_lshlrev_b64 v[23:24], 3, v[0:1]
	v_add_co_u32 v23, vcc_lo, v20, v23
	s_delay_alu instid0(VALU_DEP_2) | instskip(NEXT) | instid1(VALU_DEP_4)
	v_add_co_ci_u32_e32 v24, vcc_lo, v21, v24, vcc_lo
	v_min_f32_e32 v16, v16, v17
	s_delay_alu instid0(VALU_DEP_1) | instskip(SKIP_3) | instid1(SALU_CYCLE_1)
	v_cvt_f64_f32_e32 v[16:17], v16
	global_store_b64 v[23:24], v[16:17], off
	s_or_b32 exec_lo, exec_lo, s16
	s_and_b32 s19, s1, s8
	s_and_saveexec_b32 s16, s19
	s_cbranch_execz .LBB122_227
.LBB122_237:
	v_cmp_ne_u32_e32 vcc_lo, 1, v18
	s_cbranch_vccnz .LBB122_239
; %bb.238:
	v_lshlrev_b64 v[16:17], 3, v[2:3]
	s_delay_alu instid0(VALU_DEP_1) | instskip(NEXT) | instid1(VALU_DEP_2)
	v_add_co_u32 v16, vcc_lo, v22, v16
	v_add_co_ci_u32_e32 v17, vcc_lo, v25, v17, vcc_lo
	flat_load_b64 v[16:17], v[16:17]
	s_waitcnt vmcnt(0) lgkmcnt(0)
	v_mul_f64 v[16:17], v[16:17], s[10:11]
	s_branch .LBB122_240
.LBB122_239:
	v_mov_b32_e32 v16, 0
	v_mov_b32_e32 v17, 0
.LBB122_240:
	s_delay_alu instid0(VALU_DEP_1) | instskip(SKIP_2) | instid1(VALU_DEP_1)
	v_cvt_f32_f64_e32 v16, v[16:17]
	v_max_f32_e32 v17, v26, v26
	v_lshlrev_b64 v[23:24], 3, v[2:3]
	v_add_co_u32 v23, vcc_lo, v20, v23
	s_delay_alu instid0(VALU_DEP_2) | instskip(NEXT) | instid1(VALU_DEP_4)
	v_add_co_ci_u32_e32 v24, vcc_lo, v21, v24, vcc_lo
	v_min_f32_e32 v16, v16, v17
	s_delay_alu instid0(VALU_DEP_1) | instskip(SKIP_3) | instid1(SALU_CYCLE_1)
	v_cvt_f64_f32_e32 v[16:17], v16
	global_store_b64 v[23:24], v[16:17], off
	s_or_b32 exec_lo, exec_lo, s16
	s_and_b32 s19, s2, s8
	s_and_saveexec_b32 s16, s19
	s_cbranch_execz .LBB122_228
.LBB122_241:
	v_cmp_ne_u32_e32 vcc_lo, 1, v18
	s_cbranch_vccnz .LBB122_243
; %bb.242:
	v_lshlrev_b64 v[16:17], 3, v[4:5]
	s_delay_alu instid0(VALU_DEP_1) | instskip(NEXT) | instid1(VALU_DEP_2)
	v_add_co_u32 v16, vcc_lo, v22, v16
	v_add_co_ci_u32_e32 v17, vcc_lo, v25, v17, vcc_lo
	flat_load_b64 v[16:17], v[16:17]
	s_waitcnt vmcnt(0) lgkmcnt(0)
	v_mul_f64 v[16:17], v[16:17], s[10:11]
	s_branch .LBB122_244
.LBB122_243:
	v_mov_b32_e32 v16, 0
	v_mov_b32_e32 v17, 0
.LBB122_244:
	s_delay_alu instid0(VALU_DEP_1) | instskip(SKIP_2) | instid1(VALU_DEP_1)
	v_cvt_f32_f64_e32 v16, v[16:17]
	v_max_f32_e32 v17, v59, v59
	v_lshlrev_b64 v[23:24], 3, v[4:5]
	v_add_co_u32 v23, vcc_lo, v20, v23
	s_delay_alu instid0(VALU_DEP_2) | instskip(NEXT) | instid1(VALU_DEP_4)
	v_add_co_ci_u32_e32 v24, vcc_lo, v21, v24, vcc_lo
	v_min_f32_e32 v16, v16, v17
	s_delay_alu instid0(VALU_DEP_1) | instskip(SKIP_3) | instid1(SALU_CYCLE_1)
	v_cvt_f64_f32_e32 v[16:17], v16
	global_store_b64 v[23:24], v[16:17], off
	s_or_b32 exec_lo, exec_lo, s16
	s_and_b32 s19, s3, s8
	s_and_saveexec_b32 s16, s19
	s_cbranch_execz .LBB122_229
.LBB122_245:
	v_cmp_ne_u32_e32 vcc_lo, 1, v18
	s_cbranch_vccnz .LBB122_247
; %bb.246:
	v_lshlrev_b64 v[16:17], 3, v[6:7]
	s_delay_alu instid0(VALU_DEP_1) | instskip(NEXT) | instid1(VALU_DEP_2)
	v_add_co_u32 v16, vcc_lo, v22, v16
	v_add_co_ci_u32_e32 v17, vcc_lo, v25, v17, vcc_lo
	flat_load_b64 v[16:17], v[16:17]
	s_waitcnt vmcnt(0) lgkmcnt(0)
	v_mul_f64 v[16:17], v[16:17], s[10:11]
	s_branch .LBB122_248
.LBB122_247:
	v_mov_b32_e32 v16, 0
	v_mov_b32_e32 v17, 0
.LBB122_248:
	s_delay_alu instid0(VALU_DEP_1) | instskip(SKIP_2) | instid1(VALU_DEP_1)
	v_cvt_f32_f64_e32 v16, v[16:17]
	v_max_f32_e32 v17, v56, v56
	v_lshlrev_b64 v[23:24], 3, v[6:7]
	v_add_co_u32 v23, vcc_lo, v20, v23
	s_delay_alu instid0(VALU_DEP_2) | instskip(NEXT) | instid1(VALU_DEP_4)
	v_add_co_ci_u32_e32 v24, vcc_lo, v21, v24, vcc_lo
	v_min_f32_e32 v16, v16, v17
	s_delay_alu instid0(VALU_DEP_1) | instskip(SKIP_3) | instid1(SALU_CYCLE_1)
	v_cvt_f64_f32_e32 v[16:17], v16
	global_store_b64 v[23:24], v[16:17], off
	s_or_b32 exec_lo, exec_lo, s16
	s_and_b32 s19, s4, s8
	s_and_saveexec_b32 s16, s19
	s_cbranch_execz .LBB122_230
.LBB122_249:
	v_cmp_ne_u32_e32 vcc_lo, 1, v18
	s_cbranch_vccnz .LBB122_251
; %bb.250:
	v_lshlrev_b64 v[16:17], 3, v[8:9]
	s_delay_alu instid0(VALU_DEP_1) | instskip(NEXT) | instid1(VALU_DEP_2)
	v_add_co_u32 v16, vcc_lo, v22, v16
	v_add_co_ci_u32_e32 v17, vcc_lo, v25, v17, vcc_lo
	flat_load_b64 v[16:17], v[16:17]
	s_waitcnt vmcnt(0) lgkmcnt(0)
	v_mul_f64 v[16:17], v[16:17], s[10:11]
	s_branch .LBB122_252
.LBB122_251:
	v_mov_b32_e32 v16, 0
	v_mov_b32_e32 v17, 0
.LBB122_252:
	s_delay_alu instid0(VALU_DEP_1) | instskip(SKIP_2) | instid1(VALU_DEP_1)
	v_cvt_f32_f64_e32 v16, v[16:17]
	v_max_f32_e32 v17, v57, v57
	v_lshlrev_b64 v[23:24], 3, v[8:9]
	v_add_co_u32 v23, vcc_lo, v20, v23
	s_delay_alu instid0(VALU_DEP_2) | instskip(NEXT) | instid1(VALU_DEP_4)
	v_add_co_ci_u32_e32 v24, vcc_lo, v21, v24, vcc_lo
	v_min_f32_e32 v16, v16, v17
	s_delay_alu instid0(VALU_DEP_1) | instskip(SKIP_3) | instid1(SALU_CYCLE_1)
	v_cvt_f64_f32_e32 v[16:17], v16
	global_store_b64 v[23:24], v[16:17], off
	s_or_b32 exec_lo, exec_lo, s16
	s_and_b32 s19, s5, s8
	s_and_saveexec_b32 s16, s19
	s_cbranch_execz .LBB122_231
.LBB122_253:
	v_cmp_ne_u32_e32 vcc_lo, 1, v18
	s_cbranch_vccnz .LBB122_255
; %bb.254:
	v_lshlrev_b64 v[16:17], 3, v[10:11]
	s_delay_alu instid0(VALU_DEP_1) | instskip(NEXT) | instid1(VALU_DEP_2)
	v_add_co_u32 v16, vcc_lo, v22, v16
	v_add_co_ci_u32_e32 v17, vcc_lo, v25, v17, vcc_lo
	flat_load_b64 v[16:17], v[16:17]
	s_waitcnt vmcnt(0) lgkmcnt(0)
	v_mul_f64 v[16:17], v[16:17], s[10:11]
	s_branch .LBB122_256
.LBB122_255:
	v_mov_b32_e32 v16, 0
	v_mov_b32_e32 v17, 0
.LBB122_256:
	s_delay_alu instid0(VALU_DEP_1) | instskip(SKIP_2) | instid1(VALU_DEP_1)
	v_cvt_f32_f64_e32 v16, v[16:17]
	v_max_f32_e32 v17, v119, v119
	v_lshlrev_b64 v[23:24], 3, v[10:11]
	v_add_co_u32 v23, vcc_lo, v20, v23
	s_delay_alu instid0(VALU_DEP_2) | instskip(NEXT) | instid1(VALU_DEP_4)
	v_add_co_ci_u32_e32 v24, vcc_lo, v21, v24, vcc_lo
	v_min_f32_e32 v16, v16, v17
	s_delay_alu instid0(VALU_DEP_1) | instskip(SKIP_3) | instid1(SALU_CYCLE_1)
	v_cvt_f64_f32_e32 v[16:17], v16
	global_store_b64 v[23:24], v[16:17], off
	s_or_b32 exec_lo, exec_lo, s16
	s_and_b32 s19, s6, s8
	s_and_saveexec_b32 s16, s19
	s_cbranch_execz .LBB122_232
.LBB122_257:
	v_cmp_ne_u32_e32 vcc_lo, 1, v18
	s_cbranch_vccnz .LBB122_259
; %bb.258:
	v_lshlrev_b64 v[16:17], 3, v[12:13]
	s_delay_alu instid0(VALU_DEP_1) | instskip(NEXT) | instid1(VALU_DEP_2)
	v_add_co_u32 v16, vcc_lo, v22, v16
	v_add_co_ci_u32_e32 v17, vcc_lo, v25, v17, vcc_lo
	flat_load_b64 v[16:17], v[16:17]
	s_waitcnt vmcnt(0) lgkmcnt(0)
	v_mul_f64 v[16:17], v[16:17], s[10:11]
	s_branch .LBB122_260
.LBB122_259:
	v_mov_b32_e32 v16, 0
	v_mov_b32_e32 v17, 0
.LBB122_260:
	s_delay_alu instid0(VALU_DEP_1) | instskip(SKIP_2) | instid1(VALU_DEP_1)
	v_cvt_f32_f64_e32 v16, v[16:17]
	v_max_f32_e32 v17, v55, v55
	v_lshlrev_b64 v[23:24], 3, v[12:13]
	v_add_co_u32 v23, vcc_lo, v20, v23
	s_delay_alu instid0(VALU_DEP_2) | instskip(NEXT) | instid1(VALU_DEP_4)
	v_add_co_ci_u32_e32 v24, vcc_lo, v21, v24, vcc_lo
	v_min_f32_e32 v16, v16, v17
	s_delay_alu instid0(VALU_DEP_1) | instskip(SKIP_3) | instid1(SALU_CYCLE_1)
	v_cvt_f64_f32_e32 v[16:17], v16
	global_store_b64 v[23:24], v[16:17], off
	s_or_b32 exec_lo, exec_lo, s16
	s_and_b32 s16, s7, s8
	s_and_saveexec_b32 s8, s16
	s_cbranch_execz .LBB122_265
.LBB122_261:
	v_cmp_ne_u32_e32 vcc_lo, 1, v18
	s_cbranch_vccnz .LBB122_263
; %bb.262:
	v_lshlrev_b64 v[16:17], 3, v[14:15]
	s_delay_alu instid0(VALU_DEP_1) | instskip(NEXT) | instid1(VALU_DEP_2)
	v_add_co_u32 v16, vcc_lo, v22, v16
	v_add_co_ci_u32_e32 v17, vcc_lo, v25, v17, vcc_lo
	flat_load_b64 v[16:17], v[16:17]
	s_waitcnt vmcnt(0) lgkmcnt(0)
	v_mul_f64 v[16:17], v[16:17], s[10:11]
	s_branch .LBB122_264
.LBB122_263:
	v_mov_b32_e32 v16, 0
	v_mov_b32_e32 v17, 0
.LBB122_264:
	s_delay_alu instid0(VALU_DEP_1) | instskip(SKIP_2) | instid1(VALU_DEP_1)
	v_cvt_f32_f64_e32 v16, v[16:17]
	v_max_f32_e32 v17, v117, v117
	v_lshlrev_b64 v[22:23], 3, v[14:15]
	v_add_co_u32 v20, vcc_lo, v20, v22
	s_delay_alu instid0(VALU_DEP_2) | instskip(NEXT) | instid1(VALU_DEP_4)
	v_add_co_ci_u32_e32 v21, vcc_lo, v21, v23, vcc_lo
	v_min_f32_e32 v16, v16, v17
	s_delay_alu instid0(VALU_DEP_1)
	v_cvt_f64_f32_e32 v[16:17], v16
	global_store_b64 v[20:21], v[16:17], off
.LBB122_265:
	s_or_b32 exec_lo, exec_lo, s8
	v_add_nc_u32_e32 v22, 0xa0, v19
	s_delay_alu instid0(VALU_DEP_1) | instskip(SKIP_2) | instid1(VALU_DEP_3)
	v_mad_i64_i32 v[16:17], null, v22, s18, 0
	v_mad_i64_i32 v[20:21], null, v22, s9, 0
	v_cmp_gt_i32_e64 s8, s17, v22
	v_lshlrev_b64 v[16:17], 3, v[16:17]
	s_delay_alu instid0(VALU_DEP_2) | instskip(NEXT) | instid1(VALU_DEP_3)
	s_and_b32 s19, s0, s8
	v_lshlrev_b64 v[20:21], 3, v[20:21]
	s_delay_alu instid0(VALU_DEP_2) | instskip(NEXT) | instid1(VALU_DEP_3)
	v_add_co_u32 v22, vcc_lo, s12, v16
	v_add_co_ci_u32_e32 v25, vcc_lo, s13, v17, vcc_lo
	s_delay_alu instid0(VALU_DEP_3) | instskip(NEXT) | instid1(VALU_DEP_4)
	v_add_co_u32 v20, vcc_lo, s14, v20
	v_add_co_ci_u32_e32 v21, vcc_lo, s15, v21, vcc_lo
	s_and_saveexec_b32 s16, s19
	s_cbranch_execnz .LBB122_273
; %bb.266:
	s_or_b32 exec_lo, exec_lo, s16
	s_and_b32 s19, s1, s8
	s_delay_alu instid0(SALU_CYCLE_1)
	s_and_saveexec_b32 s16, s19
	s_cbranch_execnz .LBB122_277
.LBB122_267:
	s_or_b32 exec_lo, exec_lo, s16
	s_and_b32 s19, s2, s8
	s_delay_alu instid0(SALU_CYCLE_1)
	s_and_saveexec_b32 s16, s19
	s_cbranch_execnz .LBB122_281
.LBB122_268:
	s_or_b32 exec_lo, exec_lo, s16
	s_and_b32 s19, s3, s8
	s_delay_alu instid0(SALU_CYCLE_1)
	s_and_saveexec_b32 s16, s19
	s_cbranch_execnz .LBB122_285
.LBB122_269:
	s_or_b32 exec_lo, exec_lo, s16
	s_and_b32 s19, s4, s8
	s_delay_alu instid0(SALU_CYCLE_1)
	s_and_saveexec_b32 s16, s19
	s_cbranch_execnz .LBB122_289
.LBB122_270:
	s_or_b32 exec_lo, exec_lo, s16
	s_and_b32 s19, s5, s8
	s_delay_alu instid0(SALU_CYCLE_1)
	s_and_saveexec_b32 s16, s19
	s_cbranch_execnz .LBB122_293
.LBB122_271:
	s_or_b32 exec_lo, exec_lo, s16
	s_and_b32 s19, s6, s8
	s_delay_alu instid0(SALU_CYCLE_1)
	s_and_saveexec_b32 s16, s19
	s_cbranch_execnz .LBB122_297
.LBB122_272:
	s_or_b32 exec_lo, exec_lo, s16
	s_and_b32 s16, s7, s8
	s_delay_alu instid0(SALU_CYCLE_1)
	s_and_saveexec_b32 s8, s16
	s_cbranch_execnz .LBB122_301
	s_branch .LBB122_305
.LBB122_273:
	v_cmp_ne_u32_e32 vcc_lo, 1, v18
	s_cbranch_vccnz .LBB122_275
; %bb.274:
	v_lshlrev_b64 v[16:17], 3, v[0:1]
	s_delay_alu instid0(VALU_DEP_1) | instskip(NEXT) | instid1(VALU_DEP_2)
	v_add_co_u32 v16, vcc_lo, v22, v16
	v_add_co_ci_u32_e32 v17, vcc_lo, v25, v17, vcc_lo
	flat_load_b64 v[16:17], v[16:17]
	s_waitcnt vmcnt(0) lgkmcnt(0)
	v_mul_f64 v[16:17], v[16:17], s[10:11]
	s_branch .LBB122_276
.LBB122_275:
	v_mov_b32_e32 v16, 0
	v_mov_b32_e32 v17, 0
.LBB122_276:
	s_delay_alu instid0(VALU_DEP_1) | instskip(SKIP_2) | instid1(VALU_DEP_1)
	v_cvt_f32_f64_e32 v16, v[16:17]
	v_max_f32_e32 v17, v116, v116
	v_lshlrev_b64 v[23:24], 3, v[0:1]
	v_add_co_u32 v23, vcc_lo, v20, v23
	s_delay_alu instid0(VALU_DEP_2) | instskip(NEXT) | instid1(VALU_DEP_4)
	v_add_co_ci_u32_e32 v24, vcc_lo, v21, v24, vcc_lo
	v_min_f32_e32 v16, v16, v17
	s_delay_alu instid0(VALU_DEP_1) | instskip(SKIP_3) | instid1(SALU_CYCLE_1)
	v_cvt_f64_f32_e32 v[16:17], v16
	global_store_b64 v[23:24], v[16:17], off
	s_or_b32 exec_lo, exec_lo, s16
	s_and_b32 s19, s1, s8
	s_and_saveexec_b32 s16, s19
	s_cbranch_execz .LBB122_267
.LBB122_277:
	v_cmp_ne_u32_e32 vcc_lo, 1, v18
	s_cbranch_vccnz .LBB122_279
; %bb.278:
	v_lshlrev_b64 v[16:17], 3, v[2:3]
	s_delay_alu instid0(VALU_DEP_1) | instskip(NEXT) | instid1(VALU_DEP_2)
	v_add_co_u32 v16, vcc_lo, v22, v16
	v_add_co_ci_u32_e32 v17, vcc_lo, v25, v17, vcc_lo
	flat_load_b64 v[16:17], v[16:17]
	s_waitcnt vmcnt(0) lgkmcnt(0)
	v_mul_f64 v[16:17], v[16:17], s[10:11]
	s_branch .LBB122_280
.LBB122_279:
	v_mov_b32_e32 v16, 0
	v_mov_b32_e32 v17, 0
.LBB122_280:
	s_delay_alu instid0(VALU_DEP_1) | instskip(SKIP_2) | instid1(VALU_DEP_1)
	v_cvt_f32_f64_e32 v16, v[16:17]
	v_max_f32_e32 v17, v53, v53
	v_lshlrev_b64 v[23:24], 3, v[2:3]
	v_add_co_u32 v23, vcc_lo, v20, v23
	s_delay_alu instid0(VALU_DEP_2) | instskip(NEXT) | instid1(VALU_DEP_4)
	v_add_co_ci_u32_e32 v24, vcc_lo, v21, v24, vcc_lo
	v_min_f32_e32 v16, v16, v17
	s_delay_alu instid0(VALU_DEP_1) | instskip(SKIP_3) | instid1(SALU_CYCLE_1)
	v_cvt_f64_f32_e32 v[16:17], v16
	global_store_b64 v[23:24], v[16:17], off
	s_or_b32 exec_lo, exec_lo, s16
	s_and_b32 s19, s2, s8
	s_and_saveexec_b32 s16, s19
	s_cbranch_execz .LBB122_268
.LBB122_281:
	v_cmp_ne_u32_e32 vcc_lo, 1, v18
	s_cbranch_vccnz .LBB122_283
; %bb.282:
	v_lshlrev_b64 v[16:17], 3, v[4:5]
	s_delay_alu instid0(VALU_DEP_1) | instskip(NEXT) | instid1(VALU_DEP_2)
	v_add_co_u32 v16, vcc_lo, v22, v16
	v_add_co_ci_u32_e32 v17, vcc_lo, v25, v17, vcc_lo
	flat_load_b64 v[16:17], v[16:17]
	s_waitcnt vmcnt(0) lgkmcnt(0)
	v_mul_f64 v[16:17], v[16:17], s[10:11]
	s_branch .LBB122_284
.LBB122_283:
	v_mov_b32_e32 v16, 0
	v_mov_b32_e32 v17, 0
.LBB122_284:
	s_delay_alu instid0(VALU_DEP_1) | instskip(SKIP_2) | instid1(VALU_DEP_1)
	v_cvt_f32_f64_e32 v16, v[16:17]
	v_max_f32_e32 v17, v114, v114
	v_lshlrev_b64 v[23:24], 3, v[4:5]
	v_add_co_u32 v23, vcc_lo, v20, v23
	s_delay_alu instid0(VALU_DEP_2) | instskip(NEXT) | instid1(VALU_DEP_4)
	v_add_co_ci_u32_e32 v24, vcc_lo, v21, v24, vcc_lo
	v_min_f32_e32 v16, v16, v17
	s_delay_alu instid0(VALU_DEP_1) | instskip(SKIP_3) | instid1(SALU_CYCLE_1)
	v_cvt_f64_f32_e32 v[16:17], v16
	global_store_b64 v[23:24], v[16:17], off
	s_or_b32 exec_lo, exec_lo, s16
	s_and_b32 s19, s3, s8
	s_and_saveexec_b32 s16, s19
	s_cbranch_execz .LBB122_269
.LBB122_285:
	v_cmp_ne_u32_e32 vcc_lo, 1, v18
	s_cbranch_vccnz .LBB122_287
; %bb.286:
	v_lshlrev_b64 v[16:17], 3, v[6:7]
	s_delay_alu instid0(VALU_DEP_1) | instskip(NEXT) | instid1(VALU_DEP_2)
	v_add_co_u32 v16, vcc_lo, v22, v16
	v_add_co_ci_u32_e32 v17, vcc_lo, v25, v17, vcc_lo
	flat_load_b64 v[16:17], v[16:17]
	s_waitcnt vmcnt(0) lgkmcnt(0)
	v_mul_f64 v[16:17], v[16:17], s[10:11]
	s_branch .LBB122_288
.LBB122_287:
	v_mov_b32_e32 v16, 0
	v_mov_b32_e32 v17, 0
.LBB122_288:
	s_delay_alu instid0(VALU_DEP_1) | instskip(SKIP_2) | instid1(VALU_DEP_1)
	v_cvt_f32_f64_e32 v16, v[16:17]
	v_max_f32_e32 v17, v113, v113
	v_lshlrev_b64 v[23:24], 3, v[6:7]
	v_add_co_u32 v23, vcc_lo, v20, v23
	s_delay_alu instid0(VALU_DEP_2) | instskip(NEXT) | instid1(VALU_DEP_4)
	v_add_co_ci_u32_e32 v24, vcc_lo, v21, v24, vcc_lo
	v_min_f32_e32 v16, v16, v17
	s_delay_alu instid0(VALU_DEP_1) | instskip(SKIP_3) | instid1(SALU_CYCLE_1)
	v_cvt_f64_f32_e32 v[16:17], v16
	global_store_b64 v[23:24], v[16:17], off
	s_or_b32 exec_lo, exec_lo, s16
	s_and_b32 s19, s4, s8
	s_and_saveexec_b32 s16, s19
	s_cbranch_execz .LBB122_270
.LBB122_289:
	v_cmp_ne_u32_e32 vcc_lo, 1, v18
	s_cbranch_vccnz .LBB122_291
; %bb.290:
	v_lshlrev_b64 v[16:17], 3, v[8:9]
	s_delay_alu instid0(VALU_DEP_1) | instskip(NEXT) | instid1(VALU_DEP_2)
	v_add_co_u32 v16, vcc_lo, v22, v16
	v_add_co_ci_u32_e32 v17, vcc_lo, v25, v17, vcc_lo
	flat_load_b64 v[16:17], v[16:17]
	s_waitcnt vmcnt(0) lgkmcnt(0)
	v_mul_f64 v[16:17], v[16:17], s[10:11]
	s_branch .LBB122_292
.LBB122_291:
	v_mov_b32_e32 v16, 0
	v_mov_b32_e32 v17, 0
.LBB122_292:
	s_delay_alu instid0(VALU_DEP_1) | instskip(SKIP_2) | instid1(VALU_DEP_1)
	v_cvt_f32_f64_e32 v16, v[16:17]
	v_max_f32_e32 v17, v184, v184
	v_lshlrev_b64 v[23:24], 3, v[8:9]
	v_add_co_u32 v23, vcc_lo, v20, v23
	s_delay_alu instid0(VALU_DEP_2) | instskip(NEXT) | instid1(VALU_DEP_4)
	v_add_co_ci_u32_e32 v24, vcc_lo, v21, v24, vcc_lo
	v_min_f32_e32 v16, v16, v17
	s_delay_alu instid0(VALU_DEP_1) | instskip(SKIP_3) | instid1(SALU_CYCLE_1)
	v_cvt_f64_f32_e32 v[16:17], v16
	global_store_b64 v[23:24], v[16:17], off
	s_or_b32 exec_lo, exec_lo, s16
	s_and_b32 s19, s5, s8
	s_and_saveexec_b32 s16, s19
	s_cbranch_execz .LBB122_271
.LBB122_293:
	v_cmp_ne_u32_e32 vcc_lo, 1, v18
	s_cbranch_vccnz .LBB122_295
; %bb.294:
	v_lshlrev_b64 v[16:17], 3, v[10:11]
	s_delay_alu instid0(VALU_DEP_1) | instskip(NEXT) | instid1(VALU_DEP_2)
	v_add_co_u32 v16, vcc_lo, v22, v16
	v_add_co_ci_u32_e32 v17, vcc_lo, v25, v17, vcc_lo
	flat_load_b64 v[16:17], v[16:17]
	s_waitcnt vmcnt(0) lgkmcnt(0)
	v_mul_f64 v[16:17], v[16:17], s[10:11]
	s_branch .LBB122_296
.LBB122_295:
	v_mov_b32_e32 v16, 0
	v_mov_b32_e32 v17, 0
.LBB122_296:
	s_delay_alu instid0(VALU_DEP_1) | instskip(SKIP_2) | instid1(VALU_DEP_1)
	v_cvt_f32_f64_e32 v16, v[16:17]
	v_max_f32_e32 v17, v49, v49
	v_lshlrev_b64 v[23:24], 3, v[10:11]
	v_add_co_u32 v23, vcc_lo, v20, v23
	s_delay_alu instid0(VALU_DEP_2) | instskip(NEXT) | instid1(VALU_DEP_4)
	v_add_co_ci_u32_e32 v24, vcc_lo, v21, v24, vcc_lo
	v_min_f32_e32 v16, v16, v17
	s_delay_alu instid0(VALU_DEP_1) | instskip(SKIP_3) | instid1(SALU_CYCLE_1)
	v_cvt_f64_f32_e32 v[16:17], v16
	global_store_b64 v[23:24], v[16:17], off
	s_or_b32 exec_lo, exec_lo, s16
	s_and_b32 s19, s6, s8
	s_and_saveexec_b32 s16, s19
	s_cbranch_execz .LBB122_272
.LBB122_297:
	v_cmp_ne_u32_e32 vcc_lo, 1, v18
	s_cbranch_vccnz .LBB122_299
; %bb.298:
	v_lshlrev_b64 v[16:17], 3, v[12:13]
	s_delay_alu instid0(VALU_DEP_1) | instskip(NEXT) | instid1(VALU_DEP_2)
	v_add_co_u32 v16, vcc_lo, v22, v16
	v_add_co_ci_u32_e32 v17, vcc_lo, v25, v17, vcc_lo
	flat_load_b64 v[16:17], v[16:17]
	s_waitcnt vmcnt(0) lgkmcnt(0)
	v_mul_f64 v[16:17], v[16:17], s[10:11]
	s_branch .LBB122_300
.LBB122_299:
	v_mov_b32_e32 v16, 0
	v_mov_b32_e32 v17, 0
.LBB122_300:
	s_delay_alu instid0(VALU_DEP_1) | instskip(SKIP_2) | instid1(VALU_DEP_1)
	v_cvt_f32_f64_e32 v16, v[16:17]
	v_max_f32_e32 v17, v202, v202
	v_lshlrev_b64 v[23:24], 3, v[12:13]
	v_add_co_u32 v23, vcc_lo, v20, v23
	s_delay_alu instid0(VALU_DEP_2) | instskip(NEXT) | instid1(VALU_DEP_4)
	v_add_co_ci_u32_e32 v24, vcc_lo, v21, v24, vcc_lo
	v_min_f32_e32 v16, v16, v17
	s_delay_alu instid0(VALU_DEP_1) | instskip(SKIP_3) | instid1(SALU_CYCLE_1)
	v_cvt_f64_f32_e32 v[16:17], v16
	global_store_b64 v[23:24], v[16:17], off
	s_or_b32 exec_lo, exec_lo, s16
	s_and_b32 s16, s7, s8
	s_and_saveexec_b32 s8, s16
	s_cbranch_execz .LBB122_305
.LBB122_301:
	v_cmp_ne_u32_e32 vcc_lo, 1, v18
	s_cbranch_vccnz .LBB122_303
; %bb.302:
	v_lshlrev_b64 v[16:17], 3, v[14:15]
	s_delay_alu instid0(VALU_DEP_1) | instskip(NEXT) | instid1(VALU_DEP_2)
	v_add_co_u32 v16, vcc_lo, v22, v16
	v_add_co_ci_u32_e32 v17, vcc_lo, v25, v17, vcc_lo
	flat_load_b64 v[16:17], v[16:17]
	s_waitcnt vmcnt(0) lgkmcnt(0)
	v_mul_f64 v[16:17], v[16:17], s[10:11]
	s_branch .LBB122_304
.LBB122_303:
	v_mov_b32_e32 v16, 0
	v_mov_b32_e32 v17, 0
.LBB122_304:
	s_delay_alu instid0(VALU_DEP_1) | instskip(SKIP_2) | instid1(VALU_DEP_1)
	v_cvt_f32_f64_e32 v16, v[16:17]
	v_max_f32_e32 v17, v139, v139
	v_lshlrev_b64 v[22:23], 3, v[14:15]
	v_add_co_u32 v20, vcc_lo, v20, v22
	s_delay_alu instid0(VALU_DEP_2) | instskip(NEXT) | instid1(VALU_DEP_4)
	v_add_co_ci_u32_e32 v21, vcc_lo, v21, v23, vcc_lo
	v_min_f32_e32 v16, v16, v17
	s_delay_alu instid0(VALU_DEP_1)
	v_cvt_f64_f32_e32 v[16:17], v16
	global_store_b64 v[20:21], v[16:17], off
.LBB122_305:
	s_or_b32 exec_lo, exec_lo, s8
	v_add_nc_u32_e32 v22, 0xc0, v19
	s_delay_alu instid0(VALU_DEP_1) | instskip(SKIP_2) | instid1(VALU_DEP_3)
	v_mad_i64_i32 v[16:17], null, v22, s18, 0
	v_mad_i64_i32 v[20:21], null, v22, s9, 0
	v_cmp_gt_i32_e64 s8, s17, v22
	v_lshlrev_b64 v[16:17], 3, v[16:17]
	s_delay_alu instid0(VALU_DEP_2) | instskip(NEXT) | instid1(VALU_DEP_3)
	s_and_b32 s19, s0, s8
	v_lshlrev_b64 v[20:21], 3, v[20:21]
	s_delay_alu instid0(VALU_DEP_2) | instskip(NEXT) | instid1(VALU_DEP_3)
	v_add_co_u32 v22, vcc_lo, s12, v16
	v_add_co_ci_u32_e32 v23, vcc_lo, s13, v17, vcc_lo
	s_delay_alu instid0(VALU_DEP_3) | instskip(NEXT) | instid1(VALU_DEP_4)
	v_add_co_u32 v20, vcc_lo, s14, v20
	v_add_co_ci_u32_e32 v21, vcc_lo, s15, v21, vcc_lo
	s_and_saveexec_b32 s16, s19
	s_cbranch_execnz .LBB122_313
; %bb.306:
	s_or_b32 exec_lo, exec_lo, s16
	s_and_b32 s19, s1, s8
	s_delay_alu instid0(SALU_CYCLE_1)
	s_and_saveexec_b32 s16, s19
	s_cbranch_execnz .LBB122_317
.LBB122_307:
	s_or_b32 exec_lo, exec_lo, s16
	s_and_b32 s19, s2, s8
	s_delay_alu instid0(SALU_CYCLE_1)
	s_and_saveexec_b32 s16, s19
	s_cbranch_execnz .LBB122_321
.LBB122_308:
	s_or_b32 exec_lo, exec_lo, s16
	s_and_b32 s19, s3, s8
	s_delay_alu instid0(SALU_CYCLE_1)
	s_and_saveexec_b32 s16, s19
	s_cbranch_execnz .LBB122_325
.LBB122_309:
	s_or_b32 exec_lo, exec_lo, s16
	s_and_b32 s19, s4, s8
	s_delay_alu instid0(SALU_CYCLE_1)
	s_and_saveexec_b32 s16, s19
	s_cbranch_execnz .LBB122_329
.LBB122_310:
	s_or_b32 exec_lo, exec_lo, s16
	s_and_b32 s19, s5, s8
	s_delay_alu instid0(SALU_CYCLE_1)
	s_and_saveexec_b32 s16, s19
	s_cbranch_execnz .LBB122_333
.LBB122_311:
	s_or_b32 exec_lo, exec_lo, s16
	s_and_b32 s19, s6, s8
	s_delay_alu instid0(SALU_CYCLE_1)
	s_and_saveexec_b32 s16, s19
	s_cbranch_execnz .LBB122_337
.LBB122_312:
	s_or_b32 exec_lo, exec_lo, s16
	s_and_b32 s16, s7, s8
	s_delay_alu instid0(SALU_CYCLE_1)
	s_and_saveexec_b32 s8, s16
	s_cbranch_execnz .LBB122_341
	s_branch .LBB122_345
.LBB122_313:
	v_cmp_ne_u32_e32 vcc_lo, 1, v18
	s_cbranch_vccnz .LBB122_315
; %bb.314:
	v_lshlrev_b64 v[16:17], 3, v[0:1]
	s_delay_alu instid0(VALU_DEP_1) | instskip(NEXT) | instid1(VALU_DEP_2)
	v_add_co_u32 v16, vcc_lo, v22, v16
	v_add_co_ci_u32_e32 v17, vcc_lo, v23, v17, vcc_lo
	flat_load_b64 v[16:17], v[16:17]
	s_waitcnt vmcnt(0) lgkmcnt(0)
	v_mul_f64 v[16:17], v[16:17], s[10:11]
	s_branch .LBB122_316
.LBB122_315:
	v_mov_b32_e32 v16, 0
	v_mov_b32_e32 v17, 0
.LBB122_316:
	s_delay_alu instid0(VALU_DEP_1) | instskip(SKIP_2) | instid1(VALU_DEP_1)
	v_cvt_f32_f64_e32 v16, v[16:17]
	v_max_f32_e32 v17, v62, v62
	v_lshlrev_b64 v[24:25], 3, v[0:1]
	v_add_co_u32 v24, vcc_lo, v20, v24
	s_delay_alu instid0(VALU_DEP_2) | instskip(NEXT) | instid1(VALU_DEP_4)
	v_add_co_ci_u32_e32 v25, vcc_lo, v21, v25, vcc_lo
	v_min_f32_e32 v16, v16, v17
	s_delay_alu instid0(VALU_DEP_1) | instskip(SKIP_3) | instid1(SALU_CYCLE_1)
	v_cvt_f64_f32_e32 v[16:17], v16
	global_store_b64 v[24:25], v[16:17], off
	s_or_b32 exec_lo, exec_lo, s16
	s_and_b32 s19, s1, s8
	s_and_saveexec_b32 s16, s19
	s_cbranch_execz .LBB122_307
.LBB122_317:
	v_cmp_ne_u32_e32 vcc_lo, 1, v18
	s_cbranch_vccnz .LBB122_319
; %bb.318:
	v_lshlrev_b64 v[16:17], 3, v[2:3]
	s_delay_alu instid0(VALU_DEP_1) | instskip(NEXT) | instid1(VALU_DEP_2)
	v_add_co_u32 v16, vcc_lo, v22, v16
	v_add_co_ci_u32_e32 v17, vcc_lo, v23, v17, vcc_lo
	flat_load_b64 v[16:17], v[16:17]
	s_waitcnt vmcnt(0) lgkmcnt(0)
	v_mul_f64 v[16:17], v[16:17], s[10:11]
	s_branch .LBB122_320
.LBB122_319:
	v_mov_b32_e32 v16, 0
	v_mov_b32_e32 v17, 0
.LBB122_320:
	s_delay_alu instid0(VALU_DEP_1) | instskip(SKIP_2) | instid1(VALU_DEP_1)
	v_cvt_f32_f64_e32 v16, v[16:17]
	v_max_f32_e32 v17, v255, v255
	v_lshlrev_b64 v[24:25], 3, v[2:3]
	v_add_co_u32 v24, vcc_lo, v20, v24
	s_delay_alu instid0(VALU_DEP_2) | instskip(NEXT) | instid1(VALU_DEP_4)
	v_add_co_ci_u32_e32 v25, vcc_lo, v21, v25, vcc_lo
	v_min_f32_e32 v16, v16, v17
	s_delay_alu instid0(VALU_DEP_1) | instskip(SKIP_3) | instid1(SALU_CYCLE_1)
	v_cvt_f64_f32_e32 v[16:17], v16
	global_store_b64 v[24:25], v[16:17], off
	s_or_b32 exec_lo, exec_lo, s16
	s_and_b32 s19, s2, s8
	s_and_saveexec_b32 s16, s19
	s_cbranch_execz .LBB122_308
.LBB122_321:
	v_cmp_ne_u32_e32 vcc_lo, 1, v18
	s_cbranch_vccnz .LBB122_323
; %bb.322:
	v_lshlrev_b64 v[16:17], 3, v[4:5]
	s_delay_alu instid0(VALU_DEP_1) | instskip(NEXT) | instid1(VALU_DEP_2)
	v_add_co_u32 v16, vcc_lo, v22, v16
	v_add_co_ci_u32_e32 v17, vcc_lo, v23, v17, vcc_lo
	flat_load_b64 v[16:17], v[16:17]
	s_waitcnt vmcnt(0) lgkmcnt(0)
	v_mul_f64 v[16:17], v[16:17], s[10:11]
	s_branch .LBB122_324
.LBB122_323:
	v_mov_b32_e32 v16, 0
	v_mov_b32_e32 v17, 0
.LBB122_324:
	s_delay_alu instid0(VALU_DEP_1) | instskip(SKIP_2) | instid1(VALU_DEP_1)
	v_cvt_f32_f64_e32 v16, v[16:17]
	v_max_f32_e32 v17, v185, v185
	v_lshlrev_b64 v[24:25], 3, v[4:5]
	v_add_co_u32 v24, vcc_lo, v20, v24
	s_delay_alu instid0(VALU_DEP_2) | instskip(NEXT) | instid1(VALU_DEP_4)
	v_add_co_ci_u32_e32 v25, vcc_lo, v21, v25, vcc_lo
	v_min_f32_e32 v16, v16, v17
	s_delay_alu instid0(VALU_DEP_1) | instskip(SKIP_3) | instid1(SALU_CYCLE_1)
	v_cvt_f64_f32_e32 v[16:17], v16
	global_store_b64 v[24:25], v[16:17], off
	s_or_b32 exec_lo, exec_lo, s16
	s_and_b32 s19, s3, s8
	s_and_saveexec_b32 s16, s19
	s_cbranch_execz .LBB122_309
.LBB122_325:
	v_cmp_ne_u32_e32 vcc_lo, 1, v18
	s_cbranch_vccnz .LBB122_327
; %bb.326:
	v_lshlrev_b64 v[16:17], 3, v[6:7]
	s_delay_alu instid0(VALU_DEP_1) | instskip(NEXT) | instid1(VALU_DEP_2)
	v_add_co_u32 v16, vcc_lo, v22, v16
	v_add_co_ci_u32_e32 v17, vcc_lo, v23, v17, vcc_lo
	flat_load_b64 v[16:17], v[16:17]
	s_waitcnt vmcnt(0) lgkmcnt(0)
	v_mul_f64 v[16:17], v[16:17], s[10:11]
	s_branch .LBB122_328
.LBB122_327:
	v_mov_b32_e32 v16, 0
	v_mov_b32_e32 v17, 0
.LBB122_328:
	s_delay_alu instid0(VALU_DEP_1) | instskip(SKIP_2) | instid1(VALU_DEP_1)
	v_cvt_f32_f64_e32 v16, v[16:17]
	v_max_f32_e32 v17, v136, v136
	v_lshlrev_b64 v[24:25], 3, v[6:7]
	v_add_co_u32 v24, vcc_lo, v20, v24
	s_delay_alu instid0(VALU_DEP_2) | instskip(NEXT) | instid1(VALU_DEP_4)
	v_add_co_ci_u32_e32 v25, vcc_lo, v21, v25, vcc_lo
	v_min_f32_e32 v16, v16, v17
	s_delay_alu instid0(VALU_DEP_1) | instskip(SKIP_3) | instid1(SALU_CYCLE_1)
	v_cvt_f64_f32_e32 v[16:17], v16
	global_store_b64 v[24:25], v[16:17], off
	s_or_b32 exec_lo, exec_lo, s16
	s_and_b32 s19, s4, s8
	s_and_saveexec_b32 s16, s19
	s_cbranch_execz .LBB122_310
.LBB122_329:
	v_cmp_ne_u32_e32 vcc_lo, 1, v18
	s_cbranch_vccnz .LBB122_331
; %bb.330:
	v_lshlrev_b64 v[16:17], 3, v[8:9]
	s_delay_alu instid0(VALU_DEP_1) | instskip(NEXT) | instid1(VALU_DEP_2)
	v_add_co_u32 v16, vcc_lo, v22, v16
	v_add_co_ci_u32_e32 v17, vcc_lo, v23, v17, vcc_lo
	flat_load_b64 v[16:17], v[16:17]
	s_waitcnt vmcnt(0) lgkmcnt(0)
	v_mul_f64 v[16:17], v[16:17], s[10:11]
	s_branch .LBB122_332
.LBB122_331:
	v_mov_b32_e32 v16, 0
	v_mov_b32_e32 v17, 0
.LBB122_332:
	s_delay_alu instid0(VALU_DEP_1) | instskip(SKIP_2) | instid1(VALU_DEP_1)
	v_cvt_f32_f64_e32 v16, v[16:17]
	scratch_load_b32 v17, off, off offset:4 ; 4-byte Folded Reload
	v_lshlrev_b64 v[24:25], 3, v[8:9]
	v_add_co_u32 v24, vcc_lo, v20, v24
	s_delay_alu instid0(VALU_DEP_2) | instskip(SKIP_2) | instid1(VALU_DEP_1)
	v_add_co_ci_u32_e32 v25, vcc_lo, v21, v25, vcc_lo
	s_waitcnt vmcnt(0)
	v_max_f32_e32 v17, v17, v17
	v_min_f32_e32 v16, v16, v17
	s_delay_alu instid0(VALU_DEP_1) | instskip(SKIP_3) | instid1(SALU_CYCLE_1)
	v_cvt_f64_f32_e32 v[16:17], v16
	global_store_b64 v[24:25], v[16:17], off
	s_or_b32 exec_lo, exec_lo, s16
	s_and_b32 s19, s5, s8
	s_and_saveexec_b32 s16, s19
	s_cbranch_execz .LBB122_311
.LBB122_333:
	v_cmp_ne_u32_e32 vcc_lo, 1, v18
	s_cbranch_vccnz .LBB122_335
; %bb.334:
	v_lshlrev_b64 v[16:17], 3, v[10:11]
	s_delay_alu instid0(VALU_DEP_1) | instskip(NEXT) | instid1(VALU_DEP_2)
	v_add_co_u32 v16, vcc_lo, v22, v16
	v_add_co_ci_u32_e32 v17, vcc_lo, v23, v17, vcc_lo
	flat_load_b64 v[16:17], v[16:17]
	s_waitcnt vmcnt(0) lgkmcnt(0)
	v_mul_f64 v[16:17], v[16:17], s[10:11]
	s_branch .LBB122_336
.LBB122_335:
	v_mov_b32_e32 v16, 0
	v_mov_b32_e32 v17, 0
.LBB122_336:
	s_delay_alu instid0(VALU_DEP_1) | instskip(SKIP_2) | instid1(VALU_DEP_1)
	v_cvt_f32_f64_e32 v16, v[16:17]
	v_max_f32_e32 v17, v197, v197
	v_lshlrev_b64 v[24:25], 3, v[10:11]
	v_add_co_u32 v24, vcc_lo, v20, v24
	s_delay_alu instid0(VALU_DEP_2) | instskip(NEXT) | instid1(VALU_DEP_4)
	v_add_co_ci_u32_e32 v25, vcc_lo, v21, v25, vcc_lo
	v_min_f32_e32 v16, v16, v17
	s_delay_alu instid0(VALU_DEP_1) | instskip(SKIP_3) | instid1(SALU_CYCLE_1)
	v_cvt_f64_f32_e32 v[16:17], v16
	global_store_b64 v[24:25], v[16:17], off
	s_or_b32 exec_lo, exec_lo, s16
	s_and_b32 s19, s6, s8
	s_and_saveexec_b32 s16, s19
	s_cbranch_execz .LBB122_312
.LBB122_337:
	v_cmp_ne_u32_e32 vcc_lo, 1, v18
	s_cbranch_vccnz .LBB122_339
; %bb.338:
	v_lshlrev_b64 v[16:17], 3, v[12:13]
	s_delay_alu instid0(VALU_DEP_1) | instskip(NEXT) | instid1(VALU_DEP_2)
	v_add_co_u32 v16, vcc_lo, v22, v16
	v_add_co_ci_u32_e32 v17, vcc_lo, v23, v17, vcc_lo
	flat_load_b64 v[16:17], v[16:17]
	s_waitcnt vmcnt(0) lgkmcnt(0)
	v_mul_f64 v[16:17], v[16:17], s[10:11]
	s_branch .LBB122_340
.LBB122_339:
	v_mov_b32_e32 v16, 0
	v_mov_b32_e32 v17, 0
.LBB122_340:
	s_delay_alu instid0(VALU_DEP_1) | instskip(SKIP_2) | instid1(VALU_DEP_1)
	v_cvt_f32_f64_e32 v16, v[16:17]
	v_max_f32_e32 v17, v135, v135
	v_lshlrev_b64 v[24:25], 3, v[12:13]
	v_add_co_u32 v24, vcc_lo, v20, v24
	s_delay_alu instid0(VALU_DEP_2) | instskip(NEXT) | instid1(VALU_DEP_4)
	v_add_co_ci_u32_e32 v25, vcc_lo, v21, v25, vcc_lo
	v_min_f32_e32 v16, v16, v17
	s_delay_alu instid0(VALU_DEP_1) | instskip(SKIP_3) | instid1(SALU_CYCLE_1)
	v_cvt_f64_f32_e32 v[16:17], v16
	global_store_b64 v[24:25], v[16:17], off
	s_or_b32 exec_lo, exec_lo, s16
	s_and_b32 s16, s7, s8
	s_and_saveexec_b32 s8, s16
	s_cbranch_execz .LBB122_345
.LBB122_341:
	v_cmp_ne_u32_e32 vcc_lo, 1, v18
	s_cbranch_vccnz .LBB122_343
; %bb.342:
	v_lshlrev_b64 v[16:17], 3, v[14:15]
	s_delay_alu instid0(VALU_DEP_1) | instskip(NEXT) | instid1(VALU_DEP_2)
	v_add_co_u32 v16, vcc_lo, v22, v16
	v_add_co_ci_u32_e32 v17, vcc_lo, v23, v17, vcc_lo
	flat_load_b64 v[16:17], v[16:17]
	s_waitcnt vmcnt(0) lgkmcnt(0)
	v_mul_f64 v[16:17], v[16:17], s[10:11]
	s_branch .LBB122_344
.LBB122_343:
	v_mov_b32_e32 v16, 0
	v_mov_b32_e32 v17, 0
.LBB122_344:
	s_delay_alu instid0(VALU_DEP_1) | instskip(SKIP_2) | instid1(VALU_DEP_1)
	v_cvt_f32_f64_e32 v16, v[16:17]
	v_max_f32_e32 v17, v134, v134
	v_lshlrev_b64 v[22:23], 3, v[14:15]
	v_add_co_u32 v20, vcc_lo, v20, v22
	s_delay_alu instid0(VALU_DEP_2) | instskip(NEXT) | instid1(VALU_DEP_4)
	v_add_co_ci_u32_e32 v21, vcc_lo, v21, v23, vcc_lo
	v_min_f32_e32 v16, v16, v17
	s_delay_alu instid0(VALU_DEP_1)
	v_cvt_f64_f32_e32 v[16:17], v16
	global_store_b64 v[20:21], v[16:17], off
.LBB122_345:
	s_or_b32 exec_lo, exec_lo, s8
	v_add_nc_u32_e32 v21, 0xe0, v19
	s_delay_alu instid0(VALU_DEP_1) | instskip(SKIP_2) | instid1(VALU_DEP_3)
	v_mad_i64_i32 v[16:17], null, v21, s18, 0
	v_mad_i64_i32 v[19:20], null, v21, s9, 0
	v_cmp_gt_i32_e64 s8, s17, v21
	v_lshlrev_b64 v[16:17], 3, v[16:17]
	s_delay_alu instid0(VALU_DEP_2) | instskip(NEXT) | instid1(VALU_DEP_3)
	s_and_b32 s9, s0, s8
	v_lshlrev_b64 v[21:22], 3, v[19:20]
	s_delay_alu instid0(VALU_DEP_2) | instskip(NEXT) | instid1(VALU_DEP_3)
	v_add_co_u32 v19, vcc_lo, s12, v16
	v_add_co_ci_u32_e32 v20, vcc_lo, s13, v17, vcc_lo
	s_delay_alu instid0(VALU_DEP_3) | instskip(NEXT) | instid1(VALU_DEP_4)
	v_add_co_u32 v16, vcc_lo, s14, v21
	v_add_co_ci_u32_e32 v17, vcc_lo, s15, v22, vcc_lo
	s_and_saveexec_b32 s0, s9
	s_cbranch_execnz .LBB122_354
; %bb.346:
	s_or_b32 exec_lo, exec_lo, s0
	s_and_b32 s1, s1, s8
	s_delay_alu instid0(SALU_CYCLE_1)
	s_and_saveexec_b32 s0, s1
	s_cbranch_execnz .LBB122_358
.LBB122_347:
	s_or_b32 exec_lo, exec_lo, s0
	s_and_b32 s1, s2, s8
	s_delay_alu instid0(SALU_CYCLE_1)
	s_and_saveexec_b32 s0, s1
	s_cbranch_execnz .LBB122_362
.LBB122_348:
	s_or_b32 exec_lo, exec_lo, s0
	s_and_b32 s1, s3, s8
	s_delay_alu instid0(SALU_CYCLE_1)
	s_and_saveexec_b32 s0, s1
	s_cbranch_execnz .LBB122_366
.LBB122_349:
	s_or_b32 exec_lo, exec_lo, s0
	s_and_b32 s1, s4, s8
	s_delay_alu instid0(SALU_CYCLE_1)
	s_and_saveexec_b32 s0, s1
	s_cbranch_execnz .LBB122_370
.LBB122_350:
	s_or_b32 exec_lo, exec_lo, s0
	s_and_b32 s1, s5, s8
	s_delay_alu instid0(SALU_CYCLE_1)
	s_and_saveexec_b32 s0, s1
	s_cbranch_execnz .LBB122_374
.LBB122_351:
	s_or_b32 exec_lo, exec_lo, s0
	s_and_b32 s1, s6, s8
	s_delay_alu instid0(SALU_CYCLE_1)
	s_and_saveexec_b32 s0, s1
	s_cbranch_execnz .LBB122_378
.LBB122_352:
	s_or_b32 exec_lo, exec_lo, s0
	s_and_b32 s0, s7, s8
	s_delay_alu instid0(SALU_CYCLE_1)
	s_and_saveexec_b32 s1, s0
	s_cbranch_execnz .LBB122_382
.LBB122_353:
	s_endpgm
.LBB122_354:
	v_cmp_ne_u32_e32 vcc_lo, 1, v18
	v_lshlrev_b64 v[0:1], 3, v[0:1]
	s_cbranch_vccnz .LBB122_356
; %bb.355:
	s_delay_alu instid0(VALU_DEP_1) | instskip(NEXT) | instid1(VALU_DEP_2)
	v_add_co_u32 v21, vcc_lo, v19, v0
	v_add_co_ci_u32_e32 v22, vcc_lo, v20, v1, vcc_lo
	flat_load_b64 v[21:22], v[21:22]
	s_waitcnt vmcnt(0) lgkmcnt(0)
	v_mul_f64 v[21:22], v[21:22], s[10:11]
	s_delay_alu instid0(VALU_DEP_1)
	v_cvt_f32_f64_e32 v21, v[21:22]
	s_branch .LBB122_357
.LBB122_356:
	v_mov_b32_e32 v21, 0
.LBB122_357:
	v_max_f32_e32 v22, v133, v133
	s_delay_alu instid0(VALU_DEP_2) | instskip(NEXT) | instid1(VALU_DEP_4)
	v_max_f32_e32 v21, v21, v21
	v_add_co_u32 v0, vcc_lo, v16, v0
	v_add_co_ci_u32_e32 v1, vcc_lo, v17, v1, vcc_lo
	s_delay_alu instid0(VALU_DEP_3) | instskip(NEXT) | instid1(VALU_DEP_1)
	v_min_f32_e32 v21, v21, v22
	v_cvt_f64_f32_e32 v[21:22], v21
	global_store_b64 v[0:1], v[21:22], off
	s_or_b32 exec_lo, exec_lo, s0
	s_and_b32 s1, s1, s8
	s_delay_alu instid0(SALU_CYCLE_1)
	s_and_saveexec_b32 s0, s1
	s_cbranch_execz .LBB122_347
.LBB122_358:
	v_cmp_ne_u32_e32 vcc_lo, 1, v18
	v_lshlrev_b64 v[0:1], 3, v[2:3]
	s_cbranch_vccnz .LBB122_360
; %bb.359:
	s_delay_alu instid0(VALU_DEP_1) | instskip(NEXT) | instid1(VALU_DEP_2)
	v_add_co_u32 v2, vcc_lo, v19, v0
	v_add_co_ci_u32_e32 v3, vcc_lo, v20, v1, vcc_lo
	flat_load_b64 v[2:3], v[2:3]
	s_waitcnt vmcnt(0) lgkmcnt(0)
	v_mul_f64 v[2:3], v[2:3], s[10:11]
	s_delay_alu instid0(VALU_DEP_1)
	v_cvt_f32_f64_e32 v2, v[2:3]
	s_branch .LBB122_361
.LBB122_360:
	v_mov_b32_e32 v2, 0
.LBB122_361:
	s_delay_alu instid0(VALU_DEP_1) | instskip(NEXT) | instid1(VALU_DEP_3)
	v_dual_max_f32 v3, v132, v132 :: v_dual_max_f32 v2, v2, v2
	v_add_co_u32 v0, vcc_lo, v16, v0
	s_delay_alu instid0(VALU_DEP_4) | instskip(NEXT) | instid1(VALU_DEP_3)
	v_add_co_ci_u32_e32 v1, vcc_lo, v17, v1, vcc_lo
	v_min_f32_e32 v2, v2, v3
	s_delay_alu instid0(VALU_DEP_1) | instskip(SKIP_3) | instid1(SALU_CYCLE_1)
	v_cvt_f64_f32_e32 v[2:3], v2
	global_store_b64 v[0:1], v[2:3], off
	s_or_b32 exec_lo, exec_lo, s0
	s_and_b32 s1, s2, s8
	s_and_saveexec_b32 s0, s1
	s_cbranch_execz .LBB122_348
.LBB122_362:
	v_cmp_ne_u32_e32 vcc_lo, 1, v18
	v_lshlrev_b64 v[0:1], 3, v[4:5]
	s_cbranch_vccnz .LBB122_364
; %bb.363:
	s_delay_alu instid0(VALU_DEP_1) | instskip(NEXT) | instid1(VALU_DEP_2)
	v_add_co_u32 v2, vcc_lo, v19, v0
	v_add_co_ci_u32_e32 v3, vcc_lo, v20, v1, vcc_lo
	flat_load_b64 v[2:3], v[2:3]
	s_waitcnt vmcnt(0) lgkmcnt(0)
	v_mul_f64 v[2:3], v[2:3], s[10:11]
	s_delay_alu instid0(VALU_DEP_1)
	v_cvt_f32_f64_e32 v2, v[2:3]
	s_branch .LBB122_365
.LBB122_364:
	v_mov_b32_e32 v2, 0
.LBB122_365:
	scratch_load_b32 v3, off, off           ; 4-byte Folded Reload
	v_add_co_u32 v0, vcc_lo, v16, v0
	v_add_co_ci_u32_e32 v1, vcc_lo, v17, v1, vcc_lo
	s_waitcnt vmcnt(0)
	v_dual_max_f32 v2, v2, v2 :: v_dual_max_f32 v3, v3, v3
	s_delay_alu instid0(VALU_DEP_1) | instskip(NEXT) | instid1(VALU_DEP_1)
	v_min_f32_e32 v2, v2, v3
	v_cvt_f64_f32_e32 v[2:3], v2
	global_store_b64 v[0:1], v[2:3], off
	s_or_b32 exec_lo, exec_lo, s0
	s_and_b32 s1, s3, s8
	s_delay_alu instid0(SALU_CYCLE_1)
	s_and_saveexec_b32 s0, s1
	s_cbranch_execz .LBB122_349
.LBB122_366:
	v_cmp_ne_u32_e32 vcc_lo, 1, v18
	v_lshlrev_b64 v[0:1], 3, v[6:7]
	s_cbranch_vccnz .LBB122_368
; %bb.367:
	s_delay_alu instid0(VALU_DEP_1) | instskip(NEXT) | instid1(VALU_DEP_2)
	v_add_co_u32 v2, vcc_lo, v19, v0
	v_add_co_ci_u32_e32 v3, vcc_lo, v20, v1, vcc_lo
	flat_load_b64 v[2:3], v[2:3]
	s_waitcnt vmcnt(0) lgkmcnt(0)
	v_mul_f64 v[2:3], v[2:3], s[10:11]
	s_delay_alu instid0(VALU_DEP_1)
	v_cvt_f32_f64_e32 v2, v[2:3]
	s_branch .LBB122_369
.LBB122_368:
	v_mov_b32_e32 v2, 0
.LBB122_369:
	v_max_f32_e32 v3, v130, v130
	s_delay_alu instid0(VALU_DEP_2) | instskip(NEXT) | instid1(VALU_DEP_4)
	v_max_f32_e32 v2, v2, v2
	v_add_co_u32 v0, vcc_lo, v16, v0
	v_add_co_ci_u32_e32 v1, vcc_lo, v17, v1, vcc_lo
	s_delay_alu instid0(VALU_DEP_3) | instskip(NEXT) | instid1(VALU_DEP_1)
	v_min_f32_e32 v2, v2, v3
	v_cvt_f64_f32_e32 v[2:3], v2
	global_store_b64 v[0:1], v[2:3], off
	s_or_b32 exec_lo, exec_lo, s0
	s_and_b32 s1, s4, s8
	s_delay_alu instid0(SALU_CYCLE_1)
	s_and_saveexec_b32 s0, s1
	s_cbranch_execz .LBB122_350
.LBB122_370:
	v_cmp_ne_u32_e32 vcc_lo, 1, v18
	v_lshlrev_b64 v[0:1], 3, v[8:9]
	s_cbranch_vccnz .LBB122_372
; %bb.371:
	s_delay_alu instid0(VALU_DEP_1) | instskip(NEXT) | instid1(VALU_DEP_2)
	v_add_co_u32 v2, vcc_lo, v19, v0
	v_add_co_ci_u32_e32 v3, vcc_lo, v20, v1, vcc_lo
	flat_load_b64 v[2:3], v[2:3]
	s_waitcnt vmcnt(0) lgkmcnt(0)
	v_mul_f64 v[2:3], v[2:3], s[10:11]
	s_delay_alu instid0(VALU_DEP_1)
	v_cvt_f32_f64_e32 v2, v[2:3]
	s_branch .LBB122_373
.LBB122_372:
	v_mov_b32_e32 v2, 0
.LBB122_373:
	s_delay_alu instid0(VALU_DEP_1) | instskip(NEXT) | instid1(VALU_DEP_3)
	v_dual_max_f32 v3, v128, v128 :: v_dual_max_f32 v2, v2, v2
	v_add_co_u32 v0, vcc_lo, v16, v0
	s_delay_alu instid0(VALU_DEP_4) | instskip(NEXT) | instid1(VALU_DEP_3)
	v_add_co_ci_u32_e32 v1, vcc_lo, v17, v1, vcc_lo
	v_min_f32_e32 v2, v2, v3
	s_delay_alu instid0(VALU_DEP_1) | instskip(SKIP_3) | instid1(SALU_CYCLE_1)
	v_cvt_f64_f32_e32 v[2:3], v2
	global_store_b64 v[0:1], v[2:3], off
	s_or_b32 exec_lo, exec_lo, s0
	s_and_b32 s1, s5, s8
	s_and_saveexec_b32 s0, s1
	s_cbranch_execz .LBB122_351
.LBB122_374:
	v_cmp_ne_u32_e32 vcc_lo, 1, v18
	v_lshlrev_b64 v[0:1], 3, v[10:11]
	s_cbranch_vccnz .LBB122_376
; %bb.375:
	s_delay_alu instid0(VALU_DEP_1) | instskip(NEXT) | instid1(VALU_DEP_2)
	v_add_co_u32 v2, vcc_lo, v19, v0
	v_add_co_ci_u32_e32 v3, vcc_lo, v20, v1, vcc_lo
	flat_load_b64 v[2:3], v[2:3]
	s_waitcnt vmcnt(0) lgkmcnt(0)
	v_mul_f64 v[2:3], v[2:3], s[10:11]
	s_delay_alu instid0(VALU_DEP_1)
	v_cvt_f32_f64_e32 v2, v[2:3]
	s_branch .LBB122_377
.LBB122_376:
	v_mov_b32_e32 v2, 0
.LBB122_377:
	v_max_f32_e32 v3, v126, v126
	s_delay_alu instid0(VALU_DEP_2) | instskip(NEXT) | instid1(VALU_DEP_4)
	v_max_f32_e32 v2, v2, v2
	v_add_co_u32 v0, vcc_lo, v16, v0
	v_add_co_ci_u32_e32 v1, vcc_lo, v17, v1, vcc_lo
	s_delay_alu instid0(VALU_DEP_3) | instskip(NEXT) | instid1(VALU_DEP_1)
	v_min_f32_e32 v2, v2, v3
	v_cvt_f64_f32_e32 v[2:3], v2
	global_store_b64 v[0:1], v[2:3], off
	s_or_b32 exec_lo, exec_lo, s0
	s_and_b32 s1, s6, s8
	s_delay_alu instid0(SALU_CYCLE_1)
	s_and_saveexec_b32 s0, s1
	s_cbranch_execz .LBB122_352
.LBB122_378:
	v_cmp_ne_u32_e32 vcc_lo, 1, v18
	v_lshlrev_b64 v[0:1], 3, v[12:13]
	s_cbranch_vccnz .LBB122_380
; %bb.379:
	s_delay_alu instid0(VALU_DEP_1) | instskip(NEXT) | instid1(VALU_DEP_2)
	v_add_co_u32 v2, vcc_lo, v19, v0
	v_add_co_ci_u32_e32 v3, vcc_lo, v20, v1, vcc_lo
	flat_load_b64 v[2:3], v[2:3]
	s_waitcnt vmcnt(0) lgkmcnt(0)
	v_mul_f64 v[2:3], v[2:3], s[10:11]
	s_delay_alu instid0(VALU_DEP_1)
	v_cvt_f32_f64_e32 v2, v[2:3]
	s_branch .LBB122_381
.LBB122_380:
	v_mov_b32_e32 v2, 0
.LBB122_381:
	s_delay_alu instid0(VALU_DEP_1) | instskip(NEXT) | instid1(VALU_DEP_3)
	v_dual_max_f32 v3, v124, v124 :: v_dual_max_f32 v2, v2, v2
	v_add_co_u32 v0, vcc_lo, v16, v0
	s_delay_alu instid0(VALU_DEP_4) | instskip(NEXT) | instid1(VALU_DEP_3)
	v_add_co_ci_u32_e32 v1, vcc_lo, v17, v1, vcc_lo
	v_min_f32_e32 v2, v2, v3
	s_delay_alu instid0(VALU_DEP_1) | instskip(SKIP_3) | instid1(SALU_CYCLE_1)
	v_cvt_f64_f32_e32 v[2:3], v2
	global_store_b64 v[0:1], v[2:3], off
	s_or_b32 exec_lo, exec_lo, s0
	s_and_b32 s0, s7, s8
	s_and_saveexec_b32 s1, s0
	s_cbranch_execz .LBB122_353
.LBB122_382:
	v_cmp_ne_u32_e32 vcc_lo, 1, v18
	v_lshlrev_b64 v[0:1], 3, v[14:15]
	s_cbranch_vccnz .LBB122_384
; %bb.383:
	s_delay_alu instid0(VALU_DEP_1) | instskip(NEXT) | instid1(VALU_DEP_2)
	v_add_co_u32 v2, vcc_lo, v19, v0
	v_add_co_ci_u32_e32 v3, vcc_lo, v20, v1, vcc_lo
	flat_load_b64 v[2:3], v[2:3]
	s_waitcnt vmcnt(0) lgkmcnt(0)
	v_mul_f64 v[2:3], v[2:3], s[10:11]
	s_delay_alu instid0(VALU_DEP_1)
	v_cvt_f32_f64_e32 v2, v[2:3]
	s_branch .LBB122_385
.LBB122_384:
	v_mov_b32_e32 v2, 0
.LBB122_385:
	v_max_f32_e32 v3, v122, v122
	s_delay_alu instid0(VALU_DEP_2) | instskip(NEXT) | instid1(VALU_DEP_4)
	v_max_f32_e32 v2, v2, v2
	v_add_co_u32 v0, vcc_lo, v16, v0
	v_add_co_ci_u32_e32 v1, vcc_lo, v17, v1, vcc_lo
	s_delay_alu instid0(VALU_DEP_3) | instskip(NEXT) | instid1(VALU_DEP_1)
	v_min_f32_e32 v2, v2, v3
	v_cvt_f64_f32_e32 v[2:3], v2
	global_store_b64 v[0:1], v[2:3], off
	s_endpgm
	.section	.rodata,"a",@progbits
	.p2align	6, 0x0
	.amdhsa_kernel _ZN12_GLOBAL__N_120geam_min_plus_kernelId15HIP_vector_typeIdLj2EEdLi8ELi32ELi64ELi256ELi4ELi64ELi4ELi64ELi4ELc78ELc84ELb0ELb1ELb1EdKPKdKPdEEviiiT16_PT17_ilSA_ilS8_SA_ilPT18_ili26rocblas_geam_ex_operation_
		.amdhsa_group_segment_fixed_size 20480
		.amdhsa_private_segment_fixed_size 396
		.amdhsa_kernarg_size 136
		.amdhsa_user_sgpr_count 14
		.amdhsa_user_sgpr_dispatch_ptr 0
		.amdhsa_user_sgpr_queue_ptr 0
		.amdhsa_user_sgpr_kernarg_segment_ptr 1
		.amdhsa_user_sgpr_dispatch_id 0
		.amdhsa_user_sgpr_private_segment_size 0
		.amdhsa_wavefront_size32 1
		.amdhsa_uses_dynamic_stack 0
		.amdhsa_enable_private_segment 1
		.amdhsa_system_sgpr_workgroup_id_x 1
		.amdhsa_system_sgpr_workgroup_id_y 0
		.amdhsa_system_sgpr_workgroup_id_z 1
		.amdhsa_system_sgpr_workgroup_info 0
		.amdhsa_system_vgpr_workitem_id 1
		.amdhsa_next_free_vgpr 256
		.amdhsa_next_free_sgpr 35
		.amdhsa_reserve_vcc 1
		.amdhsa_float_round_mode_32 0
		.amdhsa_float_round_mode_16_64 0
		.amdhsa_float_denorm_mode_32 3
		.amdhsa_float_denorm_mode_16_64 3
		.amdhsa_dx10_clamp 1
		.amdhsa_ieee_mode 1
		.amdhsa_fp16_overflow 0
		.amdhsa_workgroup_processor_mode 1
		.amdhsa_memory_ordered 1
		.amdhsa_forward_progress 0
		.amdhsa_shared_vgpr_count 0
		.amdhsa_exception_fp_ieee_invalid_op 0
		.amdhsa_exception_fp_denorm_src 0
		.amdhsa_exception_fp_ieee_div_zero 0
		.amdhsa_exception_fp_ieee_overflow 0
		.amdhsa_exception_fp_ieee_underflow 0
		.amdhsa_exception_fp_ieee_inexact 0
		.amdhsa_exception_int_div_zero 0
	.end_amdhsa_kernel
	.section	.text._ZN12_GLOBAL__N_120geam_min_plus_kernelId15HIP_vector_typeIdLj2EEdLi8ELi32ELi64ELi256ELi4ELi64ELi4ELi64ELi4ELc78ELc84ELb0ELb1ELb1EdKPKdKPdEEviiiT16_PT17_ilSA_ilS8_SA_ilPT18_ili26rocblas_geam_ex_operation_,"axG",@progbits,_ZN12_GLOBAL__N_120geam_min_plus_kernelId15HIP_vector_typeIdLj2EEdLi8ELi32ELi64ELi256ELi4ELi64ELi4ELi64ELi4ELc78ELc84ELb0ELb1ELb1EdKPKdKPdEEviiiT16_PT17_ilSA_ilS8_SA_ilPT18_ili26rocblas_geam_ex_operation_,comdat
.Lfunc_end122:
	.size	_ZN12_GLOBAL__N_120geam_min_plus_kernelId15HIP_vector_typeIdLj2EEdLi8ELi32ELi64ELi256ELi4ELi64ELi4ELi64ELi4ELc78ELc84ELb0ELb1ELb1EdKPKdKPdEEviiiT16_PT17_ilSA_ilS8_SA_ilPT18_ili26rocblas_geam_ex_operation_, .Lfunc_end122-_ZN12_GLOBAL__N_120geam_min_plus_kernelId15HIP_vector_typeIdLj2EEdLi8ELi32ELi64ELi256ELi4ELi64ELi4ELi64ELi4ELc78ELc84ELb0ELb1ELb1EdKPKdKPdEEviiiT16_PT17_ilSA_ilS8_SA_ilPT18_ili26rocblas_geam_ex_operation_
                                        ; -- End function
	.section	.AMDGPU.csdata,"",@progbits
; Kernel info:
; codeLenInByte = 27936
; NumSgprs: 37
; NumVgprs: 256
; ScratchSize: 396
; MemoryBound: 0
; FloatMode: 240
; IeeeMode: 1
; LDSByteSize: 20480 bytes/workgroup (compile time only)
; SGPRBlocks: 4
; VGPRBlocks: 31
; NumSGPRsForWavesPerEU: 37
; NumVGPRsForWavesPerEU: 256
; Occupancy: 5
; WaveLimiterHint : 1
; COMPUTE_PGM_RSRC2:SCRATCH_EN: 1
; COMPUTE_PGM_RSRC2:USER_SGPR: 14
; COMPUTE_PGM_RSRC2:TRAP_HANDLER: 0
; COMPUTE_PGM_RSRC2:TGID_X_EN: 1
; COMPUTE_PGM_RSRC2:TGID_Y_EN: 0
; COMPUTE_PGM_RSRC2:TGID_Z_EN: 1
; COMPUTE_PGM_RSRC2:TIDIG_COMP_CNT: 1
	.section	.text._ZN12_GLOBAL__N_120geam_min_plus_kernelId15HIP_vector_typeIdLj2EEdLi8ELi32ELi64ELi256ELi4ELi4ELi64ELi64ELi4ELc84ELc84ELb0ELb0ELb1EPKdKS4_KPdEEviiiT16_PT17_ilSA_ilS8_SA_ilPT18_ili26rocblas_geam_ex_operation_,"axG",@progbits,_ZN12_GLOBAL__N_120geam_min_plus_kernelId15HIP_vector_typeIdLj2EEdLi8ELi32ELi64ELi256ELi4ELi4ELi64ELi64ELi4ELc84ELc84ELb0ELb0ELb1EPKdKS4_KPdEEviiiT16_PT17_ilSA_ilS8_SA_ilPT18_ili26rocblas_geam_ex_operation_,comdat
	.globl	_ZN12_GLOBAL__N_120geam_min_plus_kernelId15HIP_vector_typeIdLj2EEdLi8ELi32ELi64ELi256ELi4ELi4ELi64ELi64ELi4ELc84ELc84ELb0ELb0ELb1EPKdKS4_KPdEEviiiT16_PT17_ilSA_ilS8_SA_ilPT18_ili26rocblas_geam_ex_operation_ ; -- Begin function _ZN12_GLOBAL__N_120geam_min_plus_kernelId15HIP_vector_typeIdLj2EEdLi8ELi32ELi64ELi256ELi4ELi4ELi64ELi64ELi4ELc84ELc84ELb0ELb0ELb1EPKdKS4_KPdEEviiiT16_PT17_ilSA_ilS8_SA_ilPT18_ili26rocblas_geam_ex_operation_
	.p2align	8
	.type	_ZN12_GLOBAL__N_120geam_min_plus_kernelId15HIP_vector_typeIdLj2EEdLi8ELi32ELi64ELi256ELi4ELi4ELi64ELi64ELi4ELc84ELc84ELb0ELb0ELb1EPKdKS4_KPdEEviiiT16_PT17_ilSA_ilS8_SA_ilPT18_ili26rocblas_geam_ex_operation_,@function
_ZN12_GLOBAL__N_120geam_min_plus_kernelId15HIP_vector_typeIdLj2EEdLi8ELi32ELi64ELi256ELi4ELi4ELi64ELi64ELi4ELc84ELc84ELb0ELb0ELb1EPKdKS4_KPdEEviiiT16_PT17_ilSA_ilS8_SA_ilPT18_ili26rocblas_geam_ex_operation_: ; @_ZN12_GLOBAL__N_120geam_min_plus_kernelId15HIP_vector_typeIdLj2EEdLi8ELi32ELi64ELi256ELi4ELi4ELi64ELi64ELi4ELc84ELc84ELb0ELb0ELb1EPKdKS4_KPdEEviiiT16_PT17_ilSA_ilS8_SA_ilPT18_ili26rocblas_geam_ex_operation_
; %bb.0:
	s_clause 0x1
	s_load_b128 s[16:19], s[0:1], 0x10
	s_load_b128 s[4:7], s[0:1], 0x28
	s_mov_b32 s2, s15
	s_mov_b32 s3, 0
	s_delay_alu instid0(SALU_CYCLE_1)
	s_lshl_b64 s[22:23], s[2:3], 3
	s_waitcnt lgkmcnt(0)
	s_add_u32 s2, s16, s22
	s_addc_u32 s3, s17, s23
	s_mov_b64 s[16:17], 0
	s_load_b64 s[12:13], s[2:3], 0x0
	s_clause 0x1
	s_load_b128 s[8:11], s[0:1], 0x40
	s_load_b64 s[24:25], s[0:1], 0x50
	s_waitcnt lgkmcnt(0)
	s_add_u32 s2, s10, s22
	v_cmp_eq_f64_e64 s20, s[12:13], 0
	v_cmp_neq_f64_e64 s15, s[12:13], 0
	s_addc_u32 s3, s11, s23
	s_delay_alu instid0(VALU_DEP_2)
	s_and_b32 vcc_lo, exec_lo, s20
	s_mov_b64 s[20:21], 0
	s_cbranch_vccnz .LBB123_2
; %bb.1:
	s_add_u32 s10, s18, s22
	s_addc_u32 s11, s19, s23
	s_lshl_b64 s[4:5], s[4:5], 3
	s_load_b64 s[10:11], s[10:11], 0x0
	s_waitcnt lgkmcnt(0)
	s_add_u32 s20, s10, s4
	s_addc_u32 s21, s11, s5
.LBB123_2:
	s_load_b64 s[10:11], s[2:3], 0x0
	s_delay_alu instid0(VALU_DEP_1) | instskip(SKIP_1) | instid1(VALU_DEP_1)
	v_cndmask_b32_e64 v1, 0, 1, s15
	s_and_not1_b32 vcc_lo, exec_lo, s15
	v_cmp_ne_u32_e64 s3, 1, v1
	s_cbranch_vccnz .LBB123_4
; %bb.3:
	s_add_u32 s4, s6, s22
	s_addc_u32 s5, s7, s23
	s_lshl_b64 s[6:7], s[8:9], 3
	s_load_b64 s[4:5], s[4:5], 0x0
	s_waitcnt lgkmcnt(0)
	s_add_u32 s16, s4, s6
	s_addc_u32 s17, s5, s7
.LBB123_4:
	s_waitcnt lgkmcnt(0)
	v_cmp_eq_f64_e64 s2, s[10:11], 0
	s_load_b128 s[4:7], s[0:1], 0x60
	s_mov_b64 s[8:9], 0
	s_delay_alu instid0(VALU_DEP_1) | instskip(NEXT) | instid1(SALU_CYCLE_1)
	s_and_b32 s2, exec_lo, s2
	s_mov_b32 vcc_lo, s2
	s_cbranch_vccnz .LBB123_6
; %bb.5:
	s_add_u32 s8, s24, s22
	s_addc_u32 s9, s25, s23
	s_waitcnt lgkmcnt(0)
	s_lshl_b64 s[4:5], s[4:5], 3
	s_load_b64 s[8:9], s[8:9], 0x0
	s_waitcnt lgkmcnt(0)
	s_add_u32 s8, s8, s4
	s_addc_u32 s9, s9, s5
.LBB123_6:
	s_clause 0x1
	s_load_b32 s15, s[0:1], 0x0
	s_load_b32 s19, s[0:1], 0x20
	s_waitcnt lgkmcnt(0)
	s_add_u32 s4, s6, s22
	s_addc_u32 s5, s7, s23
	v_bfe_u32 v23, v0, 10, 10
	s_load_b64 s[4:5], s[4:5], 0x0
	s_add_i32 s6, s15, -1
	s_delay_alu instid0(SALU_CYCLE_1) | instskip(NEXT) | instid1(SALU_CYCLE_1)
	s_ashr_i32 s7, s6, 31
	s_lshr_b32 s7, s7, 26
	s_delay_alu instid0(SALU_CYCLE_1) | instskip(NEXT) | instid1(SALU_CYCLE_1)
	s_add_i32 s6, s6, s7
	s_ashr_i32 s6, s6, 6
	s_delay_alu instid0(SALU_CYCLE_1) | instskip(SKIP_2) | instid1(VALU_DEP_1)
	s_add_i32 s15, s6, 1
	s_not_b32 s6, s6
	v_cvt_f32_u32_e32 v1, s15
	v_rcp_iflag_f32_e32 v1, v1
	s_waitcnt_depctr 0xfff
	v_mul_f32_e32 v1, 0x4f7ffffe, v1
	s_delay_alu instid0(VALU_DEP_1) | instskip(NEXT) | instid1(VALU_DEP_1)
	v_cvt_u32_f32_e32 v1, v1
	v_readfirstlane_b32 s7, v1
	v_and_b32_e32 v1, 0x3ff, v0
	s_delay_alu instid0(VALU_DEP_2) | instskip(NEXT) | instid1(VALU_DEP_1)
	s_mul_i32 s6, s6, s7
	v_lshl_add_u32 v2, v23, 3, v1
	s_mul_hi_u32 s6, s7, s6
	v_and_b32_e32 v0, 3, v1
	s_add_i32 s7, s7, s6
	v_mov_b32_e32 v90, v1
	s_mul_hi_u32 s6, s14, s7
	v_lshrrev_b32_e32 v24, 2, v2
	v_lshlrev_b32_e32 v25, 3, v0
	s_mul_i32 s7, s6, s15
	s_add_i32 s18, s6, 1
	s_sub_i32 s7, s14, s7
	scratch_store_b32 off, v0, off offset:352 ; 4-byte Folded Spill
	s_sub_i32 s22, s7, s15
	s_cmp_ge_u32 s7, s15
	s_cselect_b32 s6, s18, s6
	s_cselect_b32 s7, s22, s7
	s_add_i32 s18, s6, 1
	s_cmp_ge_u32 s7, s15
	s_cselect_b32 s7, s18, s6
	s_and_b32 vcc_lo, exec_lo, s3
	s_mul_i32 s6, s7, s15
	s_delay_alu instid0(SALU_CYCLE_1) | instskip(NEXT) | instid1(SALU_CYCLE_1)
	s_sub_i32 s6, s14, s6
	s_lshl_b32 s6, s6, 6
	s_delay_alu instid0(SALU_CYCLE_1)
	v_add_nc_u32_e32 v214, s6, v24
	s_cbranch_vccnz .LBB123_8
; %bb.7:
	s_delay_alu instid0(VALU_DEP_1) | instskip(NEXT) | instid1(VALU_DEP_1)
	v_mad_i64_i32 v[0:1], null, v214, s19, 0
	v_lshlrev_b64 v[0:1], 3, v[0:1]
	s_delay_alu instid0(VALU_DEP_1) | instskip(NEXT) | instid1(VALU_DEP_2)
	v_add_co_u32 v0, vcc_lo, s20, v0
	v_add_co_ci_u32_e32 v1, vcc_lo, s21, v1, vcc_lo
	s_delay_alu instid0(VALU_DEP_2) | instskip(NEXT) | instid1(VALU_DEP_2)
	v_add_co_u32 v0, vcc_lo, v0, v25
	v_add_co_ci_u32_e32 v1, vcc_lo, 0, v1, vcc_lo
	flat_load_b64 v[0:1], v[0:1]
	s_waitcnt vmcnt(0) lgkmcnt(0)
	v_mul_f64 v[0:1], s[12:13], v[0:1]
	s_branch .LBB123_9
.LBB123_8:
	v_mov_b32_e32 v0, 0
	v_mov_b32_e32 v1, 0
.LBB123_9:
	s_load_b32 s14, s[0:1], 0x38
	v_lshrrev_b32_e32 v5, 6, v2
	v_and_b32_e32 v77, 63, v2
	s_lshl_b32 s7, s7, 8
	scratch_store_b32 off, v5, off offset:356 ; 4-byte Folded Spill
	v_or_b32_e32 v215, s7, v77
	s_delay_alu instid0(VALU_DEP_1) | instskip(SKIP_3) | instid1(VALU_DEP_1)
	v_ashrrev_i32_e32 v216, 31, v215
	s_waitcnt lgkmcnt(0)
	v_mad_i64_i32 v[3:4], null, s14, v5, 0
	s_ashr_i32 s15, s14, 31
	v_lshlrev_b64 v[2:3], 3, v[3:4]
	s_delay_alu instid0(VALU_DEP_1) | instskip(NEXT) | instid1(VALU_DEP_2)
	v_add_co_u32 v6, vcc_lo, s16, v2
	v_add_co_ci_u32_e32 v7, vcc_lo, s17, v3, vcc_lo
	s_and_b32 vcc_lo, exec_lo, s3
	s_cbranch_vccnz .LBB123_13
; %bb.10:
	v_lshlrev_b64 v[2:3], 3, v[215:216]
	s_delay_alu instid0(VALU_DEP_1) | instskip(NEXT) | instid1(VALU_DEP_2)
	v_add_co_u32 v2, vcc_lo, v6, v2
	v_add_co_ci_u32_e32 v3, vcc_lo, v7, v3, vcc_lo
	s_clause 0x1
	flat_load_b64 v[8:9], v[2:3]
	flat_load_b64 v[10:11], v[2:3] offset:512
	s_waitcnt vmcnt(1) lgkmcnt(1)
	v_mul_f64 v[2:3], s[12:13], v[8:9]
	s_waitcnt vmcnt(0) lgkmcnt(0)
	v_mul_f64 v[16:17], s[12:13], v[10:11]
	s_and_b32 vcc_lo, exec_lo, s3
	s_cbranch_vccnz .LBB123_14
.LBB123_11:
	v_lshlrev_b64 v[8:9], 3, v[215:216]
	s_delay_alu instid0(VALU_DEP_1) | instskip(NEXT) | instid1(VALU_DEP_2)
	v_add_co_u32 v6, vcc_lo, v6, v8
	v_add_co_ci_u32_e32 v7, vcc_lo, v7, v9, vcc_lo
	s_clause 0x1
	flat_load_b64 v[8:9], v[6:7] offset:1024
	flat_load_b64 v[6:7], v[6:7] offset:1536
	s_waitcnt vmcnt(1) lgkmcnt(1)
	v_mul_f64 v[18:19], s[12:13], v[8:9]
	s_waitcnt vmcnt(0) lgkmcnt(0)
	v_mul_f64 v[20:21], s[12:13], v[6:7]
	s_and_b32 vcc_lo, exec_lo, s3
	s_cbranch_vccnz .LBB123_15
.LBB123_12:
	v_mad_i64_i32 v[6:7], null, v214, s19, 0
	s_delay_alu instid0(VALU_DEP_1) | instskip(NEXT) | instid1(VALU_DEP_1)
	v_lshlrev_b64 v[6:7], 3, v[6:7]
	v_add_co_u32 v4, vcc_lo, s20, v6
	s_delay_alu instid0(VALU_DEP_2) | instskip(NEXT) | instid1(VALU_DEP_2)
	v_add_co_ci_u32_e32 v5, vcc_lo, s21, v7, vcc_lo
	v_add_co_u32 v6, vcc_lo, v4, v25
	s_delay_alu instid0(VALU_DEP_2)
	v_add_co_ci_u32_e32 v7, vcc_lo, 0, v5, vcc_lo
	flat_load_b64 v[6:7], v[6:7] offset:32
	s_waitcnt vmcnt(0) lgkmcnt(0)
	v_mul_f64 v[217:218], s[12:13], v[6:7]
	s_branch .LBB123_16
.LBB123_13:
	v_mov_b32_e32 v2, 0
	v_dual_mov_b32 v3, 0 :: v_dual_mov_b32 v16, 0
	v_mov_b32_e32 v17, 0
	s_and_b32 vcc_lo, exec_lo, s3
	s_cbranch_vccz .LBB123_11
.LBB123_14:
	v_mov_b32_e32 v18, 0
	v_dual_mov_b32 v19, 0 :: v_dual_mov_b32 v20, 0
	v_mov_b32_e32 v21, 0
	s_and_b32 vcc_lo, exec_lo, s3
	s_cbranch_vccz .LBB123_12
.LBB123_15:
	v_mov_b32_e32 v217, 0
	v_mov_b32_e32 v218, 0
.LBB123_16:
	scratch_load_b32 v4, off, off offset:356 ; 4-byte Folded Reload
	s_waitcnt vmcnt(0)
	v_add_nc_u32_e32 v4, 4, v4
	s_delay_alu instid0(VALU_DEP_1) | instskip(SKIP_2) | instid1(VALU_DEP_1)
	v_mad_i64_i32 v[8:9], null, s14, v4, 0
	scratch_store_b32 off, v4, off offset:360 ; 4-byte Folded Spill
	v_lshlrev_b64 v[8:9], 3, v[8:9]
	v_add_co_u32 v12, vcc_lo, s16, v8
	s_delay_alu instid0(VALU_DEP_2)
	v_add_co_ci_u32_e32 v13, vcc_lo, s17, v9, vcc_lo
	s_and_b32 vcc_lo, exec_lo, s3
	s_cbranch_vccnz .LBB123_19
; %bb.17:
	v_lshlrev_b64 v[8:9], 3, v[215:216]
	s_delay_alu instid0(VALU_DEP_1) | instskip(NEXT) | instid1(VALU_DEP_2)
	v_add_co_u32 v8, vcc_lo, v12, v8
	v_add_co_ci_u32_e32 v9, vcc_lo, v13, v9, vcc_lo
	s_clause 0x1
	flat_load_b64 v[10:11], v[8:9]
	flat_load_b64 v[14:15], v[8:9] offset:512
	s_waitcnt vmcnt(1) lgkmcnt(1)
	v_mul_f64 v[219:220], s[12:13], v[10:11]
	s_waitcnt vmcnt(0) lgkmcnt(0)
	v_mul_f64 v[4:5], s[12:13], v[14:15]
	s_and_b32 vcc_lo, exec_lo, s3
	scratch_store_b64 off, v[4:5], off offset:328 ; 8-byte Folded Spill
	s_cbranch_vccnz .LBB123_20
.LBB123_18:
	v_lshlrev_b64 v[14:15], 3, v[215:216]
	s_delay_alu instid0(VALU_DEP_1) | instskip(NEXT) | instid1(VALU_DEP_2)
	v_add_co_u32 v12, vcc_lo, v12, v14
	v_add_co_ci_u32_e32 v13, vcc_lo, v13, v15, vcc_lo
	s_clause 0x1
	flat_load_b64 v[14:15], v[12:13] offset:1024
	flat_load_b64 v[26:27], v[12:13] offset:1536
	s_waitcnt vmcnt(1) lgkmcnt(1)
	v_mul_f64 v[4:5], s[12:13], v[14:15]
	scratch_store_b64 off, v[4:5], off offset:336 ; 8-byte Folded Spill
	s_waitcnt vmcnt(0) lgkmcnt(0)
	v_mul_f64 v[4:5], s[12:13], v[26:27]
	s_branch .LBB123_21
.LBB123_19:
	v_dual_mov_b32 v219, 0 :: v_dual_mov_b32 v4, 0
	v_dual_mov_b32 v220, 0 :: v_dual_mov_b32 v5, 0
	s_and_b32 vcc_lo, exec_lo, s3
	scratch_store_b64 off, v[4:5], off offset:328 ; 8-byte Folded Spill
	s_cbranch_vccz .LBB123_18
.LBB123_20:
	v_mov_b32_e32 v4, 0
	v_mov_b32_e32 v5, 0
	scratch_store_b64 off, v[4:5], off offset:336 ; 8-byte Folded Spill
	v_mov_b32_e32 v4, 0
	v_mov_b32_e32 v5, 0
.LBB123_21:
	scratch_store_b64 off, v[4:5], off offset:344 ; 8-byte Folded Spill
	scratch_load_b32 v4, off, off offset:356 ; 4-byte Folded Reload
	v_lshl_or_b32 v22, v24, 5, v25
	v_dual_mov_b32 v120, 0x7f800000 :: v_dual_mov_b32 v125, 0x7f800000
	v_dual_mov_b32 v122, 0x7f800000 :: v_dual_mov_b32 v127, 0x7f800000
	v_dual_mov_b32 v244, 0x7f800000 :: v_dual_mov_b32 v195, 0x7f800000
	v_dual_mov_b32 v124, 0x7f800000 :: v_dual_mov_b32 v199, 0x7f800000
	v_dual_mov_b32 v126, 0x7f800000 :: v_dual_mov_b32 v203, 0x7f800000
	v_dual_mov_b32 v130, 0x7f800000 :: v_dual_mov_b32 v223, 0x7f800000
	v_dual_mov_b32 v200, 0x7f800000 :: v_dual_mov_b32 v213, 0x7f800000
	v_dual_mov_b32 v204, 0x7f800000 :: v_dual_mov_b32 v137, 0x7f800000
	v_dual_mov_b32 v226, 0x7f800000 :: v_dual_mov_b32 v211, 0x7f800000
	v_dual_mov_b32 v224, 0x7f800000 :: v_dual_mov_b32 v191, 0x7f800000
	v_dual_mov_b32 v246, 0x7f800000 :: v_dual_mov_b32 v193, 0x7f800000
	v_dual_mov_b32 v144, 0x7f800000 :: v_dual_mov_b32 v197, 0x7f800000
	v_dual_mov_b32 v236, 0x7f800000 :: v_dual_mov_b32 v239, 0x7f800000
	v_dual_mov_b32 v240, 0x7f800000 :: v_dual_mov_b32 v103, 0x7f800000
	v_dual_mov_b32 v212, 0x7f800000 :: v_dual_mov_b32 v235, 0x7f800000
	v_dual_mov_b32 v128, 0x7f800000 :: v_dual_mov_b32 v205, 0x7f800000
	v_dual_mov_b32 v192, 0x7f800000 :: v_dual_mov_b32 v207, 0x7f800000
	v_dual_mov_b32 v194, 0x7f800000 :: v_dual_mov_b32 v121, 0x7f800000
	v_dual_mov_b32 v138, 0x7f800000 :: v_dual_mov_b32 v123, 0x7f800000
	v_dual_mov_b32 v102, 0x7f800000 :: v_dual_mov_b32 v255, 0x7f800000
	v_dual_mov_b32 v202, 0x7f800000 :: v_dual_mov_b32 v133, 0x7f800000
	v_dual_mov_b32 v206, 0x7f800000 :: v_dual_mov_b32 v135, 0x7f800000
	v_dual_mov_b32 v208, 0x7f800000 :: v_dual_mov_b32 v139, 0x7f800000
	v_dual_mov_b32 v132, 0x7f800000 :: v_dual_mov_b32 v141, 0x7f800000
	v_dual_mov_b32 v196, 0x7f800000 :: v_dual_mov_b32 v143, 0x7f800000
	v_mov_b32_e32 v28, 0x7f800000
	v_mov_b32_e32 v134, 0x7f800000
	;; [unrolled: 1-line block ×5, first 2 shown]
	s_mov_b32 s22, 0
	s_mov_b32 s18, -1
	v_mov_b32_e32 v5, 0x7f800000
	v_mov_b32_e32 v131, 0x7f800000
	;; [unrolled: 1-line block ×5, first 2 shown]
	scratch_store_b32 off, v5, off          ; 4-byte Folded Spill
	v_add_nc_u32_e32 v5, 0x4000, v22
	scratch_store_b32 off, v5, off offset:368 ; 4-byte Folded Spill
	s_waitcnt vmcnt(0)
	v_lshlrev_b32_e32 v4, 3, v4
	s_delay_alu instid0(VALU_DEP_1)
	v_lshl_add_u32 v4, v77, 5, v4
	ds_store_b64 v22, v[0:1] offset:16384
	ds_store_2addr_stride64_b64 v4, v[2:3], v[16:17] offset1:4
	v_mov_b32_e32 v0, 0x7f800000
	scratch_store_b32 off, v4, off offset:364 ; 4-byte Folded Spill
	ds_store_2addr_stride64_b64 v4, v[18:19], v[20:21] offset0:8 offset1:12
	s_waitcnt lgkmcnt(0)
	s_waitcnt_vscnt null, 0x0
	scratch_store_b32 off, v0, off offset:4 ; 4-byte Folded Spill
	v_mov_b32_e32 v0, 0x7f800000
	scratch_store_b32 off, v0, off offset:12 ; 4-byte Folded Spill
	v_mov_b32_e32 v0, 0x7f800000
	;; [unrolled: 2-line block ×3, first 2 shown]
	scratch_store_b32 off, v0, off offset:16 ; 4-byte Folded Spill
	s_waitcnt_vscnt null, 0x0
	s_barrier
	buffer_gl0_inv
	s_clause 0x1
	scratch_store_b32 off, v90, off offset:292
	scratch_store_b32 off, v23, off offset:288
.LBB123_22:                             ; =>This Inner Loop Header: Depth=1
	s_lshl_b32 s22, s22, 3
	v_dual_mov_b32 v129, v103 :: v_dual_mov_b32 v198, v102
	v_lshl_add_u32 v4, v23, 5, s22
	v_lshl_add_u32 v5, v90, 5, s22
	v_dual_mov_b32 v209, v225 :: v_dual_mov_b32 v210, v226
	ds_load_b128 v[16:19], v4
	ds_load_b128 v[0:3], v5 offset:16384
	ds_load_b128 v[108:111], v5 offset:16640
	;; [unrolled: 1-line block ×3, first 2 shown]
	s_mov_b32 s22, 2
	s_and_not1_b32 vcc_lo, exec_lo, s18
	s_mov_b32 s18, 0
	s_waitcnt lgkmcnt(2)
	v_add_f64 v[6:7], v[2:3], v[18:19]
	scratch_store_b64 off, v[6:7], off offset:56 ; 8-byte Folded Spill
	v_add_f64 v[6:7], v[0:1], v[16:17]
	scratch_store_b64 off, v[6:7], off offset:120 ; 8-byte Folded Spill
	s_waitcnt lgkmcnt(1)
	v_add_f64 v[6:7], v[110:111], v[18:19]
	scratch_store_b64 off, v[6:7], off offset:24 ; 8-byte Folded Spill
	v_add_f64 v[6:7], v[108:109], v[16:17]
	scratch_store_b64 off, v[6:7], off offset:88 ; 8-byte Folded Spill
	ds_load_b128 v[33:36], v5 offset:16896
	ds_load_b128 v[37:40], v5 offset:17152
	s_waitcnt lgkmcnt(1)
	v_add_f64 v[6:7], v[35:36], v[18:19]
	scratch_store_b64 off, v[6:7], off offset:64 ; 8-byte Folded Spill
	v_add_f64 v[6:7], v[33:34], v[16:17]
	scratch_store_b64 off, v[6:7], off offset:128 ; 8-byte Folded Spill
	s_waitcnt lgkmcnt(0)
	v_add_f64 v[6:7], v[39:40], v[18:19]
	scratch_store_b64 off, v[6:7], off offset:32 ; 8-byte Folded Spill
	v_add_f64 v[6:7], v[37:38], v[16:17]
	scratch_store_b64 off, v[6:7], off offset:96 ; 8-byte Folded Spill
	ds_load_b128 v[41:44], v5 offset:17408
	ds_load_b128 v[45:48], v5 offset:17664
	;; [unrolled: 12-line block ×3, first 2 shown]
	s_waitcnt lgkmcnt(1)
	v_add_f64 v[5:6], v[51:52], v[18:19]
	scratch_store_b64 off, v[5:6], off offset:80 ; 8-byte Folded Spill
	v_add_f64 v[5:6], v[49:50], v[16:17]
	scratch_store_b64 off, v[5:6], off offset:144 ; 8-byte Folded Spill
	s_waitcnt lgkmcnt(0)
	v_add_f64 v[5:6], v[55:56], v[18:19]
	scratch_store_b64 off, v[5:6], off offset:48 ; 8-byte Folded Spill
	v_add_f64 v[5:6], v[53:54], v[16:17]
	scratch_store_b64 off, v[5:6], off offset:112 ; 8-byte Folded Spill
	;; [unrolled: 2-line block ×18, first 2 shown]
	ds_load_b128 v[16:19], v4 offset:2048
	ds_load_b128 v[29:32], v4 offset:3072
	s_waitcnt lgkmcnt(1)
	v_add_f64 v[5:6], v[43:44], v[18:19]
	v_add_f64 v[102:103], v[2:3], v[18:19]
	;; [unrolled: 1-line block ×12, first 2 shown]
	s_waitcnt lgkmcnt(0)
	v_add_f64 v[179:180], v[2:3], v[31:32]
	v_add_f64 v[225:226], v[0:1], v[29:30]
	;; [unrolled: 1-line block ×16, first 2 shown]
	scratch_store_b64 off, v[5:6], off offset:320 ; 8-byte Folded Spill
	v_add_f64 v[5:6], v[47:48], v[18:19]
	scratch_store_b64 off, v[5:6], off offset:304 ; 8-byte Folded Spill
	v_add_f64 v[5:6], v[51:52], v[18:19]
	;; [unrolled: 2-line block ×4, first 2 shown]
	scratch_store_b64 off, v[5:6], off offset:312 ; 8-byte Folded Spill
	ds_load_b128 v[16:19], v4 offset:4096
	ds_load_b128 v[29:32], v4 offset:5120
	s_waitcnt lgkmcnt(1)
	v_add_f64 v[78:79], v[2:3], v[18:19]
	v_add_f64 v[6:7], v[0:1], v[16:17]
	;; [unrolled: 1-line block ×16, first 2 shown]
	s_waitcnt lgkmcnt(0)
	v_add_f64 v[173:174], v[2:3], v[31:32]
	v_add_f64 v[169:170], v[0:1], v[29:30]
	;; [unrolled: 1-line block ×16, first 2 shown]
	ds_load_b128 v[16:19], v4 offset:6144
	ds_load_b128 v[29:32], v4 offset:7168
	scratch_load_b32 v201, off, off offset:16 ; 4-byte Folded Reload
	v_cvt_f32_f64_e32 v6, v[6:7]
	v_cvt_f32_f64_e32 v7, v[78:79]
	s_waitcnt lgkmcnt(1)
	v_add_f64 v[65:66], v[0:1], v[16:17]
	v_add_f64 v[88:89], v[108:109], v[16:17]
	;; [unrolled: 1-line block ×8, first 2 shown]
	s_waitcnt lgkmcnt(0)
	v_add_f64 v[0:1], v[0:1], v[29:30]
	v_add_f64 v[108:109], v[108:109], v[29:30]
	;; [unrolled: 1-line block ×8, first 2 shown]
	scratch_load_b64 v[53:54], off, off offset:120 ; 8-byte Folded Reload
	v_add_f64 v[4:5], v[2:3], v[18:19]
	v_add_f64 v[84:85], v[110:111], v[18:19]
	;; [unrolled: 1-line block ×10, first 2 shown]
	v_min3_f32 v211, v6, v7, v211
	v_cvt_f32_f64_e32 v6, v[10:11]
	v_cvt_f32_f64_e32 v7, v[8:9]
	v_add_f64 v[106:107], v[47:48], v[18:19]
	v_add_f64 v[47:48], v[47:48], v[31:32]
	;; [unrolled: 1-line block ×6, first 2 shown]
	v_cvt_f32_f64_e32 v0, v[0:1]
	v_cvt_f32_f64_e32 v4, v[4:5]
	;; [unrolled: 1-line block ×4, first 2 shown]
	v_min3_f32 v137, v6, v7, v137
	v_cvt_f32_f64_e32 v6, v[14:15]
	v_cvt_f32_f64_e32 v7, v[12:13]
	s_delay_alu instid0(VALU_DEP_4) | instskip(SKIP_2) | instid1(VALU_DEP_4)
	v_min3_f32 v126, v0, v1, v126
	v_cvt_f32_f64_e32 v0, v[108:109]
	v_cvt_f32_f64_e32 v1, v[110:111]
	v_min3_f32 v213, v6, v7, v213
	v_cvt_f32_f64_e32 v6, v[147:148]
	v_cvt_f32_f64_e32 v7, v[145:146]
	s_delay_alu instid0(VALU_DEP_4) | instskip(SKIP_2) | instid1(VALU_DEP_4)
	v_min3_f32 v125, v0, v1, v125
	v_cvt_f32_f64_e32 v0, v[33:34]
	v_cvt_f32_f64_e32 v1, v[35:36]
	;; [unrolled: 7-line block ×3, first 2 shown]
	v_min3_f32 v212, v6, v7, v212
	v_cvt_f32_f64_e32 v6, v[23:24]
	v_cvt_f32_f64_e32 v7, v[63:64]
	scratch_load_b32 v23, off, off offset:288 ; 4-byte Folded Reload
	v_min3_f32 v245, v6, v7, v245
	v_cvt_f32_f64_e32 v6, v[80:81]
	v_cvt_f32_f64_e32 v7, v[67:68]
	s_delay_alu instid0(VALU_DEP_1) | instskip(SKIP_2) | instid1(VALU_DEP_1)
	v_min3_f32 v223, v6, v7, v223
	v_cvt_f32_f64_e32 v6, v[59:60]
	v_cvt_f32_f64_e32 v7, v[69:70]
	v_min3_f32 v240, v6, v7, v240
	v_cvt_f32_f64_e32 v6, v[169:170]
	v_cvt_f32_f64_e32 v7, v[173:174]
	s_waitcnt vmcnt(1)
	v_cvt_f32_f64_e32 v27, v[53:54]
	scratch_load_b64 v[53:54], off, off offset:56 ; 8-byte Folded Reload
	v_min3_f32 v236, v6, v7, v236
	v_cvt_f32_f64_e32 v6, v[165:166]
	v_cvt_f32_f64_e32 v7, v[171:172]
	s_delay_alu instid0(VALU_DEP_1) | instskip(SKIP_2) | instid1(VALU_DEP_1)
	v_min3_f32 v144, v6, v7, v144
	v_cvt_f32_f64_e32 v6, v[161:162]
	v_cvt_f32_f64_e32 v7, v[167:168]
	v_min3_f32 v246, v6, v7, v246
	v_cvt_f32_f64_e32 v6, v[157:158]
	v_cvt_f32_f64_e32 v7, v[163:164]
	s_delay_alu instid0(VALU_DEP_1) | instskip(SKIP_4) | instid1(VALU_DEP_1)
	v_min3_f32 v224, v6, v7, v224
	v_cvt_f32_f64_e32 v6, v[153:154]
	v_cvt_f32_f64_e32 v7, v[159:160]
	s_waitcnt vmcnt(0)
	v_cvt_f32_f64_e32 v53, v[53:54]
	v_min3_f32 v143, v27, v53, v143
	scratch_load_b64 v[53:54], off, off offset:88 ; 8-byte Folded Reload
	s_waitcnt vmcnt(0)
	v_cvt_f32_f64_e32 v27, v[53:54]
	scratch_load_b64 v[53:54], off, off offset:24 ; 8-byte Folded Reload
	s_waitcnt vmcnt(0)
	v_cvt_f32_f64_e32 v53, v[53:54]
	s_delay_alu instid0(VALU_DEP_1)
	v_min3_f32 v142, v27, v53, v142
	scratch_load_b64 v[53:54], off, off offset:128 ; 8-byte Folded Reload
	s_waitcnt vmcnt(0)
	v_cvt_f32_f64_e32 v27, v[53:54]
	scratch_load_b64 v[53:54], off, off offset:64 ; 8-byte Folded Reload
	s_waitcnt vmcnt(0)
	v_cvt_f32_f64_e32 v53, v[53:54]
	s_delay_alu instid0(VALU_DEP_1)
	;; [unrolled: 8-line block ×14, first 2 shown]
	v_min3_f32 v121, v27, v53, v121
	scratch_load_b64 v[53:54], off, off offset:272 ; 8-byte Folded Reload
	s_waitcnt vmcnt(0)
	v_cvt_f32_f64_e32 v27, v[53:54]
	scratch_load_b64 v[53:54], off, off offset:264 ; 8-byte Folded Reload
	s_waitcnt vmcnt(0)
	v_cvt_f32_f64_e32 v53, v[53:54]
	s_delay_alu instid0(VALU_DEP_1) | instskip(SKIP_3) | instid1(VALU_DEP_2)
	v_min3_f32 v132, v27, v53, v132
	v_cvt_f32_f64_e32 v27, v[98:99]
	v_cvt_f32_f64_e32 v53, v[102:103]
	v_dual_mov_b32 v102, v198 :: v_dual_mov_b32 v103, v129
	v_min3_f32 v208, v27, v53, v208
	v_cvt_f32_f64_e32 v27, v[94:95]
	v_cvt_f32_f64_e32 v53, v[175:176]
	s_delay_alu instid0(VALU_DEP_1) | instskip(SKIP_2) | instid1(VALU_DEP_1)
	v_min3_f32 v207, v27, v53, v207
	v_cvt_f32_f64_e32 v27, v[90:91]
	v_cvt_f32_f64_e32 v53, v[183:184]
	v_min3_f32 v206, v27, v53, v206
	v_cvt_f32_f64_e32 v27, v[177:178]
	v_cvt_f32_f64_e32 v53, v[187:188]
	s_delay_alu instid0(VALU_DEP_1) | instskip(SKIP_4) | instid1(VALU_DEP_1)
	v_min3_f32 v205, v27, v53, v205
	scratch_load_b64 v[53:54], off, off offset:320 ; 8-byte Folded Reload
	v_cvt_f32_f64_e32 v27, v[181:182]
	s_waitcnt vmcnt(0)
	v_cvt_f32_f64_e32 v53, v[53:54]
	v_min3_f32 v202, v27, v53, v202
	scratch_load_b64 v[53:54], off, off offset:304 ; 8-byte Folded Reload
	v_cvt_f32_f64_e32 v27, v[185:186]
	s_waitcnt vmcnt(0)
	v_cvt_f32_f64_e32 v53, v[53:54]
	s_delay_alu instid0(VALU_DEP_1) | instskip(SKIP_4) | instid1(VALU_DEP_1)
	v_min3_f32 v201, v27, v53, v201
	scratch_load_b64 v[53:54], off, off offset:296 ; 8-byte Folded Reload
	v_cvt_f32_f64_e32 v27, v[189:190]
	s_waitcnt vmcnt(0)
	v_cvt_f32_f64_e32 v53, v[53:54]
	v_min3_f32 v235, v27, v53, v235
	scratch_load_b64 v[53:54], off, off offset:312 ; 8-byte Folded Reload
	s_waitcnt vmcnt(0)
	v_cvt_f32_f64_e32 v27, v[53:54]
	scratch_load_b64 v[53:54], off, off offset:280 ; 8-byte Folded Reload
	s_waitcnt vmcnt(0)
	v_cvt_f32_f64_e32 v53, v[53:54]
	s_delay_alu instid0(VALU_DEP_1) | instskip(SKIP_3) | instid1(VALU_DEP_2)
	v_min3_f32 v102, v27, v53, v102
	v_cvt_f32_f64_e32 v27, v[225:226]
	v_dual_mov_b32 v226, v210 :: v_dual_mov_b32 v225, v209
	v_cvt_f32_f64_e32 v53, v[179:180]
	v_min3_f32 v225, v6, v7, v225
	v_cvt_f32_f64_e32 v6, v[149:150]
	v_cvt_f32_f64_e32 v7, v[155:156]
	s_delay_alu instid0(VALU_DEP_4) | instskip(SKIP_2) | instid1(VALU_DEP_4)
	v_min3_f32 v103, v27, v53, v103
	v_cvt_f32_f64_e32 v27, v[229:230]
	v_cvt_f32_f64_e32 v53, v[227:228]
	v_min3_f32 v226, v6, v7, v226
	v_cvt_f32_f64_e32 v6, v[73:74]
	v_cvt_f32_f64_e32 v7, v[151:152]
	s_delay_alu instid0(VALU_DEP_4) | instskip(SKIP_2) | instid1(VALU_DEP_4)
	v_min3_f32 v239, v27, v53, v239
	v_cvt_f32_f64_e32 v27, v[233:234]
	;; [unrolled: 7-line block ×3, first 2 shown]
	v_cvt_f32_f64_e32 v53, v[116:117]
	v_min3_f32 v203, v6, v7, v203
	v_cvt_f32_f64_e32 v6, v[65:66]
	s_delay_alu instid0(VALU_DEP_3) | instskip(SKIP_2) | instid1(VALU_DEP_4)
	v_min3_f32 v138, v27, v53, v138
	v_cvt_f32_f64_e32 v27, v[241:242]
	v_cvt_f32_f64_e32 v53, v[20:21]
	v_min3_f32 v200, v6, v4, v200
	scratch_load_b32 v6, off, off offset:8  ; 4-byte Folded Reload
	v_cvt_f32_f64_e32 v4, v[88:89]
	v_min3_f32 v194, v27, v53, v194
	v_cvt_f32_f64_e32 v27, v[118:119]
	v_cvt_f32_f64_e32 v53, v[114:115]
	s_delay_alu instid0(VALU_DEP_4) | instskip(SKIP_2) | instid1(VALU_DEP_4)
	v_min3_f32 v199, v4, v5, v199
	v_cvt_f32_f64_e32 v4, v[221:222]
	v_cvt_f32_f64_e32 v5, v[92:93]
	v_min3_f32 v193, v27, v53, v193
	v_cvt_f32_f64_e32 v27, v[249:250]
	v_cvt_f32_f64_e32 v53, v[247:248]
	s_delay_alu instid0(VALU_DEP_4) | instskip(SKIP_2) | instid1(VALU_DEP_4)
	v_min3_f32 v131, v4, v5, v131
	v_cvt_f32_f64_e32 v4, v[25:26]
	;; [unrolled: 7-line block ×3, first 2 shown]
	v_cvt_f32_f64_e32 v5, v[100:101]
	v_min3_f32 v191, v27, v53, v191
	s_waitcnt vmcnt(0)
	s_delay_alu instid0(VALU_DEP_2)
	v_min3_f32 v6, v4, v5, v6
	scratch_store_b32 off, v201, off offset:16 ; 4-byte Folded Spill
	v_cvt_f32_f64_e32 v4, v[82:83]
	v_cvt_f32_f64_e32 v5, v[106:107]
	scratch_store_b32 off, v6, off offset:8 ; 4-byte Folded Spill
	s_clause 0x2
	scratch_load_b32 v90, off, off offset:292
	scratch_load_b32 v6, off, off offset:12
	;; [unrolled: 1-line block ×3, first 2 shown]
	v_min3_f32 v130, v4, v5, v130
	v_cvt_f32_f64_e32 v4, v[86:87]
	v_cvt_f32_f64_e32 v5, v[104:105]
	s_waitcnt vmcnt(1)
	s_delay_alu instid0(VALU_DEP_1)
	v_min3_f32 v6, v4, v5, v6
	s_waitcnt vmcnt(0)
	v_min3_f32 v2, v0, v1, v2
	v_cvt_f32_f64_e32 v0, v[41:42]
	v_cvt_f32_f64_e32 v1, v[43:44]
	;; [unrolled: 1-line block ×4, first 2 shown]
	scratch_store_b32 off, v2, off offset:4 ; 4-byte Folded Spill
	scratch_load_b32 v2, off, off           ; 4-byte Folded Reload
	v_min3_f32 v244, v0, v1, v244
	v_cvt_f32_f64_e32 v0, v[45:46]
	v_cvt_f32_f64_e32 v1, v[47:48]
	v_min3_f32 v127, v4, v5, v127
	s_delay_alu instid0(VALU_DEP_2) | instskip(SKIP_2) | instid1(VALU_DEP_1)
	v_min3_f32 v122, v0, v1, v122
	v_cvt_f32_f64_e32 v0, v[49:50]
	v_cvt_f32_f64_e32 v1, v[51:52]
	v_min3_f32 v120, v0, v1, v120
	v_cvt_f32_f64_e32 v0, v[29:30]
	v_cvt_f32_f64_e32 v1, v[31:32]
	s_waitcnt vmcnt(0)
	s_delay_alu instid0(VALU_DEP_1)
	v_min3_f32 v2, v0, v1, v2
	s_clause 0x1
	scratch_store_b32 off, v6, off offset:12
	scratch_store_b32 off, v2, off
	s_cbranch_vccz .LBB123_22
; %bb.23:
	scratch_load_b32 v1, off, off offset:356 ; 4-byte Folded Reload
	v_dual_mov_b32 v95, v207 :: v_dual_lshlrev_b32 v0, 5, v77
	ds_store_b64 v22, v[217:218] offset:18432
	s_load_b32 s22, s[0:1], 0x8
	v_dual_mov_b32 v91, v206 :: v_dual_mov_b32 v94, v205
	v_mov_b32_e32 v107, v197
	s_mov_b32 s18, 8
	s_waitcnt lgkmcnt(0)
	s_cmp_gt_i32 s22, 8
	s_waitcnt vmcnt(0)
	v_lshl_add_u32 v0, v1, 3, v0
	scratch_load_b64 v[1:2], off, off offset:328 ; 8-byte Folded Reload
	s_waitcnt vmcnt(0)
	ds_store_2addr_stride64_b64 v0, v[219:220], v[1:2] offset0:16 offset1:20
	s_clause 0x1
	scratch_load_b64 v[1:2], off, off offset:336
	scratch_load_b64 v[3:4], off, off offset:344
	s_waitcnt vmcnt(0)
	ds_store_2addr_stride64_b64 v0, v[1:2], v[3:4] offset0:24 offset1:28
	s_waitcnt lgkmcnt(0)
	s_waitcnt_vscnt null, 0x0
	s_barrier
	buffer_gl0_inv
	s_cbranch_scc0 .LBB123_48
; %bb.24:
	v_mad_i64_i32 v[1:2], null, v214, s19, 0
	v_dual_mov_b32 v54, v211 :: v_dual_add_nc_u32 v3, 0x4800, v22
	v_or_b32_e32 v0, 0x2000, v0
	v_mov_b32_e32 v75, v94
	v_mov_b32_e32 v71, v95
	scratch_store_b32 off, v3, off offset:372 ; 4-byte Folded Spill
	v_lshlrev_b64 v[1:2], 3, v[1:2]
	scratch_store_b32 off, v0, off offset:376 ; 4-byte Folded Spill
	v_mov_b32_e32 v45, v213
	s_add_i32 s19, s22, -8
	v_mov_b32_e32 v44, v212
	v_add_co_u32 v0, vcc_lo, s20, v1
	v_add_co_ci_u32_e32 v1, vcc_lo, s21, v2, vcc_lo
	v_lshlrev_b64 v[2:3], 3, v[215:216]
	s_clause 0x1
	scratch_store_b64 off, v[2:3], off offset:296
	scratch_store_b32 off, v0, off offset:380
	v_add_co_u32 v0, vcc_lo, v0, 32
	s_clause 0x1
	scratch_store_b32 off, v0, off offset:388
	scratch_store_b32 off, v1, off offset:384
	v_add_co_ci_u32_e32 v0, vcc_lo, 0, v1, vcc_lo
	v_mov_b32_e32 v1, 0
	s_mov_b32 s20, 0
	s_clause 0x1
	scratch_store_b32 off, v0, off offset:392
	scratch_store_b64 off, v[0:1], off offset:304
	s_and_b32 vcc_lo, exec_lo, s3
	s_cbranch_vccnz .LBB123_26
.LBB123_25:
	s_clause 0x1
	scratch_load_b32 v0, off, off offset:352
	scratch_load_b64 v[1:2], off, off offset:304
	s_waitcnt vmcnt(0)
	v_mov_b32_e32 v3, v2
	v_or_b32_e32 v2, s18, v0
	s_delay_alu instid0(VALU_DEP_2)
	v_mov_b32_e32 v1, v3
	scratch_store_b64 off, v[0:1], off offset:304 ; 8-byte Folded Spill
	v_lshlrev_b64 v[0:1], 3, v[2:3]
	scratch_load_b32 v2, off, off offset:380 ; 4-byte Folded Reload
	s_waitcnt vmcnt(0)
	v_add_co_u32 v0, vcc_lo, v2, v0
	scratch_load_b32 v2, off, off offset:384 ; 4-byte Folded Reload
	s_waitcnt vmcnt(0)
	v_add_co_ci_u32_e32 v1, vcc_lo, v2, v1, vcc_lo
	flat_load_b64 v[0:1], v[0:1]
	s_waitcnt vmcnt(0) lgkmcnt(0)
	v_mul_f64 v[0:1], s[12:13], v[0:1]
	s_branch .LBB123_27
.LBB123_26:
	v_mov_b32_e32 v0, 0
	v_mov_b32_e32 v1, 0
.LBB123_27:
	scratch_store_b64 off, v[0:1], off offset:312 ; 8-byte Folded Spill
	scratch_load_b32 v0, off, off offset:356 ; 4-byte Folded Reload
	s_waitcnt vmcnt(0)
	v_add_nc_u32_e32 v4, s18, v0
	s_delay_alu instid0(VALU_DEP_1) | instskip(NEXT) | instid1(VALU_DEP_1)
	v_mad_u64_u32 v[0:1], null, v4, s14, 0
	v_mad_u64_u32 v[2:3], null, v4, s15, v[1:2]
	s_delay_alu instid0(VALU_DEP_1) | instskip(NEXT) | instid1(VALU_DEP_1)
	v_mov_b32_e32 v1, v2
	v_lshlrev_b64 v[0:1], 3, v[0:1]
	s_delay_alu instid0(VALU_DEP_1) | instskip(NEXT) | instid1(VALU_DEP_2)
	v_add_co_u32 v0, vcc_lo, s16, v0
	v_add_co_ci_u32_e32 v1, vcc_lo, s17, v1, vcc_lo
	s_and_b32 vcc_lo, exec_lo, s3
	s_cbranch_vccnz .LBB123_29
; %bb.28:
	scratch_load_b64 v[2:3], off, off offset:296 ; 8-byte Folded Reload
	s_waitcnt vmcnt(0)
	v_add_co_u32 v2, vcc_lo, v0, v2
	v_add_co_ci_u32_e32 v3, vcc_lo, v1, v3, vcc_lo
	s_clause 0x1
	flat_load_b64 v[10:11], v[2:3]
	flat_load_b64 v[2:3], v[2:3] offset:512
	s_waitcnt vmcnt(1) lgkmcnt(1)
	v_mul_f64 v[4:5], s[12:13], v[10:11]
	s_waitcnt vmcnt(0) lgkmcnt(0)
	v_mul_f64 v[2:3], s[12:13], v[2:3]
	scratch_store_b64 off, v[4:5], off offset:320 ; 8-byte Folded Spill
	s_branch .LBB123_30
.LBB123_29:
	v_mov_b32_e32 v2, 0
	v_mov_b32_e32 v3, 0
	scratch_store_b64 off, v[2:3], off offset:320 ; 8-byte Folded Spill
	v_mov_b32_e32 v2, 0
	v_mov_b32_e32 v3, 0
.LBB123_30:
	v_dual_mov_b32 v69, v246 :: v_dual_mov_b32 v68, v208
	v_dual_mov_b32 v7, v224 :: v_dual_mov_b32 v74, v202
	s_and_b32 vcc_lo, exec_lo, s3
	scratch_store_b64 off, v[2:3], off offset:328 ; 8-byte Folded Spill
	s_cbranch_vccnz .LBB123_32
; %bb.31:
	s_clause 0x1
	scratch_load_b32 v99, off, off offset:16
	scratch_load_b64 v[2:3], off, off offset:296
	v_dual_mov_b32 v72, v235 :: v_dual_mov_b32 v55, v102
	v_dual_mov_b32 v246, v239 :: v_dual_mov_b32 v239, v194
	;; [unrolled: 1-line block ×3, first 2 shown]
	s_waitcnt vmcnt(0)
	v_add_co_u32 v0, vcc_lo, v0, v2
	v_add_co_ci_u32_e32 v1, vcc_lo, v1, v3, vcc_lo
	s_clause 0x1
	flat_load_b64 v[2:3], v[0:1] offset:1024
	flat_load_b64 v[0:1], v[0:1] offset:1536
	s_waitcnt vmcnt(1) lgkmcnt(1)
	v_mul_f64 v[2:3], s[12:13], v[2:3]
	s_waitcnt vmcnt(0) lgkmcnt(0)
	v_mul_f64 v[0:1], s[12:13], v[0:1]
	scratch_store_b64 off, v[2:3], off offset:336 ; 8-byte Folded Spill
	s_branch .LBB123_33
.LBB123_32:
	scratch_load_b32 v99, off, off offset:16 ; 4-byte Folded Reload
	v_mov_b32_e32 v0, 0
	v_dual_mov_b32 v1, 0 :: v_dual_mov_b32 v72, v235
	v_dual_mov_b32 v55, v102 :: v_dual_mov_b32 v246, v239
	v_mov_b32_e32 v239, v194
	scratch_store_b64 off, v[0:1], off offset:336 ; 8-byte Folded Spill
	v_dual_mov_b32 v0, 0 :: v_dual_mov_b32 v235, v107
	v_dual_mov_b32 v224, v138 :: v_dual_mov_b32 v1, 0
.LBB123_33:
	v_dual_mov_b32 v138, v193 :: v_dual_mov_b32 v129, v103
	s_waitcnt vmcnt(0)
	v_mov_b32_e32 v73, v99
	v_mov_b32_e32 v70, v91
	s_mov_b32 s22, 0
	s_mov_b32 s21, -1
	scratch_store_b64 off, v[0:1], off offset:344 ; 8-byte Folded Spill
.LBB123_34:                             ; =>This Inner Loop Header: Depth=1
	s_lshl_b32 s22, s22, 3
	s_and_not1_b32 vcc_lo, exec_lo, s21
	v_lshl_add_u32 v29, v23, 5, s22
	v_lshl_add_u32 v4, v90, 5, s22
	s_mov_b32 s22, 2
	s_mov_b32 s21, 0
	ds_load_b128 v[46:49], v29 offset:8192
	ds_load_b128 v[0:3], v4 offset:18432
	;; [unrolled: 1-line block ×4, first 2 shown]
	s_waitcnt lgkmcnt(2)
	v_add_f64 v[66:67], v[2:3], v[48:49]
	s_waitcnt lgkmcnt(1)
	v_add_f64 v[5:6], v[157:158], v[48:49]
	v_add_f64 v[145:146], v[0:1], v[46:47]
	s_delay_alu instid0(VALU_DEP_3)
	v_cvt_f32_f64_e32 v66, v[66:67]
	scratch_store_b64 off, v[5:6], off offset:16 ; 8-byte Folded Spill
	v_add_f64 v[5:6], v[155:156], v[46:47]
	scratch_store_b64 off, v[5:6], off offset:72 ; 8-byte Folded Spill
	ds_load_b128 v[163:166], v4 offset:18944
	ds_load_b128 v[167:170], v4 offset:19200
	s_waitcnt lgkmcnt(1)
	v_add_f64 v[5:6], v[165:166], v[48:49]
	scratch_store_b64 off, v[5:6], off offset:48 ; 8-byte Folded Spill
	v_add_f64 v[5:6], v[163:164], v[46:47]
	scratch_store_b64 off, v[5:6], off offset:104 ; 8-byte Folded Spill
	s_waitcnt lgkmcnt(0)
	v_add_f64 v[5:6], v[169:170], v[48:49]
	scratch_store_b64 off, v[5:6], off offset:24 ; 8-byte Folded Spill
	v_add_f64 v[5:6], v[167:168], v[46:47]
	scratch_store_b64 off, v[5:6], off offset:80 ; 8-byte Folded Spill
	ds_load_b128 v[171:174], v4 offset:19456
	ds_load_b128 v[175:178], v4 offset:19712
	s_waitcnt lgkmcnt(1)
	v_add_f64 v[5:6], v[173:174], v[48:49]
	v_add_f64 v[26:27], v[171:172], v[159:160]
	scratch_store_b64 off, v[5:6], off offset:56 ; 8-byte Folded Spill
	v_add_f64 v[5:6], v[171:172], v[46:47]
	v_cvt_f32_f64_e32 v26, v[26:27]
	scratch_store_b64 off, v[5:6], off offset:112 ; 8-byte Folded Spill
	s_waitcnt lgkmcnt(0)
	v_add_f64 v[5:6], v[177:178], v[48:49]
	scratch_store_b64 off, v[5:6], off offset:32 ; 8-byte Folded Spill
	v_add_f64 v[5:6], v[175:176], v[46:47]
	scratch_store_b64 off, v[5:6], off offset:88 ; 8-byte Folded Spill
	ds_load_b128 v[179:182], v4 offset:19968
	ds_load_b128 v[183:186], v4 offset:20224
	v_mov_b32_e32 v6, v54
	s_waitcnt lgkmcnt(1)
	v_add_f64 v[4:5], v[181:182], v[48:49]
	scratch_store_b64 off, v[4:5], off offset:64 ; 8-byte Folded Spill
	v_add_f64 v[4:5], v[179:180], v[46:47]
	scratch_store_b64 off, v[4:5], off offset:120 ; 8-byte Folded Spill
	s_waitcnt lgkmcnt(0)
	v_add_f64 v[4:5], v[185:186], v[48:49]
	scratch_store_b64 off, v[4:5], off offset:40 ; 8-byte Folded Spill
	v_add_f64 v[4:5], v[183:184], v[46:47]
	v_mov_b32_e32 v47, v45
	scratch_store_b64 off, v[4:5], off offset:96 ; 8-byte Folded Spill
	v_add_f64 v[4:5], v[2:3], v[161:162]
	scratch_store_b64 off, v[4:5], off offset:128 ; 8-byte Folded Spill
	v_add_f64 v[4:5], v[0:1], v[159:160]
	;; [unrolled: 2-line block ×15, first 2 shown]
	scratch_store_b64 off, v[4:5], off offset:240 ; 8-byte Folded Spill
	ds_load_b128 v[159:162], v29 offset:10240
	ds_load_b128 v[187:190], v29 offset:11264
	s_waitcnt lgkmcnt(1)
	v_add_f64 v[4:5], v[177:178], v[161:162]
	v_add_f64 v[147:148], v[2:3], v[161:162]
	;; [unrolled: 1-line block ×12, first 2 shown]
	s_waitcnt lgkmcnt(0)
	v_add_f64 v[221:222], v[2:3], v[189:190]
	v_add_f64 v[40:41], v[0:1], v[187:188]
	;; [unrolled: 1-line block ×16, first 2 shown]
	scratch_store_b64 off, v[4:5], off offset:264 ; 8-byte Folded Spill
	v_add_f64 v[4:5], v[181:182], v[161:162]
	scratch_store_b64 off, v[4:5], off offset:256 ; 8-byte Folded Spill
	v_add_f64 v[4:5], v[179:180], v[159:160]
	scratch_store_b64 off, v[4:5], off offset:280 ; 8-byte Folded Spill
	v_add_f64 v[4:5], v[185:186], v[161:162]
	scratch_store_b64 off, v[4:5], off offset:248 ; 8-byte Folded Spill
	v_add_f64 v[4:5], v[183:184], v[159:160]
	scratch_store_b64 off, v[4:5], off offset:272 ; 8-byte Folded Spill
	ds_load_b128 v[159:162], v29 offset:12288
	ds_load_b128 v[187:190], v29 offset:13312
	s_waitcnt lgkmcnt(1)
	v_add_f64 v[153:154], v[2:3], v[161:162]
	v_add_f64 v[151:152], v[0:1], v[159:160]
	;; [unrolled: 1-line block ×16, first 2 shown]
	s_waitcnt lgkmcnt(0)
	v_add_f64 v[82:83], v[2:3], v[189:190]
	v_add_f64 v[24:25], v[0:1], v[187:188]
	;; [unrolled: 1-line block ×16, first 2 shown]
	ds_load_b128 v[159:162], v29 offset:14336
	ds_load_b128 v[187:190], v29 offset:15360
	v_cvt_f32_f64_e32 v29, v[145:146]
	v_cvt_f32_f64_e32 v4, v[4:5]
	;; [unrolled: 1-line block ×3, first 2 shown]
	s_waitcnt lgkmcnt(1)
	v_add_f64 v[102:103], v[2:3], v[161:162]
	v_add_f64 v[217:218], v[0:1], v[159:160]
	s_waitcnt lgkmcnt(0)
	v_add_f64 v[2:3], v[2:3], v[189:190]
	v_add_f64 v[0:1], v[0:1], v[187:188]
	;; [unrolled: 1-line block ×18, first 2 shown]
	v_min3_f32 v143, v29, v66, v143
	scratch_load_b64 v[66:67], off, off offset:72 ; 8-byte Folded Reload
	v_add_f64 v[211:212], v[177:178], v[161:162]
	v_add_f64 v[197:198], v[175:176], v[159:160]
	;; [unrolled: 1-line block ×7, first 2 shown]
	v_min3_f32 v137, v4, v5, v137
	v_cvt_f32_f64_e32 v4, v[8:9]
	v_cvt_f32_f64_e32 v5, v[10:11]
	v_add_f64 v[179:180], v[179:180], v[187:188]
	v_add_f64 v[161:162], v[185:186], v[161:162]
	v_add_f64 v[159:160], v[183:184], v[159:160]
	v_add_f64 v[185:186], v[185:186], v[189:190]
	v_add_f64 v[183:184], v[183:184], v[187:188]
	v_cvt_f32_f64_e32 v0, v[0:1]
	v_cvt_f32_f64_e32 v1, v[2:3]
	scratch_load_b32 v2, off, off offset:4  ; 4-byte Folded Reload
	v_min3_f32 v126, v0, v1, v126
	v_cvt_f32_f64_e32 v0, v[155:156]
	v_cvt_f32_f64_e32 v1, v[157:158]
	s_delay_alu instid0(VALU_DEP_1) | instskip(SKIP_2) | instid1(VALU_DEP_1)
	v_min3_f32 v125, v0, v1, v125
	v_cvt_f32_f64_e32 v0, v[163:164]
	v_cvt_f32_f64_e32 v1, v[165:166]
	v_min3_f32 v124, v0, v1, v124
	v_cvt_f32_f64_e32 v0, v[167:168]
	v_cvt_f32_f64_e32 v1, v[169:170]
	s_waitcnt vmcnt(1)
	v_cvt_f32_f64_e32 v29, v[66:67]
	scratch_load_b64 v[66:67], off, off offset:16 ; 8-byte Folded Reload
	s_waitcnt vmcnt(1)
	v_min3_f32 v2, v0, v1, v2
	v_cvt_f32_f64_e32 v0, v[171:172]
	v_cvt_f32_f64_e32 v1, v[173:174]
	scratch_store_b32 off, v2, off offset:4 ; 4-byte Folded Spill
	scratch_load_b32 v2, off, off           ; 4-byte Folded Reload
	v_min3_f32 v244, v0, v1, v244
	v_cvt_f32_f64_e32 v0, v[175:176]
	v_cvt_f32_f64_e32 v1, v[177:178]
	s_delay_alu instid0(VALU_DEP_1) | instskip(SKIP_2) | instid1(VALU_DEP_1)
	v_min3_f32 v122, v0, v1, v122
	v_cvt_f32_f64_e32 v0, v[179:180]
	v_cvt_f32_f64_e32 v1, v[181:182]
	v_min3_f32 v120, v0, v1, v120
	v_cvt_f32_f64_e32 v0, v[183:184]
	v_cvt_f32_f64_e32 v1, v[185:186]
	s_waitcnt vmcnt(1)
	v_cvt_f32_f64_e32 v66, v[66:67]
	s_waitcnt vmcnt(0)
	s_delay_alu instid0(VALU_DEP_2)
	v_min3_f32 v2, v0, v1, v2
	scratch_store_b32 off, v2, off          ; 4-byte Folded Spill
	v_min3_f32 v142, v29, v66, v142
	scratch_load_b64 v[66:67], off, off offset:104 ; 8-byte Folded Reload
	s_waitcnt vmcnt(0)
	v_cvt_f32_f64_e32 v29, v[66:67]
	scratch_load_b64 v[66:67], off, off offset:48 ; 8-byte Folded Reload
	s_waitcnt vmcnt(0)
	v_cvt_f32_f64_e32 v66, v[66:67]
	s_delay_alu instid0(VALU_DEP_1)
	v_min3_f32 v141, v29, v66, v141
	scratch_load_b64 v[66:67], off, off offset:80 ; 8-byte Folded Reload
	s_waitcnt vmcnt(0)
	v_cvt_f32_f64_e32 v29, v[66:67]
	scratch_load_b64 v[66:67], off, off offset:24 ; 8-byte Folded Reload
	s_waitcnt vmcnt(0)
	v_cvt_f32_f64_e32 v66, v[66:67]
	s_delay_alu instid0(VALU_DEP_1)
	;; [unrolled: 8-line block ×9, first 2 shown]
	v_min3_f32 v196, v29, v66, v196
	scratch_load_b64 v[66:67], off, off offset:184 ; 8-byte Folded Reload
	s_waitcnt vmcnt(0)
	v_cvt_f32_f64_e32 v29, v[66:67]
	scratch_load_b64 v[66:67], off, off offset:176 ; 8-byte Folded Reload
	s_waitcnt vmcnt(0)
	v_cvt_f32_f64_e32 v54, v[66:67]
	scratch_load_b64 v[66:67], off, off offset:192 ; 8-byte Folded Reload
	v_min3_f32 v243, v29, v54, v243
	v_mov_b32_e32 v54, v6
	scratch_load_b32 v6, off, off offset:8  ; 4-byte Folded Reload
	s_waitcnt vmcnt(1)
	v_cvt_f32_f64_e32 v27, v[66:67]
	scratch_load_b64 v[66:67], off, off offset:200 ; 8-byte Folded Reload
	v_min3_f32 v255, v26, v27, v255
	scratch_load_b64 v[26:27], off, off offset:208 ; 8-byte Folded Reload
	s_waitcnt vmcnt(0)
	v_cvt_f32_f64_e32 v26, v[26:27]
	v_cvt_f32_f64_e32 v27, v[66:67]
	scratch_load_b64 v[66:67], off, off offset:216 ; 8-byte Folded Reload
	v_min3_f32 v123, v26, v27, v123
	scratch_load_b64 v[26:27], off, off offset:224 ; 8-byte Folded Reload
	s_waitcnt vmcnt(0)
	v_cvt_f32_f64_e32 v26, v[26:27]
	;; [unrolled: 6-line block ×3, first 2 shown]
	v_cvt_f32_f64_e32 v27, v[66:67]
	s_delay_alu instid0(VALU_DEP_1) | instskip(SKIP_2) | instid1(VALU_DEP_1)
	v_min3_f32 v132, v26, v27, v132
	v_cvt_f32_f64_e32 v26, v[108:109]
	v_cvt_f32_f64_e32 v27, v[147:148]
	v_min3_f32 v68, v26, v27, v68
	v_cvt_f32_f64_e32 v26, v[110:111]
	v_cvt_f32_f64_e32 v27, v[112:113]
	s_delay_alu instid0(VALU_DEP_1)
	v_min3_f32 v71, v26, v27, v71
	v_cvt_f32_f64_e32 v26, v[42:43]
	v_cvt_f32_f64_e32 v27, v[48:49]
	scratch_load_b64 v[42:43], off, off offset:264 ; 8-byte Folded Reload
	v_min3_f32 v70, v26, v27, v70
	v_cvt_f32_f64_e32 v26, v[114:115]
	v_cvt_f32_f64_e32 v27, v[50:51]
	s_delay_alu instid0(VALU_DEP_1) | instskip(SKIP_3) | instid1(VALU_DEP_2)
	v_min3_f32 v75, v26, v27, v75
	v_cvt_f32_f64_e32 v26, v[45:46]
	v_mov_b32_e32 v45, v47
	v_cvt_f32_f64_e32 v27, v[64:65]
	v_min3_f32 v45, v4, v5, v45
	v_cvt_f32_f64_e32 v4, v[12:13]
	v_cvt_f32_f64_e32 v5, v[14:15]
	s_delay_alu instid0(VALU_DEP_4) | instskip(SKIP_1) | instid1(VALU_DEP_3)
	v_min3_f32 v74, v26, v27, v74
	v_cvt_f32_f64_e32 v26, v[52:53]
	v_min3_f32 v128, v4, v5, v128
	v_cvt_f32_f64_e32 v4, v[16:17]
	v_cvt_f32_f64_e32 v5, v[18:19]
	s_delay_alu instid0(VALU_DEP_1) | instskip(SKIP_2) | instid1(VALU_DEP_1)
	v_min3_f32 v44, v4, v5, v44
	v_cvt_f32_f64_e32 v4, v[78:79]
	v_cvt_f32_f64_e32 v5, v[20:21]
	v_min3_f32 v245, v4, v5, v245
	v_cvt_f32_f64_e32 v4, v[80:81]
	v_cvt_f32_f64_e32 v5, v[32:33]
	s_delay_alu instid0(VALU_DEP_1) | instskip(SKIP_2) | instid1(VALU_DEP_1)
	v_min3_f32 v223, v4, v5, v223
	v_cvt_f32_f64_e32 v4, v[30:31]
	v_cvt_f32_f64_e32 v5, v[116:117]
	v_min3_f32 v240, v4, v5, v240
	v_cvt_f32_f64_e32 v4, v[24:25]
	v_cvt_f32_f64_e32 v5, v[82:83]
	s_delay_alu instid0(VALU_DEP_1) | instskip(SKIP_2) | instid1(VALU_DEP_1)
	v_min3_f32 v236, v4, v5, v236
	v_cvt_f32_f64_e32 v4, v[86:87]
	v_cvt_f32_f64_e32 v5, v[84:85]
	v_min3_f32 v144, v4, v5, v144
	v_cvt_f32_f64_e32 v4, v[88:89]
	v_cvt_f32_f64_e32 v5, v[56:57]
	s_delay_alu instid0(VALU_DEP_1) | instskip(SKIP_2) | instid1(VALU_DEP_1)
	v_min3_f32 v69, v4, v5, v69
	v_cvt_f32_f64_e32 v4, v[60:61]
	v_cvt_f32_f64_e32 v5, v[58:59]
	v_min3_f32 v7, v4, v5, v7
	v_cvt_f32_f64_e32 v4, v[90:91]
	scratch_load_b32 v90, off, off offset:292 ; 4-byte Folded Reload
	s_waitcnt vmcnt(1)
	v_cvt_f32_f64_e32 v27, v[42:43]
	scratch_load_b64 v[42:43], off, off offset:256 ; 8-byte Folded Reload
	v_cvt_f32_f64_e32 v5, v[62:63]
	v_min3_f32 v73, v26, v27, v73
	scratch_load_b64 v[26:27], off, off offset:280 ; 8-byte Folded Reload
	v_min3_f32 v225, v4, v5, v225
	v_cvt_f32_f64_e32 v4, v[92:93]
	v_cvt_f32_f64_e32 v5, v[76:77]
	s_delay_alu instid0(VALU_DEP_1) | instskip(SKIP_2) | instid1(VALU_DEP_1)
	v_min3_f32 v226, v4, v5, v226
	v_cvt_f32_f64_e32 v4, v[96:97]
	v_cvt_f32_f64_e32 v5, v[94:95]
	v_min3_f32 v204, v4, v5, v204
	v_cvt_f32_f64_e32 v4, v[100:101]
	v_cvt_f32_f64_e32 v5, v[98:99]
	s_delay_alu instid0(VALU_DEP_1) | instskip(SKIP_2) | instid1(VALU_DEP_1)
	v_min3_f32 v203, v4, v5, v203
	v_cvt_f32_f64_e32 v4, v[217:218]
	v_cvt_f32_f64_e32 v5, v[102:103]
	;; [unrolled: 7-line block ×3, first 2 shown]
	v_min3_f32 v131, v4, v5, v131
	v_cvt_f32_f64_e32 v4, v[205:206]
	v_cvt_f32_f64_e32 v5, v[219:220]
	s_delay_alu instid0(VALU_DEP_1)
	v_min3_f32 v195, v4, v5, v195
	v_cvt_f32_f64_e32 v4, v[201:202]
	v_cvt_f32_f64_e32 v5, v[215:216]
	s_waitcnt vmcnt(0)
	v_cvt_f32_f64_e32 v26, v[26:27]
	v_cvt_f32_f64_e32 v27, v[42:43]
	scratch_load_b64 v[42:43], off, off offset:248 ; 8-byte Folded Reload
	v_min3_f32 v6, v4, v5, v6
	v_cvt_f32_f64_e32 v4, v[197:198]
	v_cvt_f32_f64_e32 v5, v[211:212]
	scratch_store_b32 off, v6, off offset:8 ; 4-byte Folded Spill
	scratch_load_b32 v6, off, off offset:12 ; 4-byte Folded Reload
	v_min3_f32 v72, v26, v27, v72
	scratch_load_b64 v[26:27], off, off offset:272 ; 8-byte Folded Reload
	v_min3_f32 v130, v4, v5, v130
	v_cvt_f32_f64_e32 v4, v[193:194]
	v_cvt_f32_f64_e32 v5, v[207:208]
	s_waitcnt vmcnt(1)
	s_delay_alu instid0(VALU_DEP_1)
	v_min3_f32 v6, v4, v5, v6
	v_cvt_f32_f64_e32 v4, v[159:160]
	v_cvt_f32_f64_e32 v5, v[161:162]
	scratch_store_b32 off, v6, off offset:12 ; 4-byte Folded Spill
	s_waitcnt vmcnt(0)
	v_cvt_f32_f64_e32 v26, v[26:27]
	v_cvt_f32_f64_e32 v27, v[42:43]
	v_min3_f32 v127, v4, v5, v127
	s_delay_alu instid0(VALU_DEP_2) | instskip(SKIP_2) | instid1(VALU_DEP_1)
	v_min3_f32 v55, v26, v27, v55
	v_cvt_f32_f64_e32 v26, v[40:41]
	v_cvt_f32_f64_e32 v27, v[221:222]
	v_min3_f32 v129, v26, v27, v129
	v_cvt_f32_f64_e32 v26, v[229:230]
	v_cvt_f32_f64_e32 v27, v[227:228]
	s_delay_alu instid0(VALU_DEP_1) | instskip(SKIP_2) | instid1(VALU_DEP_1)
	v_min3_f32 v246, v26, v27, v246
	v_cvt_f32_f64_e32 v26, v[233:234]
	v_cvt_f32_f64_e32 v27, v[231:232]
	v_min3_f32 v235, v26, v27, v235
	v_cvt_f32_f64_e32 v26, v[237:238]
	v_cvt_f32_f64_e32 v27, v[38:39]
	s_delay_alu instid0(VALU_DEP_1) | instskip(SKIP_2) | instid1(VALU_DEP_1)
	;; [unrolled: 7-line block ×4, first 2 shown]
	v_min3_f32 v191, v26, v27, v191
	v_cvt_f32_f64_e32 v26, v[151:152]
	v_cvt_f32_f64_e32 v27, v[153:154]
	v_min3_f32 v54, v26, v27, v54
	s_cbranch_vccz .LBB123_34
; %bb.35:
	s_clause 0x1
	scratch_load_b32 v0, off, off offset:368
	scratch_load_b64 v[1:2], off, off offset:312
	v_dual_mov_b32 v104, v68 :: v_dual_mov_b32 v91, v70
	v_dual_mov_b32 v6, v74 :: v_dual_mov_b32 v99, v73
	;; [unrolled: 1-line block ×4, first 2 shown]
	v_mov_b32_e32 v193, v138
	s_and_b32 vcc_lo, exec_lo, s3
	s_waitcnt vmcnt(0)
	ds_store_b64 v0, v[1:2]
	s_clause 0x2
	scratch_load_b32 v0, off, off offset:364
	scratch_load_b64 v[1:2], off, off offset:320
	scratch_load_b64 v[3:4], off, off offset:328
	s_waitcnt vmcnt(0)
	ds_store_2addr_stride64_b64 v0, v[1:2], v[3:4] offset1:4
	s_clause 0x1
	scratch_load_b64 v[1:2], off, off offset:336
	scratch_load_b64 v[3:4], off, off offset:344
	s_waitcnt vmcnt(0)
	ds_store_2addr_stride64_b64 v0, v[1:2], v[3:4] offset0:8 offset1:12
	s_waitcnt lgkmcnt(0)
	s_waitcnt_vscnt null, 0x0
	s_barrier
	buffer_gl0_inv
	s_cbranch_vccnz .LBB123_37
; %bb.36:
	s_clause 0x1
	scratch_load_b32 v0, off, off offset:352
	scratch_load_b64 v[1:2], off, off offset:304
	s_waitcnt vmcnt(0)
	v_mov_b32_e32 v3, v2
	v_or_b32_e32 v2, s18, v0
	s_delay_alu instid0(VALU_DEP_2)
	v_mov_b32_e32 v1, v3
	scratch_store_b64 off, v[0:1], off offset:304 ; 8-byte Folded Spill
	v_lshlrev_b64 v[0:1], 3, v[2:3]
	scratch_load_b32 v2, off, off offset:388 ; 4-byte Folded Reload
	s_waitcnt vmcnt(0)
	v_add_co_u32 v0, vcc_lo, v2, v0
	scratch_load_b32 v2, off, off offset:392 ; 4-byte Folded Reload
	s_waitcnt vmcnt(0)
	v_add_co_ci_u32_e32 v1, vcc_lo, v2, v1, vcc_lo
	flat_load_b64 v[0:1], v[0:1]
	s_waitcnt vmcnt(0) lgkmcnt(0)
	v_mul_f64 v[0:1], s[12:13], v[0:1]
	s_branch .LBB123_38
.LBB123_37:
	v_mov_b32_e32 v0, 0
	v_mov_b32_e32 v1, 0
.LBB123_38:
	s_clause 0x1
	scratch_store_b64 off, v[0:1], off offset:312
	scratch_store_b32 off, v99, off offset:16
	scratch_load_b32 v0, off, off offset:360 ; 4-byte Folded Reload
	v_dual_mov_b32 v107, v235 :: v_dual_mov_b32 v56, v69
	s_waitcnt vmcnt(0)
	v_add_nc_u32_e32 v4, s18, v0
	s_delay_alu instid0(VALU_DEP_1) | instskip(NEXT) | instid1(VALU_DEP_1)
	v_mad_u64_u32 v[0:1], null, v4, s14, 0
	v_mad_u64_u32 v[2:3], null, v4, s15, v[1:2]
	s_delay_alu instid0(VALU_DEP_1) | instskip(NEXT) | instid1(VALU_DEP_1)
	v_dual_mov_b32 v194, v239 :: v_dual_mov_b32 v1, v2
	v_lshlrev_b64 v[0:1], 3, v[0:1]
	s_delay_alu instid0(VALU_DEP_1) | instskip(NEXT) | instid1(VALU_DEP_2)
	v_add_co_u32 v0, vcc_lo, s16, v0
	v_add_co_ci_u32_e32 v1, vcc_lo, s17, v1, vcc_lo
	s_and_b32 vcc_lo, exec_lo, s3
	s_cbranch_vccnz .LBB123_40
; %bb.39:
	scratch_load_b64 v[2:3], off, off offset:296 ; 8-byte Folded Reload
	s_waitcnt vmcnt(0)
	v_add_co_u32 v2, vcc_lo, v0, v2
	v_add_co_ci_u32_e32 v3, vcc_lo, v1, v3, vcc_lo
	s_clause 0x1
	flat_load_b64 v[10:11], v[2:3]
	flat_load_b64 v[2:3], v[2:3] offset:512
	s_waitcnt vmcnt(1) lgkmcnt(1)
	v_mul_f64 v[8:9], s[12:13], v[10:11]
	s_waitcnt vmcnt(0) lgkmcnt(0)
	v_mul_f64 v[2:3], s[12:13], v[2:3]
	scratch_store_b64 off, v[8:9], off offset:320 ; 8-byte Folded Spill
	s_branch .LBB123_41
.LBB123_40:
	v_mov_b32_e32 v2, 0
	v_mov_b32_e32 v3, 0
	scratch_store_b64 off, v[2:3], off offset:320 ; 8-byte Folded Spill
	v_mov_b32_e32 v2, 0
	v_mov_b32_e32 v3, 0
.LBB123_41:
	v_dual_mov_b32 v68, v245 :: v_dual_mov_b32 v95, v71
	v_dual_mov_b32 v94, v75 :: v_dual_mov_b32 v129, v45
	;; [unrolled: 1-line block ×3, first 2 shown]
	v_mov_b32_e32 v58, v236
	v_mov_b32_e32 v144, v226
	s_and_b32 vcc_lo, exec_lo, s3
	scratch_store_b64 off, v[2:3], off offset:328 ; 8-byte Folded Spill
	s_cbranch_vccnz .LBB123_43
; %bb.42:
	scratch_load_b64 v[2:3], off, off offset:296 ; 8-byte Folded Reload
	s_waitcnt vmcnt(0)
	v_add_co_u32 v0, vcc_lo, v0, v2
	v_add_co_ci_u32_e32 v1, vcc_lo, v1, v3, vcc_lo
	s_clause 0x1
	flat_load_b64 v[2:3], v[0:1] offset:1024
	flat_load_b64 v[0:1], v[0:1] offset:1536
	s_waitcnt vmcnt(1) lgkmcnt(1)
	v_mul_f64 v[2:3], s[12:13], v[2:3]
	s_waitcnt vmcnt(0) lgkmcnt(0)
	v_mul_f64 v[0:1], s[12:13], v[0:1]
	scratch_store_b64 off, v[2:3], off offset:336 ; 8-byte Folded Spill
	s_branch .LBB123_44
.LBB123_43:
	v_mov_b32_e32 v0, 0
	v_mov_b32_e32 v1, 0
	scratch_store_b64 off, v[0:1], off offset:336 ; 8-byte Folded Spill
	v_mov_b32_e32 v0, 0
	v_mov_b32_e32 v1, 0
.LBB123_44:
	v_dual_mov_b32 v54, v225 :: v_dual_mov_b32 v55, v7
	v_dual_mov_b32 v59, v240 :: v_dual_mov_b32 v72, v137
	;; [unrolled: 1-line block ×4, first 2 shown]
	v_mov_b32_e32 v73, v138
	v_dual_mov_b32 v75, v192 :: v_dual_mov_b32 v102, v246
	v_mov_b32_e32 v99, v6
	s_mov_b32 s22, 0
	s_mov_b32 s21, -1
	scratch_store_b64 off, v[0:1], off offset:344 ; 8-byte Folded Spill
.LBB123_45:                             ; =>This Inner Loop Header: Depth=1
	scratch_load_b32 v0, off, off offset:288 ; 4-byte Folded Reload
	s_lshl_b32 s22, s22, 3
	v_mov_b32_e32 v10, v223
	v_lshl_add_u32 v4, v90, 5, s22
	s_and_not1_b32 vcc_lo, exec_lo, s21
	s_mov_b32 s21, 0
	s_waitcnt vmcnt(0)
	v_lshl_add_u32 v26, v0, 5, s22
	s_mov_b32 s22, 2
	ds_load_b128 v[46:49], v26
	ds_load_b128 v[0:3], v4 offset:16384
	ds_load_b128 v[155:158], v4 offset:16640
	;; [unrolled: 1-line block ×3, first 2 shown]
	s_waitcnt lgkmcnt(2)
	v_add_f64 v[62:63], v[2:3], v[48:49]
	s_waitcnt lgkmcnt(1)
	v_add_f64 v[5:6], v[157:158], v[48:49]
	v_add_f64 v[41:42], v[0:1], v[46:47]
	s_delay_alu instid0(VALU_DEP_3)
	v_cvt_f32_f64_e32 v62, v[62:63]
	scratch_store_b64 off, v[5:6], off offset:24 ; 8-byte Folded Spill
	v_add_f64 v[5:6], v[155:156], v[46:47]
	v_cvt_f32_f64_e32 v41, v[41:42]
	scratch_store_b64 off, v[5:6], off offset:80 ; 8-byte Folded Spill
	ds_load_b128 v[163:166], v4 offset:16896
	ds_load_b128 v[167:170], v4 offset:17152
	v_min3_f32 v143, v41, v62, v143
	s_waitcnt lgkmcnt(1)
	v_add_f64 v[5:6], v[165:166], v[48:49]
	v_add_f64 v[37:38], v[163:164], v[159:160]
	scratch_store_b64 off, v[5:6], off offset:56 ; 8-byte Folded Spill
	v_add_f64 v[5:6], v[163:164], v[46:47]
	v_cvt_f32_f64_e32 v37, v[37:38]
	scratch_store_b64 off, v[5:6], off offset:112 ; 8-byte Folded Spill
	s_waitcnt lgkmcnt(0)
	v_add_f64 v[5:6], v[169:170], v[48:49]
	scratch_store_b64 off, v[5:6], off offset:32 ; 8-byte Folded Spill
	v_add_f64 v[5:6], v[167:168], v[46:47]
	scratch_store_b64 off, v[5:6], off offset:88 ; 8-byte Folded Spill
	ds_load_b128 v[171:174], v4 offset:17408
	ds_load_b128 v[175:178], v4 offset:17664
	s_waitcnt lgkmcnt(1)
	v_add_f64 v[5:6], v[173:174], v[48:49]
	v_add_f64 v[35:36], v[171:172], v[159:160]
	s_waitcnt lgkmcnt(0)
	v_add_f64 v[33:34], v[175:176], v[159:160]
	scratch_store_b64 off, v[5:6], off offset:64 ; 8-byte Folded Spill
	v_add_f64 v[5:6], v[171:172], v[46:47]
	v_cvt_f32_f64_e32 v35, v[35:36]
	scratch_store_b64 off, v[5:6], off offset:120 ; 8-byte Folded Spill
	v_add_f64 v[5:6], v[177:178], v[48:49]
	scratch_store_b64 off, v[5:6], off offset:40 ; 8-byte Folded Spill
	v_add_f64 v[5:6], v[175:176], v[46:47]
	scratch_store_b64 off, v[5:6], off offset:96 ; 8-byte Folded Spill
	ds_load_b128 v[179:182], v4 offset:17920
	ds_load_b128 v[183:186], v4 offset:18176
	s_waitcnt lgkmcnt(1)
	v_add_f64 v[4:5], v[181:182], v[48:49]
	scratch_store_b64 off, v[4:5], off offset:72 ; 8-byte Folded Spill
	v_add_f64 v[4:5], v[179:180], v[46:47]
	scratch_store_b64 off, v[4:5], off offset:128 ; 8-byte Folded Spill
	s_waitcnt lgkmcnt(0)
	v_add_f64 v[4:5], v[185:186], v[48:49]
	scratch_store_b64 off, v[4:5], off offset:48 ; 8-byte Folded Spill
	v_add_f64 v[4:5], v[183:184], v[46:47]
	scratch_store_b64 off, v[4:5], off offset:104 ; 8-byte Folded Spill
	;; [unrolled: 2-line block ×15, first 2 shown]
	ds_load_b128 v[159:162], v26 offset:2048
	ds_load_b128 v[187:190], v26 offset:3072
	s_waitcnt lgkmcnt(1)
	v_add_f64 v[4:5], v[173:174], v[161:162]
	v_add_f64 v[78:79], v[2:3], v[161:162]
	;; [unrolled: 1-line block ×11, first 2 shown]
	s_waitcnt lgkmcnt(0)
	v_add_f64 v[145:146], v[2:3], v[189:190]
	v_add_f64 v[147:148], v[0:1], v[187:188]
	;; [unrolled: 1-line block ×16, first 2 shown]
	scratch_store_b64 off, v[4:5], off offset:272 ; 8-byte Folded Spill
	v_add_f64 v[4:5], v[177:178], v[161:162]
	v_cvt_f32_f64_e32 v24, v[24:25]
	v_cvt_f32_f64_e32 v25, v[153:154]
	;; [unrolled: 1-line block ×4, first 2 shown]
	scratch_store_b64 off, v[4:5], off offset:256 ; 8-byte Folded Spill
	v_add_f64 v[4:5], v[181:182], v[161:162]
	v_min3_f32 v107, v24, v25, v107
	v_min3_f32 v106, v22, v23, v106
	v_cvt_f32_f64_e32 v22, v[50:51]
	v_cvt_f32_f64_e32 v23, v[197:198]
	scratch_store_b64 off, v[4:5], off offset:248 ; 8-byte Folded Spill
	v_add_f64 v[4:5], v[179:180], v[159:160]
	v_min3_f32 v194, v22, v23, v194
	v_cvt_f32_f64_e32 v22, v[205:206]
	v_cvt_f32_f64_e32 v23, v[201:202]
	scratch_store_b64 off, v[4:5], off offset:280 ; 8-byte Folded Spill
	v_add_f64 v[4:5], v[185:186], v[161:162]
	v_min3_f32 v193, v22, v23, v193
	v_cvt_f32_f64_e32 v22, v[209:210]
	v_cvt_f32_f64_e32 v23, v[207:208]
	scratch_store_b64 off, v[4:5], off offset:240 ; 8-byte Folded Spill
	v_add_f64 v[4:5], v[183:184], v[159:160]
	v_min3_f32 v75, v22, v23, v75
	v_cvt_f32_f64_e32 v22, v[213:214]
	v_cvt_f32_f64_e32 v23, v[211:212]
	scratch_store_b64 off, v[4:5], off offset:264 ; 8-byte Folded Spill
	ds_load_b128 v[159:162], v26 offset:4096
	ds_load_b128 v[187:190], v26 offset:5120
	s_waitcnt lgkmcnt(1)
	v_add_f64 v[215:216], v[2:3], v[161:162]
	v_add_f64 v[217:218], v[0:1], v[159:160]
	;; [unrolled: 1-line block ×16, first 2 shown]
	s_waitcnt lgkmcnt(0)
	v_add_f64 v[247:248], v[2:3], v[189:190]
	v_add_f64 v[249:250], v[0:1], v[187:188]
	;; [unrolled: 1-line block ×16, first 2 shown]
	ds_load_b128 v[159:162], v26 offset:6144
	ds_load_b128 v[187:190], v26 offset:7168
	s_clause 0x1
	scratch_load_b64 v[41:42], off, off offset:80
	scratch_load_b64 v[62:63], off, off offset:24
	v_min3_f32 v74, v22, v23, v74
	v_cvt_f32_f64_e32 v23, v[215:216]
	v_cvt_f32_f64_e32 v22, v[217:218]
	s_waitcnt lgkmcnt(1)
	v_add_f64 v[6:7], v[2:3], v[161:162]
	v_add_f64 v[112:113], v[0:1], v[159:160]
	s_waitcnt lgkmcnt(0)
	v_add_f64 v[2:3], v[2:3], v[189:190]
	v_add_f64 v[0:1], v[0:1], v[187:188]
	;; [unrolled: 1-line block ×10, first 2 shown]
	v_cvt_f32_f64_e32 v4, v[4:5]
	v_cvt_f32_f64_e32 v5, v[16:17]
	v_add_f64 v[116:117], v[169:170], v[161:162]
	v_add_f64 v[118:119], v[167:168], v[159:160]
	;; [unrolled: 1-line block ×20, first 2 shown]
	v_min3_f32 v73, v22, v23, v73
	v_cvt_f32_f64_e32 v22, v[221:222]
	v_cvt_f32_f64_e32 v23, v[219:220]
	;; [unrolled: 1-line block ×4, first 2 shown]
	scratch_load_b32 v2, off, off offset:4  ; 4-byte Folded Reload
	v_min3_f32 v54, v4, v5, v54
	v_cvt_f32_f64_e32 v4, v[11:12]
	v_cvt_f32_f64_e32 v5, v[14:15]
	v_min3_f32 v72, v22, v23, v72
	v_cvt_f32_f64_e32 v22, v[225:226]
	v_cvt_f32_f64_e32 v23, v[223:224]
	v_mov_b32_e32 v223, v10
	v_cvt_f32_f64_e32 v10, v[8:9]
	v_cvt_f32_f64_e32 v8, v[39:40]
	v_min3_f32 v126, v0, v1, v126
	v_cvt_f32_f64_e32 v0, v[155:156]
	v_cvt_f32_f64_e32 v1, v[157:158]
	;; [unrolled: 1-line block ×3, first 2 shown]
	v_min3_f32 v144, v4, v5, v144
	v_cvt_f32_f64_e32 v4, v[191:192]
	v_cvt_f32_f64_e32 v5, v[108:109]
	v_min3_f32 v71, v22, v23, v71
	v_cvt_f32_f64_e32 v22, v[229:230]
	v_cvt_f32_f64_e32 v23, v[227:228]
	v_min3_f32 v56, v10, v8, v56
	v_cvt_f32_f64_e32 v8, v[29:30]
	v_min3_f32 v125, v0, v1, v125
	v_cvt_f32_f64_e32 v0, v[163:164]
	v_cvt_f32_f64_e32 v1, v[165:166]
	v_min3_f32 v204, v4, v5, v204
	v_cvt_f32_f64_e32 v4, v[245:246]
	;; [unrolled: 3-line block ×3, first 2 shown]
	v_cvt_f32_f64_e32 v23, v[231:232]
	v_min3_f32 v55, v8, v9, v55
	v_min3_f32 v124, v0, v1, v124
	v_cvt_f32_f64_e32 v0, v[167:168]
	v_cvt_f32_f64_e32 v1, v[169:170]
	v_min3_f32 v203, v4, v5, v203
	v_cvt_f32_f64_e32 v5, v[6:7]
	scratch_load_b32 v6, off, off offset:8  ; 4-byte Folded Reload
	v_cvt_f32_f64_e32 v4, v[112:113]
	v_min3_f32 v69, v22, v23, v69
	v_cvt_f32_f64_e32 v22, v[237:238]
	v_cvt_f32_f64_e32 v23, v[18:19]
	;; [unrolled: 1-line block ×4, first 2 shown]
	v_min3_f32 v200, v4, v5, v200
	v_cvt_f32_f64_e32 v4, v[26:27]
	v_cvt_f32_f64_e32 v5, v[114:115]
	v_min3_f32 v68, v22, v23, v68
	v_cvt_f32_f64_e32 v22, v[241:242]
	v_cvt_f32_f64_e32 v23, v[46:47]
	s_delay_alu instid0(VALU_DEP_4) | instskip(SKIP_2) | instid1(VALU_DEP_4)
	v_min3_f32 v199, v4, v5, v199
	v_cvt_f32_f64_e32 v4, v[66:67]
	v_cvt_f32_f64_e32 v5, v[64:65]
	v_min3_f32 v223, v22, v23, v223
	v_cvt_f32_f64_e32 v22, v[43:44]
	s_delay_alu instid0(VALU_DEP_3)
	v_min3_f32 v131, v4, v5, v131
	v_cvt_f32_f64_e32 v4, v[118:119]
	v_cvt_f32_f64_e32 v5, v[116:117]
	s_waitcnt vmcnt(3)
	v_cvt_f32_f64_e32 v41, v[41:42]
	s_waitcnt vmcnt(2)
	v_cvt_f32_f64_e32 v62, v[62:63]
	v_min3_f32 v59, v22, v18, v59
	v_cvt_f32_f64_e32 v18, v[249:250]
	v_min3_f32 v195, v4, v5, v195
	v_cvt_f32_f64_e32 v4, v[235:236]
	v_cvt_f32_f64_e32 v5, v[20:21]
	v_min3_f32 v142, v41, v62, v142
	s_clause 0x1
	scratch_load_b64 v[41:42], off, off offset:112
	scratch_load_b64 v[62:63], off, off offset:56
	v_min3_f32 v58, v18, v19, v58
	v_cvt_f32_f64_e32 v18, v[253:254]
	v_cvt_f32_f64_e32 v19, v[251:252]
	s_waitcnt vmcnt(3)
	v_min3_f32 v2, v0, v1, v2
	v_cvt_f32_f64_e32 v0, v[171:172]
	v_cvt_f32_f64_e32 v1, v[173:174]
	scratch_store_b32 off, v2, off offset:4 ; 4-byte Folded Spill
	scratch_load_b32 v2, off, off           ; 4-byte Folded Reload
	v_min3_f32 v57, v18, v19, v57
	v_min3_f32 v244, v0, v1, v244
	v_cvt_f32_f64_e32 v0, v[175:176]
	v_cvt_f32_f64_e32 v1, v[177:178]
	s_delay_alu instid0(VALU_DEP_1) | instskip(SKIP_2) | instid1(VALU_DEP_1)
	v_min3_f32 v122, v0, v1, v122
	v_cvt_f32_f64_e32 v0, v[179:180]
	v_cvt_f32_f64_e32 v1, v[181:182]
	v_min3_f32 v120, v0, v1, v120
	v_cvt_f32_f64_e32 v0, v[183:184]
	v_cvt_f32_f64_e32 v1, v[185:186]
	s_waitcnt vmcnt(3)
	v_min3_f32 v6, v4, v5, v6
	v_cvt_f32_f64_e32 v4, v[239:240]
	v_cvt_f32_f64_e32 v5, v[76:77]
	s_delay_alu instid0(VALU_DEP_1)
	v_min3_f32 v130, v4, v5, v130
	v_cvt_f32_f64_e32 v4, v[128:129]
	v_cvt_f32_f64_e32 v5, v[137:138]
	s_waitcnt vmcnt(2)
	v_cvt_f32_f64_e32 v41, v[41:42]
	s_waitcnt vmcnt(1)
	;; [unrolled: 2-line block ×3, first 2 shown]
	v_min3_f32 v2, v0, v1, v2
	scratch_store_b32 off, v6, off offset:8 ; 4-byte Folded Spill
	scratch_load_b32 v6, off, off offset:12 ; 4-byte Folded Reload
	scratch_store_b32 off, v2, off          ; 4-byte Folded Spill
	v_min3_f32 v141, v41, v62, v141
	s_clause 0x1
	scratch_load_b64 v[41:42], off, off offset:88
	scratch_load_b64 v[62:63], off, off offset:32
	s_waitcnt vmcnt(2)
	v_min3_f32 v6, v4, v5, v6
	v_cvt_f32_f64_e32 v4, v[159:160]
	v_cvt_f32_f64_e32 v5, v[161:162]
	scratch_store_b32 off, v6, off offset:12 ; 4-byte Folded Spill
	s_waitcnt vmcnt(1)
	v_cvt_f32_f64_e32 v41, v[41:42]
	s_waitcnt vmcnt(0)
	v_cvt_f32_f64_e32 v62, v[62:63]
	v_min3_f32 v127, v4, v5, v127
	s_delay_alu instid0(VALU_DEP_2)
	v_min3_f32 v140, v41, v62, v140
	s_clause 0x1
	scratch_load_b64 v[41:42], off, off offset:120
	scratch_load_b64 v[62:63], off, off offset:64
	s_waitcnt vmcnt(1)
	v_cvt_f32_f64_e32 v41, v[41:42]
	s_waitcnt vmcnt(0)
	v_cvt_f32_f64_e32 v42, v[62:63]
	scratch_load_b64 v[62:63], off, off offset:40 ; 8-byte Folded Reload
	v_min3_f32 v139, v41, v42, v139
	scratch_load_b64 v[41:42], off, off offset:96 ; 8-byte Folded Reload
	s_waitcnt vmcnt(0)
	v_cvt_f32_f64_e32 v41, v[41:42]
	v_cvt_f32_f64_e32 v42, v[62:63]
	scratch_load_b64 v[62:63], off, off offset:72 ; 8-byte Folded Reload
	v_min3_f32 v136, v41, v42, v136
	scratch_load_b64 v[41:42], off, off offset:128 ; 8-byte Folded Reload
	s_waitcnt vmcnt(0)
	v_cvt_f32_f64_e32 v41, v[41:42]
	;; [unrolled: 6-line block ×5, first 2 shown]
	v_cvt_f32_f64_e32 v42, v[62:63]
	s_delay_alu instid0(VALU_DEP_1)
	v_min3_f32 v28, v41, v42, v28
	scratch_load_b64 v[41:42], off, off offset:168 ; 8-byte Folded Reload
	s_waitcnt vmcnt(0)
	v_cvt_f32_f64_e32 v38, v[41:42]
	scratch_load_b64 v[41:42], off, off offset:176 ; 8-byte Folded Reload
	v_min3_f32 v196, v37, v38, v196
	scratch_load_b64 v[37:38], off, off offset:184 ; 8-byte Folded Reload
	s_waitcnt vmcnt(0)
	v_cvt_f32_f64_e32 v37, v[37:38]
	v_cvt_f32_f64_e32 v38, v[41:42]
	s_delay_alu instid0(VALU_DEP_1) | instskip(SKIP_3) | instid1(VALU_DEP_1)
	v_min3_f32 v243, v37, v38, v243
	scratch_load_b64 v[36:37], off, off offset:192 ; 8-byte Folded Reload
	s_waitcnt vmcnt(0)
	v_cvt_f32_f64_e32 v36, v[36:37]
	v_min3_f32 v255, v35, v36, v255
	v_cvt_f32_f64_e32 v35, v[33:34]
	scratch_load_b64 v[33:34], off, off offset:200 ; 8-byte Folded Reload
	s_waitcnt vmcnt(0)
	v_cvt_f32_f64_e32 v33, v[33:34]
	s_delay_alu instid0(VALU_DEP_1)
	v_min3_f32 v123, v35, v33, v123
	scratch_load_b64 v[33:34], off, off offset:216 ; 8-byte Folded Reload
	s_waitcnt vmcnt(0)
	v_cvt_f32_f64_e32 v33, v[33:34]
	scratch_load_b64 v[34:35], off, off offset:208 ; 8-byte Folded Reload
	s_waitcnt vmcnt(0)
	v_cvt_f32_f64_e32 v34, v[34:35]
	s_delay_alu instid0(VALU_DEP_1)
	v_min3_f32 v121, v33, v34, v121
	scratch_load_b64 v[33:34], off, off offset:232 ; 8-byte Folded Reload
	s_waitcnt vmcnt(0)
	v_cvt_f32_f64_e32 v33, v[33:34]
	scratch_load_b64 v[34:35], off, off offset:224 ; 8-byte Folded Reload
	s_waitcnt vmcnt(0)
	v_cvt_f32_f64_e32 v34, v[34:35]
	s_delay_alu instid0(VALU_DEP_1) | instskip(SKIP_2) | instid1(VALU_DEP_1)
	v_min3_f32 v132, v33, v34, v132
	v_cvt_f32_f64_e32 v33, v[80:81]
	v_cvt_f32_f64_e32 v34, v[78:79]
	v_min3_f32 v104, v33, v34, v104
	v_cvt_f32_f64_e32 v33, v[84:85]
	v_cvt_f32_f64_e32 v34, v[82:83]
	s_delay_alu instid0(VALU_DEP_1) | instskip(SKIP_2) | instid1(VALU_DEP_1)
	v_min3_f32 v95, v33, v34, v95
	v_cvt_f32_f64_e32 v33, v[88:89]
	v_cvt_f32_f64_e32 v34, v[86:87]
	v_min3_f32 v91, v33, v34, v91
	v_cvt_f32_f64_e32 v34, v[31:32]
	scratch_load_b64 v[31:32], off, off offset:272 ; 8-byte Folded Reload
	v_cvt_f32_f64_e32 v33, v[92:93]
	s_delay_alu instid0(VALU_DEP_1)
	v_min3_f32 v94, v33, v34, v94
	v_cvt_f32_f64_e32 v33, v[96:97]
	s_waitcnt vmcnt(0)
	v_cvt_f32_f64_e32 v34, v[31:32]
	scratch_load_b64 v[31:32], off, off offset:256 ; 8-byte Folded Reload
	v_min3_f32 v99, v33, v34, v99
	v_cvt_f32_f64_e32 v33, v[100:101]
	s_waitcnt vmcnt(0)
	v_cvt_f32_f64_e32 v34, v[31:32]
	scratch_load_b32 v31, off, off offset:16 ; 4-byte Folded Reload
	s_waitcnt vmcnt(0)
	v_min3_f32 v31, v33, v34, v31
	scratch_store_b32 off, v31, off offset:16 ; 4-byte Folded Spill
	scratch_load_b64 v[31:32], off, off offset:280 ; 8-byte Folded Reload
	s_waitcnt vmcnt(0)
	v_cvt_f32_f64_e32 v33, v[31:32]
	scratch_load_b64 v[31:32], off, off offset:248 ; 8-byte Folded Reload
	s_waitcnt vmcnt(0)
	v_cvt_f32_f64_e32 v34, v[31:32]
	scratch_load_b64 v[31:32], off, off offset:264 ; 8-byte Folded Reload
	v_min3_f32 v98, v33, v34, v98
	s_waitcnt vmcnt(0)
	v_cvt_f32_f64_e32 v31, v[31:32]
	scratch_load_b64 v[32:33], off, off offset:240 ; 8-byte Folded Reload
	s_waitcnt vmcnt(0)
	v_cvt_f32_f64_e32 v32, v[32:33]
	s_delay_alu instid0(VALU_DEP_1) | instskip(SKIP_2) | instid1(VALU_DEP_1)
	v_min3_f32 v103, v31, v32, v103
	v_cvt_f32_f64_e32 v31, v[147:148]
	v_cvt_f32_f64_e32 v32, v[145:146]
	v_min3_f32 v105, v31, v32, v105
	v_cvt_f32_f64_e32 v31, v[151:152]
	v_cvt_f32_f64_e32 v32, v[149:150]
	s_delay_alu instid0(VALU_DEP_1)
	v_min3_f32 v102, v31, v32, v102
	s_cbranch_vccz .LBB123_45
; %bb.46:
	s_clause 0x1
	scratch_load_b32 v0, off, off offset:372
	scratch_load_b64 v[1:2], off, off offset:312
	v_dual_mov_b32 v191, v74 :: v_dual_mov_b32 v246, v56
	v_dual_mov_b32 v137, v72 :: v_dual_mov_b32 v128, v70
	;; [unrolled: 1-line block ×4, first 2 shown]
	s_add_i32 s20, s20, 8
	s_add_i32 s18, s18, 8
	s_cmp_ge_i32 s20, s19
	s_waitcnt vmcnt(0)
	ds_store_b64 v0, v[1:2]
	s_clause 0x2
	scratch_load_b32 v0, off, off offset:376
	scratch_load_b64 v[1:2], off, off offset:320
	scratch_load_b64 v[3:4], off, off offset:328
	s_waitcnt vmcnt(0)
	ds_store_2addr_stride64_b64 v0, v[1:2], v[3:4] offset1:4
	s_clause 0x1
	scratch_load_b64 v[1:2], off, off offset:336
	scratch_load_b64 v[3:4], off, off offset:344
	s_waitcnt vmcnt(0)
	ds_store_2addr_stride64_b64 v0, v[1:2], v[3:4] offset0:8 offset1:12
	s_waitcnt lgkmcnt(0)
	s_waitcnt_vscnt null, 0x0
	s_barrier
	buffer_gl0_inv
	s_cbranch_scc1 .LBB123_49
; %bb.47:
	scratch_load_b32 v23, off, off offset:288 ; 4-byte Folded Reload
	v_dual_mov_b32 v144, v57 :: v_dual_mov_b32 v45, v71
	v_dual_mov_b32 v236, v58 :: v_dual_mov_b32 v71, v95
	v_dual_mov_b32 v240, v59 :: v_dual_mov_b32 v239, v102
	v_dual_mov_b32 v44, v69 :: v_dual_mov_b32 v235, v98
	v_mov_b32_e32 v54, v73
	v_mov_b32_e32 v192, v75
	;; [unrolled: 1-line block ×3, first 2 shown]
	v_dual_mov_b32 v102, v103 :: v_dual_mov_b32 v103, v105
	v_dual_mov_b32 v202, v99 :: v_dual_mov_b32 v75, v94
	v_mov_b32_e32 v208, v104
	s_and_b32 vcc_lo, exec_lo, s3
	s_cbranch_vccz .LBB123_25
	s_branch .LBB123_26
.LBB123_48:
	v_dual_mov_b32 v57, v144 :: v_dual_mov_b32 v64, v213
	v_dual_mov_b32 v111, v211 :: v_dual_mov_b32 v50, v212
	s_branch .LBB123_50
.LBB123_49:
	scratch_load_b32 v23, off, off offset:288 ; 4-byte Folded Reload
	v_dual_mov_b32 v236, v58 :: v_dual_mov_b32 v111, v73
	v_dual_mov_b32 v240, v59 :: v_dual_mov_b32 v239, v102
	v_dual_mov_b32 v50, v69 :: v_dual_mov_b32 v235, v98
	v_mov_b32_e32 v64, v71
	v_mov_b32_e32 v192, v75
	;; [unrolled: 1-line block ×3, first 2 shown]
	v_dual_mov_b32 v102, v103 :: v_dual_mov_b32 v103, v105
	v_mov_b32_e32 v202, v99
	v_mov_b32_e32 v208, v104
.LBB123_50:
	s_delay_alu instid0(VALU_DEP_1) | instskip(NEXT) | instid1(VALU_DEP_3)
	v_dual_mov_b32 v110, v208 :: v_dual_mov_b32 v65, v57
	v_dual_mov_b32 v112, v202 :: v_dual_mov_b32 v63, v240
	;; [unrolled: 1-line block ×5, first 2 shown]
	v_mov_b32_e32 v60, v193
	v_mov_b32_e32 v94, v95
	;; [unrolled: 1-line block ×3, first 2 shown]
	s_mov_b32 s12, 0
	s_mov_b32 s3, -1
.LBB123_51:                             ; =>This Inner Loop Header: Depth=1
	s_lshl_b32 s12, s12, 3
	v_dual_mov_b32 v242, v124 :: v_dual_mov_b32 v247, v195
	s_waitcnt vmcnt(0)
	v_lshl_add_u32 v4, v23, 5, s12
	v_lshl_add_u32 v5, v90, 5, s12
	v_dual_mov_b32 v197, v131 :: v_dual_mov_b32 v238, v224
	ds_load_b128 v[32:35], v4 offset:8192
	ds_load_b128 v[0:3], v5 offset:18432
	;; [unrolled: 1-line block ×4, first 2 shown]
	v_dual_mov_b32 v224, v50 :: v_dual_mov_b32 v131, v199
	s_mov_b32 s12, 2
	s_and_not1_b32 vcc_lo, exec_lo, s3
	s_mov_b32 s3, 0
	v_mov_b32_e32 v254, v120
	v_dual_mov_b32 v120, v130 :: v_dual_mov_b32 v77, v125
	v_dual_mov_b32 v37, v122 :: v_dual_mov_b32 v122, v64
	s_waitcnt lgkmcnt(2)
	v_add_f64 v[82:83], v[0:1], v[32:33]
	s_waitcnt lgkmcnt(1)
	v_add_f64 v[6:7], v[80:81], v[34:35]
	v_add_f64 v[66:67], v[2:3], v[34:35]
	scratch_store_b64 off, v[6:7], off offset:24 ; 8-byte Folded Spill
	v_add_f64 v[6:7], v[78:79], v[32:33]
	v_cvt_f32_f64_e32 v66, v[66:67]
	scratch_store_b64 off, v[6:7], off offset:80 ; 8-byte Folded Spill
	ds_load_b128 v[72:75], v5 offset:18944
	ds_load_b128 v[144:147], v5 offset:19200
	s_waitcnt lgkmcnt(1)
	v_add_f64 v[6:7], v[74:75], v[34:35]
	scratch_store_b64 off, v[6:7], off offset:56 ; 8-byte Folded Spill
	v_add_f64 v[6:7], v[72:73], v[32:33]
	scratch_store_b64 off, v[6:7], off offset:112 ; 8-byte Folded Spill
	s_waitcnt lgkmcnt(0)
	v_add_f64 v[6:7], v[146:147], v[34:35]
	scratch_store_b64 off, v[6:7], off offset:32 ; 8-byte Folded Spill
	v_add_f64 v[6:7], v[144:145], v[32:33]
	scratch_store_b64 off, v[6:7], off offset:88 ; 8-byte Folded Spill
	ds_load_b128 v[148:151], v5 offset:19456
	ds_load_b128 v[152:155], v5 offset:19712
	s_waitcnt lgkmcnt(1)
	v_add_f64 v[6:7], v[150:151], v[34:35]
	scratch_store_b64 off, v[6:7], off offset:64 ; 8-byte Folded Spill
	v_add_f64 v[6:7], v[148:149], v[32:33]
	scratch_store_b64 off, v[6:7], off offset:120 ; 8-byte Folded Spill
	s_waitcnt lgkmcnt(0)
	v_add_f64 v[6:7], v[154:155], v[34:35]
	scratch_store_b64 off, v[6:7], off offset:40 ; 8-byte Folded Spill
	v_add_f64 v[6:7], v[152:153], v[32:33]
	;; [unrolled: 12-line block ×3, first 2 shown]
	v_add_f64 v[31:32], v[156:157], v[68:69]
	v_cvt_f32_f64_e32 v33, v[82:83]
	scratch_store_b64 off, v[5:6], off offset:104 ; 8-byte Folded Spill
	v_add_f64 v[5:6], v[2:3], v[70:71]
	v_min3_f32 v143, v33, v66, v143
	scratch_store_b64 off, v[5:6], off offset:136 ; 8-byte Folded Spill
	v_add_f64 v[5:6], v[0:1], v[68:69]
	scratch_store_b64 off, v[5:6], off offset:144 ; 8-byte Folded Spill
	v_add_f64 v[5:6], v[80:81], v[70:71]
	;; [unrolled: 2-line block ×14, first 2 shown]
	scratch_store_b64 off, v[5:6], off offset:248 ; 8-byte Folded Spill
	ds_load_b128 v[68:71], v4 offset:10240
	ds_load_b128 v[164:167], v4 offset:11264
	scratch_load_b32 v11, off, off offset:16 ; 4-byte Folded Reload
	s_waitcnt lgkmcnt(1)
	v_add_f64 v[7:8], v[158:159], v[70:71]
	v_add_f64 v[5:6], v[154:155], v[70:71]
	;; [unrolled: 1-line block ×12, first 2 shown]
	s_waitcnt lgkmcnt(0)
	v_add_f64 v[116:117], v[2:3], v[166:167]
	v_add_f64 v[118:119], v[0:1], v[164:165]
	;; [unrolled: 1-line block ×16, first 2 shown]
	scratch_store_b64 off, v[7:8], off offset:264 ; 8-byte Folded Spill
	v_add_f64 v[7:8], v[156:157], v[68:69]
	scratch_store_b64 off, v[7:8], off offset:296 ; 8-byte Folded Spill
	v_add_f64 v[7:8], v[162:163], v[70:71]
	scratch_store_b64 off, v[5:6], off offset:272 ; 8-byte Folded Spill
	v_mov_b32_e32 v6, v235
	v_mov_b32_e32 v235, v107
	v_add_f64 v[106:107], v[152:153], v[68:69]
	v_dual_mov_b32 v5, v226 :: v_dual_mov_b32 v234, v200
	v_mov_b32_e32 v202, v204
	scratch_store_b64 off, v[7:8], off offset:256 ; 8-byte Folded Spill
	v_add_f64 v[7:8], v[160:161], v[68:69]
	scratch_store_b64 off, v[7:8], off offset:280 ; 8-byte Folded Spill
	ds_load_b128 v[68:71], v4 offset:12288
	ds_load_b128 v[164:167], v4 offset:13312
	s_waitcnt lgkmcnt(1)
	v_add_f64 v[184:185], v[2:3], v[70:71]
	v_add_f64 v[186:187], v[0:1], v[68:69]
	;; [unrolled: 1-line block ×16, first 2 shown]
	s_waitcnt lgkmcnt(0)
	v_add_f64 v[216:217], v[2:3], v[166:167]
	v_add_f64 v[218:219], v[0:1], v[164:165]
	;; [unrolled: 1-line block ×16, first 2 shown]
	ds_load_b128 v[68:71], v4 offset:14336
	ds_load_b128 v[164:167], v4 offset:15360
	s_clause 0x1
	scratch_load_b64 v[33:34], off, off offset:80
	scratch_load_b64 v[66:67], off, off offset:24
	s_waitcnt lgkmcnt(1)
	v_add_f64 v[12:13], v[80:81], v[70:71]
	v_add_f64 v[7:8], v[78:79], v[68:69]
	;; [unrolled: 1-line block ×7, first 2 shown]
	s_waitcnt lgkmcnt(0)
	v_add_f64 v[2:3], v[2:3], v[166:167]
	v_add_f64 v[0:1], v[0:1], v[164:165]
	;; [unrolled: 1-line block ×25, first 2 shown]
	v_cvt_f32_f64_e32 v4, v[7:8]
	v_cvt_f32_f64_e32 v0, v[0:1]
	;; [unrolled: 1-line block ×3, first 2 shown]
	s_delay_alu instid0(VALU_DEP_1)
	v_min3_f32 v126, v0, v1, v126
	v_cvt_f32_f64_e32 v0, v[78:79]
	v_cvt_f32_f64_e32 v1, v[80:81]
	s_waitcnt vmcnt(1)
	v_cvt_f32_f64_e32 v33, v[33:34]
	s_waitcnt vmcnt(0)
	v_cvt_f32_f64_e32 v66, v[66:67]
	s_delay_alu instid0(VALU_DEP_1)
	v_min3_f32 v142, v33, v66, v142
	s_clause 0x1
	scratch_load_b64 v[33:34], off, off offset:112
	scratch_load_b64 v[66:67], off, off offset:56
	s_waitcnt vmcnt(1)
	v_cvt_f32_f64_e32 v33, v[33:34]
	s_waitcnt vmcnt(0)
	v_cvt_f32_f64_e32 v66, v[66:67]
	s_delay_alu instid0(VALU_DEP_1)
	v_min3_f32 v141, v33, v66, v141
	s_clause 0x1
	scratch_load_b64 v[33:34], off, off offset:88
	scratch_load_b64 v[66:67], off, off offset:32
	;; [unrolled: 9-line block ×5, first 2 shown]
	s_waitcnt vmcnt(1)
	v_cvt_f32_f64_e32 v33, v[33:34]
	s_waitcnt vmcnt(0)
	v_cvt_f32_f64_e32 v64, v[66:67]
	scratch_load_b64 v[66:67], off, off offset:48 ; 8-byte Folded Reload
	v_min3_f32 v135, v33, v64, v135
	scratch_load_b64 v[33:34], off, off offset:104 ; 8-byte Folded Reload
	s_waitcnt vmcnt(1)
	v_cvt_f32_f64_e32 v64, v[66:67]
	scratch_load_b64 v[66:67], off, off offset:136 ; 8-byte Folded Reload
	s_waitcnt vmcnt(1)
	v_cvt_f32_f64_e32 v33, v[33:34]
	s_delay_alu instid0(VALU_DEP_1)
	v_min3_f32 v134, v33, v64, v134
	scratch_load_b64 v[33:34], off, off offset:144 ; 8-byte Folded Reload
	v_mov_b32_e32 v64, v122
	v_mov_b32_e32 v122, v37
	s_waitcnt vmcnt(0)
	v_cvt_f32_f64_e32 v33, v[33:34]
	v_cvt_f32_f64_e32 v34, v[66:67]
	scratch_load_b64 v[66:67], off, off offset:152 ; 8-byte Folded Reload
	v_min3_f32 v133, v33, v34, v133
	scratch_load_b64 v[33:34], off, off offset:160 ; 8-byte Folded Reload
	s_waitcnt vmcnt(0)
	v_cvt_f32_f64_e32 v33, v[33:34]
	v_cvt_f32_f64_e32 v34, v[66:67]
	scratch_load_b64 v[66:67], off, off offset:168 ; 8-byte Folded Reload
	v_min3_f32 v28, v33, v34, v28
	scratch_load_b64 v[33:34], off, off offset:176 ; 8-byte Folded Reload
	;; [unrolled: 6-line block ×5, first 2 shown]
	s_waitcnt vmcnt(0)
	v_cvt_f32_f64_e32 v33, v[33:34]
	v_cvt_f32_f64_e32 v34, v[66:67]
	s_delay_alu instid0(VALU_DEP_1)
	v_min3_f32 v123, v33, v34, v123
	v_cvt_f32_f64_e32 v33, v[31:32]
	s_clause 0x1
	scratch_load_b64 v[31:32], off, off offset:232
	scratch_load_b32 v34, off, off offset:12
	s_waitcnt vmcnt(1)
	v_cvt_f32_f64_e32 v31, v[31:32]
	s_delay_alu instid0(VALU_DEP_1)
	v_min3_f32 v121, v33, v31, v121
	scratch_load_b64 v[31:32], off, off offset:248 ; 8-byte Folded Reload
	s_waitcnt vmcnt(0)
	v_cvt_f32_f64_e32 v31, v[31:32]
	scratch_load_b64 v[32:33], off, off offset:240 ; 8-byte Folded Reload
	s_waitcnt vmcnt(0)
	v_cvt_f32_f64_e32 v32, v[32:33]
	s_delay_alu instid0(VALU_DEP_1) | instskip(SKIP_2) | instid1(VALU_DEP_1)
	v_min3_f32 v132, v31, v32, v132
	v_cvt_f32_f64_e32 v31, v[86:87]
	v_cvt_f32_f64_e32 v32, v[88:89]
	v_min3_f32 v110, v31, v32, v110
	v_cvt_f32_f64_e32 v31, v[90:91]
	v_cvt_f32_f64_e32 v32, v[96:97]
	scratch_load_b32 v90, off, off offset:292 ; 4-byte Folded Reload
	v_min3_f32 v94, v31, v32, v94
	v_cvt_f32_f64_e32 v31, v[92:93]
	v_cvt_f32_f64_e32 v32, v[100:101]
	s_delay_alu instid0(VALU_DEP_1) | instskip(SKIP_2) | instid1(VALU_DEP_1)
	v_min3_f32 v95, v31, v32, v95
	v_cvt_f32_f64_e32 v31, v[98:99]
	v_cvt_f32_f64_e32 v32, v[108:109]
	v_min3_f32 v113, v31, v32, v113
	v_cvt_f32_f64_e32 v31, v[104:105]
	v_cvt_f32_f64_e32 v32, v[114:115]
	s_delay_alu instid0(VALU_DEP_1)
	v_min3_f32 v112, v31, v32, v112
	scratch_load_b64 v[32:33], off, off offset:272 ; 8-byte Folded Reload
	v_cvt_f32_f64_e32 v31, v[106:107]
	v_mov_b32_e32 v107, v235
	v_mov_b32_e32 v235, v6
	s_waitcnt vmcnt(0)
	v_cvt_f32_f64_e32 v32, v[32:33]
	s_delay_alu instid0(VALU_DEP_1)
	v_min3_f32 v11, v31, v32, v11
	scratch_load_b64 v[31:32], off, off offset:296 ; 8-byte Folded Reload
	s_waitcnt vmcnt(0)
	v_cvt_f32_f64_e32 v31, v[31:32]
	scratch_load_b64 v[32:33], off, off offset:264 ; 8-byte Folded Reload
	s_waitcnt vmcnt(0)
	v_cvt_f32_f64_e32 v32, v[32:33]
	s_delay_alu instid0(VALU_DEP_1)
	v_min3_f32 v235, v31, v32, v235
	scratch_load_b64 v[31:32], off, off offset:280 ; 8-byte Folded Reload
	s_waitcnt vmcnt(0)
	v_cvt_f32_f64_e32 v31, v[31:32]
	scratch_load_b64 v[32:33], off, off offset:256 ; 8-byte Folded Reload
	s_waitcnt vmcnt(0)
	v_cvt_f32_f64_e32 v32, v[32:33]
	scratch_load_b32 v33, off, off offset:8 ; 4-byte Folded Reload
	v_min3_f32 v102, v31, v32, v102
	v_cvt_f32_f64_e32 v31, v[118:119]
	v_cvt_f32_f64_e32 v32, v[116:117]
	s_delay_alu instid0(VALU_DEP_1) | instskip(SKIP_4) | instid1(VALU_DEP_3)
	v_min3_f32 v103, v31, v32, v103
	v_cvt_f32_f64_e32 v31, v[129:130]
	v_cvt_f32_f64_e32 v32, v[84:85]
	v_mov_b32_e32 v130, v120
	v_mov_b32_e32 v120, v254
	v_min3_f32 v239, v31, v32, v239
	v_cvt_f32_f64_e32 v31, v[54:55]
	v_cvt_f32_f64_e32 v32, v[124:125]
	v_dual_mov_b32 v125, v77 :: v_dual_mov_b32 v124, v242
	s_delay_alu instid0(VALU_DEP_1)
	v_min3_f32 v125, v0, v1, v125
	v_cvt_f32_f64_e32 v0, v[72:73]
	v_cvt_f32_f64_e32 v1, v[74:75]
	v_min3_f32 v107, v31, v32, v107
	v_cvt_f32_f64_e32 v31, v[52:53]
	v_cvt_f32_f64_e32 v32, v[56:57]
	s_delay_alu instid0(VALU_DEP_4) | instskip(SKIP_2) | instid1(VALU_DEP_4)
	v_min3_f32 v124, v0, v1, v124
	v_cvt_f32_f64_e32 v0, v[144:145]
	v_cvt_f32_f64_e32 v1, v[146:147]
	v_min3_f32 v138, v31, v32, v138
	v_cvt_f32_f64_e32 v31, v[170:171]
	v_cvt_f32_f64_e32 v32, v[168:169]
	s_delay_alu instid0(VALU_DEP_1) | instskip(SKIP_2) | instid1(VALU_DEP_1)
	v_min3_f32 v61, v31, v32, v61
	v_cvt_f32_f64_e32 v31, v[174:175]
	v_cvt_f32_f64_e32 v32, v[172:173]
	v_min3_f32 v60, v31, v32, v60
	v_cvt_f32_f64_e32 v31, v[178:179]
	v_cvt_f32_f64_e32 v32, v[176:177]
	s_delay_alu instid0(VALU_DEP_1) | instskip(SKIP_2) | instid1(VALU_DEP_1)
	;; [unrolled: 7-line block ×3, first 2 shown]
	v_min3_f32 v111, v31, v32, v111
	v_cvt_f32_f64_e32 v31, v[190:191]
	v_cvt_f32_f64_e32 v32, v[188:189]
	v_min3_f32 v137, v31, v32, v137
	v_cvt_f32_f64_e32 v31, v[194:195]
	v_cvt_f32_f64_e32 v32, v[192:193]
	v_mov_b32_e32 v195, v247
	s_delay_alu instid0(VALU_DEP_2)
	v_min3_f32 v64, v31, v32, v64
	v_cvt_f32_f64_e32 v31, v[198:199]
	v_cvt_f32_f64_e32 v32, v[50:51]
	v_mov_b32_e32 v50, v224
	v_dual_mov_b32 v224, v238 :: v_dual_mov_b32 v199, v131
	v_mov_b32_e32 v131, v197
	s_delay_alu instid0(VALU_DEP_4) | instskip(SKIP_3) | instid1(VALU_DEP_2)
	v_min3_f32 v128, v31, v32, v128
	v_cvt_f32_f64_e32 v31, v[48:49]
	v_cvt_f32_f64_e32 v32, v[200:201]
	v_mov_b32_e32 v200, v234
	v_min3_f32 v50, v31, v32, v50
	v_cvt_f32_f64_e32 v31, v[206:207]
	v_cvt_f32_f64_e32 v32, v[204:205]
	v_mov_b32_e32 v204, v202
	s_delay_alu instid0(VALU_DEP_2) | instskip(SKIP_2) | instid1(VALU_DEP_1)
	v_min3_f32 v245, v31, v32, v245
	v_cvt_f32_f64_e32 v31, v[210:211]
	v_cvt_f32_f64_e32 v32, v[208:209]
	v_min3_f32 v76, v31, v32, v76
	v_cvt_f32_f64_e32 v31, v[214:215]
	v_cvt_f32_f64_e32 v32, v[212:213]
	s_delay_alu instid0(VALU_DEP_1) | instskip(SKIP_2) | instid1(VALU_DEP_1)
	v_min3_f32 v63, v31, v32, v63
	v_cvt_f32_f64_e32 v31, v[218:219]
	v_cvt_f32_f64_e32 v32, v[216:217]
	v_min3_f32 v62, v31, v32, v62
	v_cvt_f32_f64_e32 v31, v[222:223]
	v_cvt_f32_f64_e32 v32, v[220:221]
	s_delay_alu instid0(VALU_DEP_1) | instskip(SKIP_4) | instid1(VALU_DEP_3)
	v_min3_f32 v65, v31, v32, v65
	v_cvt_f32_f64_e32 v31, v[226:227]
	v_cvt_f32_f64_e32 v32, v[46:47]
	v_mov_b32_e32 v226, v5
	v_cvt_f32_f64_e32 v5, v[12:13]
	v_min3_f32 v246, v31, v32, v246
	v_cvt_f32_f64_e32 v31, v[230:231]
	v_cvt_f32_f64_e32 v32, v[228:229]
	s_delay_alu instid0(VALU_DEP_4) | instskip(SKIP_2) | instid1(VALU_DEP_4)
	v_min3_f32 v199, v4, v5, v199
	v_cvt_f32_f64_e32 v4, v[9:10]
	v_cvt_f32_f64_e32 v5, v[16:17]
	v_min3_f32 v224, v31, v32, v224
	v_cvt_f32_f64_e32 v31, v[44:45]
	v_cvt_f32_f64_e32 v32, v[232:233]
	s_delay_alu instid0(VALU_DEP_4)
	v_min3_f32 v131, v4, v5, v131
	v_cvt_f32_f64_e32 v5, v[22:23]
	scratch_load_b32 v23, off, off offset:288 ; 4-byte Folded Reload
	v_cvt_f32_f64_e32 v4, v[14:15]
	v_min3_f32 v225, v31, v32, v225
	v_cvt_f32_f64_e32 v31, v[42:43]
	v_cvt_f32_f64_e32 v32, v[236:237]
	s_delay_alu instid0(VALU_DEP_4) | instskip(SKIP_2) | instid1(VALU_DEP_4)
	v_min3_f32 v195, v4, v5, v195
	v_cvt_f32_f64_e32 v4, v[18:19]
	v_cvt_f32_f64_e32 v5, v[26:27]
	v_min3_f32 v226, v31, v32, v226
	v_cvt_f32_f64_e32 v31, v[20:21]
	s_clause 0x1
	scratch_load_b32 v20, off, off
	scratch_load_b32 v21, off, off offset:4
	v_cvt_f32_f64_e32 v32, v[240:241]
	s_waitcnt vmcnt(3)
	v_min3_f32 v33, v4, v5, v33
	v_cvt_f32_f64_e32 v4, v[24:25]
	v_cvt_f32_f64_e32 v5, v[35:36]
	s_delay_alu instid0(VALU_DEP_4) | instskip(SKIP_2) | instid1(VALU_DEP_4)
	v_min3_f32 v204, v31, v32, v204
	v_cvt_f32_f64_e32 v31, v[248:249]
	v_cvt_f32_f64_e32 v32, v[40:41]
	v_min3_f32 v130, v4, v5, v130
	v_cvt_f32_f64_e32 v4, v[29:30]
	v_cvt_f32_f64_e32 v5, v[38:39]
	s_delay_alu instid0(VALU_DEP_4) | instskip(SKIP_2) | instid1(VALU_DEP_4)
	v_min3_f32 v203, v31, v32, v203
	v_cvt_f32_f64_e32 v31, v[252:253]
	v_cvt_f32_f64_e32 v32, v[250:251]
	v_min3_f32 v34, v4, v5, v34
	v_cvt_f32_f64_e32 v4, v[68:69]
	v_cvt_f32_f64_e32 v5, v[70:71]
	scratch_store_b32 off, v34, off offset:12 ; 4-byte Folded Spill
	v_min3_f32 v200, v31, v32, v200
	v_min3_f32 v127, v4, v5, v127
	s_waitcnt vmcnt(0)
	v_min3_f32 v21, v0, v1, v21
	v_cvt_f32_f64_e32 v0, v[148:149]
	v_cvt_f32_f64_e32 v1, v[150:151]
	s_delay_alu instid0(VALU_DEP_1) | instskip(SKIP_2) | instid1(VALU_DEP_1)
	v_min3_f32 v244, v0, v1, v244
	v_cvt_f32_f64_e32 v0, v[152:153]
	v_cvt_f32_f64_e32 v1, v[154:155]
	v_min3_f32 v122, v0, v1, v122
	v_cvt_f32_f64_e32 v0, v[156:157]
	v_cvt_f32_f64_e32 v1, v[158:159]
	s_delay_alu instid0(VALU_DEP_1) | instskip(SKIP_2) | instid1(VALU_DEP_1)
	v_min3_f32 v120, v0, v1, v120
	v_cvt_f32_f64_e32 v0, v[160:161]
	v_cvt_f32_f64_e32 v1, v[162:163]
	v_min3_f32 v20, v0, v1, v20
	s_clause 0x3
	scratch_store_b32 off, v33, off offset:8
	scratch_store_b32 off, v11, off offset:16
	;; [unrolled: 1-line block ×3, first 2 shown]
	scratch_store_b32 off, v20, off
	s_cbranch_vccz .LBB123_51
; %bb.52:
	s_clause 0x2
	s_load_b32 s12, s[0:1], 0x70
	s_load_b32 s3, s[0:1], 0x58
	s_load_b64 s[0:1], s[0:1], 0x78
	v_add_nc_u32_e32 v18, s7, v23
	v_dual_mov_b32 v45, v94 :: v_dual_add_nc_u32 v12, s6, v90
	v_mov_b32_e32 v44, v113
	s_delay_alu instid0(VALU_DEP_2) | instskip(SKIP_1) | instid1(VALU_DEP_1)
	v_ashrrev_i32_e32 v13, 31, v12
	v_add_nc_u32_e32 v2, 8, v12
	v_ashrrev_i32_e32 v3, 31, v2
	s_waitcnt lgkmcnt(0)
	v_mad_i64_i32 v[0:1], null, v18, s12, 0
	v_mad_i64_i32 v[4:5], null, v18, s3, 0
	s_lshl_b64 s[0:1], s[0:1], 3
	s_delay_alu instid0(SALU_CYCLE_1) | instskip(SKIP_1) | instid1(VALU_DEP_2)
	s_add_u32 s4, s4, s0
	s_addc_u32 s5, s5, s1
	v_lshlrev_b64 v[6:7], 3, v[0:1]
	v_lshlrev_b64 v[0:1], 3, v[12:13]
	s_delay_alu instid0(VALU_DEP_3) | instskip(NEXT) | instid1(VALU_DEP_3)
	v_lshlrev_b64 v[4:5], 3, v[4:5]
	v_add_co_u32 v19, vcc_lo, s4, v6
	s_delay_alu instid0(VALU_DEP_4) | instskip(NEXT) | instid1(VALU_DEP_3)
	v_add_co_ci_u32_e32 v22, vcc_lo, s5, v7, vcc_lo
	v_add_co_u32 v16, vcc_lo, s8, v4
	s_delay_alu instid0(VALU_DEP_4)
	v_add_co_ci_u32_e32 v17, vcc_lo, s9, v5, vcc_lo
	v_max_f32_e32 v4, v143, v143
	s_mov_b32 vcc_lo, s2
	s_cbranch_vccz .LBB123_54
; %bb.53:
	s_delay_alu instid0(VALU_DEP_1) | instskip(SKIP_2) | instid1(VALU_DEP_3)
	v_min_f32_e32 v5, 0, v4
	v_add_co_u32 v7, vcc_lo, v19, v0
	v_add_co_ci_u32_e32 v8, vcc_lo, v22, v1, vcc_lo
	v_cvt_f64_f32_e32 v[5:6], v5
	s_mov_b32 s6, 0
	s_mov_b64 s[0:1], 0
	global_store_b64 v[7:8], v[5:6], off
	s_branch .LBB123_55
.LBB123_54:
	s_mov_b32 s6, -1
                                        ; implicit-def: $sgpr0_sgpr1
.LBB123_55:
	v_lshlrev_b64 v[2:3], 3, v[2:3]
	v_dual_mov_b32 v37, v63 :: v_dual_mov_b32 v42, v61
	v_mov_b32_e32 v40, v59
	s_and_not1_b32 vcc_lo, exec_lo, s6
	s_cbranch_vccnz .LBB123_57
; %bb.56:
	v_add_co_u32 v5, vcc_lo, v16, v0
	v_add_co_ci_u32_e32 v6, vcc_lo, v17, v1, vcc_lo
	flat_load_b64 v[5:6], v[5:6]
	s_waitcnt vmcnt(0) lgkmcnt(0)
	v_mul_f64 v[5:6], s[10:11], v[5:6]
	s_delay_alu instid0(VALU_DEP_1)
	v_cvt_f32_f64_e32 v5, v[5:6]
	v_add_co_u32 v6, vcc_lo, v19, v0
	v_add_co_ci_u32_e32 v7, vcc_lo, v22, v1, vcc_lo
	v_add_co_u32 v8, vcc_lo, v16, v2
	v_add_co_ci_u32_e32 v9, vcc_lo, v17, v3, vcc_lo
	v_min_f32_e32 v4, v5, v4
	s_delay_alu instid0(VALU_DEP_1)
	v_cvt_f64_f32_e32 v[4:5], v4
	global_store_b64 v[6:7], v[4:5], off
	flat_load_b64 v[4:5], v[8:9]
	s_waitcnt vmcnt(0) lgkmcnt(0)
	v_mul_f64 v[4:5], s[10:11], v[4:5]
	s_branch .LBB123_58
.LBB123_57:
	v_dual_mov_b32 v5, s1 :: v_dual_mov_b32 v4, s0
.LBB123_58:
	s_delay_alu instid0(VALU_DEP_1) | instskip(SKIP_4) | instid1(VALU_DEP_4)
	v_cvt_f32_f64_e32 v4, v[4:5]
	v_dual_max_f32 v5, v142, v142 :: v_dual_add_nc_u32 v6, 24, v12
	v_add_co_u32 v13, vcc_lo, v19, v2
	v_add_co_ci_u32_e32 v14, vcc_lo, v22, v3, vcc_lo
	v_max_f32_e32 v8, v141, v141
	v_ashrrev_i32_e32 v7, 31, v6
	s_mov_b32 vcc_lo, s2
	v_min_f32_e32 v4, v4, v5
	s_delay_alu instid0(VALU_DEP_1) | instskip(SKIP_1) | instid1(VALU_DEP_1)
	v_cvt_f64_f32_e32 v[9:10], v4
	v_add_nc_u32_e32 v4, 16, v12
	v_ashrrev_i32_e32 v5, 31, v4
	s_delay_alu instid0(VALU_DEP_1)
	v_lshlrev_b64 v[4:5], 3, v[4:5]
	global_store_b64 v[13:14], v[9:10], off
	s_cbranch_vccz .LBB123_61
; %bb.59:
	v_min_f32_e32 v9, 0, v8
	v_add_co_u32 v13, vcc_lo, v19, v4
	v_add_co_ci_u32_e32 v14, vcc_lo, v22, v5, vcc_lo
	s_delay_alu instid0(VALU_DEP_3)
	v_cvt_f64_f32_e32 v[9:10], v9
	s_mov_b64 s[0:1], 0
	global_store_b64 v[13:14], v[9:10], off
	v_lshlrev_b64 v[6:7], 3, v[6:7]
	s_cbranch_execz .LBB123_62
; %bb.60:
	v_dual_mov_b32 v9, s1 :: v_dual_mov_b32 v8, s0
	s_branch .LBB123_63
.LBB123_61:
                                        ; implicit-def: $sgpr0_sgpr1
	v_lshlrev_b64 v[6:7], 3, v[6:7]
.LBB123_62:
	v_add_co_u32 v9, vcc_lo, v16, v4
	v_add_co_ci_u32_e32 v10, vcc_lo, v17, v5, vcc_lo
	flat_load_b64 v[9:10], v[9:10]
	s_waitcnt vmcnt(0) lgkmcnt(0)
	v_mul_f64 v[9:10], s[10:11], v[9:10]
	s_delay_alu instid0(VALU_DEP_1)
	v_cvt_f32_f64_e32 v9, v[9:10]
	v_add_co_u32 v10, vcc_lo, v19, v4
	v_add_co_ci_u32_e32 v11, vcc_lo, v22, v5, vcc_lo
	v_add_co_u32 v13, vcc_lo, v16, v6
	v_add_co_ci_u32_e32 v14, vcc_lo, v17, v7, vcc_lo
	v_min_f32_e32 v8, v9, v8
	s_delay_alu instid0(VALU_DEP_1)
	v_cvt_f64_f32_e32 v[8:9], v8
	global_store_b64 v[10:11], v[8:9], off
	flat_load_b64 v[8:9], v[13:14]
	s_waitcnt vmcnt(0) lgkmcnt(0)
	v_mul_f64 v[8:9], s[10:11], v[8:9]
.LBB123_63:
	s_delay_alu instid0(VALU_DEP_1) | instskip(SKIP_4) | instid1(VALU_DEP_3)
	v_cvt_f32_f64_e32 v8, v[8:9]
	v_max_f32_e32 v9, v140, v140
	v_add_nc_u32_e32 v10, 40, v12
	v_add_co_u32 v23, vcc_lo, v19, v6
	v_add_co_ci_u32_e32 v24, vcc_lo, v22, v7, vcc_lo
	v_ashrrev_i32_e32 v11, 31, v10
	s_mov_b32 vcc_lo, s2
	v_dual_max_f32 v13, v139, v139 :: v_dual_min_f32 v8, v8, v9
	s_delay_alu instid0(VALU_DEP_1) | instskip(SKIP_1) | instid1(VALU_DEP_1)
	v_cvt_f64_f32_e32 v[14:15], v8
	v_add_nc_u32_e32 v8, 32, v12
	v_ashrrev_i32_e32 v9, 31, v8
	s_delay_alu instid0(VALU_DEP_1)
	v_lshlrev_b64 v[8:9], 3, v[8:9]
	global_store_b64 v[23:24], v[14:15], off
	s_cbranch_vccz .LBB123_66
; %bb.64:
	v_min_f32_e32 v14, 0, v13
	v_add_co_u32 v23, vcc_lo, v19, v8
	v_add_co_ci_u32_e32 v24, vcc_lo, v22, v9, vcc_lo
	s_delay_alu instid0(VALU_DEP_3)
	v_cvt_f64_f32_e32 v[14:15], v14
	s_mov_b64 s[0:1], 0
	global_store_b64 v[23:24], v[14:15], off
	v_lshlrev_b64 v[10:11], 3, v[10:11]
	s_cbranch_execz .LBB123_67
; %bb.65:
	v_dual_mov_b32 v14, s1 :: v_dual_mov_b32 v13, s0
	s_branch .LBB123_68
.LBB123_66:
                                        ; implicit-def: $sgpr0_sgpr1
	v_lshlrev_b64 v[10:11], 3, v[10:11]
.LBB123_67:
	v_add_co_u32 v14, vcc_lo, v16, v8
	v_add_co_ci_u32_e32 v15, vcc_lo, v17, v9, vcc_lo
	v_add_co_u32 v23, vcc_lo, v19, v8
	v_add_co_ci_u32_e32 v24, vcc_lo, v22, v9, vcc_lo
	flat_load_b64 v[14:15], v[14:15]
	v_add_co_u32 v25, vcc_lo, v16, v10
	v_add_co_ci_u32_e32 v26, vcc_lo, v17, v11, vcc_lo
	s_waitcnt vmcnt(0) lgkmcnt(0)
	v_mul_f64 v[14:15], s[10:11], v[14:15]
	s_delay_alu instid0(VALU_DEP_1) | instskip(NEXT) | instid1(VALU_DEP_1)
	v_cvt_f32_f64_e32 v14, v[14:15]
	v_min_f32_e32 v13, v14, v13
	s_delay_alu instid0(VALU_DEP_1)
	v_cvt_f64_f32_e32 v[13:14], v13
	global_store_b64 v[23:24], v[13:14], off
	flat_load_b64 v[13:14], v[25:26]
	s_waitcnt vmcnt(0) lgkmcnt(0)
	v_mul_f64 v[13:14], s[10:11], v[13:14]
.LBB123_68:
	s_delay_alu instid0(VALU_DEP_1)
	v_cvt_f32_f64_e32 v13, v[13:14]
	v_dual_max_f32 v14, v136, v136 :: v_dual_max_f32 v23, v135, v135
	v_add_co_u32 v29, vcc_lo, v19, v10
	v_add_co_ci_u32_e32 v30, vcc_lo, v22, v11, vcc_lo
	s_mov_b32 vcc_lo, s2
	v_add_nc_u32_e32 v26, 48, v12
	s_delay_alu instid0(VALU_DEP_1) | instskip(SKIP_1) | instid1(VALU_DEP_1)
	v_ashrrev_i32_e32 v27, 31, v26
	v_dual_min_f32 v13, v13, v14 :: v_dual_add_nc_u32 v14, 56, v12
	v_cvt_f64_f32_e32 v[24:25], v13
	s_delay_alu instid0(VALU_DEP_2) | instskip(NEXT) | instid1(VALU_DEP_4)
	v_ashrrev_i32_e32 v15, 31, v14
	v_lshlrev_b64 v[12:13], 3, v[26:27]
	global_store_b64 v[29:30], v[24:25], off
	s_cbranch_vccz .LBB123_71
; %bb.69:
	v_min_f32_e32 v24, 0, v23
	v_add_co_u32 v26, vcc_lo, v19, v12
	v_add_co_ci_u32_e32 v27, vcc_lo, v22, v13, vcc_lo
	s_delay_alu instid0(VALU_DEP_3)
	v_cvt_f64_f32_e32 v[24:25], v24
	s_mov_b64 s[0:1], 0
	global_store_b64 v[26:27], v[24:25], off
	v_lshlrev_b64 v[14:15], 3, v[14:15]
	s_cbranch_execz .LBB123_72
; %bb.70:
	v_dual_mov_b32 v17, s1 :: v_dual_mov_b32 v16, s0
	s_branch .LBB123_73
.LBB123_71:
                                        ; implicit-def: $sgpr0_sgpr1
	v_lshlrev_b64 v[14:15], 3, v[14:15]
.LBB123_72:
	v_add_co_u32 v24, vcc_lo, v16, v12
	v_add_co_ci_u32_e32 v25, vcc_lo, v17, v13, vcc_lo
	flat_load_b64 v[24:25], v[24:25]
	s_waitcnt vmcnt(0) lgkmcnt(0)
	v_mul_f64 v[24:25], s[10:11], v[24:25]
	s_delay_alu instid0(VALU_DEP_1)
	v_cvt_f32_f64_e32 v24, v[24:25]
	v_add_co_u32 v25, vcc_lo, v19, v12
	v_add_co_ci_u32_e32 v26, vcc_lo, v22, v13, vcc_lo
	v_add_co_u32 v16, vcc_lo, v16, v14
	v_add_co_ci_u32_e32 v17, vcc_lo, v17, v15, vcc_lo
	v_min_f32_e32 v23, v24, v23
	s_delay_alu instid0(VALU_DEP_1)
	v_cvt_f64_f32_e32 v[23:24], v23
	global_store_b64 v[25:26], v[23:24], off
	flat_load_b64 v[16:17], v[16:17]
	s_waitcnt vmcnt(0) lgkmcnt(0)
	v_mul_f64 v[16:17], s[10:11], v[16:17]
.LBB123_73:
	s_delay_alu instid0(VALU_DEP_1) | instskip(SKIP_4) | instid1(VALU_DEP_1)
	v_cvt_f32_f64_e32 v16, v[16:17]
	v_max_f32_e32 v17, v134, v134
	v_add_co_u32 v31, vcc_lo, v19, v14
	v_add_co_ci_u32_e32 v32, vcc_lo, v22, v15, vcc_lo
	v_add_nc_u32_e32 v27, 32, v18
	v_mad_i64_i32 v[23:24], null, v27, s3, 0
	s_delay_alu instid0(VALU_DEP_1) | instskip(SKIP_1) | instid1(VALU_DEP_1)
	v_lshlrev_b64 v[33:34], 3, v[23:24]
	v_min_f32_e32 v16, v16, v17
	v_cvt_f64_f32_e32 v[25:26], v16
	v_mad_i64_i32 v[16:17], null, v27, s12, 0
	s_delay_alu instid0(VALU_DEP_1) | instskip(SKIP_1) | instid1(VALU_DEP_2)
	v_lshlrev_b64 v[29:30], 3, v[16:17]
	v_max_f32_e32 v16, v133, v133
	v_add_co_u32 v19, vcc_lo, s4, v29
	s_delay_alu instid0(VALU_DEP_3)
	v_add_co_ci_u32_e32 v22, vcc_lo, s5, v30, vcc_lo
	v_add_co_u32 v24, vcc_lo, s8, v33
	v_add_co_ci_u32_e32 v23, vcc_lo, s9, v34, vcc_lo
	s_mov_b32 vcc_lo, s2
	global_store_b64 v[31:32], v[25:26], off
	s_cbranch_vccz .LBB123_76
; %bb.74:
	v_min_f32_e32 v17, 0, v16
	v_add_co_u32 v29, vcc_lo, v19, v0
	v_add_co_ci_u32_e32 v30, vcc_lo, v22, v1, vcc_lo
	s_delay_alu instid0(VALU_DEP_3)
	v_cvt_f64_f32_e32 v[25:26], v17
	s_mov_b64 s[0:1], 0
	global_store_b64 v[29:30], v[25:26], off
	s_cbranch_execz .LBB123_77
; %bb.75:
	v_dual_mov_b32 v17, s1 :: v_dual_mov_b32 v16, s0
	s_branch .LBB123_78
.LBB123_76:
                                        ; implicit-def: $sgpr0_sgpr1
.LBB123_77:
	v_add_co_u32 v25, vcc_lo, v24, v0
	v_add_co_ci_u32_e32 v26, vcc_lo, v23, v1, vcc_lo
	flat_load_b64 v[25:26], v[25:26]
	s_waitcnt vmcnt(0) lgkmcnt(0)
	v_mul_f64 v[25:26], s[10:11], v[25:26]
	s_delay_alu instid0(VALU_DEP_1)
	v_cvt_f32_f64_e32 v17, v[25:26]
	v_add_co_u32 v25, vcc_lo, v19, v0
	v_add_co_ci_u32_e32 v26, vcc_lo, v22, v1, vcc_lo
	v_add_co_u32 v29, vcc_lo, v24, v2
	v_add_co_ci_u32_e32 v30, vcc_lo, v23, v3, vcc_lo
	v_min_f32_e32 v16, v17, v16
	s_delay_alu instid0(VALU_DEP_1)
	v_cvt_f64_f32_e32 v[16:17], v16
	global_store_b64 v[25:26], v[16:17], off
	flat_load_b64 v[16:17], v[29:30]
	s_waitcnt vmcnt(0) lgkmcnt(0)
	v_mul_f64 v[16:17], s[10:11], v[16:17]
.LBB123_78:
	s_delay_alu instid0(VALU_DEP_1) | instskip(SKIP_4) | instid1(VALU_DEP_3)
	v_cvt_f32_f64_e32 v16, v[16:17]
	v_max_f32_e32 v17, v28, v28
	v_add_co_u32 v29, vcc_lo, v19, v2
	v_add_co_ci_u32_e32 v30, vcc_lo, v22, v3, vcc_lo
	s_mov_b32 vcc_lo, s2
	v_min_f32_e32 v16, v16, v17
	s_delay_alu instid0(VALU_DEP_1)
	v_cvt_f64_f32_e32 v[25:26], v16
	v_max_f32_e32 v16, v196, v196
	global_store_b64 v[29:30], v[25:26], off
	s_cbranch_vccz .LBB123_81
; %bb.79:
	v_min_f32_e32 v17, 0, v16
	v_add_co_u32 v29, vcc_lo, v19, v4
	v_add_co_ci_u32_e32 v30, vcc_lo, v22, v5, vcc_lo
	s_delay_alu instid0(VALU_DEP_3)
	v_cvt_f64_f32_e32 v[25:26], v17
	s_mov_b64 s[0:1], 0
	global_store_b64 v[29:30], v[25:26], off
	s_cbranch_execz .LBB123_82
; %bb.80:
	v_dual_mov_b32 v17, s1 :: v_dual_mov_b32 v16, s0
	s_branch .LBB123_83
.LBB123_81:
                                        ; implicit-def: $sgpr0_sgpr1
.LBB123_82:
	v_add_co_u32 v25, vcc_lo, v24, v4
	v_add_co_ci_u32_e32 v26, vcc_lo, v23, v5, vcc_lo
	flat_load_b64 v[25:26], v[25:26]
	s_waitcnt vmcnt(0) lgkmcnt(0)
	v_mul_f64 v[25:26], s[10:11], v[25:26]
	s_delay_alu instid0(VALU_DEP_1)
	v_cvt_f32_f64_e32 v17, v[25:26]
	v_add_co_u32 v25, vcc_lo, v19, v4
	v_add_co_ci_u32_e32 v26, vcc_lo, v22, v5, vcc_lo
	v_add_co_u32 v29, vcc_lo, v24, v6
	v_add_co_ci_u32_e32 v30, vcc_lo, v23, v7, vcc_lo
	v_min_f32_e32 v16, v17, v16
	s_delay_alu instid0(VALU_DEP_1)
	v_cvt_f64_f32_e32 v[16:17], v16
	global_store_b64 v[25:26], v[16:17], off
	flat_load_b64 v[16:17], v[29:30]
	s_waitcnt vmcnt(0) lgkmcnt(0)
	v_mul_f64 v[16:17], s[10:11], v[16:17]
.LBB123_83:
	s_delay_alu instid0(VALU_DEP_1) | instskip(SKIP_4) | instid1(VALU_DEP_3)
	v_cvt_f32_f64_e32 v16, v[16:17]
	v_max_f32_e32 v17, v243, v243
	v_add_co_u32 v29, vcc_lo, v19, v6
	v_add_co_ci_u32_e32 v30, vcc_lo, v22, v7, vcc_lo
	s_mov_b32 vcc_lo, s2
	v_min_f32_e32 v16, v16, v17
	s_delay_alu instid0(VALU_DEP_1)
	v_cvt_f64_f32_e32 v[25:26], v16
	v_max_f32_e32 v16, v255, v255
	;; [unrolled: 46-line block ×3, first 2 shown]
	global_store_b64 v[29:30], v[25:26], off
	s_cbranch_vccz .LBB123_91
; %bb.89:
	v_min_f32_e32 v17, 0, v16
	v_add_co_u32 v25, vcc_lo, v19, v12
	v_add_co_ci_u32_e32 v26, vcc_lo, v22, v13, vcc_lo
	s_delay_alu instid0(VALU_DEP_3)
	v_cvt_f64_f32_e32 v[20:21], v17
	s_mov_b64 s[0:1], 0
	global_store_b64 v[25:26], v[20:21], off
	s_cbranch_execz .LBB123_92
; %bb.90:
	v_dual_mov_b32 v17, s1 :: v_dual_mov_b32 v16, s0
	s_branch .LBB123_93
.LBB123_91:
                                        ; implicit-def: $sgpr0_sgpr1
.LBB123_92:
	v_add_co_u32 v20, vcc_lo, v24, v12
	v_add_co_ci_u32_e32 v21, vcc_lo, v23, v13, vcc_lo
	flat_load_b64 v[20:21], v[20:21]
	s_waitcnt vmcnt(0) lgkmcnt(0)
	v_mul_f64 v[20:21], s[10:11], v[20:21]
	s_delay_alu instid0(VALU_DEP_1)
	v_cvt_f32_f64_e32 v17, v[20:21]
	v_add_co_u32 v20, vcc_lo, v19, v12
	v_add_co_ci_u32_e32 v21, vcc_lo, v22, v13, vcc_lo
	v_add_co_u32 v24, vcc_lo, v24, v14
	v_add_co_ci_u32_e32 v25, vcc_lo, v23, v15, vcc_lo
	v_min_f32_e32 v16, v17, v16
	s_delay_alu instid0(VALU_DEP_1)
	v_cvt_f64_f32_e32 v[16:17], v16
	global_store_b64 v[20:21], v[16:17], off
	flat_load_b64 v[16:17], v[24:25]
	s_waitcnt vmcnt(0) lgkmcnt(0)
	v_mul_f64 v[16:17], s[10:11], v[16:17]
.LBB123_93:
	s_delay_alu instid0(VALU_DEP_1) | instskip(SKIP_4) | instid1(VALU_DEP_1)
	v_cvt_f32_f64_e32 v16, v[16:17]
	v_max_f32_e32 v17, v132, v132
	v_add_co_u32 v28, vcc_lo, v19, v14
	v_add_co_ci_u32_e32 v29, vcc_lo, v22, v15, vcc_lo
	v_add_nc_u32_e32 v23, 64, v18
	v_mad_i64_i32 v[20:21], null, v23, s3, 0
	s_delay_alu instid0(VALU_DEP_1) | instskip(SKIP_1) | instid1(VALU_DEP_1)
	v_lshlrev_b64 v[21:22], 3, v[20:21]
	v_min_f32_e32 v16, v16, v17
	v_cvt_f64_f32_e32 v[24:25], v16
	v_mad_i64_i32 v[16:17], null, v23, s12, 0
	s_delay_alu instid0(VALU_DEP_1) | instskip(SKIP_1) | instid1(VALU_DEP_2)
	v_lshlrev_b64 v[26:27], 3, v[16:17]
	v_max_f32_e32 v16, v110, v110
	v_add_co_u32 v19, vcc_lo, s4, v26
	s_delay_alu instid0(VALU_DEP_3)
	v_add_co_ci_u32_e32 v20, vcc_lo, s5, v27, vcc_lo
	v_add_co_u32 v21, vcc_lo, s8, v21
	v_add_co_ci_u32_e32 v23, vcc_lo, s9, v22, vcc_lo
	s_mov_b32 vcc_lo, s2
	global_store_b64 v[28:29], v[24:25], off
	s_cbranch_vccz .LBB123_96
; %bb.94:
	v_min_f32_e32 v17, 0, v16
	v_add_co_u32 v26, vcc_lo, v19, v0
	v_add_co_ci_u32_e32 v27, vcc_lo, v20, v1, vcc_lo
	s_delay_alu instid0(VALU_DEP_3)
	v_cvt_f64_f32_e32 v[24:25], v17
	s_mov_b64 s[0:1], 0
	global_store_b64 v[26:27], v[24:25], off
	s_cbranch_execz .LBB123_97
; %bb.95:
	v_dual_mov_b32 v17, s1 :: v_dual_mov_b32 v16, s0
	s_branch .LBB123_98
.LBB123_96:
                                        ; implicit-def: $sgpr0_sgpr1
.LBB123_97:
	v_add_co_u32 v24, vcc_lo, v21, v0
	v_add_co_ci_u32_e32 v25, vcc_lo, v23, v1, vcc_lo
	flat_load_b64 v[24:25], v[24:25]
	s_waitcnt vmcnt(0) lgkmcnt(0)
	v_mul_f64 v[24:25], s[10:11], v[24:25]
	s_delay_alu instid0(VALU_DEP_1)
	v_cvt_f32_f64_e32 v17, v[24:25]
	v_add_co_u32 v24, vcc_lo, v19, v0
	v_add_co_ci_u32_e32 v25, vcc_lo, v20, v1, vcc_lo
	v_add_co_u32 v26, vcc_lo, v21, v2
	v_add_co_ci_u32_e32 v27, vcc_lo, v23, v3, vcc_lo
	v_min_f32_e32 v16, v17, v16
	s_delay_alu instid0(VALU_DEP_1)
	v_cvt_f64_f32_e32 v[16:17], v16
	global_store_b64 v[24:25], v[16:17], off
	flat_load_b64 v[16:17], v[26:27]
	s_waitcnt vmcnt(0) lgkmcnt(0)
	v_mul_f64 v[16:17], s[10:11], v[16:17]
.LBB123_98:
	s_delay_alu instid0(VALU_DEP_1) | instskip(SKIP_4) | instid1(VALU_DEP_3)
	v_cvt_f32_f64_e32 v16, v[16:17]
	v_max_f32_e32 v17, v45, v45
	v_add_co_u32 v26, vcc_lo, v19, v2
	v_add_co_ci_u32_e32 v27, vcc_lo, v20, v3, vcc_lo
	s_mov_b32 vcc_lo, s2
	v_min_f32_e32 v16, v16, v17
	s_delay_alu instid0(VALU_DEP_1)
	v_cvt_f64_f32_e32 v[24:25], v16
	v_max_f32_e32 v16, v95, v95
	global_store_b64 v[26:27], v[24:25], off
	s_cbranch_vccz .LBB123_101
; %bb.99:
	v_min_f32_e32 v17, 0, v16
	v_add_co_u32 v26, vcc_lo, v19, v4
	v_add_co_ci_u32_e32 v27, vcc_lo, v20, v5, vcc_lo
	s_delay_alu instid0(VALU_DEP_3)
	v_cvt_f64_f32_e32 v[24:25], v17
	s_mov_b64 s[0:1], 0
	global_store_b64 v[26:27], v[24:25], off
	s_cbranch_execz .LBB123_102
; %bb.100:
	v_dual_mov_b32 v17, s1 :: v_dual_mov_b32 v16, s0
	s_branch .LBB123_103
.LBB123_101:
                                        ; implicit-def: $sgpr0_sgpr1
.LBB123_102:
	v_add_co_u32 v24, vcc_lo, v21, v4
	v_add_co_ci_u32_e32 v25, vcc_lo, v23, v5, vcc_lo
	flat_load_b64 v[24:25], v[24:25]
	s_waitcnt vmcnt(0) lgkmcnt(0)
	v_mul_f64 v[24:25], s[10:11], v[24:25]
	s_delay_alu instid0(VALU_DEP_1)
	v_cvt_f32_f64_e32 v17, v[24:25]
	v_add_co_u32 v24, vcc_lo, v19, v4
	v_add_co_ci_u32_e32 v25, vcc_lo, v20, v5, vcc_lo
	v_add_co_u32 v26, vcc_lo, v21, v6
	v_add_co_ci_u32_e32 v27, vcc_lo, v23, v7, vcc_lo
	v_min_f32_e32 v16, v17, v16
	s_delay_alu instid0(VALU_DEP_1)
	v_cvt_f64_f32_e32 v[16:17], v16
	global_store_b64 v[24:25], v[16:17], off
	flat_load_b64 v[16:17], v[26:27]
	s_waitcnt vmcnt(0) lgkmcnt(0)
	v_mul_f64 v[16:17], s[10:11], v[16:17]
.LBB123_103:
	s_delay_alu instid0(VALU_DEP_1) | instskip(SKIP_4) | instid1(VALU_DEP_3)
	v_cvt_f32_f64_e32 v16, v[16:17]
	v_max_f32_e32 v17, v44, v44
	v_add_co_u32 v26, vcc_lo, v19, v6
	v_add_co_ci_u32_e32 v27, vcc_lo, v20, v7, vcc_lo
	s_mov_b32 vcc_lo, s2
	v_min_f32_e32 v16, v16, v17
	s_delay_alu instid0(VALU_DEP_1)
	v_cvt_f64_f32_e32 v[24:25], v16
	v_max_f32_e32 v16, v112, v112
	global_store_b64 v[26:27], v[24:25], off
	s_cbranch_vccz .LBB123_106
; %bb.104:
	v_min_f32_e32 v17, 0, v16
	v_add_co_u32 v26, vcc_lo, v19, v8
	v_add_co_ci_u32_e32 v27, vcc_lo, v20, v9, vcc_lo
	s_delay_alu instid0(VALU_DEP_3)
	v_cvt_f64_f32_e32 v[24:25], v17
	s_mov_b64 s[0:1], 0
	global_store_b64 v[26:27], v[24:25], off
	s_cbranch_execz .LBB123_107
; %bb.105:
	v_dual_mov_b32 v17, s1 :: v_dual_mov_b32 v16, s0
	s_branch .LBB123_108
.LBB123_106:
                                        ; implicit-def: $sgpr0_sgpr1
.LBB123_107:
	v_add_co_u32 v24, vcc_lo, v21, v8
	v_add_co_ci_u32_e32 v25, vcc_lo, v23, v9, vcc_lo
	flat_load_b64 v[24:25], v[24:25]
	s_waitcnt vmcnt(0) lgkmcnt(0)
	v_mul_f64 v[24:25], s[10:11], v[24:25]
	s_delay_alu instid0(VALU_DEP_1)
	v_cvt_f32_f64_e32 v17, v[24:25]
	v_add_co_u32 v24, vcc_lo, v19, v8
	v_add_co_ci_u32_e32 v25, vcc_lo, v20, v9, vcc_lo
	v_add_co_u32 v26, vcc_lo, v21, v10
	v_add_co_ci_u32_e32 v27, vcc_lo, v23, v11, vcc_lo
	v_min_f32_e32 v16, v17, v16
	s_delay_alu instid0(VALU_DEP_1)
	v_cvt_f64_f32_e32 v[16:17], v16
	global_store_b64 v[24:25], v[16:17], off
	flat_load_b64 v[16:17], v[26:27]
	s_waitcnt vmcnt(0) lgkmcnt(0)
	v_mul_f64 v[16:17], s[10:11], v[16:17]
.LBB123_108:
	s_delay_alu instid0(VALU_DEP_1)
	v_cvt_f32_f64_e32 v16, v[16:17]
	scratch_load_b32 v17, off, off offset:16 ; 4-byte Folded Reload
	v_add_co_u32 v26, vcc_lo, v19, v10
	v_add_co_ci_u32_e32 v27, vcc_lo, v20, v11, vcc_lo
	s_mov_b32 vcc_lo, s2
	s_waitcnt vmcnt(0)
	v_max_f32_e32 v17, v17, v17
	s_delay_alu instid0(VALU_DEP_1) | instskip(NEXT) | instid1(VALU_DEP_1)
	v_min_f32_e32 v16, v16, v17
	v_cvt_f64_f32_e32 v[24:25], v16
	v_max_f32_e32 v16, v235, v235
	global_store_b64 v[26:27], v[24:25], off
	s_cbranch_vccz .LBB123_111
; %bb.109:
	v_min_f32_e32 v17, 0, v16
	v_add_co_u32 v26, vcc_lo, v19, v12
	v_add_co_ci_u32_e32 v27, vcc_lo, v20, v13, vcc_lo
	s_delay_alu instid0(VALU_DEP_3)
	v_cvt_f64_f32_e32 v[24:25], v17
	s_mov_b64 s[0:1], 0
	global_store_b64 v[26:27], v[24:25], off
	s_cbranch_execz .LBB123_112
; %bb.110:
	v_dual_mov_b32 v17, s1 :: v_dual_mov_b32 v16, s0
	s_branch .LBB123_113
.LBB123_111:
                                        ; implicit-def: $sgpr0_sgpr1
.LBB123_112:
	v_add_co_u32 v24, vcc_lo, v21, v12
	v_add_co_ci_u32_e32 v25, vcc_lo, v23, v13, vcc_lo
	flat_load_b64 v[24:25], v[24:25]
	s_waitcnt vmcnt(0) lgkmcnt(0)
	v_mul_f64 v[24:25], s[10:11], v[24:25]
	s_delay_alu instid0(VALU_DEP_1)
	v_cvt_f32_f64_e32 v17, v[24:25]
	v_add_co_u32 v24, vcc_lo, v19, v12
	v_add_co_ci_u32_e32 v25, vcc_lo, v20, v13, vcc_lo
	v_add_co_u32 v21, vcc_lo, v21, v14
	v_add_co_ci_u32_e32 v22, vcc_lo, v23, v15, vcc_lo
	v_min_f32_e32 v16, v17, v16
	s_delay_alu instid0(VALU_DEP_1)
	v_cvt_f64_f32_e32 v[16:17], v16
	global_store_b64 v[24:25], v[16:17], off
	flat_load_b64 v[16:17], v[21:22]
	s_waitcnt vmcnt(0) lgkmcnt(0)
	v_mul_f64 v[16:17], s[10:11], v[16:17]
.LBB123_113:
	s_delay_alu instid0(VALU_DEP_1) | instskip(SKIP_4) | instid1(VALU_DEP_1)
	v_cvt_f32_f64_e32 v16, v[16:17]
	v_max_f32_e32 v17, v102, v102
	v_add_co_u32 v28, vcc_lo, v19, v14
	v_add_co_ci_u32_e32 v29, vcc_lo, v20, v15, vcc_lo
	v_add_nc_u32_e32 v23, 0x60, v18
	v_mad_i64_i32 v[21:22], null, v23, s3, 0
	s_delay_alu instid0(VALU_DEP_1) | instskip(SKIP_1) | instid1(VALU_DEP_1)
	v_lshlrev_b64 v[21:22], 3, v[21:22]
	v_min_f32_e32 v16, v16, v17
	v_cvt_f64_f32_e32 v[24:25], v16
	v_mad_i64_i32 v[16:17], null, v23, s12, 0
	s_delay_alu instid0(VALU_DEP_1) | instskip(SKIP_1) | instid1(VALU_DEP_2)
	v_lshlrev_b64 v[26:27], 3, v[16:17]
	v_max_f32_e32 v16, v103, v103
	v_add_co_u32 v19, vcc_lo, s4, v26
	s_delay_alu instid0(VALU_DEP_3)
	v_add_co_ci_u32_e32 v20, vcc_lo, s5, v27, vcc_lo
	v_add_co_u32 v21, vcc_lo, s8, v21
	v_add_co_ci_u32_e32 v23, vcc_lo, s9, v22, vcc_lo
	s_mov_b32 vcc_lo, s2
	global_store_b64 v[28:29], v[24:25], off
	s_cbranch_vccz .LBB123_116
; %bb.114:
	v_min_f32_e32 v17, 0, v16
	v_add_co_u32 v26, vcc_lo, v19, v0
	v_add_co_ci_u32_e32 v27, vcc_lo, v20, v1, vcc_lo
	s_delay_alu instid0(VALU_DEP_3)
	v_cvt_f64_f32_e32 v[24:25], v17
	s_mov_b64 s[0:1], 0
	global_store_b64 v[26:27], v[24:25], off
	s_cbranch_execz .LBB123_117
; %bb.115:
	v_dual_mov_b32 v17, s1 :: v_dual_mov_b32 v16, s0
	s_branch .LBB123_118
.LBB123_116:
                                        ; implicit-def: $sgpr0_sgpr1
.LBB123_117:
	v_add_co_u32 v24, vcc_lo, v21, v0
	v_add_co_ci_u32_e32 v25, vcc_lo, v23, v1, vcc_lo
	flat_load_b64 v[24:25], v[24:25]
	s_waitcnt vmcnt(0) lgkmcnt(0)
	v_mul_f64 v[24:25], s[10:11], v[24:25]
	s_delay_alu instid0(VALU_DEP_1)
	v_cvt_f32_f64_e32 v17, v[24:25]
	v_add_co_u32 v24, vcc_lo, v19, v0
	v_add_co_ci_u32_e32 v25, vcc_lo, v20, v1, vcc_lo
	v_add_co_u32 v26, vcc_lo, v21, v2
	v_add_co_ci_u32_e32 v27, vcc_lo, v23, v3, vcc_lo
	v_min_f32_e32 v16, v17, v16
	s_delay_alu instid0(VALU_DEP_1)
	v_cvt_f64_f32_e32 v[16:17], v16
	global_store_b64 v[24:25], v[16:17], off
	flat_load_b64 v[16:17], v[26:27]
	s_waitcnt vmcnt(0) lgkmcnt(0)
	v_mul_f64 v[16:17], s[10:11], v[16:17]
.LBB123_118:
	s_delay_alu instid0(VALU_DEP_1) | instskip(SKIP_4) | instid1(VALU_DEP_3)
	v_cvt_f32_f64_e32 v16, v[16:17]
	v_max_f32_e32 v17, v239, v239
	v_add_co_u32 v26, vcc_lo, v19, v2
	v_add_co_ci_u32_e32 v27, vcc_lo, v20, v3, vcc_lo
	s_mov_b32 vcc_lo, s2
	v_min_f32_e32 v16, v16, v17
	s_delay_alu instid0(VALU_DEP_1)
	v_cvt_f64_f32_e32 v[24:25], v16
	v_max_f32_e32 v16, v107, v107
	global_store_b64 v[26:27], v[24:25], off
	s_cbranch_vccz .LBB123_121
; %bb.119:
	v_min_f32_e32 v17, 0, v16
	v_add_co_u32 v26, vcc_lo, v19, v4
	v_add_co_ci_u32_e32 v27, vcc_lo, v20, v5, vcc_lo
	s_delay_alu instid0(VALU_DEP_3)
	v_cvt_f64_f32_e32 v[24:25], v17
	s_mov_b64 s[0:1], 0
	global_store_b64 v[26:27], v[24:25], off
	s_cbranch_execz .LBB123_122
; %bb.120:
	v_dual_mov_b32 v17, s1 :: v_dual_mov_b32 v16, s0
	s_branch .LBB123_123
.LBB123_121:
                                        ; implicit-def: $sgpr0_sgpr1
.LBB123_122:
	v_add_co_u32 v24, vcc_lo, v21, v4
	v_add_co_ci_u32_e32 v25, vcc_lo, v23, v5, vcc_lo
	flat_load_b64 v[24:25], v[24:25]
	s_waitcnt vmcnt(0) lgkmcnt(0)
	v_mul_f64 v[24:25], s[10:11], v[24:25]
	s_delay_alu instid0(VALU_DEP_1)
	v_cvt_f32_f64_e32 v17, v[24:25]
	v_add_co_u32 v24, vcc_lo, v19, v4
	v_add_co_ci_u32_e32 v25, vcc_lo, v20, v5, vcc_lo
	v_add_co_u32 v26, vcc_lo, v21, v6
	v_add_co_ci_u32_e32 v27, vcc_lo, v23, v7, vcc_lo
	v_min_f32_e32 v16, v17, v16
	s_delay_alu instid0(VALU_DEP_1)
	v_cvt_f64_f32_e32 v[16:17], v16
	global_store_b64 v[24:25], v[16:17], off
	flat_load_b64 v[16:17], v[26:27]
	s_waitcnt vmcnt(0) lgkmcnt(0)
	v_mul_f64 v[16:17], s[10:11], v[16:17]
.LBB123_123:
	s_delay_alu instid0(VALU_DEP_1) | instskip(SKIP_4) | instid1(VALU_DEP_3)
	v_cvt_f32_f64_e32 v16, v[16:17]
	v_max_f32_e32 v17, v138, v138
	v_add_co_u32 v26, vcc_lo, v19, v6
	v_add_co_ci_u32_e32 v27, vcc_lo, v20, v7, vcc_lo
	s_mov_b32 vcc_lo, s2
	v_min_f32_e32 v16, v16, v17
	s_delay_alu instid0(VALU_DEP_1)
	v_cvt_f64_f32_e32 v[24:25], v16
	v_max_f32_e32 v16, v42, v42
	;; [unrolled: 46-line block ×3, first 2 shown]
	global_store_b64 v[26:27], v[24:25], off
	s_cbranch_vccz .LBB123_131
; %bb.129:
	v_min_f32_e32 v17, 0, v16
	v_add_co_u32 v26, vcc_lo, v19, v12
	v_add_co_ci_u32_e32 v27, vcc_lo, v20, v13, vcc_lo
	s_delay_alu instid0(VALU_DEP_3)
	v_cvt_f64_f32_e32 v[24:25], v17
	s_mov_b64 s[0:1], 0
	global_store_b64 v[26:27], v[24:25], off
	s_cbranch_execz .LBB123_132
; %bb.130:
	v_dual_mov_b32 v17, s1 :: v_dual_mov_b32 v16, s0
	s_branch .LBB123_133
.LBB123_131:
                                        ; implicit-def: $sgpr0_sgpr1
.LBB123_132:
	v_add_co_u32 v24, vcc_lo, v21, v12
	v_add_co_ci_u32_e32 v25, vcc_lo, v23, v13, vcc_lo
	flat_load_b64 v[24:25], v[24:25]
	s_waitcnt vmcnt(0) lgkmcnt(0)
	v_mul_f64 v[24:25], s[10:11], v[24:25]
	s_delay_alu instid0(VALU_DEP_1)
	v_cvt_f32_f64_e32 v17, v[24:25]
	v_add_co_u32 v24, vcc_lo, v19, v12
	v_add_co_ci_u32_e32 v25, vcc_lo, v20, v13, vcc_lo
	v_add_co_u32 v21, vcc_lo, v21, v14
	v_add_co_ci_u32_e32 v22, vcc_lo, v23, v15, vcc_lo
	v_min_f32_e32 v16, v17, v16
	s_delay_alu instid0(VALU_DEP_1)
	v_cvt_f64_f32_e32 v[16:17], v16
	global_store_b64 v[24:25], v[16:17], off
	flat_load_b64 v[16:17], v[21:22]
	s_waitcnt vmcnt(0) lgkmcnt(0)
	v_mul_f64 v[16:17], s[10:11], v[16:17]
.LBB123_133:
	s_delay_alu instid0(VALU_DEP_1) | instskip(SKIP_4) | instid1(VALU_DEP_1)
	v_cvt_f32_f64_e32 v16, v[16:17]
	v_max_f32_e32 v17, v58, v58
	v_add_co_u32 v28, vcc_lo, v19, v14
	v_add_co_ci_u32_e32 v29, vcc_lo, v20, v15, vcc_lo
	v_add_nc_u32_e32 v23, 0x80, v18
	v_mad_i64_i32 v[21:22], null, v23, s3, 0
	s_delay_alu instid0(VALU_DEP_1) | instskip(SKIP_1) | instid1(VALU_DEP_1)
	v_lshlrev_b64 v[21:22], 3, v[21:22]
	v_min_f32_e32 v16, v16, v17
	v_cvt_f64_f32_e32 v[24:25], v16
	v_mad_i64_i32 v[16:17], null, v23, s12, 0
	s_delay_alu instid0(VALU_DEP_1) | instskip(SKIP_1) | instid1(VALU_DEP_2)
	v_lshlrev_b64 v[26:27], 3, v[16:17]
	v_max_f32_e32 v16, v111, v111
	v_add_co_u32 v19, vcc_lo, s4, v26
	s_delay_alu instid0(VALU_DEP_3)
	v_add_co_ci_u32_e32 v20, vcc_lo, s5, v27, vcc_lo
	v_add_co_u32 v21, vcc_lo, s8, v21
	v_add_co_ci_u32_e32 v23, vcc_lo, s9, v22, vcc_lo
	s_mov_b32 vcc_lo, s2
	global_store_b64 v[28:29], v[24:25], off
	s_cbranch_vccz .LBB123_136
; %bb.134:
	v_min_f32_e32 v17, 0, v16
	v_add_co_u32 v26, vcc_lo, v19, v0
	v_add_co_ci_u32_e32 v27, vcc_lo, v20, v1, vcc_lo
	s_delay_alu instid0(VALU_DEP_3)
	v_cvt_f64_f32_e32 v[24:25], v17
	s_mov_b64 s[0:1], 0
	global_store_b64 v[26:27], v[24:25], off
	s_cbranch_execz .LBB123_137
; %bb.135:
	v_dual_mov_b32 v17, s1 :: v_dual_mov_b32 v16, s0
	s_branch .LBB123_138
.LBB123_136:
                                        ; implicit-def: $sgpr0_sgpr1
.LBB123_137:
	v_add_co_u32 v24, vcc_lo, v21, v0
	v_add_co_ci_u32_e32 v25, vcc_lo, v23, v1, vcc_lo
	flat_load_b64 v[24:25], v[24:25]
	s_waitcnt vmcnt(0) lgkmcnt(0)
	v_mul_f64 v[24:25], s[10:11], v[24:25]
	s_delay_alu instid0(VALU_DEP_1)
	v_cvt_f32_f64_e32 v17, v[24:25]
	v_add_co_u32 v24, vcc_lo, v19, v0
	v_add_co_ci_u32_e32 v25, vcc_lo, v20, v1, vcc_lo
	v_add_co_u32 v26, vcc_lo, v21, v2
	v_add_co_ci_u32_e32 v27, vcc_lo, v23, v3, vcc_lo
	v_min_f32_e32 v16, v17, v16
	s_delay_alu instid0(VALU_DEP_1)
	v_cvt_f64_f32_e32 v[16:17], v16
	global_store_b64 v[24:25], v[16:17], off
	flat_load_b64 v[16:17], v[26:27]
	s_waitcnt vmcnt(0) lgkmcnt(0)
	v_mul_f64 v[16:17], s[10:11], v[16:17]
.LBB123_138:
	s_delay_alu instid0(VALU_DEP_1) | instskip(SKIP_4) | instid1(VALU_DEP_3)
	v_cvt_f32_f64_e32 v16, v[16:17]
	v_max_f32_e32 v17, v137, v137
	v_add_co_u32 v26, vcc_lo, v19, v2
	v_add_co_ci_u32_e32 v27, vcc_lo, v20, v3, vcc_lo
	s_mov_b32 vcc_lo, s2
	v_min_f32_e32 v16, v16, v17
	s_delay_alu instid0(VALU_DEP_1)
	v_cvt_f64_f32_e32 v[24:25], v16
	v_max_f32_e32 v16, v64, v64
	global_store_b64 v[26:27], v[24:25], off
	s_cbranch_vccz .LBB123_141
; %bb.139:
	v_min_f32_e32 v17, 0, v16
	v_add_co_u32 v26, vcc_lo, v19, v4
	v_add_co_ci_u32_e32 v27, vcc_lo, v20, v5, vcc_lo
	s_delay_alu instid0(VALU_DEP_3)
	v_cvt_f64_f32_e32 v[24:25], v17
	s_mov_b64 s[0:1], 0
	global_store_b64 v[26:27], v[24:25], off
	s_cbranch_execz .LBB123_142
; %bb.140:
	v_dual_mov_b32 v17, s1 :: v_dual_mov_b32 v16, s0
	s_branch .LBB123_143
.LBB123_141:
                                        ; implicit-def: $sgpr0_sgpr1
.LBB123_142:
	v_add_co_u32 v24, vcc_lo, v21, v4
	v_add_co_ci_u32_e32 v25, vcc_lo, v23, v5, vcc_lo
	flat_load_b64 v[24:25], v[24:25]
	s_waitcnt vmcnt(0) lgkmcnt(0)
	v_mul_f64 v[24:25], s[10:11], v[24:25]
	s_delay_alu instid0(VALU_DEP_1)
	v_cvt_f32_f64_e32 v17, v[24:25]
	v_add_co_u32 v24, vcc_lo, v19, v4
	v_add_co_ci_u32_e32 v25, vcc_lo, v20, v5, vcc_lo
	v_add_co_u32 v26, vcc_lo, v21, v6
	v_add_co_ci_u32_e32 v27, vcc_lo, v23, v7, vcc_lo
	v_min_f32_e32 v16, v17, v16
	s_delay_alu instid0(VALU_DEP_1)
	v_cvt_f64_f32_e32 v[16:17], v16
	global_store_b64 v[24:25], v[16:17], off
	flat_load_b64 v[16:17], v[26:27]
	s_waitcnt vmcnt(0) lgkmcnt(0)
	v_mul_f64 v[16:17], s[10:11], v[16:17]
.LBB123_143:
	s_delay_alu instid0(VALU_DEP_1) | instskip(SKIP_4) | instid1(VALU_DEP_3)
	v_cvt_f32_f64_e32 v16, v[16:17]
	v_max_f32_e32 v17, v128, v128
	v_add_co_u32 v26, vcc_lo, v19, v6
	v_add_co_ci_u32_e32 v27, vcc_lo, v20, v7, vcc_lo
	s_mov_b32 vcc_lo, s2
	v_min_f32_e32 v16, v16, v17
	s_delay_alu instid0(VALU_DEP_1)
	v_cvt_f64_f32_e32 v[24:25], v16
	v_max_f32_e32 v16, v50, v50
	;; [unrolled: 46-line block ×3, first 2 shown]
	global_store_b64 v[26:27], v[24:25], off
	s_cbranch_vccz .LBB123_151
; %bb.149:
	v_min_f32_e32 v17, 0, v16
	v_add_co_u32 v26, vcc_lo, v19, v12
	v_add_co_ci_u32_e32 v27, vcc_lo, v20, v13, vcc_lo
	s_delay_alu instid0(VALU_DEP_3)
	v_cvt_f64_f32_e32 v[24:25], v17
	s_mov_b64 s[0:1], 0
	global_store_b64 v[26:27], v[24:25], off
	s_cbranch_execz .LBB123_152
; %bb.150:
	v_dual_mov_b32 v17, s1 :: v_dual_mov_b32 v16, s0
	s_branch .LBB123_153
.LBB123_151:
                                        ; implicit-def: $sgpr0_sgpr1
.LBB123_152:
	v_add_co_u32 v24, vcc_lo, v21, v12
	v_add_co_ci_u32_e32 v25, vcc_lo, v23, v13, vcc_lo
	flat_load_b64 v[24:25], v[24:25]
	s_waitcnt vmcnt(0) lgkmcnt(0)
	v_mul_f64 v[24:25], s[10:11], v[24:25]
	s_delay_alu instid0(VALU_DEP_1)
	v_cvt_f32_f64_e32 v17, v[24:25]
	v_add_co_u32 v24, vcc_lo, v19, v12
	v_add_co_ci_u32_e32 v25, vcc_lo, v20, v13, vcc_lo
	v_add_co_u32 v21, vcc_lo, v21, v14
	v_add_co_ci_u32_e32 v22, vcc_lo, v23, v15, vcc_lo
	v_min_f32_e32 v16, v17, v16
	s_delay_alu instid0(VALU_DEP_1)
	v_cvt_f64_f32_e32 v[16:17], v16
	global_store_b64 v[24:25], v[16:17], off
	flat_load_b64 v[16:17], v[21:22]
	s_waitcnt vmcnt(0) lgkmcnt(0)
	v_mul_f64 v[16:17], s[10:11], v[16:17]
.LBB123_153:
	s_delay_alu instid0(VALU_DEP_1) | instskip(SKIP_4) | instid1(VALU_DEP_1)
	v_cvt_f32_f64_e32 v16, v[16:17]
	v_max_f32_e32 v17, v37, v37
	v_add_co_u32 v28, vcc_lo, v19, v14
	v_add_co_ci_u32_e32 v29, vcc_lo, v20, v15, vcc_lo
	v_add_nc_u32_e32 v23, 0xa0, v18
	v_mad_i64_i32 v[21:22], null, v23, s3, 0
	s_delay_alu instid0(VALU_DEP_1) | instskip(SKIP_1) | instid1(VALU_DEP_1)
	v_lshlrev_b64 v[21:22], 3, v[21:22]
	v_min_f32_e32 v16, v16, v17
	v_cvt_f64_f32_e32 v[24:25], v16
	v_mad_i64_i32 v[16:17], null, v23, s12, 0
	s_delay_alu instid0(VALU_DEP_1) | instskip(SKIP_1) | instid1(VALU_DEP_2)
	v_lshlrev_b64 v[26:27], 3, v[16:17]
	v_max_f32_e32 v16, v62, v62
	v_add_co_u32 v19, vcc_lo, s4, v26
	s_delay_alu instid0(VALU_DEP_3)
	v_add_co_ci_u32_e32 v20, vcc_lo, s5, v27, vcc_lo
	v_add_co_u32 v21, vcc_lo, s8, v21
	v_add_co_ci_u32_e32 v23, vcc_lo, s9, v22, vcc_lo
	s_mov_b32 vcc_lo, s2
	global_store_b64 v[28:29], v[24:25], off
	s_cbranch_vccz .LBB123_156
; %bb.154:
	v_min_f32_e32 v17, 0, v16
	v_add_co_u32 v26, vcc_lo, v19, v0
	v_add_co_ci_u32_e32 v27, vcc_lo, v20, v1, vcc_lo
	s_delay_alu instid0(VALU_DEP_3)
	v_cvt_f64_f32_e32 v[24:25], v17
	s_mov_b64 s[0:1], 0
	global_store_b64 v[26:27], v[24:25], off
	s_cbranch_execz .LBB123_157
; %bb.155:
	v_dual_mov_b32 v17, s1 :: v_dual_mov_b32 v16, s0
	s_branch .LBB123_158
.LBB123_156:
                                        ; implicit-def: $sgpr0_sgpr1
.LBB123_157:
	v_add_co_u32 v24, vcc_lo, v21, v0
	v_add_co_ci_u32_e32 v25, vcc_lo, v23, v1, vcc_lo
	flat_load_b64 v[24:25], v[24:25]
	s_waitcnt vmcnt(0) lgkmcnt(0)
	v_mul_f64 v[24:25], s[10:11], v[24:25]
	s_delay_alu instid0(VALU_DEP_1)
	v_cvt_f32_f64_e32 v17, v[24:25]
	v_add_co_u32 v24, vcc_lo, v19, v0
	v_add_co_ci_u32_e32 v25, vcc_lo, v20, v1, vcc_lo
	v_add_co_u32 v26, vcc_lo, v21, v2
	v_add_co_ci_u32_e32 v27, vcc_lo, v23, v3, vcc_lo
	v_min_f32_e32 v16, v17, v16
	s_delay_alu instid0(VALU_DEP_1)
	v_cvt_f64_f32_e32 v[16:17], v16
	global_store_b64 v[24:25], v[16:17], off
	flat_load_b64 v[16:17], v[26:27]
	s_waitcnt vmcnt(0) lgkmcnt(0)
	v_mul_f64 v[16:17], s[10:11], v[16:17]
.LBB123_158:
	s_delay_alu instid0(VALU_DEP_1) | instskip(SKIP_4) | instid1(VALU_DEP_3)
	v_cvt_f32_f64_e32 v16, v[16:17]
	v_max_f32_e32 v17, v65, v65
	v_add_co_u32 v26, vcc_lo, v19, v2
	v_add_co_ci_u32_e32 v27, vcc_lo, v20, v3, vcc_lo
	s_mov_b32 vcc_lo, s2
	v_min_f32_e32 v16, v16, v17
	s_delay_alu instid0(VALU_DEP_1)
	v_cvt_f64_f32_e32 v[24:25], v16
	v_max_f32_e32 v16, v246, v246
	global_store_b64 v[26:27], v[24:25], off
	s_cbranch_vccz .LBB123_161
; %bb.159:
	v_min_f32_e32 v17, 0, v16
	v_add_co_u32 v26, vcc_lo, v19, v4
	v_add_co_ci_u32_e32 v27, vcc_lo, v20, v5, vcc_lo
	s_delay_alu instid0(VALU_DEP_3)
	v_cvt_f64_f32_e32 v[24:25], v17
	s_mov_b32 s0, 0
	global_store_b64 v[26:27], v[24:25], off
	s_cbranch_execz .LBB123_162
; %bb.160:
	v_mov_b32_e32 v16, s0
	s_branch .LBB123_163
.LBB123_161:
	s_mov_b32 s0, -1
.LBB123_162:
	v_add_co_u32 v24, vcc_lo, v21, v4
	v_add_co_ci_u32_e32 v25, vcc_lo, v23, v5, vcc_lo
	flat_load_b64 v[24:25], v[24:25]
	s_waitcnt vmcnt(0) lgkmcnt(0)
	v_mul_f64 v[24:25], s[10:11], v[24:25]
	s_delay_alu instid0(VALU_DEP_1)
	v_cvt_f32_f64_e32 v17, v[24:25]
	v_add_co_u32 v24, vcc_lo, v19, v4
	v_add_co_ci_u32_e32 v25, vcc_lo, v20, v5, vcc_lo
	v_add_co_u32 v26, vcc_lo, v21, v6
	v_add_co_ci_u32_e32 v27, vcc_lo, v23, v7, vcc_lo
	v_min_f32_e32 v16, v17, v16
	s_delay_alu instid0(VALU_DEP_1) | instskip(SKIP_4) | instid1(VALU_DEP_1)
	v_cvt_f64_f32_e32 v[16:17], v16
	global_store_b64 v[24:25], v[16:17], off
	flat_load_b64 v[16:17], v[26:27]
	s_waitcnt vmcnt(0) lgkmcnt(0)
	v_mul_f64 v[16:17], s[10:11], v[16:17]
	v_cvt_f32_f64_e32 v16, v[16:17]
.LBB123_163:
	v_max_f32_e32 v17, v224, v224
	s_delay_alu instid0(VALU_DEP_2) | instskip(SKIP_2) | instid1(VALU_DEP_3)
	v_max_f32_e32 v16, v16, v16
	v_add_co_u32 v26, vcc_lo, v19, v6
	v_add_co_ci_u32_e32 v27, vcc_lo, v20, v7, vcc_lo
	v_min_f32_e32 v16, v16, v17
	s_mov_b32 vcc_lo, s2
	s_delay_alu instid0(VALU_DEP_1)
	v_cvt_f64_f32_e32 v[24:25], v16
	v_max_f32_e32 v16, v225, v225
	global_store_b64 v[26:27], v[24:25], off
	s_cbranch_vccz .LBB123_166
; %bb.164:
	v_min_f32_e32 v17, 0, v16
	v_add_co_u32 v26, vcc_lo, v19, v8
	v_add_co_ci_u32_e32 v27, vcc_lo, v20, v9, vcc_lo
	s_delay_alu instid0(VALU_DEP_3)
	v_cvt_f64_f32_e32 v[24:25], v17
	s_mov_b32 s0, 0
	global_store_b64 v[26:27], v[24:25], off
	s_cbranch_execz .LBB123_167
; %bb.165:
	v_mov_b32_e32 v16, s0
	s_branch .LBB123_168
.LBB123_166:
	s_mov_b32 s0, -1
.LBB123_167:
	v_add_co_u32 v24, vcc_lo, v21, v8
	v_add_co_ci_u32_e32 v25, vcc_lo, v23, v9, vcc_lo
	flat_load_b64 v[24:25], v[24:25]
	s_waitcnt vmcnt(0) lgkmcnt(0)
	v_mul_f64 v[24:25], s[10:11], v[24:25]
	s_delay_alu instid0(VALU_DEP_1)
	v_cvt_f32_f64_e32 v17, v[24:25]
	v_add_co_u32 v24, vcc_lo, v19, v8
	v_add_co_ci_u32_e32 v25, vcc_lo, v20, v9, vcc_lo
	v_add_co_u32 v26, vcc_lo, v21, v10
	v_add_co_ci_u32_e32 v27, vcc_lo, v23, v11, vcc_lo
	v_min_f32_e32 v16, v17, v16
	s_delay_alu instid0(VALU_DEP_1) | instskip(SKIP_4) | instid1(VALU_DEP_1)
	v_cvt_f64_f32_e32 v[16:17], v16
	global_store_b64 v[24:25], v[16:17], off
	flat_load_b64 v[16:17], v[26:27]
	s_waitcnt vmcnt(0) lgkmcnt(0)
	v_mul_f64 v[16:17], s[10:11], v[16:17]
	v_cvt_f32_f64_e32 v16, v[16:17]
.LBB123_168:
	s_delay_alu instid0(VALU_DEP_1) | instskip(SKIP_2) | instid1(VALU_DEP_3)
	v_dual_max_f32 v17, v226, v226 :: v_dual_max_f32 v16, v16, v16
	v_add_co_u32 v26, vcc_lo, v19, v10
	v_add_co_ci_u32_e32 v27, vcc_lo, v20, v11, vcc_lo
	v_min_f32_e32 v16, v16, v17
	s_mov_b32 vcc_lo, s2
	s_delay_alu instid0(VALU_DEP_1)
	v_cvt_f64_f32_e32 v[24:25], v16
	v_max_f32_e32 v16, v204, v204
	global_store_b64 v[26:27], v[24:25], off
	s_cbranch_vccz .LBB123_171
; %bb.169:
	v_min_f32_e32 v17, 0, v16
	v_add_co_u32 v26, vcc_lo, v19, v12
	v_add_co_ci_u32_e32 v27, vcc_lo, v20, v13, vcc_lo
	s_delay_alu instid0(VALU_DEP_3)
	v_cvt_f64_f32_e32 v[24:25], v17
	s_mov_b32 s0, 0
	global_store_b64 v[26:27], v[24:25], off
	s_cbranch_execz .LBB123_172
; %bb.170:
	v_mov_b32_e32 v16, s0
	s_branch .LBB123_173
.LBB123_171:
	s_mov_b32 s0, -1
.LBB123_172:
	v_add_co_u32 v24, vcc_lo, v21, v12
	v_add_co_ci_u32_e32 v25, vcc_lo, v23, v13, vcc_lo
	flat_load_b64 v[24:25], v[24:25]
	s_waitcnt vmcnt(0) lgkmcnt(0)
	v_mul_f64 v[24:25], s[10:11], v[24:25]
	s_delay_alu instid0(VALU_DEP_1)
	v_cvt_f32_f64_e32 v17, v[24:25]
	v_add_co_u32 v24, vcc_lo, v19, v12
	v_add_co_ci_u32_e32 v25, vcc_lo, v20, v13, vcc_lo
	v_add_co_u32 v21, vcc_lo, v21, v14
	v_add_co_ci_u32_e32 v22, vcc_lo, v23, v15, vcc_lo
	v_min_f32_e32 v16, v17, v16
	s_delay_alu instid0(VALU_DEP_1) | instskip(SKIP_4) | instid1(VALU_DEP_1)
	v_cvt_f64_f32_e32 v[16:17], v16
	global_store_b64 v[24:25], v[16:17], off
	flat_load_b64 v[16:17], v[21:22]
	s_waitcnt vmcnt(0) lgkmcnt(0)
	v_mul_f64 v[16:17], s[10:11], v[16:17]
	v_cvt_f32_f64_e32 v16, v[16:17]
.LBB123_173:
	s_delay_alu instid0(VALU_DEP_1) | instskip(SKIP_2) | instid1(VALU_DEP_3)
	v_dual_max_f32 v17, v203, v203 :: v_dual_max_f32 v16, v16, v16
	v_add_co_u32 v26, vcc_lo, v19, v14
	v_add_co_ci_u32_e32 v27, vcc_lo, v20, v15, vcc_lo
	v_dual_min_f32 v16, v16, v17 :: v_dual_add_nc_u32 v21, 0xc0, v18
	s_delay_alu instid0(VALU_DEP_1) | instskip(NEXT) | instid1(VALU_DEP_2)
	v_cvt_f64_f32_e32 v[22:23], v16
	v_mad_i64_i32 v[16:17], null, v21, s12, 0
	v_mad_i64_i32 v[24:25], null, v21, s3, 0
	v_max_f32_e32 v21, v200, v200
	s_delay_alu instid0(VALU_DEP_3) | instskip(NEXT) | instid1(VALU_DEP_3)
	v_lshlrev_b64 v[16:17], 3, v[16:17]
	v_lshlrev_b64 v[19:20], 3, v[24:25]
	s_delay_alu instid0(VALU_DEP_2) | instskip(NEXT) | instid1(VALU_DEP_3)
	v_add_co_u32 v16, vcc_lo, s4, v16
	v_add_co_ci_u32_e32 v17, vcc_lo, s5, v17, vcc_lo
	s_delay_alu instid0(VALU_DEP_3) | instskip(NEXT) | instid1(VALU_DEP_4)
	v_add_co_u32 v19, vcc_lo, s8, v19
	v_add_co_ci_u32_e32 v20, vcc_lo, s9, v20, vcc_lo
	s_mov_b32 vcc_lo, s2
	global_store_b64 v[26:27], v[22:23], off
	s_cbranch_vccz .LBB123_176
; %bb.174:
	v_min_f32_e32 v22, 0, v21
	v_add_co_u32 v24, vcc_lo, v16, v0
	v_add_co_ci_u32_e32 v25, vcc_lo, v17, v1, vcc_lo
	s_delay_alu instid0(VALU_DEP_3)
	v_cvt_f64_f32_e32 v[22:23], v22
	s_mov_b32 s0, 0
	global_store_b64 v[24:25], v[22:23], off
	s_cbranch_execz .LBB123_177
; %bb.175:
	v_mov_b32_e32 v21, s0
	s_branch .LBB123_178
.LBB123_176:
	s_mov_b32 s0, -1
.LBB123_177:
	v_add_co_u32 v22, vcc_lo, v19, v0
	v_add_co_ci_u32_e32 v23, vcc_lo, v20, v1, vcc_lo
	flat_load_b64 v[22:23], v[22:23]
	s_waitcnt vmcnt(0) lgkmcnt(0)
	v_mul_f64 v[22:23], s[10:11], v[22:23]
	s_delay_alu instid0(VALU_DEP_1)
	v_cvt_f32_f64_e32 v22, v[22:23]
	v_add_co_u32 v23, vcc_lo, v16, v0
	v_add_co_ci_u32_e32 v24, vcc_lo, v17, v1, vcc_lo
	v_add_co_u32 v25, vcc_lo, v19, v2
	v_add_co_ci_u32_e32 v26, vcc_lo, v20, v3, vcc_lo
	v_min_f32_e32 v21, v22, v21
	s_delay_alu instid0(VALU_DEP_1) | instskip(SKIP_4) | instid1(VALU_DEP_1)
	v_cvt_f64_f32_e32 v[21:22], v21
	global_store_b64 v[23:24], v[21:22], off
	flat_load_b64 v[21:22], v[25:26]
	s_waitcnt vmcnt(0) lgkmcnt(0)
	v_mul_f64 v[21:22], s[10:11], v[21:22]
	v_cvt_f32_f64_e32 v21, v[21:22]
.LBB123_178:
	s_delay_alu instid0(VALU_DEP_1) | instskip(SKIP_2) | instid1(VALU_DEP_3)
	v_dual_max_f32 v22, v199, v199 :: v_dual_max_f32 v21, v21, v21
	v_add_co_u32 v24, vcc_lo, v16, v2
	v_add_co_ci_u32_e32 v25, vcc_lo, v17, v3, vcc_lo
	v_min_f32_e32 v21, v21, v22
	s_mov_b32 vcc_lo, s2
	s_delay_alu instid0(VALU_DEP_1)
	v_cvt_f64_f32_e32 v[22:23], v21
	v_max_f32_e32 v21, v131, v131
	global_store_b64 v[24:25], v[22:23], off
	s_cbranch_vccz .LBB123_181
; %bb.179:
	v_min_f32_e32 v22, 0, v21
	v_add_co_u32 v24, vcc_lo, v16, v4
	v_add_co_ci_u32_e32 v25, vcc_lo, v17, v5, vcc_lo
	s_delay_alu instid0(VALU_DEP_3)
	v_cvt_f64_f32_e32 v[22:23], v22
	s_mov_b32 s0, 0
	global_store_b64 v[24:25], v[22:23], off
	s_cbranch_execz .LBB123_182
; %bb.180:
	v_mov_b32_e32 v21, s0
	s_branch .LBB123_183
.LBB123_181:
	s_mov_b32 s0, -1
.LBB123_182:
	v_add_co_u32 v22, vcc_lo, v19, v4
	v_add_co_ci_u32_e32 v23, vcc_lo, v20, v5, vcc_lo
	flat_load_b64 v[22:23], v[22:23]
	s_waitcnt vmcnt(0) lgkmcnt(0)
	v_mul_f64 v[22:23], s[10:11], v[22:23]
	s_delay_alu instid0(VALU_DEP_1)
	v_cvt_f32_f64_e32 v22, v[22:23]
	v_add_co_u32 v23, vcc_lo, v16, v4
	v_add_co_ci_u32_e32 v24, vcc_lo, v17, v5, vcc_lo
	v_add_co_u32 v25, vcc_lo, v19, v6
	v_add_co_ci_u32_e32 v26, vcc_lo, v20, v7, vcc_lo
	v_min_f32_e32 v21, v22, v21
	s_delay_alu instid0(VALU_DEP_1) | instskip(SKIP_4) | instid1(VALU_DEP_1)
	v_cvt_f64_f32_e32 v[21:22], v21
	global_store_b64 v[23:24], v[21:22], off
	flat_load_b64 v[21:22], v[25:26]
	s_waitcnt vmcnt(0) lgkmcnt(0)
	v_mul_f64 v[21:22], s[10:11], v[21:22]
	v_cvt_f32_f64_e32 v21, v[21:22]
.LBB123_183:
	s_delay_alu instid0(VALU_DEP_1) | instskip(SKIP_2) | instid1(VALU_DEP_3)
	v_dual_max_f32 v22, v195, v195 :: v_dual_max_f32 v21, v21, v21
	v_add_co_u32 v24, vcc_lo, v16, v6
	v_add_co_ci_u32_e32 v25, vcc_lo, v17, v7, vcc_lo
	v_min_f32_e32 v21, v21, v22
	s_mov_b32 vcc_lo, s2
	s_delay_alu instid0(VALU_DEP_1)
	v_cvt_f64_f32_e32 v[22:23], v21
	scratch_load_b32 v21, off, off offset:8 ; 4-byte Folded Reload
	global_store_b64 v[24:25], v[22:23], off
	s_waitcnt vmcnt(0)
	v_max_f32_e32 v21, v21, v21
	s_cbranch_vccz .LBB123_186
; %bb.184:
	s_delay_alu instid0(VALU_DEP_1) | instskip(SKIP_2) | instid1(VALU_DEP_3)
	v_min_f32_e32 v22, 0, v21
	v_add_co_u32 v24, vcc_lo, v16, v8
	v_add_co_ci_u32_e32 v25, vcc_lo, v17, v9, vcc_lo
	v_cvt_f64_f32_e32 v[22:23], v22
	s_mov_b32 s0, 0
	global_store_b64 v[24:25], v[22:23], off
	s_cbranch_execz .LBB123_187
; %bb.185:
	v_mov_b32_e32 v21, s0
	s_branch .LBB123_188
.LBB123_186:
	s_mov_b32 s0, -1
.LBB123_187:
	v_add_co_u32 v22, vcc_lo, v19, v8
	v_add_co_ci_u32_e32 v23, vcc_lo, v20, v9, vcc_lo
	flat_load_b64 v[22:23], v[22:23]
	s_waitcnt vmcnt(0) lgkmcnt(0)
	v_mul_f64 v[22:23], s[10:11], v[22:23]
	s_delay_alu instid0(VALU_DEP_1)
	v_cvt_f32_f64_e32 v22, v[22:23]
	v_add_co_u32 v23, vcc_lo, v16, v8
	v_add_co_ci_u32_e32 v24, vcc_lo, v17, v9, vcc_lo
	v_add_co_u32 v25, vcc_lo, v19, v10
	v_add_co_ci_u32_e32 v26, vcc_lo, v20, v11, vcc_lo
	v_min_f32_e32 v21, v22, v21
	s_delay_alu instid0(VALU_DEP_1) | instskip(SKIP_4) | instid1(VALU_DEP_1)
	v_cvt_f64_f32_e32 v[21:22], v21
	global_store_b64 v[23:24], v[21:22], off
	flat_load_b64 v[21:22], v[25:26]
	s_waitcnt vmcnt(0) lgkmcnt(0)
	v_mul_f64 v[21:22], s[10:11], v[21:22]
	v_cvt_f32_f64_e32 v21, v[21:22]
.LBB123_188:
	s_delay_alu instid0(VALU_DEP_1) | instskip(SKIP_2) | instid1(VALU_DEP_3)
	v_dual_max_f32 v22, v130, v130 :: v_dual_max_f32 v21, v21, v21
	v_add_co_u32 v24, vcc_lo, v16, v10
	v_add_co_ci_u32_e32 v25, vcc_lo, v17, v11, vcc_lo
	v_min_f32_e32 v21, v21, v22
	s_mov_b32 vcc_lo, s2
	s_delay_alu instid0(VALU_DEP_1)
	v_cvt_f64_f32_e32 v[22:23], v21
	scratch_load_b32 v21, off, off offset:12 ; 4-byte Folded Reload
	global_store_b64 v[24:25], v[22:23], off
	s_waitcnt vmcnt(0)
	v_max_f32_e32 v21, v21, v21
	s_cbranch_vccz .LBB123_191
; %bb.189:
	s_delay_alu instid0(VALU_DEP_1) | instskip(SKIP_2) | instid1(VALU_DEP_3)
	v_min_f32_e32 v22, 0, v21
	v_add_co_u32 v24, vcc_lo, v16, v12
	v_add_co_ci_u32_e32 v25, vcc_lo, v17, v13, vcc_lo
	v_cvt_f64_f32_e32 v[22:23], v22
	s_mov_b32 s0, 0
	global_store_b64 v[24:25], v[22:23], off
	s_cbranch_execz .LBB123_192
; %bb.190:
	v_mov_b32_e32 v19, s0
	s_branch .LBB123_193
.LBB123_191:
	s_mov_b32 s0, -1
.LBB123_192:
	v_add_co_u32 v22, vcc_lo, v19, v12
	v_add_co_ci_u32_e32 v23, vcc_lo, v20, v13, vcc_lo
	flat_load_b64 v[22:23], v[22:23]
	s_waitcnt vmcnt(0) lgkmcnt(0)
	v_mul_f64 v[22:23], s[10:11], v[22:23]
	s_delay_alu instid0(VALU_DEP_1)
	v_cvt_f32_f64_e32 v22, v[22:23]
	v_add_co_u32 v23, vcc_lo, v16, v12
	v_add_co_ci_u32_e32 v24, vcc_lo, v17, v13, vcc_lo
	v_add_co_u32 v19, vcc_lo, v19, v14
	v_add_co_ci_u32_e32 v20, vcc_lo, v20, v15, vcc_lo
	v_min_f32_e32 v21, v22, v21
	s_delay_alu instid0(VALU_DEP_1) | instskip(SKIP_4) | instid1(VALU_DEP_1)
	v_cvt_f64_f32_e32 v[21:22], v21
	global_store_b64 v[23:24], v[21:22], off
	flat_load_b64 v[19:20], v[19:20]
	s_waitcnt vmcnt(0) lgkmcnt(0)
	v_mul_f64 v[19:20], s[10:11], v[19:20]
	v_cvt_f32_f64_e32 v19, v[19:20]
.LBB123_193:
	v_max_f32_e32 v20, v127, v127
	s_delay_alu instid0(VALU_DEP_2) | instskip(SKIP_2) | instid1(VALU_DEP_3)
	v_max_f32_e32 v19, v19, v19
	v_add_co_u32 v25, vcc_lo, v16, v14
	v_add_co_ci_u32_e32 v26, vcc_lo, v17, v15, vcc_lo
	v_dual_min_f32 v19, v19, v20 :: v_dual_add_nc_u32 v20, 0xe0, v18
	s_delay_alu instid0(VALU_DEP_1) | instskip(NEXT) | instid1(VALU_DEP_2)
	v_cvt_f64_f32_e32 v[21:22], v19
	v_mad_i64_i32 v[18:19], null, v20, s12, 0
	v_mad_i64_i32 v[23:24], null, v20, s3, 0
	v_max_f32_e32 v20, v126, v126
	s_delay_alu instid0(VALU_DEP_3) | instskip(NEXT) | instid1(VALU_DEP_3)
	v_lshlrev_b64 v[18:19], 3, v[18:19]
	v_lshlrev_b64 v[23:24], 3, v[23:24]
	s_delay_alu instid0(VALU_DEP_2) | instskip(NEXT) | instid1(VALU_DEP_3)
	v_add_co_u32 v16, vcc_lo, s4, v18
	v_add_co_ci_u32_e32 v17, vcc_lo, s5, v19, vcc_lo
	s_delay_alu instid0(VALU_DEP_3) | instskip(NEXT) | instid1(VALU_DEP_4)
	v_add_co_u32 v18, vcc_lo, s8, v23
	v_add_co_ci_u32_e32 v19, vcc_lo, s9, v24, vcc_lo
	s_mov_b32 vcc_lo, s2
	global_store_b64 v[25:26], v[21:22], off
	s_cbranch_vccz .LBB123_196
; %bb.194:
	v_min_f32_e32 v21, 0, v20
	v_add_co_u32 v23, vcc_lo, v16, v0
	v_add_co_ci_u32_e32 v24, vcc_lo, v17, v1, vcc_lo
	s_delay_alu instid0(VALU_DEP_3)
	v_cvt_f64_f32_e32 v[21:22], v21
	s_mov_b32 s0, 0
	global_store_b64 v[23:24], v[21:22], off
	s_cbranch_execz .LBB123_197
; %bb.195:
	v_mov_b32_e32 v0, s0
	s_branch .LBB123_198
.LBB123_196:
	s_mov_b32 s0, -1
.LBB123_197:
	v_add_co_u32 v21, vcc_lo, v18, v0
	v_add_co_ci_u32_e32 v22, vcc_lo, v19, v1, vcc_lo
	v_add_co_u32 v0, vcc_lo, v16, v0
	v_add_co_ci_u32_e32 v1, vcc_lo, v17, v1, vcc_lo
	flat_load_b64 v[21:22], v[21:22]
	s_waitcnt vmcnt(0) lgkmcnt(0)
	v_mul_f64 v[21:22], s[10:11], v[21:22]
	s_delay_alu instid0(VALU_DEP_1) | instskip(SKIP_2) | instid1(VALU_DEP_3)
	v_cvt_f32_f64_e32 v21, v[21:22]
	v_add_co_u32 v22, vcc_lo, v18, v2
	v_add_co_ci_u32_e32 v23, vcc_lo, v19, v3, vcc_lo
	v_min_f32_e32 v20, v21, v20
	s_delay_alu instid0(VALU_DEP_1) | instskip(SKIP_4) | instid1(VALU_DEP_1)
	v_cvt_f64_f32_e32 v[20:21], v20
	global_store_b64 v[0:1], v[20:21], off
	flat_load_b64 v[0:1], v[22:23]
	s_waitcnt vmcnt(0) lgkmcnt(0)
	v_mul_f64 v[0:1], s[10:11], v[0:1]
	v_cvt_f32_f64_e32 v0, v[0:1]
.LBB123_198:
	s_delay_alu instid0(VALU_DEP_1) | instskip(NEXT) | instid1(VALU_DEP_1)
	v_dual_max_f32 v1, v125, v125 :: v_dual_max_f32 v0, v0, v0
	v_min_f32_e32 v0, v0, v1
	v_add_co_u32 v1, vcc_lo, v16, v2
	v_add_co_ci_u32_e32 v2, vcc_lo, v17, v3, vcc_lo
	s_delay_alu instid0(VALU_DEP_3)
	v_cvt_f64_f32_e32 v[20:21], v0
	v_max_f32_e32 v0, v124, v124
	s_mov_b32 vcc_lo, s2
	global_store_b64 v[1:2], v[20:21], off
	s_cbranch_vccz .LBB123_201
; %bb.199:
	v_min_f32_e32 v1, 0, v0
	v_add_co_u32 v20, vcc_lo, v16, v4
	v_add_co_ci_u32_e32 v21, vcc_lo, v17, v5, vcc_lo
	s_delay_alu instid0(VALU_DEP_3)
	v_cvt_f64_f32_e32 v[1:2], v1
	s_mov_b32 s0, 0
	global_store_b64 v[20:21], v[1:2], off
	s_cbranch_execz .LBB123_202
; %bb.200:
	v_mov_b32_e32 v0, s0
	s_branch .LBB123_203
.LBB123_201:
	s_mov_b32 s0, -1
.LBB123_202:
	v_add_co_u32 v1, vcc_lo, v18, v4
	v_add_co_ci_u32_e32 v2, vcc_lo, v19, v5, vcc_lo
	flat_load_b64 v[1:2], v[1:2]
	s_waitcnt vmcnt(0) lgkmcnt(0)
	v_mul_f64 v[1:2], s[10:11], v[1:2]
	s_delay_alu instid0(VALU_DEP_1)
	v_cvt_f32_f64_e32 v1, v[1:2]
	v_add_co_u32 v2, vcc_lo, v16, v4
	v_add_co_ci_u32_e32 v3, vcc_lo, v17, v5, vcc_lo
	v_add_co_u32 v4, vcc_lo, v18, v6
	v_add_co_ci_u32_e32 v5, vcc_lo, v19, v7, vcc_lo
	v_min_f32_e32 v0, v1, v0
	s_delay_alu instid0(VALU_DEP_1) | instskip(SKIP_4) | instid1(VALU_DEP_1)
	v_cvt_f64_f32_e32 v[0:1], v0
	global_store_b64 v[2:3], v[0:1], off
	flat_load_b64 v[0:1], v[4:5]
	s_waitcnt vmcnt(0) lgkmcnt(0)
	v_mul_f64 v[0:1], s[10:11], v[0:1]
	v_cvt_f32_f64_e32 v0, v[0:1]
.LBB123_203:
	scratch_load_b32 v1, off, off offset:4  ; 4-byte Folded Reload
	v_add_co_u32 v3, vcc_lo, v16, v6
	v_add_co_ci_u32_e32 v4, vcc_lo, v17, v7, vcc_lo
	s_mov_b32 vcc_lo, s2
	s_waitcnt vmcnt(0)
	v_dual_max_f32 v0, v0, v0 :: v_dual_max_f32 v1, v1, v1
	s_delay_alu instid0(VALU_DEP_1) | instskip(NEXT) | instid1(VALU_DEP_1)
	v_min_f32_e32 v0, v0, v1
	v_cvt_f64_f32_e32 v[1:2], v0
	v_max_f32_e32 v0, v244, v244
	global_store_b64 v[3:4], v[1:2], off
	s_cbranch_vccz .LBB123_206
; %bb.204:
	v_min_f32_e32 v1, 0, v0
	v_add_co_u32 v3, vcc_lo, v16, v8
	v_add_co_ci_u32_e32 v4, vcc_lo, v17, v9, vcc_lo
	s_delay_alu instid0(VALU_DEP_3)
	v_cvt_f64_f32_e32 v[1:2], v1
	s_mov_b32 s0, 0
	global_store_b64 v[3:4], v[1:2], off
	s_cbranch_execz .LBB123_207
; %bb.205:
	v_mov_b32_e32 v0, s0
	s_branch .LBB123_208
.LBB123_206:
	s_mov_b32 s0, -1
.LBB123_207:
	v_add_co_u32 v1, vcc_lo, v18, v8
	v_add_co_ci_u32_e32 v2, vcc_lo, v19, v9, vcc_lo
	flat_load_b64 v[1:2], v[1:2]
	s_waitcnt vmcnt(0) lgkmcnt(0)
	v_mul_f64 v[1:2], s[10:11], v[1:2]
	s_delay_alu instid0(VALU_DEP_1)
	v_cvt_f32_f64_e32 v1, v[1:2]
	v_add_co_u32 v2, vcc_lo, v16, v8
	v_add_co_ci_u32_e32 v3, vcc_lo, v17, v9, vcc_lo
	v_add_co_u32 v4, vcc_lo, v18, v10
	v_add_co_ci_u32_e32 v5, vcc_lo, v19, v11, vcc_lo
	v_min_f32_e32 v0, v1, v0
	s_delay_alu instid0(VALU_DEP_1) | instskip(SKIP_4) | instid1(VALU_DEP_1)
	v_cvt_f64_f32_e32 v[0:1], v0
	global_store_b64 v[2:3], v[0:1], off
	flat_load_b64 v[0:1], v[4:5]
	s_waitcnt vmcnt(0) lgkmcnt(0)
	v_mul_f64 v[0:1], s[10:11], v[0:1]
	v_cvt_f32_f64_e32 v0, v[0:1]
.LBB123_208:
	s_delay_alu instid0(VALU_DEP_1) | instskip(SKIP_2) | instid1(VALU_DEP_3)
	v_dual_max_f32 v1, v122, v122 :: v_dual_max_f32 v0, v0, v0
	v_add_co_u32 v3, vcc_lo, v16, v10
	v_add_co_ci_u32_e32 v4, vcc_lo, v17, v11, vcc_lo
	v_min_f32_e32 v0, v0, v1
	s_mov_b32 vcc_lo, s2
	s_delay_alu instid0(VALU_DEP_1)
	v_cvt_f64_f32_e32 v[1:2], v0
	v_max_f32_e32 v0, v120, v120
	global_store_b64 v[3:4], v[1:2], off
	s_cbranch_vccz .LBB123_211
; %bb.209:
	v_min_f32_e32 v1, 0, v0
	v_add_co_u32 v3, vcc_lo, v16, v12
	v_add_co_ci_u32_e32 v4, vcc_lo, v17, v13, vcc_lo
	s_delay_alu instid0(VALU_DEP_3)
	v_cvt_f64_f32_e32 v[1:2], v1
	s_mov_b32 s0, 0
	global_store_b64 v[3:4], v[1:2], off
	s_cbranch_execz .LBB123_212
; %bb.210:
	v_mov_b32_e32 v0, s0
	s_branch .LBB123_213
.LBB123_211:
	s_mov_b32 s0, -1
.LBB123_212:
	v_add_co_u32 v1, vcc_lo, v18, v12
	v_add_co_ci_u32_e32 v2, vcc_lo, v19, v13, vcc_lo
	flat_load_b64 v[1:2], v[1:2]
	s_waitcnt vmcnt(0) lgkmcnt(0)
	v_mul_f64 v[1:2], s[10:11], v[1:2]
	s_delay_alu instid0(VALU_DEP_1)
	v_cvt_f32_f64_e32 v1, v[1:2]
	v_add_co_u32 v2, vcc_lo, v16, v12
	v_add_co_ci_u32_e32 v3, vcc_lo, v17, v13, vcc_lo
	v_add_co_u32 v4, vcc_lo, v18, v14
	v_add_co_ci_u32_e32 v5, vcc_lo, v19, v15, vcc_lo
	v_min_f32_e32 v0, v1, v0
	s_delay_alu instid0(VALU_DEP_1) | instskip(SKIP_4) | instid1(VALU_DEP_1)
	v_cvt_f64_f32_e32 v[0:1], v0
	global_store_b64 v[2:3], v[0:1], off
	flat_load_b64 v[0:1], v[4:5]
	s_waitcnt vmcnt(0) lgkmcnt(0)
	v_mul_f64 v[0:1], s[10:11], v[0:1]
	v_cvt_f32_f64_e32 v0, v[0:1]
.LBB123_213:
	scratch_load_b32 v1, off, off           ; 4-byte Folded Reload
	v_add_co_u32 v2, vcc_lo, v16, v14
	v_add_co_ci_u32_e32 v3, vcc_lo, v17, v15, vcc_lo
	s_waitcnt vmcnt(0)
	v_dual_max_f32 v0, v0, v0 :: v_dual_max_f32 v1, v1, v1
	s_delay_alu instid0(VALU_DEP_1) | instskip(NEXT) | instid1(VALU_DEP_1)
	v_min_f32_e32 v0, v0, v1
	v_cvt_f64_f32_e32 v[0:1], v0
	global_store_b64 v[2:3], v[0:1], off
	s_endpgm
	.section	.rodata,"a",@progbits
	.p2align	6, 0x0
	.amdhsa_kernel _ZN12_GLOBAL__N_120geam_min_plus_kernelId15HIP_vector_typeIdLj2EEdLi8ELi32ELi64ELi256ELi4ELi4ELi64ELi64ELi4ELc84ELc84ELb0ELb0ELb1EPKdKS4_KPdEEviiiT16_PT17_ilSA_ilS8_SA_ilPT18_ili26rocblas_geam_ex_operation_
		.amdhsa_group_segment_fixed_size 20480
		.amdhsa_private_segment_fixed_size 400
		.amdhsa_kernarg_size 136
		.amdhsa_user_sgpr_count 14
		.amdhsa_user_sgpr_dispatch_ptr 0
		.amdhsa_user_sgpr_queue_ptr 0
		.amdhsa_user_sgpr_kernarg_segment_ptr 1
		.amdhsa_user_sgpr_dispatch_id 0
		.amdhsa_user_sgpr_private_segment_size 0
		.amdhsa_wavefront_size32 1
		.amdhsa_uses_dynamic_stack 0
		.amdhsa_enable_private_segment 1
		.amdhsa_system_sgpr_workgroup_id_x 1
		.amdhsa_system_sgpr_workgroup_id_y 0
		.amdhsa_system_sgpr_workgroup_id_z 1
		.amdhsa_system_sgpr_workgroup_info 0
		.amdhsa_system_vgpr_workitem_id 1
		.amdhsa_next_free_vgpr 256
		.amdhsa_next_free_sgpr 26
		.amdhsa_reserve_vcc 1
		.amdhsa_float_round_mode_32 0
		.amdhsa_float_round_mode_16_64 0
		.amdhsa_float_denorm_mode_32 3
		.amdhsa_float_denorm_mode_16_64 3
		.amdhsa_dx10_clamp 1
		.amdhsa_ieee_mode 1
		.amdhsa_fp16_overflow 0
		.amdhsa_workgroup_processor_mode 1
		.amdhsa_memory_ordered 1
		.amdhsa_forward_progress 0
		.amdhsa_shared_vgpr_count 0
		.amdhsa_exception_fp_ieee_invalid_op 0
		.amdhsa_exception_fp_denorm_src 0
		.amdhsa_exception_fp_ieee_div_zero 0
		.amdhsa_exception_fp_ieee_overflow 0
		.amdhsa_exception_fp_ieee_underflow 0
		.amdhsa_exception_fp_ieee_inexact 0
		.amdhsa_exception_int_div_zero 0
	.end_amdhsa_kernel
	.section	.text._ZN12_GLOBAL__N_120geam_min_plus_kernelId15HIP_vector_typeIdLj2EEdLi8ELi32ELi64ELi256ELi4ELi4ELi64ELi64ELi4ELc84ELc84ELb0ELb0ELb1EPKdKS4_KPdEEviiiT16_PT17_ilSA_ilS8_SA_ilPT18_ili26rocblas_geam_ex_operation_,"axG",@progbits,_ZN12_GLOBAL__N_120geam_min_plus_kernelId15HIP_vector_typeIdLj2EEdLi8ELi32ELi64ELi256ELi4ELi4ELi64ELi64ELi4ELc84ELc84ELb0ELb0ELb1EPKdKS4_KPdEEviiiT16_PT17_ilSA_ilS8_SA_ilPT18_ili26rocblas_geam_ex_operation_,comdat
.Lfunc_end123:
	.size	_ZN12_GLOBAL__N_120geam_min_plus_kernelId15HIP_vector_typeIdLj2EEdLi8ELi32ELi64ELi256ELi4ELi4ELi64ELi64ELi4ELc84ELc84ELb0ELb0ELb1EPKdKS4_KPdEEviiiT16_PT17_ilSA_ilS8_SA_ilPT18_ili26rocblas_geam_ex_operation_, .Lfunc_end123-_ZN12_GLOBAL__N_120geam_min_plus_kernelId15HIP_vector_typeIdLj2EEdLi8ELi32ELi64ELi256ELi4ELi4ELi64ELi64ELi4ELc84ELc84ELb0ELb0ELb1EPKdKS4_KPdEEviiiT16_PT17_ilSA_ilS8_SA_ilPT18_ili26rocblas_geam_ex_operation_
                                        ; -- End function
	.section	.AMDGPU.csdata,"",@progbits
; Kernel info:
; codeLenInByte = 24480
; NumSgprs: 28
; NumVgprs: 256
; ScratchSize: 400
; MemoryBound: 1
; FloatMode: 240
; IeeeMode: 1
; LDSByteSize: 20480 bytes/workgroup (compile time only)
; SGPRBlocks: 3
; VGPRBlocks: 31
; NumSGPRsForWavesPerEU: 28
; NumVGPRsForWavesPerEU: 256
; Occupancy: 5
; WaveLimiterHint : 1
; COMPUTE_PGM_RSRC2:SCRATCH_EN: 1
; COMPUTE_PGM_RSRC2:USER_SGPR: 14
; COMPUTE_PGM_RSRC2:TRAP_HANDLER: 0
; COMPUTE_PGM_RSRC2:TGID_X_EN: 1
; COMPUTE_PGM_RSRC2:TGID_Y_EN: 0
; COMPUTE_PGM_RSRC2:TGID_Z_EN: 1
; COMPUTE_PGM_RSRC2:TIDIG_COMP_CNT: 1
	.section	.text._ZN12_GLOBAL__N_120geam_min_plus_kernelId15HIP_vector_typeIdLj2EEdLi8ELi32ELi64ELi256ELi4ELi4ELi64ELi64ELi4ELc84ELc84ELb1ELb0ELb1EdKPKdKPdEEviiiT16_PT17_ilSA_ilS8_SA_ilPT18_ili26rocblas_geam_ex_operation_,"axG",@progbits,_ZN12_GLOBAL__N_120geam_min_plus_kernelId15HIP_vector_typeIdLj2EEdLi8ELi32ELi64ELi256ELi4ELi4ELi64ELi64ELi4ELc84ELc84ELb1ELb0ELb1EdKPKdKPdEEviiiT16_PT17_ilSA_ilS8_SA_ilPT18_ili26rocblas_geam_ex_operation_,comdat
	.globl	_ZN12_GLOBAL__N_120geam_min_plus_kernelId15HIP_vector_typeIdLj2EEdLi8ELi32ELi64ELi256ELi4ELi4ELi64ELi64ELi4ELc84ELc84ELb1ELb0ELb1EdKPKdKPdEEviiiT16_PT17_ilSA_ilS8_SA_ilPT18_ili26rocblas_geam_ex_operation_ ; -- Begin function _ZN12_GLOBAL__N_120geam_min_plus_kernelId15HIP_vector_typeIdLj2EEdLi8ELi32ELi64ELi256ELi4ELi4ELi64ELi64ELi4ELc84ELc84ELb1ELb0ELb1EdKPKdKPdEEviiiT16_PT17_ilSA_ilS8_SA_ilPT18_ili26rocblas_geam_ex_operation_
	.p2align	8
	.type	_ZN12_GLOBAL__N_120geam_min_plus_kernelId15HIP_vector_typeIdLj2EEdLi8ELi32ELi64ELi256ELi4ELi4ELi64ELi64ELi4ELc84ELc84ELb1ELb0ELb1EdKPKdKPdEEviiiT16_PT17_ilSA_ilS8_SA_ilPT18_ili26rocblas_geam_ex_operation_,@function
_ZN12_GLOBAL__N_120geam_min_plus_kernelId15HIP_vector_typeIdLj2EEdLi8ELi32ELi64ELi256ELi4ELi4ELi64ELi64ELi4ELc84ELc84ELb1ELb0ELb1EdKPKdKPdEEviiiT16_PT17_ilSA_ilS8_SA_ilPT18_ili26rocblas_geam_ex_operation_: ; @_ZN12_GLOBAL__N_120geam_min_plus_kernelId15HIP_vector_typeIdLj2EEdLi8ELi32ELi64ELi256ELi4ELi4ELi64ELi64ELi4ELc84ELc84ELb1ELb0ELb1EdKPKdKPdEEviiiT16_PT17_ilSA_ilS8_SA_ilPT18_ili26rocblas_geam_ex_operation_
; %bb.0:
	s_clause 0x1
	s_load_b128 s[4:7], s[0:1], 0x10
	s_load_b128 s[8:11], s[0:1], 0x28
	s_mov_b32 s18, s15
	s_mov_b64 s[16:17], 0
	s_waitcnt lgkmcnt(0)
	v_cmp_eq_f64_e64 s2, s[4:5], 0
	s_delay_alu instid0(VALU_DEP_1)
	s_and_b32 vcc_lo, exec_lo, s2
	s_cbranch_vccnz .LBB124_2
; %bb.1:
	s_mov_b32 s19, 0
	s_delay_alu instid0(SALU_CYCLE_1) | instskip(NEXT) | instid1(SALU_CYCLE_1)
	s_lshl_b64 s[4:5], s[18:19], 3
	s_add_u32 s4, s6, s4
	s_addc_u32 s5, s7, s5
	s_lshl_b64 s[6:7], s[8:9], 3
	s_load_b64 s[4:5], s[4:5], 0x0
	s_waitcnt lgkmcnt(0)
	s_add_u32 s16, s4, s6
	s_addc_u32 s17, s5, s7
.LBB124_2:
	s_clause 0x1
	s_load_b128 s[4:7], s[0:1], 0x40
	s_load_b64 s[20:21], s[0:1], 0x50
	s_and_not1_b32 vcc_lo, exec_lo, s2
	s_cbranch_vccnz .LBB124_4
; %bb.3:
	s_mov_b32 s19, 0
	s_mov_b64 s[12:13], 0
	s_cbranch_execz .LBB124_5
	s_branch .LBB124_6
.LBB124_4:
	s_mov_b32 s19, -1
                                        ; implicit-def: $sgpr12_sgpr13
.LBB124_5:
	s_mov_b32 s19, 0
	s_delay_alu instid0(SALU_CYCLE_1) | instskip(NEXT) | instid1(SALU_CYCLE_1)
	s_lshl_b64 s[2:3], s[18:19], 3
	s_add_u32 s2, s10, s2
	s_addc_u32 s3, s11, s3
	s_waitcnt lgkmcnt(0)
	s_lshl_b64 s[4:5], s[4:5], 3
	s_load_b64 s[2:3], s[2:3], 0x0
	s_waitcnt lgkmcnt(0)
	s_add_u32 s12, s2, s4
	s_addc_u32 s13, s3, s5
.LBB124_6:
	s_waitcnt lgkmcnt(0)
	v_cmp_eq_f64_e64 s2, s[6:7], 0
	s_load_b128 s[8:11], s[0:1], 0x60
	s_mov_b64 s[4:5], 0
	s_delay_alu instid0(VALU_DEP_1) | instskip(NEXT) | instid1(SALU_CYCLE_1)
	s_and_b32 s2, exec_lo, s2
	s_mov_b32 vcc_lo, s2
	s_cbranch_vccnz .LBB124_8
; %bb.7:
	s_lshl_b64 s[4:5], s[18:19], 3
	s_delay_alu instid0(SALU_CYCLE_1)
	s_add_u32 s4, s20, s4
	s_addc_u32 s5, s21, s5
	s_waitcnt lgkmcnt(0)
	s_lshl_b64 s[8:9], s[8:9], 3
	s_load_b64 s[4:5], s[4:5], 0x0
	s_waitcnt lgkmcnt(0)
	s_add_u32 s4, s4, s8
	s_addc_u32 s5, s5, s9
.LBB124_8:
	s_clause 0x2
	s_load_b32 s15, s[0:1], 0x38
	s_load_b32 s3, s[0:1], 0x0
	;; [unrolled: 1-line block ×3, first 2 shown]
	s_waitcnt lgkmcnt(0)
	s_lshl_b64 s[8:9], s[18:19], 3
	v_and_b32_e32 v2, 0x3ff, v0
	v_bfe_u32 v109, v0, 10, 10
	v_dual_mov_b32 v122, 0x7f800000 :: v_dual_mov_b32 v127, 0x7f800000
	s_delay_alu instid0(VALU_DEP_3) | instskip(NEXT) | instid1(VALU_DEP_3)
	v_dual_mov_b32 v124, 0x7f800000 :: v_dual_and_b32 v5, 3, v2
	v_lshl_add_u32 v0, v109, 3, v2
	scratch_store_b32 off, v2, off offset:20 ; 4-byte Folded Spill
	v_dual_mov_b32 v247, 0x7f800000 :: v_dual_mov_b32 v120, 0x7f800000
	v_mov_b32_e32 v243, 0x7f800000
	v_lshrrev_b32_e32 v12, 6, v0
	v_lshrrev_b32_e32 v9, 2, v0
	v_dual_mov_b32 v249, 0x7f800000 :: v_dual_lshlrev_b32 v10, 3, v5
	v_dual_mov_b32 v192, 0x7f800000 :: v_dual_mov_b32 v77, 0x7f800000
	s_ashr_i32 s18, s15, 31
	s_add_u32 s8, s10, s8
	s_addc_u32 s9, s11, s9
	s_add_i32 s3, s3, -1
	v_add_nc_u32_e32 v4, 4, v12
	s_ashr_i32 s10, s3, 31
	scratch_store_b32 off, v5, off offset:364 ; 4-byte Folded Spill
	s_lshr_b32 s10, s10, 26
	v_lshl_or_b32 v226, v9, 5, v10
	s_add_i32 s3, s3, s10
	v_mad_i64_i32 v[2:3], null, s15, v4, 0
	s_ashr_i32 s3, s3, 6
	scratch_store_b32 off, v4, off offset:368 ; 4-byte Folded Spill
	s_add_i32 s10, s3, 1
	s_not_b32 s3, s3
	v_cvt_f32_u32_e32 v1, s10
	v_dual_mov_b32 v234, 0x7f800000 :: v_dual_mov_b32 v231, 0x7f800000
	v_lshlrev_b64 v[2:3], 3, v[2:3]
	v_dual_mov_b32 v128, 0x7f800000 :: v_dual_mov_b32 v219, 0x7f800000
	s_delay_alu instid0(VALU_DEP_4)
	v_rcp_iflag_f32_e32 v1, v1
	v_dual_mov_b32 v130, 0x7f800000 :: v_dual_mov_b32 v199, 0x7f800000
	v_dual_mov_b32 v132, 0x7f800000 :: v_dual_mov_b32 v201, 0x7f800000
	;; [unrolled: 1-line block ×3, first 2 shown]
	v_and_b32_e32 v76, 63, v0
	v_dual_mov_b32 v138, 0x7f800000 :: v_dual_mov_b32 v209, 0x7f800000
	s_waitcnt_depctr 0xfff
	v_mul_f32_e32 v1, 0x4f7ffffe, v1
	v_dual_mov_b32 v218, 0x7f800000 :: v_dual_mov_b32 v213, 0x7f800000
	v_dual_mov_b32 v198, 0x7f800000 :: v_dual_mov_b32 v215, 0x7f800000
	s_delay_alu instid0(VALU_DEP_3) | instskip(SKIP_2) | instid1(VALU_DEP_3)
	v_cvt_u32_f32_e32 v1, v1
	v_dual_mov_b32 v140, 0x7f800000 :: v_dual_mov_b32 v121, 0x7f800000
	v_dual_mov_b32 v134, 0x7f800000 :: v_dual_mov_b32 v123, 0x7f800000
	v_readfirstlane_b32 s11, v1
	v_mad_i64_i32 v[0:1], null, s15, v12, 0
	v_dual_mov_b32 v200, 0x7f800000 :: v_dual_mov_b32 v235, 0x7f800000
	s_delay_alu instid0(VALU_DEP_3) | instskip(SKIP_2) | instid1(VALU_DEP_3)
	s_mul_i32 s3, s3, s11
	v_dual_mov_b32 v202, 0x7f800000 :: v_dual_mov_b32 v129, 0x7f800000
	s_mul_hi_u32 s3, s11, s3
	v_lshlrev_b64 v[0:1], 3, v[0:1]
	s_add_i32 s11, s11, s3
	v_dual_mov_b32 v204, 0x7f800000 :: v_dual_mov_b32 v193, 0x7f800000
	s_mul_hi_u32 s3, s14, s11
	v_dual_mov_b32 v206, 0x7f800000 :: v_dual_mov_b32 v131, 0x7f800000
	s_mul_i32 s11, s3, s10
	s_add_i32 s19, s3, 1
	s_sub_i32 s11, s14, s11
	v_dual_mov_b32 v208, 0x7f800000 :: v_dual_mov_b32 v239, 0x7f800000
	s_sub_i32 s21, s11, s10
	s_cmp_ge_u32 s11, s10
	v_dual_mov_b32 v52, 0x7f800000 :: v_dual_mov_b32 v141, 0x7f800000
	s_cselect_b32 s3, s19, s3
	s_cselect_b32 s11, s21, s11
	s_add_i32 s19, s3, 1
	s_cmp_ge_u32 s11, s10
	v_mov_b32_e32 v79, 0x7f800000
	s_cselect_b32 s3, s19, s3
	v_mov_b32_e32 v210, 0x7f800000
	s_mul_i32 s10, s3, s10
	s_lshl_b32 s3, s3, 8
	s_sub_i32 s10, s14, s10
	v_or_b32_e32 v4, s3, v76
	s_lshl_b32 s10, s10, 6
	v_mov_b32_e32 v212, 0x7f800000
	v_add_nc_u32_e32 v8, s10, v9
	v_mov_b32_e32 v214, 0x7f800000
	v_ashrrev_i32_e32 v5, 31, v4
	v_mov_b32_e32 v248, 0x7f800000
	v_mov_b32_e32 v80, 0x7f800000
	v_mad_i64_i32 v[6:7], null, v8, s20, 0
	v_add_co_u32 v8, vcc_lo, s12, v0
	v_lshlrev_b64 v[220:221], 3, v[4:5]
	v_add_co_ci_u32_e32 v11, vcc_lo, s13, v1, vcc_lo
	v_add_co_u32 v4, vcc_lo, s12, v2
	v_lshlrev_b64 v[0:1], 3, v[6:7]
	v_add_co_ci_u32_e32 v5, vcc_lo, s13, v3, vcc_lo
	v_add_co_u32 v2, vcc_lo, v8, v220
	v_add_co_ci_u32_e32 v3, vcc_lo, v11, v221, vcc_lo
	s_delay_alu instid0(VALU_DEP_4) | instskip(SKIP_3) | instid1(VALU_DEP_4)
	v_add_co_u32 v6, vcc_lo, s16, v0
	v_add_co_ci_u32_e32 v7, vcc_lo, s17, v1, vcc_lo
	v_add_co_u32 v0, vcc_lo, v4, v220
	v_add_co_ci_u32_e32 v1, vcc_lo, v5, v221, vcc_lo
	v_add_co_u32 v14, vcc_lo, v6, v10
	s_clause 0x1
	scratch_store_b32 off, v6, off offset:372
	scratch_store_b32 off, v7, off offset:376
	v_add_co_ci_u32_e32 v15, vcc_lo, 0, v7, vcc_lo
	s_clause 0x3
	flat_load_b64 v[18:19], v[2:3]
	flat_load_b64 v[20:21], v[2:3] offset:512
	flat_load_b64 v[4:5], v[2:3] offset:1024
	;; [unrolled: 1-line block ×3, first 2 shown]
	flat_load_b64 v[7:8], v[14:15]
	flat_load_b64 v[16:17], v[0:1]
	s_load_b64 s[8:9], s[8:9], 0x0
	v_mov_b32_e32 v242, 0x7f800000
	v_mov_b32_e32 v244, 0x7f800000
	;; [unrolled: 1-line block ×7, first 2 shown]
	s_mov_b32 s11, -1
	s_mov_b32 s14, 0
	v_mov_b32_e32 v245, 0x7f800000
	v_mov_b32_e32 v135, 0x7f800000
	;; [unrolled: 1-line block ×5, first 2 shown]
	s_waitcnt vmcnt(0) lgkmcnt(0)
	scratch_store_b64 off, v[16:17], off offset:312 ; 8-byte Folded Spill
	flat_load_b64 v[16:17], v[0:1] offset:512
	s_waitcnt vmcnt(0) lgkmcnt(0)
	scratch_store_b64 off, v[16:17], off offset:320 ; 8-byte Folded Spill
	s_clause 0x1
	flat_load_b64 v[16:17], v[0:1] offset:1024
	flat_load_b64 v[0:1], v[0:1] offset:1536
	s_waitcnt vmcnt(0) lgkmcnt(0)
	scratch_store_b64 off, v[0:1], off offset:336 ; 8-byte Folded Spill
	flat_load_b64 v[0:1], v[14:15] offset:32
	s_waitcnt vmcnt(0) lgkmcnt(0)
	scratch_store_b64 off, v[0:1], off offset:344 ; 8-byte Folded Spill
	v_mov_b32_e32 v0, 0x7f800000
	scratch_store_b64 off, v[16:17], off offset:328 ; 8-byte Folded Spill
	v_add_nc_u32_e32 v1, 0x4000, v226
	scratch_store_b32 off, v0, off          ; 4-byte Folded Spill
	v_mov_b32_e32 v0, 0x7f800000
	s_clause 0x1
	scratch_store_b32 off, v1, off offset:384
	scratch_store_b32 off, v0, off offset:4
	v_mov_b32_e32 v0, 0x7f800000
	scratch_store_b32 off, v0, off offset:12 ; 4-byte Folded Spill
	v_mov_b32_e32 v0, 0x7f800000
	scratch_store_b32 off, v0, off offset:8 ; 4-byte Folded Spill
	;; [unrolled: 2-line block ×3, first 2 shown]
	v_lshlrev_b32_e32 v0, 3, v12
	s_delay_alu instid0(VALU_DEP_1)
	v_lshl_add_u32 v0, v76, 5, v0
	s_clause 0x1
	scratch_store_b32 off, v12, off offset:360
	scratch_store_b32 off, v0, off offset:380
	ds_store_2addr_stride64_b64 v0, v[18:19], v[20:21] offset1:4
	ds_store_2addr_stride64_b64 v0, v[4:5], v[2:3] offset0:8 offset1:12
	ds_store_b64 v226, v[7:8] offset:16384
	s_waitcnt lgkmcnt(0)
	s_waitcnt_vscnt null, 0x0
	s_barrier
	buffer_gl0_inv
.LBB124_9:                              ; =>This Inner Loop Header: Depth=1
	scratch_load_b32 v0, off, off offset:20 ; 4-byte Folded Reload
	s_lshl_b32 s14, s14, 3
	v_mov_b32_e32 v147, v134
	v_lshl_add_u32 v4, v109, 5, s14
	v_mov_b32_e32 v134, v138
	s_waitcnt vmcnt(0)
	v_lshl_add_u32 v5, v0, 5, s14
	ds_load_b128 v[18:21], v4
	ds_load_b128 v[0:3], v5 offset:16384
	ds_load_b128 v[105:108], v5 offset:16640
	;; [unrolled: 1-line block ×3, first 2 shown]
	s_mov_b32 s14, 2
	s_waitcnt lgkmcnt(2)
	v_add_f64 v[6:7], v[2:3], v[20:21]
	scratch_store_b64 off, v[6:7], off offset:56 ; 8-byte Folded Spill
	v_add_f64 v[6:7], v[0:1], v[18:19]
	scratch_store_b64 off, v[6:7], off offset:120 ; 8-byte Folded Spill
	s_waitcnt lgkmcnt(1)
	v_add_f64 v[6:7], v[107:108], v[20:21]
	scratch_store_b64 off, v[6:7], off offset:24 ; 8-byte Folded Spill
	v_add_f64 v[6:7], v[105:106], v[18:19]
	scratch_store_b64 off, v[6:7], off offset:88 ; 8-byte Folded Spill
	ds_load_b128 v[30:33], v5 offset:16896
	ds_load_b128 v[34:37], v5 offset:17152
	s_waitcnt lgkmcnt(1)
	v_add_f64 v[6:7], v[32:33], v[20:21]
	scratch_store_b64 off, v[6:7], off offset:64 ; 8-byte Folded Spill
	v_add_f64 v[6:7], v[30:31], v[18:19]
	scratch_store_b64 off, v[6:7], off offset:128 ; 8-byte Folded Spill
	s_waitcnt lgkmcnt(0)
	v_add_f64 v[6:7], v[36:37], v[20:21]
	scratch_store_b64 off, v[6:7], off offset:32 ; 8-byte Folded Spill
	v_add_f64 v[6:7], v[34:35], v[18:19]
	scratch_store_b64 off, v[6:7], off offset:96 ; 8-byte Folded Spill
	ds_load_b128 v[38:41], v5 offset:17408
	ds_load_b128 v[42:45], v5 offset:17664
	;; [unrolled: 1-line block ×3, first 2 shown]
	s_waitcnt lgkmcnt(2)
	v_add_f64 v[6:7], v[40:41], v[20:21]
	scratch_store_b64 off, v[6:7], off offset:72 ; 8-byte Folded Spill
	v_add_f64 v[6:7], v[38:39], v[18:19]
	scratch_store_b64 off, v[6:7], off offset:136 ; 8-byte Folded Spill
	s_waitcnt lgkmcnt(1)
	v_add_f64 v[6:7], v[44:45], v[20:21]
	scratch_store_b64 off, v[6:7], off offset:40 ; 8-byte Folded Spill
	v_add_f64 v[6:7], v[42:43], v[18:19]
	scratch_store_b64 off, v[6:7], off offset:104 ; 8-byte Folded Spill
	v_mov_b32_e32 v7, v52
	ds_load_b128 v[50:53], v5 offset:18176
	s_waitcnt lgkmcnt(1)
	v_add_f64 v[5:6], v[48:49], v[20:21]
	v_mov_b32_e32 v227, v109
	scratch_store_b64 off, v[5:6], off offset:80 ; 8-byte Folded Spill
	v_add_f64 v[5:6], v[46:47], v[18:19]
	scratch_store_b64 off, v[5:6], off offset:144 ; 8-byte Folded Spill
	s_waitcnt lgkmcnt(0)
	v_add_f64 v[5:6], v[52:53], v[20:21]
	scratch_store_b64 off, v[5:6], off offset:48 ; 8-byte Folded Spill
	v_add_f64 v[5:6], v[50:51], v[18:19]
	scratch_store_b64 off, v[5:6], off offset:112 ; 8-byte Folded Spill
	;; [unrolled: 2-line block ×18, first 2 shown]
	ds_load_b128 v[18:21], v4 offset:2048
	ds_load_b128 v[26:29], v4 offset:3072
	v_mov_b32_e32 v6, v132
	s_waitcnt lgkmcnt(1)
	v_add_f64 v[8:9], v[44:45], v[20:21]
	v_add_f64 v[132:133], v[2:3], v[20:21]
	;; [unrolled: 1-line block ×13, first 2 shown]
	s_waitcnt lgkmcnt(0)
	v_add_f64 v[224:225], v[2:3], v[28:29]
	v_add_f64 v[216:217], v[0:1], v[26:27]
	;; [unrolled: 1-line block ×16, first 2 shown]
	scratch_store_b64 off, v[8:9], off offset:296 ; 8-byte Folded Spill
	v_add_f64 v[8:9], v[48:49], v[20:21]
	scratch_store_b64 off, v[8:9], off offset:288 ; 8-byte Folded Spill
	v_add_f64 v[8:9], v[52:53], v[20:21]
	scratch_store_b64 off, v[8:9], off offset:280 ; 8-byte Folded Spill
	v_add_f64 v[8:9], v[50:51], v[18:19]
	scratch_store_b64 off, v[8:9], off offset:304 ; 8-byte Folded Spill
	ds_load_b128 v[18:21], v4 offset:4096
	ds_load_b128 v[26:29], v4 offset:5120
	s_waitcnt lgkmcnt(1)
	v_add_f64 v[54:55], v[2:3], v[20:21]
	v_add_f64 v[117:118], v[0:1], v[18:19]
	;; [unrolled: 1-line block ×16, first 2 shown]
	s_waitcnt lgkmcnt(0)
	v_add_f64 v[184:185], v[2:3], v[28:29]
	v_add_f64 v[180:181], v[0:1], v[26:27]
	;; [unrolled: 1-line block ×16, first 2 shown]
	ds_load_b128 v[18:21], v4 offset:6144
	ds_load_b128 v[26:29], v4 offset:7168
	v_cvt_f32_f64_e32 v24, v[24:25]
	scratch_load_b32 v25, off, off offset:16 ; 4-byte Folded Reload
	s_waitcnt lgkmcnt(1)
	v_add_f64 v[64:65], v[0:1], v[18:19]
	v_add_f64 v[99:100], v[105:106], v[18:19]
	;; [unrolled: 1-line block ×8, first 2 shown]
	s_waitcnt lgkmcnt(0)
	v_add_f64 v[0:1], v[0:1], v[26:27]
	v_add_f64 v[105:106], v[105:106], v[26:27]
	;; [unrolled: 1-line block ×8, first 2 shown]
	scratch_load_b64 v[50:51], off, off offset:120 ; 8-byte Folded Reload
	v_add_f64 v[4:5], v[2:3], v[20:21]
	v_add_f64 v[194:195], v[107:108], v[20:21]
	v_add_f64 v[8:9], v[32:33], v[20:21]
	v_add_f64 v[10:11], v[36:37], v[20:21]
	v_add_f64 v[12:13], v[40:41], v[20:21]
	v_add_f64 v[14:15], v[44:45], v[20:21]
	v_add_f64 v[16:17], v[48:49], v[20:21]
	v_add_f64 v[20:21], v[52:53], v[20:21]
	v_add_f64 v[2:3], v[2:3], v[28:29]
	v_add_f64 v[22:23], v[107:108], v[28:29]
	v_add_f64 v[32:33], v[32:33], v[28:29]
	v_add_f64 v[36:37], v[36:37], v[28:29]
	v_add_f64 v[40:41], v[40:41], v[28:29]
	v_add_f64 v[44:45], v[44:45], v[28:29]
	v_add_f64 v[48:49], v[48:49], v[28:29]
	v_add_f64 v[28:29], v[52:53], v[28:29]
	v_mov_b32_e32 v52, v7
	v_cvt_f32_f64_e32 v0, v[0:1]
	v_cvt_f32_f64_e32 v4, v[4:5]
	scratch_load_b32 v5, off, off offset:12 ; 4-byte Folded Reload
	v_cvt_f32_f64_e32 v1, v[2:3]
	s_delay_alu instid0(VALU_DEP_1) | instskip(SKIP_2) | instid1(VALU_DEP_1)
	v_min3_f32 v127, v0, v1, v127
	v_cvt_f32_f64_e32 v0, v[105:106]
	v_cvt_f32_f64_e32 v1, v[22:23]
	v_min3_f32 v79, v0, v1, v79
	v_cvt_f32_f64_e32 v0, v[30:31]
	v_cvt_f32_f64_e32 v1, v[32:33]
	s_waitcnt vmcnt(1)
	v_cvt_f32_f64_e32 v7, v[50:51]
	scratch_load_b64 v[50:51], off, off offset:56 ; 8-byte Folded Reload
	s_waitcnt vmcnt(0)
	v_cvt_f32_f64_e32 v50, v[50:51]
	s_delay_alu instid0(VALU_DEP_1)
	v_min3_f32 v142, v7, v50, v142
	scratch_load_b64 v[50:51], off, off offset:88 ; 8-byte Folded Reload
	s_waitcnt vmcnt(0)
	v_cvt_f32_f64_e32 v7, v[50:51]
	scratch_load_b64 v[50:51], off, off offset:24 ; 8-byte Folded Reload
	s_waitcnt vmcnt(0)
	v_cvt_f32_f64_e32 v50, v[50:51]
	s_delay_alu instid0(VALU_DEP_1)
	v_min3_f32 v141, v7, v50, v141
	scratch_load_b64 v[50:51], off, off offset:128 ; 8-byte Folded Reload
	;; [unrolled: 8-line block ×15, first 2 shown]
	s_waitcnt vmcnt(0)
	v_cvt_f32_f64_e32 v7, v[50:51]
	scratch_load_b64 v[50:51], off, off offset:264 ; 8-byte Folded Reload
	s_waitcnt vmcnt(0)
	v_cvt_f32_f64_e32 v50, v[50:51]
	s_delay_alu instid0(VALU_DEP_1)
	v_min3_f32 v248, v7, v50, v248
	v_cvt_f32_f64_e32 v7, v[95:96]
	v_cvt_f32_f64_e32 v50, v[132:133]
	v_mov_b32_e32 v132, v6
	scratch_load_b32 v6, off, off offset:4  ; 4-byte Folded Reload
	v_min3_f32 v121, v7, v50, v121
	v_cvt_f32_f64_e32 v7, v[91:92]
	v_cvt_f32_f64_e32 v50, v[190:191]
	s_delay_alu instid0(VALU_DEP_1) | instskip(SKIP_2) | instid1(VALU_DEP_1)
	v_min3_f32 v215, v7, v50, v215
	v_cvt_f32_f64_e32 v7, v[87:88]
	v_cvt_f32_f64_e32 v50, v[101:102]
	v_min3_f32 v214, v7, v50, v214
	v_cvt_f32_f64_e32 v7, v[83:84]
	v_cvt_f32_f64_e32 v50, v[97:98]
	s_delay_alu instid0(VALU_DEP_1) | instskip(SKIP_2) | instid1(VALU_DEP_1)
	v_min3_f32 v213, v7, v50, v213
	v_cvt_f32_f64_e32 v7, v[62:63]
	v_cvt_f32_f64_e32 v50, v[186:187]
	v_min3_f32 v212, v7, v50, v212
	scratch_load_b64 v[50:51], off, off offset:296 ; 8-byte Folded Reload
	v_cvt_f32_f64_e32 v7, v[60:61]
	s_waitcnt vmcnt(0)
	v_cvt_f32_f64_e32 v50, v[50:51]
	s_delay_alu instid0(VALU_DEP_1) | instskip(SKIP_4) | instid1(VALU_DEP_1)
	v_min3_f32 v211, v7, v50, v211
	scratch_load_b64 v[50:51], off, off offset:288 ; 8-byte Folded Reload
	v_cvt_f32_f64_e32 v7, v[188:189]
	s_waitcnt vmcnt(0)
	v_cvt_f32_f64_e32 v50, v[50:51]
	v_min3_f32 v210, v7, v50, v210
	scratch_load_b64 v[50:51], off, off offset:304 ; 8-byte Folded Reload
	s_waitcnt vmcnt(0)
	v_cvt_f32_f64_e32 v7, v[50:51]
	scratch_load_b64 v[50:51], off, off offset:280 ; 8-byte Folded Reload
	s_waitcnt vmcnt(0)
	v_cvt_f32_f64_e32 v50, v[50:51]
	s_delay_alu instid0(VALU_DEP_1) | instskip(SKIP_2) | instid1(VALU_DEP_1)
	v_min3_f32 v209, v7, v50, v209
	v_cvt_f32_f64_e32 v7, v[216:217]
	v_cvt_f32_f64_e32 v50, v[224:225]
	v_min3_f32 v52, v7, v50, v52
	v_cvt_f32_f64_e32 v7, v[136:137]
	v_cvt_f32_f64_e32 v50, v[228:229]
	s_delay_alu instid0(VALU_DEP_1) | instskip(SKIP_2) | instid1(VALU_DEP_1)
	v_min3_f32 v208, v7, v50, v208
	v_cvt_f32_f64_e32 v7, v[125:126]
	v_cvt_f32_f64_e32 v50, v[232:233]
	v_min3_f32 v207, v7, v50, v207
	v_cvt_f32_f64_e32 v7, v[81:82]
	;; [unrolled: 7-line block ×3, first 2 shown]
	v_cvt_f32_f64_e32 v50, v[138:139]
	v_mov_b32_e32 v138, v134
	v_mov_b32_e32 v134, v147
	s_delay_alu instid0(VALU_DEP_3) | instskip(SKIP_2) | instid1(VALU_DEP_1)
	v_min3_f32 v204, v7, v50, v204
	v_cvt_f32_f64_e32 v7, v[250:251]
	v_cvt_f32_f64_e32 v50, v[115:116]
	v_min3_f32 v203, v7, v50, v203
	v_cvt_f32_f64_e32 v7, v[254:255]
	v_cvt_f32_f64_e32 v50, v[252:253]
	s_delay_alu instid0(VALU_DEP_1) | instskip(SKIP_2) | instid1(VALU_DEP_1)
	v_min3_f32 v202, v7, v50, v202
	v_cvt_f32_f64_e32 v7, v[117:118]
	v_cvt_f32_f64_e32 v50, v[54:55]
	v_min3_f32 v201, v7, v50, v201
	v_cvt_f32_f64_e32 v7, v[113:114]
	v_cvt_f32_f64_e32 v50, v[58:59]
	s_delay_alu instid0(VALU_DEP_1) | instskip(SKIP_1) | instid1(VALU_DEP_1)
	v_min3_f32 v200, v7, v50, v200
	v_cvt_f32_f64_e32 v7, v[56:57]
	v_min3_f32 v134, v7, v24, v134
	v_cvt_f32_f64_e32 v7, v[143:144]
	v_cvt_f32_f64_e32 v24, v[68:69]
	s_delay_alu instid0(VALU_DEP_1) | instskip(SKIP_2) | instid1(VALU_DEP_1)
	v_min3_f32 v140, v7, v24, v140
	v_cvt_f32_f64_e32 v7, v[145:146]
	v_cvt_f32_f64_e32 v24, v[148:149]
	v_min3_f32 v199, v7, v24, v199
	v_cvt_f32_f64_e32 v7, v[109:110]
	v_cvt_f32_f64_e32 v24, v[74:75]
	v_mov_b32_e32 v109, v227
	s_delay_alu instid0(VALU_DEP_2) | instskip(SKIP_2) | instid1(VALU_DEP_1)
	v_min3_f32 v198, v7, v24, v198
	v_cvt_f32_f64_e32 v7, v[70:71]
	v_cvt_f32_f64_e32 v24, v[150:151]
	v_min3_f32 v219, v7, v24, v219
	v_cvt_f32_f64_e32 v7, v[72:73]
	v_cvt_f32_f64_e32 v24, v[152:153]
	s_delay_alu instid0(VALU_DEP_1) | instskip(SKIP_2) | instid1(VALU_DEP_1)
	v_min3_f32 v218, v7, v24, v218
	v_cvt_f32_f64_e32 v7, v[180:181]
	v_cvt_f32_f64_e32 v24, v[184:185]
	v_min3_f32 v25, v7, v24, v25
	v_cvt_f32_f64_e32 v7, v[176:177]
	v_cvt_f32_f64_e32 v24, v[182:183]
	scratch_store_b32 off, v25, off offset:16 ; 4-byte Folded Spill
	s_clause 0x1
	scratch_load_b32 v25, off, off offset:8
	scratch_load_b32 v2, off, off
	v_min3_f32 v138, v7, v24, v138
	v_cvt_f32_f64_e32 v7, v[172:173]
	v_cvt_f32_f64_e32 v24, v[178:179]
	s_delay_alu instid0(VALU_DEP_1) | instskip(SKIP_2) | instid1(VALU_DEP_1)
	v_min3_f32 v231, v7, v24, v231
	v_cvt_f32_f64_e32 v7, v[168:169]
	v_cvt_f32_f64_e32 v24, v[174:175]
	v_min3_f32 v135, v7, v24, v135
	v_cvt_f32_f64_e32 v7, v[164:165]
	v_cvt_f32_f64_e32 v24, v[170:171]
	s_delay_alu instid0(VALU_DEP_1) | instskip(SKIP_2) | instid1(VALU_DEP_1)
	v_min3_f32 v77, v7, v24, v77
	v_cvt_f32_f64_e32 v7, v[160:161]
	v_cvt_f32_f64_e32 v24, v[166:167]
	v_min3_f32 v245, v7, v24, v245
	v_cvt_f32_f64_e32 v7, v[156:157]
	v_cvt_f32_f64_e32 v24, v[162:163]
	s_waitcnt vmcnt(1)
	s_delay_alu instid0(VALU_DEP_1)
	v_min3_f32 v25, v7, v24, v25
	v_cvt_f32_f64_e32 v7, v[154:155]
	v_cvt_f32_f64_e32 v24, v[158:159]
	s_waitcnt vmcnt(0)
	v_min3_f32 v2, v0, v1, v2
	v_cvt_f32_f64_e32 v0, v[34:35]
	v_cvt_f32_f64_e32 v1, v[36:37]
	scratch_store_b32 off, v2, off          ; 4-byte Folded Spill
	v_min3_f32 v238, v7, v24, v238
	v_cvt_f32_f64_e32 v7, v[64:65]
	v_min3_f32 v247, v0, v1, v247
	v_cvt_f32_f64_e32 v0, v[38:39]
	v_cvt_f32_f64_e32 v1, v[40:41]
	s_delay_alu instid0(VALU_DEP_4) | instskip(SKIP_1) | instid1(VALU_DEP_3)
	v_min3_f32 v5, v7, v4, v5
	v_cvt_f32_f64_e32 v4, v[99:100]
	v_min3_f32 v249, v0, v1, v249
	scratch_store_b32 off, v5, off offset:12 ; 4-byte Folded Spill
	v_cvt_f32_f64_e32 v5, v[194:195]
	v_cvt_f32_f64_e32 v0, v[42:43]
	;; [unrolled: 1-line block ×3, first 2 shown]
	s_delay_alu instid0(VALU_DEP_3) | instskip(SKIP_2) | instid1(VALU_DEP_4)
	v_min3_f32 v132, v4, v5, v132
	v_cvt_f32_f64_e32 v4, v[103:104]
	v_cvt_f32_f64_e32 v5, v[8:9]
	v_min3_f32 v120, v0, v1, v120
	v_cvt_f32_f64_e32 v0, v[46:47]
	v_cvt_f32_f64_e32 v1, v[48:49]
	s_delay_alu instid0(VALU_DEP_4) | instskip(SKIP_2) | instid1(VALU_DEP_4)
	v_min3_f32 v130, v4, v5, v130
	v_cvt_f32_f64_e32 v4, v[85:86]
	v_cvt_f32_f64_e32 v5, v[10:11]
	v_min3_f32 v122, v0, v1, v122
	v_cvt_f32_f64_e32 v0, v[26:27]
	v_cvt_f32_f64_e32 v1, v[28:29]
	s_delay_alu instid0(VALU_DEP_4) | instskip(SKIP_2) | instid1(VALU_DEP_4)
	v_min3_f32 v128, v4, v5, v128
	v_cvt_f32_f64_e32 v4, v[89:90]
	v_cvt_f32_f64_e32 v5, v[12:13]
	v_min3_f32 v124, v0, v1, v124
	v_cndmask_b32_e64 v0, 0, 1, s11
	s_mov_b32 s11, 0
	s_delay_alu instid0(VALU_DEP_1) | instskip(SKIP_1) | instid1(VALU_DEP_4)
	v_cmp_ne_u32_e32 vcc_lo, 1, v0
	s_and_b32 vcc_lo, exec_lo, vcc_lo
	v_min3_f32 v234, v4, v5, v234
	v_cvt_f32_f64_e32 v4, v[222:223]
	v_cvt_f32_f64_e32 v5, v[14:15]
	s_delay_alu instid0(VALU_DEP_1)
	v_min3_f32 v6, v4, v5, v6
	v_cvt_f32_f64_e32 v4, v[93:94]
	v_cvt_f32_f64_e32 v5, v[16:17]
	s_clause 0x1
	scratch_store_b32 off, v25, off offset:8
	scratch_store_b32 off, v6, off offset:4
	v_min3_f32 v243, v4, v5, v243
	v_cvt_f32_f64_e32 v4, v[18:19]
	v_cvt_f32_f64_e32 v5, v[20:21]
	s_delay_alu instid0(VALU_DEP_1)
	v_min3_f32 v192, v4, v5, v192
	s_cbranch_vccz .LBB124_9
; %bb.10:
	scratch_load_b32 v1, off, off offset:360 ; 4-byte Folded Reload
	v_lshlrev_b32_e32 v0, 5, v76
	s_load_b32 s11, s[0:1], 0x8
	v_dual_mov_b32 v40, v214 :: v_dual_mov_b32 v149, v204
	v_mov_b32_e32 v34, v212
	v_mov_b32_e32 v42, v210
	v_mov_b32_e32 v144, v207
	v_mov_b32_e32 v146, v202
	v_mov_b32_e32 v72, v200
	v_mov_b32_e32 v70, v140
	s_waitcnt lgkmcnt(0)
	s_cmp_lt_i32 s11, 9
	s_waitcnt vmcnt(0)
	v_lshl_add_u32 v0, v1, 3, v0
	scratch_load_b64 v[1:2], off, off offset:344 ; 8-byte Folded Reload
	s_waitcnt vmcnt(0)
	ds_store_b64 v226, v[1:2] offset:18432
	s_clause 0x1
	scratch_load_b64 v[1:2], off, off offset:312
	scratch_load_b64 v[3:4], off, off offset:320
	s_waitcnt vmcnt(0)
	ds_store_2addr_stride64_b64 v0, v[1:2], v[3:4] offset0:16 offset1:20
	s_clause 0x1
	scratch_load_b64 v[1:2], off, off offset:328
	scratch_load_b64 v[3:4], off, off offset:336
	s_waitcnt vmcnt(0)
	ds_store_2addr_stride64_b64 v0, v[1:2], v[3:4] offset0:24 offset1:28
	s_waitcnt lgkmcnt(0)
	s_waitcnt_vscnt null, 0x0
	s_barrier
	buffer_gl0_inv
	s_cbranch_scc1 .LBB124_18
; %bb.11:
	v_dual_mov_b32 v1, v226 :: v_dual_mov_b32 v226, v215
	v_or_b32_e32 v0, 0x2000, v0
	v_dual_mov_b32 v37, v213 :: v_dual_mov_b32 v148, v203
	s_delay_alu instid0(VALU_DEP_3)
	v_add_nc_u32_e32 v1, 0x4800, v1
	v_mov_b32_e32 v33, v211
	scratch_store_b32 off, v0, off offset:392 ; 4-byte Folded Spill
	v_add_co_u32 v0, vcc_lo, s12, v220
	v_mov_b32_e32 v41, v209
	v_mov_b32_e32 v51, v208
	;; [unrolled: 1-line block ×7, first 2 shown]
	s_clause 0x1
	scratch_store_b32 off, v1, off offset:388
	scratch_store_b32 off, v0, off offset:288
	v_add_co_ci_u32_e32 v0, vcc_lo, s13, v221, vcc_lo
	v_mov_b32_e32 v5, 0
	s_add_i32 s11, s11, -8
	s_mov_b32 s12, 8
	s_mov_b32 s13, 0
	scratch_store_b32 off, v0, off offset:296 ; 4-byte Folded Spill
.LBB124_12:                             ; =>This Loop Header: Depth=1
                                        ;     Child Loop BB124_13 Depth 2
                                        ;     Child Loop BB124_15 Depth 2
	scratch_load_b32 v0, off, off offset:360 ; 4-byte Folded Reload
	s_mov_b32 s14, -1
	s_mov_b32 s16, 0
	s_waitcnt vmcnt(0)
	v_add_nc_u32_e32 v4, s12, v0
	s_delay_alu instid0(VALU_DEP_1) | instskip(NEXT) | instid1(VALU_DEP_1)
	v_mad_u64_u32 v[0:1], null, v4, s15, 0
	v_mad_u64_u32 v[2:3], null, v4, s18, v[1:2]
	scratch_load_b32 v1, off, off offset:364 ; 4-byte Folded Reload
	s_waitcnt vmcnt(0)
	v_or_b32_e32 v4, s12, v1
	v_dual_mov_b32 v1, v2 :: v_dual_mov_b32 v2, v5
	scratch_store_b64 off, v[1:2], off offset:352 ; 8-byte Folded Spill
	v_lshlrev_b64 v[2:3], 3, v[4:5]
	scratch_load_b32 v4, off, off offset:372 ; 4-byte Folded Reload
	v_lshlrev_b64 v[0:1], 3, v[0:1]
	s_waitcnt vmcnt(0)
	v_add_co_u32 v4, vcc_lo, v4, v2
	scratch_load_b32 v2, off, off offset:376 ; 4-byte Folded Reload
	s_waitcnt vmcnt(0)
	v_add_co_ci_u32_e32 v5, vcc_lo, v2, v3, vcc_lo
	scratch_load_b32 v2, off, off offset:288 ; 4-byte Folded Reload
	s_waitcnt vmcnt(0)
	v_add_co_u32 v0, vcc_lo, v2, v0
	scratch_load_b32 v2, off, off offset:296 ; 4-byte Folded Reload
	s_waitcnt vmcnt(0)
	v_add_co_ci_u32_e32 v1, vcc_lo, v2, v1, vcc_lo
	flat_load_b64 v[2:3], v[4:5]
	scratch_store_b64 off, v[4:5], off offset:304 ; 8-byte Folded Spill
	s_waitcnt vmcnt(0) lgkmcnt(0)
	scratch_store_b64 off, v[2:3], off offset:312 ; 8-byte Folded Spill
	flat_load_b64 v[2:3], v[0:1]
	s_waitcnt vmcnt(0) lgkmcnt(0)
	scratch_store_b64 off, v[2:3], off offset:320 ; 8-byte Folded Spill
	flat_load_b64 v[2:3], v[0:1] offset:512
	s_waitcnt vmcnt(0) lgkmcnt(0)
	scratch_store_b64 off, v[2:3], off offset:328 ; 8-byte Folded Spill
	s_clause 0x1
	flat_load_b64 v[2:3], v[0:1] offset:1024
	flat_load_b64 v[0:1], v[0:1] offset:1536
	s_waitcnt vmcnt(1) lgkmcnt(1)
	scratch_store_b64 off, v[2:3], off offset:336 ; 8-byte Folded Spill
	s_waitcnt vmcnt(0) lgkmcnt(0)
	scratch_store_b64 off, v[0:1], off offset:344 ; 8-byte Folded Spill
.LBB124_13:                             ;   Parent Loop BB124_12 Depth=1
                                        ; =>  This Inner Loop Header: Depth=2
	scratch_load_b32 v0, off, off offset:20 ; 4-byte Folded Reload
	s_lshl_b32 s16, s16, 3
	s_and_not1_b32 vcc_lo, exec_lo, s14
	v_lshl_add_u32 v101, v109, 5, s16
	s_mov_b32 s14, 0
	s_waitcnt vmcnt(0)
	v_lshl_add_u32 v4, v0, 5, s16
	s_mov_b32 s16, 2
	ds_load_b128 v[45:48], v101 offset:8192
	ds_load_b128 v[0:3], v4 offset:18432
	;; [unrolled: 1-line block ×4, first 2 shown]
	s_waitcnt lgkmcnt(2)
	v_add_f64 v[67:68], v[2:3], v[47:48]
	s_waitcnt lgkmcnt(1)
	v_add_f64 v[5:6], v[156:157], v[47:48]
	v_add_f64 v[21:22], v[0:1], v[45:46]
	s_delay_alu instid0(VALU_DEP_3)
	v_cvt_f32_f64_e32 v67, v[67:68]
	scratch_store_b64 off, v[5:6], off offset:24 ; 8-byte Folded Spill
	v_add_f64 v[5:6], v[154:155], v[45:46]
	v_cvt_f32_f64_e32 v115, v[21:22]
	scratch_store_b64 off, v[5:6], off offset:80 ; 8-byte Folded Spill
	ds_load_b128 v[162:165], v4 offset:18944
	ds_load_b128 v[166:169], v4 offset:19200
	v_min3_f32 v142, v115, v67, v142
	s_waitcnt lgkmcnt(1)
	v_add_f64 v[5:6], v[164:165], v[47:48]
	scratch_store_b64 off, v[5:6], off offset:56 ; 8-byte Folded Spill
	v_add_f64 v[5:6], v[162:163], v[45:46]
	scratch_store_b64 off, v[5:6], off offset:112 ; 8-byte Folded Spill
	s_waitcnt lgkmcnt(0)
	v_add_f64 v[5:6], v[168:169], v[47:48]
	scratch_store_b64 off, v[5:6], off offset:32 ; 8-byte Folded Spill
	v_add_f64 v[5:6], v[166:167], v[45:46]
	scratch_store_b64 off, v[5:6], off offset:88 ; 8-byte Folded Spill
	ds_load_b128 v[170:173], v4 offset:19456
	ds_load_b128 v[174:177], v4 offset:19712
	s_waitcnt lgkmcnt(1)
	v_add_f64 v[5:6], v[172:173], v[47:48]
	v_add_f64 v[49:50], v[170:171], v[158:159]
	s_waitcnt lgkmcnt(0)
	v_add_f64 v[25:26], v[174:175], v[158:159]
	scratch_store_b64 off, v[5:6], off offset:64 ; 8-byte Folded Spill
	v_add_f64 v[5:6], v[170:171], v[45:46]
	v_cvt_f32_f64_e32 v49, v[49:50]
	scratch_store_b64 off, v[5:6], off offset:120 ; 8-byte Folded Spill
	v_add_f64 v[5:6], v[176:177], v[47:48]
	scratch_store_b64 off, v[5:6], off offset:40 ; 8-byte Folded Spill
	v_add_f64 v[5:6], v[174:175], v[45:46]
	scratch_store_b64 off, v[5:6], off offset:96 ; 8-byte Folded Spill
	ds_load_b128 v[178:181], v4 offset:19968
	ds_load_b128 v[182:185], v4 offset:20224
	s_waitcnt lgkmcnt(1)
	v_add_f64 v[4:5], v[180:181], v[47:48]
	scratch_store_b64 off, v[4:5], off offset:72 ; 8-byte Folded Spill
	v_add_f64 v[4:5], v[178:179], v[45:46]
	scratch_store_b64 off, v[4:5], off offset:128 ; 8-byte Folded Spill
	s_waitcnt lgkmcnt(0)
	v_add_f64 v[4:5], v[184:185], v[47:48]
	scratch_store_b64 off, v[4:5], off offset:48 ; 8-byte Folded Spill
	v_add_f64 v[4:5], v[182:183], v[45:46]
	scratch_store_b64 off, v[4:5], off offset:104 ; 8-byte Folded Spill
	;; [unrolled: 2-line block ×16, first 2 shown]
	ds_load_b128 v[158:161], v101 offset:10240
	ds_load_b128 v[186:189], v101 offset:11264
	s_waitcnt lgkmcnt(1)
	v_add_f64 v[4:5], v[176:177], v[160:161]
	v_add_f64 v[31:32], v[2:3], v[160:161]
	;; [unrolled: 1-line block ×12, first 2 shown]
	s_waitcnt lgkmcnt(0)
	v_add_f64 v[35:36], v[2:3], v[188:189]
	v_add_f64 v[222:223], v[0:1], v[186:187]
	;; [unrolled: 1-line block ×16, first 2 shown]
	scratch_store_b64 off, v[4:5], off offset:264 ; 8-byte Folded Spill
	v_add_f64 v[4:5], v[180:181], v[160:161]
	scratch_store_b64 off, v[4:5], off offset:256 ; 8-byte Folded Spill
	v_add_f64 v[4:5], v[178:179], v[158:159]
	scratch_store_b64 off, v[4:5], off offset:280 ; 8-byte Folded Spill
	v_add_f64 v[4:5], v[184:185], v[160:161]
	scratch_store_b64 off, v[4:5], off offset:248 ; 8-byte Folded Spill
	v_add_f64 v[4:5], v[182:183], v[158:159]
	scratch_store_b64 off, v[4:5], off offset:272 ; 8-byte Folded Spill
	ds_load_b128 v[158:161], v101 offset:12288
	ds_load_b128 v[186:189], v101 offset:13312
	s_waitcnt lgkmcnt(1)
	v_add_f64 v[252:253], v[2:3], v[160:161]
	v_add_f64 v[254:255], v[0:1], v[158:159]
	;; [unrolled: 1-line block ×16, first 2 shown]
	s_waitcnt lgkmcnt(0)
	v_add_f64 v[83:84], v[2:3], v[188:189]
	v_add_f64 v[53:54], v[0:1], v[186:187]
	;; [unrolled: 1-line block ×16, first 2 shown]
	ds_load_b128 v[158:161], v101 offset:14336
	ds_load_b128 v[186:189], v101 offset:15360
	s_clause 0x1
	scratch_load_b32 v6, off, off offset:16
	scratch_load_b64 v[21:22], off, off offset:80
	v_cvt_f32_f64_e32 v7, v[7:8]
	v_cvt_f32_f64_e32 v9, v[9:10]
	;; [unrolled: 1-line block ×5, first 2 shown]
	s_waitcnt lgkmcnt(1)
	v_add_f64 v[101:102], v[2:3], v[160:161]
	v_add_f64 v[210:211], v[0:1], v[158:159]
	s_waitcnt lgkmcnt(0)
	v_add_f64 v[2:3], v[2:3], v[188:189]
	v_add_f64 v[0:1], v[0:1], v[186:187]
	;; [unrolled: 1-line block ×30, first 2 shown]
	v_min3_f32 v71, v9, v7, v71
	v_cvt_f32_f64_e32 v7, v[13:14]
	v_min3_f32 v69, v4, v5, v69
	v_cvt_f32_f64_e32 v4, v[133:134]
	v_cvt_f32_f64_e32 v5, v[17:18]
	;; [unrolled: 1-line block ×4, first 2 shown]
	scratch_load_b32 v2, off, off           ; 4-byte Folded Reload
	v_min3_f32 v70, v7, v8, v70
	v_min3_f32 v147, v4, v5, v147
	v_cvt_f32_f64_e32 v4, v[116:117]
	v_cvt_f32_f64_e32 v5, v[19:20]
	v_min3_f32 v127, v0, v1, v127
	v_cvt_f32_f64_e32 v0, v[154:155]
	v_cvt_f32_f64_e32 v1, v[156:157]
	s_delay_alu instid0(VALU_DEP_4) | instskip(SKIP_2) | instid1(VALU_DEP_4)
	v_min3_f32 v219, v4, v5, v219
	v_cvt_f32_f64_e32 v4, v[111:112]
	v_cvt_f32_f64_e32 v5, v[23:24]
	v_min3_f32 v79, v0, v1, v79
	v_cvt_f32_f64_e32 v0, v[162:163]
	v_cvt_f32_f64_e32 v1, v[164:165]
	s_delay_alu instid0(VALU_DEP_4) | instskip(SKIP_3) | instid1(VALU_DEP_1)
	v_min3_f32 v218, v4, v5, v218
	v_cvt_f32_f64_e32 v4, v[53:54]
	v_cvt_f32_f64_e32 v5, v[83:84]
	s_waitcnt vmcnt(2)
	v_min3_f32 v6, v4, v5, v6
	v_cvt_f32_f64_e32 v4, v[55:56]
	v_cvt_f32_f64_e32 v5, v[85:86]
	scratch_store_b32 off, v6, off offset:16 ; 4-byte Folded Spill
	scratch_load_b32 v6, off, off offset:8  ; 4-byte Folded Reload
	s_waitcnt vmcnt(2)
	v_cvt_f32_f64_e32 v67, v[21:22]
	scratch_load_b64 v[21:22], off, off offset:24 ; 8-byte Folded Reload
	v_min3_f32 v138, v4, v5, v138
	v_cvt_f32_f64_e32 v4, v[59:60]
	v_cvt_f32_f64_e32 v5, v[57:58]
	s_waitcnt vmcnt(2)
	v_min3_f32 v2, v0, v1, v2
	v_cvt_f32_f64_e32 v0, v[166:167]
	v_cvt_f32_f64_e32 v1, v[168:169]
	scratch_store_b32 off, v2, off          ; 4-byte Folded Spill
	v_min3_f32 v231, v4, v5, v231
	v_cvt_f32_f64_e32 v4, v[63:64]
	v_cvt_f32_f64_e32 v5, v[61:62]
	v_min3_f32 v247, v0, v1, v247
	v_cvt_f32_f64_e32 v0, v[170:171]
	v_cvt_f32_f64_e32 v1, v[172:173]
	s_delay_alu instid0(VALU_DEP_4) | instskip(SKIP_2) | instid1(VALU_DEP_4)
	v_min3_f32 v135, v4, v5, v135
	v_cvt_f32_f64_e32 v4, v[89:90]
	v_cvt_f32_f64_e32 v5, v[87:88]
	v_min3_f32 v249, v0, v1, v249
	v_cvt_f32_f64_e32 v0, v[174:175]
	v_cvt_f32_f64_e32 v1, v[176:177]
	s_delay_alu instid0(VALU_DEP_4) | instskip(SKIP_2) | instid1(VALU_DEP_4)
	;; [unrolled: 7-line block ×3, first 2 shown]
	v_min3_f32 v245, v4, v5, v245
	v_cvt_f32_f64_e32 v4, v[97:98]
	v_cvt_f32_f64_e32 v5, v[95:96]
	v_min3_f32 v122, v0, v1, v122
	v_cvt_f32_f64_e32 v0, v[182:183]
	v_cvt_f32_f64_e32 v1, v[184:185]
	s_delay_alu instid0(VALU_DEP_1)
	v_min3_f32 v124, v0, v1, v124
	s_waitcnt vmcnt(1)
	v_min3_f32 v6, v4, v5, v6
	v_cvt_f32_f64_e32 v4, v[214:215]
	v_cvt_f32_f64_e32 v5, v[99:100]
	scratch_store_b32 off, v6, off offset:8 ; 4-byte Folded Spill
	scratch_load_b32 v6, off, off offset:12 ; 4-byte Folded Reload
	v_min3_f32 v238, v4, v5, v238
	v_cvt_f32_f64_e32 v4, v[210:211]
	v_cvt_f32_f64_e32 v5, v[101:102]
	s_waitcnt vmcnt(0)
	s_delay_alu instid0(VALU_DEP_1)
	v_min3_f32 v6, v4, v5, v6
	v_cvt_f32_f64_e32 v4, v[216:217]
	v_cvt_f32_f64_e32 v5, v[206:207]
	scratch_store_b32 off, v6, off offset:12 ; 4-byte Folded Spill
	scratch_load_b32 v6, off, off offset:4  ; 4-byte Folded Reload
	v_cvt_f32_f64_e32 v68, v[21:22]
	scratch_load_b64 v[21:22], off, off offset:112 ; 8-byte Folded Reload
	v_min3_f32 v132, v4, v5, v132
	v_cvt_f32_f64_e32 v4, v[212:213]
	v_cvt_f32_f64_e32 v5, v[202:203]
	v_min3_f32 v141, v67, v68, v141
	s_delay_alu instid0(VALU_DEP_2) | instskip(SKIP_2) | instid1(VALU_DEP_1)
	v_min3_f32 v130, v4, v5, v130
	v_cvt_f32_f64_e32 v4, v[198:199]
	v_cvt_f32_f64_e32 v5, v[103:104]
	v_min3_f32 v128, v4, v5, v128
	v_cvt_f32_f64_e32 v4, v[194:195]
	v_cvt_f32_f64_e32 v5, v[208:209]
	s_delay_alu instid0(VALU_DEP_1) | instskip(SKIP_3) | instid1(VALU_DEP_1)
	v_min3_f32 v234, v4, v5, v234
	v_cvt_f32_f64_e32 v4, v[190:191]
	v_cvt_f32_f64_e32 v5, v[204:205]
	s_waitcnt vmcnt(1)
	v_min3_f32 v6, v4, v5, v6
	v_cvt_f32_f64_e32 v4, v[220:221]
	s_waitcnt vmcnt(0)
	v_cvt_f32_f64_e32 v67, v[21:22]
	scratch_load_b64 v[21:22], off, off offset:56 ; 8-byte Folded Reload
	v_cvt_f32_f64_e32 v5, v[200:201]
	scratch_store_b32 off, v6, off offset:4 ; 4-byte Folded Spill
	v_min3_f32 v243, v4, v5, v243
	v_cvt_f32_f64_e32 v4, v[158:159]
	v_cvt_f32_f64_e32 v5, v[160:161]
	s_delay_alu instid0(VALU_DEP_1)
	v_min3_f32 v192, v4, v5, v192
	s_waitcnt vmcnt(0)
	v_cvt_f32_f64_e32 v68, v[21:22]
	scratch_load_b64 v[21:22], off, off offset:88 ; 8-byte Folded Reload
	v_min3_f32 v240, v67, v68, v240
	s_waitcnt vmcnt(0)
	v_cvt_f32_f64_e32 v67, v[21:22]
	scratch_load_b64 v[21:22], off, off offset:32 ; 8-byte Folded Reload
	s_waitcnt vmcnt(0)
	v_cvt_f32_f64_e32 v68, v[21:22]
	scratch_load_b64 v[21:22], off, off offset:120 ; 8-byte Folded Reload
	v_min3_f32 v230, v67, v68, v230
	s_waitcnt vmcnt(0)
	v_cvt_f32_f64_e32 v67, v[21:22]
	scratch_load_b64 v[21:22], off, off offset:64 ; 8-byte Folded Reload
	;; [unrolled: 7-line block ×10, first 2 shown]
	v_min3_f32 v244, v49, v50, v244
	v_cvt_f32_f64_e32 v49, v[25:26]
	s_waitcnt vmcnt(0)
	v_cvt_f32_f64_e32 v25, v[21:22]
	scratch_load_b64 v[21:22], off, off offset:224 ; 8-byte Folded Reload
	v_min3_f32 v242, v49, v25, v242
	s_waitcnt vmcnt(0)
	v_cvt_f32_f64_e32 v25, v[21:22]
	scratch_load_b64 v[21:22], off, off offset:216 ; 8-byte Folded Reload
	s_waitcnt vmcnt(0)
	v_cvt_f32_f64_e32 v26, v[21:22]
	scratch_load_b64 v[21:22], off, off offset:240 ; 8-byte Folded Reload
	v_min3_f32 v80, v25, v26, v80
	s_waitcnt vmcnt(0)
	v_cvt_f32_f64_e32 v25, v[21:22]
	scratch_load_b64 v[21:22], off, off offset:232 ; 8-byte Folded Reload
	s_waitcnt vmcnt(0)
	v_cvt_f32_f64_e32 v26, v[21:22]
	v_cvt_f32_f64_e32 v21, v[43:44]
	;; [unrolled: 1-line block ×3, first 2 shown]
	s_delay_alu instid0(VALU_DEP_3) | instskip(SKIP_2) | instid1(VALU_DEP_4)
	v_min3_f32 v248, v25, v26, v248
	v_cvt_f32_f64_e32 v25, v[29:30]
	v_cvt_f32_f64_e32 v26, v[31:32]
	v_min3_f32 v37, v21, v22, v37
	v_cvt_f32_f64_e32 v21, v[45:46]
	v_cvt_f32_f64_e32 v22, v[75:76]
	s_delay_alu instid0(VALU_DEP_4) | instskip(SKIP_2) | instid1(VALU_DEP_4)
	v_min3_f32 v121, v25, v26, v121
	v_cvt_f32_f64_e32 v25, v[196:197]
	v_cvt_f32_f64_e32 v26, v[38:39]
	v_min3_f32 v34, v21, v22, v34
	v_cvt_f32_f64_e32 v21, v[73:74]
	s_delay_alu instid0(VALU_DEP_3) | instskip(SKIP_2) | instid1(VALU_DEP_1)
	v_min3_f32 v226, v25, v26, v226
	v_cvt_f32_f64_e32 v25, v[105:106]
	v_cvt_f32_f64_e32 v26, v[47:48]
	v_min3_f32 v40, v25, v26, v40
	scratch_load_b64 v[25:26], off, off offset:264 ; 8-byte Folded Reload
	s_waitcnt vmcnt(0)
	v_cvt_f32_f64_e32 v22, v[25:26]
	scratch_load_b64 v[25:26], off, off offset:256 ; 8-byte Folded Reload
	v_min3_f32 v33, v21, v22, v33
	scratch_load_b64 v[21:22], off, off offset:280 ; 8-byte Folded Reload
	s_waitcnt vmcnt(0)
	v_cvt_f32_f64_e32 v21, v[21:22]
	v_cvt_f32_f64_e32 v22, v[25:26]
	scratch_load_b64 v[25:26], off, off offset:248 ; 8-byte Folded Reload
	v_min3_f32 v42, v21, v22, v42
	scratch_load_b64 v[21:22], off, off offset:272 ; 8-byte Folded Reload
	s_waitcnt vmcnt(0)
	v_cvt_f32_f64_e32 v21, v[21:22]
	v_cvt_f32_f64_e32 v22, v[25:26]
	s_delay_alu instid0(VALU_DEP_1) | instskip(SKIP_2) | instid1(VALU_DEP_1)
	v_min3_f32 v41, v21, v22, v41
	v_cvt_f32_f64_e32 v21, v[222:223]
	v_cvt_f32_f64_e32 v22, v[35:36]
	v_min3_f32 v52, v21, v22, v52
	v_cvt_f32_f64_e32 v21, v[27:28]
	v_cvt_f32_f64_e32 v22, v[224:225]
	s_delay_alu instid0(VALU_DEP_1) | instskip(SKIP_2) | instid1(VALU_DEP_1)
	v_min3_f32 v51, v21, v22, v51
	v_cvt_f32_f64_e32 v21, v[136:137]
	v_cvt_f32_f64_e32 v22, v[228:229]
	v_min3_f32 v144, v21, v22, v144
	;; [unrolled: 7-line block ×3, first 2 shown]
	v_cvt_f32_f64_e32 v21, v[109:110]
	v_cvt_f32_f64_e32 v22, v[139:140]
	v_mov_b32_e32 v109, v227
	s_delay_alu instid0(VALU_DEP_2) | instskip(SKIP_2) | instid1(VALU_DEP_1)
	v_min3_f32 v149, v21, v22, v149
	v_cvt_f32_f64_e32 v21, v[107:108]
	v_cvt_f32_f64_e32 v22, v[125:126]
	v_min3_f32 v148, v21, v22, v148
	v_cvt_f32_f64_e32 v21, v[250:251]
	v_cvt_f32_f64_e32 v22, v[113:114]
	s_delay_alu instid0(VALU_DEP_1) | instskip(SKIP_2) | instid1(VALU_DEP_1)
	v_min3_f32 v146, v21, v22, v146
	v_cvt_f32_f64_e32 v21, v[254:255]
	v_cvt_f32_f64_e32 v22, v[252:253]
	v_min3_f32 v145, v21, v22, v145
	v_cvt_f32_f64_e32 v21, v[152:153]
	v_cvt_f32_f64_e32 v22, v[150:151]
	s_delay_alu instid0(VALU_DEP_1)
	v_min3_f32 v72, v21, v22, v72
	s_cbranch_vccz .LBB124_13
; %bb.14:                               ;   in Loop: Header=BB124_12 Depth=1
	scratch_load_b32 v0, off, off offset:368 ; 4-byte Folded Reload
	v_mov_b32_e32 v62, v52
	s_mov_b32 s16, 0
	s_mov_b32 s14, -1
	s_waitcnt vmcnt(0)
	v_add_nc_u32_e32 v4, s12, v0
	s_delay_alu instid0(VALU_DEP_1) | instskip(NEXT) | instid1(VALU_DEP_1)
	v_mad_u64_u32 v[0:1], null, v4, s15, 0
	v_mad_u64_u32 v[2:3], null, v4, s18, v[1:2]
	s_delay_alu instid0(VALU_DEP_1)
	v_mov_b32_e32 v1, v2
	s_clause 0x1
	scratch_load_b32 v2, off, off offset:384
	scratch_load_b64 v[3:4], off, off offset:312
	v_lshlrev_b64 v[0:1], 3, v[0:1]
	s_waitcnt vmcnt(0)
	ds_store_b64 v2, v[3:4]
	s_clause 0x2
	scratch_load_b32 v2, off, off offset:380
	scratch_load_b64 v[3:4], off, off offset:320
	scratch_load_b64 v[5:6], off, off offset:328
	s_waitcnt vmcnt(0)
	ds_store_2addr_stride64_b64 v2, v[3:4], v[5:6] offset1:4
	s_clause 0x1
	scratch_load_b64 v[3:4], off, off offset:336
	scratch_load_b64 v[5:6], off, off offset:344
	s_waitcnt vmcnt(0)
	ds_store_2addr_stride64_b64 v2, v[3:4], v[5:6] offset0:8 offset1:12
	scratch_load_b32 v2, off, off offset:288 ; 4-byte Folded Reload
	s_waitcnt vmcnt(0)
	v_add_co_u32 v0, vcc_lo, v2, v0
	scratch_load_b32 v2, off, off offset:296 ; 4-byte Folded Reload
	s_waitcnt vmcnt(0) lgkmcnt(0)
	s_waitcnt_vscnt null, 0x0
	s_barrier
	buffer_gl0_inv
	v_add_co_ci_u32_e32 v1, vcc_lo, v2, v1, vcc_lo
	scratch_load_b64 v[2:3], off, off offset:304 ; 8-byte Folded Reload
	s_waitcnt vmcnt(0)
	flat_load_b64 v[2:3], v[2:3] offset:32
	s_waitcnt vmcnt(0) lgkmcnt(0)
	scratch_store_b64 off, v[2:3], off offset:280 ; 8-byte Folded Spill
	flat_load_b64 v[2:3], v[0:1]
	s_waitcnt vmcnt(0) lgkmcnt(0)
	scratch_store_b64 off, v[2:3], off offset:304 ; 8-byte Folded Spill
	flat_load_b64 v[2:3], v[0:1] offset:512
	s_waitcnt vmcnt(0) lgkmcnt(0)
	scratch_store_b64 off, v[2:3], off offset:312 ; 8-byte Folded Spill
	s_clause 0x1
	flat_load_b64 v[2:3], v[0:1] offset:1024
	flat_load_b64 v[0:1], v[0:1] offset:1536
	s_waitcnt vmcnt(1) lgkmcnt(1)
	scratch_store_b64 off, v[2:3], off offset:320 ; 8-byte Folded Spill
	s_waitcnt vmcnt(0) lgkmcnt(0)
	scratch_store_b64 off, v[0:1], off offset:328 ; 8-byte Folded Spill
.LBB124_15:                             ;   Parent Loop BB124_12 Depth=1
                                        ; =>  This Inner Loop Header: Depth=2
	scratch_load_b32 v0, off, off offset:20 ; 4-byte Folded Reload
	s_lshl_b32 s16, s16, 3
	v_mov_b32_e32 v38, v40
	v_lshl_add_u32 v65, v109, 5, s16
	v_mov_b32_e32 v8, v120
	s_and_not1_b32 vcc_lo, exec_lo, s14
	s_mov_b32 s14, 0
	s_waitcnt vmcnt(0)
	v_lshl_add_u32 v4, v0, 5, s16
	s_mov_b32 s16, 2
	ds_load_b128 v[43:46], v65
	ds_load_b128 v[0:3], v4 offset:16384
	ds_load_b128 v[154:157], v4 offset:16640
	;; [unrolled: 1-line block ×3, first 2 shown]
	s_waitcnt lgkmcnt(2)
	v_add_f64 v[29:30], v[0:1], v[43:44]
	s_waitcnt lgkmcnt(1)
	v_add_f64 v[5:6], v[156:157], v[45:46]
	v_add_f64 v[63:64], v[2:3], v[45:46]
	scratch_store_b64 off, v[5:6], off offset:24 ; 8-byte Folded Spill
	v_add_f64 v[5:6], v[154:155], v[43:44]
	v_cvt_f32_f64_e32 v63, v[63:64]
	scratch_store_b64 off, v[5:6], off offset:80 ; 8-byte Folded Spill
	ds_load_b128 v[158:161], v4 offset:16896
	ds_load_b128 v[162:165], v4 offset:17152
	s_waitcnt lgkmcnt(1)
	v_add_f64 v[5:6], v[160:161], v[45:46]
	scratch_store_b64 off, v[5:6], off offset:56 ; 8-byte Folded Spill
	v_add_f64 v[5:6], v[158:159], v[43:44]
	scratch_store_b64 off, v[5:6], off offset:112 ; 8-byte Folded Spill
	s_waitcnt lgkmcnt(0)
	v_add_f64 v[5:6], v[164:165], v[45:46]
	scratch_store_b64 off, v[5:6], off offset:32 ; 8-byte Folded Spill
	v_add_f64 v[5:6], v[162:163], v[43:44]
	scratch_store_b64 off, v[5:6], off offset:88 ; 8-byte Folded Spill
	ds_load_b128 v[166:169], v4 offset:17408
	ds_load_b128 v[170:173], v4 offset:17664
	s_waitcnt lgkmcnt(1)
	v_add_f64 v[5:6], v[168:169], v[45:46]
	s_waitcnt lgkmcnt(0)
	v_add_f64 v[35:36], v[170:171], v[73:74]
	v_add_f64 v[39:40], v[166:167], v[43:44]
	scratch_store_b64 off, v[5:6], off offset:64 ; 8-byte Folded Spill
	v_add_f64 v[5:6], v[172:173], v[45:46]
	v_cvt_f32_f64_e32 v39, v[39:40]
	v_cvt_f32_f64_e32 v35, v[35:36]
	scratch_store_b64 off, v[5:6], off offset:40 ; 8-byte Folded Spill
	v_add_f64 v[5:6], v[170:171], v[43:44]
	scratch_store_b64 off, v[5:6], off offset:96 ; 8-byte Folded Spill
	ds_load_b128 v[174:177], v4 offset:17920
	ds_load_b128 v[178:181], v4 offset:18176
	s_waitcnt lgkmcnt(1)
	v_add_f64 v[4:5], v[176:177], v[45:46]
	scratch_store_b64 off, v[4:5], off offset:72 ; 8-byte Folded Spill
	v_add_f64 v[4:5], v[174:175], v[43:44]
	scratch_store_b64 off, v[4:5], off offset:120 ; 8-byte Folded Spill
	s_waitcnt lgkmcnt(0)
	v_add_f64 v[4:5], v[180:181], v[45:46]
	scratch_store_b64 off, v[4:5], off offset:48 ; 8-byte Folded Spill
	v_add_f64 v[4:5], v[178:179], v[43:44]
	scratch_store_b64 off, v[4:5], off offset:104 ; 8-byte Folded Spill
	;; [unrolled: 2-line block ×17, first 2 shown]
	ds_load_b128 v[182:185], v65 offset:2048
	ds_load_b128 v[186:189], v65 offset:3072
	s_waitcnt lgkmcnt(1)
	v_add_f64 v[4:5], v[172:173], v[184:185]
	v_add_f64 v[75:76], v[2:3], v[184:185]
	;; [unrolled: 1-line block ×13, first 2 shown]
	s_waitcnt lgkmcnt(0)
	v_add_f64 v[87:88], v[2:3], v[188:189]
	v_add_f64 v[150:151], v[0:1], v[186:187]
	;; [unrolled: 1-line block ×16, first 2 shown]
	scratch_store_b64 off, v[4:5], off offset:264 ; 8-byte Folded Spill
	v_add_f64 v[4:5], v[176:177], v[184:185]
	v_cvt_f32_f64_e32 v31, v[31:32]
	v_cvt_f32_f64_e32 v32, v[75:76]
	scratch_store_b64 off, v[4:5], off offset:256 ; 8-byte Folded Spill
	v_add_f64 v[4:5], v[180:181], v[184:185]
	v_min3_f32 v121, v31, v32, v121
	v_cvt_f32_f64_e32 v31, v[85:86]
	v_cvt_f32_f64_e32 v32, v[83:84]
	scratch_store_b64 off, v[4:5], off offset:248 ; 8-byte Folded Spill
	v_add_f64 v[4:5], v[178:179], v[182:183]
	v_min3_f32 v226, v31, v32, v226
	v_cvt_f32_f64_e32 v31, v[89:90]
	v_cvt_f32_f64_e32 v32, v[91:92]
	scratch_store_b64 off, v[4:5], off offset:272 ; 8-byte Folded Spill
	ds_load_b128 v[182:185], v65 offset:4096
	ds_load_b128 v[186:189], v65 offset:5120
	s_waitcnt lgkmcnt(1)
	v_add_f64 v[15:16], v[2:3], v[184:185]
	v_add_f64 v[220:221], v[0:1], v[182:183]
	;; [unrolled: 1-line block ×16, first 2 shown]
	s_waitcnt lgkmcnt(0)
	v_add_f64 v[250:251], v[2:3], v[188:189]
	v_add_f64 v[252:253], v[0:1], v[186:187]
	;; [unrolled: 1-line block ×16, first 2 shown]
	ds_load_b128 v[182:185], v65 offset:6144
	ds_load_b128 v[186:189], v65 offset:7168
	s_waitcnt lgkmcnt(1)
	v_add_f64 v[67:68], v[0:1], v[182:183]
	v_add_f64 v[113:114], v[154:155], v[182:183]
	;; [unrolled: 1-line block ×8, first 2 shown]
	s_waitcnt lgkmcnt(0)
	v_add_f64 v[0:1], v[0:1], v[186:187]
	v_add_f64 v[154:155], v[154:155], v[186:187]
	;; [unrolled: 1-line block ×8, first 2 shown]
	v_mov_b32_e32 v186, v79
	v_cvt_f32_f64_e32 v79, v[29:30]
	scratch_load_b64 v[29:30], off, off offset:80 ; 8-byte Folded Reload
	v_cvt_f32_f64_e32 v4, v[4:5]
	v_cvt_f32_f64_e32 v5, v[254:255]
	v_add_f64 v[65:66], v[2:3], v[184:185]
	v_add_f64 v[111:112], v[156:157], v[184:185]
	;; [unrolled: 1-line block ×16, first 2 shown]
	v_cvt_f32_f64_e32 v0, v[0:1]
	v_min3_f32 v142, v79, v63, v142
	v_mov_b32_e32 v79, v186
	v_min3_f32 v138, v4, v5, v138
	v_cvt_f32_f64_e32 v4, v[17:18]
	v_cvt_f32_f64_e32 v5, v[27:28]
	v_cvt_f32_f64_e32 v1, v[2:3]
	scratch_load_b32 v2, off, off           ; 4-byte Folded Reload
	v_min3_f32 v231, v4, v5, v231
	v_cvt_f32_f64_e32 v4, v[13:14]
	v_cvt_f32_f64_e32 v5, v[19:20]
	v_min3_f32 v127, v0, v1, v127
	v_cvt_f32_f64_e32 v0, v[154:155]
	v_cvt_f32_f64_e32 v1, v[156:157]
	s_delay_alu instid0(VALU_DEP_4)
	v_min3_f32 v135, v4, v5, v135
	v_cvt_f32_f64_e32 v4, v[11:12]
	scratch_load_b32 v11, off, off offset:8 ; 4-byte Folded Reload
	v_cvt_f32_f64_e32 v5, v[196:197]
	v_min3_f32 v79, v0, v1, v79
	v_cvt_f32_f64_e32 v0, v[158:159]
	v_cvt_f32_f64_e32 v1, v[160:161]
	s_delay_alu instid0(VALU_DEP_4) | instskip(SKIP_2) | instid1(VALU_DEP_1)
	v_min3_f32 v77, v4, v5, v77
	v_cvt_f32_f64_e32 v4, v[107:108]
	v_cvt_f32_f64_e32 v5, v[105:106]
	v_min3_f32 v245, v4, v5, v245
	v_cvt_f32_f64_e32 v4, v[23:24]
	v_cvt_f32_f64_e32 v5, v[21:22]
	s_waitcnt vmcnt(2)
	v_cvt_f32_f64_e32 v63, v[29:30]
	scratch_load_b64 v[29:30], off, off offset:24 ; 8-byte Folded Reload
	s_waitcnt vmcnt(2)
	v_min3_f32 v2, v0, v1, v2
	v_cvt_f32_f64_e32 v0, v[162:163]
	v_cvt_f32_f64_e32 v1, v[164:165]
	scratch_store_b32 off, v2, off          ; 4-byte Folded Spill
	v_min3_f32 v247, v0, v1, v247
	v_cvt_f32_f64_e32 v0, v[166:167]
	v_cvt_f32_f64_e32 v1, v[168:169]
	s_waitcnt vmcnt(1)
	v_min3_f32 v11, v4, v5, v11
	v_cvt_f32_f64_e32 v4, v[109:110]
	v_cvt_f32_f64_e32 v5, v[25:26]
	v_mov_b32_e32 v109, v227
	scratch_store_b32 off, v11, off offset:8 ; 4-byte Folded Spill
	scratch_load_b32 v11, off, off offset:12 ; 4-byte Folded Reload
	v_min3_f32 v249, v0, v1, v249
	v_cvt_f32_f64_e32 v0, v[170:171]
	v_cvt_f32_f64_e32 v1, v[172:173]
	v_min3_f32 v238, v4, v5, v238
	v_cvt_f32_f64_e32 v4, v[67:68]
	v_cvt_f32_f64_e32 v5, v[65:66]
	s_waitcnt vmcnt(1)
	v_cvt_f32_f64_e32 v64, v[29:30]
	scratch_load_b64 v[29:30], off, off offset:112 ; 8-byte Folded Reload
	v_min3_f32 v141, v63, v64, v141
	s_waitcnt vmcnt(1)
	v_min3_f32 v11, v4, v5, v11
	v_cvt_f32_f64_e32 v4, v[113:114]
	v_cvt_f32_f64_e32 v5, v[111:112]
	s_delay_alu instid0(VALU_DEP_1) | instskip(SKIP_2) | instid1(VALU_DEP_1)
	v_min3_f32 v132, v4, v5, v132
	v_cvt_f32_f64_e32 v4, v[117:118]
	v_cvt_f32_f64_e32 v5, v[115:116]
	v_min3_f32 v130, v4, v5, v130
	v_cvt_f32_f64_e32 v4, v[139:140]
	v_cvt_f32_f64_e32 v5, v[119:120]
	v_mov_b32_e32 v120, v8
	s_delay_alu instid0(VALU_DEP_1)
	v_min3_f32 v120, v0, v1, v120
	v_cvt_f32_f64_e32 v0, v[174:175]
	v_cvt_f32_f64_e32 v1, v[176:177]
	v_min3_f32 v128, v4, v5, v128
	v_cvt_f32_f64_e32 v5, v[6:7]
	scratch_load_b32 v6, off, off offset:4  ; 4-byte Folded Reload
	v_cvt_f32_f64_e32 v4, v[133:134]
	v_min3_f32 v122, v0, v1, v122
	v_cvt_f32_f64_e32 v0, v[178:179]
	v_cvt_f32_f64_e32 v1, v[180:181]
	s_delay_alu instid0(VALU_DEP_4) | instskip(SKIP_2) | instid1(VALU_DEP_4)
	v_min3_f32 v234, v4, v5, v234
	v_cvt_f32_f64_e32 v4, v[136:137]
	v_cvt_f32_f64_e32 v5, v[125:126]
	v_min3_f32 v124, v0, v1, v124
	s_waitcnt vmcnt(1)
	v_cvt_f32_f64_e32 v63, v[29:30]
	scratch_load_b64 v[29:30], off, off offset:56 ; 8-byte Folded Reload
	s_waitcnt vmcnt(1)
	v_min3_f32 v6, v4, v5, v6
	v_cvt_f32_f64_e32 v4, v[9:10]
	v_cvt_f32_f64_e32 v5, v[81:82]
	s_clause 0x1
	scratch_store_b32 off, v11, off offset:12
	scratch_store_b32 off, v6, off offset:4
	v_min3_f32 v243, v4, v5, v243
	v_cvt_f32_f64_e32 v4, v[182:183]
	v_cvt_f32_f64_e32 v5, v[184:185]
	s_waitcnt vmcnt(0)
	v_cvt_f32_f64_e32 v64, v[29:30]
	scratch_load_b64 v[29:30], off, off offset:88 ; 8-byte Folded Reload
	v_min3_f32 v192, v4, v5, v192
	v_min3_f32 v240, v63, v64, v240
	s_waitcnt vmcnt(0)
	v_cvt_f32_f64_e32 v63, v[29:30]
	scratch_load_b64 v[29:30], off, off offset:32 ; 8-byte Folded Reload
	s_waitcnt vmcnt(0)
	v_cvt_f32_f64_e32 v64, v[29:30]
	scratch_load_b64 v[29:30], off, off offset:64 ; 8-byte Folded Reload
	v_min3_f32 v230, v63, v64, v230
	s_waitcnt vmcnt(0)
	v_cvt_f32_f64_e32 v40, v[29:30]
	scratch_load_b64 v[29:30], off, off offset:96 ; 8-byte Folded Reload
	v_min3_f32 v246, v39, v40, v246
	s_waitcnt vmcnt(0)
	v_cvt_f32_f64_e32 v39, v[29:30]
	scratch_load_b64 v[29:30], off, off offset:40 ; 8-byte Folded Reload
	s_waitcnt vmcnt(0)
	v_cvt_f32_f64_e32 v40, v[29:30]
	scratch_load_b64 v[29:30], off, off offset:120 ; 8-byte Folded Reload
	v_min3_f32 v78, v39, v40, v78
	s_waitcnt vmcnt(0)
	v_cvt_f32_f64_e32 v39, v[29:30]
	scratch_load_b64 v[29:30], off, off offset:72 ; 8-byte Folded Reload
	;; [unrolled: 7-line block ×8, first 2 shown]
	s_waitcnt vmcnt(0)
	v_cvt_f32_f64_e32 v40, v[29:30]
	scratch_load_b64 v[29:30], off, off offset:208 ; 8-byte Folded Reload
	v_min3_f32 v244, v39, v40, v244
	v_mov_b32_e32 v40, v38
	s_delay_alu instid0(VALU_DEP_1) | instskip(SKIP_2) | instid1(VALU_DEP_1)
	v_min3_f32 v40, v31, v32, v40
	v_cvt_f32_f64_e32 v31, v[93:94]
	v_cvt_f32_f64_e32 v32, v[95:96]
	v_min3_f32 v37, v31, v32, v37
	v_cvt_f32_f64_e32 v31, v[97:98]
	v_cvt_f32_f64_e32 v32, v[103:104]
	s_delay_alu instid0(VALU_DEP_1)
	v_min3_f32 v34, v31, v32, v34
	v_cvt_f32_f64_e32 v31, v[101:102]
	s_waitcnt vmcnt(0)
	v_cvt_f32_f64_e32 v36, v[29:30]
	scratch_load_b64 v[29:30], off, off offset:224 ; 8-byte Folded Reload
	v_min3_f32 v242, v35, v36, v242
	s_waitcnt vmcnt(0)
	v_cvt_f32_f64_e32 v35, v[29:30]
	scratch_load_b64 v[29:30], off, off offset:216 ; 8-byte Folded Reload
	s_waitcnt vmcnt(0)
	v_cvt_f32_f64_e32 v36, v[29:30]
	scratch_load_b64 v[29:30], off, off offset:240 ; 8-byte Folded Reload
	v_min3_f32 v80, v35, v36, v80
	s_waitcnt vmcnt(0)
	v_cvt_f32_f64_e32 v35, v[29:30]
	scratch_load_b64 v[29:30], off, off offset:232 ; 8-byte Folded Reload
	;; [unrolled: 7-line block ×3, first 2 shown]
	v_min3_f32 v33, v31, v32, v33
	v_cvt_f32_f64_e32 v31, v[99:100]
	s_waitcnt vmcnt(0)
	v_cvt_f32_f64_e32 v32, v[29:30]
	scratch_load_b64 v[29:30], off, off offset:272 ; 8-byte Folded Reload
	v_min3_f32 v42, v31, v32, v42
	s_waitcnt vmcnt(0)
	v_cvt_f32_f64_e32 v31, v[29:30]
	scratch_load_b64 v[29:30], off, off offset:248 ; 8-byte Folded Reload
	s_waitcnt vmcnt(0)
	v_cvt_f32_f64_e32 v32, v[29:30]
	v_cvt_f32_f64_e32 v29, v[73:74]
	;; [unrolled: 1-line block ×3, first 2 shown]
	s_delay_alu instid0(VALU_DEP_3) | instskip(SKIP_2) | instid1(VALU_DEP_1)
	v_min3_f32 v41, v31, v32, v41
	v_cvt_f32_f64_e32 v31, v[150:151]
	v_cvt_f32_f64_e32 v32, v[87:88]
	v_min3_f32 v62, v31, v32, v62
	v_cvt_f32_f64_e32 v31, v[190:191]
	v_cvt_f32_f64_e32 v32, v[152:153]
	s_delay_alu instid0(VALU_DEP_1) | instskip(SKIP_1) | instid1(VALU_DEP_1)
	v_min3_f32 v51, v31, v32, v51
	v_cvt_f32_f64_e32 v31, v[194:195]
	v_min3_f32 v144, v31, v29, v144
	v_cvt_f32_f64_e32 v29, v[200:201]
	s_delay_alu instid0(VALU_DEP_1) | instskip(SKIP_2) | instid1(VALU_DEP_1)
	v_min3_f32 v143, v29, v30, v143
	v_cvt_f32_f64_e32 v29, v[204:205]
	v_cvt_f32_f64_e32 v30, v[202:203]
	v_min3_f32 v241, v29, v30, v241
	v_cvt_f32_f64_e32 v29, v[208:209]
	v_cvt_f32_f64_e32 v30, v[206:207]
	s_delay_alu instid0(VALU_DEP_1) | instskip(SKIP_2) | instid1(VALU_DEP_1)
	v_min3_f32 v149, v29, v30, v149
	v_cvt_f32_f64_e32 v29, v[212:213]
	v_cvt_f32_f64_e32 v30, v[210:211]
	v_min3_f32 v148, v29, v30, v148
	v_cvt_f32_f64_e32 v29, v[216:217]
	v_cvt_f32_f64_e32 v30, v[214:215]
	s_delay_alu instid0(VALU_DEP_1) | instskip(SKIP_4) | instid1(VALU_DEP_3)
	v_min3_f32 v146, v29, v30, v146
	v_cvt_f32_f64_e32 v29, v[220:221]
	v_cvt_f32_f64_e32 v30, v[15:16]
	;; [unrolled: 1-line block ×4, first 2 shown]
	v_min3_f32 v145, v29, v30, v145
	v_cvt_f32_f64_e32 v29, v[224:225]
	v_cvt_f32_f64_e32 v30, v[222:223]
	s_delay_alu instid0(VALU_DEP_1) | instskip(SKIP_2) | instid1(VALU_DEP_1)
	v_min3_f32 v72, v29, v30, v72
	v_cvt_f32_f64_e32 v29, v[228:229]
	v_cvt_f32_f64_e32 v30, v[43:44]
	v_min3_f32 v71, v29, v30, v71
	v_cvt_f32_f64_e32 v29, v[232:233]
	v_cvt_f32_f64_e32 v30, v[45:46]
	s_delay_alu instid0(VALU_DEP_1) | instskip(SKIP_2) | instid1(VALU_DEP_1)
	v_min3_f32 v70, v29, v30, v70
	v_cvt_f32_f64_e32 v29, v[236:237]
	v_cvt_f32_f64_e32 v30, v[52:53]
	v_min3_f32 v69, v29, v30, v69
	v_cvt_f32_f64_e32 v29, v[47:48]
	s_delay_alu instid0(VALU_DEP_1) | instskip(SKIP_2) | instid1(VALU_DEP_1)
	v_min3_f32 v147, v29, v15, v147
	scratch_load_b32 v29, off, off offset:16 ; 4-byte Folded Reload
	v_cvt_f32_f64_e32 v15, v[49:50]
	v_min3_f32 v219, v15, v16, v219
	v_cvt_f32_f64_e32 v15, v[54:55]
	v_cvt_f32_f64_e32 v16, v[60:61]
	s_delay_alu instid0(VALU_DEP_1) | instskip(SKIP_3) | instid1(VALU_DEP_1)
	v_min3_f32 v218, v15, v16, v218
	v_cvt_f32_f64_e32 v15, v[252:253]
	v_cvt_f32_f64_e32 v16, v[250:251]
	s_waitcnt vmcnt(0)
	v_min3_f32 v29, v15, v16, v29
	scratch_store_b32 off, v29, off offset:16 ; 4-byte Folded Spill
	s_cbranch_vccz .LBB124_15
; %bb.16:                               ;   in Loop: Header=BB124_12 Depth=1
	s_clause 0x1
	scratch_load_b32 v0, off, off offset:388
	scratch_load_b64 v[1:2], off, off offset:280
	s_add_i32 s13, s13, 8
	s_add_i32 s12, s12, 8
	s_cmp_ge_i32 s13, s11
	s_waitcnt vmcnt(0)
	ds_store_b64 v0, v[1:2]
	s_clause 0x2
	scratch_load_b32 v0, off, off offset:392
	scratch_load_b64 v[1:2], off, off offset:304
	scratch_load_b64 v[3:4], off, off offset:312
	s_waitcnt vmcnt(0)
	ds_store_2addr_stride64_b64 v0, v[1:2], v[3:4] offset1:4
	s_clause 0x1
	scratch_load_b64 v[1:2], off, off offset:320
	scratch_load_b64 v[3:4], off, off offset:328
	s_waitcnt vmcnt(0)
	ds_store_2addr_stride64_b64 v0, v[1:2], v[3:4] offset0:8 offset1:12
	s_waitcnt lgkmcnt(0)
	s_waitcnt_vscnt null, 0x0
	s_barrier
	buffer_gl0_inv
	s_cbranch_scc1 .LBB124_19
; %bb.17:                               ;   in Loop: Header=BB124_12 Depth=1
	scratch_load_b64 v[4:5], off, off offset:352 ; 8-byte Folded Reload
	v_mov_b32_e32 v52, v62
	s_branch .LBB124_12
.LBB124_18:
	v_dual_mov_b32 v226, v215 :: v_dual_mov_b32 v37, v213
	v_mov_b32_e32 v33, v211
	v_dual_mov_b32 v41, v209 :: v_dual_mov_b32 v148, v203
	v_mov_b32_e32 v51, v208
	v_mov_b32_e32 v143, v206
	;; [unrolled: 1-line block ×3, first 2 shown]
	s_branch .LBB124_20
.LBB124_19:
	v_dual_mov_b32 v198, v147 :: v_dual_mov_b32 v199, v69
	v_mov_b32_e32 v134, v71
	v_mov_b32_e32 v52, v62
.LBB124_20:
	v_dual_mov_b32 v136, v72 :: v_dual_mov_b32 v133, v70
	s_delay_alu instid0(VALU_DEP_2)
	v_dual_mov_b32 v137, v231 :: v_dual_mov_b32 v56, v145
	v_dual_mov_b32 v61, v219 :: v_dual_mov_b32 v58, v148
	;; [unrolled: 1-line block ×9, first 2 shown]
	s_mov_b32 s12, 0
	s_mov_b32 s11, -1
.LBB124_21:                             ; =>This Inner Loop Header: Depth=1
	scratch_load_b32 v0, off, off offset:20 ; 4-byte Folded Reload
	s_lshl_b32 s12, s12, 3
	v_dual_mov_b32 v194, v138 :: v_dual_mov_b32 v241, v192
	v_lshl_add_u32 v4, v109, 5, s12
	v_mov_b32_e32 v197, v199
	v_mov_b32_e32 v229, v218
	;; [unrolled: 1-line block ×4, first 2 shown]
	s_and_not1_b32 vcc_lo, exec_lo, s11
	s_mov_b32 s11, 0
	s_waitcnt vmcnt(0)
	v_lshl_add_u32 v5, v0, 5, s12
	s_mov_b32 s12, 2
	ds_load_b128 v[32:35], v4 offset:8192
	ds_load_b128 v[0:3], v5 offset:18432
	;; [unrolled: 1-line block ×4, first 2 shown]
	s_waitcnt lgkmcnt(2)
	v_add_f64 v[125:126], v[0:1], v[32:33]
	s_waitcnt lgkmcnt(1)
	v_add_f64 v[6:7], v[64:65], v[34:35]
	v_add_f64 v[66:67], v[2:3], v[34:35]
	scratch_store_b64 off, v[6:7], off offset:24 ; 8-byte Folded Spill
	v_add_f64 v[6:7], v[62:63], v[32:33]
	v_cvt_f32_f64_e32 v66, v[66:67]
	scratch_store_b64 off, v[6:7], off offset:80 ; 8-byte Folded Spill
	ds_load_b128 v[72:75], v5 offset:18944
	ds_load_b128 v[143:146], v5 offset:19200
	s_waitcnt lgkmcnt(1)
	v_add_f64 v[6:7], v[74:75], v[34:35]
	scratch_store_b64 off, v[6:7], off offset:56 ; 8-byte Folded Spill
	v_add_f64 v[6:7], v[72:73], v[32:33]
	scratch_store_b64 off, v[6:7], off offset:112 ; 8-byte Folded Spill
	s_waitcnt lgkmcnt(0)
	v_add_f64 v[6:7], v[145:146], v[34:35]
	scratch_store_b64 off, v[6:7], off offset:32 ; 8-byte Folded Spill
	v_add_f64 v[6:7], v[143:144], v[32:33]
	scratch_store_b64 off, v[6:7], off offset:88 ; 8-byte Folded Spill
	ds_load_b128 v[147:150], v5 offset:19456
	ds_load_b128 v[151:154], v5 offset:19712
	s_waitcnt lgkmcnt(1)
	v_add_f64 v[6:7], v[149:150], v[34:35]
	scratch_store_b64 off, v[6:7], off offset:64 ; 8-byte Folded Spill
	v_add_f64 v[6:7], v[147:148], v[32:33]
	scratch_store_b64 off, v[6:7], off offset:120 ; 8-byte Folded Spill
	s_waitcnt lgkmcnt(0)
	v_add_f64 v[6:7], v[153:154], v[34:35]
	scratch_store_b64 off, v[6:7], off offset:40 ; 8-byte Folded Spill
	v_add_f64 v[6:7], v[151:152], v[32:33]
	;; [unrolled: 12-line block ×3, first 2 shown]
	v_add_f64 v[31:32], v[155:156], v[68:69]
	v_cvt_f32_f64_e32 v33, v[125:126]
	scratch_store_b64 off, v[5:6], off offset:104 ; 8-byte Folded Spill
	v_add_f64 v[5:6], v[2:3], v[70:71]
	v_min3_f32 v142, v33, v66, v142
	scratch_store_b64 off, v[5:6], off offset:136 ; 8-byte Folded Spill
	v_add_f64 v[5:6], v[0:1], v[68:69]
	scratch_store_b64 off, v[5:6], off offset:144 ; 8-byte Folded Spill
	v_add_f64 v[5:6], v[64:65], v[70:71]
	;; [unrolled: 2-line block ×14, first 2 shown]
	scratch_store_b64 off, v[5:6], off offset:248 ; 8-byte Folded Spill
	ds_load_b128 v[68:71], v4 offset:10240
	ds_load_b128 v[163:166], v4 offset:11264
	s_waitcnt lgkmcnt(1)
	v_add_f64 v[5:6], v[149:150], v[70:71]
	v_add_f64 v[82:83], v[2:3], v[70:71]
	v_add_f64 v[84:85], v[0:1], v[68:69]
	v_add_f64 v[86:87], v[64:65], v[70:71]
	v_add_f64 v[88:89], v[62:63], v[68:69]
	v_add_f64 v[90:91], v[74:75], v[70:71]
	v_add_f64 v[92:93], v[72:73], v[68:69]
	v_add_f64 v[94:95], v[145:146], v[70:71]
	v_add_f64 v[96:97], v[143:144], v[68:69]
	v_add_f64 v[100:101], v[147:148], v[68:69]
	v_add_f64 v[104:105], v[151:152], v[68:69]
	s_waitcnt lgkmcnt(0)
	v_add_f64 v[114:115], v[2:3], v[165:166]
	v_add_f64 v[116:117], v[0:1], v[163:164]
	;; [unrolled: 1-line block ×16, first 2 shown]
	scratch_store_b64 off, v[5:6], off offset:288 ; 8-byte Folded Spill
	v_add_f64 v[5:6], v[153:154], v[70:71]
	scratch_store_b64 off, v[5:6], off offset:272 ; 8-byte Folded Spill
	v_add_f64 v[5:6], v[157:158], v[70:71]
	scratch_store_b64 off, v[5:6], off offset:264 ; 8-byte Folded Spill
	v_add_f64 v[5:6], v[155:156], v[68:69]
	scratch_store_b64 off, v[5:6], off offset:296 ; 8-byte Folded Spill
	v_add_f64 v[5:6], v[161:162], v[70:71]
	scratch_store_b64 off, v[5:6], off offset:256 ; 8-byte Folded Spill
	v_add_f64 v[5:6], v[159:160], v[68:69]
	scratch_store_b64 off, v[5:6], off offset:280 ; 8-byte Folded Spill
	ds_load_b128 v[68:71], v4 offset:12288
	ds_load_b128 v[163:166], v4 offset:13312
	v_mov_b32_e32 v6, v130
	v_mov_b32_e32 v130, v238
	s_waitcnt lgkmcnt(1)
	v_add_f64 v[187:188], v[2:3], v[70:71]
	v_add_f64 v[189:190], v[0:1], v[68:69]
	;; [unrolled: 1-line block ×16, first 2 shown]
	s_waitcnt lgkmcnt(0)
	v_add_f64 v[219:220], v[2:3], v[165:166]
	v_add_f64 v[221:222], v[0:1], v[163:164]
	;; [unrolled: 1-line block ×16, first 2 shown]
	ds_load_b128 v[68:71], v4 offset:14336
	ds_load_b128 v[163:166], v4 offset:15360
	s_clause 0x1
	scratch_load_b64 v[33:34], off, off offset:80
	scratch_load_b64 v[66:67], off, off offset:24
	s_waitcnt lgkmcnt(1)
	v_add_f64 v[254:255], v[2:3], v[70:71]
	v_add_f64 v[4:5], v[0:1], v[68:69]
	s_waitcnt lgkmcnt(0)
	v_add_f64 v[2:3], v[2:3], v[165:166]
	v_add_f64 v[0:1], v[0:1], v[163:164]
	;; [unrolled: 1-line block ×30, first 2 shown]
	v_cvt_f32_f64_e32 v4, v[4:5]
	v_cvt_f32_f64_e32 v5, v[254:255]
	;; [unrolled: 1-line block ×4, first 2 shown]
	s_waitcnt vmcnt(1)
	v_cvt_f32_f64_e32 v33, v[33:34]
	s_waitcnt vmcnt(0)
	v_cvt_f32_f64_e32 v66, v[66:67]
	s_delay_alu instid0(VALU_DEP_1)
	v_min3_f32 v141, v33, v66, v141
	s_clause 0x1
	scratch_load_b64 v[33:34], off, off offset:112
	scratch_load_b64 v[66:67], off, off offset:56
	s_waitcnt vmcnt(1)
	v_cvt_f32_f64_e32 v33, v[33:34]
	s_waitcnt vmcnt(0)
	v_cvt_f32_f64_e32 v66, v[66:67]
	s_delay_alu instid0(VALU_DEP_1)
	v_min3_f32 v240, v33, v66, v240
	s_clause 0x1
	scratch_load_b64 v[33:34], off, off offset:88
	scratch_load_b64 v[66:67], off, off offset:32
	;; [unrolled: 9-line block ×7, first 2 shown]
	s_waitcnt vmcnt(1)
	v_cvt_f32_f64_e32 v33, v[33:34]
	s_waitcnt vmcnt(0)
	v_cvt_f32_f64_e32 v34, v[66:67]
	scratch_load_b64 v[66:67], off, off offset:152 ; 8-byte Folded Reload
	v_min3_f32 v193, v33, v34, v193
	scratch_load_b64 v[33:34], off, off offset:160 ; 8-byte Folded Reload
	s_waitcnt vmcnt(0)
	v_cvt_f32_f64_e32 v33, v[33:34]
	v_cvt_f32_f64_e32 v34, v[66:67]
	scratch_load_b64 v[66:67], off, off offset:168 ; 8-byte Folded Reload
	v_min3_f32 v129, v33, v34, v129
	scratch_load_b64 v[33:34], off, off offset:176 ; 8-byte Folded Reload
	s_waitcnt vmcnt(0)
	v_cvt_f32_f64_e32 v33, v[33:34]
	;; [unrolled: 6-line block ×4, first 2 shown]
	v_cvt_f32_f64_e32 v34, v[66:67]
	s_delay_alu instid0(VALU_DEP_1)
	v_min3_f32 v244, v33, v34, v244
	s_clause 0x2
	scratch_load_b64 v[33:34], off, off offset:232
	scratch_load_b32 v60, off, off offset:12
	scratch_load_b64 v[66:67], off, off offset:208
	s_waitcnt vmcnt(1)
	v_min3_f32 v60, v4, v5, v60
	v_cvt_f32_f64_e32 v33, v[33:34]
	s_waitcnt vmcnt(0)
	v_cvt_f32_f64_e32 v34, v[66:67]
	v_cvt_f32_f64_e32 v4, v[7:8]
	;; [unrolled: 1-line block ×3, first 2 shown]
	scratch_store_b32 off, v60, off offset:12 ; 4-byte Folded Spill
	v_min3_f32 v242, v33, v34, v242
	v_cvt_f32_f64_e32 v33, v[31:32]
	s_clause 0x1
	scratch_load_b64 v[31:32], off, off offset:224
	scratch_load_b32 v34, off, off offset:16
	v_min3_f32 v132, v4, v5, v132
	v_cvt_f32_f64_e32 v4, v[9:10]
	v_cvt_f32_f64_e32 v5, v[15:16]
	s_waitcnt vmcnt(1)
	v_cvt_f32_f64_e32 v31, v[31:32]
	s_delay_alu instid0(VALU_DEP_1)
	v_min3_f32 v80, v33, v31, v80
	scratch_load_b64 v[31:32], off, off offset:248 ; 8-byte Folded Reload
	s_waitcnt vmcnt(0)
	v_cvt_f32_f64_e32 v31, v[31:32]
	scratch_load_b64 v[32:33], off, off offset:240 ; 8-byte Folded Reload
	s_waitcnt vmcnt(0)
	v_cvt_f32_f64_e32 v32, v[32:33]
	s_delay_alu instid0(VALU_DEP_1) | instskip(SKIP_2) | instid1(VALU_DEP_1)
	v_min3_f32 v248, v31, v32, v248
	v_cvt_f32_f64_e32 v31, v[84:85]
	v_cvt_f32_f64_e32 v32, v[82:83]
	v_min3_f32 v121, v31, v32, v121
	v_cvt_f32_f64_e32 v31, v[88:89]
	v_cvt_f32_f64_e32 v32, v[86:87]
	s_delay_alu instid0(VALU_DEP_1) | instskip(SKIP_2) | instid1(VALU_DEP_1)
	v_min3_f32 v108, v31, v32, v108
	v_cvt_f32_f64_e32 v31, v[92:93]
	v_cvt_f32_f64_e32 v32, v[90:91]
	v_min3_f32 v99, v31, v32, v99
	v_cvt_f32_f64_e32 v31, v[96:97]
	v_cvt_f32_f64_e32 v32, v[94:95]
	s_delay_alu instid0(VALU_DEP_1) | instskip(SKIP_4) | instid1(VALU_DEP_1)
	v_min3_f32 v98, v31, v32, v98
	scratch_load_b64 v[32:33], off, off offset:288 ; 8-byte Folded Reload
	v_cvt_f32_f64_e32 v31, v[100:101]
	s_waitcnt vmcnt(0)
	v_cvt_f32_f64_e32 v32, v[32:33]
	v_min3_f32 v113, v31, v32, v113
	scratch_load_b64 v[32:33], off, off offset:272 ; 8-byte Folded Reload
	v_cvt_f32_f64_e32 v31, v[104:105]
	s_waitcnt vmcnt(0)
	v_cvt_f32_f64_e32 v32, v[32:33]
	s_delay_alu instid0(VALU_DEP_1)
	v_min3_f32 v112, v31, v32, v112
	scratch_load_b64 v[31:32], off, off offset:296 ; 8-byte Folded Reload
	s_waitcnt vmcnt(0)
	v_cvt_f32_f64_e32 v31, v[31:32]
	scratch_load_b64 v[32:33], off, off offset:264 ; 8-byte Folded Reload
	s_waitcnt vmcnt(0)
	v_cvt_f32_f64_e32 v32, v[32:33]
	s_delay_alu instid0(VALU_DEP_1)
	v_min3_f32 v103, v31, v32, v103
	scratch_load_b64 v[31:32], off, off offset:280 ; 8-byte Folded Reload
	s_waitcnt vmcnt(0)
	v_cvt_f32_f64_e32 v31, v[31:32]
	scratch_load_b64 v[32:33], off, off offset:256 ; 8-byte Folded Reload
	s_waitcnt vmcnt(0)
	v_cvt_f32_f64_e32 v32, v[32:33]
	scratch_load_b32 v33, off, off offset:4 ; 4-byte Folded Reload
	v_min3_f32 v102, v31, v32, v102
	v_cvt_f32_f64_e32 v31, v[116:117]
	v_cvt_f32_f64_e32 v32, v[114:115]
	s_delay_alu instid0(VALU_DEP_1) | instskip(SKIP_2) | instid1(VALU_DEP_1)
	v_min3_f32 v107, v31, v32, v107
	v_cvt_f32_f64_e32 v31, v[52:53]
	v_cvt_f32_f64_e32 v32, v[118:119]
	v_min3_f32 v106, v31, v32, v106
	v_cvt_f32_f64_e32 v31, v[138:139]
	v_cvt_f32_f64_e32 v32, v[54:55]
	v_mov_b32_e32 v138, v194
	s_delay_alu instid0(VALU_DEP_2) | instskip(SKIP_2) | instid1(VALU_DEP_1)
	v_min3_f32 v111, v31, v32, v111
	v_cvt_f32_f64_e32 v31, v[169:170]
	v_cvt_f32_f64_e32 v32, v[167:168]
	v_min3_f32 v110, v31, v32, v110
	v_cvt_f32_f64_e32 v31, v[173:174]
	v_cvt_f32_f64_e32 v32, v[171:172]
	s_delay_alu instid0(VALU_DEP_1) | instskip(SKIP_2) | instid1(VALU_DEP_1)
	v_min3_f32 v140, v31, v32, v140
	v_cvt_f32_f64_e32 v31, v[177:178]
	v_cvt_f32_f64_e32 v32, v[175:176]
	v_min3_f32 v59, v31, v32, v59
	v_cvt_f32_f64_e32 v31, v[181:182]
	v_cvt_f32_f64_e32 v32, v[179:180]
	s_delay_alu instid0(VALU_DEP_1) | instskip(SKIP_2) | instid1(VALU_DEP_1)
	v_min3_f32 v58, v31, v32, v58
	v_cvt_f32_f64_e32 v31, v[185:186]
	v_cvt_f32_f64_e32 v32, v[183:184]
	v_min3_f32 v57, v31, v32, v57
	v_cvt_f32_f64_e32 v31, v[189:190]
	v_cvt_f32_f64_e32 v32, v[187:188]
	s_delay_alu instid0(VALU_DEP_1) | instskip(SKIP_3) | instid1(VALU_DEP_2)
	v_min3_f32 v56, v31, v32, v56
	v_cvt_f32_f64_e32 v31, v[48:49]
	v_cvt_f32_f64_e32 v32, v[191:192]
	v_mov_b32_e32 v192, v241
	v_min3_f32 v136, v31, v32, v136
	v_cvt_f32_f64_e32 v31, v[50:51]
	v_cvt_f32_f64_e32 v32, v[195:196]
	s_delay_alu instid0(VALU_DEP_1) | instskip(SKIP_3) | instid1(VALU_DEP_2)
	v_min3_f32 v134, v31, v32, v134
	v_cvt_f32_f64_e32 v31, v[201:202]
	v_cvt_f32_f64_e32 v32, v[199:200]
	v_mov_b32_e32 v199, v197
	v_min3_f32 v133, v31, v32, v133
	v_cvt_f32_f64_e32 v31, v[205:206]
	v_cvt_f32_f64_e32 v32, v[203:204]
	s_delay_alu instid0(VALU_DEP_1) | instskip(SKIP_2) | instid1(VALU_DEP_1)
	v_min3_f32 v199, v31, v32, v199
	v_cvt_f32_f64_e32 v31, v[209:210]
	v_cvt_f32_f64_e32 v32, v[207:208]
	v_min3_f32 v198, v31, v32, v198
	v_cvt_f32_f64_e32 v31, v[213:214]
	v_cvt_f32_f64_e32 v32, v[211:212]
	s_delay_alu instid0(VALU_DEP_1) | instskip(SKIP_3) | instid1(VALU_DEP_1)
	v_min3_f32 v61, v31, v32, v61
	v_cvt_f32_f64_e32 v31, v[217:218]
	v_cvt_f32_f64_e32 v32, v[215:216]
	v_mov_b32_e32 v218, v229
	v_min3_f32 v218, v31, v32, v218
	v_cvt_f32_f64_e32 v31, v[221:222]
	v_cvt_f32_f64_e32 v32, v[219:220]
	s_delay_alu instid0(VALU_DEP_1)
	v_min3_f32 v34, v31, v32, v34
	v_cvt_f32_f64_e32 v31, v[225:226]
	v_cvt_f32_f64_e32 v32, v[223:224]
	scratch_store_b32 off, v34, off offset:16 ; 4-byte Folded Spill
	scratch_load_b32 v34, off, off offset:8 ; 4-byte Folded Reload
	v_min3_f32 v138, v31, v32, v138
	v_cvt_f32_f64_e32 v31, v[44:45]
	v_cvt_f32_f64_e32 v32, v[227:228]
	s_delay_alu instid0(VALU_DEP_1) | instskip(SKIP_3) | instid1(VALU_DEP_1)
	v_min3_f32 v137, v31, v32, v137
	v_cvt_f32_f64_e32 v31, v[233:234]
	v_cvt_f32_f64_e32 v32, v[231:232]
	v_dual_mov_b32 v234, v127 :: v_dual_mov_b32 v127, v81
	v_min3_f32 v127, v0, v1, v127
	v_cvt_f32_f64_e32 v0, v[62:63]
	v_cvt_f32_f64_e32 v1, v[64:65]
	v_min3_f32 v135, v31, v32, v135
	v_cvt_f32_f64_e32 v31, v[237:238]
	v_mov_b32_e32 v238, v130
	v_mov_b32_e32 v130, v6
	scratch_load_b32 v6, off, off           ; 4-byte Folded Reload
	v_cvt_f32_f64_e32 v32, v[42:43]
	v_min3_f32 v130, v4, v5, v130
	v_min3_f32 v79, v0, v1, v79
	v_cvt_f32_f64_e32 v0, v[72:73]
	v_cvt_f32_f64_e32 v1, v[74:75]
	;; [unrolled: 1-line block ×4, first 2 shown]
	v_min3_f32 v77, v31, v32, v77
	v_cvt_f32_f64_e32 v31, v[46:47]
	v_cvt_f32_f64_e32 v32, v[39:40]
	s_delay_alu instid0(VALU_DEP_4) | instskip(SKIP_2) | instid1(VALU_DEP_4)
	v_min3_f32 v128, v4, v5, v128
	v_cvt_f32_f64_e32 v4, v[17:18]
	v_cvt_f32_f64_e32 v5, v[23:24]
	v_min3_f32 v245, v31, v32, v245
	v_cvt_f32_f64_e32 v31, v[35:36]
	v_cvt_f32_f64_e32 v32, v[37:38]
	s_delay_alu instid0(VALU_DEP_4) | instskip(SKIP_3) | instid1(VALU_DEP_1)
	v_min3_f32 v234, v4, v5, v234
	v_cvt_f32_f64_e32 v4, v[21:22]
	v_cvt_f32_f64_e32 v5, v[27:28]
	s_waitcnt vmcnt(2)
	v_min3_f32 v33, v4, v5, v33
	v_cvt_f32_f64_e32 v4, v[25:26]
	v_cvt_f32_f64_e32 v5, v[29:30]
	s_delay_alu instid0(VALU_DEP_1)
	v_min3_f32 v243, v4, v5, v243
	v_cvt_f32_f64_e32 v4, v[68:69]
	v_cvt_f32_f64_e32 v5, v[70:71]
	s_waitcnt vmcnt(1)
	v_min3_f32 v34, v31, v32, v34
	v_cvt_f32_f64_e32 v31, v[252:253]
	v_cvt_f32_f64_e32 v32, v[250:251]
	s_delay_alu instid0(VALU_DEP_4) | instskip(NEXT) | instid1(VALU_DEP_2)
	v_min3_f32 v192, v4, v5, v192
	v_min3_f32 v238, v31, v32, v238
	s_waitcnt vmcnt(0)
	v_min3_f32 v6, v0, v1, v6
	v_cvt_f32_f64_e32 v0, v[143:144]
	v_cvt_f32_f64_e32 v1, v[145:146]
	s_clause 0x2
	scratch_store_b32 off, v34, off offset:8
	scratch_store_b32 off, v33, off offset:4
	scratch_store_b32 off, v6, off
	v_min3_f32 v247, v0, v1, v247
	v_cvt_f32_f64_e32 v0, v[147:148]
	v_cvt_f32_f64_e32 v1, v[149:150]
	s_delay_alu instid0(VALU_DEP_1) | instskip(SKIP_2) | instid1(VALU_DEP_1)
	v_min3_f32 v249, v0, v1, v249
	v_cvt_f32_f64_e32 v0, v[151:152]
	v_cvt_f32_f64_e32 v1, v[153:154]
	v_min3_f32 v120, v0, v1, v120
	v_cvt_f32_f64_e32 v0, v[155:156]
	v_cvt_f32_f64_e32 v1, v[157:158]
	s_delay_alu instid0(VALU_DEP_1) | instskip(SKIP_2) | instid1(VALU_DEP_1)
	v_min3_f32 v122, v0, v1, v122
	v_cvt_f32_f64_e32 v0, v[159:160]
	v_cvt_f32_f64_e32 v1, v[161:162]
	v_min3_f32 v124, v0, v1, v124
	s_cbranch_vccz .LBB124_21
; %bb.22:
	s_clause 0x2
	s_load_b32 s12, s[0:1], 0x70
	s_load_b32 s11, s[0:1], 0x58
	s_load_b64 s[0:1], s[0:1], 0x78
	scratch_load_b32 v0, off, off offset:20 ; 4-byte Folded Reload
	v_dual_mov_b32 v41, v111 :: v_dual_add_nc_u32 v18, s3, v109
	v_mov_b32_e32 v36, v57
	v_mov_b32_e32 v38, v59
	s_waitcnt lgkmcnt(0)
	s_delay_alu instid0(VALU_DEP_3) | instskip(SKIP_1) | instid1(SALU_CYCLE_1)
	v_mad_i64_i32 v[4:5], null, v18, s11, 0
	s_lshl_b64 s[0:1], s[0:1], 3
	s_add_u32 s3, s8, s0
	s_addc_u32 s8, s9, s1
	s_delay_alu instid0(VALU_DEP_1) | instskip(SKIP_3) | instid1(VALU_DEP_2)
	v_lshlrev_b64 v[4:5], 3, v[4:5]
	s_waitcnt vmcnt(0)
	v_add_nc_u32_e32 v12, s10, v0
	v_mad_i64_i32 v[0:1], null, v18, s12, 0
	v_ashrrev_i32_e32 v13, 31, v12
	v_add_nc_u32_e32 v2, 8, v12
	s_delay_alu instid0(VALU_DEP_3) | instskip(NEXT) | instid1(VALU_DEP_3)
	v_lshlrev_b64 v[7:8], 3, v[0:1]
	v_lshlrev_b64 v[0:1], 3, v[12:13]
	s_delay_alu instid0(VALU_DEP_3) | instskip(NEXT) | instid1(VALU_DEP_3)
	v_ashrrev_i32_e32 v3, 31, v2
	v_add_co_u32 v19, vcc_lo, s3, v7
	s_delay_alu instid0(VALU_DEP_4)
	v_add_co_ci_u32_e32 v20, vcc_lo, s8, v8, vcc_lo
	v_add_co_u32 v16, vcc_lo, s4, v4
	v_add_co_ci_u32_e32 v17, vcc_lo, s5, v5, vcc_lo
	v_max_f32_e32 v4, v142, v142
	s_mov_b32 vcc_lo, s2
	s_cbranch_vccz .LBB124_24
; %bb.23:
	s_delay_alu instid0(VALU_DEP_1) | instskip(SKIP_2) | instid1(VALU_DEP_3)
	v_min_f32_e32 v5, 0, v4
	v_add_co_u32 v9, vcc_lo, v19, v0
	v_add_co_ci_u32_e32 v10, vcc_lo, v20, v1, vcc_lo
	v_cvt_f64_f32_e32 v[7:8], v5
	s_mov_b32 s9, 0
	s_mov_b64 s[0:1], 0
	global_store_b64 v[9:10], v[7:8], off
	s_branch .LBB124_25
.LBB124_24:
	s_mov_b32 s9, -1
                                        ; implicit-def: $sgpr0_sgpr1
.LBB124_25:
	v_lshlrev_b64 v[2:3], 3, v[2:3]
	v_mov_b32_e32 v31, v137
	v_mov_b32_e32 v39, v140
	;; [unrolled: 1-line block ×3, first 2 shown]
	s_and_not1_b32 vcc_lo, exec_lo, s9
	s_cbranch_vccnz .LBB124_27
; %bb.26:
	v_add_co_u32 v7, vcc_lo, v16, v0
	v_add_co_ci_u32_e32 v8, vcc_lo, v17, v1, vcc_lo
	flat_load_b64 v[7:8], v[7:8]
	s_waitcnt vmcnt(0) lgkmcnt(0)
	v_mul_f64 v[7:8], v[7:8], s[6:7]
	s_delay_alu instid0(VALU_DEP_1)
	v_cvt_f32_f64_e32 v5, v[7:8]
	v_add_co_u32 v7, vcc_lo, v19, v0
	v_add_co_ci_u32_e32 v8, vcc_lo, v20, v1, vcc_lo
	v_add_co_u32 v9, vcc_lo, v16, v2
	v_add_co_ci_u32_e32 v10, vcc_lo, v17, v3, vcc_lo
	v_min_f32_e32 v4, v5, v4
	s_delay_alu instid0(VALU_DEP_1)
	v_cvt_f64_f32_e32 v[4:5], v4
	global_store_b64 v[7:8], v[4:5], off
	flat_load_b64 v[4:5], v[9:10]
	s_waitcnt vmcnt(0) lgkmcnt(0)
	v_mul_f64 v[4:5], v[4:5], s[6:7]
	s_branch .LBB124_28
.LBB124_27:
	v_dual_mov_b32 v5, s1 :: v_dual_mov_b32 v4, s0
.LBB124_28:
	s_delay_alu instid0(VALU_DEP_1)
	v_cvt_f32_f64_e32 v4, v[4:5]
	v_max_f32_e32 v5, v141, v141
	v_add_co_u32 v21, vcc_lo, v19, v2
	v_add_co_ci_u32_e32 v22, vcc_lo, v20, v3, vcc_lo
	v_max_f32_e32 v8, v240, v240
	s_mov_b32 vcc_lo, s2
	v_add_nc_u32_e32 v9, 24, v12
	s_delay_alu instid0(VALU_DEP_1) | instskip(SKIP_1) | instid1(VALU_DEP_1)
	v_ashrrev_i32_e32 v10, 31, v9
	v_min_f32_e32 v4, v4, v5
	v_cvt_f64_f32_e32 v[13:14], v4
	v_add_nc_u32_e32 v4, 16, v12
	s_delay_alu instid0(VALU_DEP_1) | instskip(NEXT) | instid1(VALU_DEP_1)
	v_ashrrev_i32_e32 v5, 31, v4
	v_lshlrev_b64 v[4:5], 3, v[4:5]
	global_store_b64 v[21:22], v[13:14], off
	s_cbranch_vccz .LBB124_31
; %bb.29:
	v_min_f32_e32 v7, 0, v8
	v_add_co_u32 v21, vcc_lo, v19, v4
	v_add_co_ci_u32_e32 v22, vcc_lo, v20, v5, vcc_lo
	s_delay_alu instid0(VALU_DEP_3)
	v_cvt_f64_f32_e32 v[13:14], v7
	s_mov_b64 s[0:1], 0
	global_store_b64 v[21:22], v[13:14], off
	v_lshlrev_b64 v[23:24], 3, v[9:10]
	s_cbranch_execz .LBB124_32
; %bb.30:
	v_dual_mov_b32 v9, s1 :: v_dual_mov_b32 v8, s0
	s_branch .LBB124_33
.LBB124_31:
                                        ; implicit-def: $sgpr0_sgpr1
	v_lshlrev_b64 v[23:24], 3, v[9:10]
.LBB124_32:
	v_add_co_u32 v9, vcc_lo, v16, v4
	v_add_co_ci_u32_e32 v10, vcc_lo, v17, v5, vcc_lo
	flat_load_b64 v[9:10], v[9:10]
	s_waitcnt vmcnt(0) lgkmcnt(0)
	v_mul_f64 v[9:10], v[9:10], s[6:7]
	s_delay_alu instid0(VALU_DEP_1)
	v_cvt_f32_f64_e32 v7, v[9:10]
	v_add_co_u32 v9, vcc_lo, v19, v4
	v_add_co_ci_u32_e32 v10, vcc_lo, v20, v5, vcc_lo
	v_add_co_u32 v13, vcc_lo, v16, v23
	v_add_co_ci_u32_e32 v14, vcc_lo, v17, v24, vcc_lo
	v_min_f32_e32 v7, v7, v8
	s_delay_alu instid0(VALU_DEP_1)
	v_cvt_f64_f32_e32 v[7:8], v7
	global_store_b64 v[9:10], v[7:8], off
	flat_load_b64 v[7:8], v[13:14]
	s_waitcnt vmcnt(0) lgkmcnt(0)
	v_mul_f64 v[8:9], v[7:8], s[6:7]
.LBB124_33:
	s_delay_alu instid0(VALU_DEP_1) | instskip(SKIP_4) | instid1(VALU_DEP_3)
	v_cvt_f32_f64_e32 v7, v[8:9]
	v_max_f32_e32 v8, v230, v230
	v_dual_max_f32 v13, v246, v246 :: v_dual_add_nc_u32 v10, 40, v12
	v_add_co_u32 v21, vcc_lo, v19, v23
	v_add_co_ci_u32_e32 v22, vcc_lo, v20, v24, vcc_lo
	v_ashrrev_i32_e32 v11, 31, v10
	s_mov_b32 vcc_lo, s2
	v_min_f32_e32 v7, v7, v8
	s_delay_alu instid0(VALU_DEP_1) | instskip(SKIP_1) | instid1(VALU_DEP_1)
	v_cvt_f64_f32_e32 v[14:15], v7
	v_add_nc_u32_e32 v7, 32, v12
	v_ashrrev_i32_e32 v8, 31, v7
	s_delay_alu instid0(VALU_DEP_1)
	v_lshlrev_b64 v[8:9], 3, v[7:8]
	global_store_b64 v[21:22], v[14:15], off
	s_cbranch_vccz .LBB124_36
; %bb.34:
	v_min_f32_e32 v7, 0, v13
	v_add_co_u32 v21, vcc_lo, v19, v8
	v_add_co_ci_u32_e32 v22, vcc_lo, v20, v9, vcc_lo
	s_delay_alu instid0(VALU_DEP_3)
	v_cvt_f64_f32_e32 v[14:15], v7
	s_mov_b64 s[0:1], 0
	global_store_b64 v[21:22], v[14:15], off
	v_lshlrev_b64 v[10:11], 3, v[10:11]
	s_cbranch_execz .LBB124_37
; %bb.35:
	v_dual_mov_b32 v14, s1 :: v_dual_mov_b32 v13, s0
	s_branch .LBB124_38
.LBB124_36:
                                        ; implicit-def: $sgpr0_sgpr1
	v_lshlrev_b64 v[10:11], 3, v[10:11]
.LBB124_37:
	v_add_co_u32 v14, vcc_lo, v16, v8
	v_add_co_ci_u32_e32 v15, vcc_lo, v17, v9, vcc_lo
	v_add_co_u32 v21, vcc_lo, v19, v8
	v_add_co_ci_u32_e32 v22, vcc_lo, v20, v9, vcc_lo
	flat_load_b64 v[14:15], v[14:15]
	v_add_co_u32 v25, vcc_lo, v16, v10
	v_add_co_ci_u32_e32 v26, vcc_lo, v17, v11, vcc_lo
	s_waitcnt vmcnt(0) lgkmcnt(0)
	v_mul_f64 v[14:15], v[14:15], s[6:7]
	s_delay_alu instid0(VALU_DEP_1) | instskip(NEXT) | instid1(VALU_DEP_1)
	v_cvt_f32_f64_e32 v7, v[14:15]
	v_min_f32_e32 v7, v7, v13
	s_delay_alu instid0(VALU_DEP_1)
	v_cvt_f64_f32_e32 v[13:14], v7
	global_store_b64 v[21:22], v[13:14], off
	flat_load_b64 v[13:14], v[25:26]
	s_waitcnt vmcnt(0) lgkmcnt(0)
	v_mul_f64 v[13:14], v[13:14], s[6:7]
.LBB124_38:
	s_delay_alu instid0(VALU_DEP_1) | instskip(SKIP_4) | instid1(VALU_DEP_3)
	v_cvt_f32_f64_e32 v7, v[13:14]
	v_dual_max_f32 v13, v78, v78 :: v_dual_add_nc_u32 v14, 56, v12
	v_add_nc_u32_e32 v27, 48, v12
	v_add_co_u32 v29, vcc_lo, v19, v10
	v_add_co_ci_u32_e32 v30, vcc_lo, v20, v11, vcc_lo
	v_ashrrev_i32_e32 v28, 31, v27
	v_max_f32_e32 v21, v239, v239
	v_ashrrev_i32_e32 v15, 31, v14
	s_mov_b32 vcc_lo, s2
	v_min_f32_e32 v7, v7, v13
	v_lshlrev_b64 v[12:13], 3, v[27:28]
	s_delay_alu instid0(VALU_DEP_2)
	v_cvt_f64_f32_e32 v[25:26], v7
	global_store_b64 v[29:30], v[25:26], off
	s_cbranch_vccz .LBB124_41
; %bb.39:
	v_min_f32_e32 v7, 0, v21
	v_add_co_u32 v27, vcc_lo, v19, v12
	v_add_co_ci_u32_e32 v28, vcc_lo, v20, v13, vcc_lo
	s_delay_alu instid0(VALU_DEP_3)
	v_cvt_f64_f32_e32 v[25:26], v7
	s_mov_b64 s[0:1], 0
	global_store_b64 v[27:28], v[25:26], off
	v_lshlrev_b64 v[14:15], 3, v[14:15]
	s_cbranch_execz .LBB124_42
; %bb.40:
	v_dual_mov_b32 v17, s1 :: v_dual_mov_b32 v16, s0
	s_branch .LBB124_43
.LBB124_41:
                                        ; implicit-def: $sgpr0_sgpr1
	v_lshlrev_b64 v[14:15], 3, v[14:15]
.LBB124_42:
	v_add_co_u32 v25, vcc_lo, v16, v12
	v_add_co_ci_u32_e32 v26, vcc_lo, v17, v13, vcc_lo
	flat_load_b64 v[25:26], v[25:26]
	s_waitcnt vmcnt(0) lgkmcnt(0)
	v_mul_f64 v[25:26], v[25:26], s[6:7]
	s_delay_alu instid0(VALU_DEP_1)
	v_cvt_f32_f64_e32 v7, v[25:26]
	v_add_co_u32 v25, vcc_lo, v19, v12
	v_add_co_ci_u32_e32 v26, vcc_lo, v20, v13, vcc_lo
	v_add_co_u32 v16, vcc_lo, v16, v14
	v_add_co_ci_u32_e32 v17, vcc_lo, v17, v15, vcc_lo
	v_min_f32_e32 v7, v7, v21
	s_delay_alu instid0(VALU_DEP_1)
	v_cvt_f64_f32_e32 v[21:22], v7
	global_store_b64 v[25:26], v[21:22], off
	flat_load_b64 v[16:17], v[16:17]
	s_waitcnt vmcnt(0) lgkmcnt(0)
	v_mul_f64 v[16:17], v[16:17], s[6:7]
.LBB124_43:
	s_delay_alu instid0(VALU_DEP_1) | instskip(SKIP_3) | instid1(VALU_DEP_3)
	v_cvt_f32_f64_e32 v7, v[16:17]
	v_max_f32_e32 v16, v131, v131
	v_add_co_u32 v29, vcc_lo, v19, v14
	v_add_co_ci_u32_e32 v30, vcc_lo, v20, v15, vcc_lo
	v_min_f32_e32 v7, v7, v16
	s_delay_alu instid0(VALU_DEP_1) | instskip(SKIP_1) | instid1(VALU_DEP_1)
	v_cvt_f64_f32_e32 v[25:26], v7
	v_add_nc_u32_e32 v7, 32, v18
	v_mad_i64_i32 v[16:17], null, v7, s12, 0
	v_mad_i64_i32 v[21:22], null, v7, s11, 0
	s_delay_alu instid0(VALU_DEP_2) | instskip(SKIP_1) | instid1(VALU_DEP_3)
	v_lshlrev_b64 v[27:28], 3, v[16:17]
	v_max_f32_e32 v16, v193, v193
	v_lshlrev_b64 v[21:22], 3, v[21:22]
	s_delay_alu instid0(VALU_DEP_3) | instskip(NEXT) | instid1(VALU_DEP_4)
	v_add_co_u32 v19, vcc_lo, s3, v27
	v_add_co_ci_u32_e32 v20, vcc_lo, s8, v28, vcc_lo
	s_delay_alu instid0(VALU_DEP_3) | instskip(NEXT) | instid1(VALU_DEP_4)
	v_add_co_u32 v21, vcc_lo, s4, v21
	v_add_co_ci_u32_e32 v7, vcc_lo, s5, v22, vcc_lo
	s_mov_b32 vcc_lo, s2
	global_store_b64 v[29:30], v[25:26], off
	s_cbranch_vccz .LBB124_46
; %bb.44:
	v_min_f32_e32 v17, 0, v16
	v_add_co_u32 v27, vcc_lo, v19, v0
	v_add_co_ci_u32_e32 v28, vcc_lo, v20, v1, vcc_lo
	s_delay_alu instid0(VALU_DEP_3)
	v_cvt_f64_f32_e32 v[25:26], v17
	s_mov_b64 s[0:1], 0
	global_store_b64 v[27:28], v[25:26], off
	s_cbranch_execz .LBB124_47
; %bb.45:
	v_dual_mov_b32 v17, s1 :: v_dual_mov_b32 v16, s0
	s_branch .LBB124_48
.LBB124_46:
                                        ; implicit-def: $sgpr0_sgpr1
.LBB124_47:
	v_add_co_u32 v25, vcc_lo, v21, v0
	v_add_co_ci_u32_e32 v26, vcc_lo, v7, v1, vcc_lo
	flat_load_b64 v[25:26], v[25:26]
	s_waitcnt vmcnt(0) lgkmcnt(0)
	v_mul_f64 v[25:26], v[25:26], s[6:7]
	s_delay_alu instid0(VALU_DEP_1)
	v_cvt_f32_f64_e32 v17, v[25:26]
	v_add_co_u32 v25, vcc_lo, v19, v0
	v_add_co_ci_u32_e32 v26, vcc_lo, v20, v1, vcc_lo
	v_add_co_u32 v27, vcc_lo, v21, v2
	v_add_co_ci_u32_e32 v28, vcc_lo, v7, v3, vcc_lo
	v_min_f32_e32 v16, v17, v16
	s_delay_alu instid0(VALU_DEP_1)
	v_cvt_f64_f32_e32 v[16:17], v16
	global_store_b64 v[25:26], v[16:17], off
	flat_load_b64 v[16:17], v[27:28]
	s_waitcnt vmcnt(0) lgkmcnt(0)
	v_mul_f64 v[16:17], v[16:17], s[6:7]
.LBB124_48:
	s_delay_alu instid0(VALU_DEP_1) | instskip(SKIP_4) | instid1(VALU_DEP_3)
	v_cvt_f32_f64_e32 v16, v[16:17]
	v_max_f32_e32 v17, v129, v129
	v_add_co_u32 v27, vcc_lo, v19, v2
	v_add_co_ci_u32_e32 v28, vcc_lo, v20, v3, vcc_lo
	s_mov_b32 vcc_lo, s2
	v_min_f32_e32 v16, v16, v17
	s_delay_alu instid0(VALU_DEP_1)
	v_cvt_f64_f32_e32 v[25:26], v16
	v_max_f32_e32 v16, v235, v235
	global_store_b64 v[27:28], v[25:26], off
	s_cbranch_vccz .LBB124_51
; %bb.49:
	v_min_f32_e32 v17, 0, v16
	v_add_co_u32 v27, vcc_lo, v19, v4
	v_add_co_ci_u32_e32 v28, vcc_lo, v20, v5, vcc_lo
	s_delay_alu instid0(VALU_DEP_3)
	v_cvt_f64_f32_e32 v[25:26], v17
	s_mov_b64 s[0:1], 0
	global_store_b64 v[27:28], v[25:26], off
	s_cbranch_execz .LBB124_52
; %bb.50:
	v_dual_mov_b32 v17, s1 :: v_dual_mov_b32 v16, s0
	s_branch .LBB124_53
.LBB124_51:
                                        ; implicit-def: $sgpr0_sgpr1
.LBB124_52:
	v_add_co_u32 v25, vcc_lo, v21, v4
	v_add_co_ci_u32_e32 v26, vcc_lo, v7, v5, vcc_lo
	flat_load_b64 v[25:26], v[25:26]
	s_waitcnt vmcnt(0) lgkmcnt(0)
	v_mul_f64 v[25:26], v[25:26], s[6:7]
	s_delay_alu instid0(VALU_DEP_1)
	v_cvt_f32_f64_e32 v17, v[25:26]
	v_add_co_u32 v25, vcc_lo, v19, v4
	v_add_co_ci_u32_e32 v26, vcc_lo, v20, v5, vcc_lo
	v_add_co_u32 v27, vcc_lo, v21, v23
	v_add_co_ci_u32_e32 v28, vcc_lo, v7, v24, vcc_lo
	v_min_f32_e32 v16, v17, v16
	s_delay_alu instid0(VALU_DEP_1)
	v_cvt_f64_f32_e32 v[16:17], v16
	global_store_b64 v[25:26], v[16:17], off
	flat_load_b64 v[16:17], v[27:28]
	s_waitcnt vmcnt(0) lgkmcnt(0)
	v_mul_f64 v[16:17], v[16:17], s[6:7]
.LBB124_53:
	s_delay_alu instid0(VALU_DEP_1) | instskip(SKIP_4) | instid1(VALU_DEP_3)
	v_cvt_f32_f64_e32 v16, v[16:17]
	v_max_f32_e32 v17, v123, v123
	v_add_co_u32 v27, vcc_lo, v19, v23
	v_add_co_ci_u32_e32 v28, vcc_lo, v20, v24, vcc_lo
	s_mov_b32 vcc_lo, s2
	v_min_f32_e32 v16, v16, v17
	s_delay_alu instid0(VALU_DEP_1)
	v_cvt_f64_f32_e32 v[25:26], v16
	v_max_f32_e32 v16, v244, v244
	;; [unrolled: 46-line block ×3, first 2 shown]
	global_store_b64 v[27:28], v[25:26], off
	s_cbranch_vccz .LBB124_61
; %bb.59:
	v_min_f32_e32 v17, 0, v16
	v_add_co_u32 v27, vcc_lo, v19, v12
	v_add_co_ci_u32_e32 v28, vcc_lo, v20, v13, vcc_lo
	s_delay_alu instid0(VALU_DEP_3)
	v_cvt_f64_f32_e32 v[25:26], v17
	s_mov_b64 s[0:1], 0
	global_store_b64 v[27:28], v[25:26], off
	s_cbranch_execz .LBB124_62
; %bb.60:
	v_dual_mov_b32 v17, s1 :: v_dual_mov_b32 v16, s0
	s_branch .LBB124_63
.LBB124_61:
                                        ; implicit-def: $sgpr0_sgpr1
.LBB124_62:
	v_add_co_u32 v25, vcc_lo, v21, v12
	v_add_co_ci_u32_e32 v26, vcc_lo, v7, v13, vcc_lo
	flat_load_b64 v[25:26], v[25:26]
	s_waitcnt vmcnt(0) lgkmcnt(0)
	v_mul_f64 v[25:26], v[25:26], s[6:7]
	s_delay_alu instid0(VALU_DEP_1)
	v_cvt_f32_f64_e32 v17, v[25:26]
	v_add_co_u32 v25, vcc_lo, v19, v12
	v_add_co_ci_u32_e32 v26, vcc_lo, v20, v13, vcc_lo
	v_add_co_u32 v21, vcc_lo, v21, v14
	v_add_co_ci_u32_e32 v22, vcc_lo, v7, v15, vcc_lo
	v_min_f32_e32 v16, v17, v16
	s_delay_alu instid0(VALU_DEP_1)
	v_cvt_f64_f32_e32 v[16:17], v16
	global_store_b64 v[25:26], v[16:17], off
	flat_load_b64 v[16:17], v[21:22]
	s_waitcnt vmcnt(0) lgkmcnt(0)
	v_mul_f64 v[16:17], v[16:17], s[6:7]
.LBB124_63:
	s_delay_alu instid0(VALU_DEP_1) | instskip(SKIP_3) | instid1(VALU_DEP_3)
	v_cvt_f32_f64_e32 v7, v[16:17]
	v_max_f32_e32 v16, v248, v248
	v_add_co_u32 v29, vcc_lo, v19, v14
	v_add_co_ci_u32_e32 v30, vcc_lo, v20, v15, vcc_lo
	v_min_f32_e32 v7, v7, v16
	s_delay_alu instid0(VALU_DEP_1) | instskip(SKIP_1) | instid1(VALU_DEP_1)
	v_cvt_f64_f32_e32 v[25:26], v7
	v_add_nc_u32_e32 v7, 64, v18
	v_mad_i64_i32 v[16:17], null, v7, s12, 0
	v_mad_i64_i32 v[21:22], null, v7, s11, 0
	s_delay_alu instid0(VALU_DEP_2) | instskip(SKIP_1) | instid1(VALU_DEP_3)
	v_lshlrev_b64 v[27:28], 3, v[16:17]
	v_max_f32_e32 v16, v121, v121
	v_lshlrev_b64 v[21:22], 3, v[21:22]
	s_delay_alu instid0(VALU_DEP_3) | instskip(NEXT) | instid1(VALU_DEP_4)
	v_add_co_u32 v19, vcc_lo, s3, v27
	v_add_co_ci_u32_e32 v20, vcc_lo, s8, v28, vcc_lo
	s_delay_alu instid0(VALU_DEP_3) | instskip(NEXT) | instid1(VALU_DEP_4)
	v_add_co_u32 v21, vcc_lo, s4, v21
	v_add_co_ci_u32_e32 v7, vcc_lo, s5, v22, vcc_lo
	s_mov_b32 vcc_lo, s2
	global_store_b64 v[29:30], v[25:26], off
	s_cbranch_vccz .LBB124_66
; %bb.64:
	v_min_f32_e32 v17, 0, v16
	v_add_co_u32 v27, vcc_lo, v19, v0
	v_add_co_ci_u32_e32 v28, vcc_lo, v20, v1, vcc_lo
	s_delay_alu instid0(VALU_DEP_3)
	v_cvt_f64_f32_e32 v[25:26], v17
	s_mov_b64 s[0:1], 0
	global_store_b64 v[27:28], v[25:26], off
	s_cbranch_execz .LBB124_67
; %bb.65:
	v_dual_mov_b32 v17, s1 :: v_dual_mov_b32 v16, s0
	s_branch .LBB124_68
.LBB124_66:
                                        ; implicit-def: $sgpr0_sgpr1
.LBB124_67:
	v_add_co_u32 v25, vcc_lo, v21, v0
	v_add_co_ci_u32_e32 v26, vcc_lo, v7, v1, vcc_lo
	flat_load_b64 v[25:26], v[25:26]
	s_waitcnt vmcnt(0) lgkmcnt(0)
	v_mul_f64 v[25:26], v[25:26], s[6:7]
	s_delay_alu instid0(VALU_DEP_1)
	v_cvt_f32_f64_e32 v17, v[25:26]
	v_add_co_u32 v25, vcc_lo, v19, v0
	v_add_co_ci_u32_e32 v26, vcc_lo, v20, v1, vcc_lo
	v_add_co_u32 v27, vcc_lo, v21, v2
	v_add_co_ci_u32_e32 v28, vcc_lo, v7, v3, vcc_lo
	v_min_f32_e32 v16, v17, v16
	s_delay_alu instid0(VALU_DEP_1)
	v_cvt_f64_f32_e32 v[16:17], v16
	global_store_b64 v[25:26], v[16:17], off
	flat_load_b64 v[16:17], v[27:28]
	s_waitcnt vmcnt(0) lgkmcnt(0)
	v_mul_f64 v[16:17], v[16:17], s[6:7]
.LBB124_68:
	s_delay_alu instid0(VALU_DEP_1) | instskip(SKIP_4) | instid1(VALU_DEP_3)
	v_cvt_f32_f64_e32 v16, v[16:17]
	v_max_f32_e32 v17, v108, v108
	v_add_co_u32 v27, vcc_lo, v19, v2
	v_add_co_ci_u32_e32 v28, vcc_lo, v20, v3, vcc_lo
	s_mov_b32 vcc_lo, s2
	v_min_f32_e32 v16, v16, v17
	s_delay_alu instid0(VALU_DEP_1)
	v_cvt_f64_f32_e32 v[25:26], v16
	v_max_f32_e32 v16, v99, v99
	global_store_b64 v[27:28], v[25:26], off
	s_cbranch_vccz .LBB124_71
; %bb.69:
	v_min_f32_e32 v6, 0, v16
	v_add_co_u32 v27, vcc_lo, v19, v4
	v_add_co_ci_u32_e32 v28, vcc_lo, v20, v5, vcc_lo
	s_delay_alu instid0(VALU_DEP_3)
	v_cvt_f64_f32_e32 v[25:26], v6
	s_mov_b64 s[0:1], 0
	global_store_b64 v[27:28], v[25:26], off
	s_cbranch_execz .LBB124_72
; %bb.70:
	v_dual_mov_b32 v17, s1 :: v_dual_mov_b32 v16, s0
	s_branch .LBB124_73
.LBB124_71:
                                        ; implicit-def: $sgpr0_sgpr1
.LBB124_72:
	v_add_co_u32 v25, vcc_lo, v21, v4
	v_add_co_ci_u32_e32 v26, vcc_lo, v7, v5, vcc_lo
	flat_load_b64 v[25:26], v[25:26]
	s_waitcnt vmcnt(0) lgkmcnt(0)
	v_mul_f64 v[25:26], v[25:26], s[6:7]
	s_delay_alu instid0(VALU_DEP_1)
	v_cvt_f32_f64_e32 v6, v[25:26]
	v_add_co_u32 v25, vcc_lo, v19, v4
	v_add_co_ci_u32_e32 v26, vcc_lo, v20, v5, vcc_lo
	v_add_co_u32 v27, vcc_lo, v21, v23
	v_add_co_ci_u32_e32 v28, vcc_lo, v7, v24, vcc_lo
	v_min_f32_e32 v6, v6, v16
	s_delay_alu instid0(VALU_DEP_1)
	v_cvt_f64_f32_e32 v[16:17], v6
	global_store_b64 v[25:26], v[16:17], off
	flat_load_b64 v[16:17], v[27:28]
	s_waitcnt vmcnt(0) lgkmcnt(0)
	v_mul_f64 v[16:17], v[16:17], s[6:7]
.LBB124_73:
	s_delay_alu instid0(VALU_DEP_1) | instskip(SKIP_4) | instid1(VALU_DEP_3)
	v_cvt_f32_f64_e32 v6, v[16:17]
	v_max_f32_e32 v16, v98, v98
	v_add_co_u32 v27, vcc_lo, v19, v23
	v_add_co_ci_u32_e32 v28, vcc_lo, v20, v24, vcc_lo
	s_mov_b32 vcc_lo, s2
	v_min_f32_e32 v6, v6, v16
	v_max_f32_e32 v16, v113, v113
	s_delay_alu instid0(VALU_DEP_2)
	v_cvt_f64_f32_e32 v[25:26], v6
	global_store_b64 v[27:28], v[25:26], off
	s_cbranch_vccz .LBB124_76
; %bb.74:
	v_min_f32_e32 v6, 0, v16
	v_add_co_u32 v27, vcc_lo, v19, v8
	v_add_co_ci_u32_e32 v28, vcc_lo, v20, v9, vcc_lo
	s_delay_alu instid0(VALU_DEP_3)
	v_cvt_f64_f32_e32 v[25:26], v6
	s_mov_b64 s[0:1], 0
	global_store_b64 v[27:28], v[25:26], off
	s_cbranch_execz .LBB124_77
; %bb.75:
	v_dual_mov_b32 v17, s1 :: v_dual_mov_b32 v16, s0
	s_branch .LBB124_78
.LBB124_76:
                                        ; implicit-def: $sgpr0_sgpr1
.LBB124_77:
	v_add_co_u32 v25, vcc_lo, v21, v8
	v_add_co_ci_u32_e32 v26, vcc_lo, v7, v9, vcc_lo
	flat_load_b64 v[25:26], v[25:26]
	s_waitcnt vmcnt(0) lgkmcnt(0)
	v_mul_f64 v[25:26], v[25:26], s[6:7]
	s_delay_alu instid0(VALU_DEP_1)
	v_cvt_f32_f64_e32 v6, v[25:26]
	v_add_co_u32 v25, vcc_lo, v19, v8
	v_add_co_ci_u32_e32 v26, vcc_lo, v20, v9, vcc_lo
	v_add_co_u32 v27, vcc_lo, v21, v10
	v_add_co_ci_u32_e32 v28, vcc_lo, v7, v11, vcc_lo
	v_min_f32_e32 v6, v6, v16
	s_delay_alu instid0(VALU_DEP_1)
	v_cvt_f64_f32_e32 v[16:17], v6
	global_store_b64 v[25:26], v[16:17], off
	flat_load_b64 v[16:17], v[27:28]
	s_waitcnt vmcnt(0) lgkmcnt(0)
	v_mul_f64 v[16:17], v[16:17], s[6:7]
.LBB124_78:
	s_delay_alu instid0(VALU_DEP_1) | instskip(SKIP_4) | instid1(VALU_DEP_3)
	v_cvt_f32_f64_e32 v6, v[16:17]
	v_max_f32_e32 v16, v112, v112
	v_add_co_u32 v27, vcc_lo, v19, v10
	v_add_co_ci_u32_e32 v28, vcc_lo, v20, v11, vcc_lo
	s_mov_b32 vcc_lo, s2
	v_min_f32_e32 v6, v6, v16
	v_max_f32_e32 v16, v103, v103
	s_delay_alu instid0(VALU_DEP_2)
	v_cvt_f64_f32_e32 v[25:26], v6
	global_store_b64 v[27:28], v[25:26], off
	s_cbranch_vccz .LBB124_81
; %bb.79:
	v_min_f32_e32 v6, 0, v16
	v_add_co_u32 v27, vcc_lo, v19, v12
	v_add_co_ci_u32_e32 v28, vcc_lo, v20, v13, vcc_lo
	s_delay_alu instid0(VALU_DEP_3)
	v_cvt_f64_f32_e32 v[25:26], v6
	s_mov_b64 s[0:1], 0
	global_store_b64 v[27:28], v[25:26], off
	s_cbranch_execz .LBB124_82
; %bb.80:
	v_dual_mov_b32 v17, s1 :: v_dual_mov_b32 v16, s0
	s_branch .LBB124_83
.LBB124_81:
                                        ; implicit-def: $sgpr0_sgpr1
.LBB124_82:
	v_add_co_u32 v25, vcc_lo, v21, v12
	v_add_co_ci_u32_e32 v26, vcc_lo, v7, v13, vcc_lo
	flat_load_b64 v[25:26], v[25:26]
	s_waitcnt vmcnt(0) lgkmcnt(0)
	v_mul_f64 v[25:26], v[25:26], s[6:7]
	s_delay_alu instid0(VALU_DEP_1) | instskip(SKIP_2) | instid1(VALU_DEP_3)
	v_cvt_f32_f64_e32 v6, v[25:26]
	v_add_co_u32 v25, vcc_lo, v19, v12
	v_add_co_ci_u32_e32 v26, vcc_lo, v20, v13, vcc_lo
	v_min_f32_e32 v6, v6, v16
	s_delay_alu instid0(VALU_DEP_1)
	v_cvt_f64_f32_e32 v[16:17], v6
	v_add_co_u32 v6, vcc_lo, v21, v14
	v_add_co_ci_u32_e32 v7, vcc_lo, v7, v15, vcc_lo
	global_store_b64 v[25:26], v[16:17], off
	flat_load_b64 v[6:7], v[6:7]
	s_waitcnt vmcnt(0) lgkmcnt(0)
	v_mul_f64 v[16:17], v[6:7], s[6:7]
.LBB124_83:
	s_delay_alu instid0(VALU_DEP_1) | instskip(SKIP_4) | instid1(VALU_DEP_3)
	v_cvt_f32_f64_e32 v6, v[16:17]
	v_max_f32_e32 v7, v102, v102
	v_add_nc_u32_e32 v16, 0x60, v18
	v_add_co_u32 v27, vcc_lo, v19, v14
	v_add_co_ci_u32_e32 v28, vcc_lo, v20, v15, vcc_lo
	v_mad_i64_i32 v[21:22], null, v16, s11, 0
	s_delay_alu instid0(VALU_DEP_1) | instskip(SKIP_1) | instid1(VALU_DEP_1)
	v_lshlrev_b64 v[21:22], 3, v[21:22]
	v_min_f32_e32 v6, v6, v7
	v_cvt_f64_f32_e32 v[25:26], v6
	v_mad_i64_i32 v[6:7], null, v16, s12, 0
	v_max_f32_e32 v16, v43, v43
	s_delay_alu instid0(VALU_DEP_2) | instskip(NEXT) | instid1(VALU_DEP_1)
	v_lshlrev_b64 v[6:7], 3, v[6:7]
	v_add_co_u32 v19, vcc_lo, s3, v6
	s_delay_alu instid0(VALU_DEP_2)
	v_add_co_ci_u32_e32 v20, vcc_lo, s8, v7, vcc_lo
	v_add_co_u32 v21, vcc_lo, s4, v21
	v_add_co_ci_u32_e32 v7, vcc_lo, s5, v22, vcc_lo
	s_mov_b32 vcc_lo, s2
	global_store_b64 v[27:28], v[25:26], off
	s_cbranch_vccz .LBB124_86
; %bb.84:
	v_min_f32_e32 v6, 0, v16
	v_add_co_u32 v27, vcc_lo, v19, v0
	v_add_co_ci_u32_e32 v28, vcc_lo, v20, v1, vcc_lo
	s_delay_alu instid0(VALU_DEP_3)
	v_cvt_f64_f32_e32 v[25:26], v6
	s_mov_b64 s[0:1], 0
	global_store_b64 v[27:28], v[25:26], off
	s_cbranch_execz .LBB124_87
; %bb.85:
	v_dual_mov_b32 v17, s1 :: v_dual_mov_b32 v16, s0
	s_branch .LBB124_88
.LBB124_86:
                                        ; implicit-def: $sgpr0_sgpr1
.LBB124_87:
	v_add_co_u32 v25, vcc_lo, v21, v0
	v_add_co_ci_u32_e32 v26, vcc_lo, v7, v1, vcc_lo
	flat_load_b64 v[25:26], v[25:26]
	s_waitcnt vmcnt(0) lgkmcnt(0)
	v_mul_f64 v[25:26], v[25:26], s[6:7]
	s_delay_alu instid0(VALU_DEP_1)
	v_cvt_f32_f64_e32 v6, v[25:26]
	v_add_co_u32 v25, vcc_lo, v19, v0
	v_add_co_ci_u32_e32 v26, vcc_lo, v20, v1, vcc_lo
	v_add_co_u32 v27, vcc_lo, v21, v2
	v_add_co_ci_u32_e32 v28, vcc_lo, v7, v3, vcc_lo
	v_min_f32_e32 v6, v6, v16
	s_delay_alu instid0(VALU_DEP_1)
	v_cvt_f64_f32_e32 v[16:17], v6
	global_store_b64 v[25:26], v[16:17], off
	flat_load_b64 v[16:17], v[27:28]
	s_waitcnt vmcnt(0) lgkmcnt(0)
	v_mul_f64 v[16:17], v[16:17], s[6:7]
.LBB124_88:
	s_delay_alu instid0(VALU_DEP_1) | instskip(SKIP_4) | instid1(VALU_DEP_3)
	v_cvt_f32_f64_e32 v6, v[16:17]
	v_max_f32_e32 v16, v106, v106
	v_add_co_u32 v27, vcc_lo, v19, v2
	v_add_co_ci_u32_e32 v28, vcc_lo, v20, v3, vcc_lo
	s_mov_b32 vcc_lo, s2
	v_min_f32_e32 v6, v6, v16
	v_max_f32_e32 v16, v41, v41
	s_delay_alu instid0(VALU_DEP_2)
	v_cvt_f64_f32_e32 v[25:26], v6
	global_store_b64 v[27:28], v[25:26], off
	s_cbranch_vccz .LBB124_91
; %bb.89:
	v_min_f32_e32 v6, 0, v16
	v_add_co_u32 v27, vcc_lo, v19, v4
	v_add_co_ci_u32_e32 v28, vcc_lo, v20, v5, vcc_lo
	s_delay_alu instid0(VALU_DEP_3)
	v_cvt_f64_f32_e32 v[25:26], v6
	s_mov_b64 s[0:1], 0
	global_store_b64 v[27:28], v[25:26], off
	s_cbranch_execz .LBB124_92
; %bb.90:
	v_dual_mov_b32 v17, s1 :: v_dual_mov_b32 v16, s0
	s_branch .LBB124_93
.LBB124_91:
                                        ; implicit-def: $sgpr0_sgpr1
.LBB124_92:
	v_add_co_u32 v25, vcc_lo, v21, v4
	v_add_co_ci_u32_e32 v26, vcc_lo, v7, v5, vcc_lo
	flat_load_b64 v[25:26], v[25:26]
	s_waitcnt vmcnt(0) lgkmcnt(0)
	v_mul_f64 v[25:26], v[25:26], s[6:7]
	s_delay_alu instid0(VALU_DEP_1)
	v_cvt_f32_f64_e32 v6, v[25:26]
	v_add_co_u32 v25, vcc_lo, v19, v4
	v_add_co_ci_u32_e32 v26, vcc_lo, v20, v5, vcc_lo
	v_add_co_u32 v27, vcc_lo, v21, v23
	v_add_co_ci_u32_e32 v28, vcc_lo, v7, v24, vcc_lo
	v_min_f32_e32 v6, v6, v16
	s_delay_alu instid0(VALU_DEP_1)
	v_cvt_f64_f32_e32 v[16:17], v6
	global_store_b64 v[25:26], v[16:17], off
	flat_load_b64 v[16:17], v[27:28]
	s_waitcnt vmcnt(0) lgkmcnt(0)
	v_mul_f64 v[16:17], v[16:17], s[6:7]
.LBB124_93:
	s_delay_alu instid0(VALU_DEP_1) | instskip(SKIP_4) | instid1(VALU_DEP_3)
	v_cvt_f32_f64_e32 v6, v[16:17]
	v_max_f32_e32 v16, v110, v110
	v_add_co_u32 v27, vcc_lo, v19, v23
	v_add_co_ci_u32_e32 v28, vcc_lo, v20, v24, vcc_lo
	s_mov_b32 vcc_lo, s2
	v_min_f32_e32 v6, v6, v16
	v_max_f32_e32 v16, v39, v39
	s_delay_alu instid0(VALU_DEP_2)
	v_cvt_f64_f32_e32 v[25:26], v6
	;; [unrolled: 46-line block ×3, first 2 shown]
	global_store_b64 v[27:28], v[25:26], off
	s_cbranch_vccz .LBB124_101
; %bb.99:
	v_min_f32_e32 v6, 0, v16
	v_add_co_u32 v27, vcc_lo, v19, v12
	v_add_co_ci_u32_e32 v28, vcc_lo, v20, v13, vcc_lo
	s_delay_alu instid0(VALU_DEP_3)
	v_cvt_f64_f32_e32 v[25:26], v6
	s_mov_b64 s[0:1], 0
	global_store_b64 v[27:28], v[25:26], off
	s_cbranch_execz .LBB124_102
; %bb.100:
	v_dual_mov_b32 v17, s1 :: v_dual_mov_b32 v16, s0
	s_branch .LBB124_103
.LBB124_101:
                                        ; implicit-def: $sgpr0_sgpr1
.LBB124_102:
	v_add_co_u32 v25, vcc_lo, v21, v12
	v_add_co_ci_u32_e32 v26, vcc_lo, v7, v13, vcc_lo
	flat_load_b64 v[25:26], v[25:26]
	s_waitcnt vmcnt(0) lgkmcnt(0)
	v_mul_f64 v[25:26], v[25:26], s[6:7]
	s_delay_alu instid0(VALU_DEP_1) | instskip(SKIP_2) | instid1(VALU_DEP_3)
	v_cvt_f32_f64_e32 v6, v[25:26]
	v_add_co_u32 v25, vcc_lo, v19, v12
	v_add_co_ci_u32_e32 v26, vcc_lo, v20, v13, vcc_lo
	v_min_f32_e32 v6, v6, v16
	s_delay_alu instid0(VALU_DEP_1)
	v_cvt_f64_f32_e32 v[16:17], v6
	v_add_co_u32 v6, vcc_lo, v21, v14
	v_add_co_ci_u32_e32 v7, vcc_lo, v7, v15, vcc_lo
	global_store_b64 v[25:26], v[16:17], off
	flat_load_b64 v[6:7], v[6:7]
	s_waitcnt vmcnt(0) lgkmcnt(0)
	v_mul_f64 v[16:17], v[6:7], s[6:7]
.LBB124_103:
	s_delay_alu instid0(VALU_DEP_1) | instskip(SKIP_4) | instid1(VALU_DEP_1)
	v_cvt_f32_f64_e32 v6, v[16:17]
	v_max_f32_e32 v7, v36, v36
	v_add_co_u32 v27, vcc_lo, v19, v14
	v_add_co_ci_u32_e32 v28, vcc_lo, v20, v15, vcc_lo
	v_add_nc_u32_e32 v25, 0x80, v18
	v_mad_i64_i32 v[16:17], null, v25, s12, 0
	v_mad_i64_i32 v[21:22], null, v25, s11, 0
	s_delay_alu instid0(VALU_DEP_2) | instskip(SKIP_1) | instid1(VALU_DEP_3)
	v_lshlrev_b64 v[25:26], 3, v[16:17]
	v_max_f32_e32 v16, v56, v56
	v_lshlrev_b64 v[21:22], 3, v[21:22]
	s_delay_alu instid0(VALU_DEP_3) | instskip(NEXT) | instid1(VALU_DEP_4)
	v_add_co_u32 v19, vcc_lo, s3, v25
	v_add_co_ci_u32_e32 v20, vcc_lo, s8, v26, vcc_lo
	s_delay_alu instid0(VALU_DEP_3) | instskip(NEXT) | instid1(VALU_DEP_4)
	v_add_co_u32 v21, vcc_lo, s4, v21
	v_add_co_ci_u32_e32 v22, vcc_lo, s5, v22, vcc_lo
	s_mov_b32 vcc_lo, s2
	v_min_f32_e32 v6, v6, v7
	s_delay_alu instid0(VALU_DEP_1)
	v_cvt_f64_f32_e32 v[6:7], v6
	global_store_b64 v[27:28], v[6:7], off
	s_cbranch_vccz .LBB124_106
; %bb.104:
	v_min_f32_e32 v6, 0, v16
	v_add_co_u32 v25, vcc_lo, v19, v0
	v_add_co_ci_u32_e32 v26, vcc_lo, v20, v1, vcc_lo
	s_delay_alu instid0(VALU_DEP_3)
	v_cvt_f64_f32_e32 v[6:7], v6
	s_mov_b64 s[0:1], 0
	global_store_b64 v[25:26], v[6:7], off
	s_cbranch_execz .LBB124_107
; %bb.105:
	v_dual_mov_b32 v17, s1 :: v_dual_mov_b32 v16, s0
	s_branch .LBB124_108
.LBB124_106:
                                        ; implicit-def: $sgpr0_sgpr1
.LBB124_107:
	v_add_co_u32 v6, vcc_lo, v21, v0
	v_add_co_ci_u32_e32 v7, vcc_lo, v22, v1, vcc_lo
	flat_load_b64 v[6:7], v[6:7]
	s_waitcnt vmcnt(0) lgkmcnt(0)
	v_mul_f64 v[6:7], v[6:7], s[6:7]
	s_delay_alu instid0(VALU_DEP_1) | instskip(NEXT) | instid1(VALU_DEP_1)
	v_cvt_f32_f64_e32 v6, v[6:7]
	v_min_f32_e32 v6, v6, v16
	v_add_co_u32 v16, vcc_lo, v19, v0
	v_add_co_ci_u32_e32 v17, vcc_lo, v20, v1, vcc_lo
	s_delay_alu instid0(VALU_DEP_3)
	v_cvt_f64_f32_e32 v[6:7], v6
	v_add_co_u32 v25, vcc_lo, v21, v2
	v_add_co_ci_u32_e32 v26, vcc_lo, v22, v3, vcc_lo
	global_store_b64 v[16:17], v[6:7], off
	flat_load_b64 v[6:7], v[25:26]
	s_waitcnt vmcnt(0) lgkmcnt(0)
	v_mul_f64 v[16:17], v[6:7], s[6:7]
.LBB124_108:
	s_delay_alu instid0(VALU_DEP_1) | instskip(SKIP_4) | instid1(VALU_DEP_3)
	v_cvt_f32_f64_e32 v6, v[16:17]
	v_dual_max_f32 v7, v136, v136 :: v_dual_max_f32 v16, v134, v134
	v_add_co_u32 v25, vcc_lo, v19, v2
	v_add_co_ci_u32_e32 v26, vcc_lo, v20, v3, vcc_lo
	s_mov_b32 vcc_lo, s2
	v_min_f32_e32 v6, v6, v7
	s_delay_alu instid0(VALU_DEP_1)
	v_cvt_f64_f32_e32 v[6:7], v6
	global_store_b64 v[25:26], v[6:7], off
	s_cbranch_vccz .LBB124_111
; %bb.109:
	v_min_f32_e32 v6, 0, v16
	v_add_co_u32 v25, vcc_lo, v19, v4
	v_add_co_ci_u32_e32 v26, vcc_lo, v20, v5, vcc_lo
	s_delay_alu instid0(VALU_DEP_3)
	v_cvt_f64_f32_e32 v[6:7], v6
	s_mov_b64 s[0:1], 0
	global_store_b64 v[25:26], v[6:7], off
	s_cbranch_execz .LBB124_112
; %bb.110:
	v_dual_mov_b32 v17, s1 :: v_dual_mov_b32 v16, s0
	s_branch .LBB124_113
.LBB124_111:
                                        ; implicit-def: $sgpr0_sgpr1
.LBB124_112:
	v_add_co_u32 v6, vcc_lo, v21, v4
	v_add_co_ci_u32_e32 v7, vcc_lo, v22, v5, vcc_lo
	flat_load_b64 v[6:7], v[6:7]
	s_waitcnt vmcnt(0) lgkmcnt(0)
	v_mul_f64 v[6:7], v[6:7], s[6:7]
	s_delay_alu instid0(VALU_DEP_1) | instskip(NEXT) | instid1(VALU_DEP_1)
	v_cvt_f32_f64_e32 v6, v[6:7]
	v_min_f32_e32 v6, v6, v16
	v_add_co_u32 v16, vcc_lo, v19, v4
	v_add_co_ci_u32_e32 v17, vcc_lo, v20, v5, vcc_lo
	s_delay_alu instid0(VALU_DEP_3)
	v_cvt_f64_f32_e32 v[6:7], v6
	v_add_co_u32 v25, vcc_lo, v21, v23
	v_add_co_ci_u32_e32 v26, vcc_lo, v22, v24, vcc_lo
	global_store_b64 v[16:17], v[6:7], off
	flat_load_b64 v[6:7], v[25:26]
	s_waitcnt vmcnt(0) lgkmcnt(0)
	v_mul_f64 v[16:17], v[6:7], s[6:7]
.LBB124_113:
	s_delay_alu instid0(VALU_DEP_1) | instskip(SKIP_4) | instid1(VALU_DEP_3)
	v_cvt_f32_f64_e32 v6, v[16:17]
	v_dual_max_f32 v7, v133, v133 :: v_dual_max_f32 v16, v199, v199
	;; [unrolled: 45-line block ×3, first 2 shown]
	v_add_co_u32 v25, vcc_lo, v19, v10
	v_add_co_ci_u32_e32 v26, vcc_lo, v20, v11, vcc_lo
	s_mov_b32 vcc_lo, s2
	v_min_f32_e32 v6, v6, v7
	s_delay_alu instid0(VALU_DEP_1)
	v_cvt_f64_f32_e32 v[6:7], v6
	global_store_b64 v[25:26], v[6:7], off
	s_cbranch_vccz .LBB124_121
; %bb.119:
	v_min_f32_e32 v6, 0, v16
	v_add_co_u32 v25, vcc_lo, v19, v12
	v_add_co_ci_u32_e32 v26, vcc_lo, v20, v13, vcc_lo
	s_delay_alu instid0(VALU_DEP_3)
	v_cvt_f64_f32_e32 v[6:7], v6
	s_mov_b64 s[0:1], 0
	global_store_b64 v[25:26], v[6:7], off
	s_cbranch_execz .LBB124_122
; %bb.120:
	v_dual_mov_b32 v17, s1 :: v_dual_mov_b32 v16, s0
	s_branch .LBB124_123
.LBB124_121:
                                        ; implicit-def: $sgpr0_sgpr1
.LBB124_122:
	v_add_co_u32 v6, vcc_lo, v21, v12
	v_add_co_ci_u32_e32 v7, vcc_lo, v22, v13, vcc_lo
	flat_load_b64 v[6:7], v[6:7]
	s_waitcnt vmcnt(0) lgkmcnt(0)
	v_mul_f64 v[6:7], v[6:7], s[6:7]
	s_delay_alu instid0(VALU_DEP_1) | instskip(NEXT) | instid1(VALU_DEP_1)
	v_cvt_f32_f64_e32 v6, v[6:7]
	v_min_f32_e32 v6, v6, v16
	v_add_co_u32 v16, vcc_lo, v19, v12
	v_add_co_ci_u32_e32 v17, vcc_lo, v20, v13, vcc_lo
	s_delay_alu instid0(VALU_DEP_3)
	v_cvt_f64_f32_e32 v[6:7], v6
	v_add_co_u32 v21, vcc_lo, v21, v14
	v_add_co_ci_u32_e32 v22, vcc_lo, v22, v15, vcc_lo
	global_store_b64 v[16:17], v[6:7], off
	flat_load_b64 v[6:7], v[21:22]
	s_waitcnt vmcnt(0) lgkmcnt(0)
	v_mul_f64 v[16:17], v[6:7], s[6:7]
.LBB124_123:
	v_add_nc_u32_e32 v25, 0xa0, v18
	s_delay_alu instid0(VALU_DEP_2) | instskip(SKIP_2) | instid1(VALU_DEP_4)
	v_cvt_f32_f64_e32 v6, v[16:17]
	v_add_co_u32 v27, vcc_lo, v19, v14
	v_add_co_ci_u32_e32 v28, vcc_lo, v20, v15, vcc_lo
	v_mad_i64_i32 v[16:17], null, v25, s12, 0
	v_mad_i64_i32 v[21:22], null, v25, s11, 0
	s_delay_alu instid0(VALU_DEP_2)
	v_lshlrev_b64 v[25:26], 3, v[16:17]
	scratch_load_b32 v16, off, off offset:16 ; 4-byte Folded Reload
	v_max_f32_e32 v7, v218, v218
	v_lshlrev_b64 v[21:22], 3, v[21:22]
	v_add_co_u32 v19, vcc_lo, s3, v25
	v_add_co_ci_u32_e32 v20, vcc_lo, s8, v26, vcc_lo
	s_delay_alu instid0(VALU_DEP_3) | instskip(NEXT) | instid1(VALU_DEP_4)
	v_add_co_u32 v21, vcc_lo, s4, v21
	v_add_co_ci_u32_e32 v22, vcc_lo, s5, v22, vcc_lo
	s_mov_b32 vcc_lo, s2
	s_waitcnt vmcnt(0)
	v_max_f32_e32 v16, v16, v16
	v_min_f32_e32 v6, v6, v7
	s_delay_alu instid0(VALU_DEP_1)
	v_cvt_f64_f32_e32 v[6:7], v6
	global_store_b64 v[27:28], v[6:7], off
	s_cbranch_vccz .LBB124_126
; %bb.124:
	v_min_f32_e32 v6, 0, v16
	v_add_co_u32 v25, vcc_lo, v19, v0
	v_add_co_ci_u32_e32 v26, vcc_lo, v20, v1, vcc_lo
	s_delay_alu instid0(VALU_DEP_3)
	v_cvt_f64_f32_e32 v[6:7], v6
	s_mov_b64 s[0:1], 0
	global_store_b64 v[25:26], v[6:7], off
	s_cbranch_execz .LBB124_127
; %bb.125:
	v_dual_mov_b32 v17, s1 :: v_dual_mov_b32 v16, s0
	s_branch .LBB124_128
.LBB124_126:
                                        ; implicit-def: $sgpr0_sgpr1
.LBB124_127:
	v_add_co_u32 v6, vcc_lo, v21, v0
	v_add_co_ci_u32_e32 v7, vcc_lo, v22, v1, vcc_lo
	flat_load_b64 v[6:7], v[6:7]
	s_waitcnt vmcnt(0) lgkmcnt(0)
	v_mul_f64 v[6:7], v[6:7], s[6:7]
	s_delay_alu instid0(VALU_DEP_1) | instskip(NEXT) | instid1(VALU_DEP_1)
	v_cvt_f32_f64_e32 v6, v[6:7]
	v_min_f32_e32 v6, v6, v16
	v_add_co_u32 v16, vcc_lo, v19, v0
	v_add_co_ci_u32_e32 v17, vcc_lo, v20, v1, vcc_lo
	s_delay_alu instid0(VALU_DEP_3)
	v_cvt_f64_f32_e32 v[6:7], v6
	v_add_co_u32 v25, vcc_lo, v21, v2
	v_add_co_ci_u32_e32 v26, vcc_lo, v22, v3, vcc_lo
	global_store_b64 v[16:17], v[6:7], off
	flat_load_b64 v[6:7], v[25:26]
	s_waitcnt vmcnt(0) lgkmcnt(0)
	v_mul_f64 v[16:17], v[6:7], s[6:7]
.LBB124_128:
	s_delay_alu instid0(VALU_DEP_1) | instskip(SKIP_4) | instid1(VALU_DEP_3)
	v_cvt_f32_f64_e32 v6, v[16:17]
	v_dual_max_f32 v7, v138, v138 :: v_dual_max_f32 v16, v31, v31
	v_add_co_u32 v25, vcc_lo, v19, v2
	v_add_co_ci_u32_e32 v26, vcc_lo, v20, v3, vcc_lo
	s_mov_b32 vcc_lo, s2
	v_min_f32_e32 v6, v6, v7
	s_delay_alu instid0(VALU_DEP_1)
	v_cvt_f64_f32_e32 v[6:7], v6
	global_store_b64 v[25:26], v[6:7], off
	s_cbranch_vccz .LBB124_131
; %bb.129:
	v_min_f32_e32 v6, 0, v16
	v_add_co_u32 v25, vcc_lo, v19, v4
	v_add_co_ci_u32_e32 v26, vcc_lo, v20, v5, vcc_lo
	s_delay_alu instid0(VALU_DEP_3)
	v_cvt_f64_f32_e32 v[6:7], v6
	s_mov_b32 s0, 0
	global_store_b64 v[25:26], v[6:7], off
	s_cbranch_execz .LBB124_132
; %bb.130:
	v_mov_b32_e32 v16, s0
	s_branch .LBB124_133
.LBB124_131:
	s_mov_b32 s0, -1
.LBB124_132:
	v_add_co_u32 v6, vcc_lo, v21, v4
	v_add_co_ci_u32_e32 v7, vcc_lo, v22, v5, vcc_lo
	flat_load_b64 v[6:7], v[6:7]
	s_waitcnt vmcnt(0) lgkmcnt(0)
	v_mul_f64 v[6:7], v[6:7], s[6:7]
	s_delay_alu instid0(VALU_DEP_1) | instskip(NEXT) | instid1(VALU_DEP_1)
	v_cvt_f32_f64_e32 v6, v[6:7]
	v_min_f32_e32 v6, v6, v16
	v_add_co_u32 v16, vcc_lo, v19, v4
	v_add_co_ci_u32_e32 v17, vcc_lo, v20, v5, vcc_lo
	s_delay_alu instid0(VALU_DEP_3)
	v_cvt_f64_f32_e32 v[6:7], v6
	v_add_co_u32 v25, vcc_lo, v21, v23
	v_add_co_ci_u32_e32 v26, vcc_lo, v22, v24, vcc_lo
	global_store_b64 v[16:17], v[6:7], off
	flat_load_b64 v[6:7], v[25:26]
	s_waitcnt vmcnt(0) lgkmcnt(0)
	v_mul_f64 v[6:7], v[6:7], s[6:7]
	s_delay_alu instid0(VALU_DEP_1)
	v_cvt_f32_f64_e32 v16, v[6:7]
.LBB124_133:
	s_delay_alu instid0(VALU_DEP_1) | instskip(SKIP_2) | instid1(VALU_DEP_3)
	v_dual_max_f32 v6, v135, v135 :: v_dual_max_f32 v7, v16, v16
	v_add_co_u32 v25, vcc_lo, v19, v23
	v_add_co_ci_u32_e32 v26, vcc_lo, v20, v24, vcc_lo
	v_min_f32_e32 v6, v7, v6
	v_max_f32_e32 v16, v77, v77
	s_mov_b32 vcc_lo, s2
	s_delay_alu instid0(VALU_DEP_2)
	v_cvt_f64_f32_e32 v[6:7], v6
	global_store_b64 v[25:26], v[6:7], off
	s_cbranch_vccz .LBB124_136
; %bb.134:
	v_min_f32_e32 v6, 0, v16
	v_add_co_u32 v25, vcc_lo, v19, v8
	v_add_co_ci_u32_e32 v26, vcc_lo, v20, v9, vcc_lo
	s_delay_alu instid0(VALU_DEP_3)
	v_cvt_f64_f32_e32 v[6:7], v6
	s_mov_b32 s0, 0
	global_store_b64 v[25:26], v[6:7], off
	s_cbranch_execz .LBB124_137
; %bb.135:
	v_mov_b32_e32 v16, s0
	s_branch .LBB124_138
.LBB124_136:
	s_mov_b32 s0, -1
.LBB124_137:
	v_add_co_u32 v6, vcc_lo, v21, v8
	v_add_co_ci_u32_e32 v7, vcc_lo, v22, v9, vcc_lo
	flat_load_b64 v[6:7], v[6:7]
	s_waitcnt vmcnt(0) lgkmcnt(0)
	v_mul_f64 v[6:7], v[6:7], s[6:7]
	s_delay_alu instid0(VALU_DEP_1) | instskip(NEXT) | instid1(VALU_DEP_1)
	v_cvt_f32_f64_e32 v6, v[6:7]
	v_min_f32_e32 v6, v6, v16
	v_add_co_u32 v16, vcc_lo, v19, v8
	v_add_co_ci_u32_e32 v17, vcc_lo, v20, v9, vcc_lo
	s_delay_alu instid0(VALU_DEP_3)
	v_cvt_f64_f32_e32 v[6:7], v6
	v_add_co_u32 v25, vcc_lo, v21, v10
	v_add_co_ci_u32_e32 v26, vcc_lo, v22, v11, vcc_lo
	global_store_b64 v[16:17], v[6:7], off
	flat_load_b64 v[6:7], v[25:26]
	s_waitcnt vmcnt(0) lgkmcnt(0)
	v_mul_f64 v[6:7], v[6:7], s[6:7]
	s_delay_alu instid0(VALU_DEP_1)
	v_cvt_f32_f64_e32 v16, v[6:7]
.LBB124_138:
	s_delay_alu instid0(VALU_DEP_1)
	v_dual_max_f32 v6, v245, v245 :: v_dual_max_f32 v7, v16, v16
	scratch_load_b32 v16, off, off offset:8 ; 4-byte Folded Reload
	v_add_co_u32 v25, vcc_lo, v19, v10
	v_add_co_ci_u32_e32 v26, vcc_lo, v20, v11, vcc_lo
	v_min_f32_e32 v6, v7, v6
	s_mov_b32 vcc_lo, s2
	s_delay_alu instid0(VALU_DEP_1)
	v_cvt_f64_f32_e32 v[6:7], v6
	global_store_b64 v[25:26], v[6:7], off
	s_waitcnt vmcnt(0)
	v_max_f32_e32 v16, v16, v16
	s_cbranch_vccz .LBB124_141
; %bb.139:
	s_delay_alu instid0(VALU_DEP_1) | instskip(SKIP_2) | instid1(VALU_DEP_3)
	v_min_f32_e32 v6, 0, v16
	v_add_co_u32 v25, vcc_lo, v19, v12
	v_add_co_ci_u32_e32 v26, vcc_lo, v20, v13, vcc_lo
	v_cvt_f64_f32_e32 v[6:7], v6
	s_mov_b32 s0, 0
	global_store_b64 v[25:26], v[6:7], off
	s_cbranch_execz .LBB124_142
; %bb.140:
	v_mov_b32_e32 v16, s0
	s_branch .LBB124_143
.LBB124_141:
	s_mov_b32 s0, -1
.LBB124_142:
	v_add_co_u32 v6, vcc_lo, v21, v12
	v_add_co_ci_u32_e32 v7, vcc_lo, v22, v13, vcc_lo
	flat_load_b64 v[6:7], v[6:7]
	s_waitcnt vmcnt(0) lgkmcnt(0)
	v_mul_f64 v[6:7], v[6:7], s[6:7]
	s_delay_alu instid0(VALU_DEP_1) | instskip(NEXT) | instid1(VALU_DEP_1)
	v_cvt_f32_f64_e32 v6, v[6:7]
	v_min_f32_e32 v6, v6, v16
	v_add_co_u32 v16, vcc_lo, v19, v12
	v_add_co_ci_u32_e32 v17, vcc_lo, v20, v13, vcc_lo
	s_delay_alu instid0(VALU_DEP_3)
	v_cvt_f64_f32_e32 v[6:7], v6
	v_add_co_u32 v21, vcc_lo, v21, v14
	v_add_co_ci_u32_e32 v22, vcc_lo, v22, v15, vcc_lo
	global_store_b64 v[16:17], v[6:7], off
	flat_load_b64 v[6:7], v[21:22]
	s_waitcnt vmcnt(0) lgkmcnt(0)
	v_mul_f64 v[6:7], v[6:7], s[6:7]
	s_delay_alu instid0(VALU_DEP_1)
	v_cvt_f32_f64_e32 v16, v[6:7]
.LBB124_143:
	v_add_co_u32 v27, vcc_lo, v19, v14
	scratch_load_b32 v19, off, off offset:12 ; 4-byte Folded Reload
	v_dual_max_f32 v6, v238, v238 :: v_dual_max_f32 v7, v16, v16
	v_add_nc_u32_e32 v21, 0xc0, v18
	v_add_co_ci_u32_e32 v28, vcc_lo, v20, v15, vcc_lo
	s_delay_alu instid0(VALU_DEP_3) | instskip(NEXT) | instid1(VALU_DEP_3)
	v_min_f32_e32 v6, v7, v6
	v_mad_i64_i32 v[16:17], null, v21, s12, 0
	v_mad_i64_i32 v[25:26], null, v21, s11, 0
	s_delay_alu instid0(VALU_DEP_3) | instskip(NEXT) | instid1(VALU_DEP_3)
	v_cvt_f64_f32_e32 v[6:7], v6
	v_lshlrev_b64 v[16:17], 3, v[16:17]
	s_delay_alu instid0(VALU_DEP_1) | instskip(NEXT) | instid1(VALU_DEP_2)
	v_add_co_u32 v16, vcc_lo, s3, v16
	v_add_co_ci_u32_e32 v17, vcc_lo, s8, v17, vcc_lo
	global_store_b64 v[27:28], v[6:7], off
	s_waitcnt vmcnt(0)
	v_max_f32_e32 v21, v19, v19
	v_lshlrev_b64 v[19:20], 3, v[25:26]
	s_delay_alu instid0(VALU_DEP_1) | instskip(NEXT) | instid1(VALU_DEP_2)
	v_add_co_u32 v19, vcc_lo, s4, v19
	v_add_co_ci_u32_e32 v20, vcc_lo, s5, v20, vcc_lo
	s_mov_b32 vcc_lo, s2
	s_cbranch_vccz .LBB124_146
; %bb.144:
	v_min_f32_e32 v6, 0, v21
	v_add_co_u32 v25, vcc_lo, v16, v0
	v_add_co_ci_u32_e32 v26, vcc_lo, v17, v1, vcc_lo
	s_delay_alu instid0(VALU_DEP_3)
	v_cvt_f64_f32_e32 v[6:7], v6
	s_mov_b32 s0, 0
	global_store_b64 v[25:26], v[6:7], off
	s_cbranch_execz .LBB124_147
; %bb.145:
	v_mov_b32_e32 v21, s0
	s_branch .LBB124_148
.LBB124_146:
	s_mov_b32 s0, -1
.LBB124_147:
	v_add_co_u32 v6, vcc_lo, v19, v0
	v_add_co_ci_u32_e32 v7, vcc_lo, v20, v1, vcc_lo
	flat_load_b64 v[6:7], v[6:7]
	s_waitcnt vmcnt(0) lgkmcnt(0)
	v_mul_f64 v[6:7], v[6:7], s[6:7]
	s_delay_alu instid0(VALU_DEP_1) | instskip(NEXT) | instid1(VALU_DEP_1)
	v_cvt_f32_f64_e32 v6, v[6:7]
	v_min_f32_e32 v6, v6, v21
	v_add_co_u32 v21, vcc_lo, v16, v0
	v_add_co_ci_u32_e32 v22, vcc_lo, v17, v1, vcc_lo
	s_delay_alu instid0(VALU_DEP_3)
	v_cvt_f64_f32_e32 v[6:7], v6
	v_add_co_u32 v25, vcc_lo, v19, v2
	v_add_co_ci_u32_e32 v26, vcc_lo, v20, v3, vcc_lo
	global_store_b64 v[21:22], v[6:7], off
	flat_load_b64 v[6:7], v[25:26]
	s_waitcnt vmcnt(0) lgkmcnt(0)
	v_mul_f64 v[6:7], v[6:7], s[6:7]
	s_delay_alu instid0(VALU_DEP_1)
	v_cvt_f32_f64_e32 v21, v[6:7]
.LBB124_148:
	s_delay_alu instid0(VALU_DEP_1) | instskip(SKIP_2) | instid1(VALU_DEP_3)
	v_dual_max_f32 v6, v132, v132 :: v_dual_max_f32 v7, v21, v21
	v_add_co_u32 v25, vcc_lo, v16, v2
	v_add_co_ci_u32_e32 v26, vcc_lo, v17, v3, vcc_lo
	v_min_f32_e32 v6, v7, v6
	v_max_f32_e32 v21, v130, v130
	s_mov_b32 vcc_lo, s2
	s_delay_alu instid0(VALU_DEP_2)
	v_cvt_f64_f32_e32 v[6:7], v6
	global_store_b64 v[25:26], v[6:7], off
	s_cbranch_vccz .LBB124_151
; %bb.149:
	v_min_f32_e32 v6, 0, v21
	v_add_co_u32 v25, vcc_lo, v16, v4
	v_add_co_ci_u32_e32 v26, vcc_lo, v17, v5, vcc_lo
	s_delay_alu instid0(VALU_DEP_3)
	v_cvt_f64_f32_e32 v[6:7], v6
	s_mov_b32 s0, 0
	global_store_b64 v[25:26], v[6:7], off
	s_cbranch_execz .LBB124_152
; %bb.150:
	v_mov_b32_e32 v21, s0
	s_branch .LBB124_153
.LBB124_151:
	s_mov_b32 s0, -1
.LBB124_152:
	v_add_co_u32 v6, vcc_lo, v19, v4
	v_add_co_ci_u32_e32 v7, vcc_lo, v20, v5, vcc_lo
	flat_load_b64 v[6:7], v[6:7]
	s_waitcnt vmcnt(0) lgkmcnt(0)
	v_mul_f64 v[6:7], v[6:7], s[6:7]
	s_delay_alu instid0(VALU_DEP_1) | instskip(NEXT) | instid1(VALU_DEP_1)
	v_cvt_f32_f64_e32 v6, v[6:7]
	v_min_f32_e32 v6, v6, v21
	v_add_co_u32 v21, vcc_lo, v16, v4
	v_add_co_ci_u32_e32 v22, vcc_lo, v17, v5, vcc_lo
	s_delay_alu instid0(VALU_DEP_3)
	v_cvt_f64_f32_e32 v[6:7], v6
	v_add_co_u32 v25, vcc_lo, v19, v23
	v_add_co_ci_u32_e32 v26, vcc_lo, v20, v24, vcc_lo
	global_store_b64 v[21:22], v[6:7], off
	flat_load_b64 v[6:7], v[25:26]
	s_waitcnt vmcnt(0) lgkmcnt(0)
	v_mul_f64 v[6:7], v[6:7], s[6:7]
	s_delay_alu instid0(VALU_DEP_1)
	v_cvt_f32_f64_e32 v21, v[6:7]
.LBB124_153:
	s_delay_alu instid0(VALU_DEP_1) | instskip(SKIP_2) | instid1(VALU_DEP_3)
	v_dual_max_f32 v6, v128, v128 :: v_dual_max_f32 v7, v21, v21
	v_add_co_u32 v25, vcc_lo, v16, v23
	v_add_co_ci_u32_e32 v26, vcc_lo, v17, v24, vcc_lo
	v_min_f32_e32 v6, v7, v6
	v_max_f32_e32 v21, v234, v234
	s_mov_b32 vcc_lo, s2
	s_delay_alu instid0(VALU_DEP_2)
	v_cvt_f64_f32_e32 v[6:7], v6
	global_store_b64 v[25:26], v[6:7], off
	s_cbranch_vccz .LBB124_156
; %bb.154:
	v_min_f32_e32 v6, 0, v21
	v_add_co_u32 v25, vcc_lo, v16, v8
	v_add_co_ci_u32_e32 v26, vcc_lo, v17, v9, vcc_lo
	s_delay_alu instid0(VALU_DEP_3)
	v_cvt_f64_f32_e32 v[6:7], v6
	s_mov_b32 s0, 0
	global_store_b64 v[25:26], v[6:7], off
	s_cbranch_execz .LBB124_157
; %bb.155:
	v_mov_b32_e32 v21, s0
	s_branch .LBB124_158
.LBB124_156:
	s_mov_b32 s0, -1
.LBB124_157:
	v_add_co_u32 v6, vcc_lo, v19, v8
	v_add_co_ci_u32_e32 v7, vcc_lo, v20, v9, vcc_lo
	flat_load_b64 v[6:7], v[6:7]
	s_waitcnt vmcnt(0) lgkmcnt(0)
	v_mul_f64 v[6:7], v[6:7], s[6:7]
	s_delay_alu instid0(VALU_DEP_1) | instskip(NEXT) | instid1(VALU_DEP_1)
	v_cvt_f32_f64_e32 v6, v[6:7]
	v_min_f32_e32 v6, v6, v21
	v_add_co_u32 v21, vcc_lo, v16, v8
	v_add_co_ci_u32_e32 v22, vcc_lo, v17, v9, vcc_lo
	s_delay_alu instid0(VALU_DEP_3)
	v_cvt_f64_f32_e32 v[6:7], v6
	v_add_co_u32 v25, vcc_lo, v19, v10
	v_add_co_ci_u32_e32 v26, vcc_lo, v20, v11, vcc_lo
	global_store_b64 v[21:22], v[6:7], off
	flat_load_b64 v[6:7], v[25:26]
	s_waitcnt vmcnt(0) lgkmcnt(0)
	v_mul_f64 v[6:7], v[6:7], s[6:7]
	s_delay_alu instid0(VALU_DEP_1)
	v_cvt_f32_f64_e32 v21, v[6:7]
.LBB124_158:
	scratch_load_b32 v6, off, off offset:4  ; 4-byte Folded Reload
	v_add_co_u32 v25, vcc_lo, v16, v10
	v_add_co_ci_u32_e32 v26, vcc_lo, v17, v11, vcc_lo
	s_mov_b32 vcc_lo, s2
	v_max_f32_e32 v7, v21, v21
	s_waitcnt vmcnt(0)
	v_dual_max_f32 v21, v243, v243 :: v_dual_max_f32 v6, v6, v6
	s_delay_alu instid0(VALU_DEP_1) | instskip(NEXT) | instid1(VALU_DEP_1)
	v_min_f32_e32 v6, v7, v6
	v_cvt_f64_f32_e32 v[6:7], v6
	global_store_b64 v[25:26], v[6:7], off
	s_cbranch_vccz .LBB124_161
; %bb.159:
	v_min_f32_e32 v6, 0, v21
	v_add_co_u32 v25, vcc_lo, v16, v12
	v_add_co_ci_u32_e32 v26, vcc_lo, v17, v13, vcc_lo
	s_delay_alu instid0(VALU_DEP_3)
	v_cvt_f64_f32_e32 v[6:7], v6
	s_mov_b32 s0, 0
	global_store_b64 v[25:26], v[6:7], off
	s_cbranch_execz .LBB124_162
; %bb.160:
	v_mov_b32_e32 v19, s0
	s_branch .LBB124_163
.LBB124_161:
	s_mov_b32 s0, -1
.LBB124_162:
	v_add_co_u32 v6, vcc_lo, v19, v12
	v_add_co_ci_u32_e32 v7, vcc_lo, v20, v13, vcc_lo
	flat_load_b64 v[6:7], v[6:7]
	s_waitcnt vmcnt(0) lgkmcnt(0)
	v_mul_f64 v[6:7], v[6:7], s[6:7]
	s_delay_alu instid0(VALU_DEP_1) | instskip(NEXT) | instid1(VALU_DEP_1)
	v_cvt_f32_f64_e32 v6, v[6:7]
	v_min_f32_e32 v6, v6, v21
	v_add_co_u32 v21, vcc_lo, v16, v12
	v_add_co_ci_u32_e32 v22, vcc_lo, v17, v13, vcc_lo
	s_delay_alu instid0(VALU_DEP_3)
	v_cvt_f64_f32_e32 v[6:7], v6
	v_add_co_u32 v19, vcc_lo, v19, v14
	v_add_co_ci_u32_e32 v20, vcc_lo, v20, v15, vcc_lo
	global_store_b64 v[21:22], v[6:7], off
	flat_load_b64 v[6:7], v[19:20]
	s_waitcnt vmcnt(0) lgkmcnt(0)
	v_mul_f64 v[6:7], v[6:7], s[6:7]
	s_delay_alu instid0(VALU_DEP_1)
	v_cvt_f32_f64_e32 v19, v[6:7]
.LBB124_163:
	s_delay_alu instid0(VALU_DEP_1) | instskip(SKIP_3) | instid1(VALU_DEP_4)
	v_dual_max_f32 v6, v192, v192 :: v_dual_max_f32 v7, v19, v19
	v_add_nc_u32_e32 v20, 0xe0, v18
	v_add_co_u32 v25, vcc_lo, v16, v14
	v_add_co_ci_u32_e32 v26, vcc_lo, v17, v15, vcc_lo
	v_min_f32_e32 v6, v7, v6
	s_delay_alu instid0(VALU_DEP_4) | instskip(SKIP_1) | instid1(VALU_DEP_3)
	v_mad_i64_i32 v[18:19], null, v20, s12, 0
	v_mad_i64_i32 v[21:22], null, v20, s11, 0
	v_cvt_f64_f32_e32 v[6:7], v6
	v_max_f32_e32 v20, v127, v127
	s_delay_alu instid0(VALU_DEP_4) | instskip(NEXT) | instid1(VALU_DEP_4)
	v_lshlrev_b64 v[18:19], 3, v[18:19]
	v_lshlrev_b64 v[21:22], 3, v[21:22]
	s_delay_alu instid0(VALU_DEP_2) | instskip(NEXT) | instid1(VALU_DEP_3)
	v_add_co_u32 v16, vcc_lo, s3, v18
	v_add_co_ci_u32_e32 v17, vcc_lo, s8, v19, vcc_lo
	s_delay_alu instid0(VALU_DEP_3) | instskip(NEXT) | instid1(VALU_DEP_4)
	v_add_co_u32 v18, vcc_lo, s4, v21
	v_add_co_ci_u32_e32 v19, vcc_lo, s5, v22, vcc_lo
	s_mov_b32 vcc_lo, s2
	global_store_b64 v[25:26], v[6:7], off
	s_cbranch_vccz .LBB124_166
; %bb.164:
	v_min_f32_e32 v6, 0, v20
	v_add_co_u32 v21, vcc_lo, v16, v0
	v_add_co_ci_u32_e32 v22, vcc_lo, v17, v1, vcc_lo
	s_delay_alu instid0(VALU_DEP_3)
	v_cvt_f64_f32_e32 v[6:7], v6
	s_mov_b32 s0, 0
	global_store_b64 v[21:22], v[6:7], off
	s_cbranch_execz .LBB124_167
; %bb.165:
	v_mov_b32_e32 v0, s0
	s_branch .LBB124_168
.LBB124_166:
	s_mov_b32 s0, -1
.LBB124_167:
	v_add_co_u32 v6, vcc_lo, v18, v0
	v_add_co_ci_u32_e32 v7, vcc_lo, v19, v1, vcc_lo
	v_add_co_u32 v0, vcc_lo, v16, v0
	v_add_co_ci_u32_e32 v1, vcc_lo, v17, v1, vcc_lo
	flat_load_b64 v[6:7], v[6:7]
	s_waitcnt vmcnt(0) lgkmcnt(0)
	v_mul_f64 v[6:7], v[6:7], s[6:7]
	s_delay_alu instid0(VALU_DEP_1) | instskip(NEXT) | instid1(VALU_DEP_1)
	v_cvt_f32_f64_e32 v6, v[6:7]
	v_min_f32_e32 v6, v6, v20
	v_add_co_u32 v20, vcc_lo, v18, v2
	v_add_co_ci_u32_e32 v21, vcc_lo, v19, v3, vcc_lo
	s_delay_alu instid0(VALU_DEP_3) | instskip(SKIP_4) | instid1(VALU_DEP_1)
	v_cvt_f64_f32_e32 v[6:7], v6
	global_store_b64 v[0:1], v[6:7], off
	flat_load_b64 v[0:1], v[20:21]
	s_waitcnt vmcnt(0) lgkmcnt(0)
	v_mul_f64 v[0:1], v[0:1], s[6:7]
	v_cvt_f32_f64_e32 v0, v[0:1]
.LBB124_168:
	s_delay_alu instid0(VALU_DEP_1) | instskip(NEXT) | instid1(VALU_DEP_1)
	v_dual_max_f32 v1, v79, v79 :: v_dual_max_f32 v0, v0, v0
	v_min_f32_e32 v0, v0, v1
	v_add_co_u32 v1, vcc_lo, v16, v2
	v_add_co_ci_u32_e32 v2, vcc_lo, v17, v3, vcc_lo
	s_delay_alu instid0(VALU_DEP_3)
	v_cvt_f64_f32_e32 v[6:7], v0
	scratch_load_b32 v0, off, off           ; 4-byte Folded Reload
	s_mov_b32 vcc_lo, s2
	global_store_b64 v[1:2], v[6:7], off
	s_waitcnt vmcnt(0)
	v_max_f32_e32 v0, v0, v0
	s_cbranch_vccz .LBB124_171
; %bb.169:
	s_delay_alu instid0(VALU_DEP_1) | instskip(SKIP_2) | instid1(VALU_DEP_3)
	v_min_f32_e32 v1, 0, v0
	v_add_co_u32 v6, vcc_lo, v16, v4
	v_add_co_ci_u32_e32 v7, vcc_lo, v17, v5, vcc_lo
	v_cvt_f64_f32_e32 v[1:2], v1
	s_mov_b32 s0, 0
	global_store_b64 v[6:7], v[1:2], off
	s_cbranch_execz .LBB124_172
; %bb.170:
	v_mov_b32_e32 v0, s0
	s_branch .LBB124_173
.LBB124_171:
	s_mov_b32 s0, -1
.LBB124_172:
	v_add_co_u32 v1, vcc_lo, v18, v4
	v_add_co_ci_u32_e32 v2, vcc_lo, v19, v5, vcc_lo
	flat_load_b64 v[1:2], v[1:2]
	s_waitcnt vmcnt(0) lgkmcnt(0)
	v_mul_f64 v[1:2], v[1:2], s[6:7]
	s_delay_alu instid0(VALU_DEP_1)
	v_cvt_f32_f64_e32 v1, v[1:2]
	v_add_co_u32 v2, vcc_lo, v16, v4
	v_add_co_ci_u32_e32 v3, vcc_lo, v17, v5, vcc_lo
	v_add_co_u32 v4, vcc_lo, v18, v23
	v_add_co_ci_u32_e32 v5, vcc_lo, v19, v24, vcc_lo
	v_min_f32_e32 v0, v1, v0
	s_delay_alu instid0(VALU_DEP_1) | instskip(SKIP_4) | instid1(VALU_DEP_1)
	v_cvt_f64_f32_e32 v[0:1], v0
	global_store_b64 v[2:3], v[0:1], off
	flat_load_b64 v[0:1], v[4:5]
	s_waitcnt vmcnt(0) lgkmcnt(0)
	v_mul_f64 v[0:1], v[0:1], s[6:7]
	v_cvt_f32_f64_e32 v0, v[0:1]
.LBB124_173:
	s_delay_alu instid0(VALU_DEP_1) | instskip(SKIP_2) | instid1(VALU_DEP_3)
	v_dual_max_f32 v1, v247, v247 :: v_dual_max_f32 v0, v0, v0
	v_add_co_u32 v3, vcc_lo, v16, v23
	v_add_co_ci_u32_e32 v4, vcc_lo, v17, v24, vcc_lo
	v_min_f32_e32 v0, v0, v1
	s_mov_b32 vcc_lo, s2
	s_delay_alu instid0(VALU_DEP_1)
	v_cvt_f64_f32_e32 v[1:2], v0
	v_max_f32_e32 v0, v249, v249
	global_store_b64 v[3:4], v[1:2], off
	s_cbranch_vccz .LBB124_176
; %bb.174:
	v_min_f32_e32 v1, 0, v0
	v_add_co_u32 v3, vcc_lo, v16, v8
	v_add_co_ci_u32_e32 v4, vcc_lo, v17, v9, vcc_lo
	s_delay_alu instid0(VALU_DEP_3)
	v_cvt_f64_f32_e32 v[1:2], v1
	s_mov_b32 s0, 0
	global_store_b64 v[3:4], v[1:2], off
	s_cbranch_execz .LBB124_177
; %bb.175:
	v_mov_b32_e32 v0, s0
	s_branch .LBB124_178
.LBB124_176:
	s_mov_b32 s0, -1
.LBB124_177:
	v_add_co_u32 v1, vcc_lo, v18, v8
	v_add_co_ci_u32_e32 v2, vcc_lo, v19, v9, vcc_lo
	flat_load_b64 v[1:2], v[1:2]
	s_waitcnt vmcnt(0) lgkmcnt(0)
	v_mul_f64 v[1:2], v[1:2], s[6:7]
	s_delay_alu instid0(VALU_DEP_1)
	v_cvt_f32_f64_e32 v1, v[1:2]
	v_add_co_u32 v2, vcc_lo, v16, v8
	v_add_co_ci_u32_e32 v3, vcc_lo, v17, v9, vcc_lo
	v_add_co_u32 v4, vcc_lo, v18, v10
	v_add_co_ci_u32_e32 v5, vcc_lo, v19, v11, vcc_lo
	v_min_f32_e32 v0, v1, v0
	s_delay_alu instid0(VALU_DEP_1) | instskip(SKIP_4) | instid1(VALU_DEP_1)
	v_cvt_f64_f32_e32 v[0:1], v0
	global_store_b64 v[2:3], v[0:1], off
	flat_load_b64 v[0:1], v[4:5]
	s_waitcnt vmcnt(0) lgkmcnt(0)
	v_mul_f64 v[0:1], v[0:1], s[6:7]
	v_cvt_f32_f64_e32 v0, v[0:1]
.LBB124_178:
	v_max_f32_e32 v1, v120, v120
	s_delay_alu instid0(VALU_DEP_2) | instskip(SKIP_2) | instid1(VALU_DEP_3)
	v_max_f32_e32 v0, v0, v0
	v_add_co_u32 v3, vcc_lo, v16, v10
	v_add_co_ci_u32_e32 v4, vcc_lo, v17, v11, vcc_lo
	v_min_f32_e32 v0, v0, v1
	s_mov_b32 vcc_lo, s2
	s_delay_alu instid0(VALU_DEP_1)
	v_cvt_f64_f32_e32 v[1:2], v0
	v_max_f32_e32 v0, v122, v122
	global_store_b64 v[3:4], v[1:2], off
	s_cbranch_vccz .LBB124_181
; %bb.179:
	v_min_f32_e32 v1, 0, v0
	v_add_co_u32 v3, vcc_lo, v16, v12
	v_add_co_ci_u32_e32 v4, vcc_lo, v17, v13, vcc_lo
	s_delay_alu instid0(VALU_DEP_3)
	v_cvt_f64_f32_e32 v[1:2], v1
	s_mov_b32 s0, 0
	global_store_b64 v[3:4], v[1:2], off
	s_cbranch_execz .LBB124_182
; %bb.180:
	v_mov_b32_e32 v0, s0
	s_branch .LBB124_183
.LBB124_181:
	s_mov_b32 s0, -1
.LBB124_182:
	v_add_co_u32 v1, vcc_lo, v18, v12
	v_add_co_ci_u32_e32 v2, vcc_lo, v19, v13, vcc_lo
	flat_load_b64 v[1:2], v[1:2]
	s_waitcnt vmcnt(0) lgkmcnt(0)
	v_mul_f64 v[1:2], v[1:2], s[6:7]
	s_delay_alu instid0(VALU_DEP_1)
	v_cvt_f32_f64_e32 v1, v[1:2]
	v_add_co_u32 v2, vcc_lo, v16, v12
	v_add_co_ci_u32_e32 v3, vcc_lo, v17, v13, vcc_lo
	v_add_co_u32 v4, vcc_lo, v18, v14
	v_add_co_ci_u32_e32 v5, vcc_lo, v19, v15, vcc_lo
	v_min_f32_e32 v0, v1, v0
	s_delay_alu instid0(VALU_DEP_1) | instskip(SKIP_4) | instid1(VALU_DEP_1)
	v_cvt_f64_f32_e32 v[0:1], v0
	global_store_b64 v[2:3], v[0:1], off
	flat_load_b64 v[0:1], v[4:5]
	s_waitcnt vmcnt(0) lgkmcnt(0)
	v_mul_f64 v[0:1], v[0:1], s[6:7]
	v_cvt_f32_f64_e32 v0, v[0:1]
.LBB124_183:
	v_max_f32_e32 v1, v124, v124
	s_delay_alu instid0(VALU_DEP_2) | instskip(SKIP_2) | instid1(VALU_DEP_3)
	v_max_f32_e32 v0, v0, v0
	v_add_co_u32 v2, vcc_lo, v16, v14
	v_add_co_ci_u32_e32 v3, vcc_lo, v17, v15, vcc_lo
	v_min_f32_e32 v0, v0, v1
	s_delay_alu instid0(VALU_DEP_1)
	v_cvt_f64_f32_e32 v[0:1], v0
	global_store_b64 v[2:3], v[0:1], off
	s_endpgm
	.section	.rodata,"a",@progbits
	.p2align	6, 0x0
	.amdhsa_kernel _ZN12_GLOBAL__N_120geam_min_plus_kernelId15HIP_vector_typeIdLj2EEdLi8ELi32ELi64ELi256ELi4ELi4ELi64ELi64ELi4ELc84ELc84ELb1ELb0ELb1EdKPKdKPdEEviiiT16_PT17_ilSA_ilS8_SA_ilPT18_ili26rocblas_geam_ex_operation_
		.amdhsa_group_segment_fixed_size 20480
		.amdhsa_private_segment_fixed_size 400
		.amdhsa_kernarg_size 136
		.amdhsa_user_sgpr_count 14
		.amdhsa_user_sgpr_dispatch_ptr 0
		.amdhsa_user_sgpr_queue_ptr 0
		.amdhsa_user_sgpr_kernarg_segment_ptr 1
		.amdhsa_user_sgpr_dispatch_id 0
		.amdhsa_user_sgpr_private_segment_size 0
		.amdhsa_wavefront_size32 1
		.amdhsa_uses_dynamic_stack 0
		.amdhsa_enable_private_segment 1
		.amdhsa_system_sgpr_workgroup_id_x 1
		.amdhsa_system_sgpr_workgroup_id_y 0
		.amdhsa_system_sgpr_workgroup_id_z 1
		.amdhsa_system_sgpr_workgroup_info 0
		.amdhsa_system_vgpr_workitem_id 1
		.amdhsa_next_free_vgpr 256
		.amdhsa_next_free_sgpr 22
		.amdhsa_reserve_vcc 1
		.amdhsa_float_round_mode_32 0
		.amdhsa_float_round_mode_16_64 0
		.amdhsa_float_denorm_mode_32 3
		.amdhsa_float_denorm_mode_16_64 3
		.amdhsa_dx10_clamp 1
		.amdhsa_ieee_mode 1
		.amdhsa_fp16_overflow 0
		.amdhsa_workgroup_processor_mode 1
		.amdhsa_memory_ordered 1
		.amdhsa_forward_progress 0
		.amdhsa_shared_vgpr_count 0
		.amdhsa_exception_fp_ieee_invalid_op 0
		.amdhsa_exception_fp_denorm_src 0
		.amdhsa_exception_fp_ieee_div_zero 0
		.amdhsa_exception_fp_ieee_overflow 0
		.amdhsa_exception_fp_ieee_underflow 0
		.amdhsa_exception_fp_ieee_inexact 0
		.amdhsa_exception_int_div_zero 0
	.end_amdhsa_kernel
	.section	.text._ZN12_GLOBAL__N_120geam_min_plus_kernelId15HIP_vector_typeIdLj2EEdLi8ELi32ELi64ELi256ELi4ELi4ELi64ELi64ELi4ELc84ELc84ELb1ELb0ELb1EdKPKdKPdEEviiiT16_PT17_ilSA_ilS8_SA_ilPT18_ili26rocblas_geam_ex_operation_,"axG",@progbits,_ZN12_GLOBAL__N_120geam_min_plus_kernelId15HIP_vector_typeIdLj2EEdLi8ELi32ELi64ELi256ELi4ELi4ELi64ELi64ELi4ELc84ELc84ELb1ELb0ELb1EdKPKdKPdEEviiiT16_PT17_ilSA_ilS8_SA_ilPT18_ili26rocblas_geam_ex_operation_,comdat
.Lfunc_end124:
	.size	_ZN12_GLOBAL__N_120geam_min_plus_kernelId15HIP_vector_typeIdLj2EEdLi8ELi32ELi64ELi256ELi4ELi4ELi64ELi64ELi4ELc84ELc84ELb1ELb0ELb1EdKPKdKPdEEviiiT16_PT17_ilSA_ilS8_SA_ilPT18_ili26rocblas_geam_ex_operation_, .Lfunc_end124-_ZN12_GLOBAL__N_120geam_min_plus_kernelId15HIP_vector_typeIdLj2EEdLi8ELi32ELi64ELi256ELi4ELi4ELi64ELi64ELi4ELc84ELc84ELb1ELb0ELb1EdKPKdKPdEEviiiT16_PT17_ilSA_ilS8_SA_ilPT18_ili26rocblas_geam_ex_operation_
                                        ; -- End function
	.section	.AMDGPU.csdata,"",@progbits
; Kernel info:
; codeLenInByte = 23256
; NumSgprs: 24
; NumVgprs: 256
; ScratchSize: 400
; MemoryBound: 0
; FloatMode: 240
; IeeeMode: 1
; LDSByteSize: 20480 bytes/workgroup (compile time only)
; SGPRBlocks: 2
; VGPRBlocks: 31
; NumSGPRsForWavesPerEU: 24
; NumVGPRsForWavesPerEU: 256
; Occupancy: 5
; WaveLimiterHint : 1
; COMPUTE_PGM_RSRC2:SCRATCH_EN: 1
; COMPUTE_PGM_RSRC2:USER_SGPR: 14
; COMPUTE_PGM_RSRC2:TRAP_HANDLER: 0
; COMPUTE_PGM_RSRC2:TGID_X_EN: 1
; COMPUTE_PGM_RSRC2:TGID_Y_EN: 0
; COMPUTE_PGM_RSRC2:TGID_Z_EN: 1
; COMPUTE_PGM_RSRC2:TIDIG_COMP_CNT: 1
	.section	.text._ZN12_GLOBAL__N_120geam_min_plus_kernelId15HIP_vector_typeIdLj2EEdLi8ELi32ELi64ELi256ELi4ELi4ELi64ELi64ELi4ELc84ELc84ELb0ELb0ELb1EdKPKdKPdEEviiiT16_PT17_ilSA_ilS8_SA_ilPT18_ili26rocblas_geam_ex_operation_,"axG",@progbits,_ZN12_GLOBAL__N_120geam_min_plus_kernelId15HIP_vector_typeIdLj2EEdLi8ELi32ELi64ELi256ELi4ELi4ELi64ELi64ELi4ELc84ELc84ELb0ELb0ELb1EdKPKdKPdEEviiiT16_PT17_ilSA_ilS8_SA_ilPT18_ili26rocblas_geam_ex_operation_,comdat
	.globl	_ZN12_GLOBAL__N_120geam_min_plus_kernelId15HIP_vector_typeIdLj2EEdLi8ELi32ELi64ELi256ELi4ELi4ELi64ELi64ELi4ELc84ELc84ELb0ELb0ELb1EdKPKdKPdEEviiiT16_PT17_ilSA_ilS8_SA_ilPT18_ili26rocblas_geam_ex_operation_ ; -- Begin function _ZN12_GLOBAL__N_120geam_min_plus_kernelId15HIP_vector_typeIdLj2EEdLi8ELi32ELi64ELi256ELi4ELi4ELi64ELi64ELi4ELc84ELc84ELb0ELb0ELb1EdKPKdKPdEEviiiT16_PT17_ilSA_ilS8_SA_ilPT18_ili26rocblas_geam_ex_operation_
	.p2align	8
	.type	_ZN12_GLOBAL__N_120geam_min_plus_kernelId15HIP_vector_typeIdLj2EEdLi8ELi32ELi64ELi256ELi4ELi4ELi64ELi64ELi4ELc84ELc84ELb0ELb0ELb1EdKPKdKPdEEviiiT16_PT17_ilSA_ilS8_SA_ilPT18_ili26rocblas_geam_ex_operation_,@function
_ZN12_GLOBAL__N_120geam_min_plus_kernelId15HIP_vector_typeIdLj2EEdLi8ELi32ELi64ELi256ELi4ELi4ELi64ELi64ELi4ELc84ELc84ELb0ELb0ELb1EdKPKdKPdEEviiiT16_PT17_ilSA_ilS8_SA_ilPT18_ili26rocblas_geam_ex_operation_: ; @_ZN12_GLOBAL__N_120geam_min_plus_kernelId15HIP_vector_typeIdLj2EEdLi8ELi32ELi64ELi256ELi4ELi4ELi64ELi64ELi4ELc84ELc84ELb0ELb0ELb1EdKPKdKPdEEviiiT16_PT17_ilSA_ilS8_SA_ilPT18_ili26rocblas_geam_ex_operation_
; %bb.0:
	s_clause 0x1
	s_load_b128 s[8:11], s[0:1], 0x10
	s_load_b128 s[16:19], s[0:1], 0x28
	s_mov_b32 s22, s15
	s_mov_b64 s[20:21], 0
	s_waitcnt lgkmcnt(0)
	v_cmp_eq_f64_e64 s2, s[8:9], 0
	s_delay_alu instid0(VALU_DEP_1)
	s_and_b32 vcc_lo, exec_lo, s2
	s_cbranch_vccnz .LBB125_2
; %bb.1:
	s_mov_b32 s23, 0
	s_delay_alu instid0(SALU_CYCLE_1) | instskip(NEXT) | instid1(SALU_CYCLE_1)
	s_lshl_b64 s[4:5], s[22:23], 3
	s_add_u32 s4, s10, s4
	s_addc_u32 s5, s11, s5
	s_lshl_b64 s[6:7], s[16:17], 3
	s_load_b64 s[4:5], s[4:5], 0x0
	s_waitcnt lgkmcnt(0)
	s_add_u32 s20, s4, s6
	s_addc_u32 s21, s5, s7
.LBB125_2:
	s_clause 0x1
	s_load_b128 s[4:7], s[0:1], 0x40
	s_load_b64 s[10:11], s[0:1], 0x50
	s_and_not1_b32 vcc_lo, exec_lo, s2
	s_cbranch_vccnz .LBB125_4
; %bb.3:
	s_mov_b32 s23, 0
	s_mov_b64 s[12:13], 0
	s_cbranch_execz .LBB125_5
	s_branch .LBB125_6
.LBB125_4:
	s_mov_b32 s23, -1
                                        ; implicit-def: $sgpr12_sgpr13
.LBB125_5:
	s_mov_b32 s23, 0
	s_delay_alu instid0(SALU_CYCLE_1) | instskip(NEXT) | instid1(SALU_CYCLE_1)
	s_lshl_b64 s[2:3], s[22:23], 3
	s_add_u32 s2, s18, s2
	s_addc_u32 s3, s19, s3
	s_waitcnt lgkmcnt(0)
	s_lshl_b64 s[4:5], s[4:5], 3
	s_load_b64 s[2:3], s[2:3], 0x0
	s_waitcnt lgkmcnt(0)
	s_add_u32 s12, s2, s4
	s_addc_u32 s13, s3, s5
.LBB125_6:
	s_waitcnt lgkmcnt(0)
	v_cmp_eq_f64_e64 s2, s[6:7], 0
	v_cmp_neq_f64_e64 s15, s[8:9], 0
	s_load_b128 s[16:19], s[0:1], 0x60
	s_mov_b64 s[4:5], 0
	s_delay_alu instid0(VALU_DEP_2) | instskip(NEXT) | instid1(SALU_CYCLE_1)
	s_and_b32 s2, exec_lo, s2
	s_mov_b32 vcc_lo, s2
	s_cbranch_vccnz .LBB125_8
; %bb.7:
	s_lshl_b64 s[4:5], s[22:23], 3
	s_delay_alu instid0(SALU_CYCLE_1)
	s_add_u32 s4, s10, s4
	s_addc_u32 s5, s11, s5
	s_waitcnt lgkmcnt(0)
	s_lshl_b64 s[10:11], s[16:17], 3
	s_load_b64 s[4:5], s[4:5], 0x0
	s_waitcnt lgkmcnt(0)
	s_add_u32 s4, s4, s10
	s_addc_u32 s5, s5, s11
.LBB125_8:
	s_load_b32 s3, s[0:1], 0x0
	s_lshl_b64 s[10:11], s[22:23], 3
	s_load_b32 s22, s[0:1], 0x20
	s_waitcnt lgkmcnt(0)
	s_add_u32 s10, s18, s10
	s_addc_u32 s11, s19, s11
	v_and_b32_e32 v49, 0x3ff, v0
	v_bfe_u32 v217, v0, 10, 10
	s_load_b64 s[10:11], s[10:11], 0x0
	s_delay_alu instid0(VALU_DEP_3) | instskip(NEXT) | instid1(VALU_DEP_2)
	v_cndmask_b32_e64 v0, 0, 1, s15
	v_lshl_add_u32 v2, v217, 3, v49
	s_delay_alu instid0(VALU_DEP_1) | instskip(SKIP_1) | instid1(SALU_CYCLE_1)
	v_lshrrev_b32_e32 v24, 2, v2
	s_add_i32 s3, s3, -1
	s_ashr_i32 s16, s3, 31
	s_delay_alu instid0(SALU_CYCLE_1) | instskip(NEXT) | instid1(SALU_CYCLE_1)
	s_lshr_b32 s16, s16, 26
	s_add_i32 s3, s3, s16
	s_delay_alu instid0(SALU_CYCLE_1) | instskip(NEXT) | instid1(SALU_CYCLE_1)
	s_ashr_i32 s3, s3, 6
	s_add_i32 s16, s3, 1
	s_not_b32 s3, s3
	v_cvt_f32_u32_e32 v1, s16
	s_delay_alu instid0(VALU_DEP_1) | instskip(SKIP_2) | instid1(VALU_DEP_1)
	v_rcp_iflag_f32_e32 v1, v1
	s_waitcnt_depctr 0xfff
	v_mul_f32_e32 v1, 0x4f7ffffe, v1
	v_cvt_u32_f32_e32 v1, v1
	s_delay_alu instid0(VALU_DEP_1) | instskip(SKIP_1) | instid1(VALU_DEP_2)
	v_readfirstlane_b32 s17, v1
	v_and_b32_e32 v1, 3, v49
	s_mul_i32 s3, s3, s17
	s_delay_alu instid0(VALU_DEP_1) | instskip(SKIP_3) | instid1(SALU_CYCLE_1)
	v_lshlrev_b32_e32 v25, 3, v1
	s_mul_hi_u32 s3, s17, s3
	scratch_store_b32 off, v1, off offset:356 ; 4-byte Folded Spill
	s_add_i32 s17, s17, s3
	s_mul_hi_u32 s3, s14, s17
	s_delay_alu instid0(SALU_CYCLE_1) | instskip(SKIP_2) | instid1(SALU_CYCLE_1)
	s_mul_i32 s17, s3, s16
	s_add_i32 s18, s3, 1
	s_sub_i32 s17, s14, s17
	s_sub_i32 s19, s17, s16
	s_cmp_ge_u32 s17, s16
	s_cselect_b32 s3, s18, s3
	s_cselect_b32 s17, s19, s17
	s_add_i32 s18, s3, 1
	s_cmp_ge_u32 s17, s16
	s_cselect_b32 s17, s18, s3
	s_and_not1_b32 vcc_lo, exec_lo, s15
	s_mul_i32 s3, s17, s16
	s_delay_alu instid0(SALU_CYCLE_1) | instskip(SKIP_2) | instid1(SALU_CYCLE_1)
	s_sub_i32 s14, s14, s3
	v_cmp_ne_u32_e64 s3, 1, v0
	s_lshl_b32 s14, s14, 6
	v_add_nc_u32_e32 v220, s14, v24
	s_cbranch_vccnz .LBB125_10
; %bb.9:
	s_delay_alu instid0(VALU_DEP_1) | instskip(NEXT) | instid1(VALU_DEP_1)
	v_mad_i64_i32 v[0:1], null, v220, s22, 0
	v_lshlrev_b64 v[0:1], 3, v[0:1]
	s_delay_alu instid0(VALU_DEP_1) | instskip(NEXT) | instid1(VALU_DEP_2)
	v_add_co_u32 v0, vcc_lo, s20, v0
	v_add_co_ci_u32_e32 v1, vcc_lo, s21, v1, vcc_lo
	s_delay_alu instid0(VALU_DEP_2) | instskip(NEXT) | instid1(VALU_DEP_2)
	v_add_co_u32 v0, vcc_lo, v0, v25
	v_add_co_ci_u32_e32 v1, vcc_lo, 0, v1, vcc_lo
	flat_load_b64 v[0:1], v[0:1]
	s_waitcnt vmcnt(0) lgkmcnt(0)
	v_mul_f64 v[0:1], v[0:1], s[8:9]
	s_branch .LBB125_11
.LBB125_10:
	v_mov_b32_e32 v0, 0
	v_mov_b32_e32 v1, 0
.LBB125_11:
	s_load_b32 s16, s[0:1], 0x38
	v_lshrrev_b32_e32 v5, 6, v2
	v_and_b32_e32 v61, 63, v2
	s_lshl_b32 s15, s17, 8
	scratch_store_b32 off, v5, off offset:360 ; 4-byte Folded Spill
	v_or_b32_e32 v221, s15, v61
	s_delay_alu instid0(VALU_DEP_1) | instskip(SKIP_3) | instid1(VALU_DEP_1)
	v_ashrrev_i32_e32 v222, 31, v221
	s_waitcnt lgkmcnt(0)
	v_mad_i64_i32 v[3:4], null, s16, v5, 0
	s_ashr_i32 s17, s16, 31
	v_lshlrev_b64 v[2:3], 3, v[3:4]
	s_delay_alu instid0(VALU_DEP_1) | instskip(NEXT) | instid1(VALU_DEP_2)
	v_add_co_u32 v6, vcc_lo, s12, v2
	v_add_co_ci_u32_e32 v7, vcc_lo, s13, v3, vcc_lo
	s_and_b32 vcc_lo, exec_lo, s3
	s_cbranch_vccnz .LBB125_15
; %bb.12:
	v_lshlrev_b64 v[2:3], 3, v[221:222]
	s_delay_alu instid0(VALU_DEP_1) | instskip(NEXT) | instid1(VALU_DEP_2)
	v_add_co_u32 v2, vcc_lo, v6, v2
	v_add_co_ci_u32_e32 v3, vcc_lo, v7, v3, vcc_lo
	s_clause 0x1
	flat_load_b64 v[8:9], v[2:3]
	flat_load_b64 v[10:11], v[2:3] offset:512
	s_waitcnt vmcnt(1) lgkmcnt(1)
	v_mul_f64 v[2:3], v[8:9], s[8:9]
	s_waitcnt vmcnt(0) lgkmcnt(0)
	v_mul_f64 v[16:17], v[10:11], s[8:9]
	s_and_b32 vcc_lo, exec_lo, s3
	s_cbranch_vccnz .LBB125_16
.LBB125_13:
	v_lshlrev_b64 v[8:9], 3, v[221:222]
	s_delay_alu instid0(VALU_DEP_1) | instskip(NEXT) | instid1(VALU_DEP_2)
	v_add_co_u32 v6, vcc_lo, v6, v8
	v_add_co_ci_u32_e32 v7, vcc_lo, v7, v9, vcc_lo
	s_clause 0x1
	flat_load_b64 v[8:9], v[6:7] offset:1024
	flat_load_b64 v[6:7], v[6:7] offset:1536
	s_waitcnt vmcnt(1) lgkmcnt(1)
	v_mul_f64 v[18:19], v[8:9], s[8:9]
	s_waitcnt vmcnt(0) lgkmcnt(0)
	v_mul_f64 v[20:21], v[6:7], s[8:9]
	s_and_b32 vcc_lo, exec_lo, s3
	s_cbranch_vccnz .LBB125_17
.LBB125_14:
	v_mad_i64_i32 v[6:7], null, v220, s22, 0
	s_delay_alu instid0(VALU_DEP_1) | instskip(NEXT) | instid1(VALU_DEP_1)
	v_lshlrev_b64 v[6:7], 3, v[6:7]
	v_add_co_u32 v4, vcc_lo, s20, v6
	s_delay_alu instid0(VALU_DEP_2) | instskip(NEXT) | instid1(VALU_DEP_2)
	v_add_co_ci_u32_e32 v5, vcc_lo, s21, v7, vcc_lo
	v_add_co_u32 v6, vcc_lo, v4, v25
	s_delay_alu instid0(VALU_DEP_2)
	v_add_co_ci_u32_e32 v7, vcc_lo, 0, v5, vcc_lo
	flat_load_b64 v[6:7], v[6:7] offset:32
	s_waitcnt vmcnt(0) lgkmcnt(0)
	v_mul_f64 v[4:5], v[6:7], s[8:9]
	s_branch .LBB125_18
.LBB125_15:
	v_mov_b32_e32 v2, 0
	v_dual_mov_b32 v3, 0 :: v_dual_mov_b32 v16, 0
	v_mov_b32_e32 v17, 0
	s_and_b32 vcc_lo, exec_lo, s3
	s_cbranch_vccz .LBB125_13
.LBB125_16:
	v_mov_b32_e32 v18, 0
	v_dual_mov_b32 v19, 0 :: v_dual_mov_b32 v20, 0
	v_mov_b32_e32 v21, 0
	s_and_b32 vcc_lo, exec_lo, s3
	s_cbranch_vccz .LBB125_14
.LBB125_17:
	v_mov_b32_e32 v4, 0
	v_mov_b32_e32 v5, 0
.LBB125_18:
	scratch_store_b64 off, v[4:5], off offset:316 ; 8-byte Folded Spill
	scratch_load_b32 v4, off, off offset:360 ; 4-byte Folded Reload
	s_waitcnt vmcnt(0)
	v_add_nc_u32_e32 v4, 4, v4
	s_delay_alu instid0(VALU_DEP_1) | instskip(SKIP_2) | instid1(VALU_DEP_1)
	v_mad_i64_i32 v[8:9], null, s16, v4, 0
	scratch_store_b32 off, v4, off offset:364 ; 4-byte Folded Spill
	v_lshlrev_b64 v[8:9], 3, v[8:9]
	v_add_co_u32 v12, vcc_lo, s12, v8
	s_delay_alu instid0(VALU_DEP_2)
	v_add_co_ci_u32_e32 v13, vcc_lo, s13, v9, vcc_lo
	s_and_b32 vcc_lo, exec_lo, s3
	s_cbranch_vccnz .LBB125_21
; %bb.19:
	v_lshlrev_b64 v[8:9], 3, v[221:222]
	s_delay_alu instid0(VALU_DEP_1) | instskip(NEXT) | instid1(VALU_DEP_2)
	v_add_co_u32 v8, vcc_lo, v12, v8
	v_add_co_ci_u32_e32 v9, vcc_lo, v13, v9, vcc_lo
	s_clause 0x1
	flat_load_b64 v[10:11], v[8:9]
	flat_load_b64 v[14:15], v[8:9] offset:512
	s_waitcnt vmcnt(1) lgkmcnt(1)
	v_mul_f64 v[4:5], v[10:11], s[8:9]
	scratch_store_b64 off, v[4:5], off offset:324 ; 8-byte Folded Spill
	s_waitcnt vmcnt(0) lgkmcnt(0)
	v_mul_f64 v[4:5], v[14:15], s[8:9]
	s_and_b32 vcc_lo, exec_lo, s3
	scratch_store_b64 off, v[4:5], off offset:332 ; 8-byte Folded Spill
	s_cbranch_vccnz .LBB125_22
.LBB125_20:
	v_lshlrev_b64 v[14:15], 3, v[221:222]
	s_delay_alu instid0(VALU_DEP_1) | instskip(NEXT) | instid1(VALU_DEP_2)
	v_add_co_u32 v12, vcc_lo, v12, v14
	v_add_co_ci_u32_e32 v13, vcc_lo, v13, v15, vcc_lo
	s_clause 0x1
	flat_load_b64 v[14:15], v[12:13] offset:1024
	flat_load_b64 v[26:27], v[12:13] offset:1536
	s_waitcnt vmcnt(1) lgkmcnt(1)
	v_mul_f64 v[4:5], v[14:15], s[8:9]
	scratch_store_b64 off, v[4:5], off offset:340 ; 8-byte Folded Spill
	s_waitcnt vmcnt(0) lgkmcnt(0)
	v_mul_f64 v[4:5], v[26:27], s[8:9]
	s_branch .LBB125_23
.LBB125_21:
	v_mov_b32_e32 v4, 0
	v_mov_b32_e32 v5, 0
	scratch_store_b64 off, v[4:5], off offset:324 ; 8-byte Folded Spill
	v_mov_b32_e32 v4, 0
	v_mov_b32_e32 v5, 0
	s_and_b32 vcc_lo, exec_lo, s3
	scratch_store_b64 off, v[4:5], off offset:332 ; 8-byte Folded Spill
	s_cbranch_vccz .LBB125_20
.LBB125_22:
	v_mov_b32_e32 v4, 0
	v_mov_b32_e32 v5, 0
	scratch_store_b64 off, v[4:5], off offset:340 ; 8-byte Folded Spill
	v_mov_b32_e32 v4, 0
	v_mov_b32_e32 v5, 0
.LBB125_23:
	scratch_store_b64 off, v[4:5], off offset:348 ; 8-byte Folded Spill
	scratch_load_b32 v4, off, off offset:360 ; 4-byte Folded Reload
	v_lshl_or_b32 v22, v24, 5, v25
	v_dual_mov_b32 v118, 0x7f800000 :: v_dual_mov_b32 v125, 0x7f800000
	v_dual_mov_b32 v120, 0x7f800000 :: v_dual_mov_b32 v197, 0x7f800000
	;; [unrolled: 1-line block ×25, first 2 shown]
	v_mov_b32_e32 v214, 0x7f800000
	v_mov_b32_e32 v138, 0x7f800000
	;; [unrolled: 1-line block ×7, first 2 shown]
	s_mov_b32 s19, 0
	s_mov_b32 s18, -1
	v_mov_b32_e32 v243, 0x7f800000
	v_mov_b32_e32 v123, 0x7f800000
	;; [unrolled: 1-line block ×3, first 2 shown]
	s_waitcnt vmcnt(0)
	v_dual_mov_b32 v137, 0x7f800000 :: v_dual_lshlrev_b32 v4, 3, v4
	s_delay_alu instid0(VALU_DEP_1)
	v_lshl_add_u32 v5, v61, 5, v4
	v_mov_b32_e32 v4, 0x7f800000
	scratch_store_b32 off, v4, off          ; 4-byte Folded Spill
	v_add_nc_u32_e32 v4, 0x4000, v22
	scratch_store_b32 off, v4, off offset:372 ; 4-byte Folded Spill
	ds_store_b64 v22, v[0:1] offset:16384
	ds_store_2addr_stride64_b64 v5, v[2:3], v[16:17] offset1:4
	v_mov_b32_e32 v0, 0x7f800000
	scratch_store_b32 off, v5, off offset:368 ; 4-byte Folded Spill
	ds_store_2addr_stride64_b64 v5, v[18:19], v[20:21] offset0:8 offset1:12
	s_waitcnt lgkmcnt(0)
	s_waitcnt_vscnt null, 0x0
	scratch_store_b32 off, v0, off offset:4 ; 4-byte Folded Spill
	v_mov_b32_e32 v0, 0x7f800000
	scratch_store_b32 off, v0, off offset:8 ; 4-byte Folded Spill
	s_waitcnt_vscnt null, 0x0
	s_barrier
	buffer_gl0_inv
	scratch_store_b32 off, v49, off offset:16 ; 4-byte Folded Spill
.LBB125_24:                             ; =>This Inner Loop Header: Depth=1
	s_lshl_b32 s19, s19, 3
	v_mov_b32_e32 v199, v111
	v_lshl_add_u32 v4, v217, 5, s19
	v_lshl_add_u32 v5, v49, 5, s19
	v_dual_mov_b32 v203, v102 :: v_dual_mov_b32 v210, v95
	v_dual_mov_b32 v193, v75 :: v_dual_mov_b32 v218, v132
	ds_load_b128 v[16:19], v4
	ds_load_b128 v[0:3], v5 offset:16384
	ds_load_b128 v[112:115], v5 offset:16640
	;; [unrolled: 1-line block ×3, first 2 shown]
	v_dual_mov_b32 v77, v68 :: v_dual_mov_b32 v132, v71
	v_mov_b32_e32 v68, v69
	v_dual_mov_b32 v219, v133 :: v_dual_mov_b32 v192, v72
	v_mov_b32_e32 v133, v70
	v_dual_mov_b32 v191, v73 :: v_dual_mov_b32 v194, v74
	s_mov_b32 s19, 2
	s_and_not1_b32 vcc_lo, exec_lo, s18
	s_mov_b32 s18, 0
	s_waitcnt lgkmcnt(2)
	v_add_f64 v[6:7], v[2:3], v[18:19]
	scratch_store_b64 off, v[6:7], off offset:52 ; 8-byte Folded Spill
	v_add_f64 v[6:7], v[0:1], v[16:17]
	scratch_store_b64 off, v[6:7], off offset:116 ; 8-byte Folded Spill
	s_waitcnt lgkmcnt(1)
	v_add_f64 v[6:7], v[114:115], v[18:19]
	scratch_store_b64 off, v[6:7], off offset:20 ; 8-byte Folded Spill
	v_add_f64 v[6:7], v[112:113], v[16:17]
	scratch_store_b64 off, v[6:7], off offset:84 ; 8-byte Folded Spill
	ds_load_b128 v[33:36], v5 offset:16896
	ds_load_b128 v[37:40], v5 offset:17152
	s_waitcnt lgkmcnt(1)
	v_add_f64 v[6:7], v[35:36], v[18:19]
	scratch_store_b64 off, v[6:7], off offset:60 ; 8-byte Folded Spill
	v_add_f64 v[6:7], v[33:34], v[16:17]
	scratch_store_b64 off, v[6:7], off offset:124 ; 8-byte Folded Spill
	s_waitcnt lgkmcnt(0)
	v_add_f64 v[6:7], v[39:40], v[18:19]
	scratch_store_b64 off, v[6:7], off offset:28 ; 8-byte Folded Spill
	v_add_f64 v[6:7], v[37:38], v[16:17]
	scratch_store_b64 off, v[6:7], off offset:92 ; 8-byte Folded Spill
	ds_load_b128 v[41:44], v5 offset:17408
	ds_load_b128 v[45:48], v5 offset:17664
	;; [unrolled: 12-line block ×3, first 2 shown]
	s_waitcnt lgkmcnt(1)
	v_add_f64 v[5:6], v[51:52], v[18:19]
	scratch_store_b64 off, v[5:6], off offset:76 ; 8-byte Folded Spill
	v_add_f64 v[5:6], v[49:50], v[16:17]
	scratch_store_b64 off, v[5:6], off offset:140 ; 8-byte Folded Spill
	s_waitcnt lgkmcnt(0)
	v_add_f64 v[5:6], v[55:56], v[18:19]
	scratch_store_b64 off, v[5:6], off offset:44 ; 8-byte Folded Spill
	v_add_f64 v[5:6], v[53:54], v[16:17]
	scratch_store_b64 off, v[5:6], off offset:108 ; 8-byte Folded Spill
	;; [unrolled: 2-line block ×18, first 2 shown]
	ds_load_b128 v[16:19], v4 offset:2048
	ds_load_b128 v[29:32], v4 offset:3072
	scratch_load_b32 v205, off, off offset:8 ; 4-byte Folded Reload
	s_waitcnt lgkmcnt(1)
	v_add_f64 v[5:6], v[43:44], v[18:19]
	v_add_f64 v[88:89], v[2:3], v[18:19]
	;; [unrolled: 1-line block ×12, first 2 shown]
	s_waitcnt lgkmcnt(0)
	v_add_f64 v[223:224], v[2:3], v[31:32]
	v_add_f64 v[225:226], v[0:1], v[29:30]
	;; [unrolled: 1-line block ×16, first 2 shown]
	scratch_store_b64 off, v[5:6], off offset:308 ; 8-byte Folded Spill
	v_add_f64 v[5:6], v[47:48], v[18:19]
	scratch_store_b64 off, v[5:6], off offset:292 ; 8-byte Folded Spill
	v_add_f64 v[5:6], v[51:52], v[18:19]
	;; [unrolled: 2-line block ×4, first 2 shown]
	scratch_store_b64 off, v[5:6], off offset:300 ; 8-byte Folded Spill
	ds_load_b128 v[16:19], v4 offset:4096
	ds_load_b128 v[29:32], v4 offset:5120
	s_waitcnt lgkmcnt(1)
	v_add_f64 v[62:63], v[2:3], v[18:19]
	v_add_f64 v[69:70], v[0:1], v[16:17]
	;; [unrolled: 1-line block ×16, first 2 shown]
	s_waitcnt lgkmcnt(0)
	v_add_f64 v[96:97], v[2:3], v[31:32]
	v_add_f64 v[108:109], v[0:1], v[29:30]
	;; [unrolled: 1-line block ×16, first 2 shown]
	ds_load_b128 v[16:19], v4 offset:6144
	ds_load_b128 v[29:32], v4 offset:7168
	s_waitcnt lgkmcnt(1)
	v_add_f64 v[4:5], v[0:1], v[16:17]
	v_add_f64 v[6:7], v[112:113], v[16:17]
	;; [unrolled: 1-line block ×8, first 2 shown]
	s_waitcnt lgkmcnt(0)
	v_add_f64 v[0:1], v[0:1], v[29:30]
	v_add_f64 v[112:113], v[112:113], v[29:30]
	;; [unrolled: 1-line block ×8, first 2 shown]
	scratch_load_b64 v[53:54], off, off offset:116 ; 8-byte Folded Reload
	v_add_f64 v[8:9], v[2:3], v[18:19]
	v_add_f64 v[12:13], v[114:115], v[18:19]
	;; [unrolled: 1-line block ×16, first 2 shown]
	v_cvt_f32_f64_e32 v4, v[4:5]
	v_cvt_f32_f64_e32 v0, v[0:1]
	;; [unrolled: 1-line block ×4, first 2 shown]
	scratch_load_b32 v2, off, off offset:4  ; 4-byte Folded Reload
	v_min3_f32 v201, v4, v5, v201
	v_cvt_f32_f64_e32 v4, v[6:7]
	v_cvt_f32_f64_e32 v5, v[12:13]
	v_min3_f32 v125, v0, v1, v125
	v_cvt_f32_f64_e32 v0, v[112:113]
	v_cvt_f32_f64_e32 v1, v[114:115]
	s_delay_alu instid0(VALU_DEP_4) | instskip(SKIP_2) | instid1(VALU_DEP_4)
	v_min3_f32 v202, v4, v5, v202
	v_cvt_f32_f64_e32 v4, v[10:11]
	v_cvt_f32_f64_e32 v5, v[64:65]
	v_min3_f32 v124, v0, v1, v124
	v_cvt_f32_f64_e32 v0, v[33:34]
	v_cvt_f32_f64_e32 v1, v[35:36]
	s_delay_alu instid0(VALU_DEP_4) | instskip(SKIP_2) | instid1(VALU_DEP_1)
	v_min3_f32 v134, v4, v5, v134
	v_cvt_f32_f64_e32 v4, v[14:15]
	v_cvt_f32_f64_e32 v5, v[23:24]
	v_min3_f32 v135, v4, v5, v135
	v_cvt_f32_f64_e32 v4, v[116:117]
	v_cvt_f32_f64_e32 v5, v[57:58]
	s_delay_alu instid0(VALU_DEP_1) | instskip(SKIP_2) | instid1(VALU_DEP_1)
	v_min3_f32 v197, v4, v5, v197
	v_cvt_f32_f64_e32 v4, v[80:81]
	v_cvt_f32_f64_e32 v5, v[25:26]
	v_min3_f32 v78, v4, v5, v78
	v_cvt_f32_f64_e32 v4, v[59:60]
	v_cvt_f32_f64_e32 v5, v[27:28]
	s_delay_alu instid0(VALU_DEP_1)
	v_min3_f32 v128, v4, v5, v128
	v_cvt_f32_f64_e32 v4, v[16:17]
	v_cvt_f32_f64_e32 v5, v[18:19]
	s_waitcnt vmcnt(1)
	v_cvt_f32_f64_e32 v53, v[53:54]
	scratch_load_b64 v[54:55], off, off offset:52 ; 8-byte Folded Reload
	v_min3_f32 v123, v4, v5, v123
	s_waitcnt vmcnt(1)
	v_min3_f32 v2, v0, v1, v2
	v_cvt_f32_f64_e32 v0, v[37:38]
	v_cvt_f32_f64_e32 v1, v[39:40]
	scratch_store_b32 off, v2, off offset:4 ; 4-byte Folded Spill
	scratch_load_b32 v2, off, off           ; 4-byte Folded Reload
	v_min3_f32 v122, v0, v1, v122
	v_cvt_f32_f64_e32 v0, v[41:42]
	v_cvt_f32_f64_e32 v1, v[43:44]
	s_delay_alu instid0(VALU_DEP_1) | instskip(SKIP_2) | instid1(VALU_DEP_1)
	v_min3_f32 v243, v0, v1, v243
	v_cvt_f32_f64_e32 v0, v[45:46]
	v_cvt_f32_f64_e32 v1, v[47:48]
	v_min3_f32 v120, v0, v1, v120
	v_cvt_f32_f64_e32 v0, v[49:50]
	scratch_load_b32 v49, off, off offset:16 ; 4-byte Folded Reload
	v_cvt_f32_f64_e32 v1, v[51:52]
	s_waitcnt vmcnt(2)
	v_cvt_f32_f64_e32 v54, v[54:55]
	s_delay_alu instid0(VALU_DEP_1)
	v_min3_f32 v143, v53, v54, v143
	scratch_load_b64 v[53:54], off, off offset:84 ; 8-byte Folded Reload
	s_waitcnt vmcnt(2)
	v_min3_f32 v2, v0, v1, v2
	v_cvt_f32_f64_e32 v0, v[29:30]
	v_cvt_f32_f64_e32 v1, v[31:32]
	scratch_store_b32 off, v2, off          ; 4-byte Folded Spill
	v_min3_f32 v118, v0, v1, v118
	s_waitcnt vmcnt(0)
	v_cvt_f32_f64_e32 v53, v[53:54]
	scratch_load_b64 v[54:55], off, off offset:20 ; 8-byte Folded Reload
	s_waitcnt vmcnt(0)
	v_cvt_f32_f64_e32 v54, v[54:55]
	s_delay_alu instid0(VALU_DEP_1)
	v_min3_f32 v142, v53, v54, v142
	scratch_load_b64 v[53:54], off, off offset:124 ; 8-byte Folded Reload
	s_waitcnt vmcnt(0)
	v_cvt_f32_f64_e32 v53, v[53:54]
	scratch_load_b64 v[54:55], off, off offset:60 ; 8-byte Folded Reload
	s_waitcnt vmcnt(0)
	v_cvt_f32_f64_e32 v54, v[54:55]
	s_delay_alu instid0(VALU_DEP_1)
	v_min3_f32 v141, v53, v54, v141
	scratch_load_b64 v[53:54], off, off offset:92 ; 8-byte Folded Reload
	;; [unrolled: 8-line block ×14, first 2 shown]
	s_waitcnt vmcnt(0)
	v_cvt_f32_f64_e32 v53, v[53:54]
	scratch_load_b64 v[54:55], off, off offset:260 ; 8-byte Folded Reload
	s_waitcnt vmcnt(0)
	v_cvt_f32_f64_e32 v54, v[54:55]
	s_delay_alu instid0(VALU_DEP_1) | instskip(SKIP_2) | instid1(VALU_DEP_1)
	v_min3_f32 v255, v53, v54, v255
	v_cvt_f32_f64_e32 v53, v[110:111]
	v_cvt_f32_f64_e32 v54, v[88:89]
	v_min3_f32 v214, v53, v54, v214
	v_cvt_f32_f64_e32 v53, v[92:93]
	v_cvt_f32_f64_e32 v54, v[126:127]
	s_delay_alu instid0(VALU_DEP_1) | instskip(SKIP_4) | instid1(VALU_DEP_3)
	v_min3_f32 v213, v53, v54, v213
	v_cvt_f32_f64_e32 v53, v[102:103]
	v_cvt_f32_f64_e32 v54, v[82:83]
	v_mov_b32_e32 v102, v203
	v_mov_b32_e32 v111, v199
	v_min3_f32 v212, v53, v54, v212
	v_cvt_f32_f64_e32 v53, v[98:99]
	v_cvt_f32_f64_e32 v54, v[75:76]
	v_mov_b32_e32 v75, v193
	s_delay_alu instid0(VALU_DEP_2)
	v_min3_f32 v211, v53, v54, v211
	scratch_load_b64 v[54:55], off, off offset:308 ; 8-byte Folded Reload
	v_cvt_f32_f64_e32 v53, v[94:95]
	v_mov_b32_e32 v95, v210
	s_waitcnt vmcnt(0)
	v_cvt_f32_f64_e32 v54, v[54:55]
	s_delay_alu instid0(VALU_DEP_1) | instskip(SKIP_4) | instid1(VALU_DEP_1)
	v_min3_f32 v95, v53, v54, v95
	scratch_load_b64 v[54:55], off, off offset:292 ; 8-byte Folded Reload
	v_cvt_f32_f64_e32 v53, v[90:91]
	s_waitcnt vmcnt(0)
	v_cvt_f32_f64_e32 v54, v[54:55]
	v_min3_f32 v209, v53, v54, v209
	scratch_load_b64 v[54:55], off, off offset:284 ; 8-byte Folded Reload
	v_cvt_f32_f64_e32 v53, v[86:87]
	s_waitcnt vmcnt(0)
	v_cvt_f32_f64_e32 v54, v[54:55]
	s_delay_alu instid0(VALU_DEP_1)
	v_min3_f32 v208, v53, v54, v208
	scratch_load_b64 v[53:54], off, off offset:300 ; 8-byte Folded Reload
	s_waitcnt vmcnt(0)
	v_cvt_f32_f64_e32 v53, v[53:54]
	scratch_load_b64 v[54:55], off, off offset:276 ; 8-byte Folded Reload
	s_waitcnt vmcnt(0)
	v_cvt_f32_f64_e32 v54, v[54:55]
	s_delay_alu instid0(VALU_DEP_1) | instskip(SKIP_2) | instid1(VALU_DEP_1)
	v_min3_f32 v207, v53, v54, v207
	v_cvt_f32_f64_e32 v53, v[225:226]
	v_cvt_f32_f64_e32 v54, v[223:224]
	v_min3_f32 v206, v53, v54, v206
	v_cvt_f32_f64_e32 v53, v[229:230]
	v_cvt_f32_f64_e32 v54, v[227:228]
	s_delay_alu instid0(VALU_DEP_1)
	v_min3_f32 v205, v53, v54, v205
	v_cvt_f32_f64_e32 v53, v[233:234]
	v_cvt_f32_f64_e32 v54, v[231:232]
	scratch_store_b32 off, v205, off offset:8 ; 4-byte Folded Spill
	v_min3_f32 v204, v53, v54, v204
	v_cvt_f32_f64_e32 v53, v[237:238]
	v_cvt_f32_f64_e32 v54, v[84:85]
	s_delay_alu instid0(VALU_DEP_1) | instskip(SKIP_2) | instid1(VALU_DEP_1)
	v_min3_f32 v102, v53, v54, v102
	v_cvt_f32_f64_e32 v53, v[241:242]
	v_cvt_f32_f64_e32 v54, v[66:67]
	v_min3_f32 v200, v53, v54, v200
	v_cvt_f32_f64_e32 v53, v[130:131]
	v_cvt_f32_f64_e32 v54, v[20:21]
	s_delay_alu instid0(VALU_DEP_1) | instskip(SKIP_2) | instid1(VALU_DEP_1)
	v_min3_f32 v111, v53, v54, v111
	v_cvt_f32_f64_e32 v53, v[249:250]
	v_cvt_f32_f64_e32 v54, v[247:248]
	v_min3_f32 v240, v53, v54, v240
	v_cvt_f32_f64_e32 v53, v[253:254]
	v_cvt_f32_f64_e32 v54, v[251:252]
	s_delay_alu instid0(VALU_DEP_1) | instskip(SKIP_4) | instid1(VALU_DEP_3)
	v_min3_f32 v196, v53, v54, v196
	v_cvt_f32_f64_e32 v53, v[69:70]
	v_cvt_f32_f64_e32 v54, v[62:63]
	v_dual_mov_b32 v69, v68 :: v_dual_mov_b32 v70, v133
	v_dual_mov_b32 v68, v77 :: v_dual_mov_b32 v133, v219
	v_min3_f32 v236, v53, v54, v236
	v_cvt_f32_f64_e32 v53, v[71:72]
	v_cvt_f32_f64_e32 v54, v[144:145]
	v_mov_b32_e32 v72, v192
	v_dual_mov_b32 v71, v132 :: v_dual_mov_b32 v132, v218
	s_delay_alu instid0(VALU_DEP_3) | instskip(SKIP_3) | instid1(VALU_DEP_1)
	v_min3_f32 v195, v53, v54, v195
	v_cvt_f32_f64_e32 v53, v[73:74]
	v_cvt_f32_f64_e32 v54, v[151:152]
	v_dual_mov_b32 v74, v194 :: v_dual_mov_b32 v73, v191
	v_min3_f32 v74, v53, v54, v74
	v_cvt_f32_f64_e32 v53, v[147:148]
	v_cvt_f32_f64_e32 v54, v[155:156]
	s_delay_alu instid0(VALU_DEP_1) | instskip(SKIP_2) | instid1(VALU_DEP_1)
	v_min3_f32 v75, v53, v54, v75
	v_cvt_f32_f64_e32 v53, v[149:150]
	v_cvt_f32_f64_e32 v54, v[157:158]
	v_min3_f32 v72, v53, v54, v72
	v_cvt_f32_f64_e32 v53, v[153:154]
	v_cvt_f32_f64_e32 v54, v[161:162]
	s_delay_alu instid0(VALU_DEP_1) | instskip(SKIP_2) | instid1(VALU_DEP_1)
	v_min3_f32 v73, v53, v54, v73
	v_cvt_f32_f64_e32 v53, v[159:160]
	v_cvt_f32_f64_e32 v54, v[165:166]
	;; [unrolled: 7-line block ×6, first 2 shown]
	v_min3_f32 v215, v53, v54, v215
	v_cvt_f32_f64_e32 v53, v[169:170]
	v_cvt_f32_f64_e32 v54, v[171:172]
	s_delay_alu instid0(VALU_DEP_1)
	v_min3_f32 v246, v53, v54, v246
	s_cbranch_vccz .LBB125_24
; %bb.25:
	scratch_load_b32 v1, off, off offset:360 ; 4-byte Folded Reload
	v_lshlrev_b32_e32 v0, 5, v61
	s_load_b32 s19, s[0:1], 0x8
	v_dual_mov_b32 v43, v214 :: v_dual_mov_b32 v42, v213
	v_dual_mov_b32 v41, v212 :: v_dual_mov_b32 v40, v211
	;; [unrolled: 1-line block ×5, first 2 shown]
	v_mov_b32_e32 v106, v196
	s_mov_b32 s18, 8
	s_waitcnt lgkmcnt(0)
	s_cmp_gt_i32 s19, 8
	s_waitcnt vmcnt(0)
	v_lshl_add_u32 v0, v1, 3, v0
	scratch_load_b64 v[1:2], off, off offset:316 ; 8-byte Folded Reload
	s_waitcnt vmcnt(0)
	ds_store_b64 v22, v[1:2] offset:18432
	s_clause 0x1
	scratch_load_b64 v[1:2], off, off offset:324
	scratch_load_b64 v[3:4], off, off offset:332
	s_waitcnt vmcnt(0)
	ds_store_2addr_stride64_b64 v0, v[1:2], v[3:4] offset0:16 offset1:20
	s_clause 0x1
	scratch_load_b64 v[1:2], off, off offset:340
	scratch_load_b64 v[3:4], off, off offset:348
	s_waitcnt vmcnt(0)
	ds_store_2addr_stride64_b64 v0, v[1:2], v[3:4] offset0:24 offset1:28
	s_waitcnt lgkmcnt(0)
	s_waitcnt_vscnt null, 0x0
	s_barrier
	buffer_gl0_inv
	scratch_store_b32 off, v217, off offset:20 ; 4-byte Folded Spill
	s_cbranch_scc0 .LBB125_50
; %bb.26:
	v_mad_i64_i32 v[1:2], null, v220, s22, 0
	v_add_nc_u32_e32 v3, 0x4800, v22
	v_or_b32_e32 v0, 0x2000, v0
	v_mov_b32_e32 v37, v216
	s_add_i32 s19, s19, -8
	s_clause 0x1
	scratch_store_b32 off, v3, off offset:376
	scratch_store_b32 off, v0, off offset:380
	v_lshlrev_b64 v[1:2], 3, v[1:2]
	s_delay_alu instid0(VALU_DEP_1) | instskip(NEXT) | instid1(VALU_DEP_2)
	v_add_co_u32 v0, vcc_lo, s20, v1
	v_add_co_ci_u32_e32 v1, vcc_lo, s21, v2, vcc_lo
	v_lshlrev_b64 v[2:3], 3, v[221:222]
	s_mov_b32 s20, 0
	s_clause 0x1
	scratch_store_b64 off, v[2:3], off offset:300
	scratch_store_b32 off, v0, off offset:384
	v_add_co_u32 v0, vcc_lo, v0, 32
	s_clause 0x1
	scratch_store_b32 off, v0, off offset:392
	scratch_store_b32 off, v1, off offset:388
	v_add_co_ci_u32_e32 v0, vcc_lo, 0, v1, vcc_lo
	v_mov_b32_e32 v1, 0
	s_clause 0x1
	scratch_store_b32 off, v0, off offset:396
	scratch_store_b64 off, v[0:1], off offset:308
.LBB125_27:                             ; =>This Loop Header: Depth=1
                                        ;     Child Loop BB125_36 Depth 2
                                        ;     Child Loop BB125_47 Depth 2
	v_mov_b32_e32 v65, v98
	v_mov_b32_e32 v53, v99
	;; [unrolled: 1-line block ×3, first 2 shown]
	s_and_b32 vcc_lo, exec_lo, s3
	s_cbranch_vccnz .LBB125_29
; %bb.28:                               ;   in Loop: Header=BB125_27 Depth=1
	s_clause 0x1
	scratch_load_b32 v0, off, off offset:356
	scratch_load_b64 v[1:2], off, off offset:308
	s_waitcnt vmcnt(0)
	v_mov_b32_e32 v3, v2
	v_or_b32_e32 v2, s18, v0
	s_delay_alu instid0(VALU_DEP_2)
	v_mov_b32_e32 v1, v3
	scratch_store_b64 off, v[0:1], off offset:308 ; 8-byte Folded Spill
	v_lshlrev_b64 v[0:1], 3, v[2:3]
	scratch_load_b32 v2, off, off offset:384 ; 4-byte Folded Reload
	s_waitcnt vmcnt(0)
	v_add_co_u32 v0, vcc_lo, v2, v0
	scratch_load_b32 v2, off, off offset:388 ; 4-byte Folded Reload
	s_waitcnt vmcnt(0)
	v_add_co_ci_u32_e32 v1, vcc_lo, v2, v1, vcc_lo
	flat_load_b64 v[0:1], v[0:1]
	s_waitcnt vmcnt(0) lgkmcnt(0)
	v_mul_f64 v[0:1], v[0:1], s[8:9]
	s_branch .LBB125_30
.LBB125_29:                             ;   in Loop: Header=BB125_27 Depth=1
	v_mov_b32_e32 v0, 0
	v_mov_b32_e32 v1, 0
.LBB125_30:                             ;   in Loop: Header=BB125_27 Depth=1
	scratch_store_b64 off, v[0:1], off offset:284 ; 8-byte Folded Spill
	scratch_load_b32 v0, off, off offset:360 ; 4-byte Folded Reload
	s_waitcnt vmcnt(0)
	v_add_nc_u32_e32 v4, s18, v0
	s_delay_alu instid0(VALU_DEP_1) | instskip(NEXT) | instid1(VALU_DEP_1)
	v_mad_u64_u32 v[0:1], null, v4, s16, 0
	v_mad_u64_u32 v[2:3], null, v4, s17, v[1:2]
	s_delay_alu instid0(VALU_DEP_1) | instskip(NEXT) | instid1(VALU_DEP_1)
	v_mov_b32_e32 v1, v2
	v_lshlrev_b64 v[0:1], 3, v[0:1]
	s_delay_alu instid0(VALU_DEP_1) | instskip(NEXT) | instid1(VALU_DEP_2)
	v_add_co_u32 v0, vcc_lo, s12, v0
	v_add_co_ci_u32_e32 v1, vcc_lo, s13, v1, vcc_lo
	s_and_b32 vcc_lo, exec_lo, s3
	s_cbranch_vccnz .LBB125_33
; %bb.31:                               ;   in Loop: Header=BB125_27 Depth=1
	scratch_load_b64 v[2:3], off, off offset:300 ; 8-byte Folded Reload
	s_waitcnt vmcnt(0)
	v_add_co_u32 v2, vcc_lo, v0, v2
	v_add_co_ci_u32_e32 v3, vcc_lo, v1, v3, vcc_lo
	s_clause 0x1
	flat_load_b64 v[10:11], v[2:3]
	flat_load_b64 v[2:3], v[2:3] offset:512
	s_waitcnt vmcnt(1) lgkmcnt(1)
	v_mul_f64 v[4:5], v[10:11], s[8:9]
	s_waitcnt vmcnt(0) lgkmcnt(0)
	v_mul_f64 v[2:3], v[2:3], s[8:9]
	scratch_store_b64 off, v[4:5], off offset:292 ; 8-byte Folded Spill
	v_mov_b32_e32 v36, v215
	s_and_b32 vcc_lo, exec_lo, s3
	scratch_store_b64 off, v[2:3], off offset:316 ; 8-byte Folded Spill
	s_cbranch_vccnz .LBB125_34
.LBB125_32:                             ;   in Loop: Header=BB125_27 Depth=1
	s_clause 0x1
	scratch_load_b32 v52, off, off offset:8
	scratch_load_b64 v[2:3], off, off offset:300
	v_mov_b32_e32 v64, v102
	s_waitcnt vmcnt(0)
	v_add_co_u32 v0, vcc_lo, v0, v2
	v_add_co_ci_u32_e32 v1, vcc_lo, v1, v3, vcc_lo
	s_clause 0x1
	flat_load_b64 v[2:3], v[0:1] offset:1024
	flat_load_b64 v[0:1], v[0:1] offset:1536
	s_waitcnt vmcnt(1) lgkmcnt(1)
	v_mul_f64 v[2:3], v[2:3], s[8:9]
	s_waitcnt vmcnt(0) lgkmcnt(0)
	v_mul_f64 v[0:1], v[0:1], s[8:9]
	scratch_store_b64 off, v[2:3], off offset:324 ; 8-byte Folded Spill
	s_branch .LBB125_35
.LBB125_33:                             ;   in Loop: Header=BB125_27 Depth=1
	v_mov_b32_e32 v2, 0
	v_mov_b32_e32 v3, 0
	scratch_store_b64 off, v[2:3], off offset:292 ; 8-byte Folded Spill
	v_mov_b32_e32 v2, 0
	v_dual_mov_b32 v3, 0 :: v_dual_mov_b32 v36, v215
	s_and_b32 vcc_lo, exec_lo, s3
	scratch_store_b64 off, v[2:3], off offset:316 ; 8-byte Folded Spill
	s_cbranch_vccz .LBB125_32
.LBB125_34:                             ;   in Loop: Header=BB125_27 Depth=1
	scratch_load_b32 v52, off, off offset:8 ; 4-byte Folded Reload
	v_mov_b32_e32 v0, 0
	v_dual_mov_b32 v64, v102 :: v_dual_mov_b32 v1, 0
	scratch_store_b64 off, v[0:1], off offset:324 ; 8-byte Folded Spill
	v_mov_b32_e32 v0, 0
	v_mov_b32_e32 v1, 0
.LBB125_35:                             ;   in Loop: Header=BB125_27 Depth=1
	v_dual_mov_b32 v235, v57 :: v_dual_mov_b32 v110, v200
	v_mov_b32_e32 v239, v106
	v_mov_b32_e32 v45, v95
	s_mov_b32 s22, 0
	s_mov_b32 s21, -1
	scratch_store_b64 off, v[0:1], off offset:332 ; 8-byte Folded Spill
.LBB125_36:                             ;   Parent Loop BB125_27 Depth=1
                                        ; =>  This Inner Loop Header: Depth=2
	s_lshl_b32 s22, s22, 3
	s_and_not1_b32 vcc_lo, exec_lo, s21
	v_lshl_add_u32 v104, v217, 5, s22
	v_lshl_add_u32 v4, v49, 5, s22
	s_mov_b32 s22, 2
	s_mov_b32 s21, 0
	ds_load_b128 v[46:49], v104 offset:8192
	ds_load_b128 v[0:3], v4 offset:18432
	;; [unrolled: 1-line block ×4, first 2 shown]
	s_waitcnt lgkmcnt(2)
	v_add_f64 v[144:145], v[2:3], v[48:49]
	s_waitcnt lgkmcnt(1)
	v_add_f64 v[5:6], v[157:158], v[48:49]
	v_add_f64 v[116:117], v[0:1], v[46:47]
	scratch_store_b64 off, v[5:6], off offset:8 ; 8-byte Folded Spill
	v_add_f64 v[5:6], v[155:156], v[46:47]
	v_cvt_f32_f64_e32 v116, v[116:117]
	v_cvt_f32_f64_e32 v117, v[144:145]
	scratch_store_b64 off, v[5:6], off offset:76 ; 8-byte Folded Spill
	ds_load_b128 v[163:166], v4 offset:18944
	ds_load_b128 v[167:170], v4 offset:19200
	v_min3_f32 v143, v116, v117, v143
	s_waitcnt lgkmcnt(1)
	v_add_f64 v[5:6], v[165:166], v[48:49]
	s_waitcnt lgkmcnt(0)
	v_add_f64 v[54:55], v[167:168], v[159:160]
	scratch_store_b64 off, v[5:6], off offset:52 ; 8-byte Folded Spill
	v_add_f64 v[5:6], v[163:164], v[46:47]
	v_cvt_f32_f64_e32 v54, v[54:55]
	scratch_store_b64 off, v[5:6], off offset:108 ; 8-byte Folded Spill
	v_add_f64 v[5:6], v[169:170], v[48:49]
	scratch_store_b64 off, v[5:6], off offset:28 ; 8-byte Folded Spill
	v_add_f64 v[5:6], v[167:168], v[46:47]
	scratch_store_b64 off, v[5:6], off offset:84 ; 8-byte Folded Spill
	ds_load_b128 v[171:174], v4 offset:19456
	ds_load_b128 v[175:178], v4 offset:19712
	s_waitcnt lgkmcnt(1)
	v_add_f64 v[5:6], v[173:174], v[48:49]
	v_add_f64 v[28:29], v[171:172], v[159:160]
	scratch_store_b64 off, v[5:6], off offset:60 ; 8-byte Folded Spill
	v_add_f64 v[5:6], v[171:172], v[46:47]
	v_cvt_f32_f64_e32 v28, v[28:29]
	scratch_store_b64 off, v[5:6], off offset:116 ; 8-byte Folded Spill
	s_waitcnt lgkmcnt(0)
	v_add_f64 v[5:6], v[177:178], v[48:49]
	scratch_store_b64 off, v[5:6], off offset:36 ; 8-byte Folded Spill
	v_add_f64 v[5:6], v[175:176], v[46:47]
	scratch_store_b64 off, v[5:6], off offset:92 ; 8-byte Folded Spill
	ds_load_b128 v[179:182], v4 offset:19968
	ds_load_b128 v[183:186], v4 offset:20224
	s_waitcnt lgkmcnt(1)
	v_add_f64 v[4:5], v[181:182], v[48:49]
	scratch_store_b64 off, v[4:5], off offset:68 ; 8-byte Folded Spill
	v_add_f64 v[4:5], v[179:180], v[46:47]
	scratch_store_b64 off, v[4:5], off offset:124 ; 8-byte Folded Spill
	s_waitcnt lgkmcnt(0)
	v_add_f64 v[4:5], v[185:186], v[48:49]
	scratch_store_b64 off, v[4:5], off offset:44 ; 8-byte Folded Spill
	v_add_f64 v[4:5], v[183:184], v[46:47]
	scratch_store_b64 off, v[4:5], off offset:100 ; 8-byte Folded Spill
	;; [unrolled: 2-line block ×16, first 2 shown]
	ds_load_b128 v[159:162], v104 offset:10240
	ds_load_b128 v[187:190], v104 offset:11264
	s_waitcnt lgkmcnt(1)
	v_add_f64 v[4:5], v[177:178], v[161:162]
	v_add_f64 v[26:27], v[2:3], v[161:162]
	;; [unrolled: 1-line block ×12, first 2 shown]
	s_waitcnt lgkmcnt(0)
	v_add_f64 v[223:224], v[2:3], v[189:190]
	v_add_f64 v[225:226], v[0:1], v[187:188]
	;; [unrolled: 1-line block ×16, first 2 shown]
	scratch_store_b64 off, v[4:5], off offset:260 ; 8-byte Folded Spill
	v_add_f64 v[4:5], v[181:182], v[161:162]
	scratch_store_b64 off, v[4:5], off offset:252 ; 8-byte Folded Spill
	v_add_f64 v[4:5], v[179:180], v[159:160]
	;; [unrolled: 2-line block ×4, first 2 shown]
	scratch_store_b64 off, v[4:5], off offset:268 ; 8-byte Folded Spill
	ds_load_b128 v[159:162], v104 offset:12288
	ds_load_b128 v[187:190], v104 offset:13312
	s_waitcnt lgkmcnt(1)
	v_add_f64 v[149:150], v[157:158], v[161:162]
	v_add_f64 v[4:5], v[155:156], v[159:160]
	;; [unrolled: 1-line block ×14, first 2 shown]
	s_waitcnt lgkmcnt(0)
	v_add_f64 v[22:23], v[2:3], v[189:190]
	v_add_f64 v[24:25], v[0:1], v[187:188]
	;; [unrolled: 1-line block ×18, first 2 shown]
	ds_load_b128 v[159:162], v104 offset:14336
	ds_load_b128 v[187:190], v104 offset:15360
	s_clause 0x1
	scratch_load_b64 v[116:117], off, off offset:76
	scratch_load_b64 v[144:145], off, off offset:8
	v_cvt_f32_f64_e32 v4, v[4:5]
	v_cvt_f32_f64_e32 v5, v[149:150]
	s_waitcnt lgkmcnt(1)
	v_add_f64 v[104:105], v[2:3], v[161:162]
	v_add_f64 v[106:107], v[0:1], v[159:160]
	;; [unrolled: 1-line block ×9, first 2 shown]
	s_waitcnt lgkmcnt(0)
	v_add_f64 v[2:3], v[2:3], v[189:190]
	v_add_f64 v[0:1], v[0:1], v[187:188]
	;; [unrolled: 1-line block ×18, first 2 shown]
	v_min3_f32 v235, v4, v5, v235
	v_cvt_f32_f64_e32 v4, v[8:9]
	v_cvt_f32_f64_e32 v5, v[6:7]
	v_add_f64 v[179:180], v[179:180], v[187:188]
	v_add_f64 v[161:162], v[185:186], v[161:162]
	;; [unrolled: 1-line block ×5, first 2 shown]
	v_cvt_f32_f64_e32 v0, v[0:1]
	v_cvt_f32_f64_e32 v1, v[2:3]
	scratch_load_b32 v2, off, off offset:4  ; 4-byte Folded Reload
	v_min3_f32 v74, v4, v5, v74
	v_cvt_f32_f64_e32 v4, v[12:13]
	v_cvt_f32_f64_e32 v5, v[10:11]
	v_min3_f32 v125, v0, v1, v125
	v_cvt_f32_f64_e32 v0, v[155:156]
	v_cvt_f32_f64_e32 v1, v[157:158]
	s_delay_alu instid0(VALU_DEP_4) | instskip(SKIP_2) | instid1(VALU_DEP_4)
	v_min3_f32 v75, v4, v5, v75
	v_cvt_f32_f64_e32 v4, v[16:17]
	v_cvt_f32_f64_e32 v5, v[14:15]
	v_min3_f32 v124, v0, v1, v124
	v_cvt_f32_f64_e32 v0, v[163:164]
	v_cvt_f32_f64_e32 v1, v[165:166]
	s_delay_alu instid0(VALU_DEP_4) | instskip(SKIP_2) | instid1(VALU_DEP_1)
	v_min3_f32 v72, v4, v5, v72
	v_cvt_f32_f64_e32 v4, v[80:81]
	v_cvt_f32_f64_e32 v5, v[130:131]
	v_min3_f32 v73, v4, v5, v73
	v_cvt_f32_f64_e32 v4, v[82:83]
	v_cvt_f32_f64_e32 v5, v[18:19]
	s_delay_alu instid0(VALU_DEP_1) | instskip(SKIP_2) | instid1(VALU_DEP_1)
	v_min3_f32 v70, v4, v5, v70
	v_cvt_f32_f64_e32 v4, v[147:148]
	v_cvt_f32_f64_e32 v5, v[66:67]
	v_min3_f32 v71, v4, v5, v71
	v_cvt_f32_f64_e32 v4, v[24:25]
	v_cvt_f32_f64_e32 v5, v[22:23]
	s_waitcnt vmcnt(2)
	v_cvt_f32_f64_e32 v116, v[116:117]
	s_delay_alu instid0(VALU_DEP_2) | instskip(SKIP_2) | instid1(VALU_DEP_1)
	v_min3_f32 v68, v4, v5, v68
	v_cvt_f32_f64_e32 v4, v[88:89]
	v_cvt_f32_f64_e32 v5, v[86:87]
	v_min3_f32 v69, v4, v5, v69
	v_cvt_f32_f64_e32 v4, v[56:57]
	v_cvt_f32_f64_e32 v5, v[90:91]
	s_waitcnt vmcnt(0)
	v_min3_f32 v2, v0, v1, v2
	v_cvt_f32_f64_e32 v0, v[167:168]
	v_cvt_f32_f64_e32 v1, v[169:170]
	scratch_store_b32 off, v2, off offset:4 ; 4-byte Folded Spill
	scratch_load_b32 v2, off, off           ; 4-byte Folded Reload
	v_cvt_f32_f64_e32 v117, v[144:145]
	scratch_load_b64 v[144:145], off, off offset:52 ; 8-byte Folded Reload
	v_min3_f32 v146, v4, v5, v146
	v_cvt_f32_f64_e32 v4, v[60:61]
	v_cvt_f32_f64_e32 v5, v[58:59]
	v_min3_f32 v122, v0, v1, v122
	v_cvt_f32_f64_e32 v0, v[171:172]
	v_cvt_f32_f64_e32 v1, v[173:174]
	v_min3_f32 v142, v116, v117, v142
	scratch_load_b64 v[116:117], off, off offset:108 ; 8-byte Folded Reload
	v_min3_f32 v37, v4, v5, v37
	v_cvt_f32_f64_e32 v4, v[92:93]
	v_cvt_f32_f64_e32 v5, v[62:63]
	v_min3_f32 v243, v0, v1, v243
	v_cvt_f32_f64_e32 v0, v[175:176]
	v_cvt_f32_f64_e32 v1, v[177:178]
	s_delay_alu instid0(VALU_DEP_4) | instskip(SKIP_2) | instid1(VALU_DEP_4)
	v_min3_f32 v133, v4, v5, v133
	v_cvt_f32_f64_e32 v4, v[76:77]
	v_cvt_f32_f64_e32 v5, v[94:95]
	v_min3_f32 v120, v0, v1, v120
	v_cvt_f32_f64_e32 v0, v[179:180]
	v_cvt_f32_f64_e32 v1, v[181:182]
	s_delay_alu instid0(VALU_DEP_4) | instskip(SKIP_2) | instid1(VALU_DEP_1)
	v_min3_f32 v132, v4, v5, v132
	v_cvt_f32_f64_e32 v4, v[98:99]
	v_cvt_f32_f64_e32 v5, v[96:97]
	v_min3_f32 v36, v4, v5, v36
	v_cvt_f32_f64_e32 v4, v[102:103]
	v_cvt_f32_f64_e32 v5, v[100:101]
	s_delay_alu instid0(VALU_DEP_1) | instskip(SKIP_2) | instid1(VALU_DEP_1)
	v_min3_f32 v246, v4, v5, v246
	v_cvt_f32_f64_e32 v4, v[106:107]
	v_cvt_f32_f64_e32 v5, v[104:105]
	v_min3_f32 v201, v4, v5, v201
	v_cvt_f32_f64_e32 v4, v[215:216]
	v_cvt_f32_f64_e32 v5, v[219:220]
	s_delay_alu instid0(VALU_DEP_1)
	v_min3_f32 v202, v4, v5, v202
	v_cvt_f32_f64_e32 v4, v[211:212]
	v_cvt_f32_f64_e32 v5, v[108:109]
	s_waitcnt vmcnt(2)
	v_min3_f32 v2, v0, v1, v2
	v_cvt_f32_f64_e32 v0, v[183:184]
	v_cvt_f32_f64_e32 v1, v[185:186]
	scratch_store_b32 off, v2, off          ; 4-byte Folded Spill
	v_min3_f32 v134, v4, v5, v134
	v_cvt_f32_f64_e32 v4, v[207:208]
	v_cvt_f32_f64_e32 v5, v[221:222]
	s_waitcnt vmcnt(0)
	v_cvt_f32_f64_e32 v116, v[116:117]
	v_cvt_f32_f64_e32 v117, v[144:145]
	v_min3_f32 v118, v0, v1, v118
	scratch_load_b64 v[144:145], off, off offset:28 ; 8-byte Folded Reload
	v_min3_f32 v135, v4, v5, v135
	v_cvt_f32_f64_e32 v5, v[217:218]
	scratch_load_b32 v217, off, off offset:20 ; 4-byte Folded Reload
	v_cvt_f32_f64_e32 v4, v[203:204]
	v_min3_f32 v141, v116, v117, v141
	scratch_load_b64 v[116:117], off, off offset:84 ; 8-byte Folded Reload
	v_min3_f32 v197, v4, v5, v197
	v_cvt_f32_f64_e32 v4, v[199:200]
	v_cvt_f32_f64_e32 v5, v[213:214]
	s_delay_alu instid0(VALU_DEP_1) | instskip(SKIP_2) | instid1(VALU_DEP_1)
	v_min3_f32 v78, v4, v5, v78
	v_cvt_f32_f64_e32 v4, v[195:196]
	v_cvt_f32_f64_e32 v5, v[209:210]
	v_min3_f32 v128, v4, v5, v128
	v_cvt_f32_f64_e32 v4, v[159:160]
	v_cvt_f32_f64_e32 v5, v[161:162]
	s_delay_alu instid0(VALU_DEP_1)
	v_min3_f32 v123, v4, v5, v123
	s_waitcnt vmcnt(0)
	v_cvt_f32_f64_e32 v116, v[116:117]
	v_cvt_f32_f64_e32 v117, v[144:145]
	scratch_load_b64 v[144:145], off, off offset:60 ; 8-byte Folded Reload
	v_min3_f32 v140, v116, v117, v140
	scratch_load_b64 v[116:117], off, off offset:116 ; 8-byte Folded Reload
	s_waitcnt vmcnt(0)
	v_cvt_f32_f64_e32 v116, v[116:117]
	v_cvt_f32_f64_e32 v117, v[144:145]
	scratch_load_b64 v[144:145], off, off offset:36 ; 8-byte Folded Reload
	v_min3_f32 v139, v116, v117, v139
	scratch_load_b64 v[116:117], off, off offset:92 ; 8-byte Folded Reload
	;; [unrolled: 6-line block ×7, first 2 shown]
	s_waitcnt vmcnt(0)
	v_cvt_f32_f64_e32 v116, v[116:117]
	v_cvt_f32_f64_e32 v117, v[144:145]
	s_delay_alu instid0(VALU_DEP_1) | instskip(SKIP_3) | instid1(VALU_DEP_1)
	v_min3_f32 v121, v116, v117, v121
	scratch_load_b64 v[116:117], off, off offset:180 ; 8-byte Folded Reload
	s_waitcnt vmcnt(0)
	v_cvt_f32_f64_e32 v55, v[116:117]
	v_min3_f32 v244, v54, v55, v244
	scratch_load_b64 v[54:55], off, off offset:188 ; 8-byte Folded Reload
	s_waitcnt vmcnt(0)
	v_cvt_f32_f64_e32 v29, v[54:55]
	scratch_load_b64 v[54:55], off, off offset:196 ; 8-byte Folded Reload
	v_min3_f32 v136, v28, v29, v136
	scratch_load_b64 v[28:29], off, off offset:204 ; 8-byte Folded Reload
	s_waitcnt vmcnt(0)
	v_cvt_f32_f64_e32 v28, v[28:29]
	v_cvt_f32_f64_e32 v29, v[54:55]
	scratch_load_b64 v[54:55], off, off offset:212 ; 8-byte Folded Reload
	v_min3_f32 v119, v28, v29, v119
	scratch_load_b64 v[28:29], off, off offset:220 ; 8-byte Folded Reload
	s_waitcnt vmcnt(0)
	v_cvt_f32_f64_e32 v28, v[28:29]
	v_cvt_f32_f64_e32 v29, v[54:55]
	scratch_load_b64 v[54:55], off, off offset:228 ; 8-byte Folded Reload
	v_min3_f32 v138, v28, v29, v138
	scratch_load_b64 v[28:29], off, off offset:236 ; 8-byte Folded Reload
	s_waitcnt vmcnt(0)
	v_cvt_f32_f64_e32 v28, v[28:29]
	v_cvt_f32_f64_e32 v29, v[54:55]
	s_delay_alu instid0(VALU_DEP_1) | instskip(SKIP_4) | instid1(VALU_DEP_3)
	v_min3_f32 v255, v28, v29, v255
	v_cvt_f32_f64_e32 v28, v[112:113]
	v_cvt_f32_f64_e32 v29, v[26:27]
	;; [unrolled: 1-line block ×4, first 2 shown]
	v_min3_f32 v43, v28, v29, v43
	v_cvt_f32_f64_e32 v28, v[191:192]
	v_cvt_f32_f64_e32 v29, v[114:115]
	s_delay_alu instid0(VALU_DEP_4)
	v_min3_f32 v40, v26, v27, v40
	v_cvt_f32_f64_e32 v26, v[32:33]
	v_cvt_f32_f64_e32 v27, v[48:49]
	scratch_load_b32 v49, off, off offset:16 ; 4-byte Folded Reload
	v_min3_f32 v42, v28, v29, v42
	v_cvt_f32_f64_e32 v28, v[193:194]
	v_cvt_f32_f64_e32 v29, v[34:35]
	v_min3_f32 v45, v26, v27, v45
	v_cvt_f32_f64_e32 v26, v[46:47]
	s_delay_alu instid0(VALU_DEP_3) | instskip(SKIP_3) | instid1(VALU_DEP_1)
	v_min3_f32 v41, v28, v29, v41
	scratch_load_b64 v[27:28], off, off offset:260 ; 8-byte Folded Reload
	s_waitcnt vmcnt(0)
	v_cvt_f32_f64_e32 v27, v[27:28]
	v_min3_f32 v44, v26, v27, v44
	scratch_load_b64 v[26:27], off, off offset:276 ; 8-byte Folded Reload
	s_waitcnt vmcnt(0)
	v_cvt_f32_f64_e32 v26, v[26:27]
	scratch_load_b64 v[27:28], off, off offset:252 ; 8-byte Folded Reload
	s_waitcnt vmcnt(0)
	v_cvt_f32_f64_e32 v27, v[27:28]
	s_delay_alu instid0(VALU_DEP_1)
	v_min3_f32 v51, v26, v27, v51
	scratch_load_b64 v[26:27], off, off offset:268 ; 8-byte Folded Reload
	s_waitcnt vmcnt(0)
	v_cvt_f32_f64_e32 v26, v[26:27]
	scratch_load_b64 v[27:28], off, off offset:244 ; 8-byte Folded Reload
	s_waitcnt vmcnt(0)
	v_cvt_f32_f64_e32 v27, v[27:28]
	s_delay_alu instid0(VALU_DEP_1) | instskip(SKIP_2) | instid1(VALU_DEP_1)
	v_min3_f32 v50, v26, v27, v50
	v_cvt_f32_f64_e32 v26, v[225:226]
	v_cvt_f32_f64_e32 v27, v[223:224]
	v_min3_f32 v53, v26, v27, v53
	v_cvt_f32_f64_e32 v26, v[229:230]
	v_cvt_f32_f64_e32 v27, v[227:228]
	s_delay_alu instid0(VALU_DEP_1) | instskip(SKIP_2) | instid1(VALU_DEP_1)
	v_min3_f32 v52, v26, v27, v52
	v_cvt_f32_f64_e32 v26, v[233:234]
	v_cvt_f32_f64_e32 v27, v[231:232]
	v_min3_f32 v65, v26, v27, v65
	v_cvt_f32_f64_e32 v26, v[237:238]
	;; [unrolled: 7-line block ×4, first 2 shown]
	v_cvt_f32_f64_e32 v27, v[251:252]
	s_delay_alu instid0(VALU_DEP_1) | instskip(SKIP_2) | instid1(VALU_DEP_1)
	v_min3_f32 v239, v26, v27, v239
	v_cvt_f32_f64_e32 v26, v[151:152]
	v_cvt_f32_f64_e32 v27, v[153:154]
	v_min3_f32 v236, v26, v27, v236
	s_cbranch_vccz .LBB125_36
; %bb.37:                               ;   in Loop: Header=BB125_27 Depth=1
	s_clause 0x1
	scratch_load_b32 v0, off, off offset:372
	scratch_load_b64 v[1:2], off, off offset:284
	v_dual_mov_b32 v199, v45 :: v_dual_mov_b32 v200, v110
	v_mov_b32_e32 v106, v239
	v_dual_mov_b32 v57, v235 :: v_dual_mov_b32 v60, v74
	s_and_b32 vcc_lo, exec_lo, s3
	s_waitcnt vmcnt(0)
	ds_store_b64 v0, v[1:2]
	s_clause 0x2
	scratch_load_b32 v0, off, off offset:368
	scratch_load_b64 v[1:2], off, off offset:292
	scratch_load_b64 v[3:4], off, off offset:316
	s_waitcnt vmcnt(0)
	ds_store_2addr_stride64_b64 v0, v[1:2], v[3:4] offset1:4
	s_clause 0x1
	scratch_load_b64 v[1:2], off, off offset:324
	scratch_load_b64 v[3:4], off, off offset:332
	s_waitcnt vmcnt(0)
	ds_store_2addr_stride64_b64 v0, v[1:2], v[3:4] offset0:8 offset1:12
	s_waitcnt lgkmcnt(0)
	s_waitcnt_vscnt null, 0x0
	s_barrier
	buffer_gl0_inv
	s_cbranch_vccnz .LBB125_39
; %bb.38:                               ;   in Loop: Header=BB125_27 Depth=1
	s_clause 0x1
	scratch_load_b32 v0, off, off offset:356
	scratch_load_b64 v[1:2], off, off offset:308
	s_waitcnt vmcnt(0)
	v_mov_b32_e32 v3, v2
	v_or_b32_e32 v2, s18, v0
	s_delay_alu instid0(VALU_DEP_2)
	v_mov_b32_e32 v1, v3
	scratch_store_b64 off, v[0:1], off offset:308 ; 8-byte Folded Spill
	v_lshlrev_b64 v[0:1], 3, v[2:3]
	scratch_load_b32 v2, off, off offset:392 ; 4-byte Folded Reload
	s_waitcnt vmcnt(0)
	v_add_co_u32 v0, vcc_lo, v2, v0
	scratch_load_b32 v2, off, off offset:396 ; 4-byte Folded Reload
	s_waitcnt vmcnt(0)
	v_add_co_ci_u32_e32 v1, vcc_lo, v2, v1, vcc_lo
	flat_load_b64 v[0:1], v[0:1]
	s_waitcnt vmcnt(0) lgkmcnt(0)
	v_mul_f64 v[0:1], v[0:1], s[8:9]
	s_branch .LBB125_40
.LBB125_39:                             ;   in Loop: Header=BB125_27 Depth=1
	v_mov_b32_e32 v0, 0
	v_mov_b32_e32 v1, 0
.LBB125_40:                             ;   in Loop: Header=BB125_27 Depth=1
	s_clause 0x1
	scratch_store_b64 off, v[0:1], off offset:316
	scratch_store_b32 off, v52, off offset:8
	scratch_load_b32 v0, off, off offset:364 ; 4-byte Folded Reload
	s_waitcnt vmcnt(0)
	v_add_nc_u32_e32 v4, s18, v0
	s_delay_alu instid0(VALU_DEP_1) | instskip(NEXT) | instid1(VALU_DEP_1)
	v_mad_u64_u32 v[0:1], null, v4, s16, 0
	v_mad_u64_u32 v[2:3], null, v4, s17, v[1:2]
	v_mov_b32_e32 v74, v72
	v_mov_b32_e32 v72, v70
	s_delay_alu instid0(VALU_DEP_3) | instskip(NEXT) | instid1(VALU_DEP_1)
	v_mov_b32_e32 v1, v2
	v_lshlrev_b64 v[0:1], 3, v[0:1]
	s_delay_alu instid0(VALU_DEP_1) | instskip(NEXT) | instid1(VALU_DEP_2)
	v_add_co_u32 v0, vcc_lo, s12, v0
	v_add_co_ci_u32_e32 v1, vcc_lo, s13, v1, vcc_lo
	s_and_b32 vcc_lo, exec_lo, s3
	s_cbranch_vccnz .LBB125_42
; %bb.41:                               ;   in Loop: Header=BB125_27 Depth=1
	scratch_load_b64 v[2:3], off, off offset:300 ; 8-byte Folded Reload
	s_waitcnt vmcnt(0)
	v_add_co_u32 v2, vcc_lo, v0, v2
	v_add_co_ci_u32_e32 v3, vcc_lo, v1, v3, vcc_lo
	s_clause 0x1
	flat_load_b64 v[10:11], v[2:3]
	flat_load_b64 v[2:3], v[2:3] offset:512
	s_waitcnt vmcnt(1) lgkmcnt(1)
	v_mul_f64 v[4:5], v[10:11], s[8:9]
	s_waitcnt vmcnt(0) lgkmcnt(0)
	v_mul_f64 v[2:3], v[2:3], s[8:9]
	scratch_store_b64 off, v[4:5], off offset:324 ; 8-byte Folded Spill
	s_branch .LBB125_43
.LBB125_42:                             ;   in Loop: Header=BB125_27 Depth=1
	v_mov_b32_e32 v2, 0
	v_mov_b32_e32 v3, 0
	scratch_store_b64 off, v[2:3], off offset:324 ; 8-byte Folded Spill
	v_mov_b32_e32 v2, 0
	v_mov_b32_e32 v3, 0
.LBB125_43:                             ;   in Loop: Header=BB125_27 Depth=1
	v_dual_mov_b32 v61, v236 :: v_dual_mov_b32 v98, v65
	v_dual_mov_b32 v70, v68 :: v_dual_mov_b32 v99, v53
	;; [unrolled: 1-line block ×3, first 2 shown]
	v_mov_b32_e32 v58, v133
	s_and_b32 vcc_lo, exec_lo, s3
	scratch_store_b64 off, v[2:3], off offset:332 ; 8-byte Folded Spill
	s_cbranch_vccnz .LBB125_45
; %bb.44:                               ;   in Loop: Header=BB125_27 Depth=1
	scratch_load_b64 v[2:3], off, off offset:300 ; 8-byte Folded Reload
	s_waitcnt vmcnt(0)
	v_add_co_u32 v0, vcc_lo, v0, v2
	v_add_co_ci_u32_e32 v1, vcc_lo, v1, v3, vcc_lo
	s_clause 0x1
	flat_load_b64 v[2:3], v[0:1] offset:1024
	flat_load_b64 v[0:1], v[0:1] offset:1536
	s_waitcnt vmcnt(1) lgkmcnt(1)
	v_mul_f64 v[2:3], v[2:3], s[8:9]
	s_waitcnt vmcnt(0) lgkmcnt(0)
	v_mul_f64 v[0:1], v[0:1], s[8:9]
	scratch_store_b64 off, v[2:3], off offset:340 ; 8-byte Folded Spill
	s_branch .LBB125_46
.LBB125_45:                             ;   in Loop: Header=BB125_27 Depth=1
	v_mov_b32_e32 v0, 0
	v_mov_b32_e32 v1, 0
	scratch_store_b64 off, v[0:1], off offset:340 ; 8-byte Folded Spill
	v_mov_b32_e32 v0, 0
	v_mov_b32_e32 v1, 0
.LBB125_46:                             ;   in Loop: Header=BB125_27 Depth=1
	v_dual_mov_b32 v146, v36 :: v_dual_mov_b32 v109, v51
	v_dual_mov_b32 v37, v132 :: v_dual_mov_b32 v102, v111
	;; [unrolled: 1-line block ×5, first 2 shown]
	v_mov_b32_e32 v95, v40
	s_mov_b32 s22, 0
	s_mov_b32 s21, -1
	scratch_store_b64 off, v[0:1], off offset:348 ; 8-byte Folded Spill
.LBB125_47:                             ;   Parent Loop BB125_27 Depth=1
                                        ; =>  This Inner Loop Header: Depth=2
	s_lshl_b32 s22, s22, 3
	v_mov_b32_e32 v10, v41
	v_lshl_add_u32 v26, v217, 5, s22
	v_lshl_add_u32 v4, v49, 5, s22
	s_mov_b32 s22, 2
	s_and_not1_b32 vcc_lo, exec_lo, s21
	s_mov_b32 s21, 0
	ds_load_b128 v[46:49], v26
	ds_load_b128 v[0:3], v4 offset:16384
	ds_load_b128 v[155:158], v4 offset:16640
	ds_load_b128 v[159:162], v26 offset:1024
	s_waitcnt lgkmcnt(2)
	v_add_f64 v[62:63], v[2:3], v[48:49]
	s_waitcnt lgkmcnt(1)
	v_add_f64 v[5:6], v[157:158], v[48:49]
	v_add_f64 v[76:77], v[0:1], v[46:47]
	s_delay_alu instid0(VALU_DEP_3)
	v_cvt_f32_f64_e32 v62, v[62:63]
	scratch_store_b64 off, v[5:6], off offset:28 ; 8-byte Folded Spill
	v_add_f64 v[5:6], v[155:156], v[46:47]
	v_cvt_f32_f64_e32 v76, v[76:77]
	scratch_store_b64 off, v[5:6], off offset:84 ; 8-byte Folded Spill
	ds_load_b128 v[163:166], v4 offset:16896
	ds_load_b128 v[167:170], v4 offset:17152
	v_min3_f32 v143, v76, v62, v143
	s_waitcnt lgkmcnt(1)
	v_add_f64 v[5:6], v[165:166], v[48:49]
	v_add_f64 v[38:39], v[163:164], v[159:160]
	;; [unrolled: 1-line block ×3, first 2 shown]
	scratch_store_b64 off, v[5:6], off offset:60 ; 8-byte Folded Spill
	s_waitcnt lgkmcnt(0)
	v_add_f64 v[5:6], v[169:170], v[48:49]
	v_cvt_f32_f64_e32 v40, v[40:41]
	v_cvt_f32_f64_e32 v38, v[38:39]
	scratch_store_b64 off, v[5:6], off offset:36 ; 8-byte Folded Spill
	v_add_f64 v[5:6], v[167:168], v[46:47]
	scratch_store_b64 off, v[5:6], off offset:92 ; 8-byte Folded Spill
	ds_load_b128 v[171:174], v4 offset:17408
	ds_load_b128 v[175:178], v4 offset:17664
	s_waitcnt lgkmcnt(1)
	v_add_f64 v[5:6], v[173:174], v[48:49]
	v_add_f64 v[34:35], v[171:172], v[159:160]
	s_waitcnt lgkmcnt(0)
	v_add_f64 v[32:33], v[175:176], v[159:160]
	scratch_store_b64 off, v[5:6], off offset:68 ; 8-byte Folded Spill
	v_add_f64 v[5:6], v[171:172], v[46:47]
	v_cvt_f32_f64_e32 v34, v[34:35]
	scratch_store_b64 off, v[5:6], off offset:116 ; 8-byte Folded Spill
	v_add_f64 v[5:6], v[177:178], v[48:49]
	scratch_store_b64 off, v[5:6], off offset:44 ; 8-byte Folded Spill
	v_add_f64 v[5:6], v[175:176], v[46:47]
	scratch_store_b64 off, v[5:6], off offset:100 ; 8-byte Folded Spill
	ds_load_b128 v[179:182], v4 offset:17920
	ds_load_b128 v[183:186], v4 offset:18176
	s_waitcnt lgkmcnt(1)
	v_add_f64 v[4:5], v[181:182], v[48:49]
	scratch_store_b64 off, v[4:5], off offset:76 ; 8-byte Folded Spill
	v_add_f64 v[4:5], v[179:180], v[46:47]
	scratch_store_b64 off, v[4:5], off offset:124 ; 8-byte Folded Spill
	s_waitcnt lgkmcnt(0)
	v_add_f64 v[4:5], v[185:186], v[48:49]
	scratch_store_b64 off, v[4:5], off offset:52 ; 8-byte Folded Spill
	v_add_f64 v[4:5], v[183:184], v[46:47]
	scratch_store_b64 off, v[4:5], off offset:108 ; 8-byte Folded Spill
	;; [unrolled: 2-line block ×15, first 2 shown]
	ds_load_b128 v[159:162], v26 offset:2048
	ds_load_b128 v[187:190], v26 offset:3072
	s_waitcnt lgkmcnt(1)
	v_add_f64 v[4:5], v[169:170], v[161:162]
	s_waitcnt lgkmcnt(0)
	v_add_f64 v[153:154], v[165:166], v[189:190]
	v_add_f64 v[30:31], v[163:164], v[187:188]
	v_add_f64 v[24:25], v[169:170], v[189:190]
	v_add_f64 v[195:196], v[167:168], v[187:188]
	v_add_f64 v[54:55], v[173:174], v[189:190]
	v_add_f64 v[22:23], v[171:172], v[187:188]
	v_add_f64 v[18:19], v[177:178], v[189:190]
	v_add_f64 v[203:204], v[175:176], v[187:188]
	v_add_f64 v[207:208], v[181:182], v[189:190]
	v_add_f64 v[209:210], v[179:180], v[187:188]
	v_add_f64 v[211:212], v[185:186], v[189:190]
	v_add_f64 v[213:214], v[183:184], v[187:188]
	v_add_f64 v[86:87], v[2:3], v[161:162]
	v_add_f64 v[80:81], v[0:1], v[159:160]
	v_add_f64 v[90:91], v[157:158], v[161:162]
	v_add_f64 v[82:83], v[155:156], v[159:160]
	v_add_f64 v[100:101], v[165:166], v[161:162]
	v_add_f64 v[88:89], v[163:164], v[159:160]
	v_add_f64 v[92:93], v[167:168], v[159:160]
	v_add_f64 v[96:97], v[171:172], v[159:160]
	v_add_f64 v[144:145], v[2:3], v[189:190]
	v_add_f64 v[147:148], v[0:1], v[187:188]
	v_add_f64 v[149:150], v[157:158], v[189:190]
	v_add_f64 v[151:152], v[155:156], v[187:188]
	scratch_store_b64 off, v[4:5], off offset:284 ; 8-byte Folded Spill
	v_add_f64 v[4:5], v[173:174], v[161:162]
	v_cvt_f32_f64_e32 v30, v[30:31]
	v_cvt_f32_f64_e32 v31, v[153:154]
	;; [unrolled: 1-line block ×5, first 2 shown]
	scratch_store_b64 off, v[4:5], off offset:268 ; 8-byte Folded Spill
	v_add_f64 v[4:5], v[177:178], v[161:162]
	v_min3_f32 v98, v30, v31, v98
	v_cvt_f32_f64_e32 v30, v[195:196]
	scratch_store_b64 off, v[4:5], off offset:252 ; 8-byte Folded Spill
	v_add_f64 v[4:5], v[175:176], v[159:160]
	v_min3_f32 v103, v30, v24, v103
	v_cvt_f32_f64_e32 v24, v[22:23]
	v_cvt_f32_f64_e32 v22, v[54:55]
	scratch_store_b64 off, v[4:5], off offset:292 ; 8-byte Folded Spill
	v_add_f64 v[4:5], v[181:182], v[161:162]
	v_min3_f32 v200, v24, v22, v200
	v_cvt_f32_f64_e32 v22, v[203:204]
	scratch_store_b64 off, v[4:5], off offset:244 ; 8-byte Folded Spill
	v_add_f64 v[4:5], v[179:180], v[159:160]
	v_min3_f32 v102, v22, v18, v102
	;; [unrolled: 4-line block ×3, first 2 shown]
	v_cvt_f32_f64_e32 v18, v[213:214]
	v_cvt_f32_f64_e32 v19, v[211:212]
	scratch_store_b64 off, v[4:5], off offset:236 ; 8-byte Folded Spill
	v_add_f64 v[4:5], v[183:184], v[159:160]
	v_min3_f32 v106, v18, v19, v106
	scratch_store_b64 off, v[4:5], off offset:260 ; 8-byte Folded Spill
	ds_load_b128 v[159:162], v26 offset:4096
	ds_load_b128 v[187:190], v26 offset:5120
	s_waitcnt lgkmcnt(1)
	v_add_f64 v[215:216], v[2:3], v[161:162]
	v_add_f64 v[217:218], v[0:1], v[159:160]
	;; [unrolled: 1-line block ×16, first 2 shown]
	s_waitcnt lgkmcnt(0)
	v_add_f64 v[247:248], v[2:3], v[189:190]
	v_add_f64 v[249:250], v[0:1], v[187:188]
	;; [unrolled: 1-line block ×16, first 2 shown]
	ds_load_b128 v[159:162], v26 offset:6144
	ds_load_b128 v[187:190], v26 offset:7168
	s_clause 0x1
	scratch_load_b64 v[62:63], off, off offset:84
	scratch_load_b64 v[76:77], off, off offset:28
	v_cvt_f32_f64_e32 v19, v[215:216]
	v_cvt_f32_f64_e32 v18, v[217:218]
	scratch_load_b32 v217, off, off offset:20 ; 4-byte Folded Reload
	s_waitcnt lgkmcnt(1)
	v_add_f64 v[84:85], v[2:3], v[161:162]
	v_add_f64 v[235:236], v[0:1], v[159:160]
	s_waitcnt lgkmcnt(0)
	v_add_f64 v[2:3], v[2:3], v[189:190]
	v_add_f64 v[0:1], v[0:1], v[187:188]
	;; [unrolled: 1-line block ×10, first 2 shown]
	v_cvt_f32_f64_e32 v4, v[4:5]
	v_cvt_f32_f64_e32 v5, v[16:17]
	v_add_f64 v[64:65], v[169:170], v[161:162]
	v_add_f64 v[66:67], v[167:168], v[159:160]
	;; [unrolled: 1-line block ×12, first 2 shown]
	v_min3_f32 v61, v18, v19, v61
	v_cvt_f32_f64_e32 v18, v[221:222]
	v_cvt_f32_f64_e32 v19, v[219:220]
	v_add_f64 v[126:127], v[181:182], v[161:162]
	v_add_f64 v[239:240], v[179:180], v[159:160]
	;; [unrolled: 1-line block ×8, first 2 shown]
	v_cvt_f32_f64_e32 v0, v[0:1]
	v_cvt_f32_f64_e32 v1, v[2:3]
	scratch_load_b32 v2, off, off offset:4  ; 4-byte Folded Reload
	v_min3_f32 v58, v4, v5, v58
	v_cvt_f32_f64_e32 v4, v[205:206]
	v_cvt_f32_f64_e32 v5, v[11:12]
	v_min3_f32 v57, v18, v19, v57
	v_cvt_f32_f64_e32 v18, v[225:226]
	v_cvt_f32_f64_e32 v19, v[223:224]
	;; [unrolled: 3-line block ×8, first 2 shown]
	s_delay_alu instid0(VALU_DEP_4) | instskip(SKIP_2) | instid1(VALU_DEP_4)
	v_min3_f32 v246, v4, v5, v246
	v_cvt_f32_f64_e32 v4, v[235:236]
	v_cvt_f32_f64_e32 v5, v[84:85]
	v_min3_f32 v74, v18, v19, v74
	v_cvt_f32_f64_e32 v18, v[237:238]
	v_cvt_f32_f64_e32 v19, v[44:45]
	s_delay_alu instid0(VALU_DEP_4) | instskip(SKIP_2) | instid1(VALU_DEP_4)
	v_min3_f32 v201, v4, v5, v201
	v_cvt_f32_f64_e32 v4, v[26:27]
	v_cvt_f32_f64_e32 v5, v[114:115]
	v_min3_f32 v73, v18, v19, v73
	v_cvt_f32_f64_e32 v18, v[241:242]
	v_cvt_f32_f64_e32 v19, v[50:51]
	s_delay_alu instid0(VALU_DEP_4) | instskip(SKIP_2) | instid1(VALU_DEP_4)
	v_min3_f32 v202, v4, v5, v202
	v_cvt_f32_f64_e32 v4, v[116:117]
	v_cvt_f32_f64_e32 v5, v[28:29]
	v_min3_f32 v72, v18, v19, v72
	v_cvt_f32_f64_e32 v18, v[48:49]
	scratch_load_b32 v49, off, off offset:16 ; 4-byte Folded Reload
	v_cvt_f32_f64_e32 v19, v[52:53]
	v_min3_f32 v134, v4, v5, v134
	v_cvt_f32_f64_e32 v4, v[66:67]
	v_cvt_f32_f64_e32 v5, v[64:65]
	s_waitcnt vmcnt(4)
	v_cvt_f32_f64_e32 v62, v[62:63]
	s_waitcnt vmcnt(3)
	v_cvt_f32_f64_e32 v63, v[76:77]
	v_min3_f32 v71, v18, v19, v71
	v_cvt_f32_f64_e32 v18, v[249:250]
	v_cvt_f32_f64_e32 v19, v[247:248]
	v_min3_f32 v135, v4, v5, v135
	v_cvt_f32_f64_e32 v4, v[130:131]
	v_cvt_f32_f64_e32 v5, v[20:21]
	v_min3_f32 v142, v62, v63, v142
	scratch_load_b64 v[62:63], off, off offset:60 ; 8-byte Folded Reload
	v_min3_f32 v70, v18, v19, v70
	v_cvt_f32_f64_e32 v18, v[253:254]
	v_cvt_f32_f64_e32 v19, v[251:252]
	s_waitcnt vmcnt(2)
	v_min3_f32 v2, v0, v1, v2
	v_cvt_f32_f64_e32 v0, v[167:168]
	v_cvt_f32_f64_e32 v1, v[169:170]
	scratch_store_b32 off, v2, off offset:4 ; 4-byte Folded Spill
	scratch_load_b32 v2, off, off           ; 4-byte Folded Reload
	v_min3_f32 v197, v4, v5, v197
	v_cvt_f32_f64_e32 v4, v[132:133]
	v_cvt_f32_f64_e32 v5, v[6:7]
	v_min3_f32 v69, v18, v19, v69
	v_min3_f32 v122, v0, v1, v122
	v_cvt_f32_f64_e32 v0, v[171:172]
	v_cvt_f32_f64_e32 v1, v[173:174]
	v_min3_f32 v78, v4, v5, v78
	v_cvt_f32_f64_e32 v4, v[239:240]
	v_cvt_f32_f64_e32 v5, v[126:127]
	s_delay_alu instid0(VALU_DEP_4) | instskip(SKIP_2) | instid1(VALU_DEP_4)
	v_min3_f32 v243, v0, v1, v243
	v_cvt_f32_f64_e32 v0, v[175:176]
	v_cvt_f32_f64_e32 v1, v[177:178]
	v_min3_f32 v128, v4, v5, v128
	v_cvt_f32_f64_e32 v4, v[159:160]
	v_cvt_f32_f64_e32 v5, v[161:162]
	s_delay_alu instid0(VALU_DEP_4) | instskip(SKIP_2) | instid1(VALU_DEP_4)
	v_min3_f32 v120, v0, v1, v120
	v_cvt_f32_f64_e32 v0, v[179:180]
	v_cvt_f32_f64_e32 v1, v[181:182]
	v_min3_f32 v123, v4, v5, v123
	s_waitcnt vmcnt(1)
	v_cvt_f32_f64_e32 v41, v[62:63]
	scratch_load_b64 v[62:63], off, off offset:36 ; 8-byte Folded Reload
	s_waitcnt vmcnt(1)
	v_min3_f32 v2, v0, v1, v2
	v_cvt_f32_f64_e32 v0, v[183:184]
	v_cvt_f32_f64_e32 v1, v[185:186]
	scratch_store_b32 off, v2, off          ; 4-byte Folded Spill
	v_min3_f32 v141, v40, v41, v141
	scratch_load_b64 v[40:41], off, off offset:92 ; 8-byte Folded Reload
	v_min3_f32 v118, v0, v1, v118
	s_waitcnt vmcnt(0)
	v_cvt_f32_f64_e32 v40, v[40:41]
	v_cvt_f32_f64_e32 v41, v[62:63]
	scratch_load_b64 v[62:63], off, off offset:68 ; 8-byte Folded Reload
	v_min3_f32 v140, v40, v41, v140
	scratch_load_b64 v[40:41], off, off offset:116 ; 8-byte Folded Reload
	s_waitcnt vmcnt(0)
	v_cvt_f32_f64_e32 v40, v[40:41]
	v_cvt_f32_f64_e32 v41, v[62:63]
	scratch_load_b64 v[62:63], off, off offset:44 ; 8-byte Folded Reload
	v_min3_f32 v139, v40, v41, v139
	scratch_load_b64 v[40:41], off, off offset:100 ; 8-byte Folded Reload
	;; [unrolled: 6-line block ×6, first 2 shown]
	s_waitcnt vmcnt(0)
	v_cvt_f32_f64_e32 v40, v[40:41]
	v_cvt_f32_f64_e32 v41, v[62:63]
	s_delay_alu instid0(VALU_DEP_1)
	v_min3_f32 v129, v40, v41, v129
	scratch_load_b64 v[39:40], off, off offset:164 ; 8-byte Folded Reload
	v_mov_b32_e32 v41, v10
	scratch_load_b32 v10, off, off offset:8 ; 4-byte Folded Reload
	s_waitcnt vmcnt(1)
	v_cvt_f32_f64_e32 v39, v[39:40]
	s_delay_alu instid0(VALU_DEP_1)
	v_min3_f32 v121, v38, v39, v121
	scratch_load_b64 v[38:39], off, off offset:180 ; 8-byte Folded Reload
	s_waitcnt vmcnt(0)
	v_cvt_f32_f64_e32 v38, v[38:39]
	scratch_load_b64 v[39:40], off, off offset:172 ; 8-byte Folded Reload
	s_waitcnt vmcnt(0)
	v_cvt_f32_f64_e32 v36, v[39:40]
	s_delay_alu instid0(VALU_DEP_1) | instskip(SKIP_3) | instid1(VALU_DEP_1)
	v_min3_f32 v244, v38, v36, v244
	scratch_load_b64 v[35:36], off, off offset:188 ; 8-byte Folded Reload
	s_waitcnt vmcnt(0)
	v_cvt_f32_f64_e32 v35, v[35:36]
	v_min3_f32 v136, v34, v35, v136
	v_cvt_f32_f64_e32 v34, v[32:33]
	scratch_load_b64 v[32:33], off, off offset:196 ; 8-byte Folded Reload
	s_waitcnt vmcnt(0)
	v_cvt_f32_f64_e32 v32, v[32:33]
	s_delay_alu instid0(VALU_DEP_1)
	v_min3_f32 v119, v34, v32, v119
	scratch_load_b64 v[32:33], off, off offset:212 ; 8-byte Folded Reload
	s_waitcnt vmcnt(0)
	v_cvt_f32_f64_e32 v32, v[32:33]
	scratch_load_b64 v[33:34], off, off offset:204 ; 8-byte Folded Reload
	s_waitcnt vmcnt(0)
	v_cvt_f32_f64_e32 v33, v[33:34]
	s_delay_alu instid0(VALU_DEP_1)
	v_min3_f32 v138, v32, v33, v138
	scratch_load_b64 v[32:33], off, off offset:228 ; 8-byte Folded Reload
	s_waitcnt vmcnt(0)
	v_cvt_f32_f64_e32 v32, v[32:33]
	scratch_load_b64 v[33:34], off, off offset:220 ; 8-byte Folded Reload
	s_waitcnt vmcnt(0)
	v_cvt_f32_f64_e32 v33, v[33:34]
	s_delay_alu instid0(VALU_DEP_1) | instskip(SKIP_2) | instid1(VALU_DEP_1)
	v_min3_f32 v255, v32, v33, v255
	v_cvt_f32_f64_e32 v32, v[80:81]
	v_cvt_f32_f64_e32 v33, v[86:87]
	v_min3_f32 v105, v32, v33, v105
	v_cvt_f32_f64_e32 v32, v[82:83]
	v_cvt_f32_f64_e32 v33, v[90:91]
	s_delay_alu instid0(VALU_DEP_1) | instskip(SKIP_2) | instid1(VALU_DEP_1)
	v_min3_f32 v104, v32, v33, v104
	v_cvt_f32_f64_e32 v32, v[88:89]
	v_cvt_f32_f64_e32 v33, v[100:101]
	v_min3_f32 v41, v32, v33, v41
	scratch_load_b64 v[33:34], off, off offset:284 ; 8-byte Folded Reload
	v_cvt_f32_f64_e32 v32, v[92:93]
	s_waitcnt vmcnt(0)
	v_cvt_f32_f64_e32 v33, v[33:34]
	s_delay_alu instid0(VALU_DEP_1) | instskip(SKIP_4) | instid1(VALU_DEP_1)
	v_min3_f32 v95, v32, v33, v95
	scratch_load_b64 v[33:34], off, off offset:268 ; 8-byte Folded Reload
	v_cvt_f32_f64_e32 v32, v[96:97]
	s_waitcnt vmcnt(0)
	v_cvt_f32_f64_e32 v33, v[33:34]
	v_min3_f32 v199, v32, v33, v199
	scratch_load_b64 v[32:33], off, off offset:292 ; 8-byte Folded Reload
	s_waitcnt vmcnt(0)
	v_cvt_f32_f64_e32 v32, v[32:33]
	scratch_load_b64 v[33:34], off, off offset:252 ; 8-byte Folded Reload
	s_waitcnt vmcnt(0)
	v_cvt_f32_f64_e32 v33, v[33:34]
	s_delay_alu instid0(VALU_DEP_1)
	v_min3_f32 v94, v32, v33, v94
	scratch_load_b64 v[32:33], off, off offset:276 ; 8-byte Folded Reload
	s_waitcnt vmcnt(0)
	v_cvt_f32_f64_e32 v32, v[32:33]
	scratch_load_b64 v[33:34], off, off offset:244 ; 8-byte Folded Reload
	s_waitcnt vmcnt(0)
	v_cvt_f32_f64_e32 v33, v[33:34]
	s_delay_alu instid0(VALU_DEP_1)
	v_min3_f32 v109, v32, v33, v109
	scratch_load_b64 v[32:33], off, off offset:260 ; 8-byte Folded Reload
	s_waitcnt vmcnt(0)
	v_cvt_f32_f64_e32 v32, v[32:33]
	scratch_load_b64 v[33:34], off, off offset:236 ; 8-byte Folded Reload
	s_waitcnt vmcnt(0)
	v_cvt_f32_f64_e32 v33, v[33:34]
	s_delay_alu instid0(VALU_DEP_1) | instskip(SKIP_2) | instid1(VALU_DEP_1)
	v_min3_f32 v108, v32, v33, v108
	v_cvt_f32_f64_e32 v32, v[147:148]
	v_cvt_f32_f64_e32 v33, v[144:145]
	v_min3_f32 v99, v32, v33, v99
	v_cvt_f32_f64_e32 v32, v[151:152]
	v_cvt_f32_f64_e32 v33, v[149:150]
	s_delay_alu instid0(VALU_DEP_1) | instskip(SKIP_4) | instid1(VALU_DEP_2)
	v_min3_f32 v10, v32, v33, v10
	scratch_store_b32 off, v10, off offset:8 ; 4-byte Folded Spill
	v_cvt_f32_f64_e32 v10, v[8:9]
	v_cvt_f32_f64_e32 v8, v[42:43]
	;; [unrolled: 1-line block ×3, first 2 shown]
	v_min3_f32 v68, v10, v8, v68
	v_cvt_f32_f64_e32 v8, v[14:15]
	s_delay_alu instid0(VALU_DEP_1)
	v_min3_f32 v59, v8, v9, v59
	s_cbranch_vccz .LBB125_47
; %bb.48:                               ;   in Loop: Header=BB125_27 Depth=1
	s_clause 0x1
	scratch_load_b32 v0, off, off offset:376
	scratch_load_b64 v[1:2], off, off offset:316
	v_dual_mov_b32 v43, v105 :: v_dual_mov_b32 v42, v104
	v_dual_mov_b32 v40, v95 :: v_dual_mov_b32 v111, v102
	v_mov_b32_e32 v44, v94
	v_dual_mov_b32 v50, v108 :: v_dual_mov_b32 v215, v146
	v_dual_mov_b32 v132, v37 :: v_dual_mov_b32 v133, v58
	s_add_i32 s20, s20, 8
	s_add_i32 s18, s18, 8
	s_cmp_ge_i32 s20, s19
	s_waitcnt vmcnt(0)
	ds_store_b64 v0, v[1:2]
	s_clause 0x2
	scratch_load_b32 v0, off, off offset:380
	scratch_load_b64 v[1:2], off, off offset:324
	scratch_load_b64 v[3:4], off, off offset:332
	s_waitcnt vmcnt(0)
	ds_store_2addr_stride64_b64 v0, v[1:2], v[3:4] offset1:4
	s_clause 0x1
	scratch_load_b64 v[1:2], off, off offset:340
	scratch_load_b64 v[3:4], off, off offset:348
	s_waitcnt vmcnt(0)
	ds_store_2addr_stride64_b64 v0, v[1:2], v[3:4] offset0:8 offset1:12
	s_waitcnt lgkmcnt(0)
	s_waitcnt_vscnt null, 0x0
	s_barrier
	buffer_gl0_inv
	s_cbranch_scc1 .LBB125_51
; %bb.49:                               ;   in Loop: Header=BB125_27 Depth=1
	v_dual_mov_b32 v37, v59 :: v_dual_mov_b32 v146, v68
	v_dual_mov_b32 v68, v70 :: v_dual_mov_b32 v95, v199
	v_mov_b32_e32 v70, v72
	v_mov_b32_e32 v72, v74
	;; [unrolled: 1-line block ×6, first 2 shown]
	s_branch .LBB125_27
.LBB125_50:
	v_mov_b32_e32 v60, v74
	v_mov_b32_e32 v74, v72
	v_mov_b32_e32 v72, v70
	v_mov_b32_e32 v70, v68
	v_mov_b32_e32 v68, v146
	v_mov_b32_e32 v46, v216
	s_branch .LBB125_52
.LBB125_51:
	v_mov_b32_e32 v46, v59
	v_dual_mov_b32 v236, v61 :: v_dual_mov_b32 v95, v199
	v_mov_b32_e32 v240, v107
	v_mov_b32_e32 v102, v103
.LBB125_52:
	s_delay_alu instid0(VALU_DEP_2) | instskip(NEXT) | instid1(VALU_DEP_4)
	v_dual_mov_b32 v110, v240 :: v_dual_mov_b32 v113, v50
	v_dual_mov_b32 v58, v236 :: v_dual_mov_b32 v105, v42
	;; [unrolled: 1-line block ×6, first 2 shown]
	v_mov_b32_e32 v56, v60
	v_mov_b32_e32 v64, v98
	v_dual_mov_b32 v112, v99 :: v_dual_mov_b32 v99, v44
	v_mov_b32_e32 v98, v109
	v_mov_b32_e32 v94, v40
	v_mov_b32_e32 v104, v41
	v_mov_b32_e32 v108, v43
	s_mov_b32 s8, 0
	s_mov_b32 s3, -1
.LBB125_53:                             ; =>This Inner Loop Header: Depth=1
	s_lshl_b32 s8, s8, 3
	v_dual_mov_b32 v59, v64 :: v_dual_mov_b32 v242, v122
	v_lshl_add_u32 v4, v217, 5, s8
	v_lshl_add_u32 v5, v49, 5, s8
	v_mov_b32_e32 v239, v133
	v_dual_mov_b32 v103, v200 :: v_dual_mov_b32 v234, v202
	ds_load_b128 v[32:35], v4 offset:8192
	ds_load_b128 v[0:3], v5 offset:18432
	;; [unrolled: 1-line block ×4, first 2 shown]
	v_dual_mov_b32 v200, v123 :: v_dual_mov_b32 v241, v197
	v_dual_mov_b32 v202, v132 :: v_dual_mov_b32 v109, v215
	v_mov_b32_e32 v203, v246
	s_mov_b32 s8, 2
	s_and_not1_b32 vcc_lo, exec_lo, s3
	s_mov_b32 s3, 0
	s_waitcnt lgkmcnt(2)
	v_add_f64 v[64:65], v[2:3], v[34:35]
	s_waitcnt lgkmcnt(1)
	v_add_f64 v[6:7], v[82:83], v[34:35]
	v_add_f64 v[66:67], v[0:1], v[32:33]
	s_delay_alu instid0(VALU_DEP_3)
	v_cvt_f32_f64_e32 v64, v[64:65]
	scratch_store_b64 off, v[6:7], off offset:28 ; 8-byte Folded Spill
	v_add_f64 v[6:7], v[80:81], v[32:33]
	v_cvt_f32_f64_e32 v66, v[66:67]
	scratch_store_b64 off, v[6:7], off offset:84 ; 8-byte Folded Spill
	ds_load_b128 v[72:75], v5 offset:18944
	ds_load_b128 v[144:147], v5 offset:19200
	v_min3_f32 v143, v66, v64, v143
	s_waitcnt lgkmcnt(1)
	v_add_f64 v[6:7], v[74:75], v[34:35]
	v_add_f64 v[62:63], v[72:73], v[32:33]
	scratch_store_b64 off, v[6:7], off offset:60 ; 8-byte Folded Spill
	s_waitcnt lgkmcnt(0)
	v_add_f64 v[6:7], v[146:147], v[34:35]
	v_cvt_f32_f64_e32 v62, v[62:63]
	scratch_store_b64 off, v[6:7], off offset:36 ; 8-byte Folded Spill
	v_add_f64 v[6:7], v[144:145], v[32:33]
	scratch_store_b64 off, v[6:7], off offset:92 ; 8-byte Folded Spill
	ds_load_b128 v[148:151], v5 offset:19456
	ds_load_b128 v[152:155], v5 offset:19712
	s_waitcnt lgkmcnt(1)
	v_add_f64 v[6:7], v[150:151], v[34:35]
	v_add_f64 v[60:61], v[148:149], v[32:33]
	scratch_store_b64 off, v[6:7], off offset:68 ; 8-byte Folded Spill
	s_waitcnt lgkmcnt(0)
	v_add_f64 v[6:7], v[154:155], v[34:35]
	v_cvt_f32_f64_e32 v60, v[60:61]
	scratch_store_b64 off, v[6:7], off offset:44 ; 8-byte Folded Spill
	v_add_f64 v[6:7], v[152:153], v[32:33]
	scratch_store_b64 off, v[6:7], off offset:100 ; 8-byte Folded Spill
	ds_load_b128 v[156:159], v5 offset:19968
	ds_load_b128 v[160:163], v5 offset:20224
	s_waitcnt lgkmcnt(1)
	v_add_f64 v[5:6], v[158:159], v[34:35]
	v_add_f64 v[28:29], v[156:157], v[68:69]
	;; [unrolled: 1-line block ×3, first 2 shown]
	scratch_store_b64 off, v[5:6], off offset:76 ; 8-byte Folded Spill
	s_waitcnt lgkmcnt(0)
	v_add_f64 v[5:6], v[162:163], v[34:35]
	v_cvt_f32_f64_e32 v30, v[30:31]
	scratch_store_b64 off, v[5:6], off offset:52 ; 8-byte Folded Spill
	v_add_f64 v[5:6], v[160:161], v[32:33]
	scratch_store_b64 off, v[5:6], off offset:108 ; 8-byte Folded Spill
	v_add_f64 v[5:6], v[2:3], v[70:71]
	;; [unrolled: 2-line block ×16, first 2 shown]
	scratch_store_b64 off, v[5:6], off offset:228 ; 8-byte Folded Spill
	ds_load_b128 v[68:71], v4 offset:10240
	ds_load_b128 v[164:167], v4 offset:11264
	s_waitcnt lgkmcnt(1)
	v_add_f64 v[5:6], v[74:75], v[70:71]
	v_add_f64 v[86:87], v[2:3], v[70:71]
	;; [unrolled: 1-line block ×8, first 2 shown]
	s_waitcnt lgkmcnt(0)
	v_add_f64 v[114:115], v[2:3], v[166:167]
	v_add_f64 v[116:117], v[0:1], v[164:165]
	;; [unrolled: 1-line block ×16, first 2 shown]
	scratch_store_b64 off, v[5:6], off offset:300 ; 8-byte Folded Spill
	v_add_f64 v[5:6], v[146:147], v[70:71]
	scratch_store_b64 off, v[5:6], off offset:284 ; 8-byte Folded Spill
	v_add_f64 v[5:6], v[150:151], v[70:71]
	;; [unrolled: 2-line block ×8, first 2 shown]
	scratch_store_b64 off, v[5:6], off offset:260 ; 8-byte Folded Spill
	ds_load_b128 v[68:71], v4 offset:12288
	ds_load_b128 v[164:167], v4 offset:13312
	s_waitcnt lgkmcnt(1)
	v_add_f64 v[184:185], v[2:3], v[70:71]
	v_add_f64 v[186:187], v[0:1], v[68:69]
	;; [unrolled: 1-line block ×16, first 2 shown]
	s_waitcnt lgkmcnt(0)
	v_add_f64 v[216:217], v[2:3], v[166:167]
	v_add_f64 v[218:219], v[0:1], v[164:165]
	;; [unrolled: 1-line block ×16, first 2 shown]
	ds_load_b128 v[68:71], v4 offset:14336
	ds_load_b128 v[164:167], v4 offset:15360
	scratch_load_b64 v[64:65], off, off offset:84 ; 8-byte Folded Reload
	s_waitcnt lgkmcnt(1)
	v_add_f64 v[248:249], v[2:3], v[70:71]
	v_add_f64 v[250:251], v[0:1], v[68:69]
	s_waitcnt lgkmcnt(0)
	v_add_f64 v[2:3], v[2:3], v[166:167]
	v_add_f64 v[0:1], v[0:1], v[164:165]
	;; [unrolled: 1-line block ×30, first 2 shown]
	v_cvt_f32_f64_e32 v0, v[0:1]
	v_cvt_f32_f64_e32 v1, v[2:3]
	;; [unrolled: 1-line block ×4, first 2 shown]
	s_delay_alu instid0(VALU_DEP_3) | instskip(SKIP_2) | instid1(VALU_DEP_1)
	v_min3_f32 v125, v0, v1, v125
	v_cvt_f32_f64_e32 v0, v[80:81]
	v_cvt_f32_f64_e32 v1, v[82:83]
	v_min3_f32 v124, v0, v1, v124
	v_cvt_f32_f64_e32 v0, v[72:73]
	v_cvt_f32_f64_e32 v1, v[74:75]
	s_waitcnt vmcnt(0)
	v_cvt_f32_f64_e32 v64, v[64:65]
	scratch_load_b64 v[65:66], off, off offset:28 ; 8-byte Folded Reload
	s_waitcnt vmcnt(0)
	v_cvt_f32_f64_e32 v65, v[65:66]
	s_delay_alu instid0(VALU_DEP_1)
	v_min3_f32 v142, v64, v65, v142
	v_mov_b32_e32 v64, v59
	scratch_load_b64 v[65:66], off, off offset:60 ; 8-byte Folded Reload
	s_waitcnt vmcnt(0)
	v_cvt_f32_f64_e32 v63, v[65:66]
	scratch_load_b64 v[65:66], off, off offset:36 ; 8-byte Folded Reload
	v_min3_f32 v141, v62, v63, v141
	scratch_load_b64 v[62:63], off, off offset:92 ; 8-byte Folded Reload
	s_waitcnt vmcnt(0)
	v_cvt_f32_f64_e32 v62, v[62:63]
	v_cvt_f32_f64_e32 v63, v[65:66]
	s_delay_alu instid0(VALU_DEP_1) | instskip(SKIP_3) | instid1(VALU_DEP_1)
	v_min3_f32 v140, v62, v63, v140
	scratch_load_b64 v[61:62], off, off offset:68 ; 8-byte Folded Reload
	s_waitcnt vmcnt(0)
	v_cvt_f32_f64_e32 v61, v[61:62]
	v_min3_f32 v139, v60, v61, v139
	s_clause 0x1
	scratch_load_b64 v[59:60], off, off offset:100
	scratch_load_b64 v[61:62], off, off offset:44
	s_waitcnt vmcnt(1)
	v_cvt_f32_f64_e32 v60, v[59:60]
	s_waitcnt vmcnt(0)
	v_cvt_f32_f64_e32 v61, v[61:62]
	s_delay_alu instid0(VALU_DEP_1)
	v_min3_f32 v137, v60, v61, v137
	scratch_load_b64 v[59:60], off, off offset:76 ; 8-byte Folded Reload
	s_waitcnt vmcnt(0)
	v_cvt_f32_f64_e32 v31, v[59:60]
	scratch_load_b64 v[59:60], off, off offset:52 ; 8-byte Folded Reload
	v_min3_f32 v245, v30, v31, v245
	scratch_load_b64 v[30:31], off, off offset:108 ; 8-byte Folded Reload
	s_waitcnt vmcnt(0)
	v_cvt_f32_f64_e32 v30, v[30:31]
	v_cvt_f32_f64_e32 v31, v[59:60]
	scratch_load_b64 v[59:60], off, off offset:116 ; 8-byte Folded Reload
	v_min3_f32 v79, v30, v31, v79
	scratch_load_b64 v[30:31], off, off offset:124 ; 8-byte Folded Reload
	s_waitcnt vmcnt(0)
	v_cvt_f32_f64_e32 v30, v[30:31]
	;; [unrolled: 6-line block ×7, first 2 shown]
	v_cvt_f32_f64_e32 v31, v[59:60]
	scratch_load_b64 v[59:60], off, off offset:252 ; 8-byte Folded Reload
	v_min3_f32 v119, v30, v31, v119
	v_cvt_f32_f64_e32 v30, v[28:29]
	scratch_load_b64 v[28:29], off, off offset:212 ; 8-byte Folded Reload
	s_waitcnt vmcnt(0)
	v_cvt_f32_f64_e32 v28, v[28:29]
	s_delay_alu instid0(VALU_DEP_1)
	v_min3_f32 v138, v30, v28, v138
	scratch_load_b64 v[28:29], off, off offset:228 ; 8-byte Folded Reload
	s_waitcnt vmcnt(0)
	v_cvt_f32_f64_e32 v28, v[28:29]
	scratch_load_b64 v[29:30], off, off offset:220 ; 8-byte Folded Reload
	s_waitcnt vmcnt(0)
	v_cvt_f32_f64_e32 v29, v[29:30]
	s_delay_alu instid0(VALU_DEP_1) | instskip(SKIP_2) | instid1(VALU_DEP_1)
	v_min3_f32 v255, v28, v29, v255
	v_cvt_f32_f64_e32 v28, v[84:85]
	v_cvt_f32_f64_e32 v29, v[86:87]
	v_min3_f32 v108, v28, v29, v108
	v_cvt_f32_f64_e32 v28, v[88:89]
	v_cvt_f32_f64_e32 v29, v[90:91]
	s_delay_alu instid0(VALU_DEP_1) | instskip(SKIP_4) | instid1(VALU_DEP_1)
	v_min3_f32 v105, v28, v29, v105
	scratch_load_b64 v[29:30], off, off offset:300 ; 8-byte Folded Reload
	v_cvt_f32_f64_e32 v28, v[92:93]
	s_waitcnt vmcnt(0)
	v_cvt_f32_f64_e32 v29, v[29:30]
	v_min3_f32 v104, v28, v29, v104
	scratch_load_b64 v[29:30], off, off offset:284 ; 8-byte Folded Reload
	v_cvt_f32_f64_e32 v28, v[96:97]
	s_waitcnt vmcnt(0)
	v_cvt_f32_f64_e32 v29, v[29:30]
	s_delay_alu instid0(VALU_DEP_1)
	v_min3_f32 v94, v28, v29, v94
	scratch_load_b64 v[29:30], off, off offset:268 ; 8-byte Folded Reload
	v_cvt_f32_f64_e32 v28, v[100:101]
	s_waitcnt vmcnt(0)
	v_cvt_f32_f64_e32 v29, v[29:30]
	scratch_load_b32 v30, off, off offset:8 ; 4-byte Folded Reload
	v_min3_f32 v95, v28, v29, v95
	scratch_load_b64 v[28:29], off, off offset:292 ; 8-byte Folded Reload
	s_waitcnt vmcnt(0)
	v_cvt_f32_f64_e32 v28, v[28:29]
	v_cvt_f32_f64_e32 v29, v[59:60]
	scratch_load_b64 v[59:60], off, off offset:244 ; 8-byte Folded Reload
	v_min3_f32 v99, v28, v29, v99
	scratch_load_b64 v[28:29], off, off offset:276 ; 8-byte Folded Reload
	s_waitcnt vmcnt(0)
	v_cvt_f32_f64_e32 v28, v[28:29]
	v_cvt_f32_f64_e32 v29, v[59:60]
	scratch_load_b64 v[59:60], off, off offset:236 ; 8-byte Folded Reload
	v_min3_f32 v98, v28, v29, v98
	scratch_load_b64 v[28:29], off, off offset:260 ; 8-byte Folded Reload
	s_waitcnt vmcnt(0)
	v_cvt_f32_f64_e32 v28, v[28:29]
	v_cvt_f32_f64_e32 v29, v[59:60]
	s_delay_alu instid0(VALU_DEP_1) | instskip(SKIP_2) | instid1(VALU_DEP_1)
	v_min3_f32 v113, v28, v29, v113
	v_cvt_f32_f64_e32 v28, v[116:117]
	v_cvt_f32_f64_e32 v29, v[114:115]
	v_min3_f32 v112, v28, v29, v112
	v_cvt_f32_f64_e32 v28, v[47:48]
	v_cvt_f32_f64_e32 v29, v[76:77]
	s_delay_alu instid0(VALU_DEP_1)
	v_min3_f32 v30, v28, v29, v30
	v_cvt_f32_f64_e32 v28, v[20:21]
	v_cvt_f32_f64_e32 v29, v[122:123]
	v_dual_mov_b32 v123, v200 :: v_dual_mov_b32 v200, v103
	scratch_load_b32 v21, off, off offset:4 ; 4-byte Folded Reload
	v_mov_b32_e32 v122, v242
	v_min3_f32 v64, v28, v29, v64
	v_cvt_f32_f64_e32 v28, v[44:45]
	v_cvt_f32_f64_e32 v29, v[126:127]
	s_delay_alu instid0(VALU_DEP_1) | instskip(SKIP_2) | instid1(VALU_DEP_1)
	v_min3_f32 v102, v28, v29, v102
	v_cvt_f32_f64_e32 v28, v[170:171]
	v_cvt_f32_f64_e32 v29, v[168:169]
	v_min3_f32 v200, v28, v29, v200
	v_cvt_f32_f64_e32 v28, v[174:175]
	v_cvt_f32_f64_e32 v29, v[172:173]
	s_delay_alu instid0(VALU_DEP_1) | instskip(SKIP_2) | instid1(VALU_DEP_1)
	v_min3_f32 v111, v28, v29, v111
	v_cvt_f32_f64_e32 v28, v[178:179]
	v_cvt_f32_f64_e32 v29, v[176:177]
	;; [unrolled: 7-line block ×4, first 2 shown]
	v_min3_f32 v56, v28, v29, v56
	v_cvt_f32_f64_e32 v28, v[38:39]
	v_cvt_f32_f64_e32 v29, v[196:197]
	v_mov_b32_e32 v197, v241
	s_delay_alu instid0(VALU_DEP_2) | instskip(SKIP_2) | instid1(VALU_DEP_1)
	v_min3_f32 v55, v28, v29, v55
	v_cvt_f32_f64_e32 v28, v[40:41]
	v_cvt_f32_f64_e32 v29, v[42:43]
	v_min3_f32 v54, v28, v29, v54
	v_cvt_f32_f64_e32 v28, v[206:207]
	v_cvt_f32_f64_e32 v29, v[204:205]
	s_delay_alu instid0(VALU_DEP_1) | instskip(SKIP_2) | instid1(VALU_DEP_1)
	v_min3_f32 v240, v28, v29, v240
	v_cvt_f32_f64_e32 v28, v[210:211]
	v_cvt_f32_f64_e32 v29, v[208:209]
	v_min3_f32 v51, v28, v29, v51
	v_cvt_f32_f64_e32 v28, v[214:215]
	v_cvt_f32_f64_e32 v29, v[212:213]
	v_mov_b32_e32 v215, v109
	s_delay_alu instid0(VALU_DEP_2)
	v_min3_f32 v50, v28, v29, v50
	v_cvt_f32_f64_e32 v28, v[218:219]
	v_cvt_f32_f64_e32 v29, v[216:217]
	s_clause 0x1
	scratch_load_b32 v217, off, off offset:20
	scratch_load_b32 v20, off, off
	s_waitcnt vmcnt(2)
	v_min3_f32 v21, v0, v1, v21
	v_cvt_f32_f64_e32 v0, v[144:145]
	v_cvt_f32_f64_e32 v1, v[146:147]
	v_min3_f32 v235, v28, v29, v235
	v_cvt_f32_f64_e32 v28, v[222:223]
	v_cvt_f32_f64_e32 v29, v[220:221]
	s_delay_alu instid0(VALU_DEP_4) | instskip(SKIP_2) | instid1(VALU_DEP_4)
	v_min3_f32 v122, v0, v1, v122
	v_cvt_f32_f64_e32 v0, v[148:149]
	v_cvt_f32_f64_e32 v1, v[150:151]
	v_min3_f32 v53, v28, v29, v53
	v_cvt_f32_f64_e32 v28, v[226:227]
	v_cvt_f32_f64_e32 v29, v[224:225]
	s_delay_alu instid0(VALU_DEP_4) | instskip(SKIP_2) | instid1(VALU_DEP_4)
	;; [unrolled: 7-line block ×3, first 2 shown]
	v_min3_f32 v120, v0, v1, v120
	v_cvt_f32_f64_e32 v0, v[156:157]
	v_cvt_f32_f64_e32 v1, v[158:159]
	v_min3_f32 v46, v28, v29, v46
	v_cvt_f32_f64_e32 v28, v[36:37]
	v_cvt_f32_f64_e32 v29, v[232:233]
	s_delay_alu instid0(VALU_DEP_1)
	v_min3_f32 v239, v28, v29, v239
	v_cvt_f32_f64_e32 v28, v[132:133]
	v_mov_b32_e32 v132, v202
	v_mov_b32_e32 v202, v234
	v_cvt_f32_f64_e32 v29, v[236:237]
	v_mov_b32_e32 v133, v239
	s_delay_alu instid0(VALU_DEP_3)
	v_min3_f32 v202, v4, v5, v202
	v_cvt_f32_f64_e32 v4, v[6:7]
	v_cvt_f32_f64_e32 v5, v[10:11]
	v_min3_f32 v132, v28, v29, v132
	v_cvt_f32_f64_e32 v28, v[32:33]
	v_cvt_f32_f64_e32 v29, v[34:35]
	s_delay_alu instid0(VALU_DEP_4) | instskip(SKIP_2) | instid1(VALU_DEP_4)
	v_min3_f32 v134, v4, v5, v134
	v_cvt_f32_f64_e32 v4, v[8:9]
	v_cvt_f32_f64_e32 v5, v[14:15]
	v_min3_f32 v215, v28, v29, v215
	v_cvt_f32_f64_e32 v28, v[246:247]
	v_cvt_f32_f64_e32 v29, v[130:131]
	v_mov_b32_e32 v246, v203
	v_min3_f32 v135, v4, v5, v135
	v_cvt_f32_f64_e32 v4, v[12:13]
	v_cvt_f32_f64_e32 v5, v[18:19]
	s_delay_alu instid0(VALU_DEP_4)
	v_min3_f32 v246, v28, v29, v246
	v_cvt_f32_f64_e32 v28, v[250:251]
	v_cvt_f32_f64_e32 v29, v[248:249]
	s_waitcnt vmcnt(0)
	v_min3_f32 v20, v0, v1, v20
	v_cvt_f32_f64_e32 v0, v[160:161]
	v_cvt_f32_f64_e32 v1, v[162:163]
	v_min3_f32 v197, v4, v5, v197
	v_cvt_f32_f64_e32 v4, v[16:17]
	v_cvt_f32_f64_e32 v5, v[24:25]
	s_clause 0x2
	scratch_store_b32 off, v30, off offset:8
	scratch_store_b32 off, v21, off offset:4
	scratch_store_b32 off, v20, off
	v_min3_f32 v201, v28, v29, v201
	v_min3_f32 v118, v0, v1, v118
	;; [unrolled: 1-line block ×3, first 2 shown]
	v_cvt_f32_f64_e32 v4, v[22:23]
	v_cvt_f32_f64_e32 v5, v[26:27]
	s_delay_alu instid0(VALU_DEP_1) | instskip(SKIP_2) | instid1(VALU_DEP_1)
	v_min3_f32 v128, v4, v5, v128
	v_cvt_f32_f64_e32 v4, v[68:69]
	v_cvt_f32_f64_e32 v5, v[70:71]
	v_min3_f32 v123, v4, v5, v123
	s_cbranch_vccz .LBB125_53
; %bb.54:
	s_clause 0x2
	s_load_b32 s8, s[0:1], 0x70
	s_load_b32 s3, s[0:1], 0x58
	s_load_b64 s[0:1], s[0:1], 0x78
	v_add_nc_u32_e32 v18, s15, v217
	v_add_nc_u32_e32 v12, s14, v49
	s_delay_alu instid0(VALU_DEP_1) | instskip(SKIP_1) | instid1(VALU_DEP_1)
	v_ashrrev_i32_e32 v13, 31, v12
	v_add_nc_u32_e32 v2, 8, v12
	v_ashrrev_i32_e32 v3, 31, v2
	s_waitcnt lgkmcnt(0)
	v_mad_i64_i32 v[0:1], null, v18, s8, 0
	v_mad_i64_i32 v[4:5], null, v18, s3, 0
	s_lshl_b64 s[0:1], s[0:1], 3
	s_delay_alu instid0(SALU_CYCLE_1) | instskip(SKIP_1) | instid1(VALU_DEP_2)
	s_add_u32 s9, s10, s0
	s_addc_u32 s10, s11, s1
	v_lshlrev_b64 v[6:7], 3, v[0:1]
	v_lshlrev_b64 v[0:1], 3, v[12:13]
	s_delay_alu instid0(VALU_DEP_3) | instskip(NEXT) | instid1(VALU_DEP_3)
	v_lshlrev_b64 v[4:5], 3, v[4:5]
	v_add_co_u32 v19, vcc_lo, s9, v6
	s_delay_alu instid0(VALU_DEP_4) | instskip(NEXT) | instid1(VALU_DEP_3)
	v_add_co_ci_u32_e32 v22, vcc_lo, s10, v7, vcc_lo
	v_add_co_u32 v16, vcc_lo, s4, v4
	s_delay_alu instid0(VALU_DEP_4)
	v_add_co_ci_u32_e32 v17, vcc_lo, s5, v5, vcc_lo
	v_max_f32_e32 v4, v143, v143
	s_mov_b32 vcc_lo, s2
	s_cbranch_vccz .LBB125_56
; %bb.55:
	s_delay_alu instid0(VALU_DEP_1) | instskip(SKIP_2) | instid1(VALU_DEP_3)
	v_min_f32_e32 v5, 0, v4
	v_add_co_u32 v7, vcc_lo, v19, v0
	v_add_co_ci_u32_e32 v8, vcc_lo, v22, v1, vcc_lo
	v_cvt_f64_f32_e32 v[5:6], v5
	s_mov_b32 s11, 0
	s_mov_b64 s[0:1], 0
	global_store_b64 v[7:8], v[5:6], off
	s_branch .LBB125_57
.LBB125_56:
	s_mov_b32 s11, -1
                                        ; implicit-def: $sgpr0_sgpr1
.LBB125_57:
	v_lshlrev_b64 v[2:3], 3, v[2:3]
	v_dual_mov_b32 v34, v53 :: v_dual_mov_b32 v35, v235
	v_dual_mov_b32 v37, v51 :: v_dual_mov_b32 v38, v240
	v_mov_b32_e32 v40, v55
	s_and_not1_b32 vcc_lo, exec_lo, s11
	s_cbranch_vccnz .LBB125_59
; %bb.58:
	v_add_co_u32 v5, vcc_lo, v16, v0
	v_add_co_ci_u32_e32 v6, vcc_lo, v17, v1, vcc_lo
	flat_load_b64 v[5:6], v[5:6]
	s_waitcnt vmcnt(0) lgkmcnt(0)
	v_mul_f64 v[5:6], v[5:6], s[6:7]
	s_delay_alu instid0(VALU_DEP_1)
	v_cvt_f32_f64_e32 v5, v[5:6]
	v_add_co_u32 v6, vcc_lo, v19, v0
	v_add_co_ci_u32_e32 v7, vcc_lo, v22, v1, vcc_lo
	v_add_co_u32 v8, vcc_lo, v16, v2
	v_add_co_ci_u32_e32 v9, vcc_lo, v17, v3, vcc_lo
	v_min_f32_e32 v4, v5, v4
	s_delay_alu instid0(VALU_DEP_1)
	v_cvt_f64_f32_e32 v[4:5], v4
	global_store_b64 v[6:7], v[4:5], off
	flat_load_b64 v[4:5], v[8:9]
	s_waitcnt vmcnt(0) lgkmcnt(0)
	v_mul_f64 v[4:5], v[4:5], s[6:7]
	s_branch .LBB125_60
.LBB125_59:
	v_dual_mov_b32 v5, s1 :: v_dual_mov_b32 v4, s0
.LBB125_60:
	s_delay_alu instid0(VALU_DEP_1) | instskip(SKIP_4) | instid1(VALU_DEP_4)
	v_cvt_f32_f64_e32 v4, v[4:5]
	v_dual_max_f32 v5, v142, v142 :: v_dual_add_nc_u32 v6, 24, v12
	v_add_co_u32 v13, vcc_lo, v19, v2
	v_add_co_ci_u32_e32 v14, vcc_lo, v22, v3, vcc_lo
	v_max_f32_e32 v8, v141, v141
	v_ashrrev_i32_e32 v7, 31, v6
	s_mov_b32 vcc_lo, s2
	v_min_f32_e32 v4, v4, v5
	s_delay_alu instid0(VALU_DEP_1) | instskip(SKIP_1) | instid1(VALU_DEP_1)
	v_cvt_f64_f32_e32 v[9:10], v4
	v_add_nc_u32_e32 v4, 16, v12
	v_ashrrev_i32_e32 v5, 31, v4
	s_delay_alu instid0(VALU_DEP_1)
	v_lshlrev_b64 v[4:5], 3, v[4:5]
	global_store_b64 v[13:14], v[9:10], off
	s_cbranch_vccz .LBB125_63
; %bb.61:
	v_min_f32_e32 v9, 0, v8
	v_add_co_u32 v13, vcc_lo, v19, v4
	v_add_co_ci_u32_e32 v14, vcc_lo, v22, v5, vcc_lo
	s_delay_alu instid0(VALU_DEP_3)
	v_cvt_f64_f32_e32 v[9:10], v9
	s_mov_b64 s[0:1], 0
	global_store_b64 v[13:14], v[9:10], off
	v_lshlrev_b64 v[6:7], 3, v[6:7]
	s_cbranch_execz .LBB125_64
; %bb.62:
	v_dual_mov_b32 v9, s1 :: v_dual_mov_b32 v8, s0
	s_branch .LBB125_65
.LBB125_63:
                                        ; implicit-def: $sgpr0_sgpr1
	v_lshlrev_b64 v[6:7], 3, v[6:7]
.LBB125_64:
	v_add_co_u32 v9, vcc_lo, v16, v4
	v_add_co_ci_u32_e32 v10, vcc_lo, v17, v5, vcc_lo
	flat_load_b64 v[9:10], v[9:10]
	s_waitcnt vmcnt(0) lgkmcnt(0)
	v_mul_f64 v[9:10], v[9:10], s[6:7]
	s_delay_alu instid0(VALU_DEP_1)
	v_cvt_f32_f64_e32 v9, v[9:10]
	v_add_co_u32 v10, vcc_lo, v19, v4
	v_add_co_ci_u32_e32 v11, vcc_lo, v22, v5, vcc_lo
	v_add_co_u32 v13, vcc_lo, v16, v6
	v_add_co_ci_u32_e32 v14, vcc_lo, v17, v7, vcc_lo
	v_min_f32_e32 v8, v9, v8
	s_delay_alu instid0(VALU_DEP_1)
	v_cvt_f64_f32_e32 v[8:9], v8
	global_store_b64 v[10:11], v[8:9], off
	flat_load_b64 v[8:9], v[13:14]
	s_waitcnt vmcnt(0) lgkmcnt(0)
	v_mul_f64 v[8:9], v[8:9], s[6:7]
.LBB125_65:
	s_delay_alu instid0(VALU_DEP_1) | instskip(SKIP_4) | instid1(VALU_DEP_3)
	v_cvt_f32_f64_e32 v8, v[8:9]
	v_max_f32_e32 v9, v140, v140
	v_add_nc_u32_e32 v10, 40, v12
	v_add_co_u32 v23, vcc_lo, v19, v6
	v_add_co_ci_u32_e32 v24, vcc_lo, v22, v7, vcc_lo
	v_ashrrev_i32_e32 v11, 31, v10
	s_mov_b32 vcc_lo, s2
	v_dual_max_f32 v13, v139, v139 :: v_dual_min_f32 v8, v8, v9
	s_delay_alu instid0(VALU_DEP_1) | instskip(SKIP_1) | instid1(VALU_DEP_1)
	v_cvt_f64_f32_e32 v[14:15], v8
	v_add_nc_u32_e32 v8, 32, v12
	v_ashrrev_i32_e32 v9, 31, v8
	s_delay_alu instid0(VALU_DEP_1)
	v_lshlrev_b64 v[8:9], 3, v[8:9]
	global_store_b64 v[23:24], v[14:15], off
	s_cbranch_vccz .LBB125_68
; %bb.66:
	v_min_f32_e32 v14, 0, v13
	v_add_co_u32 v23, vcc_lo, v19, v8
	v_add_co_ci_u32_e32 v24, vcc_lo, v22, v9, vcc_lo
	s_delay_alu instid0(VALU_DEP_3)
	v_cvt_f64_f32_e32 v[14:15], v14
	s_mov_b64 s[0:1], 0
	global_store_b64 v[23:24], v[14:15], off
	v_lshlrev_b64 v[10:11], 3, v[10:11]
	s_cbranch_execz .LBB125_69
; %bb.67:
	v_dual_mov_b32 v14, s1 :: v_dual_mov_b32 v13, s0
	s_branch .LBB125_70
.LBB125_68:
                                        ; implicit-def: $sgpr0_sgpr1
	v_lshlrev_b64 v[10:11], 3, v[10:11]
.LBB125_69:
	v_add_co_u32 v14, vcc_lo, v16, v8
	v_add_co_ci_u32_e32 v15, vcc_lo, v17, v9, vcc_lo
	v_add_co_u32 v23, vcc_lo, v19, v8
	v_add_co_ci_u32_e32 v24, vcc_lo, v22, v9, vcc_lo
	flat_load_b64 v[14:15], v[14:15]
	v_add_co_u32 v25, vcc_lo, v16, v10
	v_add_co_ci_u32_e32 v26, vcc_lo, v17, v11, vcc_lo
	s_waitcnt vmcnt(0) lgkmcnt(0)
	v_mul_f64 v[14:15], v[14:15], s[6:7]
	s_delay_alu instid0(VALU_DEP_1) | instskip(NEXT) | instid1(VALU_DEP_1)
	v_cvt_f32_f64_e32 v14, v[14:15]
	v_min_f32_e32 v13, v14, v13
	s_delay_alu instid0(VALU_DEP_1)
	v_cvt_f64_f32_e32 v[13:14], v13
	global_store_b64 v[23:24], v[13:14], off
	flat_load_b64 v[13:14], v[25:26]
	s_waitcnt vmcnt(0) lgkmcnt(0)
	v_mul_f64 v[13:14], v[13:14], s[6:7]
.LBB125_70:
	s_delay_alu instid0(VALU_DEP_1)
	v_cvt_f32_f64_e32 v13, v[13:14]
	v_max_f32_e32 v14, v137, v137
	v_add_co_u32 v28, vcc_lo, v19, v10
	v_add_co_ci_u32_e32 v29, vcc_lo, v22, v11, vcc_lo
	s_mov_b32 vcc_lo, s2
	v_dual_max_f32 v23, v245, v245 :: v_dual_add_nc_u32 v26, 48, v12
	s_delay_alu instid0(VALU_DEP_1) | instskip(SKIP_1) | instid1(VALU_DEP_1)
	v_ashrrev_i32_e32 v27, 31, v26
	v_dual_min_f32 v13, v13, v14 :: v_dual_add_nc_u32 v14, 56, v12
	v_cvt_f64_f32_e32 v[24:25], v13
	s_delay_alu instid0(VALU_DEP_2) | instskip(NEXT) | instid1(VALU_DEP_4)
	v_ashrrev_i32_e32 v15, 31, v14
	v_lshlrev_b64 v[12:13], 3, v[26:27]
	global_store_b64 v[28:29], v[24:25], off
	s_cbranch_vccz .LBB125_73
; %bb.71:
	v_min_f32_e32 v24, 0, v23
	v_add_co_u32 v26, vcc_lo, v19, v12
	v_add_co_ci_u32_e32 v27, vcc_lo, v22, v13, vcc_lo
	s_delay_alu instid0(VALU_DEP_3)
	v_cvt_f64_f32_e32 v[24:25], v24
	s_mov_b64 s[0:1], 0
	global_store_b64 v[26:27], v[24:25], off
	v_lshlrev_b64 v[14:15], 3, v[14:15]
	s_cbranch_execz .LBB125_74
; %bb.72:
	v_dual_mov_b32 v17, s1 :: v_dual_mov_b32 v16, s0
	s_branch .LBB125_75
.LBB125_73:
                                        ; implicit-def: $sgpr0_sgpr1
	v_lshlrev_b64 v[14:15], 3, v[14:15]
.LBB125_74:
	v_add_co_u32 v24, vcc_lo, v16, v12
	v_add_co_ci_u32_e32 v25, vcc_lo, v17, v13, vcc_lo
	flat_load_b64 v[24:25], v[24:25]
	s_waitcnt vmcnt(0) lgkmcnt(0)
	v_mul_f64 v[24:25], v[24:25], s[6:7]
	s_delay_alu instid0(VALU_DEP_1)
	v_cvt_f32_f64_e32 v24, v[24:25]
	v_add_co_u32 v25, vcc_lo, v19, v12
	v_add_co_ci_u32_e32 v26, vcc_lo, v22, v13, vcc_lo
	v_add_co_u32 v16, vcc_lo, v16, v14
	v_add_co_ci_u32_e32 v17, vcc_lo, v17, v15, vcc_lo
	v_min_f32_e32 v23, v24, v23
	s_delay_alu instid0(VALU_DEP_1)
	v_cvt_f64_f32_e32 v[23:24], v23
	global_store_b64 v[25:26], v[23:24], off
	flat_load_b64 v[16:17], v[16:17]
	s_waitcnt vmcnt(0) lgkmcnt(0)
	v_mul_f64 v[16:17], v[16:17], s[6:7]
.LBB125_75:
	s_delay_alu instid0(VALU_DEP_1) | instskip(SKIP_4) | instid1(VALU_DEP_1)
	v_cvt_f32_f64_e32 v16, v[16:17]
	v_max_f32_e32 v17, v79, v79
	v_add_co_u32 v29, vcc_lo, v19, v14
	v_add_co_ci_u32_e32 v30, vcc_lo, v22, v15, vcc_lo
	v_add_nc_u32_e32 v27, 32, v18
	v_mad_i64_i32 v[23:24], null, v27, s3, 0
	s_delay_alu instid0(VALU_DEP_1) | instskip(SKIP_1) | instid1(VALU_DEP_1)
	v_lshlrev_b64 v[31:32], 3, v[23:24]
	v_min_f32_e32 v16, v16, v17
	v_cvt_f64_f32_e32 v[25:26], v16
	v_mad_i64_i32 v[16:17], null, v27, s8, 0
	s_delay_alu instid0(VALU_DEP_1) | instskip(SKIP_1) | instid1(VALU_DEP_2)
	v_lshlrev_b64 v[27:28], 3, v[16:17]
	v_max_f32_e32 v16, v198, v198
	v_add_co_u32 v19, vcc_lo, s9, v27
	s_delay_alu instid0(VALU_DEP_3)
	v_add_co_ci_u32_e32 v23, vcc_lo, s10, v28, vcc_lo
	v_add_co_u32 v24, vcc_lo, s4, v31
	v_add_co_ci_u32_e32 v22, vcc_lo, s5, v32, vcc_lo
	s_mov_b32 vcc_lo, s2
	global_store_b64 v[29:30], v[25:26], off
	s_cbranch_vccz .LBB125_78
; %bb.76:
	v_min_f32_e32 v17, 0, v16
	v_add_co_u32 v27, vcc_lo, v19, v0
	v_add_co_ci_u32_e32 v28, vcc_lo, v23, v1, vcc_lo
	s_delay_alu instid0(VALU_DEP_3)
	v_cvt_f64_f32_e32 v[25:26], v17
	s_mov_b64 s[0:1], 0
	global_store_b64 v[27:28], v[25:26], off
	s_cbranch_execz .LBB125_79
; %bb.77:
	v_dual_mov_b32 v17, s1 :: v_dual_mov_b32 v16, s0
	s_branch .LBB125_80
.LBB125_78:
                                        ; implicit-def: $sgpr0_sgpr1
.LBB125_79:
	v_add_co_u32 v25, vcc_lo, v24, v0
	v_add_co_ci_u32_e32 v26, vcc_lo, v22, v1, vcc_lo
	flat_load_b64 v[25:26], v[25:26]
	s_waitcnt vmcnt(0) lgkmcnt(0)
	v_mul_f64 v[25:26], v[25:26], s[6:7]
	s_delay_alu instid0(VALU_DEP_1)
	v_cvt_f32_f64_e32 v17, v[25:26]
	v_add_co_u32 v25, vcc_lo, v19, v0
	v_add_co_ci_u32_e32 v26, vcc_lo, v23, v1, vcc_lo
	v_add_co_u32 v27, vcc_lo, v24, v2
	v_add_co_ci_u32_e32 v28, vcc_lo, v22, v3, vcc_lo
	v_min_f32_e32 v16, v17, v16
	s_delay_alu instid0(VALU_DEP_1)
	v_cvt_f64_f32_e32 v[16:17], v16
	global_store_b64 v[25:26], v[16:17], off
	flat_load_b64 v[16:17], v[27:28]
	s_waitcnt vmcnt(0) lgkmcnt(0)
	v_mul_f64 v[16:17], v[16:17], s[6:7]
.LBB125_80:
	s_delay_alu instid0(VALU_DEP_1) | instskip(SKIP_4) | instid1(VALU_DEP_3)
	v_cvt_f32_f64_e32 v16, v[16:17]
	v_max_f32_e32 v17, v129, v129
	v_add_co_u32 v27, vcc_lo, v19, v2
	v_add_co_ci_u32_e32 v28, vcc_lo, v23, v3, vcc_lo
	s_mov_b32 vcc_lo, s2
	v_min_f32_e32 v16, v16, v17
	s_delay_alu instid0(VALU_DEP_1)
	v_cvt_f64_f32_e32 v[25:26], v16
	v_max_f32_e32 v16, v121, v121
	global_store_b64 v[27:28], v[25:26], off
	s_cbranch_vccz .LBB125_83
; %bb.81:
	v_min_f32_e32 v17, 0, v16
	v_add_co_u32 v27, vcc_lo, v19, v4
	v_add_co_ci_u32_e32 v28, vcc_lo, v23, v5, vcc_lo
	s_delay_alu instid0(VALU_DEP_3)
	v_cvt_f64_f32_e32 v[25:26], v17
	s_mov_b64 s[0:1], 0
	global_store_b64 v[27:28], v[25:26], off
	s_cbranch_execz .LBB125_84
; %bb.82:
	v_dual_mov_b32 v17, s1 :: v_dual_mov_b32 v16, s0
	s_branch .LBB125_85
.LBB125_83:
                                        ; implicit-def: $sgpr0_sgpr1
.LBB125_84:
	v_add_co_u32 v25, vcc_lo, v24, v4
	v_add_co_ci_u32_e32 v26, vcc_lo, v22, v5, vcc_lo
	flat_load_b64 v[25:26], v[25:26]
	s_waitcnt vmcnt(0) lgkmcnt(0)
	v_mul_f64 v[25:26], v[25:26], s[6:7]
	s_delay_alu instid0(VALU_DEP_1)
	v_cvt_f32_f64_e32 v17, v[25:26]
	v_add_co_u32 v25, vcc_lo, v19, v4
	v_add_co_ci_u32_e32 v26, vcc_lo, v23, v5, vcc_lo
	v_add_co_u32 v27, vcc_lo, v24, v6
	v_add_co_ci_u32_e32 v28, vcc_lo, v22, v7, vcc_lo
	v_min_f32_e32 v16, v17, v16
	s_delay_alu instid0(VALU_DEP_1)
	v_cvt_f64_f32_e32 v[16:17], v16
	global_store_b64 v[25:26], v[16:17], off
	flat_load_b64 v[16:17], v[27:28]
	s_waitcnt vmcnt(0) lgkmcnt(0)
	v_mul_f64 v[16:17], v[16:17], s[6:7]
.LBB125_85:
	s_delay_alu instid0(VALU_DEP_1) | instskip(SKIP_4) | instid1(VALU_DEP_3)
	v_cvt_f32_f64_e32 v16, v[16:17]
	v_max_f32_e32 v17, v244, v244
	v_add_co_u32 v27, vcc_lo, v19, v6
	v_add_co_ci_u32_e32 v28, vcc_lo, v23, v7, vcc_lo
	s_mov_b32 vcc_lo, s2
	v_min_f32_e32 v16, v16, v17
	s_delay_alu instid0(VALU_DEP_1)
	v_cvt_f64_f32_e32 v[25:26], v16
	v_max_f32_e32 v16, v136, v136
	;; [unrolled: 46-line block ×3, first 2 shown]
	global_store_b64 v[25:26], v[20:21], off
	s_cbranch_vccz .LBB125_93
; %bb.91:
	v_min_f32_e32 v17, 0, v16
	v_add_co_u32 v25, vcc_lo, v19, v12
	v_add_co_ci_u32_e32 v26, vcc_lo, v23, v13, vcc_lo
	s_delay_alu instid0(VALU_DEP_3)
	v_cvt_f64_f32_e32 v[20:21], v17
	s_mov_b64 s[0:1], 0
	global_store_b64 v[25:26], v[20:21], off
	s_cbranch_execz .LBB125_94
; %bb.92:
	v_dual_mov_b32 v17, s1 :: v_dual_mov_b32 v16, s0
	s_branch .LBB125_95
.LBB125_93:
                                        ; implicit-def: $sgpr0_sgpr1
.LBB125_94:
	v_add_co_u32 v20, vcc_lo, v24, v12
	v_add_co_ci_u32_e32 v21, vcc_lo, v22, v13, vcc_lo
	flat_load_b64 v[20:21], v[20:21]
	s_waitcnt vmcnt(0) lgkmcnt(0)
	v_mul_f64 v[20:21], v[20:21], s[6:7]
	s_delay_alu instid0(VALU_DEP_1)
	v_cvt_f32_f64_e32 v17, v[20:21]
	v_add_co_u32 v20, vcc_lo, v19, v12
	v_add_co_ci_u32_e32 v21, vcc_lo, v23, v13, vcc_lo
	v_add_co_u32 v24, vcc_lo, v24, v14
	v_add_co_ci_u32_e32 v25, vcc_lo, v22, v15, vcc_lo
	v_min_f32_e32 v16, v17, v16
	s_delay_alu instid0(VALU_DEP_1)
	v_cvt_f64_f32_e32 v[16:17], v16
	global_store_b64 v[20:21], v[16:17], off
	flat_load_b64 v[16:17], v[24:25]
	s_waitcnt vmcnt(0) lgkmcnt(0)
	v_mul_f64 v[16:17], v[16:17], s[6:7]
.LBB125_95:
	s_delay_alu instid0(VALU_DEP_1) | instskip(SKIP_3) | instid1(VALU_DEP_3)
	v_cvt_f32_f64_e32 v16, v[16:17]
	v_dual_max_f32 v17, v255, v255 :: v_dual_add_nc_u32 v22, 64, v18
	v_add_co_u32 v28, vcc_lo, v19, v14
	v_add_co_ci_u32_e32 v29, vcc_lo, v23, v15, vcc_lo
	v_mad_i64_i32 v[20:21], null, v22, s3, 0
	s_delay_alu instid0(VALU_DEP_4) | instskip(NEXT) | instid1(VALU_DEP_1)
	v_min_f32_e32 v16, v16, v17
	v_cvt_f64_f32_e32 v[24:25], v16
	v_mad_i64_i32 v[16:17], null, v22, s8, 0
	s_delay_alu instid0(VALU_DEP_4) | instskip(NEXT) | instid1(VALU_DEP_2)
	v_lshlrev_b64 v[21:22], 3, v[20:21]
	v_lshlrev_b64 v[26:27], 3, v[16:17]
	v_max_f32_e32 v16, v108, v108
	s_delay_alu instid0(VALU_DEP_2) | instskip(NEXT) | instid1(VALU_DEP_3)
	v_add_co_u32 v19, vcc_lo, s9, v26
	v_add_co_ci_u32_e32 v20, vcc_lo, s10, v27, vcc_lo
	v_add_co_u32 v21, vcc_lo, s4, v21
	v_add_co_ci_u32_e32 v22, vcc_lo, s5, v22, vcc_lo
	s_mov_b32 vcc_lo, s2
	global_store_b64 v[28:29], v[24:25], off
	s_cbranch_vccz .LBB125_98
; %bb.96:
	v_min_f32_e32 v17, 0, v16
	v_add_co_u32 v25, vcc_lo, v19, v0
	v_add_co_ci_u32_e32 v26, vcc_lo, v20, v1, vcc_lo
	s_delay_alu instid0(VALU_DEP_3)
	v_cvt_f64_f32_e32 v[23:24], v17
	s_mov_b64 s[0:1], 0
	global_store_b64 v[25:26], v[23:24], off
	s_cbranch_execz .LBB125_99
; %bb.97:
	v_dual_mov_b32 v17, s1 :: v_dual_mov_b32 v16, s0
	s_branch .LBB125_100
.LBB125_98:
                                        ; implicit-def: $sgpr0_sgpr1
.LBB125_99:
	v_add_co_u32 v23, vcc_lo, v21, v0
	v_add_co_ci_u32_e32 v24, vcc_lo, v22, v1, vcc_lo
	flat_load_b64 v[23:24], v[23:24]
	s_waitcnt vmcnt(0) lgkmcnt(0)
	v_mul_f64 v[23:24], v[23:24], s[6:7]
	s_delay_alu instid0(VALU_DEP_1)
	v_cvt_f32_f64_e32 v17, v[23:24]
	v_add_co_u32 v23, vcc_lo, v19, v0
	v_add_co_ci_u32_e32 v24, vcc_lo, v20, v1, vcc_lo
	v_add_co_u32 v25, vcc_lo, v21, v2
	v_add_co_ci_u32_e32 v26, vcc_lo, v22, v3, vcc_lo
	v_min_f32_e32 v16, v17, v16
	s_delay_alu instid0(VALU_DEP_1)
	v_cvt_f64_f32_e32 v[16:17], v16
	global_store_b64 v[23:24], v[16:17], off
	flat_load_b64 v[16:17], v[25:26]
	s_waitcnt vmcnt(0) lgkmcnt(0)
	v_mul_f64 v[16:17], v[16:17], s[6:7]
.LBB125_100:
	s_delay_alu instid0(VALU_DEP_1) | instskip(SKIP_4) | instid1(VALU_DEP_3)
	v_cvt_f32_f64_e32 v16, v[16:17]
	v_max_f32_e32 v17, v105, v105
	v_add_co_u32 v25, vcc_lo, v19, v2
	v_add_co_ci_u32_e32 v26, vcc_lo, v20, v3, vcc_lo
	s_mov_b32 vcc_lo, s2
	v_min_f32_e32 v16, v16, v17
	s_delay_alu instid0(VALU_DEP_1)
	v_cvt_f64_f32_e32 v[23:24], v16
	v_max_f32_e32 v16, v104, v104
	global_store_b64 v[25:26], v[23:24], off
	s_cbranch_vccz .LBB125_103
; %bb.101:
	v_min_f32_e32 v17, 0, v16
	v_add_co_u32 v25, vcc_lo, v19, v4
	v_add_co_ci_u32_e32 v26, vcc_lo, v20, v5, vcc_lo
	s_delay_alu instid0(VALU_DEP_3)
	v_cvt_f64_f32_e32 v[23:24], v17
	s_mov_b64 s[0:1], 0
	global_store_b64 v[25:26], v[23:24], off
	s_cbranch_execz .LBB125_104
; %bb.102:
	v_dual_mov_b32 v17, s1 :: v_dual_mov_b32 v16, s0
	s_branch .LBB125_105
.LBB125_103:
                                        ; implicit-def: $sgpr0_sgpr1
.LBB125_104:
	v_add_co_u32 v23, vcc_lo, v21, v4
	v_add_co_ci_u32_e32 v24, vcc_lo, v22, v5, vcc_lo
	flat_load_b64 v[23:24], v[23:24]
	s_waitcnt vmcnt(0) lgkmcnt(0)
	v_mul_f64 v[23:24], v[23:24], s[6:7]
	s_delay_alu instid0(VALU_DEP_1)
	v_cvt_f32_f64_e32 v17, v[23:24]
	v_add_co_u32 v23, vcc_lo, v19, v4
	v_add_co_ci_u32_e32 v24, vcc_lo, v20, v5, vcc_lo
	v_add_co_u32 v25, vcc_lo, v21, v6
	v_add_co_ci_u32_e32 v26, vcc_lo, v22, v7, vcc_lo
	v_min_f32_e32 v16, v17, v16
	s_delay_alu instid0(VALU_DEP_1)
	v_cvt_f64_f32_e32 v[16:17], v16
	global_store_b64 v[23:24], v[16:17], off
	flat_load_b64 v[16:17], v[25:26]
	s_waitcnt vmcnt(0) lgkmcnt(0)
	v_mul_f64 v[16:17], v[16:17], s[6:7]
.LBB125_105:
	s_delay_alu instid0(VALU_DEP_1) | instskip(SKIP_4) | instid1(VALU_DEP_3)
	v_cvt_f32_f64_e32 v16, v[16:17]
	v_max_f32_e32 v17, v94, v94
	v_add_co_u32 v25, vcc_lo, v19, v6
	v_add_co_ci_u32_e32 v26, vcc_lo, v20, v7, vcc_lo
	s_mov_b32 vcc_lo, s2
	v_min_f32_e32 v16, v16, v17
	s_delay_alu instid0(VALU_DEP_1)
	v_cvt_f64_f32_e32 v[23:24], v16
	v_max_f32_e32 v16, v95, v95
	;; [unrolled: 46-line block ×3, first 2 shown]
	global_store_b64 v[25:26], v[23:24], off
	s_cbranch_vccz .LBB125_113
; %bb.111:
	v_min_f32_e32 v17, 0, v16
	v_add_co_u32 v25, vcc_lo, v19, v12
	v_add_co_ci_u32_e32 v26, vcc_lo, v20, v13, vcc_lo
	s_delay_alu instid0(VALU_DEP_3)
	v_cvt_f64_f32_e32 v[23:24], v17
	s_mov_b64 s[0:1], 0
	global_store_b64 v[25:26], v[23:24], off
	s_cbranch_execz .LBB125_114
; %bb.112:
	v_dual_mov_b32 v17, s1 :: v_dual_mov_b32 v16, s0
	s_branch .LBB125_115
.LBB125_113:
                                        ; implicit-def: $sgpr0_sgpr1
.LBB125_114:
	v_add_co_u32 v23, vcc_lo, v21, v12
	v_add_co_ci_u32_e32 v24, vcc_lo, v22, v13, vcc_lo
	flat_load_b64 v[23:24], v[23:24]
	s_waitcnt vmcnt(0) lgkmcnt(0)
	v_mul_f64 v[23:24], v[23:24], s[6:7]
	s_delay_alu instid0(VALU_DEP_1)
	v_cvt_f32_f64_e32 v17, v[23:24]
	v_add_co_u32 v23, vcc_lo, v19, v12
	v_add_co_ci_u32_e32 v24, vcc_lo, v20, v13, vcc_lo
	v_add_co_u32 v21, vcc_lo, v21, v14
	v_add_co_ci_u32_e32 v22, vcc_lo, v22, v15, vcc_lo
	v_min_f32_e32 v16, v17, v16
	s_delay_alu instid0(VALU_DEP_1)
	v_cvt_f64_f32_e32 v[16:17], v16
	global_store_b64 v[23:24], v[16:17], off
	flat_load_b64 v[16:17], v[21:22]
	s_waitcnt vmcnt(0) lgkmcnt(0)
	v_mul_f64 v[16:17], v[16:17], s[6:7]
.LBB125_115:
	s_delay_alu instid0(VALU_DEP_1) | instskip(SKIP_4) | instid1(VALU_DEP_1)
	v_cvt_f32_f64_e32 v16, v[16:17]
	v_max_f32_e32 v17, v113, v113
	v_add_co_u32 v27, vcc_lo, v19, v14
	v_add_co_ci_u32_e32 v28, vcc_lo, v20, v15, vcc_lo
	v_add_nc_u32_e32 v25, 0x60, v18
	v_mad_i64_i32 v[21:22], null, v25, s3, 0
	s_delay_alu instid0(VALU_DEP_1) | instskip(SKIP_1) | instid1(VALU_DEP_1)
	v_lshlrev_b64 v[21:22], 3, v[21:22]
	v_min_f32_e32 v16, v16, v17
	v_cvt_f64_f32_e32 v[23:24], v16
	v_mad_i64_i32 v[16:17], null, v25, s8, 0
	s_delay_alu instid0(VALU_DEP_1) | instskip(SKIP_1) | instid1(VALU_DEP_2)
	v_lshlrev_b64 v[25:26], 3, v[16:17]
	v_max_f32_e32 v16, v112, v112
	v_add_co_u32 v19, vcc_lo, s9, v25
	s_delay_alu instid0(VALU_DEP_3)
	v_add_co_ci_u32_e32 v20, vcc_lo, s10, v26, vcc_lo
	v_add_co_u32 v21, vcc_lo, s4, v21
	v_add_co_ci_u32_e32 v22, vcc_lo, s5, v22, vcc_lo
	s_mov_b32 vcc_lo, s2
	global_store_b64 v[27:28], v[23:24], off
	s_cbranch_vccz .LBB125_118
; %bb.116:
	v_min_f32_e32 v17, 0, v16
	v_add_co_u32 v25, vcc_lo, v19, v0
	v_add_co_ci_u32_e32 v26, vcc_lo, v20, v1, vcc_lo
	s_delay_alu instid0(VALU_DEP_3)
	v_cvt_f64_f32_e32 v[23:24], v17
	s_mov_b64 s[0:1], 0
	global_store_b64 v[25:26], v[23:24], off
	s_cbranch_execz .LBB125_119
; %bb.117:
	v_dual_mov_b32 v17, s1 :: v_dual_mov_b32 v16, s0
	s_branch .LBB125_120
.LBB125_118:
                                        ; implicit-def: $sgpr0_sgpr1
.LBB125_119:
	v_add_co_u32 v23, vcc_lo, v21, v0
	v_add_co_ci_u32_e32 v24, vcc_lo, v22, v1, vcc_lo
	flat_load_b64 v[23:24], v[23:24]
	s_waitcnt vmcnt(0) lgkmcnt(0)
	v_mul_f64 v[23:24], v[23:24], s[6:7]
	s_delay_alu instid0(VALU_DEP_1)
	v_cvt_f32_f64_e32 v17, v[23:24]
	v_add_co_u32 v23, vcc_lo, v19, v0
	v_add_co_ci_u32_e32 v24, vcc_lo, v20, v1, vcc_lo
	v_add_co_u32 v25, vcc_lo, v21, v2
	v_add_co_ci_u32_e32 v26, vcc_lo, v22, v3, vcc_lo
	v_min_f32_e32 v16, v17, v16
	s_delay_alu instid0(VALU_DEP_1)
	v_cvt_f64_f32_e32 v[16:17], v16
	global_store_b64 v[23:24], v[16:17], off
	flat_load_b64 v[16:17], v[25:26]
	s_waitcnt vmcnt(0) lgkmcnt(0)
	v_mul_f64 v[16:17], v[16:17], s[6:7]
.LBB125_120:
	s_delay_alu instid0(VALU_DEP_1)
	v_cvt_f32_f64_e32 v16, v[16:17]
	scratch_load_b32 v17, off, off offset:8 ; 4-byte Folded Reload
	v_add_co_u32 v25, vcc_lo, v19, v2
	v_add_co_ci_u32_e32 v26, vcc_lo, v20, v3, vcc_lo
	s_mov_b32 vcc_lo, s2
	s_waitcnt vmcnt(0)
	v_max_f32_e32 v17, v17, v17
	s_delay_alu instid0(VALU_DEP_1) | instskip(NEXT) | instid1(VALU_DEP_1)
	v_min_f32_e32 v16, v16, v17
	v_cvt_f64_f32_e32 v[23:24], v16
	v_max_f32_e32 v16, v64, v64
	global_store_b64 v[25:26], v[23:24], off
	s_cbranch_vccz .LBB125_123
; %bb.121:
	v_min_f32_e32 v17, 0, v16
	v_add_co_u32 v25, vcc_lo, v19, v4
	v_add_co_ci_u32_e32 v26, vcc_lo, v20, v5, vcc_lo
	s_delay_alu instid0(VALU_DEP_3)
	v_cvt_f64_f32_e32 v[23:24], v17
	s_mov_b64 s[0:1], 0
	global_store_b64 v[25:26], v[23:24], off
	s_cbranch_execz .LBB125_124
; %bb.122:
	v_dual_mov_b32 v17, s1 :: v_dual_mov_b32 v16, s0
	s_branch .LBB125_125
.LBB125_123:
                                        ; implicit-def: $sgpr0_sgpr1
.LBB125_124:
	v_add_co_u32 v23, vcc_lo, v21, v4
	v_add_co_ci_u32_e32 v24, vcc_lo, v22, v5, vcc_lo
	flat_load_b64 v[23:24], v[23:24]
	s_waitcnt vmcnt(0) lgkmcnt(0)
	v_mul_f64 v[23:24], v[23:24], s[6:7]
	s_delay_alu instid0(VALU_DEP_1)
	v_cvt_f32_f64_e32 v17, v[23:24]
	v_add_co_u32 v23, vcc_lo, v19, v4
	v_add_co_ci_u32_e32 v24, vcc_lo, v20, v5, vcc_lo
	v_add_co_u32 v25, vcc_lo, v21, v6
	v_add_co_ci_u32_e32 v26, vcc_lo, v22, v7, vcc_lo
	v_min_f32_e32 v16, v17, v16
	s_delay_alu instid0(VALU_DEP_1)
	v_cvt_f64_f32_e32 v[16:17], v16
	global_store_b64 v[23:24], v[16:17], off
	flat_load_b64 v[16:17], v[25:26]
	s_waitcnt vmcnt(0) lgkmcnt(0)
	v_mul_f64 v[16:17], v[16:17], s[6:7]
.LBB125_125:
	s_delay_alu instid0(VALU_DEP_1) | instskip(SKIP_4) | instid1(VALU_DEP_3)
	v_cvt_f32_f64_e32 v16, v[16:17]
	v_max_f32_e32 v17, v102, v102
	v_add_co_u32 v25, vcc_lo, v19, v6
	v_add_co_ci_u32_e32 v26, vcc_lo, v20, v7, vcc_lo
	s_mov_b32 vcc_lo, s2
	v_min_f32_e32 v16, v16, v17
	s_delay_alu instid0(VALU_DEP_1)
	v_cvt_f64_f32_e32 v[23:24], v16
	v_max_f32_e32 v16, v200, v200
	global_store_b64 v[25:26], v[23:24], off
	s_cbranch_vccz .LBB125_128
; %bb.126:
	v_min_f32_e32 v17, 0, v16
	v_add_co_u32 v25, vcc_lo, v19, v8
	v_add_co_ci_u32_e32 v26, vcc_lo, v20, v9, vcc_lo
	s_delay_alu instid0(VALU_DEP_3)
	v_cvt_f64_f32_e32 v[23:24], v17
	s_mov_b64 s[0:1], 0
	global_store_b64 v[25:26], v[23:24], off
	s_cbranch_execz .LBB125_129
; %bb.127:
	v_dual_mov_b32 v17, s1 :: v_dual_mov_b32 v16, s0
	s_branch .LBB125_130
.LBB125_128:
                                        ; implicit-def: $sgpr0_sgpr1
.LBB125_129:
	v_add_co_u32 v23, vcc_lo, v21, v8
	v_add_co_ci_u32_e32 v24, vcc_lo, v22, v9, vcc_lo
	flat_load_b64 v[23:24], v[23:24]
	s_waitcnt vmcnt(0) lgkmcnt(0)
	v_mul_f64 v[23:24], v[23:24], s[6:7]
	s_delay_alu instid0(VALU_DEP_1)
	v_cvt_f32_f64_e32 v17, v[23:24]
	v_add_co_u32 v23, vcc_lo, v19, v8
	v_add_co_ci_u32_e32 v24, vcc_lo, v20, v9, vcc_lo
	v_add_co_u32 v25, vcc_lo, v21, v10
	v_add_co_ci_u32_e32 v26, vcc_lo, v22, v11, vcc_lo
	v_min_f32_e32 v16, v17, v16
	s_delay_alu instid0(VALU_DEP_1)
	v_cvt_f64_f32_e32 v[16:17], v16
	global_store_b64 v[23:24], v[16:17], off
	flat_load_b64 v[16:17], v[25:26]
	s_waitcnt vmcnt(0) lgkmcnt(0)
	v_mul_f64 v[16:17], v[16:17], s[6:7]
.LBB125_130:
	s_delay_alu instid0(VALU_DEP_1) | instskip(SKIP_4) | instid1(VALU_DEP_3)
	v_cvt_f32_f64_e32 v16, v[16:17]
	v_max_f32_e32 v17, v111, v111
	v_add_co_u32 v25, vcc_lo, v19, v10
	v_add_co_ci_u32_e32 v26, vcc_lo, v20, v11, vcc_lo
	s_mov_b32 vcc_lo, s2
	v_min_f32_e32 v16, v16, v17
	s_delay_alu instid0(VALU_DEP_1)
	v_cvt_f64_f32_e32 v[23:24], v16
	v_max_f32_e32 v16, v110, v110
	global_store_b64 v[25:26], v[23:24], off
	s_cbranch_vccz .LBB125_133
; %bb.131:
	v_min_f32_e32 v17, 0, v16
	v_add_co_u32 v25, vcc_lo, v19, v12
	v_add_co_ci_u32_e32 v26, vcc_lo, v20, v13, vcc_lo
	s_delay_alu instid0(VALU_DEP_3)
	v_cvt_f64_f32_e32 v[23:24], v17
	s_mov_b64 s[0:1], 0
	global_store_b64 v[25:26], v[23:24], off
	s_cbranch_execz .LBB125_134
; %bb.132:
	v_dual_mov_b32 v17, s1 :: v_dual_mov_b32 v16, s0
	s_branch .LBB125_135
.LBB125_133:
                                        ; implicit-def: $sgpr0_sgpr1
.LBB125_134:
	v_add_co_u32 v23, vcc_lo, v21, v12
	v_add_co_ci_u32_e32 v24, vcc_lo, v22, v13, vcc_lo
	flat_load_b64 v[23:24], v[23:24]
	s_waitcnt vmcnt(0) lgkmcnt(0)
	v_mul_f64 v[23:24], v[23:24], s[6:7]
	s_delay_alu instid0(VALU_DEP_1)
	v_cvt_f32_f64_e32 v17, v[23:24]
	v_add_co_u32 v23, vcc_lo, v19, v12
	v_add_co_ci_u32_e32 v24, vcc_lo, v20, v13, vcc_lo
	v_add_co_u32 v21, vcc_lo, v21, v14
	v_add_co_ci_u32_e32 v22, vcc_lo, v22, v15, vcc_lo
	v_min_f32_e32 v16, v17, v16
	s_delay_alu instid0(VALU_DEP_1)
	v_cvt_f64_f32_e32 v[16:17], v16
	global_store_b64 v[23:24], v[16:17], off
	flat_load_b64 v[16:17], v[21:22]
	s_waitcnt vmcnt(0) lgkmcnt(0)
	v_mul_f64 v[16:17], v[16:17], s[6:7]
.LBB125_135:
	s_delay_alu instid0(VALU_DEP_1) | instskip(SKIP_4) | instid1(VALU_DEP_1)
	v_cvt_f32_f64_e32 v16, v[16:17]
	v_max_f32_e32 v17, v106, v106
	v_add_co_u32 v27, vcc_lo, v19, v14
	v_add_co_ci_u32_e32 v28, vcc_lo, v20, v15, vcc_lo
	v_add_nc_u32_e32 v25, 0x80, v18
	v_mad_i64_i32 v[21:22], null, v25, s3, 0
	s_delay_alu instid0(VALU_DEP_1) | instskip(SKIP_1) | instid1(VALU_DEP_1)
	v_lshlrev_b64 v[21:22], 3, v[21:22]
	v_min_f32_e32 v16, v16, v17
	v_cvt_f64_f32_e32 v[23:24], v16
	v_mad_i64_i32 v[16:17], null, v25, s8, 0
	s_delay_alu instid0(VALU_DEP_1) | instskip(SKIP_1) | instid1(VALU_DEP_2)
	v_lshlrev_b64 v[25:26], 3, v[16:17]
	v_max_f32_e32 v16, v58, v58
	v_add_co_u32 v19, vcc_lo, s9, v25
	s_delay_alu instid0(VALU_DEP_3)
	v_add_co_ci_u32_e32 v20, vcc_lo, s10, v26, vcc_lo
	v_add_co_u32 v21, vcc_lo, s4, v21
	v_add_co_ci_u32_e32 v22, vcc_lo, s5, v22, vcc_lo
	s_mov_b32 vcc_lo, s2
	global_store_b64 v[27:28], v[23:24], off
	s_cbranch_vccz .LBB125_138
; %bb.136:
	v_min_f32_e32 v17, 0, v16
	v_add_co_u32 v25, vcc_lo, v19, v0
	v_add_co_ci_u32_e32 v26, vcc_lo, v20, v1, vcc_lo
	s_delay_alu instid0(VALU_DEP_3)
	v_cvt_f64_f32_e32 v[23:24], v17
	s_mov_b64 s[0:1], 0
	global_store_b64 v[25:26], v[23:24], off
	s_cbranch_execz .LBB125_139
; %bb.137:
	v_dual_mov_b32 v17, s1 :: v_dual_mov_b32 v16, s0
	s_branch .LBB125_140
.LBB125_138:
                                        ; implicit-def: $sgpr0_sgpr1
.LBB125_139:
	v_add_co_u32 v23, vcc_lo, v21, v0
	v_add_co_ci_u32_e32 v24, vcc_lo, v22, v1, vcc_lo
	flat_load_b64 v[23:24], v[23:24]
	s_waitcnt vmcnt(0) lgkmcnt(0)
	v_mul_f64 v[23:24], v[23:24], s[6:7]
	s_delay_alu instid0(VALU_DEP_1)
	v_cvt_f32_f64_e32 v17, v[23:24]
	v_add_co_u32 v23, vcc_lo, v19, v0
	v_add_co_ci_u32_e32 v24, vcc_lo, v20, v1, vcc_lo
	v_add_co_u32 v25, vcc_lo, v21, v2
	v_add_co_ci_u32_e32 v26, vcc_lo, v22, v3, vcc_lo
	v_min_f32_e32 v16, v17, v16
	s_delay_alu instid0(VALU_DEP_1)
	v_cvt_f64_f32_e32 v[16:17], v16
	global_store_b64 v[23:24], v[16:17], off
	flat_load_b64 v[16:17], v[25:26]
	s_waitcnt vmcnt(0) lgkmcnt(0)
	v_mul_f64 v[16:17], v[16:17], s[6:7]
.LBB125_140:
	s_delay_alu instid0(VALU_DEP_1) | instskip(SKIP_4) | instid1(VALU_DEP_3)
	v_cvt_f32_f64_e32 v16, v[16:17]
	v_max_f32_e32 v17, v57, v57
	v_add_co_u32 v25, vcc_lo, v19, v2
	v_add_co_ci_u32_e32 v26, vcc_lo, v20, v3, vcc_lo
	s_mov_b32 vcc_lo, s2
	v_min_f32_e32 v16, v16, v17
	s_delay_alu instid0(VALU_DEP_1)
	v_cvt_f64_f32_e32 v[23:24], v16
	v_max_f32_e32 v16, v56, v56
	global_store_b64 v[25:26], v[23:24], off
	s_cbranch_vccz .LBB125_143
; %bb.141:
	v_min_f32_e32 v17, 0, v16
	v_add_co_u32 v25, vcc_lo, v19, v4
	v_add_co_ci_u32_e32 v26, vcc_lo, v20, v5, vcc_lo
	s_delay_alu instid0(VALU_DEP_3)
	v_cvt_f64_f32_e32 v[23:24], v17
	s_mov_b64 s[0:1], 0
	global_store_b64 v[25:26], v[23:24], off
	s_cbranch_execz .LBB125_144
; %bb.142:
	v_dual_mov_b32 v17, s1 :: v_dual_mov_b32 v16, s0
	s_branch .LBB125_145
.LBB125_143:
                                        ; implicit-def: $sgpr0_sgpr1
.LBB125_144:
	v_add_co_u32 v23, vcc_lo, v21, v4
	v_add_co_ci_u32_e32 v24, vcc_lo, v22, v5, vcc_lo
	flat_load_b64 v[23:24], v[23:24]
	s_waitcnt vmcnt(0) lgkmcnt(0)
	v_mul_f64 v[23:24], v[23:24], s[6:7]
	s_delay_alu instid0(VALU_DEP_1)
	v_cvt_f32_f64_e32 v17, v[23:24]
	v_add_co_u32 v23, vcc_lo, v19, v4
	v_add_co_ci_u32_e32 v24, vcc_lo, v20, v5, vcc_lo
	v_add_co_u32 v25, vcc_lo, v21, v6
	v_add_co_ci_u32_e32 v26, vcc_lo, v22, v7, vcc_lo
	v_min_f32_e32 v16, v17, v16
	s_delay_alu instid0(VALU_DEP_1)
	v_cvt_f64_f32_e32 v[16:17], v16
	global_store_b64 v[23:24], v[16:17], off
	flat_load_b64 v[16:17], v[25:26]
	s_waitcnt vmcnt(0) lgkmcnt(0)
	v_mul_f64 v[16:17], v[16:17], s[6:7]
.LBB125_145:
	s_delay_alu instid0(VALU_DEP_1) | instskip(SKIP_4) | instid1(VALU_DEP_3)
	v_cvt_f32_f64_e32 v16, v[16:17]
	v_max_f32_e32 v17, v40, v40
	v_add_co_u32 v25, vcc_lo, v19, v6
	v_add_co_ci_u32_e32 v26, vcc_lo, v20, v7, vcc_lo
	s_mov_b32 vcc_lo, s2
	v_min_f32_e32 v16, v16, v17
	s_delay_alu instid0(VALU_DEP_1)
	v_cvt_f64_f32_e32 v[23:24], v16
	v_max_f32_e32 v16, v54, v54
	;; [unrolled: 46-line block ×3, first 2 shown]
	global_store_b64 v[25:26], v[23:24], off
	s_cbranch_vccz .LBB125_153
; %bb.151:
	v_min_f32_e32 v17, 0, v16
	v_add_co_u32 v25, vcc_lo, v19, v12
	v_add_co_ci_u32_e32 v26, vcc_lo, v20, v13, vcc_lo
	s_delay_alu instid0(VALU_DEP_3)
	v_cvt_f64_f32_e32 v[23:24], v17
	s_mov_b64 s[0:1], 0
	global_store_b64 v[25:26], v[23:24], off
	s_cbranch_execz .LBB125_154
; %bb.152:
	v_dual_mov_b32 v17, s1 :: v_dual_mov_b32 v16, s0
	s_branch .LBB125_155
.LBB125_153:
                                        ; implicit-def: $sgpr0_sgpr1
.LBB125_154:
	v_add_co_u32 v23, vcc_lo, v21, v12
	v_add_co_ci_u32_e32 v24, vcc_lo, v22, v13, vcc_lo
	flat_load_b64 v[23:24], v[23:24]
	s_waitcnt vmcnt(0) lgkmcnt(0)
	v_mul_f64 v[23:24], v[23:24], s[6:7]
	s_delay_alu instid0(VALU_DEP_1)
	v_cvt_f32_f64_e32 v17, v[23:24]
	v_add_co_u32 v23, vcc_lo, v19, v12
	v_add_co_ci_u32_e32 v24, vcc_lo, v20, v13, vcc_lo
	v_add_co_u32 v21, vcc_lo, v21, v14
	v_add_co_ci_u32_e32 v22, vcc_lo, v22, v15, vcc_lo
	v_min_f32_e32 v16, v17, v16
	s_delay_alu instid0(VALU_DEP_1)
	v_cvt_f64_f32_e32 v[16:17], v16
	global_store_b64 v[23:24], v[16:17], off
	flat_load_b64 v[16:17], v[21:22]
	s_waitcnt vmcnt(0) lgkmcnt(0)
	v_mul_f64 v[16:17], v[16:17], s[6:7]
.LBB125_155:
	s_delay_alu instid0(VALU_DEP_1) | instskip(SKIP_4) | instid1(VALU_DEP_1)
	v_cvt_f32_f64_e32 v16, v[16:17]
	v_max_f32_e32 v17, v50, v50
	v_add_co_u32 v27, vcc_lo, v19, v14
	v_add_co_ci_u32_e32 v28, vcc_lo, v20, v15, vcc_lo
	v_add_nc_u32_e32 v25, 0xa0, v18
	v_mad_i64_i32 v[21:22], null, v25, s3, 0
	s_delay_alu instid0(VALU_DEP_1) | instskip(SKIP_1) | instid1(VALU_DEP_1)
	v_lshlrev_b64 v[21:22], 3, v[21:22]
	v_min_f32_e32 v16, v16, v17
	v_cvt_f64_f32_e32 v[23:24], v16
	v_mad_i64_i32 v[16:17], null, v25, s8, 0
	s_delay_alu instid0(VALU_DEP_1) | instskip(SKIP_1) | instid1(VALU_DEP_2)
	v_lshlrev_b64 v[25:26], 3, v[16:17]
	v_max_f32_e32 v16, v35, v35
	v_add_co_u32 v19, vcc_lo, s9, v25
	s_delay_alu instid0(VALU_DEP_3)
	v_add_co_ci_u32_e32 v20, vcc_lo, s10, v26, vcc_lo
	v_add_co_u32 v21, vcc_lo, s4, v21
	v_add_co_ci_u32_e32 v22, vcc_lo, s5, v22, vcc_lo
	s_mov_b32 vcc_lo, s2
	global_store_b64 v[27:28], v[23:24], off
	s_cbranch_vccz .LBB125_158
; %bb.156:
	v_min_f32_e32 v17, 0, v16
	v_add_co_u32 v25, vcc_lo, v19, v0
	v_add_co_ci_u32_e32 v26, vcc_lo, v20, v1, vcc_lo
	s_delay_alu instid0(VALU_DEP_3)
	v_cvt_f64_f32_e32 v[23:24], v17
	s_mov_b64 s[0:1], 0
	global_store_b64 v[25:26], v[23:24], off
	s_cbranch_execz .LBB125_159
; %bb.157:
	v_dual_mov_b32 v17, s1 :: v_dual_mov_b32 v16, s0
	s_branch .LBB125_160
.LBB125_158:
                                        ; implicit-def: $sgpr0_sgpr1
.LBB125_159:
	v_add_co_u32 v23, vcc_lo, v21, v0
	v_add_co_ci_u32_e32 v24, vcc_lo, v22, v1, vcc_lo
	flat_load_b64 v[23:24], v[23:24]
	s_waitcnt vmcnt(0) lgkmcnt(0)
	v_mul_f64 v[23:24], v[23:24], s[6:7]
	s_delay_alu instid0(VALU_DEP_1)
	v_cvt_f32_f64_e32 v17, v[23:24]
	v_add_co_u32 v23, vcc_lo, v19, v0
	v_add_co_ci_u32_e32 v24, vcc_lo, v20, v1, vcc_lo
	v_add_co_u32 v25, vcc_lo, v21, v2
	v_add_co_ci_u32_e32 v26, vcc_lo, v22, v3, vcc_lo
	v_min_f32_e32 v16, v17, v16
	s_delay_alu instid0(VALU_DEP_1)
	v_cvt_f64_f32_e32 v[16:17], v16
	global_store_b64 v[23:24], v[16:17], off
	flat_load_b64 v[16:17], v[25:26]
	s_waitcnt vmcnt(0) lgkmcnt(0)
	v_mul_f64 v[16:17], v[16:17], s[6:7]
.LBB125_160:
	s_delay_alu instid0(VALU_DEP_1) | instskip(SKIP_4) | instid1(VALU_DEP_3)
	v_cvt_f32_f64_e32 v16, v[16:17]
	v_max_f32_e32 v17, v34, v34
	v_add_co_u32 v25, vcc_lo, v19, v2
	v_add_co_ci_u32_e32 v26, vcc_lo, v20, v3, vcc_lo
	s_mov_b32 vcc_lo, s2
	v_min_f32_e32 v16, v16, v17
	s_delay_alu instid0(VALU_DEP_1)
	v_cvt_f64_f32_e32 v[23:24], v16
	v_max_f32_e32 v16, v52, v52
	global_store_b64 v[25:26], v[23:24], off
	s_cbranch_vccz .LBB125_163
; %bb.161:
	v_min_f32_e32 v17, 0, v16
	v_add_co_u32 v25, vcc_lo, v19, v4
	v_add_co_ci_u32_e32 v26, vcc_lo, v20, v5, vcc_lo
	s_delay_alu instid0(VALU_DEP_3)
	v_cvt_f64_f32_e32 v[23:24], v17
	s_mov_b32 s0, 0
	global_store_b64 v[25:26], v[23:24], off
	s_cbranch_execz .LBB125_164
; %bb.162:
	v_mov_b32_e32 v16, s0
	s_branch .LBB125_165
.LBB125_163:
	s_mov_b32 s0, -1
.LBB125_164:
	v_add_co_u32 v23, vcc_lo, v21, v4
	v_add_co_ci_u32_e32 v24, vcc_lo, v22, v5, vcc_lo
	flat_load_b64 v[23:24], v[23:24]
	s_waitcnt vmcnt(0) lgkmcnt(0)
	v_mul_f64 v[23:24], v[23:24], s[6:7]
	s_delay_alu instid0(VALU_DEP_1)
	v_cvt_f32_f64_e32 v17, v[23:24]
	v_add_co_u32 v23, vcc_lo, v19, v4
	v_add_co_ci_u32_e32 v24, vcc_lo, v20, v5, vcc_lo
	v_add_co_u32 v25, vcc_lo, v21, v6
	v_add_co_ci_u32_e32 v26, vcc_lo, v22, v7, vcc_lo
	v_min_f32_e32 v16, v17, v16
	s_delay_alu instid0(VALU_DEP_1) | instskip(SKIP_4) | instid1(VALU_DEP_1)
	v_cvt_f64_f32_e32 v[16:17], v16
	global_store_b64 v[23:24], v[16:17], off
	flat_load_b64 v[16:17], v[25:26]
	s_waitcnt vmcnt(0) lgkmcnt(0)
	v_mul_f64 v[16:17], v[16:17], s[6:7]
	v_cvt_f32_f64_e32 v16, v[16:17]
.LBB125_165:
	s_delay_alu instid0(VALU_DEP_1) | instskip(SKIP_2) | instid1(VALU_DEP_3)
	v_dual_max_f32 v17, v46, v46 :: v_dual_max_f32 v16, v16, v16
	v_add_co_u32 v25, vcc_lo, v19, v6
	v_add_co_ci_u32_e32 v26, vcc_lo, v20, v7, vcc_lo
	v_min_f32_e32 v16, v16, v17
	s_mov_b32 vcc_lo, s2
	s_delay_alu instid0(VALU_DEP_1)
	v_cvt_f64_f32_e32 v[23:24], v16
	v_max_f32_e32 v16, v133, v133
	global_store_b64 v[25:26], v[23:24], off
	s_cbranch_vccz .LBB125_168
; %bb.166:
	v_min_f32_e32 v17, 0, v16
	v_add_co_u32 v25, vcc_lo, v19, v8
	v_add_co_ci_u32_e32 v26, vcc_lo, v20, v9, vcc_lo
	s_delay_alu instid0(VALU_DEP_3)
	v_cvt_f64_f32_e32 v[23:24], v17
	s_mov_b32 s0, 0
	global_store_b64 v[25:26], v[23:24], off
	s_cbranch_execz .LBB125_169
; %bb.167:
	v_mov_b32_e32 v16, s0
	s_branch .LBB125_170
.LBB125_168:
	s_mov_b32 s0, -1
.LBB125_169:
	v_add_co_u32 v23, vcc_lo, v21, v8
	v_add_co_ci_u32_e32 v24, vcc_lo, v22, v9, vcc_lo
	flat_load_b64 v[23:24], v[23:24]
	s_waitcnt vmcnt(0) lgkmcnt(0)
	v_mul_f64 v[23:24], v[23:24], s[6:7]
	s_delay_alu instid0(VALU_DEP_1)
	v_cvt_f32_f64_e32 v17, v[23:24]
	v_add_co_u32 v23, vcc_lo, v19, v8
	v_add_co_ci_u32_e32 v24, vcc_lo, v20, v9, vcc_lo
	v_add_co_u32 v25, vcc_lo, v21, v10
	v_add_co_ci_u32_e32 v26, vcc_lo, v22, v11, vcc_lo
	v_min_f32_e32 v16, v17, v16
	s_delay_alu instid0(VALU_DEP_1) | instskip(SKIP_4) | instid1(VALU_DEP_1)
	v_cvt_f64_f32_e32 v[16:17], v16
	global_store_b64 v[23:24], v[16:17], off
	flat_load_b64 v[16:17], v[25:26]
	s_waitcnt vmcnt(0) lgkmcnt(0)
	v_mul_f64 v[16:17], v[16:17], s[6:7]
	v_cvt_f32_f64_e32 v16, v[16:17]
.LBB125_170:
	v_max_f32_e32 v17, v132, v132
	s_delay_alu instid0(VALU_DEP_2) | instskip(SKIP_2) | instid1(VALU_DEP_3)
	v_max_f32_e32 v16, v16, v16
	v_add_co_u32 v25, vcc_lo, v19, v10
	v_add_co_ci_u32_e32 v26, vcc_lo, v20, v11, vcc_lo
	v_min_f32_e32 v16, v16, v17
	s_mov_b32 vcc_lo, s2
	s_delay_alu instid0(VALU_DEP_1)
	v_cvt_f64_f32_e32 v[23:24], v16
	v_max_f32_e32 v16, v215, v215
	global_store_b64 v[25:26], v[23:24], off
	s_cbranch_vccz .LBB125_173
; %bb.171:
	v_min_f32_e32 v17, 0, v16
	v_add_co_u32 v25, vcc_lo, v19, v12
	v_add_co_ci_u32_e32 v26, vcc_lo, v20, v13, vcc_lo
	s_delay_alu instid0(VALU_DEP_3)
	v_cvt_f64_f32_e32 v[23:24], v17
	s_mov_b32 s0, 0
	global_store_b64 v[25:26], v[23:24], off
	s_cbranch_execz .LBB125_174
; %bb.172:
	v_mov_b32_e32 v16, s0
	s_branch .LBB125_175
.LBB125_173:
	s_mov_b32 s0, -1
.LBB125_174:
	v_add_co_u32 v23, vcc_lo, v21, v12
	v_add_co_ci_u32_e32 v24, vcc_lo, v22, v13, vcc_lo
	flat_load_b64 v[23:24], v[23:24]
	s_waitcnt vmcnt(0) lgkmcnt(0)
	v_mul_f64 v[23:24], v[23:24], s[6:7]
	s_delay_alu instid0(VALU_DEP_1)
	v_cvt_f32_f64_e32 v17, v[23:24]
	v_add_co_u32 v23, vcc_lo, v19, v12
	v_add_co_ci_u32_e32 v24, vcc_lo, v20, v13, vcc_lo
	v_add_co_u32 v21, vcc_lo, v21, v14
	v_add_co_ci_u32_e32 v22, vcc_lo, v22, v15, vcc_lo
	v_min_f32_e32 v16, v17, v16
	s_delay_alu instid0(VALU_DEP_1) | instskip(SKIP_4) | instid1(VALU_DEP_1)
	v_cvt_f64_f32_e32 v[16:17], v16
	global_store_b64 v[23:24], v[16:17], off
	flat_load_b64 v[16:17], v[21:22]
	s_waitcnt vmcnt(0) lgkmcnt(0)
	v_mul_f64 v[16:17], v[16:17], s[6:7]
	v_cvt_f32_f64_e32 v16, v[16:17]
.LBB125_175:
	s_delay_alu instid0(VALU_DEP_1) | instskip(SKIP_2) | instid1(VALU_DEP_3)
	v_dual_max_f32 v17, v246, v246 :: v_dual_max_f32 v16, v16, v16
	v_add_co_u32 v26, vcc_lo, v19, v14
	v_add_co_ci_u32_e32 v27, vcc_lo, v20, v15, vcc_lo
	v_dual_min_f32 v16, v16, v17 :: v_dual_add_nc_u32 v21, 0xc0, v18
	s_delay_alu instid0(VALU_DEP_1) | instskip(NEXT) | instid1(VALU_DEP_2)
	v_cvt_f64_f32_e32 v[22:23], v16
	v_mad_i64_i32 v[16:17], null, v21, s8, 0
	v_mad_i64_i32 v[24:25], null, v21, s3, 0
	v_max_f32_e32 v21, v201, v201
	s_delay_alu instid0(VALU_DEP_3) | instskip(NEXT) | instid1(VALU_DEP_3)
	v_lshlrev_b64 v[16:17], 3, v[16:17]
	v_lshlrev_b64 v[19:20], 3, v[24:25]
	s_delay_alu instid0(VALU_DEP_2) | instskip(NEXT) | instid1(VALU_DEP_3)
	v_add_co_u32 v16, vcc_lo, s9, v16
	v_add_co_ci_u32_e32 v17, vcc_lo, s10, v17, vcc_lo
	s_delay_alu instid0(VALU_DEP_3) | instskip(NEXT) | instid1(VALU_DEP_4)
	v_add_co_u32 v19, vcc_lo, s4, v19
	v_add_co_ci_u32_e32 v20, vcc_lo, s5, v20, vcc_lo
	s_mov_b32 vcc_lo, s2
	global_store_b64 v[26:27], v[22:23], off
	s_cbranch_vccz .LBB125_178
; %bb.176:
	v_min_f32_e32 v22, 0, v21
	v_add_co_u32 v24, vcc_lo, v16, v0
	v_add_co_ci_u32_e32 v25, vcc_lo, v17, v1, vcc_lo
	s_delay_alu instid0(VALU_DEP_3)
	v_cvt_f64_f32_e32 v[22:23], v22
	s_mov_b32 s0, 0
	global_store_b64 v[24:25], v[22:23], off
	s_cbranch_execz .LBB125_179
; %bb.177:
	v_mov_b32_e32 v21, s0
	s_branch .LBB125_180
.LBB125_178:
	s_mov_b32 s0, -1
.LBB125_179:
	v_add_co_u32 v22, vcc_lo, v19, v0
	v_add_co_ci_u32_e32 v23, vcc_lo, v20, v1, vcc_lo
	flat_load_b64 v[22:23], v[22:23]
	s_waitcnt vmcnt(0) lgkmcnt(0)
	v_mul_f64 v[22:23], v[22:23], s[6:7]
	s_delay_alu instid0(VALU_DEP_1)
	v_cvt_f32_f64_e32 v22, v[22:23]
	v_add_co_u32 v23, vcc_lo, v16, v0
	v_add_co_ci_u32_e32 v24, vcc_lo, v17, v1, vcc_lo
	v_add_co_u32 v25, vcc_lo, v19, v2
	v_add_co_ci_u32_e32 v26, vcc_lo, v20, v3, vcc_lo
	v_min_f32_e32 v21, v22, v21
	s_delay_alu instid0(VALU_DEP_1) | instskip(SKIP_4) | instid1(VALU_DEP_1)
	v_cvt_f64_f32_e32 v[21:22], v21
	global_store_b64 v[23:24], v[21:22], off
	flat_load_b64 v[21:22], v[25:26]
	s_waitcnt vmcnt(0) lgkmcnt(0)
	v_mul_f64 v[21:22], v[21:22], s[6:7]
	v_cvt_f32_f64_e32 v21, v[21:22]
.LBB125_180:
	s_delay_alu instid0(VALU_DEP_1) | instskip(SKIP_2) | instid1(VALU_DEP_3)
	v_dual_max_f32 v22, v202, v202 :: v_dual_max_f32 v21, v21, v21
	v_add_co_u32 v24, vcc_lo, v16, v2
	v_add_co_ci_u32_e32 v25, vcc_lo, v17, v3, vcc_lo
	v_min_f32_e32 v21, v21, v22
	s_mov_b32 vcc_lo, s2
	s_delay_alu instid0(VALU_DEP_1)
	v_cvt_f64_f32_e32 v[22:23], v21
	v_max_f32_e32 v21, v134, v134
	global_store_b64 v[24:25], v[22:23], off
	s_cbranch_vccz .LBB125_183
; %bb.181:
	v_min_f32_e32 v22, 0, v21
	v_add_co_u32 v24, vcc_lo, v16, v4
	v_add_co_ci_u32_e32 v25, vcc_lo, v17, v5, vcc_lo
	s_delay_alu instid0(VALU_DEP_3)
	v_cvt_f64_f32_e32 v[22:23], v22
	s_mov_b32 s0, 0
	global_store_b64 v[24:25], v[22:23], off
	s_cbranch_execz .LBB125_184
; %bb.182:
	v_mov_b32_e32 v21, s0
	s_branch .LBB125_185
.LBB125_183:
	s_mov_b32 s0, -1
.LBB125_184:
	v_add_co_u32 v22, vcc_lo, v19, v4
	v_add_co_ci_u32_e32 v23, vcc_lo, v20, v5, vcc_lo
	flat_load_b64 v[22:23], v[22:23]
	s_waitcnt vmcnt(0) lgkmcnt(0)
	v_mul_f64 v[22:23], v[22:23], s[6:7]
	s_delay_alu instid0(VALU_DEP_1)
	v_cvt_f32_f64_e32 v22, v[22:23]
	v_add_co_u32 v23, vcc_lo, v16, v4
	v_add_co_ci_u32_e32 v24, vcc_lo, v17, v5, vcc_lo
	v_add_co_u32 v25, vcc_lo, v19, v6
	v_add_co_ci_u32_e32 v26, vcc_lo, v20, v7, vcc_lo
	v_min_f32_e32 v21, v22, v21
	s_delay_alu instid0(VALU_DEP_1) | instskip(SKIP_4) | instid1(VALU_DEP_1)
	v_cvt_f64_f32_e32 v[21:22], v21
	global_store_b64 v[23:24], v[21:22], off
	flat_load_b64 v[21:22], v[25:26]
	s_waitcnt vmcnt(0) lgkmcnt(0)
	v_mul_f64 v[21:22], v[21:22], s[6:7]
	v_cvt_f32_f64_e32 v21, v[21:22]
.LBB125_185:
	s_delay_alu instid0(VALU_DEP_1) | instskip(SKIP_2) | instid1(VALU_DEP_3)
	v_dual_max_f32 v22, v135, v135 :: v_dual_max_f32 v21, v21, v21
	v_add_co_u32 v24, vcc_lo, v16, v6
	v_add_co_ci_u32_e32 v25, vcc_lo, v17, v7, vcc_lo
	v_min_f32_e32 v21, v21, v22
	s_mov_b32 vcc_lo, s2
	s_delay_alu instid0(VALU_DEP_1)
	v_cvt_f64_f32_e32 v[22:23], v21
	v_max_f32_e32 v21, v197, v197
	;; [unrolled: 46-line block ×3, first 2 shown]
	global_store_b64 v[24:25], v[22:23], off
	s_cbranch_vccz .LBB125_193
; %bb.191:
	v_min_f32_e32 v22, 0, v21
	v_add_co_u32 v24, vcc_lo, v16, v12
	v_add_co_ci_u32_e32 v25, vcc_lo, v17, v13, vcc_lo
	s_delay_alu instid0(VALU_DEP_3)
	v_cvt_f64_f32_e32 v[22:23], v22
	s_mov_b32 s0, 0
	global_store_b64 v[24:25], v[22:23], off
	s_cbranch_execz .LBB125_194
; %bb.192:
	v_mov_b32_e32 v19, s0
	s_branch .LBB125_195
.LBB125_193:
	s_mov_b32 s0, -1
.LBB125_194:
	v_add_co_u32 v22, vcc_lo, v19, v12
	v_add_co_ci_u32_e32 v23, vcc_lo, v20, v13, vcc_lo
	flat_load_b64 v[22:23], v[22:23]
	s_waitcnt vmcnt(0) lgkmcnt(0)
	v_mul_f64 v[22:23], v[22:23], s[6:7]
	s_delay_alu instid0(VALU_DEP_1)
	v_cvt_f32_f64_e32 v22, v[22:23]
	v_add_co_u32 v23, vcc_lo, v16, v12
	v_add_co_ci_u32_e32 v24, vcc_lo, v17, v13, vcc_lo
	v_add_co_u32 v19, vcc_lo, v19, v14
	v_add_co_ci_u32_e32 v20, vcc_lo, v20, v15, vcc_lo
	v_min_f32_e32 v21, v22, v21
	s_delay_alu instid0(VALU_DEP_1) | instskip(SKIP_4) | instid1(VALU_DEP_1)
	v_cvt_f64_f32_e32 v[21:22], v21
	global_store_b64 v[23:24], v[21:22], off
	flat_load_b64 v[19:20], v[19:20]
	s_waitcnt vmcnt(0) lgkmcnt(0)
	v_mul_f64 v[19:20], v[19:20], s[6:7]
	v_cvt_f32_f64_e32 v19, v[19:20]
.LBB125_195:
	v_max_f32_e32 v20, v123, v123
	s_delay_alu instid0(VALU_DEP_2) | instskip(SKIP_2) | instid1(VALU_DEP_3)
	v_max_f32_e32 v19, v19, v19
	v_add_co_u32 v25, vcc_lo, v16, v14
	v_add_co_ci_u32_e32 v26, vcc_lo, v17, v15, vcc_lo
	v_dual_min_f32 v19, v19, v20 :: v_dual_add_nc_u32 v20, 0xe0, v18
	s_delay_alu instid0(VALU_DEP_1) | instskip(NEXT) | instid1(VALU_DEP_2)
	v_cvt_f64_f32_e32 v[21:22], v19
	v_mad_i64_i32 v[18:19], null, v20, s8, 0
	v_mad_i64_i32 v[23:24], null, v20, s3, 0
	v_max_f32_e32 v20, v125, v125
	s_delay_alu instid0(VALU_DEP_3) | instskip(NEXT) | instid1(VALU_DEP_3)
	v_lshlrev_b64 v[18:19], 3, v[18:19]
	v_lshlrev_b64 v[23:24], 3, v[23:24]
	s_delay_alu instid0(VALU_DEP_2) | instskip(NEXT) | instid1(VALU_DEP_3)
	v_add_co_u32 v16, vcc_lo, s9, v18
	v_add_co_ci_u32_e32 v17, vcc_lo, s10, v19, vcc_lo
	s_delay_alu instid0(VALU_DEP_3) | instskip(NEXT) | instid1(VALU_DEP_4)
	v_add_co_u32 v18, vcc_lo, s4, v23
	v_add_co_ci_u32_e32 v19, vcc_lo, s5, v24, vcc_lo
	s_mov_b32 vcc_lo, s2
	global_store_b64 v[25:26], v[21:22], off
	s_cbranch_vccz .LBB125_198
; %bb.196:
	v_min_f32_e32 v21, 0, v20
	v_add_co_u32 v23, vcc_lo, v16, v0
	v_add_co_ci_u32_e32 v24, vcc_lo, v17, v1, vcc_lo
	s_delay_alu instid0(VALU_DEP_3)
	v_cvt_f64_f32_e32 v[21:22], v21
	s_mov_b32 s0, 0
	global_store_b64 v[23:24], v[21:22], off
	s_cbranch_execz .LBB125_199
; %bb.197:
	v_mov_b32_e32 v0, s0
	s_branch .LBB125_200
.LBB125_198:
	s_mov_b32 s0, -1
.LBB125_199:
	v_add_co_u32 v21, vcc_lo, v18, v0
	v_add_co_ci_u32_e32 v22, vcc_lo, v19, v1, vcc_lo
	v_add_co_u32 v0, vcc_lo, v16, v0
	v_add_co_ci_u32_e32 v1, vcc_lo, v17, v1, vcc_lo
	flat_load_b64 v[21:22], v[21:22]
	s_waitcnt vmcnt(0) lgkmcnt(0)
	v_mul_f64 v[21:22], v[21:22], s[6:7]
	s_delay_alu instid0(VALU_DEP_1) | instskip(SKIP_2) | instid1(VALU_DEP_3)
	v_cvt_f32_f64_e32 v21, v[21:22]
	v_add_co_u32 v22, vcc_lo, v18, v2
	v_add_co_ci_u32_e32 v23, vcc_lo, v19, v3, vcc_lo
	v_min_f32_e32 v20, v21, v20
	s_delay_alu instid0(VALU_DEP_1) | instskip(SKIP_4) | instid1(VALU_DEP_1)
	v_cvt_f64_f32_e32 v[20:21], v20
	global_store_b64 v[0:1], v[20:21], off
	flat_load_b64 v[0:1], v[22:23]
	s_waitcnt vmcnt(0) lgkmcnt(0)
	v_mul_f64 v[0:1], v[0:1], s[6:7]
	v_cvt_f32_f64_e32 v0, v[0:1]
.LBB125_200:
	v_max_f32_e32 v1, v124, v124
	s_delay_alu instid0(VALU_DEP_2) | instskip(NEXT) | instid1(VALU_DEP_1)
	v_max_f32_e32 v0, v0, v0
	v_min_f32_e32 v0, v0, v1
	v_add_co_u32 v1, vcc_lo, v16, v2
	v_add_co_ci_u32_e32 v2, vcc_lo, v17, v3, vcc_lo
	s_delay_alu instid0(VALU_DEP_3)
	v_cvt_f64_f32_e32 v[20:21], v0
	scratch_load_b32 v0, off, off offset:4  ; 4-byte Folded Reload
	s_mov_b32 vcc_lo, s2
	global_store_b64 v[1:2], v[20:21], off
	s_waitcnt vmcnt(0)
	v_max_f32_e32 v0, v0, v0
	s_cbranch_vccz .LBB125_203
; %bb.201:
	s_delay_alu instid0(VALU_DEP_1) | instskip(SKIP_2) | instid1(VALU_DEP_3)
	v_min_f32_e32 v1, 0, v0
	v_add_co_u32 v20, vcc_lo, v16, v4
	v_add_co_ci_u32_e32 v21, vcc_lo, v17, v5, vcc_lo
	v_cvt_f64_f32_e32 v[1:2], v1
	s_mov_b32 s0, 0
	global_store_b64 v[20:21], v[1:2], off
	s_cbranch_execz .LBB125_204
; %bb.202:
	v_mov_b32_e32 v0, s0
	s_branch .LBB125_205
.LBB125_203:
	s_mov_b32 s0, -1
.LBB125_204:
	v_add_co_u32 v1, vcc_lo, v18, v4
	v_add_co_ci_u32_e32 v2, vcc_lo, v19, v5, vcc_lo
	flat_load_b64 v[1:2], v[1:2]
	s_waitcnt vmcnt(0) lgkmcnt(0)
	v_mul_f64 v[1:2], v[1:2], s[6:7]
	s_delay_alu instid0(VALU_DEP_1)
	v_cvt_f32_f64_e32 v1, v[1:2]
	v_add_co_u32 v2, vcc_lo, v16, v4
	v_add_co_ci_u32_e32 v3, vcc_lo, v17, v5, vcc_lo
	v_add_co_u32 v4, vcc_lo, v18, v6
	v_add_co_ci_u32_e32 v5, vcc_lo, v19, v7, vcc_lo
	v_min_f32_e32 v0, v1, v0
	s_delay_alu instid0(VALU_DEP_1) | instskip(SKIP_4) | instid1(VALU_DEP_1)
	v_cvt_f64_f32_e32 v[0:1], v0
	global_store_b64 v[2:3], v[0:1], off
	flat_load_b64 v[0:1], v[4:5]
	s_waitcnt vmcnt(0) lgkmcnt(0)
	v_mul_f64 v[0:1], v[0:1], s[6:7]
	v_cvt_f32_f64_e32 v0, v[0:1]
.LBB125_205:
	s_delay_alu instid0(VALU_DEP_1) | instskip(SKIP_2) | instid1(VALU_DEP_3)
	v_dual_max_f32 v1, v122, v122 :: v_dual_max_f32 v0, v0, v0
	v_add_co_u32 v3, vcc_lo, v16, v6
	v_add_co_ci_u32_e32 v4, vcc_lo, v17, v7, vcc_lo
	v_min_f32_e32 v0, v0, v1
	s_mov_b32 vcc_lo, s2
	s_delay_alu instid0(VALU_DEP_1)
	v_cvt_f64_f32_e32 v[1:2], v0
	v_max_f32_e32 v0, v243, v243
	global_store_b64 v[3:4], v[1:2], off
	s_cbranch_vccz .LBB125_208
; %bb.206:
	v_min_f32_e32 v1, 0, v0
	v_add_co_u32 v3, vcc_lo, v16, v8
	v_add_co_ci_u32_e32 v4, vcc_lo, v17, v9, vcc_lo
	s_delay_alu instid0(VALU_DEP_3)
	v_cvt_f64_f32_e32 v[1:2], v1
	s_mov_b32 s0, 0
	global_store_b64 v[3:4], v[1:2], off
	s_cbranch_execz .LBB125_209
; %bb.207:
	v_mov_b32_e32 v0, s0
	s_branch .LBB125_210
.LBB125_208:
	s_mov_b32 s0, -1
.LBB125_209:
	v_add_co_u32 v1, vcc_lo, v18, v8
	v_add_co_ci_u32_e32 v2, vcc_lo, v19, v9, vcc_lo
	flat_load_b64 v[1:2], v[1:2]
	s_waitcnt vmcnt(0) lgkmcnt(0)
	v_mul_f64 v[1:2], v[1:2], s[6:7]
	s_delay_alu instid0(VALU_DEP_1)
	v_cvt_f32_f64_e32 v1, v[1:2]
	v_add_co_u32 v2, vcc_lo, v16, v8
	v_add_co_ci_u32_e32 v3, vcc_lo, v17, v9, vcc_lo
	v_add_co_u32 v4, vcc_lo, v18, v10
	v_add_co_ci_u32_e32 v5, vcc_lo, v19, v11, vcc_lo
	v_min_f32_e32 v0, v1, v0
	s_delay_alu instid0(VALU_DEP_1) | instskip(SKIP_4) | instid1(VALU_DEP_1)
	v_cvt_f64_f32_e32 v[0:1], v0
	global_store_b64 v[2:3], v[0:1], off
	flat_load_b64 v[0:1], v[4:5]
	s_waitcnt vmcnt(0) lgkmcnt(0)
	v_mul_f64 v[0:1], v[0:1], s[6:7]
	v_cvt_f32_f64_e32 v0, v[0:1]
.LBB125_210:
	v_max_f32_e32 v1, v120, v120
	s_delay_alu instid0(VALU_DEP_2) | instskip(SKIP_2) | instid1(VALU_DEP_3)
	v_max_f32_e32 v0, v0, v0
	v_add_co_u32 v3, vcc_lo, v16, v10
	v_add_co_ci_u32_e32 v4, vcc_lo, v17, v11, vcc_lo
	v_min_f32_e32 v0, v0, v1
	s_mov_b32 vcc_lo, s2
	s_delay_alu instid0(VALU_DEP_1)
	v_cvt_f64_f32_e32 v[1:2], v0
	scratch_load_b32 v0, off, off           ; 4-byte Folded Reload
	global_store_b64 v[3:4], v[1:2], off
	s_waitcnt vmcnt(0)
	v_max_f32_e32 v0, v0, v0
	s_cbranch_vccz .LBB125_213
; %bb.211:
	s_delay_alu instid0(VALU_DEP_1) | instskip(SKIP_2) | instid1(VALU_DEP_3)
	v_min_f32_e32 v1, 0, v0
	v_add_co_u32 v3, vcc_lo, v16, v12
	v_add_co_ci_u32_e32 v4, vcc_lo, v17, v13, vcc_lo
	v_cvt_f64_f32_e32 v[1:2], v1
	s_mov_b32 s0, 0
	global_store_b64 v[3:4], v[1:2], off
	s_cbranch_execz .LBB125_214
; %bb.212:
	v_mov_b32_e32 v0, s0
	s_branch .LBB125_215
.LBB125_213:
	s_mov_b32 s0, -1
.LBB125_214:
	v_add_co_u32 v1, vcc_lo, v18, v12
	v_add_co_ci_u32_e32 v2, vcc_lo, v19, v13, vcc_lo
	flat_load_b64 v[1:2], v[1:2]
	s_waitcnt vmcnt(0) lgkmcnt(0)
	v_mul_f64 v[1:2], v[1:2], s[6:7]
	s_delay_alu instid0(VALU_DEP_1)
	v_cvt_f32_f64_e32 v1, v[1:2]
	v_add_co_u32 v2, vcc_lo, v16, v12
	v_add_co_ci_u32_e32 v3, vcc_lo, v17, v13, vcc_lo
	v_add_co_u32 v4, vcc_lo, v18, v14
	v_add_co_ci_u32_e32 v5, vcc_lo, v19, v15, vcc_lo
	v_min_f32_e32 v0, v1, v0
	s_delay_alu instid0(VALU_DEP_1) | instskip(SKIP_4) | instid1(VALU_DEP_1)
	v_cvt_f64_f32_e32 v[0:1], v0
	global_store_b64 v[2:3], v[0:1], off
	flat_load_b64 v[0:1], v[4:5]
	s_waitcnt vmcnt(0) lgkmcnt(0)
	v_mul_f64 v[0:1], v[0:1], s[6:7]
	v_cvt_f32_f64_e32 v0, v[0:1]
.LBB125_215:
	s_delay_alu instid0(VALU_DEP_1) | instskip(SKIP_2) | instid1(VALU_DEP_3)
	v_dual_max_f32 v1, v118, v118 :: v_dual_max_f32 v0, v0, v0
	v_add_co_u32 v2, vcc_lo, v16, v14
	v_add_co_ci_u32_e32 v3, vcc_lo, v17, v15, vcc_lo
	v_min_f32_e32 v0, v0, v1
	s_delay_alu instid0(VALU_DEP_1)
	v_cvt_f64_f32_e32 v[0:1], v0
	global_store_b64 v[2:3], v[0:1], off
	s_endpgm
	.section	.rodata,"a",@progbits
	.p2align	6, 0x0
	.amdhsa_kernel _ZN12_GLOBAL__N_120geam_min_plus_kernelId15HIP_vector_typeIdLj2EEdLi8ELi32ELi64ELi256ELi4ELi4ELi64ELi64ELi4ELc84ELc84ELb0ELb0ELb1EdKPKdKPdEEviiiT16_PT17_ilSA_ilS8_SA_ilPT18_ili26rocblas_geam_ex_operation_
		.amdhsa_group_segment_fixed_size 20480
		.amdhsa_private_segment_fixed_size 404
		.amdhsa_kernarg_size 136
		.amdhsa_user_sgpr_count 14
		.amdhsa_user_sgpr_dispatch_ptr 0
		.amdhsa_user_sgpr_queue_ptr 0
		.amdhsa_user_sgpr_kernarg_segment_ptr 1
		.amdhsa_user_sgpr_dispatch_id 0
		.amdhsa_user_sgpr_private_segment_size 0
		.amdhsa_wavefront_size32 1
		.amdhsa_uses_dynamic_stack 0
		.amdhsa_enable_private_segment 1
		.amdhsa_system_sgpr_workgroup_id_x 1
		.amdhsa_system_sgpr_workgroup_id_y 0
		.amdhsa_system_sgpr_workgroup_id_z 1
		.amdhsa_system_sgpr_workgroup_info 0
		.amdhsa_system_vgpr_workitem_id 1
		.amdhsa_next_free_vgpr 256
		.amdhsa_next_free_sgpr 24
		.amdhsa_reserve_vcc 1
		.amdhsa_float_round_mode_32 0
		.amdhsa_float_round_mode_16_64 0
		.amdhsa_float_denorm_mode_32 3
		.amdhsa_float_denorm_mode_16_64 3
		.amdhsa_dx10_clamp 1
		.amdhsa_ieee_mode 1
		.amdhsa_fp16_overflow 0
		.amdhsa_workgroup_processor_mode 1
		.amdhsa_memory_ordered 1
		.amdhsa_forward_progress 0
		.amdhsa_shared_vgpr_count 0
		.amdhsa_exception_fp_ieee_invalid_op 0
		.amdhsa_exception_fp_denorm_src 0
		.amdhsa_exception_fp_ieee_div_zero 0
		.amdhsa_exception_fp_ieee_overflow 0
		.amdhsa_exception_fp_ieee_underflow 0
		.amdhsa_exception_fp_ieee_inexact 0
		.amdhsa_exception_int_div_zero 0
	.end_amdhsa_kernel
	.section	.text._ZN12_GLOBAL__N_120geam_min_plus_kernelId15HIP_vector_typeIdLj2EEdLi8ELi32ELi64ELi256ELi4ELi4ELi64ELi64ELi4ELc84ELc84ELb0ELb0ELb1EdKPKdKPdEEviiiT16_PT17_ilSA_ilS8_SA_ilPT18_ili26rocblas_geam_ex_operation_,"axG",@progbits,_ZN12_GLOBAL__N_120geam_min_plus_kernelId15HIP_vector_typeIdLj2EEdLi8ELi32ELi64ELi256ELi4ELi4ELi64ELi64ELi4ELc84ELc84ELb0ELb0ELb1EdKPKdKPdEEviiiT16_PT17_ilSA_ilS8_SA_ilPT18_ili26rocblas_geam_ex_operation_,comdat
.Lfunc_end125:
	.size	_ZN12_GLOBAL__N_120geam_min_plus_kernelId15HIP_vector_typeIdLj2EEdLi8ELi32ELi64ELi256ELi4ELi4ELi64ELi64ELi4ELc84ELc84ELb0ELb0ELb1EdKPKdKPdEEviiiT16_PT17_ilSA_ilS8_SA_ilPT18_ili26rocblas_geam_ex_operation_, .Lfunc_end125-_ZN12_GLOBAL__N_120geam_min_plus_kernelId15HIP_vector_typeIdLj2EEdLi8ELi32ELi64ELi256ELi4ELi4ELi64ELi64ELi4ELc84ELc84ELb0ELb0ELb1EdKPKdKPdEEviiiT16_PT17_ilSA_ilS8_SA_ilPT18_ili26rocblas_geam_ex_operation_
                                        ; -- End function
	.section	.AMDGPU.csdata,"",@progbits
; Kernel info:
; codeLenInByte = 24148
; NumSgprs: 26
; NumVgprs: 256
; ScratchSize: 404
; MemoryBound: 1
; FloatMode: 240
; IeeeMode: 1
; LDSByteSize: 20480 bytes/workgroup (compile time only)
; SGPRBlocks: 3
; VGPRBlocks: 31
; NumSGPRsForWavesPerEU: 26
; NumVGPRsForWavesPerEU: 256
; Occupancy: 5
; WaveLimiterHint : 1
; COMPUTE_PGM_RSRC2:SCRATCH_EN: 1
; COMPUTE_PGM_RSRC2:USER_SGPR: 14
; COMPUTE_PGM_RSRC2:TRAP_HANDLER: 0
; COMPUTE_PGM_RSRC2:TGID_X_EN: 1
; COMPUTE_PGM_RSRC2:TGID_Y_EN: 0
; COMPUTE_PGM_RSRC2:TGID_Z_EN: 1
; COMPUTE_PGM_RSRC2:TIDIG_COMP_CNT: 1
	.section	.text._ZN12_GLOBAL__N_120geam_min_plus_kernelId15HIP_vector_typeIdLj2EEdLi8ELi32ELi64ELi256ELi4ELi4ELi64ELi64ELi4ELc84ELc84ELb0ELb1ELb1EPKdKS4_KPdEEviiiT16_PT17_ilSA_ilS8_SA_ilPT18_ili26rocblas_geam_ex_operation_,"axG",@progbits,_ZN12_GLOBAL__N_120geam_min_plus_kernelId15HIP_vector_typeIdLj2EEdLi8ELi32ELi64ELi256ELi4ELi4ELi64ELi64ELi4ELc84ELc84ELb0ELb1ELb1EPKdKS4_KPdEEviiiT16_PT17_ilSA_ilS8_SA_ilPT18_ili26rocblas_geam_ex_operation_,comdat
	.globl	_ZN12_GLOBAL__N_120geam_min_plus_kernelId15HIP_vector_typeIdLj2EEdLi8ELi32ELi64ELi256ELi4ELi4ELi64ELi64ELi4ELc84ELc84ELb0ELb1ELb1EPKdKS4_KPdEEviiiT16_PT17_ilSA_ilS8_SA_ilPT18_ili26rocblas_geam_ex_operation_ ; -- Begin function _ZN12_GLOBAL__N_120geam_min_plus_kernelId15HIP_vector_typeIdLj2EEdLi8ELi32ELi64ELi256ELi4ELi4ELi64ELi64ELi4ELc84ELc84ELb0ELb1ELb1EPKdKS4_KPdEEviiiT16_PT17_ilSA_ilS8_SA_ilPT18_ili26rocblas_geam_ex_operation_
	.p2align	8
	.type	_ZN12_GLOBAL__N_120geam_min_plus_kernelId15HIP_vector_typeIdLj2EEdLi8ELi32ELi64ELi256ELi4ELi4ELi64ELi64ELi4ELc84ELc84ELb0ELb1ELb1EPKdKS4_KPdEEviiiT16_PT17_ilSA_ilS8_SA_ilPT18_ili26rocblas_geam_ex_operation_,@function
_ZN12_GLOBAL__N_120geam_min_plus_kernelId15HIP_vector_typeIdLj2EEdLi8ELi32ELi64ELi256ELi4ELi4ELi64ELi64ELi4ELc84ELc84ELb0ELb1ELb1EPKdKS4_KPdEEviiiT16_PT17_ilSA_ilS8_SA_ilPT18_ili26rocblas_geam_ex_operation_: ; @_ZN12_GLOBAL__N_120geam_min_plus_kernelId15HIP_vector_typeIdLj2EEdLi8ELi32ELi64ELi256ELi4ELi4ELi64ELi64ELi4ELc84ELc84ELb0ELb1ELb1EPKdKS4_KPdEEviiiT16_PT17_ilSA_ilS8_SA_ilPT18_ili26rocblas_geam_ex_operation_
; %bb.0:
	s_clause 0x1
	s_load_b128 s[16:19], s[0:1], 0x10
	s_load_b128 s[4:7], s[0:1], 0x28
	s_mov_b32 s2, s15
	s_mov_b32 s3, 0
	s_mov_b64 s[22:23], 0
	s_lshl_b64 s[2:3], s[2:3], 3
	s_mov_b64 s[24:25], 0
	s_waitcnt lgkmcnt(0)
	s_add_u32 s8, s16, s2
	s_addc_u32 s9, s17, s3
	s_load_b64 s[20:21], s[8:9], 0x0
	s_clause 0x1
	s_load_b128 s[8:11], s[0:1], 0x40
	s_load_b64 s[16:17], s[0:1], 0x50
	s_waitcnt lgkmcnt(0)
	s_add_u32 s10, s10, s2
	v_cmp_eq_f64_e64 s26, s[20:21], 0
	v_cmp_neq_f64_e64 s12, s[20:21], 0
	s_addc_u32 s11, s11, s3
	s_delay_alu instid0(VALU_DEP_2)
	s_and_b32 vcc_lo, exec_lo, s26
	s_cbranch_vccnz .LBB126_2
; %bb.1:
	s_add_u32 s18, s18, s2
	s_addc_u32 s19, s19, s3
	s_lshl_b64 s[4:5], s[4:5], 3
	s_load_b64 s[18:19], s[18:19], 0x0
	s_waitcnt lgkmcnt(0)
	s_add_u32 s24, s18, s4
	s_addc_u32 s25, s19, s5
.LBB126_2:
	s_load_b64 s[10:11], s[10:11], 0x0
	s_delay_alu instid0(VALU_DEP_1)
	s_and_not1_b32 vcc_lo, exec_lo, s12
	s_cbranch_vccnz .LBB126_4
; %bb.3:
	s_add_u32 s4, s6, s2
	s_addc_u32 s5, s7, s3
	s_lshl_b64 s[6:7], s[8:9], 3
	s_load_b64 s[4:5], s[4:5], 0x0
	s_waitcnt lgkmcnt(0)
	s_add_u32 s22, s4, s6
	s_addc_u32 s23, s5, s7
.LBB126_4:
	s_waitcnt lgkmcnt(0)
	v_cmp_eq_f64_e64 s8, s[10:11], 0
	v_cmp_neq_f64_e64 s9, s[10:11], 0
	s_load_b128 s[4:7], s[0:1], 0x60
	s_mov_b64 s[12:13], 0
	s_delay_alu instid0(VALU_DEP_2)
	s_and_b32 vcc_lo, exec_lo, s8
	s_cbranch_vccnz .LBB126_6
; %bb.5:
	s_add_u32 s12, s16, s2
	s_addc_u32 s13, s17, s3
	s_waitcnt lgkmcnt(0)
	s_lshl_b64 s[4:5], s[4:5], 3
	s_load_b64 s[12:13], s[12:13], 0x0
	s_waitcnt lgkmcnt(0)
	s_add_u32 s12, s12, s4
	s_addc_u32 s13, s13, s5
.LBB126_6:
	s_clause 0x1
	s_load_b128 s[16:19], s[0:1], 0x0
	s_load_b32 s30, s[0:1], 0x20
	s_waitcnt lgkmcnt(0)
	s_add_u32 s4, s6, s2
	s_addc_u32 s5, s7, s3
	v_and_b32_e32 v221, 0x3ff, v0
	v_bfe_u32 v22, v0, 10, 10
	s_delay_alu instid0(VALU_DEP_2) | instskip(NEXT) | instid1(VALU_DEP_2)
	v_and_b32_e32 v3, 3, v221
	v_lshl_add_u32 v2, v22, 3, v221
	s_delay_alu instid0(VALU_DEP_2) | instskip(NEXT) | instid1(VALU_DEP_2)
	v_lshlrev_b32_e32 v25, 3, v3
	v_lshrrev_b32_e32 v24, 2, v2
	scratch_store_b32 off, v3, off offset:360 ; 4-byte Folded Spill
	s_add_i32 s6, s16, -1
	v_cmp_le_i32_e32 vcc_lo, s18, v3
	s_ashr_i32 s2, s6, 31
	s_delay_alu instid0(SALU_CYCLE_1) | instskip(NEXT) | instid1(SALU_CYCLE_1)
	s_lshr_b32 s2, s2, 26
	s_add_i32 s2, s6, s2
	s_delay_alu instid0(SALU_CYCLE_1) | instskip(NEXT) | instid1(SALU_CYCLE_1)
	s_ashr_i32 s2, s2, 6
	s_add_i32 s7, s2, 1
	s_not_b32 s2, s2
	v_cvt_f32_u32_e32 v1, s7
	s_delay_alu instid0(VALU_DEP_1) | instskip(SKIP_2) | instid1(VALU_DEP_1)
	v_rcp_iflag_f32_e32 v1, v1
	s_waitcnt_depctr 0xfff
	v_mul_f32_e32 v1, 0x4f7ffffe, v1
	v_cvt_u32_f32_e32 v1, v1
	s_delay_alu instid0(VALU_DEP_1) | instskip(NEXT) | instid1(VALU_DEP_1)
	v_readfirstlane_b32 s3, v1
	s_mul_i32 s2, s2, s3
	s_delay_alu instid0(SALU_CYCLE_1) | instskip(NEXT) | instid1(SALU_CYCLE_1)
	s_mul_hi_u32 s2, s3, s2
	s_add_i32 s3, s3, s2
	s_delay_alu instid0(SALU_CYCLE_1) | instskip(NEXT) | instid1(SALU_CYCLE_1)
	s_mul_hi_u32 s2, s14, s3
	s_mul_i32 s3, s2, s7
	s_add_i32 s8, s2, 1
	s_sub_i32 s3, s14, s3
	s_delay_alu instid0(SALU_CYCLE_1)
	s_sub_i32 s15, s3, s7
	s_cmp_ge_u32 s3, s7
	s_cselect_b32 s2, s8, s2
	s_cselect_b32 s3, s15, s3
	s_add_i32 s8, s2, 1
	s_cmp_ge_u32 s3, s7
	s_cselect_b32 s3, s8, s2
	s_delay_alu instid0(SALU_CYCLE_1) | instskip(NEXT) | instid1(SALU_CYCLE_1)
	s_mul_i32 s2, s3, s7
	s_sub_i32 s2, s14, s2
	s_load_b64 s[14:15], s[4:5], 0x0
	s_lshl_b32 s8, s2, 6
	s_delay_alu instid0(SALU_CYCLE_1) | instskip(NEXT) | instid1(VALU_DEP_1)
	v_add_nc_u32_e32 v0, s8, v24
	v_cmp_le_i32_e64 s2, s16, v0
	v_min_i32_e32 v12, s6, v0
	s_delay_alu instid0(VALU_DEP_2) | instskip(NEXT) | instid1(SALU_CYCLE_1)
	s_or_b32 s4, vcc_lo, s2
	v_cndmask_b32_e64 v1, 0, 0x7fefffff, s4
	v_cndmask_b32_e64 v0, 0, -1, s4
	s_or_b32 s4, s26, s4
	s_delay_alu instid0(SALU_CYCLE_1) | instskip(NEXT) | instid1(SALU_CYCLE_1)
	s_xor_b32 s5, s4, -1
	s_and_saveexec_b32 s4, s5
	s_cbranch_execz .LBB126_8
; %bb.7:
	v_mad_i64_i32 v[0:1], null, v12, s30, 0
	s_delay_alu instid0(VALU_DEP_1) | instskip(NEXT) | instid1(VALU_DEP_1)
	v_lshlrev_b64 v[0:1], 3, v[0:1]
	v_add_co_u32 v0, vcc_lo, s24, v0
	s_delay_alu instid0(VALU_DEP_2) | instskip(NEXT) | instid1(VALU_DEP_2)
	v_add_co_ci_u32_e32 v1, vcc_lo, s25, v1, vcc_lo
	v_add_co_u32 v0, vcc_lo, v0, v25
	s_delay_alu instid0(VALU_DEP_2)
	v_add_co_ci_u32_e32 v1, vcc_lo, 0, v1, vcc_lo
	flat_load_b64 v[0:1], v[0:1]
	s_waitcnt vmcnt(0) lgkmcnt(0)
	v_mul_f64 v[0:1], s[20:21], v[0:1]
.LBB126_8:
	s_or_b32 exec_lo, exec_lo, s4
	s_load_b32 s27, s[0:1], 0x38
	v_lshrrev_b32_e32 v117, 6, v2
	s_add_i32 s28, s18, -1
	v_and_b32_e32 v23, 63, v2
	s_lshl_b32 s19, s3, 8
	s_delay_alu instid0(VALU_DEP_2) | instskip(SKIP_1) | instid1(VALU_DEP_3)
	v_min_i32_e32 v4, s28, v117
	v_cmp_le_i32_e32 vcc_lo, s18, v117
	v_or_b32_e32 v28, s19, v23
	s_delay_alu instid0(VALU_DEP_1) | instskip(SKIP_1) | instid1(VALU_DEP_2)
	v_cmp_le_i32_e64 s3, s17, v28
	v_ashrrev_i32_e32 v29, 31, v28
	s_or_b32 s5, s3, vcc_lo
	s_waitcnt lgkmcnt(0)
	v_mad_i64_i32 v[2:3], null, s27, v4, 0
	s_delay_alu instid0(VALU_DEP_1) | instskip(SKIP_2) | instid1(VALU_DEP_3)
	v_lshlrev_b64 v[6:7], 3, v[2:3]
	v_cndmask_b32_e64 v3, 0, 0x7fefffff, s5
	v_cndmask_b32_e64 v2, 0, -1, s5
	v_add_co_u32 v6, s4, s22, v6
	s_delay_alu instid0(VALU_DEP_1) | instskip(SKIP_1) | instid1(SALU_CYCLE_1)
	v_add_co_ci_u32_e64 v7, s4, s23, v7, s4
	s_or_b32 s4, s26, s5
	s_xor_b32 s4, s4, -1
	s_delay_alu instid0(SALU_CYCLE_1)
	s_and_saveexec_b32 s5, s4
	s_cbranch_execz .LBB126_10
; %bb.9:
	v_lshlrev_b64 v[2:3], 3, v[28:29]
	s_delay_alu instid0(VALU_DEP_1) | instskip(NEXT) | instid1(VALU_DEP_1)
	v_add_co_u32 v2, s4, v6, v2
	v_add_co_ci_u32_e64 v3, s4, v7, v3, s4
	flat_load_b64 v[2:3], v[2:3]
	s_waitcnt vmcnt(0) lgkmcnt(0)
	v_mul_f64 v[2:3], s[20:21], v[2:3]
.LBB126_10:
	s_or_b32 exec_lo, exec_lo, s5
	v_or_b32_e32 v4, 64, v28
	s_delay_alu instid0(VALU_DEP_1) | instskip(NEXT) | instid1(VALU_DEP_1)
	v_cmp_le_i32_e64 s4, s17, v4
	s_or_b32 s5, s4, vcc_lo
	s_delay_alu instid0(SALU_CYCLE_1) | instskip(SKIP_2) | instid1(SALU_CYCLE_1)
	v_cndmask_b32_e64 v17, 0, 0x7fefffff, s5
	v_cndmask_b32_e64 v16, 0, -1, s5
	s_or_b32 s5, s26, s5
	s_xor_b32 s5, s5, -1
	s_delay_alu instid0(SALU_CYCLE_1)
	s_and_saveexec_b32 s6, s5
	s_cbranch_execz .LBB126_12
; %bb.11:
	v_lshlrev_b64 v[8:9], 3, v[28:29]
	s_delay_alu instid0(VALU_DEP_1) | instskip(NEXT) | instid1(VALU_DEP_1)
	v_add_co_u32 v8, s5, v6, v8
	v_add_co_ci_u32_e64 v9, s5, v7, v9, s5
	flat_load_b64 v[8:9], v[8:9] offset:512
	s_waitcnt vmcnt(0) lgkmcnt(0)
	v_mul_f64 v[16:17], s[20:21], v[8:9]
.LBB126_12:
	s_or_b32 exec_lo, exec_lo, s6
	v_or_b32_e32 v4, 0x80, v28
	s_delay_alu instid0(VALU_DEP_1) | instskip(NEXT) | instid1(VALU_DEP_1)
	v_cmp_le_i32_e64 s5, s17, v4
	s_or_b32 s6, s5, vcc_lo
	s_delay_alu instid0(SALU_CYCLE_1) | instskip(SKIP_2) | instid1(SALU_CYCLE_1)
	v_cndmask_b32_e64 v19, 0, 0x7fefffff, s6
	v_cndmask_b32_e64 v18, 0, -1, s6
	s_or_b32 s6, s26, s6
	s_xor_b32 s6, s6, -1
	s_delay_alu instid0(SALU_CYCLE_1)
	s_and_saveexec_b32 s7, s6
	s_cbranch_execz .LBB126_14
; %bb.13:
	v_lshlrev_b64 v[8:9], 3, v[28:29]
	s_delay_alu instid0(VALU_DEP_1) | instskip(NEXT) | instid1(VALU_DEP_1)
	v_add_co_u32 v8, s6, v6, v8
	v_add_co_ci_u32_e64 v9, s6, v7, v9, s6
	flat_load_b64 v[8:9], v[8:9] offset:1024
	s_waitcnt vmcnt(0) lgkmcnt(0)
	v_mul_f64 v[18:19], s[20:21], v[8:9]
.LBB126_14:
	s_or_b32 exec_lo, exec_lo, s7
	v_or_b32_e32 v4, 0xc0, v28
	s_delay_alu instid0(VALU_DEP_1) | instskip(NEXT) | instid1(VALU_DEP_1)
	v_cmp_le_i32_e64 s6, s17, v4
	s_or_b32 s7, s6, vcc_lo
	s_delay_alu instid0(SALU_CYCLE_1) | instskip(SKIP_2) | instid1(SALU_CYCLE_1)
	v_cndmask_b32_e64 v21, 0, 0x7fefffff, s7
	v_cndmask_b32_e64 v20, 0, -1, s7
	s_or_b32 s7, s26, s7
	s_xor_b32 s29, s7, -1
	s_delay_alu instid0(SALU_CYCLE_1)
	s_and_saveexec_b32 s7, s29
	s_cbranch_execz .LBB126_16
; %bb.15:
	v_lshlrev_b64 v[8:9], 3, v[28:29]
	s_delay_alu instid0(VALU_DEP_1) | instskip(NEXT) | instid1(VALU_DEP_2)
	v_add_co_u32 v6, vcc_lo, v6, v8
	v_add_co_ci_u32_e32 v7, vcc_lo, v7, v9, vcc_lo
	flat_load_b64 v[6:7], v[6:7] offset:1536
	s_waitcnt vmcnt(0) lgkmcnt(0)
	v_mul_f64 v[20:21], s[20:21], v[6:7]
.LBB126_16:
	s_or_b32 exec_lo, exec_lo, s7
	v_and_b32_e32 v4, 3, v221
	s_delay_alu instid0(VALU_DEP_1) | instskip(NEXT) | instid1(VALU_DEP_1)
	v_or_b32_e32 v4, 4, v4
	v_cmp_le_i32_e32 vcc_lo, s18, v4
	s_or_b32 s7, vcc_lo, s2
	s_delay_alu instid0(SALU_CYCLE_1) | instskip(SKIP_2) | instid1(SALU_CYCLE_1)
	v_cndmask_b32_e64 v7, 0, 0x7fefffff, s7
	v_cndmask_b32_e64 v6, 0, -1, s7
	s_or_b32 s7, s26, s7
	s_xor_b32 s29, s7, -1
	s_delay_alu instid0(SALU_CYCLE_1)
	s_and_saveexec_b32 s7, s29
	s_cbranch_execz .LBB126_18
; %bb.17:
	v_mad_i64_i32 v[6:7], null, v12, s30, 0
	s_delay_alu instid0(VALU_DEP_1) | instskip(NEXT) | instid1(VALU_DEP_1)
	v_lshlrev_b64 v[6:7], 3, v[6:7]
	v_add_co_u32 v4, vcc_lo, s24, v6
	s_delay_alu instid0(VALU_DEP_2) | instskip(NEXT) | instid1(VALU_DEP_2)
	v_add_co_ci_u32_e32 v5, vcc_lo, s25, v7, vcc_lo
	v_add_co_u32 v6, vcc_lo, v4, v25
	s_delay_alu instid0(VALU_DEP_2)
	v_add_co_ci_u32_e32 v7, vcc_lo, 0, v5, vcc_lo
	flat_load_b64 v[6:7], v[6:7] offset:32
	s_waitcnt vmcnt(0) lgkmcnt(0)
	v_mul_f64 v[6:7], s[20:21], v[6:7]
.LBB126_18:
	s_or_b32 exec_lo, exec_lo, s7
	v_add_nc_u32_e32 v4, 4, v117
	s_delay_alu instid0(VALU_DEP_1) | instskip(SKIP_1) | instid1(VALU_DEP_2)
	v_min_i32_e32 v5, s28, v4
	v_cmp_le_i32_e32 vcc_lo, s18, v4
	v_mad_i64_i32 v[8:9], null, s27, v5, 0
	s_or_b32 s29, s3, vcc_lo
	s_delay_alu instid0(SALU_CYCLE_1) | instskip(SKIP_1) | instid1(VALU_DEP_3)
	v_cndmask_b32_e64 v5, 0, 0x7fefffff, s29
	v_cndmask_b32_e64 v4, 0, -1, s29
	v_lshlrev_b64 v[10:11], 3, v[8:9]
	s_delay_alu instid0(VALU_DEP_1) | instskip(NEXT) | instid1(VALU_DEP_1)
	v_add_co_u32 v26, s7, s22, v10
	v_add_co_ci_u32_e64 v27, s7, s23, v11, s7
	s_or_b32 s7, s26, s29
	s_delay_alu instid0(SALU_CYCLE_1) | instskip(NEXT) | instid1(SALU_CYCLE_1)
	s_xor_b32 s7, s7, -1
	s_and_saveexec_b32 s29, s7
	s_cbranch_execz .LBB126_20
; %bb.19:
	v_lshlrev_b64 v[8:9], 3, v[28:29]
	s_delay_alu instid0(VALU_DEP_1) | instskip(NEXT) | instid1(VALU_DEP_1)
	v_add_co_u32 v8, s7, v26, v8
	v_add_co_ci_u32_e64 v9, s7, v27, v9, s7
	flat_load_b64 v[8:9], v[8:9]
	s_waitcnt vmcnt(0) lgkmcnt(0)
	v_mul_f64 v[4:5], s[20:21], v[8:9]
.LBB126_20:
	s_or_b32 exec_lo, exec_lo, s29
	s_or_b32 s7, s4, vcc_lo
	s_delay_alu instid0(SALU_CYCLE_1) | instskip(SKIP_2) | instid1(SALU_CYCLE_1)
	v_cndmask_b32_e64 v9, 0, 0x7fefffff, s7
	v_cndmask_b32_e64 v8, 0, -1, s7
	s_or_b32 s7, s26, s7
	s_xor_b32 s7, s7, -1
	s_delay_alu instid0(SALU_CYCLE_1)
	s_and_saveexec_b32 s29, s7
	s_cbranch_execz .LBB126_22
; %bb.21:
	v_lshlrev_b64 v[10:11], 3, v[28:29]
	s_delay_alu instid0(VALU_DEP_1) | instskip(NEXT) | instid1(VALU_DEP_1)
	v_add_co_u32 v10, s7, v26, v10
	v_add_co_ci_u32_e64 v11, s7, v27, v11, s7
	flat_load_b64 v[10:11], v[10:11] offset:512
	s_waitcnt vmcnt(0) lgkmcnt(0)
	v_mul_f64 v[8:9], s[20:21], v[10:11]
.LBB126_22:
	s_or_b32 exec_lo, exec_lo, s29
	s_or_b32 s7, s5, vcc_lo
	s_clause 0x2
	scratch_store_b64 off, v[4:5], off offset:312
	scratch_store_b64 off, v[6:7], off offset:304
	scratch_store_b32 off, v12, off offset:352
	v_cndmask_b32_e64 v5, 0, 0x7fefffff, s7
	v_cndmask_b32_e64 v4, 0, -1, s7
	s_or_b32 s7, s26, s7
	s_delay_alu instid0(SALU_CYCLE_1) | instskip(NEXT) | instid1(SALU_CYCLE_1)
	s_xor_b32 s7, s7, -1
	s_and_saveexec_b32 s29, s7
	s_cbranch_execz .LBB126_24
; %bb.23:
	v_lshlrev_b64 v[12:13], 3, v[28:29]
	s_delay_alu instid0(VALU_DEP_1) | instskip(NEXT) | instid1(VALU_DEP_1)
	v_add_co_u32 v12, s7, v26, v12
	v_add_co_ci_u32_e64 v13, s7, v27, v13, s7
	flat_load_b64 v[12:13], v[12:13] offset:1024
	s_waitcnt vmcnt(0) lgkmcnt(0)
	v_mul_f64 v[4:5], s[20:21], v[12:13]
.LBB126_24:
	s_or_b32 exec_lo, exec_lo, s29
	s_or_b32 s7, s6, vcc_lo
	s_clause 0x1
	scratch_store_b64 off, v[4:5], off offset:328
	scratch_store_b64 off, v[8:9], off offset:320
	v_cndmask_b32_e64 v5, 0, 0x7fefffff, s7
	v_cndmask_b32_e64 v4, 0, -1, s7
	s_or_b32 s29, s26, s7
	s_mov_b32 s7, -1
	s_xor_b32 s31, s29, -1
	s_delay_alu instid0(SALU_CYCLE_1)
	s_and_saveexec_b32 s29, s31
	s_cbranch_execz .LBB126_26
; %bb.25:
	v_lshlrev_b64 v[14:15], 3, v[28:29]
	s_delay_alu instid0(VALU_DEP_1) | instskip(NEXT) | instid1(VALU_DEP_2)
	v_add_co_u32 v14, vcc_lo, v26, v14
	v_add_co_ci_u32_e32 v15, vcc_lo, v27, v15, vcc_lo
	flat_load_b64 v[14:15], v[14:15] offset:1536
	s_waitcnt vmcnt(0) lgkmcnt(0)
	v_mul_f64 v[4:5], s[20:21], v[14:15]
.LBB126_26:
	s_or_b32 exec_lo, exec_lo, s29
	v_lshl_or_b32 v199, v24, 5, v25
	s_clause 0x1
	scratch_store_b64 off, v[4:5], off offset:336
	scratch_store_b64 off, v[28:29], off offset:344
	v_dual_mov_b32 v123, 0x7f800000 :: v_dual_lshlrev_b32 v4, 3, v117
	v_dual_mov_b32 v122, 0x7f800000 :: v_dual_mov_b32 v77, v23
	v_add_nc_u32_e32 v5, 0x4000, v199
	s_delay_alu instid0(VALU_DEP_3)
	v_lshl_add_u32 v4, v23, 5, v4
	v_dual_mov_b32 v124, 0x7f800000 :: v_dual_mov_b32 v125, 0x7f800000
	v_dual_mov_b32 v126, 0x7f800000 :: v_dual_mov_b32 v127, 0x7f800000
	scratch_store_b32 off, v5, off offset:368 ; 4-byte Folded Spill
	ds_store_b64 v199, v[0:1] offset:16384
	ds_store_2addr_stride64_b64 v4, v[2:3], v[16:17] offset1:4
	v_dual_mov_b32 v128, 0x7f800000 :: v_dual_mov_b32 v133, 0x7f800000
	v_dual_mov_b32 v198, 0x7f800000 :: v_dual_mov_b32 v131, 0x7f800000
	;; [unrolled: 1-line block ×28, first 2 shown]
	v_mov_b32_e32 v140, 0x7f800000
	v_mov_b32_e32 v142, 0x7f800000
	s_mov_b32 s29, 0
	s_clause 0x1
	scratch_store_b32 off, v4, off offset:364
	scratch_store_b32 off, v0, off
	ds_store_2addr_stride64_b64 v4, v[18:19], v[20:21] offset0:8 offset1:12
	s_waitcnt lgkmcnt(0)
	s_waitcnt_vscnt null, 0x0
	s_barrier
	buffer_gl0_inv
	scratch_store_b32 off, v22, off offset:4 ; 4-byte Folded Spill
.LBB126_27:                             ; =>This Inner Loop Header: Depth=1
	s_lshl_b32 s29, s29, 3
	v_mov_b32_e32 v81, v55
	v_lshl_add_u32 v20, v22, 5, s29
	v_lshl_add_u32 v4, v221, 5, s29
	v_mov_b32_e32 v82, v63
	s_mov_b32 s29, 2
	s_and_not1_b32 vcc_lo, exec_lo, s7
	ds_load_b128 v[16:19], v20
	ds_load_b128 v[0:3], v4 offset:16384
	ds_load_b128 v[103:106], v4 offset:16640
	;; [unrolled: 1-line block ×3, first 2 shown]
	s_mov_b32 s7, 0
	s_waitcnt lgkmcnt(2)
	v_add_f64 v[5:6], v[2:3], v[18:19]
	scratch_store_b64 off, v[5:6], off offset:40 ; 8-byte Folded Spill
	v_add_f64 v[5:6], v[0:1], v[16:17]
	scratch_store_b64 off, v[5:6], off offset:104 ; 8-byte Folded Spill
	s_waitcnt lgkmcnt(1)
	v_add_f64 v[5:6], v[105:106], v[18:19]
	scratch_store_b64 off, v[5:6], off offset:8 ; 8-byte Folded Spill
	v_add_f64 v[5:6], v[103:104], v[16:17]
	scratch_store_b64 off, v[5:6], off offset:72 ; 8-byte Folded Spill
	ds_load_b128 v[33:36], v4 offset:16896
	ds_load_b128 v[37:40], v4 offset:17152
	s_waitcnt lgkmcnt(1)
	v_add_f64 v[5:6], v[35:36], v[18:19]
	scratch_store_b64 off, v[5:6], off offset:48 ; 8-byte Folded Spill
	v_add_f64 v[5:6], v[33:34], v[16:17]
	scratch_store_b64 off, v[5:6], off offset:112 ; 8-byte Folded Spill
	s_waitcnt lgkmcnt(0)
	v_add_f64 v[5:6], v[39:40], v[18:19]
	scratch_store_b64 off, v[5:6], off offset:16 ; 8-byte Folded Spill
	v_add_f64 v[5:6], v[37:38], v[16:17]
	scratch_store_b64 off, v[5:6], off offset:80 ; 8-byte Folded Spill
	ds_load_b128 v[41:44], v4 offset:17408
	ds_load_b128 v[45:48], v4 offset:17664
	ds_load_b128 v[49:52], v4 offset:17920
	ds_load_b128 v[53:56], v4 offset:18176
	s_waitcnt lgkmcnt(3)
	v_add_f64 v[5:6], v[43:44], v[18:19]
	scratch_store_b64 off, v[5:6], off offset:56 ; 8-byte Folded Spill
	v_add_f64 v[5:6], v[41:42], v[16:17]
	scratch_store_b64 off, v[5:6], off offset:120 ; 8-byte Folded Spill
	s_waitcnt lgkmcnt(2)
	v_add_f64 v[5:6], v[47:48], v[18:19]
	scratch_store_b64 off, v[5:6], off offset:24 ; 8-byte Folded Spill
	v_add_f64 v[5:6], v[45:46], v[16:17]
	scratch_store_b64 off, v[5:6], off offset:88 ; 8-byte Folded Spill
	;; [unrolled: 5-line block ×4, first 2 shown]
	v_add_f64 v[4:5], v[2:3], v[31:32]
	scratch_store_b64 off, v[4:5], off offset:136 ; 8-byte Folded Spill
	v_add_f64 v[4:5], v[0:1], v[29:30]
	scratch_store_b64 off, v[4:5], off offset:144 ; 8-byte Folded Spill
	;; [unrolled: 2-line block ×16, first 2 shown]
	ds_load_b128 v[16:19], v20 offset:2048
	ds_load_b128 v[29:32], v20 offset:3072
	s_waitcnt lgkmcnt(1)
	v_add_f64 v[4:5], v[47:48], v[18:19]
	v_add_f64 v[172:173], v[2:3], v[18:19]
	;; [unrolled: 1-line block ×12, first 2 shown]
	s_waitcnt lgkmcnt(0)
	v_add_f64 v[174:175], v[2:3], v[31:32]
	v_add_f64 v[224:225], v[0:1], v[29:30]
	;; [unrolled: 1-line block ×16, first 2 shown]
	scratch_store_b64 off, v[4:5], off offset:280 ; 8-byte Folded Spill
	v_add_f64 v[4:5], v[51:52], v[18:19]
	scratch_store_b64 off, v[4:5], off offset:272 ; 8-byte Folded Spill
	v_add_f64 v[4:5], v[49:50], v[16:17]
	;; [unrolled: 2-line block ×4, first 2 shown]
	scratch_store_b64 off, v[4:5], off offset:288 ; 8-byte Folded Spill
	ds_load_b128 v[16:19], v20 offset:4096
	ds_load_b128 v[29:32], v20 offset:5120
	s_waitcnt lgkmcnt(1)
	v_add_f64 v[254:255], v[2:3], v[18:19]
	v_add_f64 v[23:24], v[0:1], v[16:17]
	;; [unrolled: 1-line block ×16, first 2 shown]
	s_waitcnt lgkmcnt(0)
	v_add_f64 v[162:163], v[2:3], v[31:32]
	v_add_f64 v[160:161], v[0:1], v[29:30]
	;; [unrolled: 1-line block ×16, first 2 shown]
	ds_load_b128 v[16:19], v20 offset:6144
	ds_load_b128 v[29:32], v20 offset:7168
	v_cvt_f32_f64_e32 v6, v[6:7]
	v_cvt_f32_f64_e32 v8, v[8:9]
	;; [unrolled: 1-line block ×5, first 2 shown]
	s_waitcnt lgkmcnt(1)
	v_add_f64 v[85:86], v[0:1], v[16:17]
	v_add_f64 v[89:90], v[103:104], v[16:17]
	;; [unrolled: 1-line block ×8, first 2 shown]
	s_waitcnt lgkmcnt(0)
	v_add_f64 v[0:1], v[0:1], v[29:30]
	v_add_f64 v[103:104], v[103:104], v[29:30]
	;; [unrolled: 1-line block ×8, first 2 shown]
	scratch_load_b64 v[53:54], off, off offset:104 ; 8-byte Folded Reload
	v_add_f64 v[83:84], v[2:3], v[18:19]
	v_add_f64 v[87:88], v[105:106], v[18:19]
	;; [unrolled: 1-line block ×11, first 2 shown]
	v_min3_f32 v135, v8, v6, v135
	v_cvt_f32_f64_e32 v6, v[12:13]
	v_add_f64 v[39:40], v[39:40], v[31:32]
	v_add_f64 v[43:44], v[43:44], v[31:32]
	;; [unrolled: 1-line block ×5, first 2 shown]
	v_min3_f32 v116, v4, v5, v116
	v_cvt_f32_f64_e32 v5, v[21:22]
	v_cvt_f32_f64_e32 v4, v[109:110]
	v_mov_b32_e32 v55, v81
	scratch_load_b32 v22, off, off offset:4 ; 4-byte Folded Reload
	v_cvt_f32_f64_e32 v0, v[0:1]
	v_cvt_f32_f64_e32 v1, v[2:3]
	v_min3_f32 v134, v6, v7, v134
	v_cvt_f32_f64_e32 v6, v[144:145]
	v_cvt_f32_f64_e32 v7, v[14:15]
	v_min3_f32 v129, v4, v5, v129
	v_cvt_f32_f64_e32 v4, v[107:108]
	v_cvt_f32_f64_e32 v5, v[79:80]
	v_min3_f32 v133, v0, v1, v133
	v_cvt_f32_f64_e32 v0, v[103:104]
	v_cvt_f32_f64_e32 v1, v[25:26]
	v_min3_f32 v130, v6, v7, v130
	scratch_load_b32 v6, off, off           ; 4-byte Folded Reload
	v_min3_f32 v119, v4, v5, v119
	v_cvt_f32_f64_e32 v4, v[75:76]
	v_cvt_f32_f64_e32 v5, v[111:112]
	v_min3_f32 v128, v0, v1, v128
	v_cvt_f32_f64_e32 v0, v[33:34]
	v_cvt_f32_f64_e32 v1, v[35:36]
	s_delay_alu instid0(VALU_DEP_4) | instskip(SKIP_2) | instid1(VALU_DEP_4)
	v_min3_f32 v121, v4, v5, v121
	v_cvt_f32_f64_e32 v4, v[160:161]
	v_cvt_f32_f64_e32 v5, v[162:163]
	v_min3_f32 v127, v0, v1, v127
	v_cvt_f32_f64_e32 v0, v[37:38]
	v_cvt_f32_f64_e32 v1, v[39:40]
	s_delay_alu instid0(VALU_DEP_4) | instskip(SKIP_2) | instid1(VALU_DEP_4)
	;; [unrolled: 7-line block ×4, first 2 shown]
	v_min3_f32 v118, v4, v5, v118
	v_cvt_f32_f64_e32 v4, v[148:149]
	v_cvt_f32_f64_e32 v5, v[150:151]
	v_min3_f32 v124, v0, v1, v124
	v_cvt_f32_f64_e32 v0, v[49:50]
	v_cvt_f32_f64_e32 v1, v[51:52]
	s_delay_alu instid0(VALU_DEP_4)
	v_min3_f32 v113, v4, v5, v113
	v_cvt_f32_f64_e32 v4, v[73:74]
	v_cvt_f32_f64_e32 v5, v[61:62]
	s_waitcnt vmcnt(2)
	v_cvt_f32_f64_e32 v20, v[53:54]
	scratch_load_b64 v[53:54], off, off offset:40 ; 8-byte Folded Reload
	v_min3_f32 v123, v0, v1, v123
	v_cvt_f32_f64_e32 v0, v[29:30]
	v_cvt_f32_f64_e32 v1, v[31:32]
	v_min3_f32 v192, v4, v5, v192
	v_cvt_f32_f64_e32 v4, v[69:70]
	v_cvt_f32_f64_e32 v5, v[71:72]
	s_delay_alu instid0(VALU_DEP_4) | instskip(NEXT) | instid1(VALU_DEP_2)
	v_min3_f32 v122, v0, v1, v122
	v_min3_f32 v55, v4, v5, v55
	v_cvt_f32_f64_e32 v4, v[63:64]
	v_cvt_f32_f64_e32 v5, v[67:68]
	v_mov_b32_e32 v63, v82
	s_delay_alu instid0(VALU_DEP_2) | instskip(SKIP_2) | instid1(VALU_DEP_1)
	v_min3_f32 v210, v4, v5, v210
	v_cvt_f32_f64_e32 v4, v[57:58]
	v_cvt_f32_f64_e32 v5, v[59:60]
	v_min3_f32 v137, v4, v5, v137
	v_cvt_f32_f64_e32 v4, v[85:86]
	v_cvt_f32_f64_e32 v5, v[83:84]
	s_delay_alu instid0(VALU_DEP_1) | instskip(SKIP_2) | instid1(VALU_DEP_1)
	v_min3_f32 v115, v4, v5, v115
	v_cvt_f32_f64_e32 v4, v[89:90]
	v_cvt_f32_f64_e32 v5, v[87:88]
	v_min3_f32 v63, v4, v5, v63
	v_cvt_f32_f64_e32 v4, v[93:94]
	v_cvt_f32_f64_e32 v5, v[91:92]
	s_delay_alu instid0(VALU_DEP_1) | instskip(SKIP_2) | instid1(VALU_DEP_1)
	v_min3_f32 v235, v4, v5, v235
	v_cvt_f32_f64_e32 v4, v[208:209]
	v_cvt_f32_f64_e32 v5, v[101:102]
	v_min3_f32 v215, v4, v5, v215
	v_cvt_f32_f64_e32 v4, v[65:66]
	v_cvt_f32_f64_e32 v5, v[97:98]
	s_waitcnt vmcnt(0)
	v_cvt_f32_f64_e32 v53, v[53:54]
	s_delay_alu instid0(VALU_DEP_2) | instskip(SKIP_2) | instid1(VALU_DEP_4)
	v_min3_f32 v200, v4, v5, v200
	v_cvt_f32_f64_e32 v4, v[95:96]
	v_cvt_f32_f64_e32 v5, v[222:223]
	v_min3_f32 v143, v20, v53, v143
	scratch_load_b64 v[53:54], off, off offset:72 ; 8-byte Folded Reload
	v_min3_f32 v6, v4, v5, v6
	v_cvt_f32_f64_e32 v4, v[99:100]
	v_cvt_f32_f64_e32 v5, v[27:28]
	scratch_store_b32 off, v6, off          ; 4-byte Folded Spill
	v_min3_f32 v131, v4, v5, v131
	v_cvt_f32_f64_e32 v4, v[16:17]
	v_cvt_f32_f64_e32 v5, v[18:19]
	s_delay_alu instid0(VALU_DEP_1)
	v_min3_f32 v198, v4, v5, v198
	s_waitcnt vmcnt(0)
	v_cvt_f32_f64_e32 v20, v[53:54]
	scratch_load_b64 v[53:54], off, off offset:8 ; 8-byte Folded Reload
	s_waitcnt vmcnt(0)
	v_cvt_f32_f64_e32 v53, v[53:54]
	s_delay_alu instid0(VALU_DEP_1)
	v_min3_f32 v142, v20, v53, v142
	scratch_load_b64 v[53:54], off, off offset:112 ; 8-byte Folded Reload
	s_waitcnt vmcnt(0)
	v_cvt_f32_f64_e32 v20, v[53:54]
	scratch_load_b64 v[53:54], off, off offset:48 ; 8-byte Folded Reload
	s_waitcnt vmcnt(0)
	v_cvt_f32_f64_e32 v53, v[53:54]
	s_delay_alu instid0(VALU_DEP_1)
	v_min3_f32 v141, v20, v53, v141
	scratch_load_b64 v[53:54], off, off offset:80 ; 8-byte Folded Reload
	;; [unrolled: 8-line block ×14, first 2 shown]
	s_waitcnt vmcnt(0)
	v_cvt_f32_f64_e32 v20, v[53:54]
	scratch_load_b64 v[53:54], off, off offset:248 ; 8-byte Folded Reload
	s_waitcnt vmcnt(0)
	v_cvt_f32_f64_e32 v53, v[53:54]
	s_delay_alu instid0(VALU_DEP_1) | instskip(SKIP_2) | instid1(VALU_DEP_1)
	v_min3_f32 v213, v20, v53, v213
	v_cvt_f32_f64_e32 v20, v[166:167]
	v_cvt_f32_f64_e32 v53, v[172:173]
	v_min3_f32 v212, v20, v53, v212
	v_cvt_f32_f64_e32 v20, v[168:169]
	v_cvt_f32_f64_e32 v53, v[176:177]
	s_delay_alu instid0(VALU_DEP_1) | instskip(SKIP_2) | instid1(VALU_DEP_1)
	v_min3_f32 v211, v20, v53, v211
	v_cvt_f32_f64_e32 v20, v[170:171]
	v_cvt_f32_f64_e32 v53, v[180:181]
	v_min3_f32 v207, v20, v53, v207
	v_cvt_f32_f64_e32 v20, v[178:179]
	v_cvt_f32_f64_e32 v53, v[184:185]
	s_delay_alu instid0(VALU_DEP_1) | instskip(SKIP_2) | instid1(VALU_DEP_1)
	v_min3_f32 v206, v20, v53, v206
	v_cvt_f32_f64_e32 v20, v[182:183]
	v_cvt_f32_f64_e32 v53, v[188:189]
	v_min3_f32 v205, v20, v53, v205
	scratch_load_b64 v[53:54], off, off offset:280 ; 8-byte Folded Reload
	v_cvt_f32_f64_e32 v20, v[186:187]
	s_waitcnt vmcnt(0)
	v_cvt_f32_f64_e32 v53, v[53:54]
	s_delay_alu instid0(VALU_DEP_1)
	v_min3_f32 v204, v20, v53, v204
	scratch_load_b64 v[53:54], off, off offset:296 ; 8-byte Folded Reload
	s_waitcnt vmcnt(0)
	v_cvt_f32_f64_e32 v20, v[53:54]
	scratch_load_b64 v[53:54], off, off offset:272 ; 8-byte Folded Reload
	s_waitcnt vmcnt(0)
	v_cvt_f32_f64_e32 v53, v[53:54]
	s_delay_alu instid0(VALU_DEP_1)
	v_min3_f32 v203, v20, v53, v203
	scratch_load_b64 v[53:54], off, off offset:288 ; 8-byte Folded Reload
	s_waitcnt vmcnt(0)
	v_cvt_f32_f64_e32 v20, v[53:54]
	scratch_load_b64 v[53:54], off, off offset:264 ; 8-byte Folded Reload
	s_waitcnt vmcnt(0)
	v_cvt_f32_f64_e32 v53, v[53:54]
	s_delay_alu instid0(VALU_DEP_1) | instskip(SKIP_2) | instid1(VALU_DEP_1)
	v_min3_f32 v202, v20, v53, v202
	v_cvt_f32_f64_e32 v20, v[224:225]
	v_cvt_f32_f64_e32 v53, v[174:175]
	v_min3_f32 v196, v20, v53, v196
	v_cvt_f32_f64_e32 v20, v[228:229]
	v_cvt_f32_f64_e32 v53, v[226:227]
	s_delay_alu instid0(VALU_DEP_1) | instskip(SKIP_2) | instid1(VALU_DEP_1)
	v_min3_f32 v195, v20, v53, v195
	v_cvt_f32_f64_e32 v20, v[232:233]
	v_cvt_f32_f64_e32 v53, v[218:219]
	v_min3_f32 v194, v20, v53, v194
	v_cvt_f32_f64_e32 v20, v[236:237]
	;; [unrolled: 7-line block ×4, first 2 shown]
	v_cvt_f32_f64_e32 v53, v[250:251]
	s_delay_alu instid0(VALU_DEP_1) | instskip(SKIP_2) | instid1(VALU_DEP_1)
	v_min3_f32 v139, v20, v53, v139
	v_cvt_f32_f64_e32 v20, v[23:24]
	v_cvt_f32_f64_e32 v23, v[254:255]
	v_min3_f32 v138, v20, v23, v138
	s_cbranch_vccz .LBB126_27
; %bb.28:
	scratch_load_b64 v[1:2], off, off offset:304 ; 8-byte Folded Reload
	v_dual_mov_b32 v71, v194 :: v_dual_lshlrev_b32 v0, 5, v77
	v_dual_mov_b32 v99, v220 :: v_dual_mov_b32 v102, v213
	v_dual_mov_b32 v34, v216 :: v_dual_mov_b32 v103, v214
	s_delay_alu instid0(VALU_DEP_3)
	v_lshl_add_u32 v0, v117, 3, v0
	v_dual_mov_b32 v110, v212 :: v_dual_mov_b32 v41, v211
	v_dual_mov_b32 v107, v207 :: v_dual_mov_b32 v60, v204
	v_mov_b32_e32 v61, v205
	v_dual_mov_b32 v75, v203 :: v_dual_mov_b32 v70, v193
	v_dual_mov_b32 v73, v196 :: v_dual_mov_b32 v44, v139
	;; [unrolled: 1-line block ×3, first 2 shown]
	v_mov_b32_e32 v43, v138
	v_mov_b32_e32 v59, v130
	;; [unrolled: 1-line block ×3, first 2 shown]
	s_mov_b32 s29, 8
	s_cmp_gt_i32 s18, 8
	s_waitcnt vmcnt(0)
	ds_store_b64 v199, v[1:2] offset:18432
	s_clause 0x1
	scratch_load_b64 v[1:2], off, off offset:312
	scratch_load_b64 v[3:4], off, off offset:320
	s_waitcnt vmcnt(0)
	ds_store_2addr_stride64_b64 v0, v[1:2], v[3:4] offset0:16 offset1:20
	s_clause 0x1
	scratch_load_b64 v[1:2], off, off offset:328
	scratch_load_b64 v[3:4], off, off offset:336
	s_waitcnt vmcnt(0)
	ds_store_2addr_stride64_b64 v0, v[1:2], v[3:4] offset0:24 offset1:28
	s_waitcnt lgkmcnt(0)
	s_waitcnt_vscnt null, 0x0
	s_barrier
	buffer_gl0_inv
	scratch_store_b32 off, v221, off offset:8 ; 4-byte Folded Spill
	s_cbranch_scc0 .LBB126_56
; %bb.29:
	scratch_load_b32 v3, off, off offset:352 ; 4-byte Folded Reload
	v_or_b32_e32 v0, 0x2000, v0
	v_mov_b32_e32 v7, 0
	v_mov_b32_e32 v109, v59
	;; [unrolled: 1-line block ×6, first 2 shown]
	scratch_store_b32 off, v0, off offset:376 ; 4-byte Folded Spill
	s_waitcnt vmcnt(0)
	v_mad_i64_i32 v[1:2], null, v3, s30, 0
	v_add_nc_u32_e32 v3, 0x4800, v199
	scratch_store_b32 off, v3, off offset:372 ; 4-byte Folded Spill
	v_lshlrev_b64 v[1:2], 3, v[1:2]
	s_delay_alu instid0(VALU_DEP_1) | instskip(NEXT) | instid1(VALU_DEP_2)
	v_add_co_u32 v0, vcc_lo, s24, v1
	v_add_co_ci_u32_e32 v1, vcc_lo, s25, v2, vcc_lo
	scratch_load_b64 v[2:3], off, off offset:344 ; 8-byte Folded Reload
	scratch_store_b32 off, v0, off offset:384 ; 4-byte Folded Spill
	v_add_co_u32 v0, vcc_lo, v0, 32
	s_add_i32 s24, s18, -8
	s_mov_b32 s25, 0
	s_clause 0x1
	scratch_store_b32 off, v0, off offset:392
	scratch_store_b32 off, v1, off offset:388
	v_add_co_ci_u32_e32 v0, vcc_lo, 0, v1, vcc_lo
	scratch_store_b32 off, v0, off offset:396 ; 4-byte Folded Spill
	s_waitcnt vmcnt(0)
	v_lshlrev_b64 v[4:5], 3, v[2:3]
	s_clause 0x1
	scratch_store_b32 off, v117, off offset:380
	scratch_store_b64 off, v[4:5], off offset:312
.LBB126_30:                             ; =>This Loop Header: Depth=1
                                        ;     Child Loop BB126_41 Depth 2
                                        ;     Child Loop BB126_53 Depth 2
	scratch_load_b32 v0, off, off offset:360 ; 4-byte Folded Reload
	s_waitcnt vmcnt(0)
	v_or_b32_e32 v6, s29, v0
	s_delay_alu instid0(VALU_DEP_1) | instskip(SKIP_1) | instid1(SALU_CYCLE_1)
	v_cmp_le_i32_e32 vcc_lo, s18, v6
	s_or_b32 s7, vcc_lo, s2
	v_cndmask_b32_e64 v9, 0, 0x7fefffff, s7
	v_cndmask_b32_e64 v8, 0, -1, s7
	s_or_b32 s7, s26, s7
	s_delay_alu instid0(SALU_CYCLE_1) | instskip(SKIP_3) | instid1(SALU_CYCLE_1)
	s_xor_b32 s30, s7, -1
	s_mov_b32 s7, exec_lo
	v_dual_mov_b32 v74, v60 :: v_dual_mov_b32 v79, v110
	s_and_b32 s30, s7, s30
	s_mov_b32 exec_lo, s30
	s_cbranch_execz .LBB126_32
; %bb.31:                               ;   in Loop: Header=BB126_30 Depth=1
	scratch_load_b32 v2, off, off offset:384 ; 4-byte Folded Reload
	v_lshlrev_b64 v[0:1], 3, v[6:7]
	s_waitcnt vmcnt(0)
	s_delay_alu instid0(VALU_DEP_1)
	v_add_co_u32 v0, vcc_lo, v2, v0
	scratch_load_b32 v2, off, off offset:388 ; 4-byte Folded Reload
	s_waitcnt vmcnt(0)
	v_add_co_ci_u32_e32 v1, vcc_lo, v2, v1, vcc_lo
	flat_load_b64 v[0:1], v[0:1]
	s_waitcnt vmcnt(0) lgkmcnt(0)
	v_mul_f64 v[8:9], s[20:21], v[0:1]
.LBB126_32:                             ;   in Loop: Header=BB126_30 Depth=1
	s_or_b32 exec_lo, exec_lo, s7
	v_add_nc_u32_e32 v2, s29, v117
	s_delay_alu instid0(VALU_DEP_1) | instskip(SKIP_1) | instid1(VALU_DEP_2)
	v_min_i32_e32 v3, s28, v2
	v_cmp_le_i32_e32 vcc_lo, s18, v2
	v_mad_i64_i32 v[0:1], null, v3, s27, 0
	s_or_b32 s30, s3, vcc_lo
	s_delay_alu instid0(SALU_CYCLE_1) | instskip(SKIP_1) | instid1(VALU_DEP_3)
	v_cndmask_b32_e64 v11, 0, 0x7fefffff, s30
	v_cndmask_b32_e64 v10, 0, -1, s30
	v_lshlrev_b64 v[0:1], 3, v[0:1]
	s_delay_alu instid0(VALU_DEP_1) | instskip(NEXT) | instid1(VALU_DEP_1)
	v_add_co_u32 v0, s7, s22, v0
	v_add_co_ci_u32_e64 v1, s7, s23, v1, s7
	s_or_b32 s7, s26, s30
	s_delay_alu instid0(SALU_CYCLE_1) | instskip(NEXT) | instid1(SALU_CYCLE_1)
	s_xor_b32 s7, s7, -1
	s_and_saveexec_b32 s30, s7
	s_cbranch_execz .LBB126_34
; %bb.33:                               ;   in Loop: Header=BB126_30 Depth=1
	v_add_co_u32 v2, s7, v0, v4
	s_delay_alu instid0(VALU_DEP_1)
	v_add_co_ci_u32_e64 v3, s7, v1, v5, s7
	flat_load_b64 v[2:3], v[2:3]
	s_waitcnt vmcnt(0) lgkmcnt(0)
	v_mul_f64 v[10:11], s[20:21], v[2:3]
.LBB126_34:                             ;   in Loop: Header=BB126_30 Depth=1
	s_or_b32 exec_lo, exec_lo, s30
	s_or_b32 s7, s4, vcc_lo
	s_delay_alu instid0(SALU_CYCLE_1) | instskip(SKIP_2) | instid1(SALU_CYCLE_1)
	v_cndmask_b32_e64 v13, 0, 0x7fefffff, s7
	v_cndmask_b32_e64 v12, 0, -1, s7
	s_or_b32 s7, s26, s7
	s_xor_b32 s7, s7, -1
	s_delay_alu instid0(SALU_CYCLE_1)
	s_and_saveexec_b32 s30, s7
	s_cbranch_execz .LBB126_36
; %bb.35:                               ;   in Loop: Header=BB126_30 Depth=1
	v_add_co_u32 v2, s7, v0, v4
	s_delay_alu instid0(VALU_DEP_1)
	v_add_co_ci_u32_e64 v3, s7, v1, v5, s7
	flat_load_b64 v[2:3], v[2:3] offset:512
	s_waitcnt vmcnt(0) lgkmcnt(0)
	v_mul_f64 v[12:13], s[20:21], v[2:3]
.LBB126_36:                             ;   in Loop: Header=BB126_30 Depth=1
	s_or_b32 exec_lo, exec_lo, s30
	s_or_b32 s7, s5, vcc_lo
	s_clause 0x2
	scratch_store_b64 off, v[10:11], off offset:328
	scratch_store_b64 off, v[8:9], off offset:320
	;; [unrolled: 1-line block ×3, first 2 shown]
	v_cndmask_b32_e64 v3, 0, 0x7fefffff, s7
	v_cndmask_b32_e64 v2, 0, -1, s7
	s_or_b32 s7, s26, s7
	s_delay_alu instid0(SALU_CYCLE_1) | instskip(NEXT) | instid1(SALU_CYCLE_1)
	s_xor_b32 s7, s7, -1
	s_and_saveexec_b32 s30, s7
	s_cbranch_execz .LBB126_38
; %bb.37:                               ;   in Loop: Header=BB126_30 Depth=1
	v_add_co_u32 v2, s7, v0, v4
	s_delay_alu instid0(VALU_DEP_1)
	v_add_co_ci_u32_e64 v3, s7, v1, v5, s7
	flat_load_b64 v[2:3], v[2:3] offset:1024
	s_waitcnt vmcnt(0) lgkmcnt(0)
	v_mul_f64 v[2:3], s[20:21], v[2:3]
.LBB126_38:                             ;   in Loop: Header=BB126_30 Depth=1
	s_or_b32 exec_lo, exec_lo, s30
	s_or_b32 s7, s6, vcc_lo
	v_dual_mov_b32 v194, v78 :: v_dual_mov_b32 v53, v61
	v_dual_mov_b32 v36, v103 :: v_dual_mov_b32 v119, v46
	;; [unrolled: 1-line block ×3, first 2 shown]
	v_mov_b32_e32 v72, v202
	v_mov_b32_e32 v204, v135
	;; [unrolled: 1-line block ×3, first 2 shown]
	v_cndmask_b32_e64 v7, 0, 0x7fefffff, s7
	v_cndmask_b32_e64 v6, 0, -1, s7
	s_or_b32 s7, s26, s7
	scratch_store_b64 off, v[12:13], off offset:336 ; 8-byte Folded Spill
	s_xor_b32 s30, s7, -1
	s_delay_alu instid0(SALU_CYCLE_1)
	s_and_saveexec_b32 s7, s30
	s_cbranch_execz .LBB126_40
; %bb.39:                               ;   in Loop: Header=BB126_30 Depth=1
	v_add_co_u32 v0, vcc_lo, v0, v4
	v_add_co_ci_u32_e32 v1, vcc_lo, v1, v5, vcc_lo
	flat_load_b64 v[0:1], v[0:1] offset:1536
	s_waitcnt vmcnt(0) lgkmcnt(0)
	v_mul_f64 v[6:7], s[20:21], v[0:1]
.LBB126_40:                             ;   in Loop: Header=BB126_30 Depth=1
	s_or_b32 exec_lo, exec_lo, s7
	v_dual_mov_b32 v51, v134 :: v_dual_mov_b32 v64, v44
	v_mov_b32_e32 v68, v70
	v_mov_b32_e32 v70, v195
	v_dual_mov_b32 v195, v99 :: v_dual_mov_b32 v54, v206
	v_mov_b32_e32 v44, v102
	s_mov_b32 s30, 0
	s_mov_b32 s7, -1
	s_clause 0x1
	scratch_store_b64 off, v[6:7], off offset:352
	scratch_store_b64 off, v[2:3], off offset:344
.LBB126_41:                             ;   Parent Loop BB126_30 Depth=1
                                        ; =>  This Inner Loop Header: Depth=2
	s_lshl_b32 s30, s30, 3
	v_dual_mov_b32 v205, v43 :: v_dual_mov_b32 v52, v120
	v_lshl_add_u32 v20, v22, 5, s30
	v_lshl_add_u32 v4, v221, 5, s30
	v_dual_mov_b32 v199, v41 :: v_dual_mov_b32 v78, v235
	ds_load_b128 v[46:49], v20 offset:8192
	ds_load_b128 v[0:3], v4 offset:18432
	ds_load_b128 v[154:157], v4 offset:18688
	ds_load_b128 v[158:161], v20 offset:9216
	v_mov_b32_e32 v235, v63
	s_mov_b32 s30, 2
	s_and_not1_b32 vcc_lo, exec_lo, s7
	s_mov_b32 s7, 0
	s_waitcnt lgkmcnt(2)
	v_add_f64 v[144:145], v[0:1], v[46:47]
	s_waitcnt lgkmcnt(1)
	v_add_f64 v[5:6], v[156:157], v[48:49]
	v_add_f64 v[18:19], v[2:3], v[48:49]
	s_delay_alu instid0(VALU_DEP_3)
	v_cvt_f32_f64_e32 v120, v[144:145]
	v_mov_b32_e32 v144, v121
	scratch_store_b64 off, v[5:6], off offset:16 ; 8-byte Folded Spill
	v_add_f64 v[5:6], v[154:155], v[46:47]
	v_cvt_f32_f64_e32 v121, v[18:19]
	scratch_store_b64 off, v[5:6], off offset:72 ; 8-byte Folded Spill
	ds_load_b128 v[162:165], v4 offset:18944
	ds_load_b128 v[166:169], v4 offset:19200
	v_min3_f32 v143, v120, v121, v143
	s_waitcnt lgkmcnt(1)
	v_add_f64 v[5:6], v[164:165], v[48:49]
	s_waitcnt lgkmcnt(0)
	v_add_f64 v[42:43], v[166:167], v[158:159]
	scratch_store_b64 off, v[5:6], off offset:48 ; 8-byte Folded Spill
	v_add_f64 v[5:6], v[162:163], v[46:47]
	v_cvt_f32_f64_e32 v42, v[42:43]
	scratch_store_b64 off, v[5:6], off offset:104 ; 8-byte Folded Spill
	v_add_f64 v[5:6], v[168:169], v[48:49]
	scratch_store_b64 off, v[5:6], off offset:24 ; 8-byte Folded Spill
	v_add_f64 v[5:6], v[166:167], v[46:47]
	scratch_store_b64 off, v[5:6], off offset:80 ; 8-byte Folded Spill
	ds_load_b128 v[170:173], v4 offset:19456
	ds_load_b128 v[174:177], v4 offset:19712
	s_waitcnt lgkmcnt(1)
	v_add_f64 v[5:6], v[172:173], v[48:49]
	scratch_store_b64 off, v[5:6], off offset:56 ; 8-byte Folded Spill
	v_add_f64 v[5:6], v[170:171], v[46:47]
	scratch_store_b64 off, v[5:6], off offset:112 ; 8-byte Folded Spill
	s_waitcnt lgkmcnt(0)
	v_add_f64 v[5:6], v[176:177], v[48:49]
	scratch_store_b64 off, v[5:6], off offset:32 ; 8-byte Folded Spill
	v_add_f64 v[5:6], v[174:175], v[46:47]
	scratch_store_b64 off, v[5:6], off offset:88 ; 8-byte Folded Spill
	ds_load_b128 v[178:181], v4 offset:19968
	ds_load_b128 v[182:185], v4 offset:20224
	s_waitcnt lgkmcnt(1)
	v_add_f64 v[4:5], v[180:181], v[48:49]
	s_waitcnt lgkmcnt(0)
	v_add_f64 v[40:41], v[182:183], v[158:159]
	scratch_store_b64 off, v[4:5], off offset:64 ; 8-byte Folded Spill
	v_add_f64 v[4:5], v[178:179], v[46:47]
	v_cvt_f32_f64_e32 v40, v[40:41]
	scratch_store_b64 off, v[4:5], off offset:120 ; 8-byte Folded Spill
	v_add_f64 v[4:5], v[184:185], v[48:49]
	scratch_store_b64 off, v[4:5], off offset:40 ; 8-byte Folded Spill
	v_add_f64 v[4:5], v[182:183], v[46:47]
	v_add_f64 v[46:47], v[162:163], v[158:159]
	scratch_store_b64 off, v[4:5], off offset:96 ; 8-byte Folded Spill
	v_add_f64 v[4:5], v[2:3], v[160:161]
	v_cvt_f32_f64_e32 v46, v[46:47]
	scratch_store_b64 off, v[4:5], off offset:128 ; 8-byte Folded Spill
	v_add_f64 v[4:5], v[0:1], v[158:159]
	scratch_store_b64 off, v[4:5], off offset:136 ; 8-byte Folded Spill
	v_add_f64 v[4:5], v[156:157], v[160:161]
	;; [unrolled: 2-line block ×12, first 2 shown]
	scratch_store_b64 off, v[4:5], off offset:224 ; 8-byte Folded Spill
	ds_load_b128 v[158:161], v20 offset:10240
	ds_load_b128 v[186:189], v20 offset:11264
	s_waitcnt lgkmcnt(1)
	v_add_f64 v[4:5], v[164:165], v[160:161]
	v_add_f64 v[146:147], v[2:3], v[160:161]
	;; [unrolled: 1-line block ×8, first 2 shown]
	s_waitcnt lgkmcnt(0)
	v_add_f64 v[222:223], v[2:3], v[188:189]
	v_add_f64 v[224:225], v[0:1], v[186:187]
	;; [unrolled: 1-line block ×16, first 2 shown]
	scratch_store_b64 off, v[4:5], off offset:296 ; 8-byte Folded Spill
	v_add_f64 v[4:5], v[168:169], v[160:161]
	scratch_store_b64 off, v[4:5], off offset:280 ; 8-byte Folded Spill
	v_add_f64 v[4:5], v[172:173], v[160:161]
	;; [unrolled: 2-line block ×8, first 2 shown]
	scratch_store_b64 off, v[4:5], off offset:256 ; 8-byte Folded Spill
	ds_load_b128 v[158:161], v20 offset:12288
	ds_load_b128 v[186:189], v20 offset:13312
	s_waitcnt lgkmcnt(1)
	v_add_f64 v[254:255], v[2:3], v[160:161]
	v_add_f64 v[152:153], v[0:1], v[158:159]
	;; [unrolled: 1-line block ×16, first 2 shown]
	s_waitcnt lgkmcnt(0)
	v_add_f64 v[86:87], v[2:3], v[188:189]
	v_add_f64 v[88:89], v[0:1], v[186:187]
	;; [unrolled: 1-line block ×16, first 2 shown]
	ds_load_b128 v[158:161], v20 offset:14336
	ds_load_b128 v[186:189], v20 offset:15360
	scratch_load_b64 v[18:19], off, off offset:72 ; 8-byte Folded Reload
	v_cvt_f32_f64_e32 v4, v[4:5]
	v_cvt_f32_f64_e32 v6, v[6:7]
	;; [unrolled: 1-line block ×3, first 2 shown]
	s_waitcnt lgkmcnt(1)
	v_add_f64 v[20:21], v[2:3], v[160:161]
	v_add_f64 v[104:105], v[0:1], v[158:159]
	;; [unrolled: 1-line block ×9, first 2 shown]
	s_waitcnt lgkmcnt(0)
	v_add_f64 v[2:3], v[2:3], v[188:189]
	v_add_f64 v[0:1], v[0:1], v[186:187]
	;; [unrolled: 1-line block ×21, first 2 shown]
	v_min3_f32 v51, v6, v4, v51
	v_cvt_f32_f64_e32 v4, v[10:11]
	v_add_f64 v[184:185], v[184:185], v[188:189]
	v_add_f64 v[182:183], v[182:183], v[186:187]
	v_cvt_f32_f64_e32 v0, v[0:1]
	v_cvt_f32_f64_e32 v1, v[2:3]
	v_min3_f32 v130, v4, v5, v130
	v_cvt_f32_f64_e32 v4, v[14:15]
	v_cvt_f32_f64_e32 v5, v[12:13]
	s_delay_alu instid0(VALU_DEP_4) | instskip(SKIP_2) | instid1(VALU_DEP_4)
	v_min3_f32 v133, v0, v1, v133
	v_cvt_f32_f64_e32 v0, v[154:155]
	v_cvt_f32_f64_e32 v1, v[156:157]
	v_min3_f32 v116, v4, v5, v116
	v_cvt_f32_f64_e32 v4, v[138:139]
	v_cvt_f32_f64_e32 v5, v[16:17]
	s_delay_alu instid0(VALU_DEP_4) | instskip(SKIP_2) | instid1(VALU_DEP_4)
	v_min3_f32 v128, v0, v1, v128
	;; [unrolled: 7-line block ×3, first 2 shown]
	v_cvt_f32_f64_e32 v0, v[166:167]
	v_cvt_f32_f64_e32 v1, v[168:169]
	v_min3_f32 v119, v4, v5, v119
	v_cvt_f32_f64_e32 v4, v[84:85]
	v_cvt_f32_f64_e32 v5, v[134:135]
	s_delay_alu instid0(VALU_DEP_4) | instskip(SKIP_2) | instid1(VALU_DEP_1)
	v_min3_f32 v126, v0, v1, v126
	v_cvt_f32_f64_e32 v0, v[170:171]
	v_cvt_f32_f64_e32 v1, v[172:173]
	v_min3_f32 v125, v0, v1, v125
	v_cvt_f32_f64_e32 v0, v[174:175]
	v_cvt_f32_f64_e32 v1, v[176:177]
	s_delay_alu instid0(VALU_DEP_1)
	v_min3_f32 v124, v0, v1, v124
	v_cvt_f32_f64_e32 v0, v[178:179]
	v_cvt_f32_f64_e32 v1, v[180:181]
	s_waitcnt vmcnt(0)
	v_cvt_f32_f64_e32 v120, v[18:19]
	scratch_load_b64 v[18:19], off, off offset:16 ; 8-byte Folded Reload
	v_min3_f32 v123, v0, v1, v123
	v_cvt_f32_f64_e32 v0, v[182:183]
	v_cvt_f32_f64_e32 v1, v[184:185]
	s_delay_alu instid0(VALU_DEP_1)
	v_min3_f32 v122, v0, v1, v122
	s_waitcnt vmcnt(0)
	v_cvt_f32_f64_e32 v121, v[18:19]
	scratch_load_b64 v[18:19], off, off offset:104 ; 8-byte Folded Reload
	v_min3_f32 v142, v120, v121, v142
	s_waitcnt vmcnt(0)
	v_cvt_f32_f64_e32 v120, v[18:19]
	scratch_load_b64 v[18:19], off, off offset:48 ; 8-byte Folded Reload
	s_waitcnt vmcnt(0)
	v_cvt_f32_f64_e32 v121, v[18:19]
	scratch_load_b64 v[18:19], off, off offset:80 ; 8-byte Folded Reload
	v_min3_f32 v141, v120, v121, v141
	s_waitcnt vmcnt(0)
	v_cvt_f32_f64_e32 v120, v[18:19]
	scratch_load_b64 v[18:19], off, off offset:24 ; 8-byte Folded Reload
	;; [unrolled: 7-line block ×7, first 2 shown]
	s_waitcnt vmcnt(0)
	v_cvt_f32_f64_e32 v121, v[18:19]
	scratch_load_b64 v[18:19], off, off offset:152 ; 8-byte Folded Reload
	v_min3_f32 v234, v120, v121, v234
	v_mov_b32_e32 v121, v144
	v_mov_b32_e32 v120, v52
	s_delay_alu instid0(VALU_DEP_2) | instskip(SKIP_2) | instid1(VALU_DEP_1)
	v_min3_f32 v121, v4, v5, v121
	v_cvt_f32_f64_e32 v4, v[88:89]
	v_cvt_f32_f64_e32 v5, v[86:87]
	v_min3_f32 v120, v4, v5, v120
	v_cvt_f32_f64_e32 v4, v[92:93]
	v_cvt_f32_f64_e32 v5, v[90:91]
	s_delay_alu instid0(VALU_DEP_1) | instskip(SKIP_2) | instid1(VALU_DEP_1)
	v_min3_f32 v35, v4, v5, v35
	v_cvt_f32_f64_e32 v4, v[94:95]
	v_cvt_f32_f64_e32 v5, v[24:25]
	v_min3_f32 v118, v4, v5, v118
	v_cvt_f32_f64_e32 v4, v[96:97]
	v_cvt_f32_f64_e32 v5, v[22:23]
	scratch_load_b32 v22, off, off offset:4 ; 4-byte Folded Reload
	v_min3_f32 v193, v4, v5, v193
	v_cvt_f32_f64_e32 v4, v[56:57]
	v_cvt_f32_f64_e32 v5, v[98:99]
	s_delay_alu instid0(VALU_DEP_1) | instskip(SKIP_2) | instid1(VALU_DEP_1)
	v_min3_f32 v192, v4, v5, v192
	v_cvt_f32_f64_e32 v4, v[60:61]
	v_cvt_f32_f64_e32 v5, v[58:59]
	v_min3_f32 v55, v4, v5, v55
	v_cvt_f32_f64_e32 v4, v[100:101]
	v_cvt_f32_f64_e32 v5, v[62:63]
	v_mov_b32_e32 v63, v235
	v_mov_b32_e32 v235, v78
	s_waitcnt vmcnt(1)
	v_cvt_f32_f64_e32 v52, v[18:19]
	scratch_load_b64 v[18:19], off, off offset:144 ; 8-byte Folded Reload
	v_min3_f32 v39, v4, v5, v39
	v_cvt_f32_f64_e32 v4, v[102:103]
	v_cvt_f32_f64_e32 v5, v[76:77]
	s_delay_alu instid0(VALU_DEP_1) | instskip(SKIP_2) | instid1(VALU_DEP_1)
	v_min3_f32 v137, v4, v5, v137
	v_cvt_f32_f64_e32 v4, v[104:105]
	v_cvt_f32_f64_e32 v5, v[20:21]
	v_min3_f32 v115, v4, v5, v115
	v_cvt_f32_f64_e32 v4, v[108:109]
	v_cvt_f32_f64_e32 v5, v[106:107]
	s_delay_alu instid0(VALU_DEP_1) | instskip(SKIP_2) | instid1(VALU_DEP_1)
	v_min3_f32 v63, v4, v5, v63
	v_cvt_f32_f64_e32 v4, v[112:113]
	v_cvt_f32_f64_e32 v5, v[110:111]
	v_min3_f32 v235, v4, v5, v235
	v_cvt_f32_f64_e32 v4, v[214:215]
	v_cvt_f32_f64_e32 v5, v[218:219]
	s_delay_alu instid0(VALU_DEP_1)
	v_min3_f32 v37, v4, v5, v37
	v_cvt_f32_f64_e32 v4, v[220:221]
	s_clause 0x1
	scratch_load_b32 v221, off, off offset:8
	scratch_load_b32 v6, off, off
	v_cvt_f32_f64_e32 v5, v[210:211]
	s_delay_alu instid0(VALU_DEP_1)
	v_min3_f32 v200, v4, v5, v200
	v_cvt_f32_f64_e32 v4, v[216:217]
	v_cvt_f32_f64_e32 v5, v[206:207]
	s_waitcnt vmcnt(2)
	v_cvt_f32_f64_e32 v50, v[18:19]
	scratch_load_b64 v[18:19], off, off offset:160 ; 8-byte Folded Reload
	v_min3_f32 v230, v52, v50, v230
	s_waitcnt vmcnt(1)
	v_min3_f32 v6, v4, v5, v6
	v_cvt_f32_f64_e32 v4, v[212:213]
	v_cvt_f32_f64_e32 v5, v[202:203]
	scratch_store_b32 off, v6, off          ; 4-byte Folded Spill
	v_min3_f32 v131, v4, v5, v131
	v_cvt_f32_f64_e32 v4, v[158:159]
	v_cvt_f32_f64_e32 v5, v[160:161]
	s_delay_alu instid0(VALU_DEP_1)
	v_min3_f32 v198, v4, v5, v198
	s_waitcnt vmcnt(0)
	v_cvt_f32_f64_e32 v47, v[18:19]
	scratch_load_b64 v[18:19], off, off offset:168 ; 8-byte Folded Reload
	v_min3_f32 v195, v46, v47, v195
	s_waitcnt vmcnt(0)
	v_cvt_f32_f64_e32 v43, v[18:19]
	scratch_load_b64 v[18:19], off, off offset:184 ; 8-byte Folded Reload
	;; [unrolled: 4-line block ×3, first 2 shown]
	s_waitcnt vmcnt(0)
	v_cvt_f32_f64_e32 v43, v[18:19]
	scratch_load_b64 v[18:19], off, off offset:200 ; 8-byte Folded Reload
	v_min3_f32 v231, v42, v43, v231
	s_waitcnt vmcnt(0)
	v_cvt_f32_f64_e32 v42, v[18:19]
	scratch_load_b64 v[18:19], off, off offset:192 ; 8-byte Folded Reload
	s_waitcnt vmcnt(0)
	v_cvt_f32_f64_e32 v43, v[18:19]
	scratch_load_b64 v[18:19], off, off offset:216 ; 8-byte Folded Reload
	v_min3_f32 v34, v42, v43, v34
	s_waitcnt vmcnt(0)
	v_cvt_f32_f64_e32 v42, v[18:19]
	scratch_load_b64 v[18:19], off, off offset:208 ; 8-byte Folded Reload
	s_waitcnt vmcnt(0)
	v_cvt_f32_f64_e32 v43, v[18:19]
	scratch_load_b64 v[18:19], off, off offset:224 ; 8-byte Folded Reload
	v_min3_f32 v36, v42, v43, v36
	v_mov_b32_e32 v43, v205
	s_waitcnt vmcnt(0)
	v_cvt_f32_f64_e32 v41, v[18:19]
	scratch_load_b64 v[18:19], off, off offset:296 ; 8-byte Folded Reload
	v_min3_f32 v44, v40, v41, v44
	v_cvt_f32_f64_e32 v40, v[28:29]
	v_cvt_f32_f64_e32 v28, v[48:49]
	;; [unrolled: 1-line block ×3, first 2 shown]
	s_delay_alu instid0(VALU_DEP_1) | instskip(SKIP_2) | instid1(VALU_DEP_1)
	v_min3_f32 v79, v40, v41, v79
	v_cvt_f32_f64_e32 v40, v[32:33]
	v_cvt_f32_f64_e32 v41, v[190:191]
	v_min3_f32 v41, v40, v41, v199
	s_waitcnt vmcnt(0)
	v_cvt_f32_f64_e32 v29, v[18:19]
	scratch_load_b64 v[18:19], off, off offset:280 ; 8-byte Folded Reload
	v_min3_f32 v38, v28, v29, v38
	v_cvt_f32_f64_e32 v28, v[66:67]
	s_waitcnt vmcnt(0)
	v_cvt_f32_f64_e32 v18, v[18:19]
	s_delay_alu instid0(VALU_DEP_1)
	v_min3_f32 v54, v28, v18, v54
	scratch_load_b64 v[28:29], off, off offset:264 ; 8-byte Folded Reload
	v_cvt_f32_f64_e32 v18, v[208:209]
	s_waitcnt vmcnt(0)
	v_cvt_f32_f64_e32 v19, v[28:29]
	scratch_load_b64 v[28:29], off, off offset:248 ; 8-byte Folded Reload
	v_min3_f32 v53, v18, v19, v53
	scratch_load_b64 v[18:19], off, off offset:288 ; 8-byte Folded Reload
	s_waitcnt vmcnt(0)
	v_cvt_f32_f64_e32 v18, v[18:19]
	v_cvt_f32_f64_e32 v19, v[28:29]
	scratch_load_b64 v[28:29], off, off offset:240 ; 8-byte Folded Reload
	v_min3_f32 v74, v18, v19, v74
	scratch_load_b64 v[18:19], off, off offset:272 ; 8-byte Folded Reload
	s_waitcnt vmcnt(0)
	v_cvt_f32_f64_e32 v18, v[18:19]
	;; [unrolled: 6-line block ×3, first 2 shown]
	v_cvt_f32_f64_e32 v19, v[28:29]
	s_delay_alu instid0(VALU_DEP_1) | instskip(SKIP_2) | instid1(VALU_DEP_1)
	v_min3_f32 v72, v18, v19, v72
	v_cvt_f32_f64_e32 v18, v[224:225]
	v_cvt_f32_f64_e32 v19, v[222:223]
	v_min3_f32 v73, v18, v19, v73
	v_cvt_f32_f64_e32 v18, v[228:229]
	v_cvt_f32_f64_e32 v19, v[226:227]
	s_delay_alu instid0(VALU_DEP_1) | instskip(SKIP_2) | instid1(VALU_DEP_1)
	v_min3_f32 v70, v18, v19, v70
	v_cvt_f32_f64_e32 v18, v[232:233]
	v_cvt_f32_f64_e32 v19, v[30:31]
	v_min3_f32 v71, v18, v19, v71
	v_cvt_f32_f64_e32 v18, v[236:237]
	;; [unrolled: 7-line block ×5, first 2 shown]
	v_cvt_f32_f64_e32 v19, v[150:151]
	s_delay_alu instid0(VALU_DEP_1)
	v_min3_f32 v204, v18, v19, v204
	s_cbranch_vccz .LBB126_41
; %bb.42:                               ;   in Loop: Header=BB126_30 Depth=1
	scratch_load_b64 v[1:2], off, off offset:304 ; 8-byte Folded Reload
	v_dual_mov_b32 v99, v195 :: v_dual_mov_b32 v102, v44
	v_mov_b32_e32 v106, v54
	v_mov_b32_e32 v60, v74
	;; [unrolled: 1-line block ×6, first 2 shown]
	s_waitcnt vmcnt(0)
	v_or_b32_e32 v0, 4, v1
	s_delay_alu instid0(VALU_DEP_1) | instskip(SKIP_4) | instid1(SALU_CYCLE_1)
	v_cmp_le_i32_e32 vcc_lo, s18, v0
	s_clause 0x1
	scratch_load_b32 v0, off, off offset:368
	scratch_load_b64 v[3:4], off, off offset:320
	s_or_b32 s7, vcc_lo, s2
	v_cndmask_b32_e64 v7, 0, 0x7fefffff, s7
	s_waitcnt vmcnt(0)
	ds_store_b64 v0, v[3:4]
	s_clause 0x2
	scratch_load_b32 v0, off, off offset:364
	scratch_load_b64 v[3:4], off, off offset:328
	scratch_load_b64 v[5:6], off, off offset:336
	s_waitcnt vmcnt(0)
	ds_store_2addr_stride64_b64 v0, v[3:4], v[5:6] offset1:4
	s_clause 0x1
	scratch_load_b64 v[3:4], off, off offset:344
	scratch_load_b64 v[5:6], off, off offset:352
	s_waitcnt vmcnt(0)
	ds_store_2addr_stride64_b64 v0, v[3:4], v[5:6] offset0:8 offset1:12
	v_cndmask_b32_e64 v6, 0, -1, s7
	s_or_b32 s7, s26, s7
	s_waitcnt lgkmcnt(0)
	s_waitcnt_vscnt null, 0x0
	s_xor_b32 s30, s7, -1
	s_barrier
	buffer_gl0_inv
	s_and_saveexec_b32 s7, s30
	s_cbranch_execz .LBB126_44
; %bb.43:                               ;   in Loop: Header=BB126_30 Depth=1
	v_lshlrev_b64 v[0:1], 3, v[1:2]
	scratch_load_b32 v2, off, off offset:392 ; 4-byte Folded Reload
	s_waitcnt vmcnt(0)
	v_add_co_u32 v0, vcc_lo, v2, v0
	scratch_load_b32 v2, off, off offset:396 ; 4-byte Folded Reload
	s_waitcnt vmcnt(0)
	v_add_co_ci_u32_e32 v1, vcc_lo, v2, v1, vcc_lo
	flat_load_b64 v[0:1], v[0:1]
	s_waitcnt vmcnt(0) lgkmcnt(0)
	v_mul_f64 v[6:7], s[20:21], v[0:1]
.LBB126_44:                             ;   in Loop: Header=BB126_30 Depth=1
	s_or_b32 exec_lo, exec_lo, s7
	v_add3_u32 v2, v117, s29, 4
	s_delay_alu instid0(VALU_DEP_1) | instskip(SKIP_1) | instid1(VALU_DEP_2)
	v_min_i32_e32 v3, s28, v2
	v_cmp_le_i32_e32 vcc_lo, s18, v2
	v_mad_i64_i32 v[0:1], null, v3, s27, 0
	s_or_b32 s30, s3, vcc_lo
	s_delay_alu instid0(SALU_CYCLE_1) | instskip(SKIP_1) | instid1(VALU_DEP_3)
	v_cndmask_b32_e64 v9, 0, 0x7fefffff, s30
	v_cndmask_b32_e64 v8, 0, -1, s30
	v_lshlrev_b64 v[0:1], 3, v[0:1]
	s_delay_alu instid0(VALU_DEP_1) | instskip(NEXT) | instid1(VALU_DEP_1)
	v_add_co_u32 v0, s7, s22, v0
	v_add_co_ci_u32_e64 v1, s7, s23, v1, s7
	s_or_b32 s7, s26, s30
	s_delay_alu instid0(SALU_CYCLE_1)
	s_xor_b32 s7, s7, -1
	s_mov_b32 s30, exec_lo
	scratch_load_b64 v[4:5], off, off offset:312 ; 8-byte Folded Reload
	v_dual_mov_b32 v113, v193 :: v_dual_mov_b32 v46, v119
	v_mov_b32_e32 v109, v130
	v_dual_mov_b32 v61, v53 :: v_dual_mov_b32 v78, v194
	v_mov_b32_e32 v107, v38
	v_mov_b32_e32 v103, v36
	s_and_b32 s7, s30, s7
	s_delay_alu instid0(SALU_CYCLE_1)
	s_mov_b32 exec_lo, s7
	s_cbranch_execz .LBB126_46
; %bb.45:                               ;   in Loop: Header=BB126_30 Depth=1
	s_waitcnt vmcnt(0)
	v_add_co_u32 v2, s7, v0, v4
	s_delay_alu instid0(VALU_DEP_1)
	v_add_co_ci_u32_e64 v3, s7, v1, v5, s7
	flat_load_b64 v[2:3], v[2:3]
	s_waitcnt vmcnt(0) lgkmcnt(0)
	v_mul_f64 v[8:9], s[20:21], v[2:3]
.LBB126_46:                             ;   in Loop: Header=BB126_30 Depth=1
	s_or_b32 exec_lo, exec_lo, s30
	s_or_b32 s7, s4, vcc_lo
	s_delay_alu instid0(SALU_CYCLE_1) | instskip(SKIP_2) | instid1(SALU_CYCLE_1)
	v_cndmask_b32_e64 v11, 0, 0x7fefffff, s7
	v_cndmask_b32_e64 v10, 0, -1, s7
	s_or_b32 s7, s26, s7
	s_xor_b32 s7, s7, -1
	s_delay_alu instid0(SALU_CYCLE_1)
	s_and_saveexec_b32 s30, s7
	s_cbranch_execz .LBB126_48
; %bb.47:                               ;   in Loop: Header=BB126_30 Depth=1
	s_waitcnt vmcnt(0)
	v_add_co_u32 v2, s7, v0, v4
	s_delay_alu instid0(VALU_DEP_1)
	v_add_co_ci_u32_e64 v3, s7, v1, v5, s7
	flat_load_b64 v[2:3], v[2:3] offset:512
	s_waitcnt vmcnt(0) lgkmcnt(0)
	v_mul_f64 v[10:11], s[20:21], v[2:3]
.LBB126_48:                             ;   in Loop: Header=BB126_30 Depth=1
	s_or_b32 exec_lo, exec_lo, s30
	s_or_b32 s7, s5, vcc_lo
	s_clause 0x1
	scratch_store_b64 off, v[8:9], off offset:296
	scratch_store_b64 off, v[6:7], off offset:288
	v_cndmask_b32_e64 v3, 0, 0x7fefffff, s7
	v_cndmask_b32_e64 v2, 0, -1, s7
	s_or_b32 s7, s26, s7
	s_delay_alu instid0(SALU_CYCLE_1) | instskip(NEXT) | instid1(SALU_CYCLE_1)
	s_xor_b32 s7, s7, -1
	s_and_saveexec_b32 s30, s7
	s_cbranch_execz .LBB126_50
; %bb.49:                               ;   in Loop: Header=BB126_30 Depth=1
	s_waitcnt vmcnt(0)
	v_add_co_u32 v2, s7, v0, v4
	s_delay_alu instid0(VALU_DEP_1)
	v_add_co_ci_u32_e64 v3, s7, v1, v5, s7
	flat_load_b64 v[2:3], v[2:3] offset:1024
	s_waitcnt vmcnt(0) lgkmcnt(0)
	v_mul_f64 v[2:3], s[20:21], v[2:3]
.LBB126_50:                             ;   in Loop: Header=BB126_30 Depth=1
	s_or_b32 exec_lo, exec_lo, s30
	s_or_b32 s7, s6, vcc_lo
	v_mov_b32_e32 v108, v231
	v_dual_mov_b32 v56, v121 :: v_dual_mov_b32 v119, v35
	v_mov_b32_e32 v50, v39
	v_mov_b32_e32 v62, v37
	v_cndmask_b32_e64 v7, 0, 0x7fefffff, s7
	v_cndmask_b32_e64 v6, 0, -1, s7
	s_or_b32 s7, s26, s7
	scratch_store_b64 off, v[10:11], off offset:320 ; 8-byte Folded Spill
	s_xor_b32 s30, s7, -1
	s_delay_alu instid0(SALU_CYCLE_1)
	s_and_saveexec_b32 s7, s30
	s_cbranch_execz .LBB126_52
; %bb.51:                               ;   in Loop: Header=BB126_30 Depth=1
	s_waitcnt vmcnt(0)
	v_add_co_u32 v0, vcc_lo, v0, v4
	v_add_co_ci_u32_e32 v1, vcc_lo, v1, v5, vcc_lo
	flat_load_b64 v[0:1], v[0:1] offset:1536
	s_waitcnt vmcnt(0) lgkmcnt(0)
	v_mul_f64 v[6:7], s[20:21], v[0:1]
.LBB126_52:                             ;   in Loop: Header=BB126_30 Depth=1
	s_or_b32 exec_lo, exec_lo, s7
	v_dual_mov_b32 v52, v118 :: v_dual_mov_b32 v53, v119
	v_dual_mov_b32 v54, v120 :: v_dual_mov_b32 v57, v129
	;; [unrolled: 1-line block ×5, first 2 shown]
	v_mov_b32_e32 v98, v34
	s_mov_b32 s30, 0
	s_mov_b32 s7, -1
	s_clause 0x1
	scratch_store_b64 off, v[6:7], off offset:336
	scratch_store_b64 off, v[2:3], off offset:328
.LBB126_53:                             ;   Parent Loop BB126_30 Depth=1
                                        ; =>  This Inner Loop Header: Depth=2
	s_lshl_b32 s30, s30, 3
	v_mov_b32_e32 v231, v46
	v_lshl_add_u32 v26, v22, 5, s30
	s_waitcnt vmcnt(0)
	v_lshl_add_u32 v4, v221, 5, s30
	v_mov_b32_e32 v79, v41
	v_mov_b32_e32 v193, v113
	s_mov_b32 s30, 2
	ds_load_b128 v[46:49], v26
	ds_load_b128 v[0:3], v4 offset:16384
	ds_load_b128 v[154:157], v4 offset:16640
	;; [unrolled: 1-line block ×3, first 2 shown]
	s_and_not1_b32 vcc_lo, exec_lo, s7
	s_mov_b32 s7, 0
	s_waitcnt lgkmcnt(2)
	v_add_f64 v[20:21], v[2:3], v[48:49]
	s_waitcnt lgkmcnt(1)
	v_add_f64 v[5:6], v[156:157], v[48:49]
	v_add_f64 v[76:77], v[0:1], v[46:47]
	s_delay_alu instid0(VALU_DEP_3)
	v_cvt_f32_f64_e32 v20, v[20:21]
	scratch_store_b64 off, v[5:6], off offset:16 ; 8-byte Folded Spill
	v_add_f64 v[5:6], v[154:155], v[46:47]
	v_cvt_f32_f64_e32 v76, v[76:77]
	scratch_store_b64 off, v[5:6], off offset:72 ; 8-byte Folded Spill
	ds_load_b128 v[162:165], v4 offset:16896
	ds_load_b128 v[166:169], v4 offset:17152
	v_min3_f32 v143, v76, v20, v143
	s_waitcnt lgkmcnt(1)
	v_add_f64 v[5:6], v[164:165], v[48:49]
	scratch_store_b64 off, v[5:6], off offset:48 ; 8-byte Folded Spill
	v_add_f64 v[5:6], v[162:163], v[46:47]
	scratch_store_b64 off, v[5:6], off offset:104 ; 8-byte Folded Spill
	s_waitcnt lgkmcnt(0)
	v_add_f64 v[5:6], v[168:169], v[48:49]
	scratch_store_b64 off, v[5:6], off offset:24 ; 8-byte Folded Spill
	v_add_f64 v[5:6], v[166:167], v[46:47]
	scratch_store_b64 off, v[5:6], off offset:80 ; 8-byte Folded Spill
	ds_load_b128 v[170:173], v4 offset:17408
	ds_load_b128 v[174:177], v4 offset:17664
	s_waitcnt lgkmcnt(1)
	v_add_f64 v[5:6], v[172:173], v[48:49]
	scratch_store_b64 off, v[5:6], off offset:56 ; 8-byte Folded Spill
	v_add_f64 v[5:6], v[170:171], v[46:47]
	scratch_store_b64 off, v[5:6], off offset:112 ; 8-byte Folded Spill
	s_waitcnt lgkmcnt(0)
	v_add_f64 v[5:6], v[176:177], v[48:49]
	scratch_store_b64 off, v[5:6], off offset:32 ; 8-byte Folded Spill
	v_add_f64 v[5:6], v[174:175], v[46:47]
	scratch_store_b64 off, v[5:6], off offset:88 ; 8-byte Folded Spill
	ds_load_b128 v[178:181], v4 offset:17920
	ds_load_b128 v[182:185], v4 offset:18176
	s_waitcnt lgkmcnt(1)
	v_add_f64 v[4:5], v[180:181], v[48:49]
	scratch_store_b64 off, v[4:5], off offset:64 ; 8-byte Folded Spill
	v_add_f64 v[4:5], v[178:179], v[46:47]
	scratch_store_b64 off, v[4:5], off offset:120 ; 8-byte Folded Spill
	s_waitcnt lgkmcnt(0)
	v_add_f64 v[4:5], v[184:185], v[48:49]
	scratch_store_b64 off, v[4:5], off offset:40 ; 8-byte Folded Spill
	v_add_f64 v[4:5], v[182:183], v[46:47]
	scratch_store_b64 off, v[4:5], off offset:96 ; 8-byte Folded Spill
	;; [unrolled: 2-line block ×18, first 2 shown]
	ds_load_b128 v[158:161], v26 offset:2048
	ds_load_b128 v[186:189], v26 offset:3072
	s_waitcnt lgkmcnt(1)
	v_add_f64 v[4:5], v[176:177], v[160:161]
	v_add_f64 v[48:49], v[2:3], v[160:161]
	;; [unrolled: 1-line block ×13, first 2 shown]
	s_waitcnt lgkmcnt(0)
	v_add_f64 v[110:111], v[2:3], v[188:189]
	v_add_f64 v[112:113], v[0:1], v[186:187]
	;; [unrolled: 1-line block ×16, first 2 shown]
	scratch_store_b64 off, v[4:5], off offset:272 ; 8-byte Folded Spill
	v_add_f64 v[4:5], v[180:181], v[160:161]
	v_cvt_f32_f64_e32 v18, v[18:19]
	v_cvt_f32_f64_e32 v19, v[32:33]
	v_cvt_f32_f64_e32 v6, v[6:7]
	v_cvt_f32_f64_e32 v7, v[202:203]
	scratch_store_b64 off, v[4:5], off offset:264 ; 8-byte Folded Spill
	v_add_f64 v[4:5], v[184:185], v[160:161]
	v_min3_f32 v45, v18, v19, v45
	v_min3_f32 v44, v6, v7, v44
	scratch_store_b64 off, v[4:5], off offset:256 ; 8-byte Folded Spill
	v_add_f64 v[4:5], v[182:183], v[158:159]
	scratch_store_b64 off, v[4:5], off offset:280 ; 8-byte Folded Spill
	ds_load_b128 v[158:161], v26 offset:4096
	ds_load_b128 v[186:189], v26 offset:5120
	s_waitcnt lgkmcnt(1)
	v_add_f64 v[206:207], v[2:3], v[160:161]
	v_add_f64 v[208:209], v[0:1], v[158:159]
	;; [unrolled: 1-line block ×16, first 2 shown]
	s_waitcnt lgkmcnt(0)
	v_add_f64 v[238:239], v[2:3], v[188:189]
	v_add_f64 v[240:241], v[0:1], v[186:187]
	;; [unrolled: 1-line block ×16, first 2 shown]
	ds_load_b128 v[158:161], v26 offset:6144
	ds_load_b128 v[186:189], v26 offset:7168
	s_clause 0x1
	scratch_load_b64 v[20:21], off, off offset:72
	scratch_load_b64 v[76:77], off, off offset:16
	v_cvt_f32_f64_e32 v7, v[206:207]
	v_cvt_f32_f64_e32 v6, v[208:209]
	s_waitcnt lgkmcnt(1)
	v_add_f64 v[116:117], v[2:3], v[160:161]
	v_add_f64 v[118:119], v[0:1], v[158:159]
	s_waitcnt lgkmcnt(0)
	v_add_f64 v[2:3], v[2:3], v[188:189]
	v_add_f64 v[0:1], v[0:1], v[186:187]
	;; [unrolled: 1-line block ×15, first 2 shown]
	v_cvt_f32_f64_e32 v4, v[4:5]
	v_add_f64 v[64:65], v[170:171], v[158:159]
	v_add_f64 v[172:173], v[172:173], v[188:189]
	;; [unrolled: 1-line block ×8, first 2 shown]
	v_min3_f32 v43, v6, v7, v43
	v_cvt_f32_f64_e32 v6, v[212:213]
	v_cvt_f32_f64_e32 v7, v[210:211]
	v_add_f64 v[129:130], v[178:179], v[158:159]
	v_add_f64 v[180:181], v[180:181], v[188:189]
	;; [unrolled: 1-line block ×7, first 2 shown]
	v_cvt_f32_f64_e32 v5, v[116:117]
	v_cvt_f32_f64_e32 v0, v[0:1]
	;; [unrolled: 1-line block ×3, first 2 shown]
	v_min3_f32 v42, v6, v7, v42
	v_cvt_f32_f64_e32 v6, v[216:217]
	v_cvt_f32_f64_e32 v7, v[214:215]
	s_delay_alu instid0(VALU_DEP_4) | instskip(SKIP_2) | instid1(VALU_DEP_4)
	v_min3_f32 v133, v0, v1, v133
	v_cvt_f32_f64_e32 v0, v[154:155]
	v_cvt_f32_f64_e32 v1, v[156:157]
	v_min3_f32 v59, v6, v7, v59
	v_cvt_f32_f64_e32 v6, v[220:221]
	scratch_load_b32 v221, off, off offset:8 ; 4-byte Folded Reload
	v_cvt_f32_f64_e32 v7, v[218:219]
	v_min3_f32 v128, v0, v1, v128
	v_cvt_f32_f64_e32 v0, v[162:163]
	v_cvt_f32_f64_e32 v1, v[164:165]
	s_delay_alu instid0(VALU_DEP_4) | instskip(SKIP_2) | instid1(VALU_DEP_4)
	v_min3_f32 v109, v6, v7, v109
	v_cvt_f32_f64_e32 v6, v[224:225]
	v_cvt_f32_f64_e32 v7, v[222:223]
	v_min3_f32 v127, v0, v1, v127
	v_cvt_f32_f64_e32 v0, v[166:167]
	v_cvt_f32_f64_e32 v1, v[168:169]
	s_delay_alu instid0(VALU_DEP_4) | instskip(SKIP_2) | instid1(VALU_DEP_4)
	v_min3_f32 v58, v6, v7, v58
	v_cvt_f32_f64_e32 v6, v[228:229]
	v_cvt_f32_f64_e32 v7, v[226:227]
	v_min3_f32 v126, v0, v1, v126
	v_cvt_f32_f64_e32 v0, v[170:171]
	v_cvt_f32_f64_e32 v1, v[172:173]
	s_delay_alu instid0(VALU_DEP_4)
	v_min3_f32 v57, v6, v7, v57
	v_cvt_f32_f64_e32 v6, v[232:233]
	v_cvt_f32_f64_e32 v7, v[22:23]
	scratch_load_b32 v22, off, off offset:4 ; 4-byte Folded Reload
	v_min3_f32 v125, v0, v1, v125
	v_cvt_f32_f64_e32 v0, v[174:175]
	v_cvt_f32_f64_e32 v1, v[176:177]
	s_delay_alu instid0(VALU_DEP_1)
	v_min3_f32 v124, v0, v1, v124
	v_cvt_f32_f64_e32 v0, v[178:179]
	v_cvt_f32_f64_e32 v1, v[180:181]
	s_waitcnt vmcnt(3)
	v_cvt_f32_f64_e32 v20, v[20:21]
	s_waitcnt vmcnt(2)
	v_cvt_f32_f64_e32 v21, v[76:77]
	scratch_load_b64 v[76:77], off, off offset:48 ; 8-byte Folded Reload
	v_min3_f32 v123, v0, v1, v123
	v_cvt_f32_f64_e32 v0, v[182:183]
	v_cvt_f32_f64_e32 v1, v[184:185]
	v_min3_f32 v142, v20, v21, v142
	scratch_load_b64 v[20:21], off, off offset:104 ; 8-byte Folded Reload
	v_min3_f32 v122, v0, v1, v122
	s_waitcnt vmcnt(0)
	v_cvt_f32_f64_e32 v20, v[20:21]
	v_cvt_f32_f64_e32 v21, v[76:77]
	scratch_load_b64 v[76:77], off, off offset:24 ; 8-byte Folded Reload
	v_min3_f32 v141, v20, v21, v141
	scratch_load_b64 v[20:21], off, off offset:80 ; 8-byte Folded Reload
	s_waitcnt vmcnt(0)
	v_cvt_f32_f64_e32 v20, v[20:21]
	v_cvt_f32_f64_e32 v21, v[76:77]
	scratch_load_b64 v[76:77], off, off offset:56 ; 8-byte Folded Reload
	v_min3_f32 v140, v20, v21, v140
	scratch_load_b64 v[20:21], off, off offset:112 ; 8-byte Folded Reload
	;; [unrolled: 6-line block ×13, first 2 shown]
	s_waitcnt vmcnt(0)
	v_cvt_f32_f64_e32 v20, v[20:21]
	v_cvt_f32_f64_e32 v21, v[76:77]
	s_delay_alu instid0(VALU_DEP_1) | instskip(SKIP_3) | instid1(VALU_DEP_1)
	v_min3_f32 v102, v20, v21, v102
	v_cvt_f32_f64_e32 v21, v[48:49]
	scratch_load_b64 v[48:49], off, off offset:272 ; 8-byte Folded Reload
	v_cvt_f32_f64_e32 v20, v[80:81]
	v_min3_f32 v199, v20, v21, v199
	v_cvt_f32_f64_e32 v20, v[84:85]
	v_cvt_f32_f64_e32 v21, v[40:41]
	v_mov_b32_e32 v41, v79
	s_delay_alu instid0(VALU_DEP_1) | instskip(SKIP_2) | instid1(VALU_DEP_1)
	v_min3_f32 v41, v20, v21, v41
	v_cvt_f32_f64_e32 v20, v[88:89]
	v_cvt_f32_f64_e32 v21, v[86:87]
	v_min3_f32 v107, v20, v21, v107
	v_cvt_f32_f64_e32 v20, v[92:93]
	v_cvt_f32_f64_e32 v21, v[90:91]
	s_delay_alu instid0(VALU_DEP_1) | instskip(SKIP_2) | instid1(VALU_DEP_1)
	v_min3_f32 v106, v20, v21, v106
	v_cvt_f32_f64_e32 v20, v[96:97]
	v_cvt_f32_f64_e32 v21, v[94:95]
	v_min3_f32 v61, v20, v21, v61
	v_cvt_f32_f64_e32 v20, v[100:101]
	s_waitcnt vmcnt(0)
	v_cvt_f32_f64_e32 v21, v[48:49]
	scratch_load_b64 v[48:49], off, off offset:264 ; 8-byte Folded Reload
	v_min3_f32 v60, v20, v21, v60
	v_cvt_f32_f64_e32 v20, v[104:105]
	s_waitcnt vmcnt(0)
	v_cvt_f32_f64_e32 v21, v[48:49]
	scratch_load_b64 v[48:49], off, off offset:256 ; 8-byte Folded Reload
	v_min3_f32 v75, v20, v21, v75
	scratch_load_b64 v[20:21], off, off offset:280 ; 8-byte Folded Reload
	s_waitcnt vmcnt(0)
	v_cvt_f32_f64_e32 v20, v[20:21]
	v_cvt_f32_f64_e32 v21, v[48:49]
	s_delay_alu instid0(VALU_DEP_1) | instskip(SKIP_3) | instid1(VALU_DEP_2)
	v_min3_f32 v74, v20, v21, v74
	v_cvt_f32_f64_e32 v20, v[112:113]
	v_cvt_f32_f64_e32 v21, v[110:111]
	v_mov_b32_e32 v113, v193
	v_min3_f32 v73, v20, v21, v73
	v_cvt_f32_f64_e32 v21, v[46:47]
	v_mov_b32_e32 v46, v231
	v_cvt_f32_f64_e32 v20, v[144:145]
	s_delay_alu instid0(VALU_DEP_2) | instskip(SKIP_2) | instid1(VALU_DEP_4)
	v_min3_f32 v46, v6, v7, v46
	v_cvt_f32_f64_e32 v6, v[236:237]
	v_cvt_f32_f64_e32 v7, v[24:25]
	v_min3_f32 v72, v20, v21, v72
	v_cvt_f32_f64_e32 v20, v[148:149]
	v_cvt_f32_f64_e32 v21, v[146:147]
	s_delay_alu instid0(VALU_DEP_4) | instskip(SKIP_2) | instid1(VALU_DEP_4)
	v_min3_f32 v56, v6, v7, v56
	v_cvt_f32_f64_e32 v6, v[240:241]
	v_cvt_f32_f64_e32 v7, v[238:239]
	v_min3_f32 v71, v20, v21, v71
	v_cvt_f32_f64_e32 v20, v[152:153]
	v_cvt_f32_f64_e32 v21, v[150:151]
	s_delay_alu instid0(VALU_DEP_4) | instskip(SKIP_2) | instid1(VALU_DEP_4)
	;; [unrolled: 7-line block ×4, first 2 shown]
	v_min3_f32 v52, v6, v7, v52
	v_cvt_f32_f64_e32 v6, v[252:253]
	v_cvt_f32_f64_e32 v7, v[250:251]
	v_min3_f32 v68, v20, v21, v68
	s_delay_alu instid0(VALU_DEP_2) | instskip(SKIP_2) | instid1(VALU_DEP_1)
	v_min3_f32 v113, v6, v7, v113
	v_cvt_f32_f64_e32 v6, v[8:9]
	v_cvt_f32_f64_e32 v7, v[254:255]
	v_min3_f32 v192, v6, v7, v192
	v_cvt_f32_f64_e32 v6, v[12:13]
	v_cvt_f32_f64_e32 v7, v[10:11]
	s_delay_alu instid0(VALU_DEP_1) | instskip(SKIP_2) | instid1(VALU_DEP_1)
	v_min3_f32 v55, v6, v7, v55
	v_cvt_f32_f64_e32 v6, v[16:17]
	v_cvt_f32_f64_e32 v7, v[14:15]
	v_min3_f32 v50, v6, v7, v50
	v_cvt_f32_f64_e32 v6, v[138:139]
	s_delay_alu instid0(VALU_DEP_1) | instskip(SKIP_2) | instid1(VALU_DEP_1)
	v_min3_f32 v137, v6, v4, v137
	scratch_load_b32 v6, off, off           ; 4-byte Folded Reload
	v_cvt_f32_f64_e32 v4, v[118:119]
	v_min3_f32 v115, v4, v5, v115
	v_cvt_f32_f64_e32 v4, v[194:195]
	v_cvt_f32_f64_e32 v5, v[190:191]
	s_delay_alu instid0(VALU_DEP_1) | instskip(SKIP_2) | instid1(VALU_DEP_1)
	v_min3_f32 v63, v4, v5, v63
	v_cvt_f32_f64_e32 v4, v[134:135]
	v_cvt_f32_f64_e32 v5, v[196:197]
	v_min3_f32 v235, v4, v5, v235
	v_cvt_f32_f64_e32 v4, v[28:29]
	v_cvt_f32_f64_e32 v5, v[26:27]
	s_delay_alu instid0(VALU_DEP_1) | instskip(SKIP_2) | instid1(VALU_DEP_1)
	v_min3_f32 v62, v4, v5, v62
	v_cvt_f32_f64_e32 v4, v[64:65]
	v_cvt_f32_f64_e32 v5, v[82:83]
	v_min3_f32 v200, v4, v5, v200
	v_cvt_f32_f64_e32 v4, v[120:121]
	v_cvt_f32_f64_e32 v5, v[66:67]
	s_waitcnt vmcnt(0)
	s_delay_alu instid0(VALU_DEP_1)
	v_min3_f32 v6, v4, v5, v6
	v_cvt_f32_f64_e32 v4, v[129:130]
	v_cvt_f32_f64_e32 v5, v[204:205]
	scratch_store_b32 off, v6, off          ; 4-byte Folded Spill
	v_min3_f32 v131, v4, v5, v131
	v_cvt_f32_f64_e32 v4, v[158:159]
	v_cvt_f32_f64_e32 v5, v[160:161]
	s_delay_alu instid0(VALU_DEP_1)
	v_min3_f32 v198, v4, v5, v198
	s_cbranch_vccz .LBB126_53
; %bb.54:                               ;   in Loop: Header=BB126_30 Depth=1
	s_clause 0x1
	scratch_load_b32 v0, off, off offset:372
	scratch_load_b64 v[1:2], off, off offset:288
	v_dual_mov_b32 v34, v98 :: v_dual_mov_b32 v129, v57
	v_mov_b32_e32 v110, v199
	v_mov_b32_e32 v196, v68
	;; [unrolled: 1-line block ×6, first 2 shown]
	s_add_i32 s25, s25, 8
	s_add_i32 s29, s29, 8
	s_cmp_ge_i32 s25, s24
	s_waitcnt vmcnt(0)
	ds_store_b64 v0, v[1:2]
	s_clause 0x2
	scratch_load_b32 v0, off, off offset:376
	scratch_load_b64 v[1:2], off, off offset:296
	scratch_load_b64 v[3:4], off, off offset:320
	s_waitcnt vmcnt(0)
	ds_store_2addr_stride64_b64 v0, v[1:2], v[3:4] offset1:4
	s_clause 0x1
	scratch_load_b64 v[1:2], off, off offset:328
	scratch_load_b64 v[3:4], off, off offset:336
	s_waitcnt vmcnt(0)
	ds_store_2addr_stride64_b64 v0, v[1:2], v[3:4] offset0:8 offset1:12
	s_waitcnt lgkmcnt(0)
	s_waitcnt_vscnt null, 0x0
	s_barrier
	buffer_gl0_inv
	s_cbranch_scc1 .LBB126_57
; %bb.55:                               ;   in Loop: Header=BB126_30 Depth=1
	s_clause 0x2
	scratch_load_b32 v117, off, off offset:380
	scratch_load_b64 v[4:5], off, off offset:312
	scratch_load_b64 v[6:7], off, off offset:304
	v_mov_b32_e32 v37, v62
	v_mov_b32_e32 v39, v50
	v_dual_mov_b32 v35, v53 :: v_dual_mov_b32 v202, v74
	v_dual_mov_b32 v121, v56 :: v_dual_mov_b32 v206, v106
	v_mov_b32_e32 v135, v42
	v_mov_b32_e32 v197, v69
	;; [unrolled: 1-line block ×4, first 2 shown]
	s_branch .LBB126_30
.LBB126_56:
	v_dual_mov_b32 v106, v206 :: v_dual_mov_b32 v109, v59
	v_dual_mov_b32 v74, v202 :: v_dual_mov_b32 v205, v215
	;; [unrolled: 1-line block ×3, first 2 shown]
	v_mov_b32_e32 v46, v57
	v_mov_b32_e32 v42, v44
	v_mov_b32_e32 v38, v210
	s_branch .LBB126_58
.LBB126_57:
	v_mov_b32_e32 v205, v62
	v_dual_mov_b32 v38, v50 :: v_dual_mov_b32 v31, v53
	v_mov_b32_e32 v121, v56
	v_dual_mov_b32 v135, v42 :: v_dual_mov_b32 v42, v44
	v_mov_b32_e32 v197, v69
	v_mov_b32_e32 v231, v108
.LBB126_58:
	s_delay_alu instid0(VALU_DEP_2)
	v_dual_mov_b32 v30, v99 :: v_dual_mov_b32 v27, v197
	v_dual_mov_b32 v54, v71 :: v_dual_mov_b32 v111, v102
	;; [unrolled: 1-line block ×8, first 2 shown]
	s_mov_b32 s3, 0
	s_mov_b32 s2, -1
.LBB126_59:                             ; =>This Inner Loop Header: Depth=1
	s_lshl_b32 s3, s3, 3
	v_dual_mov_b32 v6, v63 :: v_dual_mov_b32 v119, v46
	v_lshl_add_u32 v4, v22, 5, s3
	s_waitcnt vmcnt(0)
	v_lshl_add_u32 v5, v221, 5, s3
	v_dual_mov_b32 v130, v109 :: v_dual_mov_b32 v9, v115
	ds_load_b128 v[32:35], v4 offset:8192
	ds_load_b128 v[0:3], v5 offset:18432
	;; [unrolled: 1-line block ×4, first 2 shown]
	v_mov_b32_e32 v115, v116
	v_mov_b32_e32 v193, v113
	s_mov_b32 s3, 2
	s_and_not1_b32 vcc_lo, exec_lo, s2
	s_mov_b32 s2, 0
	s_waitcnt lgkmcnt(1)
	v_add_f64 v[7:8], v[62:63], v[34:35]
	v_add_f64 v[28:29], v[2:3], v[34:35]
	;; [unrolled: 1-line block ×3, first 2 shown]
	scratch_store_b64 off, v[7:8], off offset:16 ; 8-byte Folded Spill
	v_add_f64 v[7:8], v[60:61], v[32:33]
	v_cvt_f32_f64_e32 v64, v[64:65]
	v_cvt_f32_f64_e32 v28, v[28:29]
	scratch_store_b64 off, v[7:8], off offset:72 ; 8-byte Folded Spill
	ds_load_b128 v[72:75], v5 offset:18944
	ds_load_b128 v[144:147], v5 offset:19200
	v_min3_f32 v143, v64, v28, v143
	s_waitcnt lgkmcnt(1)
	v_add_f64 v[7:8], v[74:75], v[34:35]
	scratch_store_b64 off, v[7:8], off offset:48 ; 8-byte Folded Spill
	v_add_f64 v[7:8], v[72:73], v[32:33]
	scratch_store_b64 off, v[7:8], off offset:104 ; 8-byte Folded Spill
	s_waitcnt lgkmcnt(0)
	v_add_f64 v[7:8], v[146:147], v[34:35]
	scratch_store_b64 off, v[7:8], off offset:24 ; 8-byte Folded Spill
	v_add_f64 v[7:8], v[144:145], v[32:33]
	scratch_store_b64 off, v[7:8], off offset:80 ; 8-byte Folded Spill
	ds_load_b128 v[148:151], v5 offset:19456
	ds_load_b128 v[152:155], v5 offset:19712
	s_waitcnt lgkmcnt(1)
	v_add_f64 v[7:8], v[150:151], v[34:35]
	scratch_store_b64 off, v[7:8], off offset:56 ; 8-byte Folded Spill
	v_add_f64 v[7:8], v[148:149], v[32:33]
	scratch_store_b64 off, v[7:8], off offset:112 ; 8-byte Folded Spill
	s_waitcnt lgkmcnt(0)
	v_add_f64 v[7:8], v[154:155], v[34:35]
	scratch_store_b64 off, v[7:8], off offset:32 ; 8-byte Folded Spill
	v_add_f64 v[7:8], v[152:153], v[32:33]
	scratch_store_b64 off, v[7:8], off offset:88 ; 8-byte Folded Spill
	ds_load_b128 v[156:159], v5 offset:19968
	ds_load_b128 v[160:163], v5 offset:20224
	s_waitcnt lgkmcnt(1)
	v_add_f64 v[7:8], v[158:159], v[34:35]
	scratch_store_b64 off, v[7:8], off offset:64 ; 8-byte Folded Spill
	v_add_f64 v[7:8], v[156:157], v[32:33]
	scratch_store_b64 off, v[7:8], off offset:120 ; 8-byte Folded Spill
	s_waitcnt lgkmcnt(0)
	v_add_f64 v[7:8], v[162:163], v[34:35]
	scratch_store_b64 off, v[7:8], off offset:40 ; 8-byte Folded Spill
	v_add_f64 v[7:8], v[160:161], v[32:33]
	scratch_store_b64 off, v[7:8], off offset:96 ; 8-byte Folded Spill
	;; [unrolled: 2-line block ×18, first 2 shown]
	ds_load_b128 v[68:71], v4 offset:10240
	ds_load_b128 v[164:167], v4 offset:11264
	s_waitcnt lgkmcnt(1)
	v_add_f64 v[7:8], v[150:151], v[70:71]
	v_add_f64 v[90:91], v[2:3], v[70:71]
	v_add_f64 v[86:87], v[0:1], v[68:69]
	v_add_f64 v[94:95], v[62:63], v[70:71]
	v_add_f64 v[88:89], v[60:61], v[68:69]
	v_add_f64 v[102:103], v[74:75], v[70:71]
	v_add_f64 v[92:93], v[72:73], v[68:69]
	v_add_f64 v[108:109], v[146:147], v[70:71]
	v_add_f64 v[96:97], v[144:145], v[68:69]
	v_add_f64 v[100:101], v[148:149], v[68:69]
	v_add_f64 v[104:105], v[152:153], v[68:69]
	v_add_f64 v[112:113], v[160:161], v[68:69]
	s_waitcnt lgkmcnt(0)
	v_add_f64 v[98:99], v[2:3], v[166:167]
	v_add_f64 v[116:117], v[0:1], v[164:165]
	;; [unrolled: 1-line block ×16, first 2 shown]
	scratch_store_b64 off, v[7:8], off offset:280 ; 8-byte Folded Spill
	v_add_f64 v[7:8], v[154:155], v[70:71]
	scratch_store_b64 off, v[7:8], off offset:272 ; 8-byte Folded Spill
	v_add_f64 v[7:8], v[158:159], v[70:71]
	;; [unrolled: 2-line block ×4, first 2 shown]
	scratch_store_b64 off, v[7:8], off offset:256 ; 8-byte Folded Spill
	ds_load_b128 v[68:71], v4 offset:12288
	ds_load_b128 v[164:167], v4 offset:13312
	s_waitcnt lgkmcnt(1)
	v_add_f64 v[188:189], v[2:3], v[70:71]
	v_add_f64 v[190:191], v[0:1], v[68:69]
	;; [unrolled: 1-line block ×16, first 2 shown]
	s_waitcnt lgkmcnt(0)
	v_add_f64 v[220:221], v[2:3], v[166:167]
	v_add_f64 v[222:223], v[0:1], v[164:165]
	;; [unrolled: 1-line block ×16, first 2 shown]
	ds_load_b128 v[68:71], v4 offset:14336
	ds_load_b128 v[164:167], v4 offset:15360
	s_clause 0x1
	scratch_load_b64 v[28:29], off, off offset:72
	scratch_load_b64 v[64:65], off, off offset:16
	s_waitcnt lgkmcnt(1)
	v_add_f64 v[12:13], v[62:63], v[70:71]
	s_waitcnt lgkmcnt(0)
	v_add_f64 v[84:85], v[62:63], v[166:167]
	v_mov_b32_e32 v63, v6
	v_add_f64 v[4:5], v[60:61], v[68:69]
	v_add_f64 v[16:17], v[74:75], v[70:71]
	;; [unrolled: 1-line block ×30, first 2 shown]
	scratch_load_b32 v6, off, off           ; 4-byte Folded Reload
	v_cvt_f32_f64_e32 v4, v[4:5]
	v_cvt_f32_f64_e32 v5, v[12:13]
	;; [unrolled: 1-line block ×4, first 2 shown]
	s_delay_alu instid0(VALU_DEP_3) | instskip(SKIP_2) | instid1(VALU_DEP_4)
	v_min3_f32 v63, v4, v5, v63
	v_cvt_f32_f64_e32 v4, v[7:8]
	v_cvt_f32_f64_e32 v5, v[16:17]
	v_min3_f32 v133, v0, v1, v133
	v_cvt_f32_f64_e32 v0, v[60:61]
	v_cvt_f32_f64_e32 v1, v[84:85]
	s_delay_alu instid0(VALU_DEP_4) | instskip(SKIP_2) | instid1(VALU_DEP_4)
	v_min3_f32 v235, v4, v5, v235
	v_cvt_f32_f64_e32 v4, v[10:11]
	v_cvt_f32_f64_e32 v5, v[20:21]
	v_min3_f32 v128, v0, v1, v128
	v_cvt_f32_f64_e32 v0, v[72:73]
	v_cvt_f32_f64_e32 v1, v[74:75]
	s_delay_alu instid0(VALU_DEP_4) | instskip(SKIP_2) | instid1(VALU_DEP_4)
	v_min3_f32 v205, v4, v5, v205
	v_cvt_f32_f64_e32 v4, v[14:15]
	v_cvt_f32_f64_e32 v5, v[24:25]
	v_min3_f32 v127, v0, v1, v127
	v_cvt_f32_f64_e32 v0, v[144:145]
	v_cvt_f32_f64_e32 v1, v[146:147]
	s_delay_alu instid0(VALU_DEP_4) | instskip(SKIP_2) | instid1(VALU_DEP_4)
	v_min3_f32 v200, v4, v5, v200
	v_cvt_f32_f64_e32 v4, v[18:19]
	v_cvt_f32_f64_e32 v5, v[32:33]
	v_min3_f32 v126, v0, v1, v126
	v_cvt_f32_f64_e32 v0, v[148:149]
	v_cvt_f32_f64_e32 v1, v[150:151]
	s_delay_alu instid0(VALU_DEP_1) | instskip(SKIP_2) | instid1(VALU_DEP_1)
	v_min3_f32 v125, v0, v1, v125
	v_cvt_f32_f64_e32 v0, v[152:153]
	v_cvt_f32_f64_e32 v1, v[154:155]
	v_min3_f32 v124, v0, v1, v124
	v_cvt_f32_f64_e32 v0, v[156:157]
	v_cvt_f32_f64_e32 v1, v[158:159]
	s_waitcnt vmcnt(2)
	v_cvt_f32_f64_e32 v28, v[28:29]
	s_waitcnt vmcnt(1)
	v_cvt_f32_f64_e32 v29, v[64:65]
	scratch_load_b64 v[64:65], off, off offset:48 ; 8-byte Folded Reload
	v_min3_f32 v123, v0, v1, v123
	v_cvt_f32_f64_e32 v0, v[160:161]
	v_cvt_f32_f64_e32 v1, v[162:163]
	v_min3_f32 v142, v28, v29, v142
	scratch_load_b64 v[28:29], off, off offset:104 ; 8-byte Folded Reload
	s_waitcnt vmcnt(2)
	v_min3_f32 v6, v4, v5, v6
	v_cvt_f32_f64_e32 v4, v[22:23]
	scratch_load_b32 v22, off, off offset:4 ; 4-byte Folded Reload
	v_cvt_f32_f64_e32 v5, v[34:35]
	scratch_store_b32 off, v6, off          ; 4-byte Folded Spill
	v_min3_f32 v122, v0, v1, v122
	v_min3_f32 v131, v4, v5, v131
	v_cvt_f32_f64_e32 v4, v[68:69]
	v_cvt_f32_f64_e32 v5, v[70:71]
	s_delay_alu instid0(VALU_DEP_1)
	v_min3_f32 v198, v4, v5, v198
	s_waitcnt vmcnt(1)
	v_cvt_f32_f64_e32 v28, v[28:29]
	v_cvt_f32_f64_e32 v29, v[64:65]
	scratch_load_b64 v[64:65], off, off offset:24 ; 8-byte Folded Reload
	v_min3_f32 v141, v28, v29, v141
	scratch_load_b64 v[28:29], off, off offset:80 ; 8-byte Folded Reload
	s_waitcnt vmcnt(0)
	v_cvt_f32_f64_e32 v28, v[28:29]
	v_cvt_f32_f64_e32 v29, v[64:65]
	scratch_load_b64 v[64:65], off, off offset:56 ; 8-byte Folded Reload
	v_min3_f32 v140, v28, v29, v140
	scratch_load_b64 v[28:29], off, off offset:112 ; 8-byte Folded Reload
	;; [unrolled: 6-line block ×13, first 2 shown]
	s_waitcnt vmcnt(0)
	v_cvt_f32_f64_e32 v28, v[28:29]
	v_cvt_f32_f64_e32 v29, v[64:65]
	scratch_load_b64 v[64:65], off, off offset:280 ; 8-byte Folded Reload
	v_min3_f32 v111, v28, v29, v111
	v_cvt_f32_f64_e32 v28, v[86:87]
	v_cvt_f32_f64_e32 v29, v[90:91]
	s_delay_alu instid0(VALU_DEP_1) | instskip(SKIP_2) | instid1(VALU_DEP_1)
	v_min3_f32 v110, v28, v29, v110
	v_cvt_f32_f64_e32 v28, v[88:89]
	v_cvt_f32_f64_e32 v29, v[94:95]
	v_min3_f32 v41, v28, v29, v41
	v_cvt_f32_f64_e32 v28, v[92:93]
	v_cvt_f32_f64_e32 v29, v[102:103]
	s_delay_alu instid0(VALU_DEP_1) | instskip(SKIP_3) | instid1(VALU_DEP_2)
	v_min3_f32 v59, v28, v29, v59
	v_cvt_f32_f64_e32 v28, v[96:97]
	v_cvt_f32_f64_e32 v29, v[108:109]
	v_mov_b32_e32 v109, v130
	v_min3_f32 v58, v28, v29, v58
	v_cvt_f32_f64_e32 v28, v[100:101]
	s_waitcnt vmcnt(0)
	v_cvt_f32_f64_e32 v29, v[64:65]
	scratch_load_b64 v[64:65], off, off offset:272 ; 8-byte Folded Reload
	v_min3_f32 v81, v28, v29, v81
	v_cvt_f32_f64_e32 v28, v[104:105]
	s_waitcnt vmcnt(0)
	v_cvt_f32_f64_e32 v29, v[64:65]
	scratch_load_b64 v[64:65], off, off offset:264 ; 8-byte Folded Reload
	v_min3_f32 v80, v28, v29, v80
	scratch_load_b64 v[28:29], off, off offset:288 ; 8-byte Folded Reload
	s_waitcnt vmcnt(0)
	v_cvt_f32_f64_e32 v28, v[28:29]
	v_cvt_f32_f64_e32 v29, v[64:65]
	scratch_load_b64 v[64:65], off, off offset:256 ; 8-byte Folded Reload
	v_min3_f32 v57, v28, v29, v57
	v_cvt_f32_f64_e32 v28, v[112:113]
	s_waitcnt vmcnt(0)
	v_cvt_f32_f64_e32 v29, v[64:65]
	s_delay_alu instid0(VALU_DEP_1) | instskip(SKIP_2) | instid1(VALU_DEP_1)
	v_min3_f32 v56, v28, v29, v56
	v_cvt_f32_f64_e32 v28, v[116:117]
	v_cvt_f32_f64_e32 v29, v[98:99]
	v_min3_f32 v79, v28, v29, v79
	v_cvt_f32_f64_e32 v28, v[52:53]
	v_cvt_f32_f64_e32 v29, v[76:77]
	s_delay_alu instid0(VALU_DEP_1) | instskip(SKIP_2) | instid1(VALU_DEP_1)
	v_min3_f32 v199, v28, v29, v199
	v_cvt_f32_f64_e32 v28, v[50:51]
	v_cvt_f32_f64_e32 v29, v[66:67]
	v_min3_f32 v54, v28, v29, v54
	v_cvt_f32_f64_e32 v28, v[170:171]
	;; [unrolled: 7-line block ×5, first 2 shown]
	v_cvt_f32_f64_e32 v29, v[138:139]
	s_delay_alu instid0(VALU_DEP_1)
	v_min3_f32 v135, v28, v29, v135
	v_cvt_f32_f64_e32 v28, v[46:47]
	v_cvt_f32_f64_e32 v29, v[196:197]
	v_mov_b32_e32 v46, v119
	v_dual_mov_b32 v116, v115 :: v_dual_mov_b32 v113, v193
	v_mov_b32_e32 v115, v9
	s_delay_alu instid0(VALU_DEP_4) | instskip(SKIP_2) | instid1(VALU_DEP_1)
	v_min3_f32 v134, v28, v29, v134
	v_cvt_f32_f64_e32 v28, v[202:203]
	v_cvt_f32_f64_e32 v29, v[82:83]
	v_min3_f32 v109, v28, v29, v109
	v_cvt_f32_f64_e32 v28, v[206:207]
	v_cvt_f32_f64_e32 v29, v[48:49]
	s_delay_alu instid0(VALU_DEP_1) | instskip(SKIP_2) | instid1(VALU_DEP_1)
	v_min3_f32 v116, v28, v29, v116
	v_cvt_f32_f64_e32 v28, v[210:211]
	v_cvt_f32_f64_e32 v29, v[208:209]
	v_min3_f32 v129, v28, v29, v129
	v_cvt_f32_f64_e32 v28, v[214:215]
	v_cvt_f32_f64_e32 v29, v[212:213]
	s_delay_alu instid0(VALU_DEP_1) | instskip(SKIP_2) | instid1(VALU_DEP_1)
	v_min3_f32 v46, v28, v29, v46
	v_cvt_f32_f64_e32 v28, v[218:219]
	v_cvt_f32_f64_e32 v29, v[216:217]
	v_min3_f32 v121, v28, v29, v121
	v_cvt_f32_f64_e32 v29, v[220:221]
	scratch_load_b32 v221, off, off offset:8 ; 4-byte Folded Reload
	v_cvt_f32_f64_e32 v28, v[222:223]
	s_delay_alu instid0(VALU_DEP_1) | instskip(SKIP_2) | instid1(VALU_DEP_1)
	v_min3_f32 v120, v28, v29, v120
	v_cvt_f32_f64_e32 v28, v[226:227]
	v_cvt_f32_f64_e32 v29, v[224:225]
	v_min3_f32 v31, v28, v29, v31
	v_cvt_f32_f64_e32 v28, v[39:40]
	v_cvt_f32_f64_e32 v29, v[228:229]
	s_delay_alu instid0(VALU_DEP_1) | instskip(SKIP_2) | instid1(VALU_DEP_1)
	v_min3_f32 v118, v28, v29, v118
	v_cvt_f32_f64_e32 v28, v[36:37]
	v_cvt_f32_f64_e32 v29, v[232:233]
	v_min3_f32 v113, v28, v29, v113
	v_cvt_f32_f64_e32 v28, v[238:239]
	v_cvt_f32_f64_e32 v29, v[236:237]
	s_delay_alu instid0(VALU_DEP_1) | instskip(SKIP_2) | instid1(VALU_DEP_1)
	v_min3_f32 v192, v28, v29, v192
	v_cvt_f32_f64_e32 v28, v[242:243]
	v_cvt_f32_f64_e32 v29, v[240:241]
	v_min3_f32 v55, v28, v29, v55
	v_cvt_f32_f64_e32 v28, v[246:247]
	v_cvt_f32_f64_e32 v29, v[244:245]
	s_delay_alu instid0(VALU_DEP_1) | instskip(SKIP_2) | instid1(VALU_DEP_1)
	v_min3_f32 v38, v28, v29, v38
	v_cvt_f32_f64_e32 v28, v[250:251]
	v_cvt_f32_f64_e32 v29, v[248:249]
	v_min3_f32 v137, v28, v29, v137
	v_cvt_f32_f64_e32 v28, v[254:255]
	v_cvt_f32_f64_e32 v29, v[252:253]
	s_delay_alu instid0(VALU_DEP_1)
	v_min3_f32 v115, v28, v29, v115
	s_cbranch_vccz .LBB126_59
; %bb.60:
	s_clause 0x2
	s_load_b32 s20, s[0:1], 0x58
	s_load_b32 s18, s[0:1], 0x70
	s_load_b64 s[2:3], s[0:1], 0x78
	v_add_nc_u32_e32 v19, s19, v22
	s_waitcnt vmcnt(0)
	v_add_nc_u32_e32 v0, s8, v221
	v_cndmask_b32_e64 v18, 0, 1, s9
	s_delay_alu instid0(VALU_DEP_3) | instskip(NEXT) | instid1(VALU_DEP_3)
	v_cmp_gt_i32_e64 s8, s17, v19
	v_cmp_gt_i32_e64 s0, s16, v0
	v_ashrrev_i32_e32 v1, 31, v0
	s_waitcnt lgkmcnt(0)
	v_mad_i64_i32 v[2:3], null, v19, s20, 0
	v_mad_i64_i32 v[4:5], null, v19, s18, 0
	s_lshl_b64 s[2:3], s[2:3], 3
	s_delay_alu instid0(SALU_CYCLE_1) | instskip(SKIP_1) | instid1(VALU_DEP_2)
	s_add_u32 s14, s14, s2
	s_addc_u32 s15, s15, s3
	v_lshlrev_b64 v[2:3], 3, v[2:3]
	s_and_b32 s2, s0, s8
	s_delay_alu instid0(VALU_DEP_2) | instskip(NEXT) | instid1(VALU_DEP_2)
	v_lshlrev_b64 v[4:5], 3, v[4:5]
	v_add_co_u32 v16, vcc_lo, s12, v2
	s_delay_alu instid0(VALU_DEP_3) | instskip(NEXT) | instid1(VALU_DEP_3)
	v_add_co_ci_u32_e32 v17, vcc_lo, s13, v3, vcc_lo
	v_add_co_u32 v22, vcc_lo, s14, v4
	s_delay_alu instid0(VALU_DEP_4)
	v_add_co_ci_u32_e32 v21, vcc_lo, s15, v5, vcc_lo
	s_and_saveexec_b32 s1, s2
	s_cbranch_execz .LBB126_65
; %bb.61:
	s_and_not1_b32 vcc_lo, exec_lo, s9
	s_cbranch_vccnz .LBB126_63
; %bb.62:
	v_lshlrev_b64 v[2:3], 3, v[0:1]
	s_delay_alu instid0(VALU_DEP_1) | instskip(NEXT) | instid1(VALU_DEP_2)
	v_add_co_u32 v2, vcc_lo, v16, v2
	v_add_co_ci_u32_e32 v3, vcc_lo, v17, v3, vcc_lo
	flat_load_b64 v[2:3], v[2:3]
	s_waitcnt vmcnt(0) lgkmcnt(0)
	v_mul_f64 v[2:3], s[10:11], v[2:3]
	s_branch .LBB126_64
.LBB126_63:
	v_mov_b32_e32 v2, 0
	v_mov_b32_e32 v3, 0
.LBB126_64:
	s_delay_alu instid0(VALU_DEP_1) | instskip(SKIP_2) | instid1(VALU_DEP_1)
	v_cvt_f32_f64_e32 v2, v[2:3]
	v_max_f32_e32 v3, v143, v143
	v_lshlrev_b64 v[4:5], 3, v[0:1]
	v_add_co_u32 v4, vcc_lo, v22, v4
	s_delay_alu instid0(VALU_DEP_2) | instskip(NEXT) | instid1(VALU_DEP_4)
	v_add_co_ci_u32_e32 v5, vcc_lo, v21, v5, vcc_lo
	v_min_f32_e32 v2, v2, v3
	s_delay_alu instid0(VALU_DEP_1)
	v_cvt_f64_f32_e32 v[2:3], v2
	global_store_b64 v[4:5], v[2:3], off
.LBB126_65:
	s_or_b32 exec_lo, exec_lo, s1
	v_add_nc_u32_e32 v2, 8, v0
	s_delay_alu instid0(VALU_DEP_1) | instskip(SKIP_1) | instid1(VALU_DEP_2)
	v_cmp_gt_i32_e64 s1, s16, v2
	v_ashrrev_i32_e32 v3, 31, v2
	s_and_b32 s3, s1, s8
	s_delay_alu instid0(SALU_CYCLE_1)
	s_and_saveexec_b32 s2, s3
	s_cbranch_execz .LBB126_70
; %bb.66:
	v_cmp_ne_u32_e32 vcc_lo, 1, v18
	s_cbranch_vccnz .LBB126_68
; %bb.67:
	v_lshlrev_b64 v[4:5], 3, v[2:3]
	s_delay_alu instid0(VALU_DEP_1) | instskip(NEXT) | instid1(VALU_DEP_2)
	v_add_co_u32 v4, vcc_lo, v16, v4
	v_add_co_ci_u32_e32 v5, vcc_lo, v17, v5, vcc_lo
	flat_load_b64 v[4:5], v[4:5]
	s_waitcnt vmcnt(0) lgkmcnt(0)
	v_mul_f64 v[4:5], s[10:11], v[4:5]
	s_branch .LBB126_69
.LBB126_68:
	v_mov_b32_e32 v4, 0
	v_mov_b32_e32 v5, 0
.LBB126_69:
	s_delay_alu instid0(VALU_DEP_1) | instskip(SKIP_2) | instid1(VALU_DEP_1)
	v_cvt_f32_f64_e32 v4, v[4:5]
	v_max_f32_e32 v5, v142, v142
	v_lshlrev_b64 v[6:7], 3, v[2:3]
	v_add_co_u32 v6, vcc_lo, v22, v6
	s_delay_alu instid0(VALU_DEP_2) | instskip(NEXT) | instid1(VALU_DEP_4)
	v_add_co_ci_u32_e32 v7, vcc_lo, v21, v7, vcc_lo
	v_min_f32_e32 v4, v4, v5
	s_delay_alu instid0(VALU_DEP_1)
	v_cvt_f64_f32_e32 v[4:5], v4
	global_store_b64 v[6:7], v[4:5], off
.LBB126_70:
	s_or_b32 exec_lo, exec_lo, s2
	v_add_nc_u32_e32 v4, 16, v0
	s_delay_alu instid0(VALU_DEP_1) | instskip(SKIP_1) | instid1(VALU_DEP_2)
	v_cmp_gt_i32_e64 s2, s16, v4
	v_ashrrev_i32_e32 v5, 31, v4
	s_and_b32 s4, s2, s8
	s_delay_alu instid0(SALU_CYCLE_1)
	s_and_saveexec_b32 s3, s4
	s_cbranch_execz .LBB126_75
; %bb.71:
	v_cmp_ne_u32_e32 vcc_lo, 1, v18
	s_cbranch_vccnz .LBB126_73
; %bb.72:
	v_lshlrev_b64 v[6:7], 3, v[4:5]
	s_delay_alu instid0(VALU_DEP_1) | instskip(NEXT) | instid1(VALU_DEP_2)
	v_add_co_u32 v6, vcc_lo, v16, v6
	v_add_co_ci_u32_e32 v7, vcc_lo, v17, v7, vcc_lo
	flat_load_b64 v[6:7], v[6:7]
	s_waitcnt vmcnt(0) lgkmcnt(0)
	v_mul_f64 v[6:7], s[10:11], v[6:7]
	s_branch .LBB126_74
.LBB126_73:
	v_mov_b32_e32 v6, 0
	v_mov_b32_e32 v7, 0
.LBB126_74:
	s_delay_alu instid0(VALU_DEP_1) | instskip(SKIP_2) | instid1(VALU_DEP_1)
	v_cvt_f32_f64_e32 v6, v[6:7]
	v_max_f32_e32 v7, v141, v141
	v_lshlrev_b64 v[8:9], 3, v[4:5]
	v_add_co_u32 v8, vcc_lo, v22, v8
	s_delay_alu instid0(VALU_DEP_2) | instskip(NEXT) | instid1(VALU_DEP_4)
	v_add_co_ci_u32_e32 v9, vcc_lo, v21, v9, vcc_lo
	v_min_f32_e32 v6, v6, v7
	s_delay_alu instid0(VALU_DEP_1)
	v_cvt_f64_f32_e32 v[6:7], v6
	global_store_b64 v[8:9], v[6:7], off
.LBB126_75:
	;; [unrolled: 37-line block ×7, first 2 shown]
	s_or_b32 exec_lo, exec_lo, s8
	v_add_nc_u32_e32 v22, 32, v19
	s_delay_alu instid0(VALU_DEP_1) | instskip(SKIP_2) | instid1(VALU_DEP_3)
	v_mad_i64_i32 v[16:17], null, v22, s20, 0
	v_mad_i64_i32 v[20:21], null, v22, s18, 0
	v_cmp_gt_i32_e64 s8, s17, v22
	v_lshlrev_b64 v[16:17], 3, v[16:17]
	s_delay_alu instid0(VALU_DEP_2) | instskip(NEXT) | instid1(VALU_DEP_3)
	s_and_b32 s16, s0, s8
	v_lshlrev_b64 v[20:21], 3, v[20:21]
	s_delay_alu instid0(VALU_DEP_2) | instskip(NEXT) | instid1(VALU_DEP_3)
	v_add_co_u32 v24, vcc_lo, s12, v16
	v_add_co_ci_u32_e32 v23, vcc_lo, s13, v17, vcc_lo
	s_delay_alu instid0(VALU_DEP_3) | instskip(NEXT) | instid1(VALU_DEP_4)
	v_add_co_u32 v22, vcc_lo, s14, v20
	v_add_co_ci_u32_e32 v21, vcc_lo, s15, v21, vcc_lo
	s_and_saveexec_b32 s9, s16
	s_cbranch_execnz .LBB126_108
; %bb.101:
	s_or_b32 exec_lo, exec_lo, s9
	s_and_b32 s16, s1, s8
	s_delay_alu instid0(SALU_CYCLE_1)
	s_and_saveexec_b32 s9, s16
	s_cbranch_execnz .LBB126_112
.LBB126_102:
	s_or_b32 exec_lo, exec_lo, s9
	s_and_b32 s16, s2, s8
	s_delay_alu instid0(SALU_CYCLE_1)
	s_and_saveexec_b32 s9, s16
	s_cbranch_execnz .LBB126_116
.LBB126_103:
	s_or_b32 exec_lo, exec_lo, s9
	s_and_b32 s16, s3, s8
	s_delay_alu instid0(SALU_CYCLE_1)
	s_and_saveexec_b32 s9, s16
	s_cbranch_execnz .LBB126_120
.LBB126_104:
	s_or_b32 exec_lo, exec_lo, s9
	s_and_b32 s16, s4, s8
	s_delay_alu instid0(SALU_CYCLE_1)
	s_and_saveexec_b32 s9, s16
	s_cbranch_execnz .LBB126_124
.LBB126_105:
	s_or_b32 exec_lo, exec_lo, s9
	s_and_b32 s16, s5, s8
	s_delay_alu instid0(SALU_CYCLE_1)
	s_and_saveexec_b32 s9, s16
	s_cbranch_execnz .LBB126_128
.LBB126_106:
	s_or_b32 exec_lo, exec_lo, s9
	s_and_b32 s16, s6, s8
	s_delay_alu instid0(SALU_CYCLE_1)
	s_and_saveexec_b32 s9, s16
	s_cbranch_execnz .LBB126_132
.LBB126_107:
	s_or_b32 exec_lo, exec_lo, s9
	s_and_b32 s9, s7, s8
	s_delay_alu instid0(SALU_CYCLE_1)
	s_and_saveexec_b32 s8, s9
	s_cbranch_execnz .LBB126_136
	s_branch .LBB126_140
.LBB126_108:
	v_cmp_ne_u32_e32 vcc_lo, 1, v18
	v_mov_b32_e32 v20, v26
	s_cbranch_vccnz .LBB126_110
; %bb.109:
	v_lshlrev_b64 v[16:17], 3, v[0:1]
	s_delay_alu instid0(VALU_DEP_1) | instskip(NEXT) | instid1(VALU_DEP_2)
	v_add_co_u32 v16, vcc_lo, v24, v16
	v_add_co_ci_u32_e32 v17, vcc_lo, v23, v17, vcc_lo
	flat_load_b64 v[16:17], v[16:17]
	s_waitcnt vmcnt(0) lgkmcnt(0)
	v_mul_f64 v[16:17], s[10:11], v[16:17]
	s_branch .LBB126_111
.LBB126_110:
	v_mov_b32_e32 v16, 0
	v_mov_b32_e32 v17, 0
.LBB126_111:
	s_delay_alu instid0(VALU_DEP_1) | instskip(SKIP_2) | instid1(VALU_DEP_1)
	v_cvt_f32_f64_e32 v16, v[16:17]
	v_max_f32_e32 v17, v234, v234
	v_lshlrev_b64 v[25:26], 3, v[0:1]
	v_add_co_u32 v25, vcc_lo, v22, v25
	s_delay_alu instid0(VALU_DEP_2) | instskip(NEXT) | instid1(VALU_DEP_4)
	v_add_co_ci_u32_e32 v26, vcc_lo, v21, v26, vcc_lo
	v_min_f32_e32 v16, v16, v17
	s_delay_alu instid0(VALU_DEP_1) | instskip(SKIP_4) | instid1(SALU_CYCLE_1)
	v_cvt_f64_f32_e32 v[16:17], v16
	global_store_b64 v[25:26], v[16:17], off
	v_mov_b32_e32 v26, v20
	s_or_b32 exec_lo, exec_lo, s9
	s_and_b32 s16, s1, s8
	s_and_saveexec_b32 s9, s16
	s_cbranch_execz .LBB126_102
.LBB126_112:
	v_cmp_ne_u32_e32 vcc_lo, 1, v18
	v_mov_b32_e32 v20, v26
	s_cbranch_vccnz .LBB126_114
; %bb.113:
	v_lshlrev_b64 v[16:17], 3, v[2:3]
	s_delay_alu instid0(VALU_DEP_1) | instskip(NEXT) | instid1(VALU_DEP_2)
	v_add_co_u32 v16, vcc_lo, v24, v16
	v_add_co_ci_u32_e32 v17, vcc_lo, v23, v17, vcc_lo
	flat_load_b64 v[16:17], v[16:17]
	s_waitcnt vmcnt(0) lgkmcnt(0)
	v_mul_f64 v[16:17], s[10:11], v[16:17]
	s_branch .LBB126_115
.LBB126_114:
	v_mov_b32_e32 v16, 0
	v_mov_b32_e32 v17, 0
.LBB126_115:
	s_delay_alu instid0(VALU_DEP_1) | instskip(SKIP_2) | instid1(VALU_DEP_1)
	v_cvt_f32_f64_e32 v16, v[16:17]
	v_max_f32_e32 v17, v230, v230
	v_lshlrev_b64 v[25:26], 3, v[2:3]
	v_add_co_u32 v25, vcc_lo, v22, v25
	s_delay_alu instid0(VALU_DEP_2) | instskip(NEXT) | instid1(VALU_DEP_4)
	v_add_co_ci_u32_e32 v26, vcc_lo, v21, v26, vcc_lo
	v_min_f32_e32 v16, v16, v17
	s_delay_alu instid0(VALU_DEP_1) | instskip(SKIP_4) | instid1(SALU_CYCLE_1)
	v_cvt_f64_f32_e32 v[16:17], v16
	global_store_b64 v[25:26], v[16:17], off
	v_mov_b32_e32 v26, v20
	s_or_b32 exec_lo, exec_lo, s9
	s_and_b32 s16, s2, s8
	s_and_saveexec_b32 s9, s16
	s_cbranch_execz .LBB126_103
.LBB126_116:
	v_cmp_ne_u32_e32 vcc_lo, 1, v18
	v_mov_b32_e32 v20, v26
	s_cbranch_vccnz .LBB126_118
; %bb.117:
	v_lshlrev_b64 v[16:17], 3, v[4:5]
	s_delay_alu instid0(VALU_DEP_1) | instskip(NEXT) | instid1(VALU_DEP_2)
	v_add_co_u32 v16, vcc_lo, v24, v16
	v_add_co_ci_u32_e32 v17, vcc_lo, v23, v17, vcc_lo
	flat_load_b64 v[16:17], v[16:17]
	s_waitcnt vmcnt(0) lgkmcnt(0)
	v_mul_f64 v[16:17], s[10:11], v[16:17]
	s_branch .LBB126_119
.LBB126_118:
	v_mov_b32_e32 v16, 0
	v_mov_b32_e32 v17, 0
.LBB126_119:
	s_delay_alu instid0(VALU_DEP_1) | instskip(SKIP_2) | instid1(VALU_DEP_1)
	v_cvt_f32_f64_e32 v16, v[16:17]
	v_max_f32_e32 v17, v30, v30
	v_lshlrev_b64 v[25:26], 3, v[4:5]
	v_add_co_u32 v25, vcc_lo, v22, v25
	s_delay_alu instid0(VALU_DEP_2) | instskip(NEXT) | instid1(VALU_DEP_4)
	v_add_co_ci_u32_e32 v26, vcc_lo, v21, v26, vcc_lo
	v_min_f32_e32 v16, v16, v17
	s_delay_alu instid0(VALU_DEP_1) | instskip(SKIP_4) | instid1(SALU_CYCLE_1)
	v_cvt_f64_f32_e32 v[16:17], v16
	global_store_b64 v[25:26], v[16:17], off
	v_mov_b32_e32 v26, v20
	s_or_b32 exec_lo, exec_lo, s9
	s_and_b32 s16, s3, s8
	s_and_saveexec_b32 s9, s16
	s_cbranch_execz .LBB126_104
.LBB126_120:
	v_cmp_ne_u32_e32 vcc_lo, 1, v18
	v_mov_b32_e32 v20, v26
	s_cbranch_vccnz .LBB126_122
; %bb.121:
	v_lshlrev_b64 v[16:17], 3, v[6:7]
	s_delay_alu instid0(VALU_DEP_1) | instskip(NEXT) | instid1(VALU_DEP_2)
	v_add_co_u32 v16, vcc_lo, v24, v16
	v_add_co_ci_u32_e32 v17, vcc_lo, v23, v17, vcc_lo
	flat_load_b64 v[16:17], v[16:17]
	s_waitcnt vmcnt(0) lgkmcnt(0)
	v_mul_f64 v[16:17], s[10:11], v[16:17]
	s_branch .LBB126_123
.LBB126_122:
	v_mov_b32_e32 v16, 0
	v_mov_b32_e32 v17, 0
.LBB126_123:
	s_delay_alu instid0(VALU_DEP_1) | instskip(SKIP_2) | instid1(VALU_DEP_1)
	v_cvt_f32_f64_e32 v16, v[16:17]
	v_max_f32_e32 v17, v78, v78
	v_lshlrev_b64 v[25:26], 3, v[6:7]
	v_add_co_u32 v25, vcc_lo, v22, v25
	s_delay_alu instid0(VALU_DEP_2) | instskip(NEXT) | instid1(VALU_DEP_4)
	v_add_co_ci_u32_e32 v26, vcc_lo, v21, v26, vcc_lo
	v_min_f32_e32 v16, v16, v17
	s_delay_alu instid0(VALU_DEP_1) | instskip(SKIP_4) | instid1(SALU_CYCLE_1)
	v_cvt_f64_f32_e32 v[16:17], v16
	global_store_b64 v[25:26], v[16:17], off
	v_mov_b32_e32 v26, v20
	s_or_b32 exec_lo, exec_lo, s9
	s_and_b32 s16, s4, s8
	s_and_saveexec_b32 s9, s16
	s_cbranch_execz .LBB126_105
.LBB126_124:
	v_cmp_ne_u32_e32 vcc_lo, 1, v18
	v_mov_b32_e32 v20, v26
	s_cbranch_vccnz .LBB126_126
; %bb.125:
	v_lshlrev_b64 v[16:17], 3, v[8:9]
	s_delay_alu instid0(VALU_DEP_1) | instskip(NEXT) | instid1(VALU_DEP_2)
	v_add_co_u32 v16, vcc_lo, v24, v16
	v_add_co_ci_u32_e32 v17, vcc_lo, v23, v17, vcc_lo
	flat_load_b64 v[16:17], v[16:17]
	s_waitcnt vmcnt(0) lgkmcnt(0)
	v_mul_f64 v[16:17], s[10:11], v[16:17]
	s_branch .LBB126_127
.LBB126_126:
	v_mov_b32_e32 v16, 0
	v_mov_b32_e32 v17, 0
.LBB126_127:
	s_delay_alu instid0(VALU_DEP_1) | instskip(SKIP_2) | instid1(VALU_DEP_1)
	v_cvt_f32_f64_e32 v16, v[16:17]
	v_max_f32_e32 v17, v231, v231
	v_lshlrev_b64 v[25:26], 3, v[8:9]
	v_add_co_u32 v25, vcc_lo, v22, v25
	s_delay_alu instid0(VALU_DEP_2) | instskip(NEXT) | instid1(VALU_DEP_4)
	v_add_co_ci_u32_e32 v26, vcc_lo, v21, v26, vcc_lo
	v_min_f32_e32 v16, v16, v17
	s_delay_alu instid0(VALU_DEP_1) | instskip(SKIP_4) | instid1(SALU_CYCLE_1)
	v_cvt_f64_f32_e32 v[16:17], v16
	global_store_b64 v[25:26], v[16:17], off
	v_mov_b32_e32 v26, v20
	s_or_b32 exec_lo, exec_lo, s9
	s_and_b32 s16, s5, s8
	s_and_saveexec_b32 s9, s16
	s_cbranch_execz .LBB126_106
.LBB126_128:
	v_cmp_ne_u32_e32 vcc_lo, 1, v18
	v_mov_b32_e32 v20, v26
	s_cbranch_vccnz .LBB126_130
; %bb.129:
	v_lshlrev_b64 v[16:17], 3, v[10:11]
	s_delay_alu instid0(VALU_DEP_1) | instskip(NEXT) | instid1(VALU_DEP_2)
	v_add_co_u32 v16, vcc_lo, v24, v16
	v_add_co_ci_u32_e32 v17, vcc_lo, v23, v17, vcc_lo
	flat_load_b64 v[16:17], v[16:17]
	s_waitcnt vmcnt(0) lgkmcnt(0)
	v_mul_f64 v[16:17], s[10:11], v[16:17]
	s_branch .LBB126_131
.LBB126_130:
	v_mov_b32_e32 v16, 0
	v_mov_b32_e32 v17, 0
.LBB126_131:
	s_delay_alu instid0(VALU_DEP_1) | instskip(SKIP_2) | instid1(VALU_DEP_1)
	v_cvt_f32_f64_e32 v16, v[16:17]
	v_max_f32_e32 v17, v107, v107
	v_lshlrev_b64 v[25:26], 3, v[10:11]
	v_add_co_u32 v25, vcc_lo, v22, v25
	s_delay_alu instid0(VALU_DEP_2) | instskip(NEXT) | instid1(VALU_DEP_4)
	v_add_co_ci_u32_e32 v26, vcc_lo, v21, v26, vcc_lo
	v_min_f32_e32 v16, v16, v17
	s_delay_alu instid0(VALU_DEP_1) | instskip(SKIP_4) | instid1(SALU_CYCLE_1)
	v_cvt_f64_f32_e32 v[16:17], v16
	global_store_b64 v[25:26], v[16:17], off
	v_mov_b32_e32 v26, v20
	s_or_b32 exec_lo, exec_lo, s9
	s_and_b32 s16, s6, s8
	s_and_saveexec_b32 s9, s16
	s_cbranch_execz .LBB126_107
.LBB126_132:
	v_cmp_ne_u32_e32 vcc_lo, 1, v18
	v_mov_b32_e32 v20, v26
	s_cbranch_vccnz .LBB126_134
; %bb.133:
	v_lshlrev_b64 v[16:17], 3, v[12:13]
	s_delay_alu instid0(VALU_DEP_1) | instskip(NEXT) | instid1(VALU_DEP_2)
	v_add_co_u32 v16, vcc_lo, v24, v16
	v_add_co_ci_u32_e32 v17, vcc_lo, v23, v17, vcc_lo
	flat_load_b64 v[16:17], v[16:17]
	s_waitcnt vmcnt(0) lgkmcnt(0)
	v_mul_f64 v[16:17], s[10:11], v[16:17]
	s_branch .LBB126_135
.LBB126_134:
	v_mov_b32_e32 v16, 0
	v_mov_b32_e32 v17, 0
.LBB126_135:
	s_delay_alu instid0(VALU_DEP_1) | instskip(SKIP_2) | instid1(VALU_DEP_1)
	v_cvt_f32_f64_e32 v16, v[16:17]
	v_max_f32_e32 v17, v106, v106
	v_lshlrev_b64 v[25:26], 3, v[12:13]
	v_add_co_u32 v25, vcc_lo, v22, v25
	s_delay_alu instid0(VALU_DEP_2) | instskip(NEXT) | instid1(VALU_DEP_4)
	v_add_co_ci_u32_e32 v26, vcc_lo, v21, v26, vcc_lo
	v_min_f32_e32 v16, v16, v17
	s_delay_alu instid0(VALU_DEP_1) | instskip(SKIP_4) | instid1(SALU_CYCLE_1)
	v_cvt_f64_f32_e32 v[16:17], v16
	global_store_b64 v[25:26], v[16:17], off
	v_mov_b32_e32 v26, v20
	s_or_b32 exec_lo, exec_lo, s9
	s_and_b32 s9, s7, s8
	s_and_saveexec_b32 s8, s9
	s_cbranch_execz .LBB126_140
.LBB126_136:
	v_cmp_ne_u32_e32 vcc_lo, 1, v18
	s_cbranch_vccnz .LBB126_138
; %bb.137:
	v_lshlrev_b64 v[16:17], 3, v[14:15]
	s_delay_alu instid0(VALU_DEP_1) | instskip(NEXT) | instid1(VALU_DEP_2)
	v_add_co_u32 v16, vcc_lo, v24, v16
	v_add_co_ci_u32_e32 v17, vcc_lo, v23, v17, vcc_lo
	flat_load_b64 v[16:17], v[16:17]
	s_waitcnt vmcnt(0) lgkmcnt(0)
	v_mul_f64 v[16:17], s[10:11], v[16:17]
	s_branch .LBB126_139
.LBB126_138:
	v_mov_b32_e32 v16, 0
	v_mov_b32_e32 v17, 0
.LBB126_139:
	s_delay_alu instid0(VALU_DEP_1) | instskip(SKIP_2) | instid1(VALU_DEP_1)
	v_cvt_f32_f64_e32 v16, v[16:17]
	v_max_f32_e32 v17, v111, v111
	v_lshlrev_b64 v[23:24], 3, v[14:15]
	v_add_co_u32 v20, vcc_lo, v22, v23
	s_delay_alu instid0(VALU_DEP_2) | instskip(NEXT) | instid1(VALU_DEP_4)
	v_add_co_ci_u32_e32 v21, vcc_lo, v21, v24, vcc_lo
	v_min_f32_e32 v16, v16, v17
	s_delay_alu instid0(VALU_DEP_1)
	v_cvt_f64_f32_e32 v[16:17], v16
	global_store_b64 v[20:21], v[16:17], off
.LBB126_140:
	s_or_b32 exec_lo, exec_lo, s8
	v_add_nc_u32_e32 v22, 64, v19
	s_delay_alu instid0(VALU_DEP_1) | instskip(SKIP_2) | instid1(VALU_DEP_3)
	v_mad_i64_i32 v[16:17], null, v22, s20, 0
	v_mad_i64_i32 v[20:21], null, v22, s18, 0
	v_cmp_gt_i32_e64 s8, s17, v22
	v_lshlrev_b64 v[16:17], 3, v[16:17]
	s_delay_alu instid0(VALU_DEP_2) | instskip(NEXT) | instid1(VALU_DEP_3)
	s_and_b32 s16, s0, s8
	v_lshlrev_b64 v[20:21], 3, v[20:21]
	s_delay_alu instid0(VALU_DEP_2) | instskip(NEXT) | instid1(VALU_DEP_3)
	v_add_co_u32 v24, vcc_lo, s12, v16
	v_add_co_ci_u32_e32 v23, vcc_lo, s13, v17, vcc_lo
	s_delay_alu instid0(VALU_DEP_3) | instskip(NEXT) | instid1(VALU_DEP_4)
	v_add_co_u32 v22, vcc_lo, s14, v20
	v_add_co_ci_u32_e32 v21, vcc_lo, s15, v21, vcc_lo
	s_and_saveexec_b32 s9, s16
	s_cbranch_execnz .LBB126_148
; %bb.141:
	s_or_b32 exec_lo, exec_lo, s9
	s_and_b32 s16, s1, s8
	s_delay_alu instid0(SALU_CYCLE_1)
	s_and_saveexec_b32 s9, s16
	s_cbranch_execnz .LBB126_152
.LBB126_142:
	s_or_b32 exec_lo, exec_lo, s9
	s_and_b32 s16, s2, s8
	s_delay_alu instid0(SALU_CYCLE_1)
	s_and_saveexec_b32 s9, s16
	s_cbranch_execnz .LBB126_156
.LBB126_143:
	s_or_b32 exec_lo, exec_lo, s9
	s_and_b32 s16, s3, s8
	s_delay_alu instid0(SALU_CYCLE_1)
	s_and_saveexec_b32 s9, s16
	s_cbranch_execnz .LBB126_160
.LBB126_144:
	s_or_b32 exec_lo, exec_lo, s9
	s_and_b32 s16, s4, s8
	s_delay_alu instid0(SALU_CYCLE_1)
	s_and_saveexec_b32 s9, s16
	s_cbranch_execnz .LBB126_164
.LBB126_145:
	s_or_b32 exec_lo, exec_lo, s9
	s_and_b32 s16, s5, s8
	s_delay_alu instid0(SALU_CYCLE_1)
	s_and_saveexec_b32 s9, s16
	s_cbranch_execnz .LBB126_168
.LBB126_146:
	s_or_b32 exec_lo, exec_lo, s9
	s_and_b32 s16, s6, s8
	s_delay_alu instid0(SALU_CYCLE_1)
	s_and_saveexec_b32 s9, s16
	s_cbranch_execnz .LBB126_172
.LBB126_147:
	s_or_b32 exec_lo, exec_lo, s9
	s_and_b32 s9, s7, s8
	s_delay_alu instid0(SALU_CYCLE_1)
	s_and_saveexec_b32 s8, s9
	s_cbranch_execnz .LBB126_176
	s_branch .LBB126_180
.LBB126_148:
	v_cmp_ne_u32_e32 vcc_lo, 1, v18
	v_mov_b32_e32 v20, v26
	s_cbranch_vccnz .LBB126_150
; %bb.149:
	v_lshlrev_b64 v[16:17], 3, v[0:1]
	s_delay_alu instid0(VALU_DEP_1) | instskip(NEXT) | instid1(VALU_DEP_2)
	v_add_co_u32 v16, vcc_lo, v24, v16
	v_add_co_ci_u32_e32 v17, vcc_lo, v23, v17, vcc_lo
	flat_load_b64 v[16:17], v[16:17]
	s_waitcnt vmcnt(0) lgkmcnt(0)
	v_mul_f64 v[16:17], s[10:11], v[16:17]
	s_branch .LBB126_151
.LBB126_150:
	v_mov_b32_e32 v16, 0
	v_mov_b32_e32 v17, 0
.LBB126_151:
	s_delay_alu instid0(VALU_DEP_1) | instskip(SKIP_2) | instid1(VALU_DEP_1)
	v_cvt_f32_f64_e32 v16, v[16:17]
	v_max_f32_e32 v17, v110, v110
	v_lshlrev_b64 v[25:26], 3, v[0:1]
	v_add_co_u32 v25, vcc_lo, v22, v25
	s_delay_alu instid0(VALU_DEP_2) | instskip(NEXT) | instid1(VALU_DEP_4)
	v_add_co_ci_u32_e32 v26, vcc_lo, v21, v26, vcc_lo
	v_min_f32_e32 v16, v16, v17
	s_delay_alu instid0(VALU_DEP_1) | instskip(SKIP_4) | instid1(SALU_CYCLE_1)
	v_cvt_f64_f32_e32 v[16:17], v16
	global_store_b64 v[25:26], v[16:17], off
	v_mov_b32_e32 v26, v20
	s_or_b32 exec_lo, exec_lo, s9
	s_and_b32 s16, s1, s8
	s_and_saveexec_b32 s9, s16
	s_cbranch_execz .LBB126_142
.LBB126_152:
	v_cmp_ne_u32_e32 vcc_lo, 1, v18
	v_mov_b32_e32 v20, v26
	s_cbranch_vccnz .LBB126_154
; %bb.153:
	v_lshlrev_b64 v[16:17], 3, v[2:3]
	s_delay_alu instid0(VALU_DEP_1) | instskip(NEXT) | instid1(VALU_DEP_2)
	v_add_co_u32 v16, vcc_lo, v24, v16
	v_add_co_ci_u32_e32 v17, vcc_lo, v23, v17, vcc_lo
	flat_load_b64 v[16:17], v[16:17]
	s_waitcnt vmcnt(0) lgkmcnt(0)
	v_mul_f64 v[16:17], s[10:11], v[16:17]
	s_branch .LBB126_155
.LBB126_154:
	v_mov_b32_e32 v16, 0
	v_mov_b32_e32 v17, 0
.LBB126_155:
	s_delay_alu instid0(VALU_DEP_1) | instskip(SKIP_2) | instid1(VALU_DEP_1)
	v_cvt_f32_f64_e32 v16, v[16:17]
	v_max_f32_e32 v17, v41, v41
	v_lshlrev_b64 v[25:26], 3, v[2:3]
	v_add_co_u32 v25, vcc_lo, v22, v25
	s_delay_alu instid0(VALU_DEP_2) | instskip(NEXT) | instid1(VALU_DEP_4)
	v_add_co_ci_u32_e32 v26, vcc_lo, v21, v26, vcc_lo
	v_min_f32_e32 v16, v16, v17
	s_delay_alu instid0(VALU_DEP_1) | instskip(SKIP_4) | instid1(SALU_CYCLE_1)
	v_cvt_f64_f32_e32 v[16:17], v16
	global_store_b64 v[25:26], v[16:17], off
	v_mov_b32_e32 v26, v20
	s_or_b32 exec_lo, exec_lo, s9
	s_and_b32 s16, s2, s8
	s_and_saveexec_b32 s9, s16
	s_cbranch_execz .LBB126_143
.LBB126_156:
	v_cmp_ne_u32_e32 vcc_lo, 1, v18
	v_mov_b32_e32 v20, v26
	s_cbranch_vccnz .LBB126_158
; %bb.157:
	v_lshlrev_b64 v[16:17], 3, v[4:5]
	s_delay_alu instid0(VALU_DEP_1) | instskip(NEXT) | instid1(VALU_DEP_2)
	v_add_co_u32 v16, vcc_lo, v24, v16
	v_add_co_ci_u32_e32 v17, vcc_lo, v23, v17, vcc_lo
	flat_load_b64 v[16:17], v[16:17]
	s_waitcnt vmcnt(0) lgkmcnt(0)
	v_mul_f64 v[16:17], s[10:11], v[16:17]
	s_branch .LBB126_159
.LBB126_158:
	v_mov_b32_e32 v16, 0
	v_mov_b32_e32 v17, 0
.LBB126_159:
	s_delay_alu instid0(VALU_DEP_1) | instskip(SKIP_2) | instid1(VALU_DEP_1)
	v_cvt_f32_f64_e32 v16, v[16:17]
	v_max_f32_e32 v17, v59, v59
	v_lshlrev_b64 v[25:26], 3, v[4:5]
	v_add_co_u32 v25, vcc_lo, v22, v25
	s_delay_alu instid0(VALU_DEP_2) | instskip(NEXT) | instid1(VALU_DEP_4)
	v_add_co_ci_u32_e32 v26, vcc_lo, v21, v26, vcc_lo
	v_min_f32_e32 v16, v16, v17
	s_delay_alu instid0(VALU_DEP_1) | instskip(SKIP_4) | instid1(SALU_CYCLE_1)
	v_cvt_f64_f32_e32 v[16:17], v16
	global_store_b64 v[25:26], v[16:17], off
	v_mov_b32_e32 v26, v20
	s_or_b32 exec_lo, exec_lo, s9
	s_and_b32 s16, s3, s8
	s_and_saveexec_b32 s9, s16
	s_cbranch_execz .LBB126_144
.LBB126_160:
	v_cmp_ne_u32_e32 vcc_lo, 1, v18
	v_mov_b32_e32 v20, v26
	s_cbranch_vccnz .LBB126_162
; %bb.161:
	v_lshlrev_b64 v[16:17], 3, v[6:7]
	s_delay_alu instid0(VALU_DEP_1) | instskip(NEXT) | instid1(VALU_DEP_2)
	v_add_co_u32 v16, vcc_lo, v24, v16
	v_add_co_ci_u32_e32 v17, vcc_lo, v23, v17, vcc_lo
	flat_load_b64 v[16:17], v[16:17]
	s_waitcnt vmcnt(0) lgkmcnt(0)
	v_mul_f64 v[16:17], s[10:11], v[16:17]
	s_branch .LBB126_163
.LBB126_162:
	v_mov_b32_e32 v16, 0
	v_mov_b32_e32 v17, 0
.LBB126_163:
	s_delay_alu instid0(VALU_DEP_1) | instskip(SKIP_2) | instid1(VALU_DEP_1)
	v_cvt_f32_f64_e32 v16, v[16:17]
	v_max_f32_e32 v17, v58, v58
	v_lshlrev_b64 v[25:26], 3, v[6:7]
	v_add_co_u32 v25, vcc_lo, v22, v25
	s_delay_alu instid0(VALU_DEP_2) | instskip(NEXT) | instid1(VALU_DEP_4)
	v_add_co_ci_u32_e32 v26, vcc_lo, v21, v26, vcc_lo
	v_min_f32_e32 v16, v16, v17
	s_delay_alu instid0(VALU_DEP_1) | instskip(SKIP_4) | instid1(SALU_CYCLE_1)
	v_cvt_f64_f32_e32 v[16:17], v16
	global_store_b64 v[25:26], v[16:17], off
	v_mov_b32_e32 v26, v20
	s_or_b32 exec_lo, exec_lo, s9
	s_and_b32 s16, s4, s8
	s_and_saveexec_b32 s9, s16
	s_cbranch_execz .LBB126_145
.LBB126_164:
	v_cmp_ne_u32_e32 vcc_lo, 1, v18
	v_mov_b32_e32 v20, v26
	s_cbranch_vccnz .LBB126_166
; %bb.165:
	v_lshlrev_b64 v[16:17], 3, v[8:9]
	s_delay_alu instid0(VALU_DEP_1) | instskip(NEXT) | instid1(VALU_DEP_2)
	v_add_co_u32 v16, vcc_lo, v24, v16
	v_add_co_ci_u32_e32 v17, vcc_lo, v23, v17, vcc_lo
	flat_load_b64 v[16:17], v[16:17]
	s_waitcnt vmcnt(0) lgkmcnt(0)
	v_mul_f64 v[16:17], s[10:11], v[16:17]
	s_branch .LBB126_167
.LBB126_166:
	v_mov_b32_e32 v16, 0
	v_mov_b32_e32 v17, 0
.LBB126_167:
	s_delay_alu instid0(VALU_DEP_1) | instskip(SKIP_2) | instid1(VALU_DEP_1)
	v_cvt_f32_f64_e32 v16, v[16:17]
	v_max_f32_e32 v17, v81, v81
	v_lshlrev_b64 v[25:26], 3, v[8:9]
	v_add_co_u32 v25, vcc_lo, v22, v25
	s_delay_alu instid0(VALU_DEP_2) | instskip(NEXT) | instid1(VALU_DEP_4)
	v_add_co_ci_u32_e32 v26, vcc_lo, v21, v26, vcc_lo
	v_min_f32_e32 v16, v16, v17
	s_delay_alu instid0(VALU_DEP_1) | instskip(SKIP_4) | instid1(SALU_CYCLE_1)
	v_cvt_f64_f32_e32 v[16:17], v16
	global_store_b64 v[25:26], v[16:17], off
	v_mov_b32_e32 v26, v20
	s_or_b32 exec_lo, exec_lo, s9
	s_and_b32 s16, s5, s8
	s_and_saveexec_b32 s9, s16
	s_cbranch_execz .LBB126_146
.LBB126_168:
	v_cmp_ne_u32_e32 vcc_lo, 1, v18
	v_mov_b32_e32 v20, v26
	s_cbranch_vccnz .LBB126_170
; %bb.169:
	v_lshlrev_b64 v[16:17], 3, v[10:11]
	s_delay_alu instid0(VALU_DEP_1) | instskip(NEXT) | instid1(VALU_DEP_2)
	v_add_co_u32 v16, vcc_lo, v24, v16
	v_add_co_ci_u32_e32 v17, vcc_lo, v23, v17, vcc_lo
	flat_load_b64 v[16:17], v[16:17]
	s_waitcnt vmcnt(0) lgkmcnt(0)
	v_mul_f64 v[16:17], s[10:11], v[16:17]
	s_branch .LBB126_171
.LBB126_170:
	v_mov_b32_e32 v16, 0
	v_mov_b32_e32 v17, 0
.LBB126_171:
	s_delay_alu instid0(VALU_DEP_1) | instskip(SKIP_2) | instid1(VALU_DEP_1)
	v_cvt_f32_f64_e32 v16, v[16:17]
	v_max_f32_e32 v17, v80, v80
	v_lshlrev_b64 v[25:26], 3, v[10:11]
	v_add_co_u32 v25, vcc_lo, v22, v25
	s_delay_alu instid0(VALU_DEP_2) | instskip(NEXT) | instid1(VALU_DEP_4)
	v_add_co_ci_u32_e32 v26, vcc_lo, v21, v26, vcc_lo
	v_min_f32_e32 v16, v16, v17
	s_delay_alu instid0(VALU_DEP_1) | instskip(SKIP_4) | instid1(SALU_CYCLE_1)
	v_cvt_f64_f32_e32 v[16:17], v16
	global_store_b64 v[25:26], v[16:17], off
	v_mov_b32_e32 v26, v20
	s_or_b32 exec_lo, exec_lo, s9
	s_and_b32 s16, s6, s8
	s_and_saveexec_b32 s9, s16
	s_cbranch_execz .LBB126_147
.LBB126_172:
	v_cmp_ne_u32_e32 vcc_lo, 1, v18
	v_mov_b32_e32 v20, v26
	s_cbranch_vccnz .LBB126_174
; %bb.173:
	v_lshlrev_b64 v[16:17], 3, v[12:13]
	s_delay_alu instid0(VALU_DEP_1) | instskip(NEXT) | instid1(VALU_DEP_2)
	v_add_co_u32 v16, vcc_lo, v24, v16
	v_add_co_ci_u32_e32 v17, vcc_lo, v23, v17, vcc_lo
	flat_load_b64 v[16:17], v[16:17]
	s_waitcnt vmcnt(0) lgkmcnt(0)
	v_mul_f64 v[16:17], s[10:11], v[16:17]
	s_branch .LBB126_175
.LBB126_174:
	v_mov_b32_e32 v16, 0
	v_mov_b32_e32 v17, 0
.LBB126_175:
	s_delay_alu instid0(VALU_DEP_1) | instskip(SKIP_2) | instid1(VALU_DEP_1)
	v_cvt_f32_f64_e32 v16, v[16:17]
	v_max_f32_e32 v17, v57, v57
	v_lshlrev_b64 v[25:26], 3, v[12:13]
	v_add_co_u32 v25, vcc_lo, v22, v25
	s_delay_alu instid0(VALU_DEP_2) | instskip(NEXT) | instid1(VALU_DEP_4)
	v_add_co_ci_u32_e32 v26, vcc_lo, v21, v26, vcc_lo
	v_min_f32_e32 v16, v16, v17
	s_delay_alu instid0(VALU_DEP_1) | instskip(SKIP_4) | instid1(SALU_CYCLE_1)
	v_cvt_f64_f32_e32 v[16:17], v16
	global_store_b64 v[25:26], v[16:17], off
	v_mov_b32_e32 v26, v20
	s_or_b32 exec_lo, exec_lo, s9
	s_and_b32 s9, s7, s8
	s_and_saveexec_b32 s8, s9
	s_cbranch_execz .LBB126_180
.LBB126_176:
	v_cmp_ne_u32_e32 vcc_lo, 1, v18
	s_cbranch_vccnz .LBB126_178
; %bb.177:
	v_lshlrev_b64 v[16:17], 3, v[14:15]
	s_delay_alu instid0(VALU_DEP_1) | instskip(NEXT) | instid1(VALU_DEP_2)
	v_add_co_u32 v16, vcc_lo, v24, v16
	v_add_co_ci_u32_e32 v17, vcc_lo, v23, v17, vcc_lo
	flat_load_b64 v[16:17], v[16:17]
	s_waitcnt vmcnt(0) lgkmcnt(0)
	v_mul_f64 v[16:17], s[10:11], v[16:17]
	s_branch .LBB126_179
.LBB126_178:
	v_mov_b32_e32 v16, 0
	v_mov_b32_e32 v17, 0
.LBB126_179:
	s_delay_alu instid0(VALU_DEP_1) | instskip(SKIP_2) | instid1(VALU_DEP_1)
	v_cvt_f32_f64_e32 v16, v[16:17]
	v_max_f32_e32 v17, v56, v56
	v_lshlrev_b64 v[23:24], 3, v[14:15]
	v_add_co_u32 v20, vcc_lo, v22, v23
	s_delay_alu instid0(VALU_DEP_2) | instskip(NEXT) | instid1(VALU_DEP_4)
	v_add_co_ci_u32_e32 v21, vcc_lo, v21, v24, vcc_lo
	v_min_f32_e32 v16, v16, v17
	s_delay_alu instid0(VALU_DEP_1)
	v_cvt_f64_f32_e32 v[16:17], v16
	global_store_b64 v[20:21], v[16:17], off
.LBB126_180:
	s_or_b32 exec_lo, exec_lo, s8
	v_add_nc_u32_e32 v22, 0x60, v19
	s_delay_alu instid0(VALU_DEP_1) | instskip(SKIP_2) | instid1(VALU_DEP_3)
	v_mad_i64_i32 v[16:17], null, v22, s20, 0
	v_mad_i64_i32 v[20:21], null, v22, s18, 0
	v_cmp_gt_i32_e64 s8, s17, v22
	v_lshlrev_b64 v[16:17], 3, v[16:17]
	s_delay_alu instid0(VALU_DEP_2) | instskip(NEXT) | instid1(VALU_DEP_3)
	s_and_b32 s16, s0, s8
	v_lshlrev_b64 v[20:21], 3, v[20:21]
	s_delay_alu instid0(VALU_DEP_2) | instskip(NEXT) | instid1(VALU_DEP_3)
	v_add_co_u32 v24, vcc_lo, s12, v16
	v_add_co_ci_u32_e32 v23, vcc_lo, s13, v17, vcc_lo
	s_delay_alu instid0(VALU_DEP_3) | instskip(NEXT) | instid1(VALU_DEP_4)
	v_add_co_u32 v22, vcc_lo, s14, v20
	v_add_co_ci_u32_e32 v21, vcc_lo, s15, v21, vcc_lo
	s_and_saveexec_b32 s9, s16
	s_cbranch_execnz .LBB126_188
; %bb.181:
	s_or_b32 exec_lo, exec_lo, s9
	s_and_b32 s16, s1, s8
	s_delay_alu instid0(SALU_CYCLE_1)
	s_and_saveexec_b32 s9, s16
	s_cbranch_execnz .LBB126_192
.LBB126_182:
	s_or_b32 exec_lo, exec_lo, s9
	s_and_b32 s16, s2, s8
	s_delay_alu instid0(SALU_CYCLE_1)
	s_and_saveexec_b32 s9, s16
	s_cbranch_execnz .LBB126_196
.LBB126_183:
	s_or_b32 exec_lo, exec_lo, s9
	s_and_b32 s16, s3, s8
	s_delay_alu instid0(SALU_CYCLE_1)
	s_and_saveexec_b32 s9, s16
	s_cbranch_execnz .LBB126_200
.LBB126_184:
	s_or_b32 exec_lo, exec_lo, s9
	s_and_b32 s16, s4, s8
	s_delay_alu instid0(SALU_CYCLE_1)
	s_and_saveexec_b32 s9, s16
	s_cbranch_execnz .LBB126_204
.LBB126_185:
	s_or_b32 exec_lo, exec_lo, s9
	s_and_b32 s16, s5, s8
	s_delay_alu instid0(SALU_CYCLE_1)
	s_and_saveexec_b32 s9, s16
	s_cbranch_execnz .LBB126_208
.LBB126_186:
	s_or_b32 exec_lo, exec_lo, s9
	s_and_b32 s16, s6, s8
	s_delay_alu instid0(SALU_CYCLE_1)
	s_and_saveexec_b32 s9, s16
	s_cbranch_execnz .LBB126_212
.LBB126_187:
	s_or_b32 exec_lo, exec_lo, s9
	s_and_b32 s9, s7, s8
	s_delay_alu instid0(SALU_CYCLE_1)
	s_and_saveexec_b32 s8, s9
	s_cbranch_execnz .LBB126_216
	s_branch .LBB126_220
.LBB126_188:
	v_cmp_ne_u32_e32 vcc_lo, 1, v18
	v_mov_b32_e32 v20, v26
	s_cbranch_vccnz .LBB126_190
; %bb.189:
	v_lshlrev_b64 v[16:17], 3, v[0:1]
	s_delay_alu instid0(VALU_DEP_1) | instskip(NEXT) | instid1(VALU_DEP_2)
	v_add_co_u32 v16, vcc_lo, v24, v16
	v_add_co_ci_u32_e32 v17, vcc_lo, v23, v17, vcc_lo
	flat_load_b64 v[16:17], v[16:17]
	s_waitcnt vmcnt(0) lgkmcnt(0)
	v_mul_f64 v[16:17], s[10:11], v[16:17]
	s_branch .LBB126_191
.LBB126_190:
	v_mov_b32_e32 v16, 0
	v_mov_b32_e32 v17, 0
.LBB126_191:
	s_delay_alu instid0(VALU_DEP_1) | instskip(SKIP_2) | instid1(VALU_DEP_1)
	v_cvt_f32_f64_e32 v16, v[16:17]
	v_max_f32_e32 v17, v79, v79
	v_lshlrev_b64 v[25:26], 3, v[0:1]
	v_add_co_u32 v25, vcc_lo, v22, v25
	s_delay_alu instid0(VALU_DEP_2) | instskip(NEXT) | instid1(VALU_DEP_4)
	v_add_co_ci_u32_e32 v26, vcc_lo, v21, v26, vcc_lo
	v_min_f32_e32 v16, v16, v17
	s_delay_alu instid0(VALU_DEP_1) | instskip(SKIP_4) | instid1(SALU_CYCLE_1)
	v_cvt_f64_f32_e32 v[16:17], v16
	global_store_b64 v[25:26], v[16:17], off
	v_mov_b32_e32 v26, v20
	s_or_b32 exec_lo, exec_lo, s9
	s_and_b32 s16, s1, s8
	s_and_saveexec_b32 s9, s16
	s_cbranch_execz .LBB126_182
.LBB126_192:
	v_cmp_ne_u32_e32 vcc_lo, 1, v18
	v_mov_b32_e32 v20, v26
	s_cbranch_vccnz .LBB126_194
; %bb.193:
	v_lshlrev_b64 v[16:17], 3, v[2:3]
	s_delay_alu instid0(VALU_DEP_1) | instskip(NEXT) | instid1(VALU_DEP_2)
	v_add_co_u32 v16, vcc_lo, v24, v16
	v_add_co_ci_u32_e32 v17, vcc_lo, v23, v17, vcc_lo
	flat_load_b64 v[16:17], v[16:17]
	s_waitcnt vmcnt(0) lgkmcnt(0)
	v_mul_f64 v[16:17], s[10:11], v[16:17]
	s_branch .LBB126_195
.LBB126_194:
	v_mov_b32_e32 v16, 0
	v_mov_b32_e32 v17, 0
.LBB126_195:
	s_delay_alu instid0(VALU_DEP_1) | instskip(SKIP_2) | instid1(VALU_DEP_1)
	v_cvt_f32_f64_e32 v16, v[16:17]
	v_max_f32_e32 v17, v199, v199
	v_lshlrev_b64 v[25:26], 3, v[2:3]
	v_add_co_u32 v25, vcc_lo, v22, v25
	s_delay_alu instid0(VALU_DEP_2) | instskip(NEXT) | instid1(VALU_DEP_4)
	v_add_co_ci_u32_e32 v26, vcc_lo, v21, v26, vcc_lo
	v_min_f32_e32 v16, v16, v17
	s_delay_alu instid0(VALU_DEP_1) | instskip(SKIP_4) | instid1(SALU_CYCLE_1)
	v_cvt_f64_f32_e32 v[16:17], v16
	global_store_b64 v[25:26], v[16:17], off
	v_mov_b32_e32 v26, v20
	s_or_b32 exec_lo, exec_lo, s9
	s_and_b32 s16, s2, s8
	s_and_saveexec_b32 s9, s16
	s_cbranch_execz .LBB126_183
.LBB126_196:
	v_cmp_ne_u32_e32 vcc_lo, 1, v18
	v_mov_b32_e32 v20, v26
	s_cbranch_vccnz .LBB126_198
; %bb.197:
	v_lshlrev_b64 v[16:17], 3, v[4:5]
	s_delay_alu instid0(VALU_DEP_1) | instskip(NEXT) | instid1(VALU_DEP_2)
	v_add_co_u32 v16, vcc_lo, v24, v16
	v_add_co_ci_u32_e32 v17, vcc_lo, v23, v17, vcc_lo
	flat_load_b64 v[16:17], v[16:17]
	s_waitcnt vmcnt(0) lgkmcnt(0)
	v_mul_f64 v[16:17], s[10:11], v[16:17]
	s_branch .LBB126_199
.LBB126_198:
	v_mov_b32_e32 v16, 0
	v_mov_b32_e32 v17, 0
.LBB126_199:
	s_delay_alu instid0(VALU_DEP_1) | instskip(SKIP_2) | instid1(VALU_DEP_1)
	v_cvt_f32_f64_e32 v16, v[16:17]
	v_max_f32_e32 v17, v54, v54
	v_lshlrev_b64 v[25:26], 3, v[4:5]
	v_add_co_u32 v25, vcc_lo, v22, v25
	s_delay_alu instid0(VALU_DEP_2) | instskip(NEXT) | instid1(VALU_DEP_4)
	v_add_co_ci_u32_e32 v26, vcc_lo, v21, v26, vcc_lo
	v_min_f32_e32 v16, v16, v17
	s_delay_alu instid0(VALU_DEP_1) | instskip(SKIP_4) | instid1(SALU_CYCLE_1)
	v_cvt_f64_f32_e32 v[16:17], v16
	global_store_b64 v[25:26], v[16:17], off
	v_mov_b32_e32 v26, v20
	s_or_b32 exec_lo, exec_lo, s9
	s_and_b32 s16, s3, s8
	s_and_saveexec_b32 s9, s16
	s_cbranch_execz .LBB126_184
.LBB126_200:
	v_cmp_ne_u32_e32 vcc_lo, 1, v18
	s_cbranch_vccnz .LBB126_202
; %bb.201:
	v_lshlrev_b64 v[16:17], 3, v[6:7]
	s_delay_alu instid0(VALU_DEP_1) | instskip(NEXT) | instid1(VALU_DEP_2)
	v_add_co_u32 v16, vcc_lo, v24, v16
	v_add_co_ci_u32_e32 v17, vcc_lo, v23, v17, vcc_lo
	flat_load_b64 v[16:17], v[16:17]
	s_waitcnt vmcnt(0) lgkmcnt(0)
	v_mul_f64 v[16:17], s[10:11], v[16:17]
	s_branch .LBB126_203
.LBB126_202:
	v_mov_b32_e32 v16, 0
	v_mov_b32_e32 v17, 0
.LBB126_203:
	s_delay_alu instid0(VALU_DEP_1) | instskip(SKIP_2) | instid1(VALU_DEP_1)
	v_cvt_f32_f64_e32 v16, v[16:17]
	v_max_f32_e32 v17, v26, v26
	v_lshlrev_b64 v[25:26], 3, v[6:7]
	v_add_co_u32 v25, vcc_lo, v22, v25
	s_delay_alu instid0(VALU_DEP_2) | instskip(NEXT) | instid1(VALU_DEP_4)
	v_add_co_ci_u32_e32 v26, vcc_lo, v21, v26, vcc_lo
	v_min_f32_e32 v16, v16, v17
	s_delay_alu instid0(VALU_DEP_1) | instskip(SKIP_3) | instid1(SALU_CYCLE_1)
	v_cvt_f64_f32_e32 v[16:17], v16
	global_store_b64 v[25:26], v[16:17], off
	s_or_b32 exec_lo, exec_lo, s9
	s_and_b32 s16, s4, s8
	s_and_saveexec_b32 s9, s16
	s_cbranch_execz .LBB126_185
.LBB126_204:
	v_cmp_ne_u32_e32 vcc_lo, 1, v18
	s_cbranch_vccnz .LBB126_206
; %bb.205:
	v_lshlrev_b64 v[16:17], 3, v[8:9]
	s_delay_alu instid0(VALU_DEP_1) | instskip(NEXT) | instid1(VALU_DEP_2)
	v_add_co_u32 v16, vcc_lo, v24, v16
	v_add_co_ci_u32_e32 v17, vcc_lo, v23, v17, vcc_lo
	flat_load_b64 v[16:17], v[16:17]
	s_waitcnt vmcnt(0) lgkmcnt(0)
	v_mul_f64 v[16:17], s[10:11], v[16:17]
	s_branch .LBB126_207
.LBB126_206:
	v_mov_b32_e32 v16, 0
	v_mov_b32_e32 v17, 0
.LBB126_207:
	s_delay_alu instid0(VALU_DEP_1) | instskip(SKIP_2) | instid1(VALU_DEP_1)
	v_cvt_f32_f64_e32 v16, v[16:17]
	v_max_f32_e32 v17, v27, v27
	v_lshlrev_b64 v[25:26], 3, v[8:9]
	v_add_co_u32 v25, vcc_lo, v22, v25
	s_delay_alu instid0(VALU_DEP_2) | instskip(NEXT) | instid1(VALU_DEP_4)
	v_add_co_ci_u32_e32 v26, vcc_lo, v21, v26, vcc_lo
	v_min_f32_e32 v16, v16, v17
	s_delay_alu instid0(VALU_DEP_1) | instskip(SKIP_3) | instid1(SALU_CYCLE_1)
	v_cvt_f64_f32_e32 v[16:17], v16
	global_store_b64 v[25:26], v[16:17], off
	s_or_b32 exec_lo, exec_lo, s9
	s_and_b32 s16, s5, s8
	s_and_saveexec_b32 s9, s16
	s_cbranch_execz .LBB126_186
.LBB126_208:
	v_cmp_ne_u32_e32 vcc_lo, 1, v18
	s_cbranch_vccnz .LBB126_210
; %bb.209:
	v_lshlrev_b64 v[16:17], 3, v[10:11]
	s_delay_alu instid0(VALU_DEP_1) | instskip(NEXT) | instid1(VALU_DEP_2)
	v_add_co_u32 v16, vcc_lo, v24, v16
	v_add_co_ci_u32_e32 v17, vcc_lo, v23, v17, vcc_lo
	flat_load_b64 v[16:17], v[16:17]
	s_waitcnt vmcnt(0) lgkmcnt(0)
	v_mul_f64 v[16:17], s[10:11], v[16:17]
	s_branch .LBB126_211
.LBB126_210:
	v_mov_b32_e32 v16, 0
	v_mov_b32_e32 v17, 0
.LBB126_211:
	s_delay_alu instid0(VALU_DEP_1) | instskip(SKIP_2) | instid1(VALU_DEP_1)
	v_cvt_f32_f64_e32 v16, v[16:17]
	v_max_f32_e32 v17, v44, v44
	v_lshlrev_b64 v[25:26], 3, v[10:11]
	v_add_co_u32 v25, vcc_lo, v22, v25
	s_delay_alu instid0(VALU_DEP_2) | instskip(NEXT) | instid1(VALU_DEP_4)
	v_add_co_ci_u32_e32 v26, vcc_lo, v21, v26, vcc_lo
	v_min_f32_e32 v16, v16, v17
	s_delay_alu instid0(VALU_DEP_1) | instskip(SKIP_3) | instid1(SALU_CYCLE_1)
	v_cvt_f64_f32_e32 v[16:17], v16
	global_store_b64 v[25:26], v[16:17], off
	s_or_b32 exec_lo, exec_lo, s9
	s_and_b32 s16, s6, s8
	s_and_saveexec_b32 s9, s16
	s_cbranch_execz .LBB126_187
.LBB126_212:
	v_cmp_ne_u32_e32 vcc_lo, 1, v18
	s_cbranch_vccnz .LBB126_214
; %bb.213:
	v_lshlrev_b64 v[16:17], 3, v[12:13]
	s_delay_alu instid0(VALU_DEP_1) | instskip(NEXT) | instid1(VALU_DEP_2)
	v_add_co_u32 v16, vcc_lo, v24, v16
	v_add_co_ci_u32_e32 v17, vcc_lo, v23, v17, vcc_lo
	flat_load_b64 v[16:17], v[16:17]
	s_waitcnt vmcnt(0) lgkmcnt(0)
	v_mul_f64 v[16:17], s[10:11], v[16:17]
	s_branch .LBB126_215
.LBB126_214:
	v_mov_b32_e32 v16, 0
	v_mov_b32_e32 v17, 0
.LBB126_215:
	s_delay_alu instid0(VALU_DEP_1) | instskip(SKIP_2) | instid1(VALU_DEP_1)
	v_cvt_f32_f64_e32 v16, v[16:17]
	v_max_f32_e32 v17, v45, v45
	v_lshlrev_b64 v[25:26], 3, v[12:13]
	v_add_co_u32 v25, vcc_lo, v22, v25
	s_delay_alu instid0(VALU_DEP_2) | instskip(NEXT) | instid1(VALU_DEP_4)
	v_add_co_ci_u32_e32 v26, vcc_lo, v21, v26, vcc_lo
	v_min_f32_e32 v16, v16, v17
	s_delay_alu instid0(VALU_DEP_1) | instskip(SKIP_3) | instid1(SALU_CYCLE_1)
	v_cvt_f64_f32_e32 v[16:17], v16
	global_store_b64 v[25:26], v[16:17], off
	s_or_b32 exec_lo, exec_lo, s9
	s_and_b32 s9, s7, s8
	s_and_saveexec_b32 s8, s9
	s_cbranch_execz .LBB126_220
.LBB126_216:
	v_cmp_ne_u32_e32 vcc_lo, 1, v18
	s_cbranch_vccnz .LBB126_218
; %bb.217:
	v_lshlrev_b64 v[16:17], 3, v[14:15]
	s_delay_alu instid0(VALU_DEP_1) | instskip(NEXT) | instid1(VALU_DEP_2)
	v_add_co_u32 v16, vcc_lo, v24, v16
	v_add_co_ci_u32_e32 v17, vcc_lo, v23, v17, vcc_lo
	flat_load_b64 v[16:17], v[16:17]
	s_waitcnt vmcnt(0) lgkmcnt(0)
	v_mul_f64 v[16:17], s[10:11], v[16:17]
	s_branch .LBB126_219
.LBB126_218:
	v_mov_b32_e32 v16, 0
	v_mov_b32_e32 v17, 0
.LBB126_219:
	s_delay_alu instid0(VALU_DEP_1) | instskip(SKIP_2) | instid1(VALU_DEP_1)
	v_cvt_f32_f64_e32 v16, v[16:17]
	v_max_f32_e32 v17, v42, v42
	v_lshlrev_b64 v[23:24], 3, v[14:15]
	v_add_co_u32 v20, vcc_lo, v22, v23
	s_delay_alu instid0(VALU_DEP_2) | instskip(NEXT) | instid1(VALU_DEP_4)
	v_add_co_ci_u32_e32 v21, vcc_lo, v21, v24, vcc_lo
	v_min_f32_e32 v16, v16, v17
	s_delay_alu instid0(VALU_DEP_1)
	v_cvt_f64_f32_e32 v[16:17], v16
	global_store_b64 v[20:21], v[16:17], off
.LBB126_220:
	s_or_b32 exec_lo, exec_lo, s8
	v_add_nc_u32_e32 v22, 0x80, v19
	s_delay_alu instid0(VALU_DEP_1) | instskip(SKIP_2) | instid1(VALU_DEP_3)
	v_mad_i64_i32 v[16:17], null, v22, s20, 0
	v_mad_i64_i32 v[20:21], null, v22, s18, 0
	v_cmp_gt_i32_e64 s8, s17, v22
	v_lshlrev_b64 v[16:17], 3, v[16:17]
	s_delay_alu instid0(VALU_DEP_2) | instskip(NEXT) | instid1(VALU_DEP_3)
	s_and_b32 s16, s0, s8
	v_lshlrev_b64 v[20:21], 3, v[20:21]
	s_delay_alu instid0(VALU_DEP_2) | instskip(NEXT) | instid1(VALU_DEP_3)
	v_add_co_u32 v24, vcc_lo, s12, v16
	v_add_co_ci_u32_e32 v23, vcc_lo, s13, v17, vcc_lo
	s_delay_alu instid0(VALU_DEP_3) | instskip(NEXT) | instid1(VALU_DEP_4)
	v_add_co_u32 v22, vcc_lo, s14, v20
	v_add_co_ci_u32_e32 v21, vcc_lo, s15, v21, vcc_lo
	s_and_saveexec_b32 s9, s16
	s_cbranch_execnz .LBB126_228
; %bb.221:
	s_or_b32 exec_lo, exec_lo, s9
	s_and_b32 s16, s1, s8
	s_delay_alu instid0(SALU_CYCLE_1)
	s_and_saveexec_b32 s9, s16
	s_cbranch_execnz .LBB126_232
.LBB126_222:
	s_or_b32 exec_lo, exec_lo, s9
	s_and_b32 s16, s2, s8
	s_delay_alu instid0(SALU_CYCLE_1)
	s_and_saveexec_b32 s9, s16
	s_cbranch_execnz .LBB126_236
.LBB126_223:
	s_or_b32 exec_lo, exec_lo, s9
	s_and_b32 s16, s3, s8
	s_delay_alu instid0(SALU_CYCLE_1)
	s_and_saveexec_b32 s9, s16
	s_cbranch_execnz .LBB126_240
.LBB126_224:
	s_or_b32 exec_lo, exec_lo, s9
	s_and_b32 s16, s4, s8
	s_delay_alu instid0(SALU_CYCLE_1)
	s_and_saveexec_b32 s9, s16
	s_cbranch_execnz .LBB126_244
.LBB126_225:
	s_or_b32 exec_lo, exec_lo, s9
	s_and_b32 s16, s5, s8
	s_delay_alu instid0(SALU_CYCLE_1)
	s_and_saveexec_b32 s9, s16
	s_cbranch_execnz .LBB126_248
.LBB126_226:
	s_or_b32 exec_lo, exec_lo, s9
	s_and_b32 s16, s6, s8
	s_delay_alu instid0(SALU_CYCLE_1)
	s_and_saveexec_b32 s9, s16
	s_cbranch_execnz .LBB126_252
.LBB126_227:
	s_or_b32 exec_lo, exec_lo, s9
	s_and_b32 s9, s7, s8
	s_delay_alu instid0(SALU_CYCLE_1)
	s_and_saveexec_b32 s8, s9
	s_cbranch_execnz .LBB126_256
	s_branch .LBB126_260
.LBB126_228:
	v_cmp_ne_u32_e32 vcc_lo, 1, v18
	s_cbranch_vccnz .LBB126_230
; %bb.229:
	v_lshlrev_b64 v[16:17], 3, v[0:1]
	s_delay_alu instid0(VALU_DEP_1) | instskip(NEXT) | instid1(VALU_DEP_2)
	v_add_co_u32 v16, vcc_lo, v24, v16
	v_add_co_ci_u32_e32 v17, vcc_lo, v23, v17, vcc_lo
	flat_load_b64 v[16:17], v[16:17]
	s_waitcnt vmcnt(0) lgkmcnt(0)
	v_mul_f64 v[16:17], s[10:11], v[16:17]
	s_branch .LBB126_231
.LBB126_230:
	v_mov_b32_e32 v16, 0
	v_mov_b32_e32 v17, 0
.LBB126_231:
	s_delay_alu instid0(VALU_DEP_1) | instskip(SKIP_2) | instid1(VALU_DEP_1)
	v_cvt_f32_f64_e32 v16, v[16:17]
	v_max_f32_e32 v17, v43, v43
	v_lshlrev_b64 v[25:26], 3, v[0:1]
	v_add_co_u32 v25, vcc_lo, v22, v25
	s_delay_alu instid0(VALU_DEP_2) | instskip(NEXT) | instid1(VALU_DEP_4)
	v_add_co_ci_u32_e32 v26, vcc_lo, v21, v26, vcc_lo
	v_min_f32_e32 v16, v16, v17
	s_delay_alu instid0(VALU_DEP_1) | instskip(SKIP_3) | instid1(SALU_CYCLE_1)
	v_cvt_f64_f32_e32 v[16:17], v16
	global_store_b64 v[25:26], v[16:17], off
	s_or_b32 exec_lo, exec_lo, s9
	s_and_b32 s16, s1, s8
	s_and_saveexec_b32 s9, s16
	s_cbranch_execz .LBB126_222
.LBB126_232:
	v_cmp_ne_u32_e32 vcc_lo, 1, v18
	s_cbranch_vccnz .LBB126_234
; %bb.233:
	v_lshlrev_b64 v[16:17], 3, v[2:3]
	s_delay_alu instid0(VALU_DEP_1) | instskip(NEXT) | instid1(VALU_DEP_2)
	v_add_co_u32 v16, vcc_lo, v24, v16
	v_add_co_ci_u32_e32 v17, vcc_lo, v23, v17, vcc_lo
	flat_load_b64 v[16:17], v[16:17]
	s_waitcnt vmcnt(0) lgkmcnt(0)
	v_mul_f64 v[16:17], s[10:11], v[16:17]
	s_branch .LBB126_235
.LBB126_234:
	v_mov_b32_e32 v16, 0
	v_mov_b32_e32 v17, 0
.LBB126_235:
	s_delay_alu instid0(VALU_DEP_1) | instskip(SKIP_2) | instid1(VALU_DEP_1)
	v_cvt_f32_f64_e32 v16, v[16:17]
	v_max_f32_e32 v17, v135, v135
	v_lshlrev_b64 v[25:26], 3, v[2:3]
	v_add_co_u32 v25, vcc_lo, v22, v25
	s_delay_alu instid0(VALU_DEP_2) | instskip(NEXT) | instid1(VALU_DEP_4)
	v_add_co_ci_u32_e32 v26, vcc_lo, v21, v26, vcc_lo
	v_min_f32_e32 v16, v16, v17
	s_delay_alu instid0(VALU_DEP_1) | instskip(SKIP_3) | instid1(SALU_CYCLE_1)
	v_cvt_f64_f32_e32 v[16:17], v16
	global_store_b64 v[25:26], v[16:17], off
	s_or_b32 exec_lo, exec_lo, s9
	s_and_b32 s16, s2, s8
	s_and_saveexec_b32 s9, s16
	s_cbranch_execz .LBB126_223
.LBB126_236:
	v_cmp_ne_u32_e32 vcc_lo, 1, v18
	s_cbranch_vccnz .LBB126_238
; %bb.237:
	v_lshlrev_b64 v[16:17], 3, v[4:5]
	s_delay_alu instid0(VALU_DEP_1) | instskip(NEXT) | instid1(VALU_DEP_2)
	v_add_co_u32 v16, vcc_lo, v24, v16
	v_add_co_ci_u32_e32 v17, vcc_lo, v23, v17, vcc_lo
	flat_load_b64 v[16:17], v[16:17]
	s_waitcnt vmcnt(0) lgkmcnt(0)
	v_mul_f64 v[16:17], s[10:11], v[16:17]
	s_branch .LBB126_239
.LBB126_238:
	v_mov_b32_e32 v16, 0
	v_mov_b32_e32 v17, 0
.LBB126_239:
	s_delay_alu instid0(VALU_DEP_1) | instskip(SKIP_2) | instid1(VALU_DEP_1)
	v_cvt_f32_f64_e32 v16, v[16:17]
	v_max_f32_e32 v17, v134, v134
	v_lshlrev_b64 v[25:26], 3, v[4:5]
	v_add_co_u32 v25, vcc_lo, v22, v25
	s_delay_alu instid0(VALU_DEP_2) | instskip(NEXT) | instid1(VALU_DEP_4)
	v_add_co_ci_u32_e32 v26, vcc_lo, v21, v26, vcc_lo
	v_min_f32_e32 v16, v16, v17
	s_delay_alu instid0(VALU_DEP_1) | instskip(SKIP_3) | instid1(SALU_CYCLE_1)
	v_cvt_f64_f32_e32 v[16:17], v16
	global_store_b64 v[25:26], v[16:17], off
	s_or_b32 exec_lo, exec_lo, s9
	s_and_b32 s16, s3, s8
	s_and_saveexec_b32 s9, s16
	s_cbranch_execz .LBB126_224
.LBB126_240:
	v_cmp_ne_u32_e32 vcc_lo, 1, v18
	s_cbranch_vccnz .LBB126_242
; %bb.241:
	v_lshlrev_b64 v[16:17], 3, v[6:7]
	s_delay_alu instid0(VALU_DEP_1) | instskip(NEXT) | instid1(VALU_DEP_2)
	v_add_co_u32 v16, vcc_lo, v24, v16
	v_add_co_ci_u32_e32 v17, vcc_lo, v23, v17, vcc_lo
	flat_load_b64 v[16:17], v[16:17]
	s_waitcnt vmcnt(0) lgkmcnt(0)
	v_mul_f64 v[16:17], s[10:11], v[16:17]
	s_branch .LBB126_243
.LBB126_242:
	v_mov_b32_e32 v16, 0
	v_mov_b32_e32 v17, 0
.LBB126_243:
	s_delay_alu instid0(VALU_DEP_1) | instskip(SKIP_2) | instid1(VALU_DEP_1)
	v_cvt_f32_f64_e32 v16, v[16:17]
	v_max_f32_e32 v17, v109, v109
	v_lshlrev_b64 v[25:26], 3, v[6:7]
	v_add_co_u32 v25, vcc_lo, v22, v25
	s_delay_alu instid0(VALU_DEP_2) | instskip(NEXT) | instid1(VALU_DEP_4)
	v_add_co_ci_u32_e32 v26, vcc_lo, v21, v26, vcc_lo
	v_min_f32_e32 v16, v16, v17
	s_delay_alu instid0(VALU_DEP_1) | instskip(SKIP_3) | instid1(SALU_CYCLE_1)
	v_cvt_f64_f32_e32 v[16:17], v16
	global_store_b64 v[25:26], v[16:17], off
	s_or_b32 exec_lo, exec_lo, s9
	s_and_b32 s16, s4, s8
	s_and_saveexec_b32 s9, s16
	s_cbranch_execz .LBB126_225
.LBB126_244:
	v_cmp_ne_u32_e32 vcc_lo, 1, v18
	s_cbranch_vccnz .LBB126_246
; %bb.245:
	v_lshlrev_b64 v[16:17], 3, v[8:9]
	s_delay_alu instid0(VALU_DEP_1) | instskip(NEXT) | instid1(VALU_DEP_2)
	v_add_co_u32 v16, vcc_lo, v24, v16
	v_add_co_ci_u32_e32 v17, vcc_lo, v23, v17, vcc_lo
	flat_load_b64 v[16:17], v[16:17]
	s_waitcnt vmcnt(0) lgkmcnt(0)
	v_mul_f64 v[16:17], s[10:11], v[16:17]
	s_branch .LBB126_247
.LBB126_246:
	v_mov_b32_e32 v16, 0
	v_mov_b32_e32 v17, 0
.LBB126_247:
	s_delay_alu instid0(VALU_DEP_1) | instskip(SKIP_2) | instid1(VALU_DEP_1)
	v_cvt_f32_f64_e32 v16, v[16:17]
	v_max_f32_e32 v17, v116, v116
	v_lshlrev_b64 v[25:26], 3, v[8:9]
	v_add_co_u32 v25, vcc_lo, v22, v25
	s_delay_alu instid0(VALU_DEP_2) | instskip(NEXT) | instid1(VALU_DEP_4)
	v_add_co_ci_u32_e32 v26, vcc_lo, v21, v26, vcc_lo
	v_min_f32_e32 v16, v16, v17
	s_delay_alu instid0(VALU_DEP_1) | instskip(SKIP_3) | instid1(SALU_CYCLE_1)
	v_cvt_f64_f32_e32 v[16:17], v16
	global_store_b64 v[25:26], v[16:17], off
	s_or_b32 exec_lo, exec_lo, s9
	s_and_b32 s16, s5, s8
	s_and_saveexec_b32 s9, s16
	s_cbranch_execz .LBB126_226
.LBB126_248:
	v_cmp_ne_u32_e32 vcc_lo, 1, v18
	s_cbranch_vccnz .LBB126_250
; %bb.249:
	v_lshlrev_b64 v[16:17], 3, v[10:11]
	s_delay_alu instid0(VALU_DEP_1) | instskip(NEXT) | instid1(VALU_DEP_2)
	v_add_co_u32 v16, vcc_lo, v24, v16
	v_add_co_ci_u32_e32 v17, vcc_lo, v23, v17, vcc_lo
	flat_load_b64 v[16:17], v[16:17]
	s_waitcnt vmcnt(0) lgkmcnt(0)
	v_mul_f64 v[16:17], s[10:11], v[16:17]
	s_branch .LBB126_251
.LBB126_250:
	v_mov_b32_e32 v16, 0
	v_mov_b32_e32 v17, 0
.LBB126_251:
	s_delay_alu instid0(VALU_DEP_1) | instskip(SKIP_2) | instid1(VALU_DEP_1)
	v_cvt_f32_f64_e32 v16, v[16:17]
	v_max_f32_e32 v17, v129, v129
	v_lshlrev_b64 v[25:26], 3, v[10:11]
	v_add_co_u32 v25, vcc_lo, v22, v25
	s_delay_alu instid0(VALU_DEP_2) | instskip(NEXT) | instid1(VALU_DEP_4)
	v_add_co_ci_u32_e32 v26, vcc_lo, v21, v26, vcc_lo
	v_min_f32_e32 v16, v16, v17
	s_delay_alu instid0(VALU_DEP_1) | instskip(SKIP_3) | instid1(SALU_CYCLE_1)
	v_cvt_f64_f32_e32 v[16:17], v16
	global_store_b64 v[25:26], v[16:17], off
	s_or_b32 exec_lo, exec_lo, s9
	s_and_b32 s16, s6, s8
	s_and_saveexec_b32 s9, s16
	s_cbranch_execz .LBB126_227
.LBB126_252:
	v_cmp_ne_u32_e32 vcc_lo, 1, v18
	s_cbranch_vccnz .LBB126_254
; %bb.253:
	v_lshlrev_b64 v[16:17], 3, v[12:13]
	s_delay_alu instid0(VALU_DEP_1) | instskip(NEXT) | instid1(VALU_DEP_2)
	v_add_co_u32 v16, vcc_lo, v24, v16
	v_add_co_ci_u32_e32 v17, vcc_lo, v23, v17, vcc_lo
	flat_load_b64 v[16:17], v[16:17]
	s_waitcnt vmcnt(0) lgkmcnt(0)
	v_mul_f64 v[16:17], s[10:11], v[16:17]
	s_branch .LBB126_255
.LBB126_254:
	v_mov_b32_e32 v16, 0
	v_mov_b32_e32 v17, 0
.LBB126_255:
	s_delay_alu instid0(VALU_DEP_1) | instskip(SKIP_2) | instid1(VALU_DEP_1)
	v_cvt_f32_f64_e32 v16, v[16:17]
	v_max_f32_e32 v17, v46, v46
	v_lshlrev_b64 v[25:26], 3, v[12:13]
	v_add_co_u32 v25, vcc_lo, v22, v25
	s_delay_alu instid0(VALU_DEP_2) | instskip(NEXT) | instid1(VALU_DEP_4)
	v_add_co_ci_u32_e32 v26, vcc_lo, v21, v26, vcc_lo
	v_min_f32_e32 v16, v16, v17
	s_delay_alu instid0(VALU_DEP_1) | instskip(SKIP_3) | instid1(SALU_CYCLE_1)
	v_cvt_f64_f32_e32 v[16:17], v16
	global_store_b64 v[25:26], v[16:17], off
	s_or_b32 exec_lo, exec_lo, s9
	s_and_b32 s9, s7, s8
	s_and_saveexec_b32 s8, s9
	s_cbranch_execz .LBB126_260
.LBB126_256:
	v_cmp_ne_u32_e32 vcc_lo, 1, v18
	s_cbranch_vccnz .LBB126_258
; %bb.257:
	v_lshlrev_b64 v[16:17], 3, v[14:15]
	s_delay_alu instid0(VALU_DEP_1) | instskip(NEXT) | instid1(VALU_DEP_2)
	v_add_co_u32 v16, vcc_lo, v24, v16
	v_add_co_ci_u32_e32 v17, vcc_lo, v23, v17, vcc_lo
	flat_load_b64 v[16:17], v[16:17]
	s_waitcnt vmcnt(0) lgkmcnt(0)
	v_mul_f64 v[16:17], s[10:11], v[16:17]
	s_branch .LBB126_259
.LBB126_258:
	v_mov_b32_e32 v16, 0
	v_mov_b32_e32 v17, 0
.LBB126_259:
	s_delay_alu instid0(VALU_DEP_1) | instskip(SKIP_2) | instid1(VALU_DEP_1)
	v_cvt_f32_f64_e32 v16, v[16:17]
	v_max_f32_e32 v17, v121, v121
	v_lshlrev_b64 v[23:24], 3, v[14:15]
	v_add_co_u32 v20, vcc_lo, v22, v23
	s_delay_alu instid0(VALU_DEP_2) | instskip(NEXT) | instid1(VALU_DEP_4)
	v_add_co_ci_u32_e32 v21, vcc_lo, v21, v24, vcc_lo
	v_min_f32_e32 v16, v16, v17
	s_delay_alu instid0(VALU_DEP_1)
	v_cvt_f64_f32_e32 v[16:17], v16
	global_store_b64 v[20:21], v[16:17], off
.LBB126_260:
	s_or_b32 exec_lo, exec_lo, s8
	v_add_nc_u32_e32 v22, 0xa0, v19
	s_delay_alu instid0(VALU_DEP_1) | instskip(SKIP_2) | instid1(VALU_DEP_3)
	v_mad_i64_i32 v[16:17], null, v22, s20, 0
	v_mad_i64_i32 v[20:21], null, v22, s18, 0
	v_cmp_gt_i32_e64 s8, s17, v22
	v_lshlrev_b64 v[16:17], 3, v[16:17]
	s_delay_alu instid0(VALU_DEP_2) | instskip(NEXT) | instid1(VALU_DEP_3)
	s_and_b32 s16, s0, s8
	v_lshlrev_b64 v[20:21], 3, v[20:21]
	s_delay_alu instid0(VALU_DEP_2) | instskip(NEXT) | instid1(VALU_DEP_3)
	v_add_co_u32 v24, vcc_lo, s12, v16
	v_add_co_ci_u32_e32 v23, vcc_lo, s13, v17, vcc_lo
	s_delay_alu instid0(VALU_DEP_3) | instskip(NEXT) | instid1(VALU_DEP_4)
	v_add_co_u32 v20, vcc_lo, s14, v20
	v_add_co_ci_u32_e32 v21, vcc_lo, s15, v21, vcc_lo
	s_and_saveexec_b32 s9, s16
	s_cbranch_execnz .LBB126_268
; %bb.261:
	s_or_b32 exec_lo, exec_lo, s9
	s_and_b32 s16, s1, s8
	s_delay_alu instid0(SALU_CYCLE_1)
	s_and_saveexec_b32 s9, s16
	s_cbranch_execnz .LBB126_272
.LBB126_262:
	s_or_b32 exec_lo, exec_lo, s9
	s_and_b32 s16, s2, s8
	s_delay_alu instid0(SALU_CYCLE_1)
	s_and_saveexec_b32 s9, s16
	s_cbranch_execnz .LBB126_276
.LBB126_263:
	s_or_b32 exec_lo, exec_lo, s9
	s_and_b32 s16, s3, s8
	s_delay_alu instid0(SALU_CYCLE_1)
	s_and_saveexec_b32 s9, s16
	s_cbranch_execnz .LBB126_280
.LBB126_264:
	s_or_b32 exec_lo, exec_lo, s9
	s_and_b32 s16, s4, s8
	s_delay_alu instid0(SALU_CYCLE_1)
	s_and_saveexec_b32 s9, s16
	s_cbranch_execnz .LBB126_284
.LBB126_265:
	s_or_b32 exec_lo, exec_lo, s9
	s_and_b32 s16, s5, s8
	s_delay_alu instid0(SALU_CYCLE_1)
	s_and_saveexec_b32 s9, s16
	s_cbranch_execnz .LBB126_288
.LBB126_266:
	s_or_b32 exec_lo, exec_lo, s9
	s_and_b32 s16, s6, s8
	s_delay_alu instid0(SALU_CYCLE_1)
	s_and_saveexec_b32 s9, s16
	s_cbranch_execnz .LBB126_292
.LBB126_267:
	s_or_b32 exec_lo, exec_lo, s9
	s_and_b32 s9, s7, s8
	s_delay_alu instid0(SALU_CYCLE_1)
	s_and_saveexec_b32 s8, s9
	s_cbranch_execnz .LBB126_296
	s_branch .LBB126_300
.LBB126_268:
	v_cmp_ne_u32_e32 vcc_lo, 1, v18
	s_cbranch_vccnz .LBB126_270
; %bb.269:
	v_lshlrev_b64 v[16:17], 3, v[0:1]
	s_delay_alu instid0(VALU_DEP_1) | instskip(NEXT) | instid1(VALU_DEP_2)
	v_add_co_u32 v16, vcc_lo, v24, v16
	v_add_co_ci_u32_e32 v17, vcc_lo, v23, v17, vcc_lo
	flat_load_b64 v[16:17], v[16:17]
	s_waitcnt vmcnt(0) lgkmcnt(0)
	v_mul_f64 v[16:17], s[10:11], v[16:17]
	s_branch .LBB126_271
.LBB126_270:
	v_mov_b32_e32 v16, 0
	v_mov_b32_e32 v17, 0
.LBB126_271:
	s_delay_alu instid0(VALU_DEP_1) | instskip(SKIP_2) | instid1(VALU_DEP_1)
	v_cvt_f32_f64_e32 v16, v[16:17]
	v_max_f32_e32 v17, v120, v120
	v_lshlrev_b64 v[25:26], 3, v[0:1]
	v_add_co_u32 v25, vcc_lo, v20, v25
	s_delay_alu instid0(VALU_DEP_2) | instskip(NEXT) | instid1(VALU_DEP_4)
	v_add_co_ci_u32_e32 v26, vcc_lo, v21, v26, vcc_lo
	v_min_f32_e32 v16, v16, v17
	s_delay_alu instid0(VALU_DEP_1) | instskip(SKIP_3) | instid1(SALU_CYCLE_1)
	v_cvt_f64_f32_e32 v[16:17], v16
	global_store_b64 v[25:26], v[16:17], off
	s_or_b32 exec_lo, exec_lo, s9
	s_and_b32 s16, s1, s8
	s_and_saveexec_b32 s9, s16
	s_cbranch_execz .LBB126_262
.LBB126_272:
	v_cmp_ne_u32_e32 vcc_lo, 1, v18
	s_cbranch_vccnz .LBB126_274
; %bb.273:
	v_lshlrev_b64 v[16:17], 3, v[2:3]
	s_delay_alu instid0(VALU_DEP_1) | instskip(NEXT) | instid1(VALU_DEP_2)
	v_add_co_u32 v16, vcc_lo, v24, v16
	v_add_co_ci_u32_e32 v17, vcc_lo, v23, v17, vcc_lo
	flat_load_b64 v[16:17], v[16:17]
	s_waitcnt vmcnt(0) lgkmcnt(0)
	v_mul_f64 v[16:17], s[10:11], v[16:17]
	s_branch .LBB126_275
.LBB126_274:
	v_mov_b32_e32 v16, 0
	v_mov_b32_e32 v17, 0
.LBB126_275:
	s_delay_alu instid0(VALU_DEP_1) | instskip(SKIP_2) | instid1(VALU_DEP_1)
	v_cvt_f32_f64_e32 v16, v[16:17]
	v_max_f32_e32 v17, v31, v31
	v_lshlrev_b64 v[25:26], 3, v[2:3]
	v_add_co_u32 v25, vcc_lo, v20, v25
	s_delay_alu instid0(VALU_DEP_2) | instskip(NEXT) | instid1(VALU_DEP_4)
	v_add_co_ci_u32_e32 v26, vcc_lo, v21, v26, vcc_lo
	v_min_f32_e32 v16, v16, v17
	s_delay_alu instid0(VALU_DEP_1) | instskip(SKIP_3) | instid1(SALU_CYCLE_1)
	v_cvt_f64_f32_e32 v[16:17], v16
	global_store_b64 v[25:26], v[16:17], off
	s_or_b32 exec_lo, exec_lo, s9
	s_and_b32 s16, s2, s8
	s_and_saveexec_b32 s9, s16
	s_cbranch_execz .LBB126_263
.LBB126_276:
	v_cmp_ne_u32_e32 vcc_lo, 1, v18
	s_cbranch_vccnz .LBB126_278
; %bb.277:
	v_lshlrev_b64 v[16:17], 3, v[4:5]
	s_delay_alu instid0(VALU_DEP_1) | instskip(NEXT) | instid1(VALU_DEP_2)
	v_add_co_u32 v16, vcc_lo, v24, v16
	v_add_co_ci_u32_e32 v17, vcc_lo, v23, v17, vcc_lo
	flat_load_b64 v[16:17], v[16:17]
	s_waitcnt vmcnt(0) lgkmcnt(0)
	v_mul_f64 v[16:17], s[10:11], v[16:17]
	s_branch .LBB126_279
.LBB126_278:
	v_mov_b32_e32 v16, 0
	v_mov_b32_e32 v17, 0
.LBB126_279:
	s_delay_alu instid0(VALU_DEP_1) | instskip(SKIP_2) | instid1(VALU_DEP_1)
	v_cvt_f32_f64_e32 v16, v[16:17]
	v_max_f32_e32 v17, v118, v118
	v_lshlrev_b64 v[25:26], 3, v[4:5]
	v_add_co_u32 v25, vcc_lo, v20, v25
	s_delay_alu instid0(VALU_DEP_2) | instskip(NEXT) | instid1(VALU_DEP_4)
	v_add_co_ci_u32_e32 v26, vcc_lo, v21, v26, vcc_lo
	v_min_f32_e32 v16, v16, v17
	s_delay_alu instid0(VALU_DEP_1) | instskip(SKIP_3) | instid1(SALU_CYCLE_1)
	v_cvt_f64_f32_e32 v[16:17], v16
	global_store_b64 v[25:26], v[16:17], off
	s_or_b32 exec_lo, exec_lo, s9
	s_and_b32 s16, s3, s8
	s_and_saveexec_b32 s9, s16
	s_cbranch_execz .LBB126_264
.LBB126_280:
	v_cmp_ne_u32_e32 vcc_lo, 1, v18
	s_cbranch_vccnz .LBB126_282
; %bb.281:
	v_lshlrev_b64 v[16:17], 3, v[6:7]
	s_delay_alu instid0(VALU_DEP_1) | instskip(NEXT) | instid1(VALU_DEP_2)
	v_add_co_u32 v16, vcc_lo, v24, v16
	v_add_co_ci_u32_e32 v17, vcc_lo, v23, v17, vcc_lo
	flat_load_b64 v[16:17], v[16:17]
	s_waitcnt vmcnt(0) lgkmcnt(0)
	v_mul_f64 v[16:17], s[10:11], v[16:17]
	s_branch .LBB126_283
.LBB126_282:
	v_mov_b32_e32 v16, 0
	v_mov_b32_e32 v17, 0
.LBB126_283:
	s_delay_alu instid0(VALU_DEP_1) | instskip(SKIP_2) | instid1(VALU_DEP_1)
	v_cvt_f32_f64_e32 v16, v[16:17]
	v_max_f32_e32 v17, v113, v113
	v_lshlrev_b64 v[25:26], 3, v[6:7]
	v_add_co_u32 v25, vcc_lo, v20, v25
	s_delay_alu instid0(VALU_DEP_2) | instskip(NEXT) | instid1(VALU_DEP_4)
	v_add_co_ci_u32_e32 v26, vcc_lo, v21, v26, vcc_lo
	v_min_f32_e32 v16, v16, v17
	s_delay_alu instid0(VALU_DEP_1) | instskip(SKIP_3) | instid1(SALU_CYCLE_1)
	v_cvt_f64_f32_e32 v[16:17], v16
	global_store_b64 v[25:26], v[16:17], off
	s_or_b32 exec_lo, exec_lo, s9
	s_and_b32 s16, s4, s8
	s_and_saveexec_b32 s9, s16
	s_cbranch_execz .LBB126_265
.LBB126_284:
	v_cmp_ne_u32_e32 vcc_lo, 1, v18
	s_cbranch_vccnz .LBB126_286
; %bb.285:
	v_lshlrev_b64 v[16:17], 3, v[8:9]
	s_delay_alu instid0(VALU_DEP_1) | instskip(NEXT) | instid1(VALU_DEP_2)
	v_add_co_u32 v16, vcc_lo, v24, v16
	v_add_co_ci_u32_e32 v17, vcc_lo, v23, v17, vcc_lo
	flat_load_b64 v[16:17], v[16:17]
	s_waitcnt vmcnt(0) lgkmcnt(0)
	v_mul_f64 v[16:17], s[10:11], v[16:17]
	s_branch .LBB126_287
.LBB126_286:
	v_mov_b32_e32 v16, 0
	v_mov_b32_e32 v17, 0
.LBB126_287:
	s_delay_alu instid0(VALU_DEP_1) | instskip(SKIP_2) | instid1(VALU_DEP_1)
	v_cvt_f32_f64_e32 v16, v[16:17]
	v_max_f32_e32 v17, v192, v192
	v_lshlrev_b64 v[25:26], 3, v[8:9]
	v_add_co_u32 v25, vcc_lo, v20, v25
	s_delay_alu instid0(VALU_DEP_2) | instskip(NEXT) | instid1(VALU_DEP_4)
	v_add_co_ci_u32_e32 v26, vcc_lo, v21, v26, vcc_lo
	v_min_f32_e32 v16, v16, v17
	s_delay_alu instid0(VALU_DEP_1) | instskip(SKIP_3) | instid1(SALU_CYCLE_1)
	v_cvt_f64_f32_e32 v[16:17], v16
	global_store_b64 v[25:26], v[16:17], off
	s_or_b32 exec_lo, exec_lo, s9
	s_and_b32 s16, s5, s8
	s_and_saveexec_b32 s9, s16
	s_cbranch_execz .LBB126_266
.LBB126_288:
	v_cmp_ne_u32_e32 vcc_lo, 1, v18
	s_cbranch_vccnz .LBB126_290
; %bb.289:
	v_lshlrev_b64 v[16:17], 3, v[10:11]
	s_delay_alu instid0(VALU_DEP_1) | instskip(NEXT) | instid1(VALU_DEP_2)
	v_add_co_u32 v16, vcc_lo, v24, v16
	v_add_co_ci_u32_e32 v17, vcc_lo, v23, v17, vcc_lo
	flat_load_b64 v[16:17], v[16:17]
	s_waitcnt vmcnt(0) lgkmcnt(0)
	v_mul_f64 v[16:17], s[10:11], v[16:17]
	s_branch .LBB126_291
.LBB126_290:
	v_mov_b32_e32 v16, 0
	v_mov_b32_e32 v17, 0
.LBB126_291:
	s_delay_alu instid0(VALU_DEP_1) | instskip(SKIP_2) | instid1(VALU_DEP_1)
	v_cvt_f32_f64_e32 v16, v[16:17]
	v_max_f32_e32 v17, v55, v55
	v_lshlrev_b64 v[25:26], 3, v[10:11]
	v_add_co_u32 v25, vcc_lo, v20, v25
	s_delay_alu instid0(VALU_DEP_2) | instskip(NEXT) | instid1(VALU_DEP_4)
	v_add_co_ci_u32_e32 v26, vcc_lo, v21, v26, vcc_lo
	v_min_f32_e32 v16, v16, v17
	s_delay_alu instid0(VALU_DEP_1) | instskip(SKIP_3) | instid1(SALU_CYCLE_1)
	v_cvt_f64_f32_e32 v[16:17], v16
	global_store_b64 v[25:26], v[16:17], off
	s_or_b32 exec_lo, exec_lo, s9
	s_and_b32 s16, s6, s8
	s_and_saveexec_b32 s9, s16
	s_cbranch_execz .LBB126_267
.LBB126_292:
	v_cmp_ne_u32_e32 vcc_lo, 1, v18
	s_cbranch_vccnz .LBB126_294
; %bb.293:
	v_lshlrev_b64 v[16:17], 3, v[12:13]
	s_delay_alu instid0(VALU_DEP_1) | instskip(NEXT) | instid1(VALU_DEP_2)
	v_add_co_u32 v16, vcc_lo, v24, v16
	v_add_co_ci_u32_e32 v17, vcc_lo, v23, v17, vcc_lo
	flat_load_b64 v[16:17], v[16:17]
	s_waitcnt vmcnt(0) lgkmcnt(0)
	v_mul_f64 v[16:17], s[10:11], v[16:17]
	s_branch .LBB126_295
.LBB126_294:
	v_mov_b32_e32 v16, 0
	v_mov_b32_e32 v17, 0
.LBB126_295:
	s_delay_alu instid0(VALU_DEP_1) | instskip(SKIP_2) | instid1(VALU_DEP_1)
	v_cvt_f32_f64_e32 v16, v[16:17]
	v_max_f32_e32 v17, v38, v38
	v_lshlrev_b64 v[25:26], 3, v[12:13]
	v_add_co_u32 v25, vcc_lo, v20, v25
	s_delay_alu instid0(VALU_DEP_2) | instskip(NEXT) | instid1(VALU_DEP_4)
	v_add_co_ci_u32_e32 v26, vcc_lo, v21, v26, vcc_lo
	v_min_f32_e32 v16, v16, v17
	s_delay_alu instid0(VALU_DEP_1) | instskip(SKIP_3) | instid1(SALU_CYCLE_1)
	v_cvt_f64_f32_e32 v[16:17], v16
	global_store_b64 v[25:26], v[16:17], off
	s_or_b32 exec_lo, exec_lo, s9
	s_and_b32 s9, s7, s8
	s_and_saveexec_b32 s8, s9
	s_cbranch_execz .LBB126_300
.LBB126_296:
	v_cmp_ne_u32_e32 vcc_lo, 1, v18
	s_cbranch_vccnz .LBB126_298
; %bb.297:
	v_lshlrev_b64 v[16:17], 3, v[14:15]
	s_delay_alu instid0(VALU_DEP_1) | instskip(NEXT) | instid1(VALU_DEP_2)
	v_add_co_u32 v16, vcc_lo, v24, v16
	v_add_co_ci_u32_e32 v17, vcc_lo, v23, v17, vcc_lo
	flat_load_b64 v[16:17], v[16:17]
	s_waitcnt vmcnt(0) lgkmcnt(0)
	v_mul_f64 v[16:17], s[10:11], v[16:17]
	s_branch .LBB126_299
.LBB126_298:
	v_mov_b32_e32 v16, 0
	v_mov_b32_e32 v17, 0
.LBB126_299:
	s_delay_alu instid0(VALU_DEP_1) | instskip(SKIP_2) | instid1(VALU_DEP_1)
	v_cvt_f32_f64_e32 v16, v[16:17]
	v_max_f32_e32 v17, v137, v137
	v_lshlrev_b64 v[22:23], 3, v[14:15]
	v_add_co_u32 v20, vcc_lo, v20, v22
	s_delay_alu instid0(VALU_DEP_2) | instskip(NEXT) | instid1(VALU_DEP_4)
	v_add_co_ci_u32_e32 v21, vcc_lo, v21, v23, vcc_lo
	v_min_f32_e32 v16, v16, v17
	s_delay_alu instid0(VALU_DEP_1)
	v_cvt_f64_f32_e32 v[16:17], v16
	global_store_b64 v[20:21], v[16:17], off
.LBB126_300:
	s_or_b32 exec_lo, exec_lo, s8
	v_add_nc_u32_e32 v22, 0xc0, v19
	s_delay_alu instid0(VALU_DEP_1) | instskip(SKIP_2) | instid1(VALU_DEP_3)
	v_mad_i64_i32 v[16:17], null, v22, s20, 0
	v_mad_i64_i32 v[20:21], null, v22, s18, 0
	v_cmp_gt_i32_e64 s8, s17, v22
	v_lshlrev_b64 v[16:17], 3, v[16:17]
	s_delay_alu instid0(VALU_DEP_2) | instskip(NEXT) | instid1(VALU_DEP_3)
	s_and_b32 s16, s0, s8
	v_lshlrev_b64 v[20:21], 3, v[20:21]
	s_delay_alu instid0(VALU_DEP_2) | instskip(NEXT) | instid1(VALU_DEP_3)
	v_add_co_u32 v22, vcc_lo, s12, v16
	v_add_co_ci_u32_e32 v23, vcc_lo, s13, v17, vcc_lo
	s_delay_alu instid0(VALU_DEP_3) | instskip(NEXT) | instid1(VALU_DEP_4)
	v_add_co_u32 v20, vcc_lo, s14, v20
	v_add_co_ci_u32_e32 v21, vcc_lo, s15, v21, vcc_lo
	s_and_saveexec_b32 s9, s16
	s_cbranch_execnz .LBB126_308
; %bb.301:
	s_or_b32 exec_lo, exec_lo, s9
	s_and_b32 s16, s1, s8
	s_delay_alu instid0(SALU_CYCLE_1)
	s_and_saveexec_b32 s9, s16
	s_cbranch_execnz .LBB126_312
.LBB126_302:
	s_or_b32 exec_lo, exec_lo, s9
	s_and_b32 s16, s2, s8
	s_delay_alu instid0(SALU_CYCLE_1)
	s_and_saveexec_b32 s9, s16
	s_cbranch_execnz .LBB126_316
.LBB126_303:
	s_or_b32 exec_lo, exec_lo, s9
	s_and_b32 s16, s3, s8
	s_delay_alu instid0(SALU_CYCLE_1)
	s_and_saveexec_b32 s9, s16
	s_cbranch_execnz .LBB126_320
.LBB126_304:
	s_or_b32 exec_lo, exec_lo, s9
	s_and_b32 s16, s4, s8
	s_delay_alu instid0(SALU_CYCLE_1)
	s_and_saveexec_b32 s9, s16
	s_cbranch_execnz .LBB126_324
.LBB126_305:
	s_or_b32 exec_lo, exec_lo, s9
	s_and_b32 s16, s5, s8
	s_delay_alu instid0(SALU_CYCLE_1)
	s_and_saveexec_b32 s9, s16
	s_cbranch_execnz .LBB126_328
.LBB126_306:
	s_or_b32 exec_lo, exec_lo, s9
	s_and_b32 s16, s6, s8
	s_delay_alu instid0(SALU_CYCLE_1)
	s_and_saveexec_b32 s9, s16
	s_cbranch_execnz .LBB126_332
.LBB126_307:
	s_or_b32 exec_lo, exec_lo, s9
	s_and_b32 s9, s7, s8
	s_delay_alu instid0(SALU_CYCLE_1)
	s_and_saveexec_b32 s8, s9
	s_cbranch_execnz .LBB126_336
	s_branch .LBB126_340
.LBB126_308:
	v_cmp_ne_u32_e32 vcc_lo, 1, v18
	s_cbranch_vccnz .LBB126_310
; %bb.309:
	v_lshlrev_b64 v[16:17], 3, v[0:1]
	s_delay_alu instid0(VALU_DEP_1) | instskip(NEXT) | instid1(VALU_DEP_2)
	v_add_co_u32 v16, vcc_lo, v22, v16
	v_add_co_ci_u32_e32 v17, vcc_lo, v23, v17, vcc_lo
	flat_load_b64 v[16:17], v[16:17]
	s_waitcnt vmcnt(0) lgkmcnt(0)
	v_mul_f64 v[16:17], s[10:11], v[16:17]
	s_branch .LBB126_311
.LBB126_310:
	v_mov_b32_e32 v16, 0
	v_mov_b32_e32 v17, 0
.LBB126_311:
	s_delay_alu instid0(VALU_DEP_1) | instskip(SKIP_2) | instid1(VALU_DEP_1)
	v_cvt_f32_f64_e32 v16, v[16:17]
	v_max_f32_e32 v17, v115, v115
	v_lshlrev_b64 v[24:25], 3, v[0:1]
	v_add_co_u32 v24, vcc_lo, v20, v24
	s_delay_alu instid0(VALU_DEP_2) | instskip(NEXT) | instid1(VALU_DEP_4)
	v_add_co_ci_u32_e32 v25, vcc_lo, v21, v25, vcc_lo
	v_min_f32_e32 v16, v16, v17
	s_delay_alu instid0(VALU_DEP_1) | instskip(SKIP_3) | instid1(SALU_CYCLE_1)
	v_cvt_f64_f32_e32 v[16:17], v16
	global_store_b64 v[24:25], v[16:17], off
	s_or_b32 exec_lo, exec_lo, s9
	s_and_b32 s16, s1, s8
	s_and_saveexec_b32 s9, s16
	s_cbranch_execz .LBB126_302
.LBB126_312:
	v_cmp_ne_u32_e32 vcc_lo, 1, v18
	s_cbranch_vccnz .LBB126_314
; %bb.313:
	v_lshlrev_b64 v[16:17], 3, v[2:3]
	s_delay_alu instid0(VALU_DEP_1) | instskip(NEXT) | instid1(VALU_DEP_2)
	v_add_co_u32 v16, vcc_lo, v22, v16
	v_add_co_ci_u32_e32 v17, vcc_lo, v23, v17, vcc_lo
	flat_load_b64 v[16:17], v[16:17]
	s_waitcnt vmcnt(0) lgkmcnt(0)
	v_mul_f64 v[16:17], s[10:11], v[16:17]
	s_branch .LBB126_315
.LBB126_314:
	v_mov_b32_e32 v16, 0
	v_mov_b32_e32 v17, 0
.LBB126_315:
	s_delay_alu instid0(VALU_DEP_1) | instskip(SKIP_2) | instid1(VALU_DEP_1)
	v_cvt_f32_f64_e32 v16, v[16:17]
	v_max_f32_e32 v17, v63, v63
	v_lshlrev_b64 v[24:25], 3, v[2:3]
	v_add_co_u32 v24, vcc_lo, v20, v24
	s_delay_alu instid0(VALU_DEP_2) | instskip(NEXT) | instid1(VALU_DEP_4)
	v_add_co_ci_u32_e32 v25, vcc_lo, v21, v25, vcc_lo
	v_min_f32_e32 v16, v16, v17
	s_delay_alu instid0(VALU_DEP_1) | instskip(SKIP_3) | instid1(SALU_CYCLE_1)
	v_cvt_f64_f32_e32 v[16:17], v16
	global_store_b64 v[24:25], v[16:17], off
	s_or_b32 exec_lo, exec_lo, s9
	s_and_b32 s16, s2, s8
	s_and_saveexec_b32 s9, s16
	s_cbranch_execz .LBB126_303
.LBB126_316:
	v_cmp_ne_u32_e32 vcc_lo, 1, v18
	s_cbranch_vccnz .LBB126_318
; %bb.317:
	v_lshlrev_b64 v[16:17], 3, v[4:5]
	s_delay_alu instid0(VALU_DEP_1) | instskip(NEXT) | instid1(VALU_DEP_2)
	v_add_co_u32 v16, vcc_lo, v22, v16
	v_add_co_ci_u32_e32 v17, vcc_lo, v23, v17, vcc_lo
	flat_load_b64 v[16:17], v[16:17]
	s_waitcnt vmcnt(0) lgkmcnt(0)
	v_mul_f64 v[16:17], s[10:11], v[16:17]
	s_branch .LBB126_319
.LBB126_318:
	v_mov_b32_e32 v16, 0
	v_mov_b32_e32 v17, 0
.LBB126_319:
	s_delay_alu instid0(VALU_DEP_1) | instskip(SKIP_2) | instid1(VALU_DEP_1)
	v_cvt_f32_f64_e32 v16, v[16:17]
	v_max_f32_e32 v17, v235, v235
	v_lshlrev_b64 v[24:25], 3, v[4:5]
	v_add_co_u32 v24, vcc_lo, v20, v24
	s_delay_alu instid0(VALU_DEP_2) | instskip(NEXT) | instid1(VALU_DEP_4)
	v_add_co_ci_u32_e32 v25, vcc_lo, v21, v25, vcc_lo
	v_min_f32_e32 v16, v16, v17
	s_delay_alu instid0(VALU_DEP_1) | instskip(SKIP_3) | instid1(SALU_CYCLE_1)
	v_cvt_f64_f32_e32 v[16:17], v16
	global_store_b64 v[24:25], v[16:17], off
	s_or_b32 exec_lo, exec_lo, s9
	s_and_b32 s16, s3, s8
	s_and_saveexec_b32 s9, s16
	s_cbranch_execz .LBB126_304
.LBB126_320:
	v_cmp_ne_u32_e32 vcc_lo, 1, v18
	s_cbranch_vccnz .LBB126_322
; %bb.321:
	v_lshlrev_b64 v[16:17], 3, v[6:7]
	s_delay_alu instid0(VALU_DEP_1) | instskip(NEXT) | instid1(VALU_DEP_2)
	v_add_co_u32 v16, vcc_lo, v22, v16
	v_add_co_ci_u32_e32 v17, vcc_lo, v23, v17, vcc_lo
	flat_load_b64 v[16:17], v[16:17]
	s_waitcnt vmcnt(0) lgkmcnt(0)
	v_mul_f64 v[16:17], s[10:11], v[16:17]
	s_branch .LBB126_323
.LBB126_322:
	v_mov_b32_e32 v16, 0
	v_mov_b32_e32 v17, 0
.LBB126_323:
	s_delay_alu instid0(VALU_DEP_1) | instskip(SKIP_2) | instid1(VALU_DEP_1)
	v_cvt_f32_f64_e32 v16, v[16:17]
	v_max_f32_e32 v17, v205, v205
	v_lshlrev_b64 v[24:25], 3, v[6:7]
	v_add_co_u32 v24, vcc_lo, v20, v24
	s_delay_alu instid0(VALU_DEP_2) | instskip(NEXT) | instid1(VALU_DEP_4)
	v_add_co_ci_u32_e32 v25, vcc_lo, v21, v25, vcc_lo
	v_min_f32_e32 v16, v16, v17
	s_delay_alu instid0(VALU_DEP_1) | instskip(SKIP_3) | instid1(SALU_CYCLE_1)
	v_cvt_f64_f32_e32 v[16:17], v16
	global_store_b64 v[24:25], v[16:17], off
	s_or_b32 exec_lo, exec_lo, s9
	s_and_b32 s16, s4, s8
	s_and_saveexec_b32 s9, s16
	s_cbranch_execz .LBB126_305
.LBB126_324:
	v_cmp_ne_u32_e32 vcc_lo, 1, v18
	s_cbranch_vccnz .LBB126_326
; %bb.325:
	v_lshlrev_b64 v[16:17], 3, v[8:9]
	s_delay_alu instid0(VALU_DEP_1) | instskip(NEXT) | instid1(VALU_DEP_2)
	v_add_co_u32 v16, vcc_lo, v22, v16
	v_add_co_ci_u32_e32 v17, vcc_lo, v23, v17, vcc_lo
	flat_load_b64 v[16:17], v[16:17]
	s_waitcnt vmcnt(0) lgkmcnt(0)
	v_mul_f64 v[16:17], s[10:11], v[16:17]
	s_branch .LBB126_327
.LBB126_326:
	v_mov_b32_e32 v16, 0
	v_mov_b32_e32 v17, 0
.LBB126_327:
	s_delay_alu instid0(VALU_DEP_1) | instskip(SKIP_2) | instid1(VALU_DEP_1)
	v_cvt_f32_f64_e32 v16, v[16:17]
	v_max_f32_e32 v17, v200, v200
	v_lshlrev_b64 v[24:25], 3, v[8:9]
	v_add_co_u32 v24, vcc_lo, v20, v24
	s_delay_alu instid0(VALU_DEP_2) | instskip(NEXT) | instid1(VALU_DEP_4)
	v_add_co_ci_u32_e32 v25, vcc_lo, v21, v25, vcc_lo
	v_min_f32_e32 v16, v16, v17
	s_delay_alu instid0(VALU_DEP_1) | instskip(SKIP_3) | instid1(SALU_CYCLE_1)
	v_cvt_f64_f32_e32 v[16:17], v16
	global_store_b64 v[24:25], v[16:17], off
	s_or_b32 exec_lo, exec_lo, s9
	s_and_b32 s16, s5, s8
	s_and_saveexec_b32 s9, s16
	s_cbranch_execz .LBB126_306
.LBB126_328:
	v_cmp_ne_u32_e32 vcc_lo, 1, v18
	s_cbranch_vccnz .LBB126_330
; %bb.329:
	v_lshlrev_b64 v[16:17], 3, v[10:11]
	s_delay_alu instid0(VALU_DEP_1) | instskip(NEXT) | instid1(VALU_DEP_2)
	v_add_co_u32 v16, vcc_lo, v22, v16
	v_add_co_ci_u32_e32 v17, vcc_lo, v23, v17, vcc_lo
	flat_load_b64 v[16:17], v[16:17]
	s_waitcnt vmcnt(0) lgkmcnt(0)
	v_mul_f64 v[16:17], s[10:11], v[16:17]
	s_branch .LBB126_331
.LBB126_330:
	v_mov_b32_e32 v16, 0
	v_mov_b32_e32 v17, 0
.LBB126_331:
	s_delay_alu instid0(VALU_DEP_1) | instskip(SKIP_2) | instid1(VALU_DEP_1)
	v_cvt_f32_f64_e32 v16, v[16:17]
	scratch_load_b32 v17, off, off          ; 4-byte Folded Reload
	v_lshlrev_b64 v[24:25], 3, v[10:11]
	v_add_co_u32 v24, vcc_lo, v20, v24
	s_delay_alu instid0(VALU_DEP_2) | instskip(SKIP_2) | instid1(VALU_DEP_1)
	v_add_co_ci_u32_e32 v25, vcc_lo, v21, v25, vcc_lo
	s_waitcnt vmcnt(0)
	v_max_f32_e32 v17, v17, v17
	v_min_f32_e32 v16, v16, v17
	s_delay_alu instid0(VALU_DEP_1) | instskip(SKIP_3) | instid1(SALU_CYCLE_1)
	v_cvt_f64_f32_e32 v[16:17], v16
	global_store_b64 v[24:25], v[16:17], off
	s_or_b32 exec_lo, exec_lo, s9
	s_and_b32 s16, s6, s8
	s_and_saveexec_b32 s9, s16
	s_cbranch_execz .LBB126_307
.LBB126_332:
	v_cmp_ne_u32_e32 vcc_lo, 1, v18
	s_cbranch_vccnz .LBB126_334
; %bb.333:
	v_lshlrev_b64 v[16:17], 3, v[12:13]
	s_delay_alu instid0(VALU_DEP_1) | instskip(NEXT) | instid1(VALU_DEP_2)
	v_add_co_u32 v16, vcc_lo, v22, v16
	v_add_co_ci_u32_e32 v17, vcc_lo, v23, v17, vcc_lo
	flat_load_b64 v[16:17], v[16:17]
	s_waitcnt vmcnt(0) lgkmcnt(0)
	v_mul_f64 v[16:17], s[10:11], v[16:17]
	s_branch .LBB126_335
.LBB126_334:
	v_mov_b32_e32 v16, 0
	v_mov_b32_e32 v17, 0
.LBB126_335:
	s_delay_alu instid0(VALU_DEP_1) | instskip(SKIP_2) | instid1(VALU_DEP_1)
	v_cvt_f32_f64_e32 v16, v[16:17]
	v_max_f32_e32 v17, v131, v131
	v_lshlrev_b64 v[24:25], 3, v[12:13]
	v_add_co_u32 v24, vcc_lo, v20, v24
	s_delay_alu instid0(VALU_DEP_2) | instskip(NEXT) | instid1(VALU_DEP_4)
	v_add_co_ci_u32_e32 v25, vcc_lo, v21, v25, vcc_lo
	v_min_f32_e32 v16, v16, v17
	s_delay_alu instid0(VALU_DEP_1) | instskip(SKIP_3) | instid1(SALU_CYCLE_1)
	v_cvt_f64_f32_e32 v[16:17], v16
	global_store_b64 v[24:25], v[16:17], off
	s_or_b32 exec_lo, exec_lo, s9
	s_and_b32 s9, s7, s8
	s_and_saveexec_b32 s8, s9
	s_cbranch_execz .LBB126_340
.LBB126_336:
	v_cmp_ne_u32_e32 vcc_lo, 1, v18
	s_cbranch_vccnz .LBB126_338
; %bb.337:
	v_lshlrev_b64 v[16:17], 3, v[14:15]
	s_delay_alu instid0(VALU_DEP_1) | instskip(NEXT) | instid1(VALU_DEP_2)
	v_add_co_u32 v16, vcc_lo, v22, v16
	v_add_co_ci_u32_e32 v17, vcc_lo, v23, v17, vcc_lo
	flat_load_b64 v[16:17], v[16:17]
	s_waitcnt vmcnt(0) lgkmcnt(0)
	v_mul_f64 v[16:17], s[10:11], v[16:17]
	s_branch .LBB126_339
.LBB126_338:
	v_mov_b32_e32 v16, 0
	v_mov_b32_e32 v17, 0
.LBB126_339:
	s_delay_alu instid0(VALU_DEP_1) | instskip(SKIP_2) | instid1(VALU_DEP_1)
	v_cvt_f32_f64_e32 v16, v[16:17]
	v_max_f32_e32 v17, v198, v198
	v_lshlrev_b64 v[22:23], 3, v[14:15]
	v_add_co_u32 v20, vcc_lo, v20, v22
	s_delay_alu instid0(VALU_DEP_2) | instskip(NEXT) | instid1(VALU_DEP_4)
	v_add_co_ci_u32_e32 v21, vcc_lo, v21, v23, vcc_lo
	v_min_f32_e32 v16, v16, v17
	s_delay_alu instid0(VALU_DEP_1)
	v_cvt_f64_f32_e32 v[16:17], v16
	global_store_b64 v[20:21], v[16:17], off
.LBB126_340:
	s_or_b32 exec_lo, exec_lo, s8
	v_add_nc_u32_e32 v21, 0xe0, v19
	s_delay_alu instid0(VALU_DEP_1) | instskip(SKIP_2) | instid1(VALU_DEP_3)
	v_mad_i64_i32 v[16:17], null, v21, s20, 0
	v_mad_i64_i32 v[19:20], null, v21, s18, 0
	v_cmp_gt_i32_e64 s8, s17, v21
	v_lshlrev_b64 v[16:17], 3, v[16:17]
	s_delay_alu instid0(VALU_DEP_2) | instskip(NEXT) | instid1(VALU_DEP_3)
	s_and_b32 s9, s0, s8
	v_lshlrev_b64 v[21:22], 3, v[19:20]
	s_delay_alu instid0(VALU_DEP_2) | instskip(NEXT) | instid1(VALU_DEP_3)
	v_add_co_u32 v19, vcc_lo, s12, v16
	v_add_co_ci_u32_e32 v20, vcc_lo, s13, v17, vcc_lo
	s_delay_alu instid0(VALU_DEP_3) | instskip(NEXT) | instid1(VALU_DEP_4)
	v_add_co_u32 v16, vcc_lo, s14, v21
	v_add_co_ci_u32_e32 v17, vcc_lo, s15, v22, vcc_lo
	s_and_saveexec_b32 s0, s9
	s_cbranch_execnz .LBB126_349
; %bb.341:
	s_or_b32 exec_lo, exec_lo, s0
	s_and_b32 s1, s1, s8
	s_delay_alu instid0(SALU_CYCLE_1)
	s_and_saveexec_b32 s0, s1
	s_cbranch_execnz .LBB126_353
.LBB126_342:
	s_or_b32 exec_lo, exec_lo, s0
	s_and_b32 s1, s2, s8
	s_delay_alu instid0(SALU_CYCLE_1)
	s_and_saveexec_b32 s0, s1
	s_cbranch_execnz .LBB126_357
.LBB126_343:
	s_or_b32 exec_lo, exec_lo, s0
	s_and_b32 s1, s3, s8
	s_delay_alu instid0(SALU_CYCLE_1)
	s_and_saveexec_b32 s0, s1
	s_cbranch_execnz .LBB126_361
.LBB126_344:
	s_or_b32 exec_lo, exec_lo, s0
	s_and_b32 s1, s4, s8
	s_delay_alu instid0(SALU_CYCLE_1)
	s_and_saveexec_b32 s0, s1
	s_cbranch_execnz .LBB126_365
.LBB126_345:
	s_or_b32 exec_lo, exec_lo, s0
	s_and_b32 s1, s5, s8
	s_delay_alu instid0(SALU_CYCLE_1)
	s_and_saveexec_b32 s0, s1
	s_cbranch_execnz .LBB126_369
.LBB126_346:
	s_or_b32 exec_lo, exec_lo, s0
	s_and_b32 s1, s6, s8
	s_delay_alu instid0(SALU_CYCLE_1)
	s_and_saveexec_b32 s0, s1
	s_cbranch_execnz .LBB126_373
.LBB126_347:
	s_or_b32 exec_lo, exec_lo, s0
	s_and_b32 s0, s7, s8
	s_delay_alu instid0(SALU_CYCLE_1)
	s_and_saveexec_b32 s1, s0
	s_cbranch_execnz .LBB126_377
.LBB126_348:
	s_endpgm
.LBB126_349:
	v_cmp_ne_u32_e32 vcc_lo, 1, v18
	v_lshlrev_b64 v[0:1], 3, v[0:1]
	s_cbranch_vccnz .LBB126_351
; %bb.350:
	s_delay_alu instid0(VALU_DEP_1) | instskip(NEXT) | instid1(VALU_DEP_2)
	v_add_co_u32 v21, vcc_lo, v19, v0
	v_add_co_ci_u32_e32 v22, vcc_lo, v20, v1, vcc_lo
	flat_load_b64 v[21:22], v[21:22]
	s_waitcnt vmcnt(0) lgkmcnt(0)
	v_mul_f64 v[21:22], s[10:11], v[21:22]
	s_delay_alu instid0(VALU_DEP_1)
	v_cvt_f32_f64_e32 v21, v[21:22]
	s_branch .LBB126_352
.LBB126_351:
	v_mov_b32_e32 v21, 0
.LBB126_352:
	v_max_f32_e32 v22, v133, v133
	s_delay_alu instid0(VALU_DEP_2) | instskip(NEXT) | instid1(VALU_DEP_4)
	v_max_f32_e32 v21, v21, v21
	v_add_co_u32 v0, vcc_lo, v16, v0
	v_add_co_ci_u32_e32 v1, vcc_lo, v17, v1, vcc_lo
	s_delay_alu instid0(VALU_DEP_3) | instskip(NEXT) | instid1(VALU_DEP_1)
	v_min_f32_e32 v21, v21, v22
	v_cvt_f64_f32_e32 v[21:22], v21
	global_store_b64 v[0:1], v[21:22], off
	s_or_b32 exec_lo, exec_lo, s0
	s_and_b32 s1, s1, s8
	s_delay_alu instid0(SALU_CYCLE_1)
	s_and_saveexec_b32 s0, s1
	s_cbranch_execz .LBB126_342
.LBB126_353:
	v_cmp_ne_u32_e32 vcc_lo, 1, v18
	v_lshlrev_b64 v[0:1], 3, v[2:3]
	s_cbranch_vccnz .LBB126_355
; %bb.354:
	s_delay_alu instid0(VALU_DEP_1) | instskip(NEXT) | instid1(VALU_DEP_2)
	v_add_co_u32 v2, vcc_lo, v19, v0
	v_add_co_ci_u32_e32 v3, vcc_lo, v20, v1, vcc_lo
	flat_load_b64 v[2:3], v[2:3]
	s_waitcnt vmcnt(0) lgkmcnt(0)
	v_mul_f64 v[2:3], s[10:11], v[2:3]
	s_delay_alu instid0(VALU_DEP_1)
	v_cvt_f32_f64_e32 v2, v[2:3]
	s_branch .LBB126_356
.LBB126_355:
	v_mov_b32_e32 v2, 0
.LBB126_356:
	s_delay_alu instid0(VALU_DEP_1) | instskip(NEXT) | instid1(VALU_DEP_3)
	v_dual_max_f32 v3, v128, v128 :: v_dual_max_f32 v2, v2, v2
	v_add_co_u32 v0, vcc_lo, v16, v0
	s_delay_alu instid0(VALU_DEP_4) | instskip(NEXT) | instid1(VALU_DEP_3)
	v_add_co_ci_u32_e32 v1, vcc_lo, v17, v1, vcc_lo
	v_min_f32_e32 v2, v2, v3
	s_delay_alu instid0(VALU_DEP_1) | instskip(SKIP_3) | instid1(SALU_CYCLE_1)
	v_cvt_f64_f32_e32 v[2:3], v2
	global_store_b64 v[0:1], v[2:3], off
	s_or_b32 exec_lo, exec_lo, s0
	s_and_b32 s1, s2, s8
	s_and_saveexec_b32 s0, s1
	s_cbranch_execz .LBB126_343
.LBB126_357:
	v_cmp_ne_u32_e32 vcc_lo, 1, v18
	v_lshlrev_b64 v[0:1], 3, v[4:5]
	s_cbranch_vccnz .LBB126_359
; %bb.358:
	s_delay_alu instid0(VALU_DEP_1) | instskip(NEXT) | instid1(VALU_DEP_2)
	v_add_co_u32 v2, vcc_lo, v19, v0
	v_add_co_ci_u32_e32 v3, vcc_lo, v20, v1, vcc_lo
	flat_load_b64 v[2:3], v[2:3]
	s_waitcnt vmcnt(0) lgkmcnt(0)
	v_mul_f64 v[2:3], s[10:11], v[2:3]
	s_delay_alu instid0(VALU_DEP_1)
	v_cvt_f32_f64_e32 v2, v[2:3]
	s_branch .LBB126_360
.LBB126_359:
	v_mov_b32_e32 v2, 0
.LBB126_360:
	s_delay_alu instid0(VALU_DEP_1) | instskip(NEXT) | instid1(VALU_DEP_3)
	v_dual_max_f32 v3, v127, v127 :: v_dual_max_f32 v2, v2, v2
	v_add_co_u32 v0, vcc_lo, v16, v0
	s_delay_alu instid0(VALU_DEP_4) | instskip(NEXT) | instid1(VALU_DEP_3)
	v_add_co_ci_u32_e32 v1, vcc_lo, v17, v1, vcc_lo
	v_min_f32_e32 v2, v2, v3
	s_delay_alu instid0(VALU_DEP_1) | instskip(SKIP_3) | instid1(SALU_CYCLE_1)
	v_cvt_f64_f32_e32 v[2:3], v2
	global_store_b64 v[0:1], v[2:3], off
	s_or_b32 exec_lo, exec_lo, s0
	s_and_b32 s1, s3, s8
	s_and_saveexec_b32 s0, s1
	s_cbranch_execz .LBB126_344
.LBB126_361:
	v_cmp_ne_u32_e32 vcc_lo, 1, v18
	v_lshlrev_b64 v[0:1], 3, v[6:7]
	s_cbranch_vccnz .LBB126_363
; %bb.362:
	s_delay_alu instid0(VALU_DEP_1) | instskip(NEXT) | instid1(VALU_DEP_2)
	v_add_co_u32 v2, vcc_lo, v19, v0
	v_add_co_ci_u32_e32 v3, vcc_lo, v20, v1, vcc_lo
	flat_load_b64 v[2:3], v[2:3]
	s_waitcnt vmcnt(0) lgkmcnt(0)
	v_mul_f64 v[2:3], s[10:11], v[2:3]
	s_delay_alu instid0(VALU_DEP_1)
	v_cvt_f32_f64_e32 v2, v[2:3]
	s_branch .LBB126_364
.LBB126_363:
	v_mov_b32_e32 v2, 0
.LBB126_364:
	v_max_f32_e32 v3, v126, v126
	s_delay_alu instid0(VALU_DEP_2) | instskip(NEXT) | instid1(VALU_DEP_4)
	v_max_f32_e32 v2, v2, v2
	v_add_co_u32 v0, vcc_lo, v16, v0
	v_add_co_ci_u32_e32 v1, vcc_lo, v17, v1, vcc_lo
	s_delay_alu instid0(VALU_DEP_3) | instskip(NEXT) | instid1(VALU_DEP_1)
	v_min_f32_e32 v2, v2, v3
	v_cvt_f64_f32_e32 v[2:3], v2
	global_store_b64 v[0:1], v[2:3], off
	s_or_b32 exec_lo, exec_lo, s0
	s_and_b32 s1, s4, s8
	s_delay_alu instid0(SALU_CYCLE_1)
	s_and_saveexec_b32 s0, s1
	s_cbranch_execz .LBB126_345
.LBB126_365:
	v_cmp_ne_u32_e32 vcc_lo, 1, v18
	v_lshlrev_b64 v[0:1], 3, v[8:9]
	s_cbranch_vccnz .LBB126_367
; %bb.366:
	s_delay_alu instid0(VALU_DEP_1) | instskip(NEXT) | instid1(VALU_DEP_2)
	v_add_co_u32 v2, vcc_lo, v19, v0
	v_add_co_ci_u32_e32 v3, vcc_lo, v20, v1, vcc_lo
	flat_load_b64 v[2:3], v[2:3]
	s_waitcnt vmcnt(0) lgkmcnt(0)
	v_mul_f64 v[2:3], s[10:11], v[2:3]
	s_delay_alu instid0(VALU_DEP_1)
	v_cvt_f32_f64_e32 v2, v[2:3]
	s_branch .LBB126_368
.LBB126_367:
	v_mov_b32_e32 v2, 0
.LBB126_368:
	s_delay_alu instid0(VALU_DEP_1) | instskip(NEXT) | instid1(VALU_DEP_3)
	v_dual_max_f32 v3, v125, v125 :: v_dual_max_f32 v2, v2, v2
	v_add_co_u32 v0, vcc_lo, v16, v0
	s_delay_alu instid0(VALU_DEP_4) | instskip(NEXT) | instid1(VALU_DEP_3)
	v_add_co_ci_u32_e32 v1, vcc_lo, v17, v1, vcc_lo
	v_min_f32_e32 v2, v2, v3
	s_delay_alu instid0(VALU_DEP_1) | instskip(SKIP_3) | instid1(SALU_CYCLE_1)
	v_cvt_f64_f32_e32 v[2:3], v2
	global_store_b64 v[0:1], v[2:3], off
	s_or_b32 exec_lo, exec_lo, s0
	s_and_b32 s1, s5, s8
	s_and_saveexec_b32 s0, s1
	s_cbranch_execz .LBB126_346
.LBB126_369:
	v_cmp_ne_u32_e32 vcc_lo, 1, v18
	v_lshlrev_b64 v[0:1], 3, v[10:11]
	s_cbranch_vccnz .LBB126_371
; %bb.370:
	s_delay_alu instid0(VALU_DEP_1) | instskip(NEXT) | instid1(VALU_DEP_2)
	v_add_co_u32 v2, vcc_lo, v19, v0
	v_add_co_ci_u32_e32 v3, vcc_lo, v20, v1, vcc_lo
	flat_load_b64 v[2:3], v[2:3]
	s_waitcnt vmcnt(0) lgkmcnt(0)
	v_mul_f64 v[2:3], s[10:11], v[2:3]
	s_delay_alu instid0(VALU_DEP_1)
	v_cvt_f32_f64_e32 v2, v[2:3]
	s_branch .LBB126_372
.LBB126_371:
	v_mov_b32_e32 v2, 0
.LBB126_372:
	s_delay_alu instid0(VALU_DEP_1) | instskip(NEXT) | instid1(VALU_DEP_3)
	v_dual_max_f32 v3, v124, v124 :: v_dual_max_f32 v2, v2, v2
	v_add_co_u32 v0, vcc_lo, v16, v0
	s_delay_alu instid0(VALU_DEP_4) | instskip(NEXT) | instid1(VALU_DEP_3)
	v_add_co_ci_u32_e32 v1, vcc_lo, v17, v1, vcc_lo
	v_min_f32_e32 v2, v2, v3
	s_delay_alu instid0(VALU_DEP_1) | instskip(SKIP_3) | instid1(SALU_CYCLE_1)
	v_cvt_f64_f32_e32 v[2:3], v2
	global_store_b64 v[0:1], v[2:3], off
	s_or_b32 exec_lo, exec_lo, s0
	s_and_b32 s1, s6, s8
	s_and_saveexec_b32 s0, s1
	s_cbranch_execz .LBB126_347
.LBB126_373:
	v_cmp_ne_u32_e32 vcc_lo, 1, v18
	v_lshlrev_b64 v[0:1], 3, v[12:13]
	s_cbranch_vccnz .LBB126_375
; %bb.374:
	s_delay_alu instid0(VALU_DEP_1) | instskip(NEXT) | instid1(VALU_DEP_2)
	v_add_co_u32 v2, vcc_lo, v19, v0
	v_add_co_ci_u32_e32 v3, vcc_lo, v20, v1, vcc_lo
	flat_load_b64 v[2:3], v[2:3]
	s_waitcnt vmcnt(0) lgkmcnt(0)
	v_mul_f64 v[2:3], s[10:11], v[2:3]
	s_delay_alu instid0(VALU_DEP_1)
	v_cvt_f32_f64_e32 v2, v[2:3]
	s_branch .LBB126_376
.LBB126_375:
	v_mov_b32_e32 v2, 0
.LBB126_376:
	s_delay_alu instid0(VALU_DEP_1) | instskip(NEXT) | instid1(VALU_DEP_3)
	v_dual_max_f32 v3, v123, v123 :: v_dual_max_f32 v2, v2, v2
	v_add_co_u32 v0, vcc_lo, v16, v0
	s_delay_alu instid0(VALU_DEP_4) | instskip(NEXT) | instid1(VALU_DEP_3)
	v_add_co_ci_u32_e32 v1, vcc_lo, v17, v1, vcc_lo
	v_min_f32_e32 v2, v2, v3
	s_delay_alu instid0(VALU_DEP_1) | instskip(SKIP_3) | instid1(SALU_CYCLE_1)
	v_cvt_f64_f32_e32 v[2:3], v2
	global_store_b64 v[0:1], v[2:3], off
	s_or_b32 exec_lo, exec_lo, s0
	s_and_b32 s0, s7, s8
	s_and_saveexec_b32 s1, s0
	s_cbranch_execz .LBB126_348
.LBB126_377:
	v_cmp_ne_u32_e32 vcc_lo, 1, v18
	v_lshlrev_b64 v[0:1], 3, v[14:15]
	s_cbranch_vccnz .LBB126_379
; %bb.378:
	s_delay_alu instid0(VALU_DEP_1) | instskip(NEXT) | instid1(VALU_DEP_2)
	v_add_co_u32 v2, vcc_lo, v19, v0
	v_add_co_ci_u32_e32 v3, vcc_lo, v20, v1, vcc_lo
	flat_load_b64 v[2:3], v[2:3]
	s_waitcnt vmcnt(0) lgkmcnt(0)
	v_mul_f64 v[2:3], s[10:11], v[2:3]
	s_delay_alu instid0(VALU_DEP_1)
	v_cvt_f32_f64_e32 v2, v[2:3]
	s_branch .LBB126_380
.LBB126_379:
	v_mov_b32_e32 v2, 0
.LBB126_380:
	v_max_f32_e32 v3, v122, v122
	s_delay_alu instid0(VALU_DEP_2) | instskip(NEXT) | instid1(VALU_DEP_4)
	v_max_f32_e32 v2, v2, v2
	v_add_co_u32 v0, vcc_lo, v16, v0
	v_add_co_ci_u32_e32 v1, vcc_lo, v17, v1, vcc_lo
	s_delay_alu instid0(VALU_DEP_3) | instskip(NEXT) | instid1(VALU_DEP_1)
	v_min_f32_e32 v2, v2, v3
	v_cvt_f64_f32_e32 v[2:3], v2
	global_store_b64 v[0:1], v[2:3], off
	s_endpgm
	.section	.rodata,"a",@progbits
	.p2align	6, 0x0
	.amdhsa_kernel _ZN12_GLOBAL__N_120geam_min_plus_kernelId15HIP_vector_typeIdLj2EEdLi8ELi32ELi64ELi256ELi4ELi4ELi64ELi64ELi4ELc84ELc84ELb0ELb1ELb1EPKdKS4_KPdEEviiiT16_PT17_ilSA_ilS8_SA_ilPT18_ili26rocblas_geam_ex_operation_
		.amdhsa_group_segment_fixed_size 20480
		.amdhsa_private_segment_fixed_size 404
		.amdhsa_kernarg_size 136
		.amdhsa_user_sgpr_count 14
		.amdhsa_user_sgpr_dispatch_ptr 0
		.amdhsa_user_sgpr_queue_ptr 0
		.amdhsa_user_sgpr_kernarg_segment_ptr 1
		.amdhsa_user_sgpr_dispatch_id 0
		.amdhsa_user_sgpr_private_segment_size 0
		.amdhsa_wavefront_size32 1
		.amdhsa_uses_dynamic_stack 0
		.amdhsa_enable_private_segment 1
		.amdhsa_system_sgpr_workgroup_id_x 1
		.amdhsa_system_sgpr_workgroup_id_y 0
		.amdhsa_system_sgpr_workgroup_id_z 1
		.amdhsa_system_sgpr_workgroup_info 0
		.amdhsa_system_vgpr_workitem_id 1
		.amdhsa_next_free_vgpr 256
		.amdhsa_next_free_sgpr 32
		.amdhsa_reserve_vcc 1
		.amdhsa_float_round_mode_32 0
		.amdhsa_float_round_mode_16_64 0
		.amdhsa_float_denorm_mode_32 3
		.amdhsa_float_denorm_mode_16_64 3
		.amdhsa_dx10_clamp 1
		.amdhsa_ieee_mode 1
		.amdhsa_fp16_overflow 0
		.amdhsa_workgroup_processor_mode 1
		.amdhsa_memory_ordered 1
		.amdhsa_forward_progress 0
		.amdhsa_shared_vgpr_count 0
		.amdhsa_exception_fp_ieee_invalid_op 0
		.amdhsa_exception_fp_denorm_src 0
		.amdhsa_exception_fp_ieee_div_zero 0
		.amdhsa_exception_fp_ieee_overflow 0
		.amdhsa_exception_fp_ieee_underflow 0
		.amdhsa_exception_fp_ieee_inexact 0
		.amdhsa_exception_int_div_zero 0
	.end_amdhsa_kernel
	.section	.text._ZN12_GLOBAL__N_120geam_min_plus_kernelId15HIP_vector_typeIdLj2EEdLi8ELi32ELi64ELi256ELi4ELi4ELi64ELi64ELi4ELc84ELc84ELb0ELb1ELb1EPKdKS4_KPdEEviiiT16_PT17_ilSA_ilS8_SA_ilPT18_ili26rocblas_geam_ex_operation_,"axG",@progbits,_ZN12_GLOBAL__N_120geam_min_plus_kernelId15HIP_vector_typeIdLj2EEdLi8ELi32ELi64ELi256ELi4ELi4ELi64ELi64ELi4ELc84ELc84ELb0ELb1ELb1EPKdKS4_KPdEEviiiT16_PT17_ilSA_ilS8_SA_ilPT18_ili26rocblas_geam_ex_operation_,comdat
.Lfunc_end126:
	.size	_ZN12_GLOBAL__N_120geam_min_plus_kernelId15HIP_vector_typeIdLj2EEdLi8ELi32ELi64ELi256ELi4ELi4ELi64ELi64ELi4ELc84ELc84ELb0ELb1ELb1EPKdKS4_KPdEEviiiT16_PT17_ilSA_ilS8_SA_ilPT18_ili26rocblas_geam_ex_operation_, .Lfunc_end126-_ZN12_GLOBAL__N_120geam_min_plus_kernelId15HIP_vector_typeIdLj2EEdLi8ELi32ELi64ELi256ELi4ELi4ELi64ELi64ELi4ELc84ELc84ELb0ELb1ELb1EPKdKS4_KPdEEviiiT16_PT17_ilSA_ilS8_SA_ilPT18_ili26rocblas_geam_ex_operation_
                                        ; -- End function
	.section	.AMDGPU.csdata,"",@progbits
; Kernel info:
; codeLenInByte = 27992
; NumSgprs: 34
; NumVgprs: 256
; ScratchSize: 404
; MemoryBound: 0
; FloatMode: 240
; IeeeMode: 1
; LDSByteSize: 20480 bytes/workgroup (compile time only)
; SGPRBlocks: 4
; VGPRBlocks: 31
; NumSGPRsForWavesPerEU: 34
; NumVGPRsForWavesPerEU: 256
; Occupancy: 5
; WaveLimiterHint : 1
; COMPUTE_PGM_RSRC2:SCRATCH_EN: 1
; COMPUTE_PGM_RSRC2:USER_SGPR: 14
; COMPUTE_PGM_RSRC2:TRAP_HANDLER: 0
; COMPUTE_PGM_RSRC2:TGID_X_EN: 1
; COMPUTE_PGM_RSRC2:TGID_Y_EN: 0
; COMPUTE_PGM_RSRC2:TGID_Z_EN: 1
; COMPUTE_PGM_RSRC2:TIDIG_COMP_CNT: 1
	.section	.text._ZN12_GLOBAL__N_120geam_min_plus_kernelId15HIP_vector_typeIdLj2EEdLi8ELi32ELi64ELi256ELi4ELi4ELi64ELi64ELi4ELc84ELc84ELb1ELb1ELb1EdKPKdKPdEEviiiT16_PT17_ilSA_ilS8_SA_ilPT18_ili26rocblas_geam_ex_operation_,"axG",@progbits,_ZN12_GLOBAL__N_120geam_min_plus_kernelId15HIP_vector_typeIdLj2EEdLi8ELi32ELi64ELi256ELi4ELi4ELi64ELi64ELi4ELc84ELc84ELb1ELb1ELb1EdKPKdKPdEEviiiT16_PT17_ilSA_ilS8_SA_ilPT18_ili26rocblas_geam_ex_operation_,comdat
	.globl	_ZN12_GLOBAL__N_120geam_min_plus_kernelId15HIP_vector_typeIdLj2EEdLi8ELi32ELi64ELi256ELi4ELi4ELi64ELi64ELi4ELc84ELc84ELb1ELb1ELb1EdKPKdKPdEEviiiT16_PT17_ilSA_ilS8_SA_ilPT18_ili26rocblas_geam_ex_operation_ ; -- Begin function _ZN12_GLOBAL__N_120geam_min_plus_kernelId15HIP_vector_typeIdLj2EEdLi8ELi32ELi64ELi256ELi4ELi4ELi64ELi64ELi4ELc84ELc84ELb1ELb1ELb1EdKPKdKPdEEviiiT16_PT17_ilSA_ilS8_SA_ilPT18_ili26rocblas_geam_ex_operation_
	.p2align	8
	.type	_ZN12_GLOBAL__N_120geam_min_plus_kernelId15HIP_vector_typeIdLj2EEdLi8ELi32ELi64ELi256ELi4ELi4ELi64ELi64ELi4ELc84ELc84ELb1ELb1ELb1EdKPKdKPdEEviiiT16_PT17_ilSA_ilS8_SA_ilPT18_ili26rocblas_geam_ex_operation_,@function
_ZN12_GLOBAL__N_120geam_min_plus_kernelId15HIP_vector_typeIdLj2EEdLi8ELi32ELi64ELi256ELi4ELi4ELi64ELi64ELi4ELc84ELc84ELb1ELb1ELb1EdKPKdKPdEEviiiT16_PT17_ilSA_ilS8_SA_ilPT18_ili26rocblas_geam_ex_operation_: ; @_ZN12_GLOBAL__N_120geam_min_plus_kernelId15HIP_vector_typeIdLj2EEdLi8ELi32ELi64ELi256ELi4ELi4ELi64ELi64ELi4ELc84ELc84ELb1ELb1ELb1EdKPKdKPdEEviiiT16_PT17_ilSA_ilS8_SA_ilPT18_ili26rocblas_geam_ex_operation_
; %bb.0:
	s_clause 0x1
	s_load_b128 s[8:11], s[0:1], 0x10
	s_load_b128 s[4:7], s[0:1], 0x28
	s_mov_b32 s2, s15
	s_mov_b64 s[24:25], 0
	s_waitcnt lgkmcnt(0)
	v_cmp_eq_f64_e64 s12, s[8:9], 0
	s_delay_alu instid0(VALU_DEP_1)
	s_and_b32 vcc_lo, exec_lo, s12
	s_cbranch_vccnz .LBB127_2
; %bb.1:
	s_mov_b32 s3, 0
	s_delay_alu instid0(SALU_CYCLE_1) | instskip(NEXT) | instid1(SALU_CYCLE_1)
	s_lshl_b64 s[8:9], s[2:3], 3
	s_add_u32 s8, s10, s8
	s_addc_u32 s9, s11, s9
	s_lshl_b64 s[4:5], s[4:5], 3
	s_load_b64 s[8:9], s[8:9], 0x0
	s_waitcnt lgkmcnt(0)
	s_add_u32 s24, s8, s4
	s_addc_u32 s25, s9, s5
.LBB127_2:
	s_clause 0x1
	s_load_b128 s[8:11], s[0:1], 0x40
	s_load_b64 s[16:17], s[0:1], 0x50
	s_and_not1_b32 vcc_lo, exec_lo, s12
	s_cbranch_vccnz .LBB127_4
; %bb.3:
	s_mov_b32 s3, 0
	s_mov_b64 s[22:23], 0
	s_cbranch_execz .LBB127_5
	s_branch .LBB127_6
.LBB127_4:
	s_mov_b32 s3, -1
                                        ; implicit-def: $sgpr22_sgpr23
.LBB127_5:
	s_mov_b32 s3, 0
	s_delay_alu instid0(SALU_CYCLE_1) | instskip(NEXT) | instid1(SALU_CYCLE_1)
	s_lshl_b64 s[4:5], s[2:3], 3
	s_add_u32 s4, s6, s4
	s_addc_u32 s5, s7, s5
	s_waitcnt lgkmcnt(0)
	s_lshl_b64 s[6:7], s[8:9], 3
	s_load_b64 s[4:5], s[4:5], 0x0
	s_waitcnt lgkmcnt(0)
	s_add_u32 s22, s4, s6
	s_addc_u32 s23, s5, s7
.LBB127_6:
	s_waitcnt lgkmcnt(0)
	v_cmp_eq_f64_e64 s8, s[10:11], 0
	v_cmp_neq_f64_e64 s15, s[10:11], 0
	s_load_b128 s[4:7], s[0:1], 0x60
	s_mov_b64 s[12:13], 0
	s_delay_alu instid0(VALU_DEP_2)
	s_and_b32 vcc_lo, exec_lo, s8
	s_cbranch_vccnz .LBB127_8
; %bb.7:
	s_lshl_b64 s[8:9], s[2:3], 3
	s_delay_alu instid0(SALU_CYCLE_1)
	s_add_u32 s8, s16, s8
	s_addc_u32 s9, s17, s9
	s_waitcnt lgkmcnt(0)
	s_lshl_b64 s[4:5], s[4:5], 3
	s_load_b64 s[8:9], s[8:9], 0x0
	s_waitcnt lgkmcnt(0)
	s_add_u32 s12, s8, s4
	s_addc_u32 s13, s9, s5
.LBB127_8:
	s_clause 0x1
	s_load_b128 s[16:19], s[0:1], 0x0
	s_load_b32 s29, s[0:1], 0x20
	s_lshl_b64 s[2:3], s[2:3], 3
	v_bfe_u32 v216, v0, 10, 10
	s_waitcnt lgkmcnt(0)
	s_add_u32 s4, s6, s2
	s_addc_u32 s5, s7, s3
	s_load_b64 s[20:21], s[4:5], 0x0
	s_mov_b32 s4, -1
	s_mov_b32 s5, 0x7fefffff
	v_and_b32_e32 v109, 0x3ff, v0
	s_delay_alu instid0(VALU_DEP_1) | instskip(NEXT) | instid1(VALU_DEP_1)
	v_lshl_add_u32 v2, v216, 3, v109
	v_lshrrev_b32_e32 v24, 2, v2
	s_add_i32 s2, s16, -1
	s_delay_alu instid0(SALU_CYCLE_1) | instskip(NEXT) | instid1(SALU_CYCLE_1)
	s_ashr_i32 s3, s2, 31
	s_lshr_b32 s3, s3, 26
	s_delay_alu instid0(SALU_CYCLE_1) | instskip(NEXT) | instid1(SALU_CYCLE_1)
	s_add_i32 s2, s2, s3
	s_ashr_i32 s2, s2, 6
	s_delay_alu instid0(SALU_CYCLE_1) | instskip(SKIP_2) | instid1(VALU_DEP_1)
	s_add_i32 s6, s2, 1
	s_not_b32 s2, s2
	v_cvt_f32_u32_e32 v1, s6
	v_rcp_iflag_f32_e32 v1, v1
	s_waitcnt_depctr 0xfff
	v_mul_f32_e32 v1, 0x4f7ffffe, v1
	s_delay_alu instid0(VALU_DEP_1) | instskip(NEXT) | instid1(VALU_DEP_1)
	v_cvt_u32_f32_e32 v1, v1
	v_readfirstlane_b32 s3, v1
	v_dual_mov_b32 v0, s4 :: v_dual_and_b32 v3, 3, v109
	v_mov_b32_e32 v1, s5
	s_delay_alu instid0(VALU_DEP_3) | instskip(NEXT) | instid1(SALU_CYCLE_1)
	s_mul_i32 s2, s2, s3
	s_mul_hi_u32 s2, s3, s2
	s_delay_alu instid0(VALU_DEP_2) | instskip(SKIP_3) | instid1(SALU_CYCLE_1)
	v_lshlrev_b32_e32 v25, 3, v3
	s_add_i32 s3, s3, s2
	scratch_store_b32 off, v3, off offset:384 ; 4-byte Folded Spill
	s_mul_hi_u32 s2, s14, s3
	s_mul_i32 s3, s2, s6
	s_add_i32 s7, s2, 1
	s_sub_i32 s3, s14, s3
	s_delay_alu instid0(SALU_CYCLE_1)
	s_sub_i32 s8, s3, s6
	s_cmp_ge_u32 s3, s6
	s_cselect_b32 s2, s7, s2
	s_cselect_b32 s3, s8, s3
	s_add_i32 s7, s2, 1
	s_cmp_ge_u32 s3, s6
	s_cselect_b32 s3, s7, s2
	s_delay_alu instid0(SALU_CYCLE_1) | instskip(NEXT) | instid1(SALU_CYCLE_1)
	s_mul_i32 s2, s3, s6
	s_sub_i32 s2, s14, s2
	s_delay_alu instid0(SALU_CYCLE_1) | instskip(SKIP_2) | instid1(VALU_DEP_1)
	s_lshl_b32 s14, s2, 6
	v_cmp_gt_i32_e64 s2, s18, v3
	v_add_nc_u32_e32 v22, s14, v24
	v_cmp_le_i32_e32 vcc_lo, s16, v22
	s_xor_b32 s26, vcc_lo, -1
	s_delay_alu instid0(VALU_DEP_3) | instid1(SALU_CYCLE_1)
	s_and_b32 s6, s2, s26
	s_delay_alu instid0(SALU_CYCLE_1)
	s_and_saveexec_b32 s2, s6
	s_cbranch_execz .LBB127_10
; %bb.9:
	v_mad_i64_i32 v[0:1], null, v22, s29, 0
	s_delay_alu instid0(VALU_DEP_1) | instskip(NEXT) | instid1(VALU_DEP_1)
	v_lshlrev_b64 v[0:1], 3, v[0:1]
	v_add_co_u32 v0, vcc_lo, s24, v0
	s_delay_alu instid0(VALU_DEP_2) | instskip(NEXT) | instid1(VALU_DEP_2)
	v_add_co_ci_u32_e32 v1, vcc_lo, s25, v1, vcc_lo
	v_add_co_u32 v0, vcc_lo, v0, v25
	s_delay_alu instid0(VALU_DEP_2)
	v_add_co_ci_u32_e32 v1, vcc_lo, 0, v1, vcc_lo
	flat_load_b64 v[0:1], v[0:1]
.LBB127_10:
	s_or_b32 exec_lo, exec_lo, s2
	s_load_b32 s27, s[0:1], 0x38
	v_lshrrev_b32_e32 v23, 6, v2
	v_dual_mov_b32 v2, s4 :: v_dual_and_b32 v217, 63, v2
	s_lshl_b32 s19, s3, 8
	v_mov_b32_e32 v3, s5
	s_delay_alu instid0(VALU_DEP_3) | instskip(NEXT) | instid1(VALU_DEP_3)
	v_cmp_le_i32_e32 vcc_lo, s18, v23
	v_or_b32_e32 v220, s19, v217
	s_delay_alu instid0(VALU_DEP_1) | instskip(SKIP_3) | instid1(VALU_DEP_1)
	v_cmp_le_i32_e64 s2, s17, v220
	v_ashrrev_i32_e32 v221, 31, v220
	s_waitcnt lgkmcnt(0)
	v_mad_i64_i32 v[5:6], null, s27, v23, 0
	v_lshlrev_b64 v[6:7], 3, v[5:6]
	s_delay_alu instid0(VALU_DEP_1) | instskip(NEXT) | instid1(VALU_DEP_1)
	v_add_co_u32 v6, s3, s22, v6
	v_add_co_ci_u32_e64 v7, s3, s23, v7, s3
	s_or_b32 s3, s2, vcc_lo
	s_delay_alu instid0(SALU_CYCLE_1) | instskip(NEXT) | instid1(SALU_CYCLE_1)
	s_xor_b32 s3, s3, -1
	s_and_saveexec_b32 s4, s3
	s_cbranch_execz .LBB127_12
; %bb.11:
	v_lshlrev_b64 v[2:3], 3, v[220:221]
	s_delay_alu instid0(VALU_DEP_1) | instskip(NEXT) | instid1(VALU_DEP_1)
	v_add_co_u32 v2, s3, v6, v2
	v_add_co_ci_u32_e64 v3, s3, v7, v3, s3
	flat_load_b64 v[2:3], v[2:3]
.LBB127_12:
	s_or_b32 exec_lo, exec_lo, s4
	v_or_b32_e32 v4, 64, v220
	s_mov_b32 s6, -1
	s_mov_b32 s7, 0x7fefffff
	s_delay_alu instid0(SALU_CYCLE_1) | instskip(NEXT) | instid1(VALU_DEP_2)
	v_dual_mov_b32 v17, s7 :: v_dual_mov_b32 v16, s6
	v_cmp_le_i32_e64 s3, s17, v4
	s_delay_alu instid0(VALU_DEP_1) | instskip(NEXT) | instid1(SALU_CYCLE_1)
	s_or_b32 s4, s3, vcc_lo
	s_xor_b32 s4, s4, -1
	s_delay_alu instid0(SALU_CYCLE_1)
	s_and_saveexec_b32 s5, s4
	s_cbranch_execz .LBB127_14
; %bb.13:
	v_lshlrev_b64 v[8:9], 3, v[220:221]
	s_delay_alu instid0(VALU_DEP_1) | instskip(NEXT) | instid1(VALU_DEP_1)
	v_add_co_u32 v8, s4, v6, v8
	v_add_co_ci_u32_e64 v9, s4, v7, v9, s4
	flat_load_b64 v[16:17], v[8:9] offset:512
.LBB127_14:
	s_or_b32 exec_lo, exec_lo, s5
	v_or_b32_e32 v4, 0x80, v220
	v_dual_mov_b32 v19, s7 :: v_dual_mov_b32 v18, s6
	s_ashr_i32 s28, s27, 31
	s_delay_alu instid0(VALU_DEP_2) | instskip(NEXT) | instid1(VALU_DEP_1)
	v_cmp_le_i32_e64 s4, s17, v4
	s_or_b32 s5, s4, vcc_lo
	s_delay_alu instid0(SALU_CYCLE_1) | instskip(NEXT) | instid1(SALU_CYCLE_1)
	s_xor_b32 s5, s5, -1
	s_and_saveexec_b32 s6, s5
	s_cbranch_execz .LBB127_16
; %bb.15:
	v_lshlrev_b64 v[8:9], 3, v[220:221]
	s_delay_alu instid0(VALU_DEP_1) | instskip(NEXT) | instid1(VALU_DEP_1)
	v_add_co_u32 v8, s5, v6, v8
	v_add_co_ci_u32_e64 v9, s5, v7, v9, s5
	flat_load_b64 v[18:19], v[8:9] offset:1024
.LBB127_16:
	s_or_b32 exec_lo, exec_lo, s6
	v_or_b32_e32 v4, 0xc0, v220
	s_mov_b32 s6, -1
	s_mov_b32 s7, 0x7fefffff
	s_delay_alu instid0(SALU_CYCLE_1) | instskip(NEXT) | instid1(VALU_DEP_2)
	v_dual_mov_b32 v21, s7 :: v_dual_mov_b32 v20, s6
	v_cmp_le_i32_e64 s5, s17, v4
	s_delay_alu instid0(VALU_DEP_1) | instskip(NEXT) | instid1(SALU_CYCLE_1)
	s_or_b32 s8, s5, vcc_lo
	s_xor_b32 s9, s8, -1
	s_delay_alu instid0(SALU_CYCLE_1)
	s_and_saveexec_b32 s8, s9
	s_cbranch_execz .LBB127_18
; %bb.17:
	v_lshlrev_b64 v[8:9], 3, v[220:221]
	s_delay_alu instid0(VALU_DEP_1) | instskip(NEXT) | instid1(VALU_DEP_2)
	v_add_co_u32 v6, vcc_lo, v6, v8
	v_add_co_ci_u32_e32 v7, vcc_lo, v7, v9, vcc_lo
	flat_load_b64 v[20:21], v[6:7] offset:1536
.LBB127_18:
	s_or_b32 exec_lo, exec_lo, s8
	v_dual_mov_b32 v5, s6 :: v_dual_and_b32 v4, 3, v109
	v_mov_b32_e32 v6, s7
	s_delay_alu instid0(VALU_DEP_2) | instskip(NEXT) | instid1(VALU_DEP_1)
	v_or_b32_e32 v4, 4, v4
	v_cmp_gt_i32_e32 vcc_lo, s18, v4
	s_and_b32 s7, vcc_lo, s26
	s_delay_alu instid0(SALU_CYCLE_1)
	s_and_saveexec_b32 s6, s7
	s_cbranch_execz .LBB127_20
; %bb.19:
	v_mad_i64_i32 v[6:7], null, v22, s29, 0
	s_delay_alu instid0(VALU_DEP_1) | instskip(NEXT) | instid1(VALU_DEP_1)
	v_lshlrev_b64 v[6:7], 3, v[6:7]
	v_add_co_u32 v4, vcc_lo, s24, v6
	s_delay_alu instid0(VALU_DEP_2) | instskip(NEXT) | instid1(VALU_DEP_2)
	v_add_co_ci_u32_e32 v5, vcc_lo, s25, v7, vcc_lo
	v_add_co_u32 v6, vcc_lo, v4, v25
	s_delay_alu instid0(VALU_DEP_2)
	v_add_co_ci_u32_e32 v7, vcc_lo, 0, v5, vcc_lo
	flat_load_b64 v[5:6], v[6:7] offset:32
.LBB127_20:
	s_or_b32 exec_lo, exec_lo, s6
	s_mov_b32 s8, -1
	s_mov_b32 s9, 0x7fefffff
	v_add_nc_u32_e32 v4, 4, v23
	s_delay_alu instid0(VALU_DEP_1) | instskip(NEXT) | instid1(VALU_DEP_1)
	v_mad_i64_i32 v[8:9], null, s27, v4, 0
	v_lshlrev_b64 v[8:9], 3, v[8:9]
	s_delay_alu instid0(VALU_DEP_1) | instskip(SKIP_2) | instid1(VALU_DEP_4)
	v_add_co_u32 v26, s6, s22, v8
	v_mov_b32_e32 v7, s8
	v_cmp_le_i32_e32 vcc_lo, s18, v4
	v_add_co_ci_u32_e64 v27, s6, s23, v9, s6
	v_mov_b32_e32 v8, s9
	s_or_b32 s6, s2, vcc_lo
	s_delay_alu instid0(SALU_CYCLE_1) | instskip(NEXT) | instid1(SALU_CYCLE_1)
	s_xor_b32 s6, s6, -1
	s_and_saveexec_b32 s7, s6
	s_cbranch_execz .LBB127_22
; %bb.21:
	v_lshlrev_b64 v[8:9], 3, v[220:221]
	s_delay_alu instid0(VALU_DEP_1) | instskip(NEXT) | instid1(VALU_DEP_1)
	v_add_co_u32 v8, s6, v26, v8
	v_add_co_ci_u32_e64 v9, s6, v27, v9, s6
	flat_load_b64 v[7:8], v[8:9]
.LBB127_22:
	s_or_b32 exec_lo, exec_lo, s7
	v_dual_mov_b32 v10, s9 :: v_dual_mov_b32 v9, s8
	s_or_b32 s6, s3, vcc_lo
	s_delay_alu instid0(SALU_CYCLE_1) | instskip(NEXT) | instid1(SALU_CYCLE_1)
	s_xor_b32 s6, s6, -1
	s_and_saveexec_b32 s7, s6
	s_cbranch_execz .LBB127_24
; %bb.23:
	v_lshlrev_b64 v[10:11], 3, v[220:221]
	s_delay_alu instid0(VALU_DEP_1) | instskip(NEXT) | instid1(VALU_DEP_1)
	v_add_co_u32 v10, s6, v26, v10
	v_add_co_ci_u32_e64 v11, s6, v27, v11, s6
	flat_load_b64 v[9:10], v[10:11] offset:512
.LBB127_24:
	s_or_b32 exec_lo, exec_lo, s7
	s_waitcnt vmcnt(0) lgkmcnt(0)
	s_clause 0x1
	scratch_store_b64 off, v[7:8], off offset:304
	scratch_store_b64 off, v[5:6], off offset:296
	v_dual_mov_b32 v4, s8 :: v_dual_mov_b32 v5, s9
	s_or_b32 s6, s4, vcc_lo
	s_delay_alu instid0(SALU_CYCLE_1) | instskip(NEXT) | instid1(SALU_CYCLE_1)
	s_xor_b32 s6, s6, -1
	s_and_saveexec_b32 s7, s6
	s_cbranch_execz .LBB127_26
; %bb.25:
	v_lshlrev_b64 v[12:13], 3, v[220:221]
	s_delay_alu instid0(VALU_DEP_1) | instskip(NEXT) | instid1(VALU_DEP_1)
	v_add_co_u32 v12, s6, v26, v12
	v_add_co_ci_u32_e64 v13, s6, v27, v13, s6
	flat_load_b64 v[4:5], v[12:13] offset:1024
.LBB127_26:
	s_or_b32 exec_lo, exec_lo, s7
	s_waitcnt vmcnt(0) lgkmcnt(0)
	s_clause 0x1
	scratch_store_b64 off, v[4:5], off offset:324
	scratch_store_b64 off, v[9:10], off offset:312
	v_dual_mov_b32 v4, s8 :: v_dual_mov_b32 v5, s9
	s_or_b32 s6, s5, vcc_lo
	s_delay_alu instid0(SALU_CYCLE_1) | instskip(NEXT) | instid1(SALU_CYCLE_1)
	s_xor_b32 s7, s6, -1
	s_and_saveexec_b32 s6, s7
	s_cbranch_execz .LBB127_28
; %bb.27:
	v_lshlrev_b64 v[14:15], 3, v[220:221]
	s_delay_alu instid0(VALU_DEP_1) | instskip(NEXT) | instid1(VALU_DEP_2)
	v_add_co_u32 v14, vcc_lo, v26, v14
	v_add_co_ci_u32_e32 v15, vcc_lo, v27, v15, vcc_lo
	flat_load_b64 v[4:5], v[14:15] offset:1536
.LBB127_28:
	s_or_b32 exec_lo, exec_lo, s6
	v_lshl_or_b32 v78, v24, 5, v25
	s_waitcnt vmcnt(0) lgkmcnt(0)
	s_clause 0x1
	scratch_store_b64 off, v[4:5], off offset:332
	scratch_store_b32 off, v23, off offset:380
	v_dual_mov_b32 v137, 0x7f800000 :: v_dual_lshlrev_b32 v4, 3, v23
	v_dual_mov_b32 v120, 0x7f800000 :: v_dual_mov_b32 v131, 0x7f800000
	v_add_nc_u32_e32 v5, 0x4000, v78
	s_delay_alu instid0(VALU_DEP_3)
	v_lshl_add_u32 v4, v217, 5, v4
	v_dual_mov_b32 v122, 0x7f800000 :: v_dual_mov_b32 v133, 0x7f800000
	v_dual_mov_b32 v124, 0x7f800000 :: v_dual_mov_b32 v219, 0x7f800000
	scratch_store_b32 off, v5, off offset:392 ; 4-byte Folded Spill
	ds_store_b64 v78, v[0:1] offset:16384
	ds_store_2addr_stride64_b64 v4, v[2:3], v[16:17] offset1:4
	v_dual_mov_b32 v0, 0x7f800000 :: v_dual_mov_b32 v55, 0x7f800000
	scratch_store_b32 off, v4, off offset:388 ; 4-byte Folded Spill
	ds_store_2addr_stride64_b64 v4, v[18:19], v[20:21] offset0:8 offset1:12
	s_waitcnt lgkmcnt(0)
	s_waitcnt_vscnt null, 0x0
	v_dual_mov_b32 v126, 0x7f800000 :: v_dual_mov_b32 v237, 0x7f800000
	v_dual_mov_b32 v128, 0x7f800000 :: v_dual_mov_b32 v53, 0x7f800000
	scratch_store_b32 off, v0, off          ; 4-byte Folded Spill
	v_dual_mov_b32 v130, 0x7f800000 :: v_dual_mov_b32 v215, 0x7f800000
	v_dual_mov_b32 v132, 0x7f800000 :: v_dual_mov_b32 v135, 0x7f800000
	;; [unrolled: 1-line block ×25, first 2 shown]
	v_mov_b32_e32 v142, 0x7f800000
	s_mov_b32 s7, 0
	s_mov_b32 s6, -1
	scratch_store_b32 off, v0, off offset:4 ; 4-byte Folded Spill
	s_waitcnt_vscnt null, 0x0
	s_barrier
	buffer_gl0_inv
	scratch_store_b32 off, v109, off offset:320 ; 4-byte Folded Spill
.LBB127_29:                             ; =>This Inner Loop Header: Depth=1
	s_lshl_b32 s7, s7, 3
	v_mov_b32_e32 v113, v53
	v_lshl_add_u32 v25, v216, 5, s7
	s_waitcnt vmcnt(0)
	v_lshl_add_u32 v4, v109, 5, s7
	v_mov_b32_e32 v27, v55
	s_mov_b32 s7, 2
	s_and_not1_b32 vcc_lo, exec_lo, s6
	ds_load_b128 v[16:19], v25
	ds_load_b128 v[0:3], v4 offset:16384
	ds_load_b128 v[105:108], v4 offset:16640
	;; [unrolled: 1-line block ×3, first 2 shown]
	s_mov_b32 s6, 0
	s_waitcnt lgkmcnt(2)
	v_add_f64 v[5:6], v[2:3], v[18:19]
	scratch_store_b64 off, v[5:6], off offset:40 ; 8-byte Folded Spill
	v_add_f64 v[5:6], v[0:1], v[16:17]
	scratch_store_b64 off, v[5:6], off offset:104 ; 8-byte Folded Spill
	s_waitcnt lgkmcnt(1)
	v_add_f64 v[5:6], v[107:108], v[18:19]
	scratch_store_b64 off, v[5:6], off offset:8 ; 8-byte Folded Spill
	v_add_f64 v[5:6], v[105:106], v[16:17]
	scratch_store_b64 off, v[5:6], off offset:72 ; 8-byte Folded Spill
	ds_load_b128 v[33:36], v4 offset:16896
	ds_load_b128 v[37:40], v4 offset:17152
	s_waitcnt lgkmcnt(1)
	v_add_f64 v[5:6], v[35:36], v[18:19]
	scratch_store_b64 off, v[5:6], off offset:48 ; 8-byte Folded Spill
	v_add_f64 v[5:6], v[33:34], v[16:17]
	scratch_store_b64 off, v[5:6], off offset:112 ; 8-byte Folded Spill
	s_waitcnt lgkmcnt(0)
	v_add_f64 v[5:6], v[39:40], v[18:19]
	scratch_store_b64 off, v[5:6], off offset:16 ; 8-byte Folded Spill
	v_add_f64 v[5:6], v[37:38], v[16:17]
	scratch_store_b64 off, v[5:6], off offset:80 ; 8-byte Folded Spill
	ds_load_b128 v[41:44], v4 offset:17408
	ds_load_b128 v[45:48], v4 offset:17664
	;; [unrolled: 1-line block ×4, first 2 shown]
	s_waitcnt lgkmcnt(3)
	v_add_f64 v[5:6], v[43:44], v[18:19]
	scratch_store_b64 off, v[5:6], off offset:56 ; 8-byte Folded Spill
	v_add_f64 v[5:6], v[41:42], v[16:17]
	scratch_store_b64 off, v[5:6], off offset:120 ; 8-byte Folded Spill
	s_waitcnt lgkmcnt(2)
	v_add_f64 v[5:6], v[47:48], v[18:19]
	scratch_store_b64 off, v[5:6], off offset:24 ; 8-byte Folded Spill
	v_add_f64 v[5:6], v[45:46], v[16:17]
	scratch_store_b64 off, v[5:6], off offset:88 ; 8-byte Folded Spill
	;; [unrolled: 5-line block ×4, first 2 shown]
	v_add_f64 v[4:5], v[2:3], v[31:32]
	scratch_store_b64 off, v[4:5], off offset:136 ; 8-byte Folded Spill
	v_add_f64 v[4:5], v[0:1], v[29:30]
	scratch_store_b64 off, v[4:5], off offset:144 ; 8-byte Folded Spill
	;; [unrolled: 2-line block ×16, first 2 shown]
	ds_load_b128 v[16:19], v25 offset:2048
	ds_load_b128 v[29:32], v25 offset:3072
	s_waitcnt lgkmcnt(1)
	v_add_f64 v[4:5], v[47:48], v[18:19]
	v_add_f64 v[168:169], v[2:3], v[18:19]
	;; [unrolled: 1-line block ×13, first 2 shown]
	s_waitcnt lgkmcnt(0)
	v_add_f64 v[174:175], v[2:3], v[31:32]
	v_add_f64 v[224:225], v[0:1], v[29:30]
	v_add_f64 v[226:227], v[107:108], v[31:32]
	v_add_f64 v[228:229], v[105:106], v[29:30]
	v_add_f64 v[230:231], v[35:36], v[31:32]
	v_add_f64 v[232:233], v[33:34], v[29:30]
	v_add_f64 v[234:235], v[39:40], v[31:32]
	v_add_f64 v[81:82], v[37:38], v[29:30]
	v_add_f64 v[238:239], v[43:44], v[31:32]
	v_add_f64 v[240:241], v[41:42], v[29:30]
	v_add_f64 v[242:243], v[47:48], v[31:32]
	v_add_f64 v[244:245], v[45:46], v[29:30]
	v_add_f64 v[246:247], v[51:52], v[31:32]
	v_add_f64 v[248:249], v[49:50], v[29:30]
	v_add_f64 v[250:251], v[55:56], v[31:32]
	v_add_f64 v[252:253], v[53:54], v[29:30]
	scratch_store_b64 off, v[4:5], off offset:280 ; 8-byte Folded Spill
	v_add_f64 v[4:5], v[51:52], v[18:19]
	scratch_store_b64 off, v[4:5], off offset:272 ; 8-byte Folded Spill
	v_add_f64 v[4:5], v[55:56], v[18:19]
	;; [unrolled: 2-line block ×3, first 2 shown]
	scratch_store_b64 off, v[4:5], off offset:288 ; 8-byte Folded Spill
	ds_load_b128 v[16:19], v25 offset:4096
	ds_load_b128 v[29:32], v25 offset:5120
	s_waitcnt lgkmcnt(1)
	v_add_f64 v[254:255], v[2:3], v[18:19]
	v_add_f64 v[23:24], v[0:1], v[16:17]
	v_add_f64 v[6:7], v[107:108], v[18:19]
	v_add_f64 v[8:9], v[105:106], v[16:17]
	v_add_f64 v[10:11], v[35:36], v[18:19]
	v_add_f64 v[12:13], v[33:34], v[16:17]
	v_add_f64 v[14:15], v[39:40], v[18:19]
	v_add_f64 v[146:147], v[37:38], v[16:17]
	v_add_f64 v[144:145], v[43:44], v[18:19]
	v_add_f64 v[4:5], v[41:42], v[16:17]
	v_add_f64 v[75:76], v[47:48], v[18:19]
	v_add_f64 v[65:66], v[45:46], v[16:17]
	v_add_f64 v[79:80], v[51:52], v[18:19]
	v_add_f64 v[20:21], v[49:50], v[16:17]
	v_add_f64 v[57:58], v[55:56], v[18:19]
	v_add_f64 v[111:112], v[53:54], v[16:17]
	s_waitcnt lgkmcnt(0)
	v_add_f64 v[162:163], v[2:3], v[31:32]
	v_add_f64 v[160:161], v[0:1], v[29:30]
	;; [unrolled: 1-line block ×16, first 2 shown]
	ds_load_b128 v[16:19], v25 offset:6144
	ds_load_b128 v[29:32], v25 offset:7168
	v_cvt_f32_f64_e32 v23, v[23:24]
	v_cvt_f32_f64_e32 v6, v[6:7]
	;; [unrolled: 1-line block ×7, first 2 shown]
	s_waitcnt lgkmcnt(1)
	v_add_f64 v[85:86], v[0:1], v[16:17]
	v_add_f64 v[89:90], v[105:106], v[16:17]
	;; [unrolled: 1-line block ×8, first 2 shown]
	s_waitcnt lgkmcnt(0)
	v_add_f64 v[0:1], v[0:1], v[29:30]
	v_add_f64 v[105:106], v[105:106], v[29:30]
	;; [unrolled: 1-line block ×8, first 2 shown]
	scratch_load_b64 v[53:54], off, off offset:104 ; 8-byte Folded Reload
	v_add_f64 v[83:84], v[2:3], v[18:19]
	v_add_f64 v[87:88], v[107:108], v[18:19]
	;; [unrolled: 1-line block ×16, first 2 shown]
	v_mov_b32_e32 v55, v27
	v_min3_f32 v119, v8, v6, v119
	v_cvt_f32_f64_e32 v6, v[12:13]
	v_min3_f32 v136, v4, v5, v136
	v_cvt_f32_f64_e32 v4, v[65:66]
	v_cvt_f32_f64_e32 v5, v[75:76]
	v_min3_f32 v139, v23, v24, v139
	v_cvt_f32_f64_e32 v0, v[0:1]
	v_cvt_f32_f64_e32 v1, v[2:3]
	scratch_load_b32 v2, off, off           ; 4-byte Folded Reload
	v_min3_f32 v115, v6, v7, v115
	v_cvt_f32_f64_e32 v6, v[146:147]
	v_cvt_f32_f64_e32 v7, v[14:15]
	v_min3_f32 v117, v4, v5, v117
	v_cvt_f32_f64_e32 v4, v[20:21]
	v_cvt_f32_f64_e32 v5, v[79:80]
	;; [unrolled: 3-line block ×3, first 2 shown]
	v_min3_f32 v138, v6, v7, v138
	scratch_load_b32 v6, off, off offset:4  ; 4-byte Folded Reload
	v_min3_f32 v135, v4, v5, v135
	v_cvt_f32_f64_e32 v4, v[111:112]
	v_cvt_f32_f64_e32 v5, v[57:58]
	v_min3_f32 v137, v0, v1, v137
	v_cvt_f32_f64_e32 v0, v[33:34]
	v_cvt_f32_f64_e32 v1, v[35:36]
	s_delay_alu instid0(VALU_DEP_4) | instskip(SKIP_2) | instid1(VALU_DEP_1)
	v_min3_f32 v215, v4, v5, v215
	v_cvt_f32_f64_e32 v4, v[160:161]
	v_cvt_f32_f64_e32 v5, v[162:163]
	v_min3_f32 v118, v4, v5, v118
	v_cvt_f32_f64_e32 v4, v[156:157]
	v_cvt_f32_f64_e32 v5, v[158:159]
	s_delay_alu instid0(VALU_DEP_1) | instskip(SKIP_2) | instid1(VALU_DEP_1)
	v_min3_f32 v212, v4, v5, v212
	v_cvt_f32_f64_e32 v4, v[152:153]
	v_cvt_f32_f64_e32 v5, v[154:155]
	v_min3_f32 v116, v4, v5, v116
	v_cvt_f32_f64_e32 v4, v[148:149]
	v_cvt_f32_f64_e32 v5, v[150:151]
	s_delay_alu instid0(VALU_DEP_1)
	v_min3_f32 v55, v4, v5, v55
	v_cvt_f32_f64_e32 v4, v[73:74]
	v_cvt_f32_f64_e32 v5, v[61:62]
	s_waitcnt vmcnt(2)
	v_cvt_f32_f64_e32 v27, v[53:54]
	scratch_load_b64 v[53:54], off, off offset:40 ; 8-byte Folded Reload
	v_min3_f32 v114, v4, v5, v114
	v_cvt_f32_f64_e32 v4, v[69:70]
	v_cvt_f32_f64_e32 v5, v[71:72]
	s_waitcnt vmcnt(2)
	v_min3_f32 v2, v0, v1, v2
	v_cvt_f32_f64_e32 v0, v[37:38]
	v_cvt_f32_f64_e32 v1, v[39:40]
	scratch_store_b32 off, v2, off          ; 4-byte Folded Spill
	v_min3_f32 v192, v4, v5, v192
	v_cvt_f32_f64_e32 v4, v[63:64]
	v_cvt_f32_f64_e32 v5, v[67:68]
	v_min3_f32 v128, v0, v1, v128
	v_cvt_f32_f64_e32 v0, v[41:42]
	v_cvt_f32_f64_e32 v1, v[43:44]
	s_delay_alu instid0(VALU_DEP_1) | instskip(SKIP_2) | instid1(VALU_DEP_1)
	v_min3_f32 v126, v0, v1, v126
	v_cvt_f32_f64_e32 v0, v[45:46]
	v_cvt_f32_f64_e32 v1, v[47:48]
	v_min3_f32 v124, v0, v1, v124
	v_cvt_f32_f64_e32 v0, v[49:50]
	v_cvt_f32_f64_e32 v1, v[51:52]
	s_delay_alu instid0(VALU_DEP_1) | instskip(SKIP_2) | instid1(VALU_DEP_1)
	v_min3_f32 v122, v0, v1, v122
	v_cvt_f32_f64_e32 v0, v[29:30]
	v_cvt_f32_f64_e32 v1, v[31:32]
	v_min3_f32 v120, v0, v1, v120
	s_waitcnt vmcnt(0)
	v_cvt_f32_f64_e32 v53, v[53:54]
	s_delay_alu instid0(VALU_DEP_1)
	v_min3_f32 v143, v27, v53, v143
	scratch_load_b64 v[53:54], off, off offset:72 ; 8-byte Folded Reload
	s_waitcnt vmcnt(0)
	v_cvt_f32_f64_e32 v27, v[53:54]
	scratch_load_b64 v[53:54], off, off offset:8 ; 8-byte Folded Reload
	s_waitcnt vmcnt(0)
	v_cvt_f32_f64_e32 v53, v[53:54]
	s_delay_alu instid0(VALU_DEP_1)
	v_min3_f32 v142, v27, v53, v142
	scratch_load_b64 v[53:54], off, off offset:112 ; 8-byte Folded Reload
	s_waitcnt vmcnt(0)
	v_cvt_f32_f64_e32 v27, v[53:54]
	scratch_load_b64 v[53:54], off, off offset:48 ; 8-byte Folded Reload
	;; [unrolled: 8-line block ×15, first 2 shown]
	s_waitcnt vmcnt(0)
	v_cvt_f32_f64_e32 v53, v[53:54]
	s_delay_alu instid0(VALU_DEP_1) | instskip(SKIP_2) | instid1(VALU_DEP_1)
	v_min3_f32 v207, v27, v53, v207
	v_cvt_f32_f64_e32 v27, v[164:165]
	v_cvt_f32_f64_e32 v53, v[168:169]
	v_min3_f32 v206, v27, v53, v206
	v_cvt_f32_f64_e32 v27, v[166:167]
	v_cvt_f32_f64_e32 v53, v[176:177]
	s_delay_alu instid0(VALU_DEP_1) | instskip(SKIP_2) | instid1(VALU_DEP_1)
	v_min3_f32 v204, v27, v53, v204
	v_cvt_f32_f64_e32 v27, v[170:171]
	v_cvt_f32_f64_e32 v53, v[180:181]
	v_min3_f32 v203, v27, v53, v203
	v_cvt_f32_f64_e32 v27, v[172:173]
	v_cvt_f32_f64_e32 v53, v[184:185]
	s_delay_alu instid0(VALU_DEP_1) | instskip(SKIP_2) | instid1(VALU_DEP_1)
	v_min3_f32 v202, v27, v53, v202
	v_cvt_f32_f64_e32 v27, v[178:179]
	v_cvt_f32_f64_e32 v53, v[188:189]
	v_min3_f32 v201, v27, v53, v201
	scratch_load_b64 v[53:54], off, off offset:280 ; 8-byte Folded Reload
	v_cvt_f32_f64_e32 v27, v[182:183]
	s_waitcnt vmcnt(0)
	v_cvt_f32_f64_e32 v53, v[53:54]
	s_delay_alu instid0(VALU_DEP_1) | instskip(SKIP_4) | instid1(VALU_DEP_1)
	v_min3_f32 v77, v27, v53, v77
	scratch_load_b64 v[53:54], off, off offset:272 ; 8-byte Folded Reload
	v_cvt_f32_f64_e32 v27, v[186:187]
	s_waitcnt vmcnt(0)
	v_cvt_f32_f64_e32 v53, v[53:54]
	v_min3_f32 v199, v27, v53, v199
	scratch_load_b64 v[53:54], off, off offset:288 ; 8-byte Folded Reload
	s_waitcnt vmcnt(0)
	v_cvt_f32_f64_e32 v27, v[53:54]
	scratch_load_b64 v[53:54], off, off offset:264 ; 8-byte Folded Reload
	s_waitcnt vmcnt(0)
	v_cvt_f32_f64_e32 v53, v[53:54]
	s_delay_alu instid0(VALU_DEP_1) | instskip(SKIP_2) | instid1(VALU_DEP_1)
	v_min3_f32 v198, v27, v53, v198
	v_cvt_f32_f64_e32 v27, v[224:225]
	v_cvt_f32_f64_e32 v53, v[174:175]
	v_min3_f32 v197, v27, v53, v197
	v_cvt_f32_f64_e32 v27, v[228:229]
	v_cvt_f32_f64_e32 v53, v[226:227]
	s_delay_alu instid0(VALU_DEP_1) | instskip(SKIP_2) | instid1(VALU_DEP_1)
	v_min3_f32 v196, v27, v53, v196
	v_cvt_f32_f64_e32 v27, v[232:233]
	v_cvt_f32_f64_e32 v53, v[230:231]
	v_min3_f32 v195, v27, v53, v195
	v_cvt_f32_f64_e32 v27, v[81:82]
	;; [unrolled: 7-line block ×4, first 2 shown]
	v_cvt_f32_f64_e32 v53, v[250:251]
	s_delay_alu instid0(VALU_DEP_1) | instskip(SKIP_1) | instid1(VALU_DEP_1)
	v_min3_f32 v190, v27, v53, v190
	v_mov_b32_e32 v53, v113
	v_min3_f32 v53, v4, v5, v53
	v_cvt_f32_f64_e32 v4, v[59:60]
	v_cvt_f32_f64_e32 v5, v[109:110]
	scratch_load_b32 v109, off, off offset:320 ; 4-byte Folded Reload
	v_min3_f32 v237, v4, v5, v237
	v_cvt_f32_f64_e32 v4, v[85:86]
	v_cvt_f32_f64_e32 v5, v[83:84]
	s_delay_alu instid0(VALU_DEP_1) | instskip(SKIP_2) | instid1(VALU_DEP_1)
	v_min3_f32 v214, v4, v5, v214
	v_cvt_f32_f64_e32 v4, v[89:90]
	v_cvt_f32_f64_e32 v5, v[87:88]
	v_min3_f32 v219, v4, v5, v219
	v_cvt_f32_f64_e32 v4, v[93:94]
	v_cvt_f32_f64_e32 v5, v[91:92]
	s_delay_alu instid0(VALU_DEP_1) | instskip(SKIP_2) | instid1(VALU_DEP_1)
	v_min3_f32 v218, v4, v5, v218
	v_cvt_f32_f64_e32 v4, v[208:209]
	v_cvt_f32_f64_e32 v5, v[95:96]
	v_min3_f32 v200, v4, v5, v200
	v_cvt_f32_f64_e32 v4, v[25:26]
	v_cvt_f32_f64_e32 v5, v[99:100]
	s_delay_alu instid0(VALU_DEP_1)
	v_min3_f32 v6, v4, v5, v6
	v_cvt_f32_f64_e32 v4, v[97:98]
	v_cvt_f32_f64_e32 v5, v[222:223]
	scratch_store_b32 off, v6, off offset:4 ; 4-byte Folded Spill
	v_min3_f32 v133, v4, v5, v133
	v_cvt_f32_f64_e32 v4, v[101:102]
	v_cvt_f32_f64_e32 v5, v[103:104]
	s_delay_alu instid0(VALU_DEP_1) | instskip(SKIP_2) | instid1(VALU_DEP_1)
	v_min3_f32 v132, v4, v5, v132
	v_cvt_f32_f64_e32 v4, v[16:17]
	v_cvt_f32_f64_e32 v5, v[18:19]
	v_min3_f32 v131, v4, v5, v131
	s_cbranch_vccz .LBB127_29
; %bb.30:
	scratch_load_b32 v1, off, off offset:380 ; 4-byte Folded Reload
	v_dual_mov_b32 v61, v201 :: v_dual_mov_b32 v68, v119
	v_dual_mov_b32 v201, v77 :: v_dual_lshlrev_b32 v0, 5, v217
	v_dual_mov_b32 v39, v213 :: v_dual_mov_b32 v64, v203
	v_dual_mov_b32 v37, v211 :: v_dual_mov_b32 v108, v202
	;; [unrolled: 1-line block ×5, first 2 shown]
	v_mov_b32_e32 v79, v196
	v_mov_b32_e32 v75, v195
	;; [unrolled: 1-line block ×6, first 2 shown]
	s_mov_b32 s7, 8
	s_cmp_gt_i32 s18, 8
	s_waitcnt vmcnt(0)
	v_lshl_add_u32 v0, v1, 3, v0
	scratch_load_b64 v[1:2], off, off offset:296 ; 8-byte Folded Reload
	s_waitcnt vmcnt(0)
	ds_store_b64 v78, v[1:2] offset:18432
	s_clause 0x1
	scratch_load_b64 v[1:2], off, off offset:304
	scratch_load_b64 v[3:4], off, off offset:312
	s_waitcnt vmcnt(0)
	ds_store_2addr_stride64_b64 v0, v[1:2], v[3:4] offset0:16 offset1:20
	s_clause 0x1
	scratch_load_b64 v[1:2], off, off offset:324
	scratch_load_b64 v[3:4], off, off offset:332
	s_waitcnt vmcnt(0)
	ds_store_2addr_stride64_b64 v0, v[1:2], v[3:4] offset0:24 offset1:28
	s_waitcnt lgkmcnt(0)
	s_waitcnt_vscnt null, 0x0
	s_barrier
	buffer_gl0_inv
	scratch_store_b32 off, v216, off offset:8 ; 4-byte Folded Spill
	s_cbranch_scc0 .LBB127_58
; %bb.31:
	v_mad_i64_i32 v[1:2], null, v22, s29, 0
	v_dual_mov_b32 v8, 0 :: v_dual_add_nc_u32 v3, 0x4800, v78
	v_or_b32_e32 v0, 0x2000, v0
	v_lshlrev_b64 v[5:6], 3, v[220:221]
	v_dual_mov_b32 v78, v197 :: v_dual_mov_b32 v199, v108
	v_lshlrev_b64 v[1:2], 3, v[1:2]
	s_clause 0x1
	scratch_store_b32 off, v3, off offset:396
	scratch_store_b32 off, v0, off offset:400
	v_mov_b32_e32 v35, v215
	s_mov_b32 s8, -1
	s_mov_b32 s9, 0x7fefffff
	v_add_co_u32 v0, vcc_lo, s24, v1
	v_add_co_ci_u32_e32 v1, vcc_lo, s25, v2, vcc_lo
	s_add_i32 s24, s18, -8
	scratch_store_b32 off, v0, off offset:404 ; 4-byte Folded Spill
	v_add_co_u32 v0, vcc_lo, v0, 32
	s_mov_b32 s25, 0
	s_clause 0x1
	scratch_store_b32 off, v0, off offset:412
	scratch_store_b32 off, v1, off offset:408
	v_add_co_ci_u32_e32 v0, vcc_lo, 0, v1, vcc_lo
	s_clause 0x1
	scratch_store_b64 off, v[5:6], off offset:332
	scratch_store_b32 off, v0, off offset:416
.LBB127_32:                             ; =>This Loop Header: Depth=1
                                        ;     Child Loop BB127_43 Depth 2
                                        ;     Child Loop BB127_55 Depth 2
	scratch_load_b32 v0, off, off offset:384 ; 4-byte Folded Reload
	v_dual_mov_b32 v11, s9 :: v_dual_mov_b32 v10, s8
	s_waitcnt vmcnt(0)
	v_or_b32_e32 v7, s7, v0
	s_delay_alu instid0(VALU_DEP_1)
	v_cmp_gt_i32_e32 vcc_lo, s18, v7
	s_and_b32 s29, vcc_lo, s26
	s_mov_b32 s6, exec_lo
	scratch_load_b32 v9, off, off offset:380 ; 4-byte Folded Reload
	v_mov_b32_e32 v65, v107
	v_mov_b32_e32 v41, v103
	s_and_b32 s29, s6, s29
	s_delay_alu instid0(SALU_CYCLE_1)
	s_mov_b32 exec_lo, s29
	s_cbranch_execz .LBB127_34
; %bb.33:                               ;   in Loop: Header=BB127_32 Depth=1
	scratch_load_b32 v2, off, off offset:404 ; 4-byte Folded Reload
	v_lshlrev_b64 v[0:1], 3, v[7:8]
	s_waitcnt vmcnt(0)
	s_delay_alu instid0(VALU_DEP_1)
	v_add_co_u32 v0, vcc_lo, v2, v0
	scratch_load_b32 v2, off, off offset:408 ; 4-byte Folded Reload
	s_waitcnt vmcnt(0)
	v_add_co_ci_u32_e32 v1, vcc_lo, v2, v1, vcc_lo
	flat_load_b64 v[10:11], v[0:1]
.LBB127_34:                             ;   in Loop: Header=BB127_32 Depth=1
	s_or_b32 exec_lo, exec_lo, s6
	s_waitcnt vmcnt(0)
	v_dual_mov_b32 v13, s9 :: v_dual_add_nc_u32 v4, s7, v9
	v_mov_b32_e32 v12, s8
	s_delay_alu instid0(VALU_DEP_2) | instskip(NEXT) | instid1(VALU_DEP_1)
	v_mad_u64_u32 v[0:1], null, v4, s27, 0
	v_mad_u64_u32 v[2:3], null, v4, s28, v[1:2]
	s_delay_alu instid0(VALU_DEP_1) | instskip(SKIP_1) | instid1(VALU_DEP_2)
	v_mov_b32_e32 v1, v2
	v_cmp_le_i32_e32 vcc_lo, s18, v4
	v_lshlrev_b64 v[0:1], 3, v[0:1]
	s_delay_alu instid0(VALU_DEP_1) | instskip(NEXT) | instid1(VALU_DEP_1)
	v_add_co_u32 v0, s6, s22, v0
	v_add_co_ci_u32_e64 v1, s6, s23, v1, s6
	s_or_b32 s6, s2, vcc_lo
	s_delay_alu instid0(SALU_CYCLE_1) | instskip(NEXT) | instid1(SALU_CYCLE_1)
	s_xor_b32 s6, s6, -1
	s_and_saveexec_b32 s29, s6
	s_cbranch_execz .LBB127_36
; %bb.35:                               ;   in Loop: Header=BB127_32 Depth=1
	v_add_co_u32 v2, s6, v0, v5
	s_delay_alu instid0(VALU_DEP_1)
	v_add_co_ci_u32_e64 v3, s6, v1, v6, s6
	flat_load_b64 v[12:13], v[2:3]
.LBB127_36:                             ;   in Loop: Header=BB127_32 Depth=1
	s_or_b32 exec_lo, exec_lo, s29
	v_dual_mov_b32 v15, s9 :: v_dual_mov_b32 v14, s8
	s_or_b32 s6, s3, vcc_lo
	s_delay_alu instid0(SALU_CYCLE_1) | instskip(NEXT) | instid1(SALU_CYCLE_1)
	s_xor_b32 s6, s6, -1
	s_and_saveexec_b32 s29, s6
	s_cbranch_execz .LBB127_38
; %bb.37:                               ;   in Loop: Header=BB127_32 Depth=1
	v_add_co_u32 v2, s6, v0, v5
	s_delay_alu instid0(VALU_DEP_1)
	v_add_co_ci_u32_e64 v3, s6, v1, v6, s6
	flat_load_b64 v[14:15], v[2:3] offset:512
.LBB127_38:                             ;   in Loop: Header=BB127_32 Depth=1
	s_or_b32 exec_lo, exec_lo, s29
	v_dual_mov_b32 v2, s8 :: v_dual_mov_b32 v3, s9
	s_or_b32 s6, s4, vcc_lo
	s_waitcnt vmcnt(0) lgkmcnt(0)
	s_clause 0x2
	scratch_store_b64 off, v[12:13], off offset:348
	scratch_store_b64 off, v[10:11], off offset:340
	;; [unrolled: 1-line block ×3, first 2 shown]
	s_xor_b32 s6, s6, -1
	s_delay_alu instid0(SALU_CYCLE_1)
	s_and_saveexec_b32 s29, s6
	s_cbranch_execz .LBB127_40
; %bb.39:                               ;   in Loop: Header=BB127_32 Depth=1
	v_add_co_u32 v2, s6, v0, v5
	s_delay_alu instid0(VALU_DEP_1)
	v_add_co_ci_u32_e64 v3, s6, v1, v6, s6
	flat_load_b64 v[2:3], v[2:3] offset:1024
.LBB127_40:                             ;   in Loop: Header=BB127_32 Depth=1
	s_or_b32 exec_lo, exec_lo, s29
	v_dual_mov_b32 v54, v78 :: v_dual_mov_b32 v7, s8
	v_dual_mov_b32 v34, v214 :: v_dual_mov_b32 v43, v76
	;; [unrolled: 1-line block ×5, first 2 shown]
	v_mov_b32_e32 v8, s9
	s_or_b32 s6, s5, vcc_lo
	scratch_store_b64 off, v[14:15], off offset:356 ; 8-byte Folded Spill
	s_xor_b32 s29, s6, -1
	s_delay_alu instid0(SALU_CYCLE_1)
	s_and_saveexec_b32 s6, s29
	s_cbranch_execz .LBB127_42
; %bb.41:                               ;   in Loop: Header=BB127_32 Depth=1
	v_add_co_u32 v0, vcc_lo, v0, v5
	v_add_co_ci_u32_e32 v1, vcc_lo, v1, v6, vcc_lo
	flat_load_b64 v[7:8], v[0:1] offset:1536
.LBB127_42:                             ;   in Loop: Header=BB127_32 Depth=1
	s_or_b32 exec_lo, exec_lo, s6
	v_dual_mov_b32 v119, v42 :: v_dual_mov_b32 v74, v79
	v_dual_mov_b32 v51, v68 :: v_dual_mov_b32 v68, v70
	v_mov_b32_e32 v204, v77
	v_mov_b32_e32 v38, v212
	s_mov_b32 s29, 0
	s_mov_b32 s6, -1
	s_waitcnt vmcnt(0) lgkmcnt(0)
	s_clause 0x1
	scratch_store_b64 off, v[7:8], off offset:372
	scratch_store_b64 off, v[2:3], off offset:364
.LBB127_43:                             ;   Parent Loop BB127_32 Depth=1
                                        ; =>  This Inner Loop Header: Depth=2
	s_lshl_b32 s29, s29, 3
	v_mov_b32_e32 v42, v237
	v_lshl_add_u32 v20, v216, 5, s29
	v_lshl_add_u32 v4, v109, 5, s29
	v_mov_b32_e32 v237, v53
	s_mov_b32 s29, 2
	s_and_not1_b32 vcc_lo, exec_lo, s6
	ds_load_b128 v[46:49], v20 offset:8192
	ds_load_b128 v[0:3], v4 offset:18432
	;; [unrolled: 1-line block ×4, first 2 shown]
	s_mov_b32 s6, 0
	s_waitcnt lgkmcnt(2)
	v_add_f64 v[66:67], v[2:3], v[48:49]
	s_waitcnt lgkmcnt(1)
	v_add_f64 v[5:6], v[156:157], v[48:49]
	;; [unrolled: 2-line block ×3, first 2 shown]
	v_add_f64 v[144:145], v[0:1], v[46:47]
	s_delay_alu instid0(VALU_DEP_4)
	v_cvt_f32_f64_e32 v66, v[66:67]
	scratch_store_b64 off, v[5:6], off offset:16 ; 8-byte Folded Spill
	v_add_f64 v[5:6], v[154:155], v[46:47]
	v_cvt_f32_f64_e32 v29, v[144:145]
	scratch_store_b64 off, v[5:6], off offset:72 ; 8-byte Folded Spill
	ds_load_b128 v[162:165], v4 offset:18944
	ds_load_b128 v[166:169], v4 offset:19200
	v_min3_f32 v143, v29, v66, v143
	s_waitcnt lgkmcnt(1)
	v_add_f64 v[5:6], v[164:165], v[48:49]
	scratch_store_b64 off, v[5:6], off offset:48 ; 8-byte Folded Spill
	v_add_f64 v[5:6], v[162:163], v[46:47]
	scratch_store_b64 off, v[5:6], off offset:104 ; 8-byte Folded Spill
	s_waitcnt lgkmcnt(0)
	v_add_f64 v[5:6], v[168:169], v[48:49]
	scratch_store_b64 off, v[5:6], off offset:24 ; 8-byte Folded Spill
	v_add_f64 v[5:6], v[166:167], v[46:47]
	scratch_store_b64 off, v[5:6], off offset:80 ; 8-byte Folded Spill
	ds_load_b128 v[170:173], v4 offset:19456
	ds_load_b128 v[174:177], v4 offset:19712
	s_waitcnt lgkmcnt(1)
	v_add_f64 v[5:6], v[172:173], v[48:49]
	scratch_store_b64 off, v[5:6], off offset:56 ; 8-byte Folded Spill
	v_add_f64 v[5:6], v[170:171], v[46:47]
	scratch_store_b64 off, v[5:6], off offset:112 ; 8-byte Folded Spill
	s_waitcnt lgkmcnt(0)
	v_add_f64 v[5:6], v[176:177], v[48:49]
	scratch_store_b64 off, v[5:6], off offset:32 ; 8-byte Folded Spill
	v_add_f64 v[5:6], v[174:175], v[46:47]
	scratch_store_b64 off, v[5:6], off offset:88 ; 8-byte Folded Spill
	ds_load_b128 v[178:181], v4 offset:19968
	ds_load_b128 v[182:185], v4 offset:20224
	s_waitcnt lgkmcnt(1)
	v_add_f64 v[4:5], v[180:181], v[48:49]
	scratch_store_b64 off, v[4:5], off offset:64 ; 8-byte Folded Spill
	v_add_f64 v[4:5], v[178:179], v[46:47]
	scratch_store_b64 off, v[4:5], off offset:120 ; 8-byte Folded Spill
	s_waitcnt lgkmcnt(0)
	v_add_f64 v[4:5], v[184:185], v[48:49]
	scratch_store_b64 off, v[4:5], off offset:40 ; 8-byte Folded Spill
	v_add_f64 v[4:5], v[182:183], v[46:47]
	scratch_store_b64 off, v[4:5], off offset:96 ; 8-byte Folded Spill
	;; [unrolled: 2-line block ×17, first 2 shown]
	ds_load_b128 v[158:161], v20 offset:10240
	ds_load_b128 v[186:189], v20 offset:11264
	s_waitcnt lgkmcnt(1)
	v_add_f64 v[4:5], v[168:169], v[160:161]
	v_add_f64 v[195:196], v[2:3], v[160:161]
	;; [unrolled: 1-line block ×8, first 2 shown]
	s_waitcnt lgkmcnt(0)
	v_add_f64 v[222:223], v[2:3], v[188:189]
	v_add_f64 v[224:225], v[0:1], v[186:187]
	;; [unrolled: 1-line block ×16, first 2 shown]
	scratch_store_b64 off, v[4:5], off offset:296 ; 8-byte Folded Spill
	v_add_f64 v[4:5], v[172:173], v[160:161]
	scratch_store_b64 off, v[4:5], off offset:280 ; 8-byte Folded Spill
	v_add_f64 v[4:5], v[170:171], v[158:159]
	;; [unrolled: 2-line block ×8, first 2 shown]
	scratch_store_b64 off, v[4:5], off offset:272 ; 8-byte Folded Spill
	ds_load_b128 v[158:161], v20 offset:12288
	ds_load_b128 v[186:189], v20 offset:13312
	s_waitcnt lgkmcnt(1)
	v_add_f64 v[254:255], v[2:3], v[160:161]
	v_add_f64 v[152:153], v[0:1], v[158:159]
	;; [unrolled: 1-line block ×16, first 2 shown]
	s_waitcnt lgkmcnt(0)
	v_add_f64 v[86:87], v[2:3], v[188:189]
	v_add_f64 v[88:89], v[0:1], v[186:187]
	;; [unrolled: 1-line block ×16, first 2 shown]
	ds_load_b128 v[158:161], v20 offset:14336
	ds_load_b128 v[186:189], v20 offset:15360
	scratch_load_b64 v[66:67], off, off offset:72 ; 8-byte Folded Reload
	v_cvt_f32_f64_e32 v6, v[4:5]
	v_cvt_f32_f64_e32 v4, v[12:13]
	;; [unrolled: 1-line block ×3, first 2 shown]
	s_waitcnt lgkmcnt(1)
	v_add_f64 v[20:21], v[2:3], v[160:161]
	v_add_f64 v[104:105], v[0:1], v[158:159]
	;; [unrolled: 1-line block ×11, first 2 shown]
	s_waitcnt lgkmcnt(0)
	v_add_f64 v[2:3], v[2:3], v[188:189]
	v_add_f64 v[0:1], v[0:1], v[186:187]
	;; [unrolled: 1-line block ×20, first 2 shown]
	v_min3_f32 v45, v6, v4, v45
	v_cvt_f32_f64_e32 v4, v[10:11]
	v_add_f64 v[182:183], v[182:183], v[186:187]
	scratch_load_b32 v6, off, off offset:4  ; 4-byte Folded Reload
	v_cvt_f32_f64_e32 v0, v[0:1]
	v_cvt_f32_f64_e32 v1, v[2:3]
	scratch_load_b32 v2, off, off           ; 4-byte Folded Reload
	v_min3_f32 v193, v4, v5, v193
	v_cvt_f32_f64_e32 v4, v[14:15]
	v_cvt_f32_f64_e32 v5, v[26:27]
	v_min3_f32 v130, v0, v1, v130
	v_cvt_f32_f64_e32 v0, v[154:155]
	v_cvt_f32_f64_e32 v1, v[156:157]
	s_delay_alu instid0(VALU_DEP_4) | instskip(SKIP_2) | instid1(VALU_DEP_4)
	v_min3_f32 v115, v4, v5, v115
	v_cvt_f32_f64_e32 v4, v[138:139]
	v_cvt_f32_f64_e32 v5, v[78:79]
	v_min3_f32 v137, v0, v1, v137
	v_cvt_f32_f64_e32 v0, v[162:163]
	v_cvt_f32_f64_e32 v1, v[164:165]
	s_delay_alu instid0(VALU_DEP_4) | instskip(SKIP_2) | instid1(VALU_DEP_1)
	v_min3_f32 v119, v4, v5, v119
	v_cvt_f32_f64_e32 v4, v[80:81]
	v_cvt_f32_f64_e32 v5, v[82:83]
	v_min3_f32 v117, v4, v5, v117
	v_cvt_f32_f64_e32 v4, v[84:85]
	v_cvt_f32_f64_e32 v5, v[135:136]
	s_delay_alu instid0(VALU_DEP_1) | instskip(SKIP_2) | instid1(VALU_DEP_1)
	v_min3_f32 v35, v4, v5, v35
	v_cvt_f32_f64_e32 v4, v[88:89]
	v_cvt_f32_f64_e32 v5, v[86:87]
	v_min3_f32 v118, v4, v5, v118
	v_cvt_f32_f64_e32 v4, v[92:93]
	v_cvt_f32_f64_e32 v5, v[90:91]
	s_waitcnt vmcnt(2)
	v_cvt_f32_f64_e32 v29, v[66:67]
	scratch_load_b64 v[66:67], off, off offset:16 ; 8-byte Folded Reload
	v_min3_f32 v38, v4, v5, v38
	v_cvt_f32_f64_e32 v4, v[94:95]
	v_cvt_f32_f64_e32 v5, v[24:25]
	s_delay_alu instid0(VALU_DEP_1)
	v_min3_f32 v116, v4, v5, v116
	v_cvt_f32_f64_e32 v4, v[96:97]
	v_cvt_f32_f64_e32 v5, v[22:23]
	s_waitcnt vmcnt(1)
	v_min3_f32 v2, v0, v1, v2
	v_cvt_f32_f64_e32 v0, v[166:167]
	v_cvt_f32_f64_e32 v1, v[168:169]
	scratch_store_b32 off, v2, off          ; 4-byte Folded Spill
	v_min3_f32 v55, v4, v5, v55
	v_cvt_f32_f64_e32 v4, v[58:59]
	v_cvt_f32_f64_e32 v5, v[56:57]
	v_min3_f32 v128, v0, v1, v128
	v_cvt_f32_f64_e32 v0, v[170:171]
	v_cvt_f32_f64_e32 v1, v[172:173]
	s_delay_alu instid0(VALU_DEP_4) | instskip(SKIP_2) | instid1(VALU_DEP_4)
	v_min3_f32 v114, v4, v5, v114
	v_cvt_f32_f64_e32 v4, v[62:63]
	v_cvt_f32_f64_e32 v5, v[60:61]
	v_min3_f32 v126, v0, v1, v126
	v_cvt_f32_f64_e32 v0, v[174:175]
	v_cvt_f32_f64_e32 v1, v[176:177]
	s_delay_alu instid0(VALU_DEP_4) | instskip(SKIP_2) | instid1(VALU_DEP_4)
	v_min3_f32 v192, v4, v5, v192
	v_cvt_f32_f64_e32 v4, v[100:101]
	v_cvt_f32_f64_e32 v5, v[98:99]
	v_min3_f32 v124, v0, v1, v124
	v_cvt_f32_f64_e32 v0, v[178:179]
	v_cvt_f32_f64_e32 v1, v[180:181]
	s_delay_alu instid0(VALU_DEP_1) | instskip(SKIP_2) | instid1(VALU_DEP_1)
	v_min3_f32 v122, v0, v1, v122
	v_cvt_f32_f64_e32 v0, v[182:183]
	v_cvt_f32_f64_e32 v1, v[184:185]
	v_min3_f32 v120, v0, v1, v120
	s_waitcnt vmcnt(0)
	v_cvt_f32_f64_e32 v66, v[66:67]
	s_delay_alu instid0(VALU_DEP_1)
	v_min3_f32 v142, v29, v66, v142
	scratch_load_b64 v[66:67], off, off offset:104 ; 8-byte Folded Reload
	s_waitcnt vmcnt(0)
	v_cvt_f32_f64_e32 v29, v[66:67]
	scratch_load_b64 v[66:67], off, off offset:48 ; 8-byte Folded Reload
	s_waitcnt vmcnt(0)
	v_cvt_f32_f64_e32 v66, v[66:67]
	s_delay_alu instid0(VALU_DEP_1)
	v_min3_f32 v141, v29, v66, v141
	scratch_load_b64 v[66:67], off, off offset:80 ; 8-byte Folded Reload
	s_waitcnt vmcnt(0)
	v_cvt_f32_f64_e32 v29, v[66:67]
	scratch_load_b64 v[66:67], off, off offset:24 ; 8-byte Folded Reload
	;; [unrolled: 8-line block ×7, first 2 shown]
	s_waitcnt vmcnt(0)
	v_cvt_f32_f64_e32 v66, v[66:67]
	s_delay_alu instid0(VALU_DEP_1) | instskip(SKIP_4) | instid1(VALU_DEP_2)
	v_min3_f32 v123, v29, v66, v123
	scratch_load_b64 v[66:67], off, off offset:144 ; 8-byte Folded Reload
	v_cvt_f32_f64_e32 v29, v[52:53]
	v_mov_b32_e32 v53, v237
	v_mov_b32_e32 v237, v42
	v_min3_f32 v53, v4, v5, v53
	v_cvt_f32_f64_e32 v4, v[102:103]
	v_cvt_f32_f64_e32 v5, v[76:77]
	s_delay_alu instid0(VALU_DEP_1) | instskip(SKIP_2) | instid1(VALU_DEP_1)
	v_min3_f32 v237, v4, v5, v237
	v_cvt_f32_f64_e32 v4, v[104:105]
	v_cvt_f32_f64_e32 v5, v[20:21]
	v_min3_f32 v34, v4, v5, v34
	v_cvt_f32_f64_e32 v4, v[108:109]
	scratch_load_b32 v109, off, off offset:320 ; 4-byte Folded Reload
	v_cvt_f32_f64_e32 v5, v[106:107]
	s_delay_alu instid0(VALU_DEP_1) | instskip(SKIP_2) | instid1(VALU_DEP_1)
	v_min3_f32 v219, v4, v5, v219
	v_cvt_f32_f64_e32 v4, v[7:8]
	v_cvt_f32_f64_e32 v5, v[110:111]
	v_min3_f32 v218, v4, v5, v218
	v_cvt_f32_f64_e32 v4, v[112:113]
	v_cvt_f32_f64_e32 v5, v[214:215]
	s_delay_alu instid0(VALU_DEP_1) | instskip(SKIP_2) | instid1(VALU_DEP_1)
	v_min3_f32 v200, v4, v5, v200
	v_cvt_f32_f64_e32 v4, v[220:221]
	v_cvt_f32_f64_e32 v5, v[210:211]
	v_min3_f32 v6, v4, v5, v6
	v_cvt_f32_f64_e32 v4, v[216:217]
	scratch_load_b32 v216, off, off offset:8 ; 4-byte Folded Reload
	v_cvt_f32_f64_e32 v5, v[206:207]
	scratch_store_b32 off, v6, off offset:4 ; 4-byte Folded Spill
	v_min3_f32 v133, v4, v5, v133
	v_cvt_f32_f64_e32 v4, v[212:213]
	v_cvt_f32_f64_e32 v5, v[202:203]
	s_waitcnt vmcnt(2)
	v_cvt_f32_f64_e32 v52, v[66:67]
	scratch_load_b64 v[66:67], off, off offset:160 ; 8-byte Folded Reload
	v_min3_f32 v132, v4, v5, v132
	v_cvt_f32_f64_e32 v4, v[158:159]
	v_cvt_f32_f64_e32 v5, v[160:161]
	v_min3_f32 v127, v29, v52, v127
	s_delay_alu instid0(VALU_DEP_2)
	v_min3_f32 v131, v4, v5, v131
	s_waitcnt vmcnt(0)
	v_cvt_f32_f64_e32 v29, v[66:67]
	scratch_load_b64 v[66:67], off, off offset:152 ; 8-byte Folded Reload
	s_waitcnt vmcnt(0)
	v_cvt_f32_f64_e32 v50, v[66:67]
	scratch_load_b64 v[66:67], off, off offset:176 ; 8-byte Folded Reload
	v_min3_f32 v28, v29, v50, v28
	scratch_load_b64 v[49:50], off, off offset:192 ; 8-byte Folded Reload
	s_waitcnt vmcnt(1)
	v_cvt_f32_f64_e32 v29, v[66:67]
	scratch_load_b64 v[66:67], off, off offset:168 ; 8-byte Folded Reload
	s_waitcnt vmcnt(0)
	v_cvt_f32_f64_e32 v46, v[66:67]
	s_delay_alu instid0(VALU_DEP_1)
	v_min3_f32 v125, v29, v46, v125
	v_cvt_f32_f64_e32 v29, v[49:50]
	scratch_load_b64 v[49:50], off, off offset:184 ; 8-byte Folded Reload
	s_waitcnt vmcnt(0)
	v_cvt_f32_f64_e32 v44, v[49:50]
	scratch_load_b64 v[49:50], off, off offset:208 ; 8-byte Folded Reload
	v_min3_f32 v39, v29, v44, v39
	s_waitcnt vmcnt(0)
	v_cvt_f32_f64_e32 v29, v[49:50]
	scratch_load_b64 v[49:50], off, off offset:200 ; 8-byte Folded Reload
	s_waitcnt vmcnt(0)
	v_cvt_f32_f64_e32 v44, v[49:50]
	scratch_load_b64 v[49:50], off, off offset:224 ; 8-byte Folded Reload
	v_min3_f32 v37, v29, v44, v37
	s_waitcnt vmcnt(0)
	;; [unrolled: 7-line block ×3, first 2 shown]
	v_cvt_f32_f64_e32 v29, v[49:50]
	scratch_load_b64 v[49:50], off, off offset:232 ; 8-byte Folded Reload
	s_waitcnt vmcnt(0)
	v_cvt_f32_f64_e32 v42, v[49:50]
	s_delay_alu instid0(VALU_DEP_1) | instskip(SKIP_3) | instid1(VALU_DEP_2)
	v_min3_f32 v41, v29, v42, v41
	v_cvt_f32_f64_e32 v29, v[18:19]
	v_cvt_f32_f64_e32 v42, v[195:196]
	;; [unrolled: 1-line block ×3, first 2 shown]
	v_min3_f32 v40, v29, v42, v40
	v_cvt_f32_f64_e32 v29, v[30:31]
	v_cvt_f32_f64_e32 v42, v[32:33]
	s_delay_alu instid0(VALU_DEP_1) | instskip(SKIP_1) | instid1(VALU_DEP_1)
	v_min3_f32 v65, v29, v42, v65
	v_cvt_f32_f64_e32 v29, v[190:191]
	v_min3_f32 v64, v29, v18, v64
	scratch_load_b64 v[29:30], off, off offset:296 ; 8-byte Folded Reload
	v_cvt_f32_f64_e32 v18, v[208:209]
	s_waitcnt vmcnt(0)
	v_cvt_f32_f64_e32 v19, v[29:30]
	scratch_load_b64 v[29:30], off, off offset:280 ; 8-byte Folded Reload
	v_min3_f32 v199, v18, v19, v199
	scratch_load_b64 v[18:19], off, off offset:312 ; 8-byte Folded Reload
	s_waitcnt vmcnt(0)
	v_cvt_f32_f64_e32 v18, v[18:19]
	v_cvt_f32_f64_e32 v19, v[29:30]
	scratch_load_b64 v[29:30], off, off offset:264 ; 8-byte Folded Reload
	v_min3_f32 v198, v18, v19, v198
	scratch_load_b64 v[18:19], off, off offset:304 ; 8-byte Folded Reload
	s_waitcnt vmcnt(0)
	v_cvt_f32_f64_e32 v18, v[18:19]
	;; [unrolled: 6-line block ×4, first 2 shown]
	v_cvt_f32_f64_e32 v19, v[29:30]
	s_delay_alu instid0(VALU_DEP_1) | instskip(SKIP_2) | instid1(VALU_DEP_1)
	v_min3_f32 v204, v18, v19, v204
	v_cvt_f32_f64_e32 v18, v[224:225]
	v_cvt_f32_f64_e32 v19, v[222:223]
	v_min3_f32 v54, v18, v19, v54
	v_cvt_f32_f64_e32 v18, v[228:229]
	v_cvt_f32_f64_e32 v19, v[226:227]
	s_delay_alu instid0(VALU_DEP_1) | instskip(SKIP_2) | instid1(VALU_DEP_1)
	v_min3_f32 v74, v18, v19, v74
	v_cvt_f32_f64_e32 v18, v[232:233]
	v_cvt_f32_f64_e32 v19, v[230:231]
	v_min3_f32 v75, v18, v19, v75
	v_cvt_f32_f64_e32 v18, v[146:147]
	;; [unrolled: 7-line block ×5, first 2 shown]
	v_cvt_f32_f64_e32 v19, v[150:151]
	s_delay_alu instid0(VALU_DEP_1)
	v_min3_f32 v51, v18, v19, v51
	s_cbranch_vccz .LBB127_43
; %bb.44:                               ;   in Loop: Header=BB127_32 Depth=1
	s_clause 0x2
	scratch_load_b64 v[2:3], off, off offset:324
	scratch_load_b32 v1, off, off offset:392
	scratch_load_b64 v[4:5], off, off offset:340
	v_mov_b32_e32 v77, v204
	v_dual_mov_b32 v79, v74 :: v_dual_mov_b32 v70, v68
	v_mov_b32_e32 v68, v51
	v_mov_b32_e32 v42, v119
	v_mov_b32_e32 v58, v117
	s_waitcnt vmcnt(2)
	v_or_b32_e32 v0, 4, v2
	s_waitcnt vmcnt(0)
	ds_store_b64 v1, v[4:5]
	s_clause 0x2
	scratch_load_b32 v1, off, off offset:388
	scratch_load_b64 v[4:5], off, off offset:348
	scratch_load_b64 v[6:7], off, off offset:356
	v_cmp_gt_i32_e32 vcc_lo, s18, v0
	s_and_b32 s29, vcc_lo, s26
	s_waitcnt vmcnt(0)
	ds_store_2addr_stride64_b64 v1, v[4:5], v[6:7] offset1:4
	s_clause 0x1
	scratch_load_b64 v[4:5], off, off offset:364
	scratch_load_b64 v[6:7], off, off offset:372
	s_waitcnt vmcnt(0)
	ds_store_2addr_stride64_b64 v1, v[4:5], v[6:7] offset0:8 offset1:12
	v_dual_mov_b32 v6, s8 :: v_dual_mov_b32 v7, s9
	s_waitcnt lgkmcnt(0)
	s_waitcnt_vscnt null, 0x0
	s_barrier
	buffer_gl0_inv
	s_and_saveexec_b32 s6, s29
	s_cbranch_execz .LBB127_46
; %bb.45:                               ;   in Loop: Header=BB127_32 Depth=1
	v_lshlrev_b64 v[0:1], 3, v[2:3]
	scratch_load_b32 v2, off, off offset:412 ; 4-byte Folded Reload
	s_waitcnt vmcnt(0)
	v_add_co_u32 v0, vcc_lo, v2, v0
	scratch_load_b32 v2, off, off offset:416 ; 4-byte Folded Reload
	s_waitcnt vmcnt(0)
	v_add_co_ci_u32_e32 v1, vcc_lo, v2, v1, vcc_lo
	flat_load_b64 v[6:7], v[0:1]
.LBB127_46:                             ;   in Loop: Header=BB127_32 Depth=1
	s_or_b32 exec_lo, exec_lo, s6
	v_add3_u32 v4, v9, s7, 4
	v_dual_mov_b32 v8, s8 :: v_dual_mov_b32 v9, s9
	s_delay_alu instid0(VALU_DEP_2) | instskip(SKIP_1) | instid1(VALU_DEP_2)
	v_mad_u64_u32 v[0:1], null, v4, s27, 0
	v_cmp_le_i32_e32 vcc_lo, s18, v4
	v_mad_u64_u32 v[2:3], null, v4, s28, v[1:2]
	s_delay_alu instid0(VALU_DEP_1) | instskip(NEXT) | instid1(VALU_DEP_1)
	v_mov_b32_e32 v1, v2
	v_lshlrev_b64 v[0:1], 3, v[0:1]
	s_delay_alu instid0(VALU_DEP_1) | instskip(NEXT) | instid1(VALU_DEP_1)
	v_add_co_u32 v0, s6, s22, v0
	v_add_co_ci_u32_e64 v1, s6, s23, v1, s6
	s_or_b32 s6, s2, vcc_lo
	s_delay_alu instid0(SALU_CYCLE_1)
	s_xor_b32 s6, s6, -1
	s_mov_b32 s29, exec_lo
	scratch_load_b64 v[4:5], off, off offset:332 ; 8-byte Folded Reload
	v_mov_b32_e32 v78, v54
	v_dual_mov_b32 v76, v43 :: v_dual_mov_b32 v61, v198
	s_and_b32 s6, s29, s6
	s_delay_alu instid0(SALU_CYCLE_1)
	s_mov_b32 exec_lo, s6
	s_cbranch_execz .LBB127_48
; %bb.47:                               ;   in Loop: Header=BB127_32 Depth=1
	s_waitcnt vmcnt(0)
	v_add_co_u32 v2, s6, v0, v4
	s_delay_alu instid0(VALU_DEP_1)
	v_add_co_ci_u32_e64 v3, s6, v1, v5, s6
	flat_load_b64 v[8:9], v[2:3]
.LBB127_48:                             ;   in Loop: Header=BB127_32 Depth=1
	s_or_b32 exec_lo, exec_lo, s29
	v_dual_mov_b32 v11, s9 :: v_dual_mov_b32 v10, s8
	s_or_b32 s6, s3, vcc_lo
	s_delay_alu instid0(SALU_CYCLE_1) | instskip(NEXT) | instid1(SALU_CYCLE_1)
	s_xor_b32 s6, s6, -1
	s_and_saveexec_b32 s29, s6
	s_cbranch_execz .LBB127_50
; %bb.49:                               ;   in Loop: Header=BB127_32 Depth=1
	s_waitcnt vmcnt(0)
	v_add_co_u32 v2, s6, v0, v4
	s_delay_alu instid0(VALU_DEP_1)
	v_add_co_ci_u32_e64 v3, s6, v1, v5, s6
	flat_load_b64 v[10:11], v[2:3] offset:512
.LBB127_50:                             ;   in Loop: Header=BB127_32 Depth=1
	s_or_b32 exec_lo, exec_lo, s29
	v_dual_mov_b32 v2, s8 :: v_dual_mov_b32 v3, s9
	s_or_b32 s6, s4, vcc_lo
	s_waitcnt vmcnt(0) lgkmcnt(0)
	s_clause 0x1
	scratch_store_b64 off, v[8:9], off offset:304
	scratch_store_b64 off, v[6:7], off offset:296
	s_xor_b32 s6, s6, -1
	s_delay_alu instid0(SALU_CYCLE_1)
	s_and_saveexec_b32 s29, s6
	s_cbranch_execz .LBB127_52
; %bb.51:                               ;   in Loop: Header=BB127_32 Depth=1
	v_add_co_u32 v2, s6, v0, v4
	s_delay_alu instid0(VALU_DEP_1)
	v_add_co_ci_u32_e64 v3, s6, v1, v5, s6
	flat_load_b64 v[2:3], v[2:3] offset:1024
.LBB127_52:                             ;   in Loop: Header=BB127_32 Depth=1
	s_or_b32 exec_lo, exec_lo, s29
	v_mov_b32_e32 v6, s8
	v_dual_mov_b32 v108, v39 :: v_dual_mov_b32 v7, s9
	v_dual_mov_b32 v74, v194 :: v_dual_mov_b32 v119, v35
	v_mov_b32_e32 v72, v205
	v_dual_mov_b32 v52, v237 :: v_dual_mov_b32 v237, v219
	s_or_b32 s6, s5, vcc_lo
	scratch_store_b64 off, v[10:11], off offset:312 ; 8-byte Folded Spill
	s_xor_b32 s29, s6, -1
	s_delay_alu instid0(SALU_CYCLE_1)
	s_and_saveexec_b32 s6, s29
	s_cbranch_execz .LBB127_54
; %bb.53:                               ;   in Loop: Header=BB127_32 Depth=1
	v_add_co_u32 v0, vcc_lo, v0, v4
	v_add_co_ci_u32_e32 v1, vcc_lo, v1, v5, vcc_lo
	flat_load_b64 v[6:7], v[0:1] offset:1536
.LBB127_54:                             ;   in Loop: Header=BB127_32 Depth=1
	s_or_b32 exec_lo, exec_lo, s6
	v_dual_mov_b32 v62, v218 :: v_dual_mov_b32 v57, v119
	v_dual_mov_b32 v63, v34 :: v_dual_mov_b32 v50, v116
	;; [unrolled: 1-line block ×4, first 2 shown]
	v_mov_b32_e32 v56, v118
	v_dual_mov_b32 v60, v201 :: v_dual_mov_b32 v201, v199
	v_dual_mov_b32 v106, v64 :: v_dual_mov_b32 v107, v65
	;; [unrolled: 1-line block ×3, first 2 shown]
	v_mov_b32_e32 v98, v36
	s_mov_b32 s29, 0
	s_mov_b32 s6, -1
	s_waitcnt vmcnt(0) lgkmcnt(0)
	s_clause 0x1
	scratch_store_b64 off, v[6:7], off offset:348
	scratch_store_b64 off, v[2:3], off offset:340
.LBB127_55:                             ;   Parent Loop BB127_32 Depth=1
                                        ; =>  This Inner Loop Header: Depth=2
	s_lshl_b32 s29, s29, 3
	v_dual_mov_b32 v10, v192 :: v_dual_mov_b32 v99, v37
	s_waitcnt vmcnt(0)
	v_lshl_add_u32 v26, v216, 5, s29
	v_lshl_add_u32 v4, v109, 5, s29
	s_mov_b32 s29, 2
	s_and_not1_b32 vcc_lo, exec_lo, s6
	ds_load_b128 v[46:49], v26
	ds_load_b128 v[0:3], v4 offset:16384
	ds_load_b128 v[154:157], v4 offset:16640
	;; [unrolled: 1-line block ×3, first 2 shown]
	s_mov_b32 s6, 0
	s_waitcnt lgkmcnt(2)
	v_add_f64 v[18:19], v[0:1], v[46:47]
	s_waitcnt lgkmcnt(1)
	v_add_f64 v[5:6], v[156:157], v[48:49]
	v_add_f64 v[20:21], v[2:3], v[48:49]
	s_delay_alu instid0(VALU_DEP_3)
	v_cvt_f32_f64_e32 v37, v[18:19]
	scratch_store_b64 off, v[5:6], off offset:16 ; 8-byte Folded Spill
	v_add_f64 v[5:6], v[154:155], v[46:47]
	v_cvt_f32_f64_e32 v20, v[20:21]
	scratch_store_b64 off, v[5:6], off offset:72 ; 8-byte Folded Spill
	ds_load_b128 v[162:165], v4 offset:16896
	ds_load_b128 v[166:169], v4 offset:17152
	v_min3_f32 v143, v37, v20, v143
	v_mov_b32_e32 v37, v99
	s_waitcnt lgkmcnt(1)
	v_add_f64 v[5:6], v[164:165], v[48:49]
	scratch_store_b64 off, v[5:6], off offset:48 ; 8-byte Folded Spill
	v_add_f64 v[5:6], v[162:163], v[46:47]
	scratch_store_b64 off, v[5:6], off offset:104 ; 8-byte Folded Spill
	s_waitcnt lgkmcnt(0)
	v_add_f64 v[5:6], v[168:169], v[48:49]
	scratch_store_b64 off, v[5:6], off offset:24 ; 8-byte Folded Spill
	v_add_f64 v[5:6], v[166:167], v[46:47]
	scratch_store_b64 off, v[5:6], off offset:80 ; 8-byte Folded Spill
	ds_load_b128 v[170:173], v4 offset:17408
	ds_load_b128 v[174:177], v4 offset:17664
	s_waitcnt lgkmcnt(1)
	v_add_f64 v[5:6], v[172:173], v[48:49]
	scratch_store_b64 off, v[5:6], off offset:56 ; 8-byte Folded Spill
	v_add_f64 v[5:6], v[170:171], v[46:47]
	scratch_store_b64 off, v[5:6], off offset:112 ; 8-byte Folded Spill
	s_waitcnt lgkmcnt(0)
	v_add_f64 v[5:6], v[176:177], v[48:49]
	scratch_store_b64 off, v[5:6], off offset:32 ; 8-byte Folded Spill
	v_add_f64 v[5:6], v[174:175], v[46:47]
	scratch_store_b64 off, v[5:6], off offset:88 ; 8-byte Folded Spill
	ds_load_b128 v[178:181], v4 offset:17920
	ds_load_b128 v[182:185], v4 offset:18176
	s_waitcnt lgkmcnt(1)
	v_add_f64 v[4:5], v[180:181], v[48:49]
	scratch_store_b64 off, v[4:5], off offset:64 ; 8-byte Folded Spill
	v_add_f64 v[4:5], v[178:179], v[46:47]
	scratch_store_b64 off, v[4:5], off offset:120 ; 8-byte Folded Spill
	s_waitcnt lgkmcnt(0)
	v_add_f64 v[4:5], v[184:185], v[48:49]
	scratch_store_b64 off, v[4:5], off offset:40 ; 8-byte Folded Spill
	v_add_f64 v[4:5], v[182:183], v[46:47]
	scratch_store_b64 off, v[4:5], off offset:96 ; 8-byte Folded Spill
	;; [unrolled: 2-line block ×18, first 2 shown]
	ds_load_b128 v[158:161], v26 offset:2048
	ds_load_b128 v[186:189], v26 offset:3072
	s_waitcnt lgkmcnt(1)
	v_add_f64 v[4:5], v[172:173], v[160:161]
	v_add_f64 v[48:49], v[2:3], v[160:161]
	;; [unrolled: 1-line block ×12, first 2 shown]
	s_waitcnt lgkmcnt(0)
	v_add_f64 v[110:111], v[2:3], v[188:189]
	v_add_f64 v[112:113], v[0:1], v[186:187]
	;; [unrolled: 1-line block ×16, first 2 shown]
	scratch_store_b64 off, v[4:5], off offset:288 ; 8-byte Folded Spill
	v_add_f64 v[4:5], v[176:177], v[160:161]
	scratch_store_b64 off, v[4:5], off offset:272 ; 8-byte Folded Spill
	v_add_f64 v[4:5], v[180:181], v[160:161]
	;; [unrolled: 2-line block ×4, first 2 shown]
	scratch_store_b64 off, v[4:5], off offset:280 ; 8-byte Folded Spill
	ds_load_b128 v[158:161], v26 offset:4096
	ds_load_b128 v[186:189], v26 offset:5120
	s_waitcnt lgkmcnt(1)
	v_add_f64 v[208:209], v[2:3], v[160:161]
	v_add_f64 v[210:211], v[0:1], v[158:159]
	;; [unrolled: 1-line block ×16, first 2 shown]
	s_waitcnt lgkmcnt(0)
	v_add_f64 v[240:241], v[2:3], v[188:189]
	v_add_f64 v[242:243], v[0:1], v[186:187]
	;; [unrolled: 1-line block ×16, first 2 shown]
	ds_load_b128 v[158:161], v26 offset:6144
	ds_load_b128 v[186:189], v26 offset:7168
	scratch_load_b64 v[18:19], off, off offset:72 ; 8-byte Folded Reload
	s_waitcnt lgkmcnt(1)
	v_add_f64 v[114:115], v[2:3], v[160:161]
	v_add_f64 v[116:117], v[0:1], v[158:159]
	s_waitcnt lgkmcnt(0)
	v_add_f64 v[2:3], v[2:3], v[188:189]
	v_add_f64 v[0:1], v[0:1], v[186:187]
	;; [unrolled: 1-line block ×14, first 2 shown]
	v_cvt_f32_f64_e32 v4, v[4:5]
	v_cvt_f32_f64_e32 v5, v[16:17]
	v_add_f64 v[204:205], v[172:173], v[160:161]
	v_add_f64 v[64:65], v[170:171], v[158:159]
	;; [unrolled: 1-line block ×16, first 2 shown]
	v_cvt_f32_f64_e32 v0, v[0:1]
	v_cvt_f32_f64_e32 v1, v[2:3]
	scratch_load_b32 v2, off, off           ; 4-byte Folded Reload
	v_min3_f32 v53, v4, v5, v53
	v_cvt_f32_f64_e32 v4, v[198:199]
	v_cvt_f32_f64_e32 v5, v[11:12]
	v_min3_f32 v130, v0, v1, v130
	v_cvt_f32_f64_e32 v0, v[154:155]
	v_cvt_f32_f64_e32 v1, v[156:157]
	s_delay_alu instid0(VALU_DEP_4) | instskip(SKIP_2) | instid1(VALU_DEP_4)
	v_min3_f32 v52, v4, v5, v52
	v_cvt_f32_f64_e32 v4, v[116:117]
	v_cvt_f32_f64_e32 v5, v[114:115]
	v_min3_f32 v137, v0, v1, v137
	v_cvt_f32_f64_e32 v0, v[162:163]
	v_cvt_f32_f64_e32 v1, v[164:165]
	s_delay_alu instid0(VALU_DEP_4) | instskip(SKIP_2) | instid1(VALU_DEP_1)
	v_min3_f32 v63, v4, v5, v63
	v_cvt_f32_f64_e32 v4, v[194:195]
	v_cvt_f32_f64_e32 v5, v[190:191]
	v_min3_f32 v237, v4, v5, v237
	v_cvt_f32_f64_e32 v4, v[196:197]
	v_cvt_f32_f64_e32 v5, v[118:119]
	s_delay_alu instid0(VALU_DEP_1) | instskip(SKIP_2) | instid1(VALU_DEP_1)
	v_min3_f32 v62, v4, v5, v62
	v_cvt_f32_f64_e32 v4, v[26:27]
	v_cvt_f32_f64_e32 v5, v[82:83]
	v_min3_f32 v200, v4, v5, v200
	v_cvt_f32_f64_e32 v4, v[64:65]
	v_cvt_f32_f64_e32 v5, v[204:205]
	s_waitcnt vmcnt(1)
	v_cvt_f32_f64_e32 v20, v[18:19]
	scratch_load_b64 v[18:19], off, off offset:16 ; 8-byte Folded Reload
	s_waitcnt vmcnt(1)
	v_min3_f32 v2, v0, v1, v2
	v_cvt_f32_f64_e32 v0, v[166:167]
	v_cvt_f32_f64_e32 v1, v[168:169]
	scratch_store_b32 off, v2, off          ; 4-byte Folded Spill
	v_min3_f32 v128, v0, v1, v128
	v_cvt_f32_f64_e32 v0, v[170:171]
	v_cvt_f32_f64_e32 v1, v[172:173]
	s_delay_alu instid0(VALU_DEP_1) | instskip(SKIP_2) | instid1(VALU_DEP_1)
	v_min3_f32 v126, v0, v1, v126
	v_cvt_f32_f64_e32 v0, v[174:175]
	v_cvt_f32_f64_e32 v1, v[176:177]
	v_min3_f32 v124, v0, v1, v124
	v_cvt_f32_f64_e32 v0, v[178:179]
	v_cvt_f32_f64_e32 v1, v[180:181]
	s_delay_alu instid0(VALU_DEP_1) | instskip(SKIP_2) | instid1(VALU_DEP_1)
	v_min3_f32 v122, v0, v1, v122
	v_cvt_f32_f64_e32 v0, v[182:183]
	v_cvt_f32_f64_e32 v1, v[184:185]
	v_min3_f32 v120, v0, v1, v120
	s_waitcnt vmcnt(0)
	v_cvt_f32_f64_e32 v21, v[18:19]
	scratch_load_b64 v[18:19], off, off offset:104 ; 8-byte Folded Reload
	v_min3_f32 v142, v20, v21, v142
	s_waitcnt vmcnt(0)
	v_cvt_f32_f64_e32 v20, v[18:19]
	scratch_load_b64 v[18:19], off, off offset:48 ; 8-byte Folded Reload
	s_waitcnt vmcnt(0)
	v_cvt_f32_f64_e32 v21, v[18:19]
	scratch_load_b64 v[18:19], off, off offset:80 ; 8-byte Folded Reload
	v_min3_f32 v141, v20, v21, v141
	s_waitcnt vmcnt(0)
	v_cvt_f32_f64_e32 v20, v[18:19]
	scratch_load_b64 v[18:19], off, off offset:24 ; 8-byte Folded Reload
	;; [unrolled: 7-line block ×14, first 2 shown]
	s_waitcnt vmcnt(0)
	v_cvt_f32_f64_e32 v21, v[18:19]
	scratch_load_b64 v[18:19], off, off offset:288 ; 8-byte Folded Reload
	v_min3_f32 v103, v20, v21, v103
	v_cvt_f32_f64_e32 v20, v[80:81]
	v_cvt_f32_f64_e32 v21, v[48:49]
	s_delay_alu instid0(VALU_DEP_1) | instskip(SKIP_2) | instid1(VALU_DEP_1)
	v_min3_f32 v102, v20, v21, v102
	v_cvt_f32_f64_e32 v20, v[84:85]
	v_cvt_f32_f64_e32 v21, v[86:87]
	v_min3_f32 v107, v20, v21, v107
	v_cvt_f32_f64_e32 v20, v[88:89]
	v_cvt_f32_f64_e32 v21, v[90:91]
	s_delay_alu instid0(VALU_DEP_1) | instskip(SKIP_2) | instid1(VALU_DEP_1)
	v_min3_f32 v106, v20, v21, v106
	v_cvt_f32_f64_e32 v20, v[92:93]
	v_cvt_f32_f64_e32 v21, v[94:95]
	v_min3_f32 v201, v20, v21, v201
	v_cvt_f32_f64_e32 v20, v[96:97]
	s_waitcnt vmcnt(0)
	v_cvt_f32_f64_e32 v21, v[18:19]
	scratch_load_b64 v[18:19], off, off offset:272 ; 8-byte Folded Reload
	v_min3_f32 v61, v20, v21, v61
	v_cvt_f32_f64_e32 v20, v[100:101]
	s_waitcnt vmcnt(0)
	v_cvt_f32_f64_e32 v21, v[18:19]
	scratch_load_b64 v[18:19], off, off offset:264 ; 8-byte Folded Reload
	;; [unrolled: 5-line block ×3, first 2 shown]
	v_min3_f32 v76, v20, v21, v76
	s_waitcnt vmcnt(0)
	v_cvt_f32_f64_e32 v20, v[18:19]
	scratch_load_b64 v[18:19], off, off offset:256 ; 8-byte Folded Reload
	s_waitcnt vmcnt(0)
	v_cvt_f32_f64_e32 v21, v[18:19]
	v_cvt_f32_f64_e32 v18, v[31:32]
	;; [unrolled: 1-line block ×3, first 2 shown]
	s_delay_alu instid0(VALU_DEP_3) | instskip(SKIP_2) | instid1(VALU_DEP_1)
	v_min3_f32 v77, v20, v21, v77
	v_cvt_f32_f64_e32 v20, v[112:113]
	v_cvt_f32_f64_e32 v21, v[110:111]
	v_min3_f32 v78, v20, v21, v78
	v_cvt_f32_f64_e32 v20, v[144:145]
	v_cvt_f32_f64_e32 v21, v[46:47]
	s_delay_alu instid0(VALU_DEP_1) | instskip(SKIP_2) | instid1(VALU_DEP_1)
	v_min3_f32 v79, v20, v21, v79
	v_cvt_f32_f64_e32 v20, v[148:149]
	v_cvt_f32_f64_e32 v21, v[146:147]
	v_min3_f32 v75, v20, v21, v75
	v_cvt_f32_f64_e32 v20, v[152:153]
	v_cvt_f32_f64_e32 v21, v[150:151]
	s_delay_alu instid0(VALU_DEP_1)
	v_min3_f32 v74, v20, v21, v74
	v_cvt_f32_f64_e32 v20, v[192:193]
	v_mov_b32_e32 v192, v10
	v_cvt_f32_f64_e32 v21, v[40:41]
	v_cvt_f32_f64_e32 v10, v[8:9]
	;; [unrolled: 1-line block ×4, first 2 shown]
	s_delay_alu instid0(VALU_DEP_4) | instskip(SKIP_4) | instid1(VALU_DEP_3)
	v_min3_f32 v73, v20, v21, v73
	v_cvt_f32_f64_e32 v20, v[35:36]
	v_cvt_f32_f64_e32 v21, v[38:39]
	v_min3_f32 v54, v10, v8, v54
	v_cvt_f32_f64_e32 v8, v[14:15]
	v_min3_f32 v72, v20, v21, v72
	v_cvt_f32_f64_e32 v20, v[202:203]
	v_cvt_f32_f64_e32 v21, v[33:34]
	s_delay_alu instid0(VALU_DEP_4) | instskip(SKIP_3) | instid1(VALU_DEP_1)
	v_min3_f32 v192, v8, v9, v192
	scratch_load_b32 v8, off, off offset:4  ; 4-byte Folded Reload
	v_min3_f32 v71, v20, v21, v71
	v_cvt_f32_f64_e32 v20, v[206:207]
	v_min3_f32 v70, v20, v18, v70
	v_cvt_f32_f64_e32 v18, v[210:211]
	s_delay_alu instid0(VALU_DEP_1) | instskip(SKIP_2) | instid1(VALU_DEP_1)
	v_min3_f32 v69, v18, v19, v69
	v_cvt_f32_f64_e32 v18, v[214:215]
	v_cvt_f32_f64_e32 v19, v[212:213]
	v_min3_f32 v68, v18, v19, v68
	v_cvt_f32_f64_e32 v19, v[216:217]
	scratch_load_b32 v216, off, off offset:8 ; 4-byte Folded Reload
	v_cvt_f32_f64_e32 v18, v[218:219]
	s_delay_alu instid0(VALU_DEP_1) | instskip(SKIP_2) | instid1(VALU_DEP_1)
	v_min3_f32 v45, v18, v19, v45
	v_cvt_f32_f64_e32 v18, v[222:223]
	v_cvt_f32_f64_e32 v19, v[220:221]
	v_min3_f32 v44, v18, v19, v44
	v_cvt_f32_f64_e32 v18, v[226:227]
	v_cvt_f32_f64_e32 v19, v[224:225]
	s_delay_alu instid0(VALU_DEP_1) | instskip(SKIP_2) | instid1(VALU_DEP_1)
	v_min3_f32 v59, v18, v19, v59
	v_cvt_f32_f64_e32 v18, v[230:231]
	v_cvt_f32_f64_e32 v19, v[228:229]
	v_min3_f32 v42, v18, v19, v42
	v_cvt_f32_f64_e32 v18, v[234:235]
	v_cvt_f32_f64_e32 v19, v[232:233]
	s_waitcnt vmcnt(1)
	v_min3_f32 v8, v4, v5, v8
	v_cvt_f32_f64_e32 v4, v[138:139]
	v_cvt_f32_f64_e32 v5, v[66:67]
	scratch_store_b32 off, v8, off offset:4 ; 4-byte Folded Spill
	v_min3_f32 v58, v18, v19, v58
	v_cvt_f32_f64_e32 v18, v[238:239]
	v_cvt_f32_f64_e32 v19, v[29:30]
	v_min3_f32 v133, v4, v5, v133
	v_cvt_f32_f64_e32 v4, v[6:7]
	v_cvt_f32_f64_e32 v5, v[135:136]
	s_delay_alu instid0(VALU_DEP_4) | instskip(SKIP_2) | instid1(VALU_DEP_4)
	v_min3_f32 v57, v18, v19, v57
	v_cvt_f32_f64_e32 v18, v[242:243]
	v_cvt_f32_f64_e32 v19, v[240:241]
	v_min3_f32 v132, v4, v5, v132
	v_cvt_f32_f64_e32 v4, v[158:159]
	v_cvt_f32_f64_e32 v5, v[160:161]
	s_delay_alu instid0(VALU_DEP_4) | instskip(SKIP_2) | instid1(VALU_DEP_4)
	v_min3_f32 v56, v18, v19, v56
	v_cvt_f32_f64_e32 v18, v[246:247]
	v_cvt_f32_f64_e32 v19, v[244:245]
	v_min3_f32 v131, v4, v5, v131
	s_delay_alu instid0(VALU_DEP_2) | instskip(SKIP_2) | instid1(VALU_DEP_1)
	v_min3_f32 v51, v18, v19, v51
	v_cvt_f32_f64_e32 v18, v[250:251]
	v_cvt_f32_f64_e32 v19, v[248:249]
	v_min3_f32 v50, v18, v19, v50
	v_cvt_f32_f64_e32 v18, v[254:255]
	v_cvt_f32_f64_e32 v19, v[252:253]
	s_delay_alu instid0(VALU_DEP_1)
	v_min3_f32 v55, v18, v19, v55
	s_cbranch_vccz .LBB127_55
; %bb.56:                               ;   in Loop: Header=BB127_32 Depth=1
	s_clause 0x1
	scratch_load_b32 v0, off, off offset:396
	scratch_load_b64 v[1:2], off, off offset:296
	v_dual_mov_b32 v39, v108 :: v_dual_mov_b32 v64, v106
	v_dual_mov_b32 v108, v201 :: v_dual_mov_b32 v201, v60
	v_mov_b32_e32 v118, v56
	v_mov_b32_e32 v212, v51
	;; [unrolled: 1-line block ×5, first 2 shown]
	s_add_i32 s25, s25, 8
	s_add_i32 s7, s7, 8
	s_cmp_ge_i32 s25, s24
	s_waitcnt vmcnt(0)
	ds_store_b64 v0, v[1:2]
	s_clause 0x2
	scratch_load_b32 v0, off, off offset:400
	scratch_load_b64 v[1:2], off, off offset:304
	scratch_load_b64 v[3:4], off, off offset:312
	s_waitcnt vmcnt(0)
	ds_store_2addr_stride64_b64 v0, v[1:2], v[3:4] offset1:4
	s_clause 0x1
	scratch_load_b64 v[1:2], off, off offset:340
	scratch_load_b64 v[3:4], off, off offset:348
	s_waitcnt vmcnt(0)
	ds_store_2addr_stride64_b64 v0, v[1:2], v[3:4] offset0:8 offset1:12
	s_waitcnt lgkmcnt(0)
	s_waitcnt_vscnt null, 0x0
	s_barrier
	buffer_gl0_inv
	s_cbranch_scc1 .LBB127_59
; %bb.57:                               ;   in Loop: Header=BB127_32 Depth=1
	s_clause 0x1
	scratch_load_b64 v[5:6], off, off offset:332
	scratch_load_b64 v[7:8], off, off offset:324
	v_dual_mov_b32 v219, v237 :: v_dual_mov_b32 v214, v63
	v_dual_mov_b32 v237, v52 :: v_dual_mov_b32 v136, v59
	;; [unrolled: 1-line block ×3, first 2 shown]
	v_mov_b32_e32 v135, v58
	v_dual_mov_b32 v205, v72 :: v_dual_mov_b32 v194, v74
	v_dual_mov_b32 v199, v108 :: v_dual_mov_b32 v206, v102
	v_mov_b32_e32 v210, v98
	s_branch .LBB127_32
.LBB127_58:
	v_dual_mov_b32 v139, v68 :: v_dual_mov_b32 v110, v215
	s_branch .LBB127_60
.LBB127_59:
	v_dual_mov_b32 v197, v78 :: v_dual_mov_b32 v214, v63
	v_dual_mov_b32 v219, v237 :: v_dual_mov_b32 v136, v59
	;; [unrolled: 1-line block ×6, first 2 shown]
	v_mov_b32_e32 v210, v98
.LBB127_60:
	scratch_load_b32 v111, off, off offset:320 ; 4-byte Folded Reload
	v_dual_mov_b32 v104, v210 :: v_dual_mov_b32 v113, v201
	v_dual_mov_b32 v60, v206 :: v_dual_mov_b32 v109, v64
	;; [unrolled: 1-line block ×7, first 2 shown]
	v_mov_b32_e32 v61, v103
	v_dual_mov_b32 v105, v37 :: v_dual_mov_b32 v38, v39
	s_mov_b32 s3, 0
	s_mov_b32 s2, -1
.LBB127_61:                             ; =>This Inner Loop Header: Depth=1
	s_lshl_b32 s3, s3, 3
	s_delay_alu instid0(VALU_DEP_1)
	v_dual_mov_b32 v213, v38 :: v_dual_mov_b32 v62, v65
	v_lshl_add_u32 v4, v216, 5, s3
	s_waitcnt vmcnt(0)
	v_lshl_add_u32 v5, v111, 5, s3
	v_dual_mov_b32 v117, v135 :: v_dual_mov_b32 v204, v214
	ds_load_b128 v[32:35], v4 offset:8192
	ds_load_b128 v[0:3], v5 offset:18432
	ds_load_b128 v[38:41], v5 offset:18688
	ds_load_b128 v[68:71], v4 offset:9216
	s_mov_b32 s3, 2
	s_and_not1_b32 vcc_lo, exec_lo, s2
	s_mov_b32 s2, 0
	s_waitcnt lgkmcnt(1)
	v_add_f64 v[6:7], v[40:41], v[34:35]
	v_add_f64 v[64:65], v[2:3], v[34:35]
	;; [unrolled: 1-line block ×3, first 2 shown]
	scratch_store_b64 off, v[6:7], off offset:16 ; 8-byte Folded Spill
	v_add_f64 v[6:7], v[38:39], v[32:33]
	v_cvt_f32_f64_e32 v29, v[29:30]
	v_cvt_f32_f64_e32 v64, v[64:65]
	scratch_store_b64 off, v[6:7], off offset:72 ; 8-byte Folded Spill
	ds_load_b128 v[72:75], v5 offset:18944
	ds_load_b128 v[144:147], v5 offset:19200
	v_min3_f32 v143, v29, v64, v143
	s_waitcnt lgkmcnt(1)
	v_add_f64 v[6:7], v[74:75], v[34:35]
	scratch_store_b64 off, v[6:7], off offset:48 ; 8-byte Folded Spill
	v_add_f64 v[6:7], v[72:73], v[32:33]
	scratch_store_b64 off, v[6:7], off offset:104 ; 8-byte Folded Spill
	s_waitcnt lgkmcnt(0)
	v_add_f64 v[6:7], v[146:147], v[34:35]
	scratch_store_b64 off, v[6:7], off offset:24 ; 8-byte Folded Spill
	v_add_f64 v[6:7], v[144:145], v[32:33]
	scratch_store_b64 off, v[6:7], off offset:80 ; 8-byte Folded Spill
	ds_load_b128 v[148:151], v5 offset:19456
	ds_load_b128 v[152:155], v5 offset:19712
	s_waitcnt lgkmcnt(1)
	v_add_f64 v[6:7], v[150:151], v[34:35]
	scratch_store_b64 off, v[6:7], off offset:56 ; 8-byte Folded Spill
	v_add_f64 v[6:7], v[148:149], v[32:33]
	scratch_store_b64 off, v[6:7], off offset:112 ; 8-byte Folded Spill
	s_waitcnt lgkmcnt(0)
	v_add_f64 v[6:7], v[154:155], v[34:35]
	scratch_store_b64 off, v[6:7], off offset:32 ; 8-byte Folded Spill
	v_add_f64 v[6:7], v[152:153], v[32:33]
	scratch_store_b64 off, v[6:7], off offset:88 ; 8-byte Folded Spill
	ds_load_b128 v[156:159], v5 offset:19968
	ds_load_b128 v[160:163], v5 offset:20224
	s_waitcnt lgkmcnt(1)
	v_add_f64 v[5:6], v[158:159], v[34:35]
	scratch_store_b64 off, v[5:6], off offset:64 ; 8-byte Folded Spill
	v_add_f64 v[5:6], v[156:157], v[32:33]
	scratch_store_b64 off, v[5:6], off offset:120 ; 8-byte Folded Spill
	s_waitcnt lgkmcnt(0)
	v_add_f64 v[5:6], v[162:163], v[34:35]
	scratch_store_b64 off, v[5:6], off offset:40 ; 8-byte Folded Spill
	v_add_f64 v[5:6], v[160:161], v[32:33]
	v_dual_mov_b32 v33, v219 :: v_dual_mov_b32 v32, v237
	v_mov_b32_e32 v119, v42
	v_mov_b32_e32 v115, v136
	;; [unrolled: 1-line block ×4, first 2 shown]
	scratch_store_b64 off, v[5:6], off offset:96 ; 8-byte Folded Spill
	v_add_f64 v[5:6], v[2:3], v[70:71]
	scratch_store_b64 off, v[5:6], off offset:128 ; 8-byte Folded Spill
	v_add_f64 v[5:6], v[0:1], v[68:69]
	;; [unrolled: 2-line block ×16, first 2 shown]
	scratch_store_b64 off, v[5:6], off offset:248 ; 8-byte Folded Spill
	ds_load_b128 v[68:71], v4 offset:10240
	ds_load_b128 v[164:167], v4 offset:11264
	s_waitcnt lgkmcnt(1)
	v_add_f64 v[5:6], v[150:151], v[70:71]
	v_add_f64 v[84:85], v[2:3], v[70:71]
	;; [unrolled: 1-line block ×11, first 2 shown]
	s_waitcnt lgkmcnt(0)
	v_add_f64 v[92:93], v[2:3], v[166:167]
	v_add_f64 v[58:59], v[0:1], v[164:165]
	;; [unrolled: 1-line block ×16, first 2 shown]
	scratch_store_b64 off, v[5:6], off offset:288 ; 8-byte Folded Spill
	v_add_f64 v[5:6], v[154:155], v[70:71]
	scratch_store_b64 off, v[5:6], off offset:272 ; 8-byte Folded Spill
	v_add_f64 v[5:6], v[158:159], v[70:71]
	;; [unrolled: 2-line block ×5, first 2 shown]
	scratch_store_b64 off, v[5:6], off offset:280 ; 8-byte Folded Spill
	ds_load_b128 v[68:71], v4 offset:12288
	ds_load_b128 v[164:167], v4 offset:13312
	s_waitcnt lgkmcnt(1)
	v_add_f64 v[188:189], v[2:3], v[70:71]
	v_add_f64 v[190:191], v[0:1], v[68:69]
	;; [unrolled: 1-line block ×16, first 2 shown]
	s_waitcnt lgkmcnt(0)
	v_add_f64 v[220:221], v[2:3], v[166:167]
	v_add_f64 v[222:223], v[0:1], v[164:165]
	;; [unrolled: 1-line block ×16, first 2 shown]
	ds_load_b128 v[68:71], v4 offset:14336
	ds_load_b128 v[164:167], v4 offset:15360
	scratch_load_b64 v[29:30], off, off offset:72 ; 8-byte Folded Reload
	s_waitcnt lgkmcnt(1)
	v_add_f64 v[254:255], v[0:1], v[68:69]
	v_add_f64 v[4:5], v[38:39], v[68:69]
	;; [unrolled: 1-line block ×8, first 2 shown]
	s_waitcnt lgkmcnt(0)
	v_add_f64 v[0:1], v[0:1], v[164:165]
	v_add_f64 v[80:81], v[38:39], v[164:165]
	;; [unrolled: 1-line block ×8, first 2 shown]
	scratch_load_b64 v[164:165], off, off offset:16 ; 8-byte Folded Reload
	v_mov_b32_e32 v38, v213
	v_mov_b32_e32 v39, v237
	v_dual_mov_b32 v237, v32 :: v_dual_mov_b32 v32, v33
	v_add_f64 v[8:9], v[40:41], v[70:71]
	scratch_load_b32 v33, off, off          ; 4-byte Folded Reload
	v_add_f64 v[252:253], v[2:3], v[70:71]
	v_add_f64 v[2:3], v[2:3], v[166:167]
	;; [unrolled: 1-line block ×15, first 2 shown]
	v_cvt_f32_f64_e32 v4, v[4:5]
	v_cvt_f32_f64_e32 v0, v[0:1]
	;; [unrolled: 1-line block ×4, first 2 shown]
	s_delay_alu instid0(VALU_DEP_1) | instskip(SKIP_2) | instid1(VALU_DEP_1)
	v_min3_f32 v130, v0, v1, v130
	v_cvt_f32_f64_e32 v0, v[80:81]
	v_cvt_f32_f64_e32 v1, v[40:41]
	v_min3_f32 v137, v0, v1, v137
	v_cvt_f32_f64_e32 v0, v[72:73]
	v_cvt_f32_f64_e32 v1, v[74:75]
	s_waitcnt vmcnt(2)
	v_cvt_f32_f64_e32 v29, v[29:30]
	s_waitcnt vmcnt(1)
	v_cvt_f32_f64_e32 v64, v[164:165]
	scratch_load_b64 v[164:165], off, off offset:48 ; 8-byte Folded Reload
	v_min3_f32 v142, v29, v64, v142
	scratch_load_b64 v[29:30], off, off offset:104 ; 8-byte Folded Reload
	s_waitcnt vmcnt(1)
	v_cvt_f32_f64_e32 v64, v[164:165]
	scratch_load_b64 v[164:165], off, off offset:24 ; 8-byte Folded Reload
	s_waitcnt vmcnt(1)
	v_cvt_f32_f64_e32 v29, v[29:30]
	s_delay_alu instid0(VALU_DEP_1)
	v_min3_f32 v141, v29, v64, v141
	scratch_load_b64 v[29:30], off, off offset:80 ; 8-byte Folded Reload
	s_waitcnt vmcnt(1)
	v_cvt_f32_f64_e32 v64, v[164:165]
	scratch_load_b64 v[164:165], off, off offset:56 ; 8-byte Folded Reload
	s_waitcnt vmcnt(1)
	v_cvt_f32_f64_e32 v29, v[29:30]
	s_delay_alu instid0(VALU_DEP_1)
	;; [unrolled: 8-line block ×4, first 2 shown]
	v_min3_f32 v121, v29, v62, v121
	scratch_load_b64 v[29:30], off, off offset:120 ; 8-byte Folded Reload
	s_waitcnt vmcnt(0)
	v_cvt_f32_f64_e32 v29, v[29:30]
	v_cvt_f32_f64_e32 v30, v[164:165]
	scratch_load_b64 v[164:165], off, off offset:40 ; 8-byte Folded Reload
	v_min3_f32 v134, v29, v30, v134
	scratch_load_b64 v[29:30], off, off offset:96 ; 8-byte Folded Reload
	s_waitcnt vmcnt(0)
	v_cvt_f32_f64_e32 v29, v[29:30]
	v_cvt_f32_f64_e32 v30, v[164:165]
	scratch_load_b64 v[164:165], off, off offset:128 ; 8-byte Folded Reload
	;; [unrolled: 6-line block ×9, first 2 shown]
	v_min3_f32 v104, v29, v30, v104
	scratch_load_b64 v[29:30], off, off offset:248 ; 8-byte Folded Reload
	s_waitcnt vmcnt(0)
	v_cvt_f32_f64_e32 v29, v[29:30]
	v_cvt_f32_f64_e32 v30, v[164:165]
	s_delay_alu instid0(VALU_DEP_1) | instskip(SKIP_3) | instid1(VALU_DEP_1)
	v_min3_f32 v61, v29, v30, v61
	v_cvt_f32_f64_e32 v30, v[84:85]
	scratch_load_b64 v[84:85], off, off offset:288 ; 8-byte Folded Reload
	v_cvt_f32_f64_e32 v29, v[86:87]
	v_min3_f32 v60, v29, v30, v60
	v_cvt_f32_f64_e32 v29, v[90:91]
	v_cvt_f32_f64_e32 v30, v[88:89]
	s_delay_alu instid0(VALU_DEP_1) | instskip(SKIP_2) | instid1(VALU_DEP_1)
	v_min3_f32 v65, v29, v30, v65
	v_cvt_f32_f64_e32 v29, v[94:95]
	v_cvt_f32_f64_e32 v30, v[96:97]
	v_min3_f32 v109, v29, v30, v109
	v_cvt_f32_f64_e32 v29, v[98:99]
	v_cvt_f32_f64_e32 v30, v[100:101]
	s_delay_alu instid0(VALU_DEP_1)
	v_min3_f32 v108, v29, v30, v108
	v_cvt_f32_f64_e32 v29, v[102:103]
	s_waitcnt vmcnt(0)
	v_cvt_f32_f64_e32 v30, v[84:85]
	scratch_load_b64 v[84:85], off, off offset:272 ; 8-byte Folded Reload
	v_min3_f32 v201, v29, v30, v201
	v_cvt_f32_f64_e32 v29, v[106:107]
	s_waitcnt vmcnt(0)
	v_cvt_f32_f64_e32 v30, v[84:85]
	scratch_load_b64 v[84:85], off, off offset:264 ; 8-byte Folded Reload
	v_min3_f32 v113, v29, v30, v113
	scratch_load_b64 v[29:30], off, off offset:296 ; 8-byte Folded Reload
	s_waitcnt vmcnt(0)
	v_cvt_f32_f64_e32 v29, v[29:30]
	v_cvt_f32_f64_e32 v30, v[84:85]
	scratch_load_b64 v[84:85], off, off offset:256 ; 8-byte Folded Reload
	v_min3_f32 v112, v29, v30, v112
	scratch_load_b64 v[29:30], off, off offset:280 ; 8-byte Folded Reload
	s_waitcnt vmcnt(0)
	v_cvt_f32_f64_e32 v29, v[29:30]
	v_cvt_f32_f64_e32 v30, v[84:85]
	s_delay_alu instid0(VALU_DEP_1) | instskip(SKIP_2) | instid1(VALU_DEP_1)
	v_min3_f32 v77, v29, v30, v77
	v_cvt_f32_f64_e32 v29, v[58:59]
	v_cvt_f32_f64_e32 v30, v[92:93]
	v_min3_f32 v76, v29, v30, v76
	v_cvt_f32_f64_e32 v29, v[135:136]
	v_cvt_f32_f64_e32 v30, v[56:57]
	v_mov_b32_e32 v135, v117
	s_delay_alu instid0(VALU_DEP_2) | instskip(SKIP_2) | instid1(VALU_DEP_1)
	v_min3_f32 v79, v29, v30, v79
	v_cvt_f32_f64_e32 v29, v[48:49]
	v_cvt_f32_f64_e32 v30, v[50:51]
	v_min3_f32 v78, v29, v30, v78
	v_cvt_f32_f64_e32 v29, v[170:171]
	v_cvt_f32_f64_e32 v30, v[168:169]
	s_delay_alu instid0(VALU_DEP_1) | instskip(SKIP_2) | instid1(VALU_DEP_1)
	v_min3_f32 v31, v29, v30, v31
	v_cvt_f32_f64_e32 v29, v[174:175]
	v_cvt_f32_f64_e32 v30, v[172:173]
	v_min3_f32 v54, v29, v30, v54
	v_cvt_f32_f64_e32 v29, v[178:179]
	v_cvt_f32_f64_e32 v30, v[176:177]
	s_delay_alu instid0(VALU_DEP_1) | instskip(SKIP_2) | instid1(VALU_DEP_1)
	;; [unrolled: 7-line block ×4, first 2 shown]
	v_min3_f32 v139, v29, v30, v139
	v_cvt_f32_f64_e32 v29, v[198:199]
	v_cvt_f32_f64_e32 v30, v[196:197]
	v_min3_f32 v45, v29, v30, v45
	v_cvt_f32_f64_e32 v29, v[202:203]
	v_cvt_f32_f64_e32 v30, v[82:83]
	s_delay_alu instid0(VALU_DEP_1) | instskip(SKIP_4) | instid1(VALU_DEP_1)
	v_min3_f32 v138, v29, v30, v138
	v_cvt_f32_f64_e32 v29, v[206:207]
	v_cvt_f32_f64_e32 v30, v[42:43]
	v_mov_b32_e32 v42, v119
	v_mov_b32_e32 v136, v115
	v_min3_f32 v136, v29, v30, v136
	v_cvt_f32_f64_e32 v29, v[210:211]
	v_cvt_f32_f64_e32 v30, v[208:209]
	s_delay_alu instid0(VALU_DEP_1) | instskip(SKIP_3) | instid1(VALU_DEP_2)
	v_min3_f32 v42, v29, v30, v42
	v_cvt_f32_f64_e32 v29, v[214:215]
	v_cvt_f32_f64_e32 v30, v[46:47]
	v_mov_b32_e32 v214, v204
	v_min3_f32 v135, v29, v30, v135
	v_cvt_f32_f64_e32 v29, v[218:219]
	v_mov_b32_e32 v219, v32
	v_cvt_f32_f64_e32 v30, v[216:217]
	scratch_load_b32 v216, off, off offset:8 ; 4-byte Folded Reload
	v_mov_b32_e32 v218, v39
	v_min3_f32 v219, v4, v5, v219
	v_cvt_f32_f64_e32 v4, v[6:7]
	scratch_load_b32 v6, off, off offset:4  ; 4-byte Folded Reload
	v_cvt_f32_f64_e32 v5, v[12:13]
	v_min3_f32 v33, v0, v1, v33
	v_cvt_f32_f64_e32 v0, v[144:145]
	v_cvt_f32_f64_e32 v1, v[146:147]
	scratch_store_b32 off, v33, off         ; 4-byte Folded Spill
	v_min3_f32 v110, v29, v30, v110
	v_cvt_f32_f64_e32 v29, v[222:223]
	v_cvt_f32_f64_e32 v30, v[220:221]
	v_min3_f32 v218, v4, v5, v218
	v_cvt_f32_f64_e32 v4, v[10:11]
	v_cvt_f32_f64_e32 v5, v[16:17]
	;; [unrolled: 3-line block ×7, first 2 shown]
	s_delay_alu instid0(VALU_DEP_4) | instskip(SKIP_2) | instid1(VALU_DEP_4)
	v_min3_f32 v124, v0, v1, v124
	v_cvt_f32_f64_e32 v0, v[156:157]
	v_cvt_f32_f64_e32 v1, v[158:159]
	v_min3_f32 v116, v29, v30, v116
	v_cvt_f32_f64_e32 v29, v[234:235]
	v_cvt_f32_f64_e32 v30, v[232:233]
	s_delay_alu instid0(VALU_DEP_4) | instskip(SKIP_2) | instid1(VALU_DEP_4)
	v_min3_f32 v122, v0, v1, v122
	v_cvt_f32_f64_e32 v0, v[160:161]
	v_cvt_f32_f64_e32 v1, v[162:163]
	v_min3_f32 v55, v29, v30, v55
	v_cvt_f32_f64_e32 v29, v[238:239]
	v_cvt_f32_f64_e32 v30, v[36:37]
	s_delay_alu instid0(VALU_DEP_4) | instskip(NEXT) | instid1(VALU_DEP_2)
	v_min3_f32 v120, v0, v1, v120
	v_min3_f32 v114, v29, v30, v114
	v_cvt_f32_f64_e32 v29, v[242:243]
	v_cvt_f32_f64_e32 v30, v[240:241]
	s_delay_alu instid0(VALU_DEP_1) | instskip(SKIP_2) | instid1(VALU_DEP_1)
	v_min3_f32 v192, v29, v30, v192
	v_cvt_f32_f64_e32 v29, v[246:247]
	v_cvt_f32_f64_e32 v30, v[244:245]
	v_min3_f32 v53, v29, v30, v53
	v_cvt_f32_f64_e32 v29, v[250:251]
	v_cvt_f32_f64_e32 v30, v[248:249]
	s_waitcnt vmcnt(0)
	v_min3_f32 v6, v4, v5, v6
	v_cvt_f32_f64_e32 v4, v[18:19]
	v_cvt_f32_f64_e32 v5, v[24:25]
	scratch_store_b32 off, v6, off offset:4 ; 4-byte Folded Spill
	v_min3_f32 v237, v29, v30, v237
	v_cvt_f32_f64_e32 v29, v[254:255]
	v_cvt_f32_f64_e32 v30, v[252:253]
	v_min3_f32 v133, v4, v5, v133
	v_cvt_f32_f64_e32 v4, v[22:23]
	v_cvt_f32_f64_e32 v5, v[34:35]
	s_delay_alu instid0(VALU_DEP_4) | instskip(NEXT) | instid1(VALU_DEP_2)
	v_min3_f32 v214, v29, v30, v214
	v_min3_f32 v132, v4, v5, v132
	v_cvt_f32_f64_e32 v4, v[68:69]
	v_cvt_f32_f64_e32 v5, v[70:71]
	s_delay_alu instid0(VALU_DEP_1)
	v_min3_f32 v131, v4, v5, v131
	s_cbranch_vccz .LBB127_61
; %bb.62:
	s_clause 0x2
	s_load_b32 s18, s[0:1], 0x58
	s_load_b32 s9, s[0:1], 0x70
	s_load_b64 s[2:3], s[0:1], 0x78
	v_add_nc_u32_e32 v19, s19, v216
	v_add_nc_u32_e32 v0, s14, v111
	v_cndmask_b32_e64 v18, 0, 1, s15
	s_delay_alu instid0(VALU_DEP_3) | instskip(NEXT) | instid1(VALU_DEP_3)
	v_cmp_gt_i32_e64 s8, s17, v19
	v_cmp_gt_i32_e64 s0, s16, v0
	v_ashrrev_i32_e32 v1, 31, v0
	s_waitcnt lgkmcnt(0)
	v_mad_i64_i32 v[2:3], null, v19, s18, 0
	v_mad_i64_i32 v[4:5], null, v19, s9, 0
	s_lshl_b64 s[2:3], s[2:3], 3
	s_delay_alu instid0(SALU_CYCLE_1) | instskip(SKIP_1) | instid1(VALU_DEP_2)
	s_add_u32 s14, s20, s2
	s_addc_u32 s19, s21, s3
	v_lshlrev_b64 v[2:3], 3, v[2:3]
	s_and_b32 s2, s0, s8
	s_delay_alu instid0(VALU_DEP_2) | instskip(NEXT) | instid1(VALU_DEP_2)
	v_lshlrev_b64 v[4:5], 3, v[4:5]
	v_add_co_u32 v16, vcc_lo, s12, v2
	s_delay_alu instid0(VALU_DEP_3) | instskip(NEXT) | instid1(VALU_DEP_3)
	v_add_co_ci_u32_e32 v17, vcc_lo, s13, v3, vcc_lo
	v_add_co_u32 v22, vcc_lo, s14, v4
	s_delay_alu instid0(VALU_DEP_4)
	v_add_co_ci_u32_e32 v21, vcc_lo, s19, v5, vcc_lo
	s_and_saveexec_b32 s1, s2
	s_cbranch_execz .LBB127_67
; %bb.63:
	s_and_not1_b32 vcc_lo, exec_lo, s15
	s_cbranch_vccnz .LBB127_65
; %bb.64:
	v_lshlrev_b64 v[2:3], 3, v[0:1]
	s_delay_alu instid0(VALU_DEP_1) | instskip(NEXT) | instid1(VALU_DEP_2)
	v_add_co_u32 v2, vcc_lo, v16, v2
	v_add_co_ci_u32_e32 v3, vcc_lo, v17, v3, vcc_lo
	flat_load_b64 v[2:3], v[2:3]
	s_waitcnt vmcnt(0) lgkmcnt(0)
	v_mul_f64 v[2:3], v[2:3], s[10:11]
	s_branch .LBB127_66
.LBB127_65:
	v_mov_b32_e32 v2, 0
	v_mov_b32_e32 v3, 0
.LBB127_66:
	s_delay_alu instid0(VALU_DEP_1) | instskip(SKIP_2) | instid1(VALU_DEP_1)
	v_cvt_f32_f64_e32 v2, v[2:3]
	v_max_f32_e32 v3, v143, v143
	v_lshlrev_b64 v[4:5], 3, v[0:1]
	v_add_co_u32 v4, vcc_lo, v22, v4
	s_delay_alu instid0(VALU_DEP_2) | instskip(NEXT) | instid1(VALU_DEP_4)
	v_add_co_ci_u32_e32 v5, vcc_lo, v21, v5, vcc_lo
	v_min_f32_e32 v2, v2, v3
	s_delay_alu instid0(VALU_DEP_1)
	v_cvt_f64_f32_e32 v[2:3], v2
	global_store_b64 v[4:5], v[2:3], off
.LBB127_67:
	s_or_b32 exec_lo, exec_lo, s1
	v_add_nc_u32_e32 v2, 8, v0
	s_delay_alu instid0(VALU_DEP_1) | instskip(SKIP_1) | instid1(VALU_DEP_2)
	v_cmp_gt_i32_e64 s1, s16, v2
	v_ashrrev_i32_e32 v3, 31, v2
	s_and_b32 s3, s1, s8
	s_delay_alu instid0(SALU_CYCLE_1)
	s_and_saveexec_b32 s2, s3
	s_cbranch_execz .LBB127_72
; %bb.68:
	v_cmp_ne_u32_e32 vcc_lo, 1, v18
	s_cbranch_vccnz .LBB127_70
; %bb.69:
	v_lshlrev_b64 v[4:5], 3, v[2:3]
	s_delay_alu instid0(VALU_DEP_1) | instskip(NEXT) | instid1(VALU_DEP_2)
	v_add_co_u32 v4, vcc_lo, v16, v4
	v_add_co_ci_u32_e32 v5, vcc_lo, v17, v5, vcc_lo
	flat_load_b64 v[4:5], v[4:5]
	s_waitcnt vmcnt(0) lgkmcnt(0)
	v_mul_f64 v[4:5], v[4:5], s[10:11]
	s_branch .LBB127_71
.LBB127_70:
	v_mov_b32_e32 v4, 0
	v_mov_b32_e32 v5, 0
.LBB127_71:
	s_delay_alu instid0(VALU_DEP_1) | instskip(SKIP_2) | instid1(VALU_DEP_1)
	v_cvt_f32_f64_e32 v4, v[4:5]
	v_max_f32_e32 v5, v142, v142
	v_lshlrev_b64 v[6:7], 3, v[2:3]
	v_add_co_u32 v6, vcc_lo, v22, v6
	s_delay_alu instid0(VALU_DEP_2) | instskip(NEXT) | instid1(VALU_DEP_4)
	v_add_co_ci_u32_e32 v7, vcc_lo, v21, v7, vcc_lo
	v_min_f32_e32 v4, v4, v5
	s_delay_alu instid0(VALU_DEP_1)
	v_cvt_f64_f32_e32 v[4:5], v4
	global_store_b64 v[6:7], v[4:5], off
.LBB127_72:
	s_or_b32 exec_lo, exec_lo, s2
	v_add_nc_u32_e32 v4, 16, v0
	s_delay_alu instid0(VALU_DEP_1) | instskip(SKIP_1) | instid1(VALU_DEP_2)
	v_cmp_gt_i32_e64 s2, s16, v4
	v_ashrrev_i32_e32 v5, 31, v4
	s_and_b32 s4, s2, s8
	s_delay_alu instid0(SALU_CYCLE_1)
	s_and_saveexec_b32 s3, s4
	s_cbranch_execz .LBB127_77
; %bb.73:
	v_cmp_ne_u32_e32 vcc_lo, 1, v18
	s_cbranch_vccnz .LBB127_75
; %bb.74:
	v_lshlrev_b64 v[6:7], 3, v[4:5]
	s_delay_alu instid0(VALU_DEP_1) | instskip(NEXT) | instid1(VALU_DEP_2)
	v_add_co_u32 v6, vcc_lo, v16, v6
	v_add_co_ci_u32_e32 v7, vcc_lo, v17, v7, vcc_lo
	flat_load_b64 v[6:7], v[6:7]
	s_waitcnt vmcnt(0) lgkmcnt(0)
	v_mul_f64 v[6:7], v[6:7], s[10:11]
	s_branch .LBB127_76
.LBB127_75:
	v_mov_b32_e32 v6, 0
	v_mov_b32_e32 v7, 0
.LBB127_76:
	s_delay_alu instid0(VALU_DEP_1) | instskip(SKIP_2) | instid1(VALU_DEP_1)
	v_cvt_f32_f64_e32 v6, v[6:7]
	v_max_f32_e32 v7, v141, v141
	v_lshlrev_b64 v[8:9], 3, v[4:5]
	v_add_co_u32 v8, vcc_lo, v22, v8
	s_delay_alu instid0(VALU_DEP_2) | instskip(NEXT) | instid1(VALU_DEP_4)
	v_add_co_ci_u32_e32 v9, vcc_lo, v21, v9, vcc_lo
	v_min_f32_e32 v6, v6, v7
	s_delay_alu instid0(VALU_DEP_1)
	v_cvt_f64_f32_e32 v[6:7], v6
	global_store_b64 v[8:9], v[6:7], off
.LBB127_77:
	;; [unrolled: 37-line block ×7, first 2 shown]
	s_or_b32 exec_lo, exec_lo, s8
	v_add_nc_u32_e32 v22, 32, v19
	s_delay_alu instid0(VALU_DEP_1) | instskip(SKIP_2) | instid1(VALU_DEP_3)
	v_mad_i64_i32 v[16:17], null, v22, s18, 0
	v_mad_i64_i32 v[20:21], null, v22, s9, 0
	v_cmp_gt_i32_e64 s8, s17, v22
	v_lshlrev_b64 v[16:17], 3, v[16:17]
	s_delay_alu instid0(VALU_DEP_2) | instskip(NEXT) | instid1(VALU_DEP_3)
	s_and_b32 s16, s0, s8
	v_lshlrev_b64 v[20:21], 3, v[20:21]
	s_delay_alu instid0(VALU_DEP_2) | instskip(NEXT) | instid1(VALU_DEP_3)
	v_add_co_u32 v24, vcc_lo, s12, v16
	v_add_co_ci_u32_e32 v23, vcc_lo, s13, v17, vcc_lo
	s_delay_alu instid0(VALU_DEP_3) | instskip(NEXT) | instid1(VALU_DEP_4)
	v_add_co_u32 v22, vcc_lo, s14, v20
	v_add_co_ci_u32_e32 v21, vcc_lo, s19, v21, vcc_lo
	s_and_saveexec_b32 s15, s16
	s_cbranch_execnz .LBB127_110
; %bb.103:
	s_or_b32 exec_lo, exec_lo, s15
	s_and_b32 s16, s1, s8
	s_delay_alu instid0(SALU_CYCLE_1)
	s_and_saveexec_b32 s15, s16
	s_cbranch_execnz .LBB127_114
.LBB127_104:
	s_or_b32 exec_lo, exec_lo, s15
	s_and_b32 s16, s2, s8
	s_delay_alu instid0(SALU_CYCLE_1)
	s_and_saveexec_b32 s15, s16
	s_cbranch_execnz .LBB127_118
.LBB127_105:
	s_or_b32 exec_lo, exec_lo, s15
	s_and_b32 s16, s3, s8
	s_delay_alu instid0(SALU_CYCLE_1)
	s_and_saveexec_b32 s15, s16
	s_cbranch_execnz .LBB127_122
.LBB127_106:
	s_or_b32 exec_lo, exec_lo, s15
	s_and_b32 s16, s4, s8
	s_delay_alu instid0(SALU_CYCLE_1)
	s_and_saveexec_b32 s15, s16
	s_cbranch_execnz .LBB127_126
.LBB127_107:
	s_or_b32 exec_lo, exec_lo, s15
	s_and_b32 s16, s5, s8
	s_delay_alu instid0(SALU_CYCLE_1)
	s_and_saveexec_b32 s15, s16
	s_cbranch_execnz .LBB127_130
.LBB127_108:
	s_or_b32 exec_lo, exec_lo, s15
	s_and_b32 s16, s6, s8
	s_delay_alu instid0(SALU_CYCLE_1)
	s_and_saveexec_b32 s15, s16
	s_cbranch_execnz .LBB127_134
.LBB127_109:
	s_or_b32 exec_lo, exec_lo, s15
	s_and_b32 s15, s7, s8
	s_delay_alu instid0(SALU_CYCLE_1)
	s_and_saveexec_b32 s8, s15
	s_cbranch_execnz .LBB127_138
	s_branch .LBB127_142
.LBB127_110:
	v_cmp_ne_u32_e32 vcc_lo, 1, v18
	v_mov_b32_e32 v20, v26
	s_cbranch_vccnz .LBB127_112
; %bb.111:
	v_lshlrev_b64 v[16:17], 3, v[0:1]
	s_delay_alu instid0(VALU_DEP_1) | instskip(NEXT) | instid1(VALU_DEP_2)
	v_add_co_u32 v16, vcc_lo, v24, v16
	v_add_co_ci_u32_e32 v17, vcc_lo, v23, v17, vcc_lo
	flat_load_b64 v[16:17], v[16:17]
	s_waitcnt vmcnt(0) lgkmcnt(0)
	v_mul_f64 v[16:17], v[16:17], s[10:11]
	s_branch .LBB127_113
.LBB127_112:
	v_mov_b32_e32 v16, 0
	v_mov_b32_e32 v17, 0
.LBB127_113:
	s_delay_alu instid0(VALU_DEP_1) | instskip(SKIP_2) | instid1(VALU_DEP_1)
	v_cvt_f32_f64_e32 v16, v[16:17]
	v_max_f32_e32 v17, v123, v123
	v_lshlrev_b64 v[25:26], 3, v[0:1]
	v_add_co_u32 v25, vcc_lo, v22, v25
	s_delay_alu instid0(VALU_DEP_2) | instskip(NEXT) | instid1(VALU_DEP_4)
	v_add_co_ci_u32_e32 v26, vcc_lo, v21, v26, vcc_lo
	v_min_f32_e32 v16, v16, v17
	s_delay_alu instid0(VALU_DEP_1) | instskip(SKIP_4) | instid1(SALU_CYCLE_1)
	v_cvt_f64_f32_e32 v[16:17], v16
	global_store_b64 v[25:26], v[16:17], off
	v_mov_b32_e32 v26, v20
	s_or_b32 exec_lo, exec_lo, s15
	s_and_b32 s16, s1, s8
	s_and_saveexec_b32 s15, s16
	s_cbranch_execz .LBB127_104
.LBB127_114:
	v_cmp_ne_u32_e32 vcc_lo, 1, v18
	v_mov_b32_e32 v20, v26
	s_cbranch_vccnz .LBB127_116
; %bb.115:
	v_lshlrev_b64 v[16:17], 3, v[2:3]
	s_delay_alu instid0(VALU_DEP_1) | instskip(NEXT) | instid1(VALU_DEP_2)
	v_add_co_u32 v16, vcc_lo, v24, v16
	v_add_co_ci_u32_e32 v17, vcc_lo, v23, v17, vcc_lo
	flat_load_b64 v[16:17], v[16:17]
	s_waitcnt vmcnt(0) lgkmcnt(0)
	v_mul_f64 v[16:17], v[16:17], s[10:11]
	s_branch .LBB127_117
.LBB127_116:
	v_mov_b32_e32 v16, 0
	v_mov_b32_e32 v17, 0
.LBB127_117:
	s_delay_alu instid0(VALU_DEP_1) | instskip(SKIP_2) | instid1(VALU_DEP_1)
	v_cvt_f32_f64_e32 v16, v[16:17]
	v_max_f32_e32 v17, v127, v127
	v_lshlrev_b64 v[25:26], 3, v[2:3]
	v_add_co_u32 v25, vcc_lo, v22, v25
	s_delay_alu instid0(VALU_DEP_2) | instskip(NEXT) | instid1(VALU_DEP_4)
	v_add_co_ci_u32_e32 v26, vcc_lo, v21, v26, vcc_lo
	v_min_f32_e32 v16, v16, v17
	s_delay_alu instid0(VALU_DEP_1) | instskip(SKIP_4) | instid1(SALU_CYCLE_1)
	v_cvt_f64_f32_e32 v[16:17], v16
	global_store_b64 v[25:26], v[16:17], off
	v_mov_b32_e32 v26, v20
	s_or_b32 exec_lo, exec_lo, s15
	s_and_b32 s16, s2, s8
	s_and_saveexec_b32 s15, s16
	s_cbranch_execz .LBB127_105
.LBB127_118:
	v_cmp_ne_u32_e32 vcc_lo, 1, v18
	v_mov_b32_e32 v20, v26
	s_cbranch_vccnz .LBB127_120
; %bb.119:
	v_lshlrev_b64 v[16:17], 3, v[4:5]
	s_delay_alu instid0(VALU_DEP_1) | instskip(NEXT) | instid1(VALU_DEP_2)
	v_add_co_u32 v16, vcc_lo, v24, v16
	v_add_co_ci_u32_e32 v17, vcc_lo, v23, v17, vcc_lo
	flat_load_b64 v[16:17], v[16:17]
	s_waitcnt vmcnt(0) lgkmcnt(0)
	v_mul_f64 v[16:17], v[16:17], s[10:11]
	s_branch .LBB127_121
.LBB127_120:
	v_mov_b32_e32 v16, 0
	v_mov_b32_e32 v17, 0
.LBB127_121:
	s_delay_alu instid0(VALU_DEP_1) | instskip(SKIP_2) | instid1(VALU_DEP_1)
	v_cvt_f32_f64_e32 v16, v[16:17]
	v_max_f32_e32 v17, v28, v28
	v_lshlrev_b64 v[25:26], 3, v[4:5]
	v_add_co_u32 v25, vcc_lo, v22, v25
	s_delay_alu instid0(VALU_DEP_2) | instskip(NEXT) | instid1(VALU_DEP_4)
	v_add_co_ci_u32_e32 v26, vcc_lo, v21, v26, vcc_lo
	v_min_f32_e32 v16, v16, v17
	s_delay_alu instid0(VALU_DEP_1) | instskip(SKIP_4) | instid1(SALU_CYCLE_1)
	v_cvt_f64_f32_e32 v[16:17], v16
	global_store_b64 v[25:26], v[16:17], off
	v_mov_b32_e32 v26, v20
	s_or_b32 exec_lo, exec_lo, s15
	s_and_b32 s16, s3, s8
	s_and_saveexec_b32 s15, s16
	s_cbranch_execz .LBB127_106
.LBB127_122:
	v_cmp_ne_u32_e32 vcc_lo, 1, v18
	v_mov_b32_e32 v20, v26
	s_cbranch_vccnz .LBB127_124
; %bb.123:
	v_lshlrev_b64 v[16:17], 3, v[6:7]
	s_delay_alu instid0(VALU_DEP_1) | instskip(NEXT) | instid1(VALU_DEP_2)
	v_add_co_u32 v16, vcc_lo, v24, v16
	v_add_co_ci_u32_e32 v17, vcc_lo, v23, v17, vcc_lo
	flat_load_b64 v[16:17], v[16:17]
	s_waitcnt vmcnt(0) lgkmcnt(0)
	v_mul_f64 v[16:17], v[16:17], s[10:11]
	s_branch .LBB127_125
.LBB127_124:
	v_mov_b32_e32 v16, 0
	v_mov_b32_e32 v17, 0
.LBB127_125:
	s_delay_alu instid0(VALU_DEP_1) | instskip(SKIP_2) | instid1(VALU_DEP_1)
	v_cvt_f32_f64_e32 v16, v[16:17]
	v_max_f32_e32 v17, v125, v125
	v_lshlrev_b64 v[25:26], 3, v[6:7]
	v_add_co_u32 v25, vcc_lo, v22, v25
	s_delay_alu instid0(VALU_DEP_2) | instskip(NEXT) | instid1(VALU_DEP_4)
	v_add_co_ci_u32_e32 v26, vcc_lo, v21, v26, vcc_lo
	v_min_f32_e32 v16, v16, v17
	s_delay_alu instid0(VALU_DEP_1) | instskip(SKIP_4) | instid1(SALU_CYCLE_1)
	v_cvt_f64_f32_e32 v[16:17], v16
	global_store_b64 v[25:26], v[16:17], off
	v_mov_b32_e32 v26, v20
	s_or_b32 exec_lo, exec_lo, s15
	s_and_b32 s16, s4, s8
	s_and_saveexec_b32 s15, s16
	s_cbranch_execz .LBB127_107
.LBB127_126:
	v_cmp_ne_u32_e32 vcc_lo, 1, v18
	v_mov_b32_e32 v20, v26
	s_cbranch_vccnz .LBB127_128
; %bb.127:
	v_lshlrev_b64 v[16:17], 3, v[8:9]
	s_delay_alu instid0(VALU_DEP_1) | instskip(NEXT) | instid1(VALU_DEP_2)
	v_add_co_u32 v16, vcc_lo, v24, v16
	v_add_co_ci_u32_e32 v17, vcc_lo, v23, v17, vcc_lo
	flat_load_b64 v[16:17], v[16:17]
	s_waitcnt vmcnt(0) lgkmcnt(0)
	v_mul_f64 v[16:17], v[16:17], s[10:11]
	s_branch .LBB127_129
.LBB127_128:
	v_mov_b32_e32 v16, 0
	v_mov_b32_e32 v17, 0
.LBB127_129:
	s_delay_alu instid0(VALU_DEP_1) | instskip(SKIP_2) | instid1(VALU_DEP_1)
	v_cvt_f32_f64_e32 v16, v[16:17]
	v_max_f32_e32 v17, v38, v38
	v_lshlrev_b64 v[25:26], 3, v[8:9]
	v_add_co_u32 v25, vcc_lo, v22, v25
	s_delay_alu instid0(VALU_DEP_2) | instskip(NEXT) | instid1(VALU_DEP_4)
	v_add_co_ci_u32_e32 v26, vcc_lo, v21, v26, vcc_lo
	v_min_f32_e32 v16, v16, v17
	s_delay_alu instid0(VALU_DEP_1) | instskip(SKIP_4) | instid1(SALU_CYCLE_1)
	v_cvt_f64_f32_e32 v[16:17], v16
	global_store_b64 v[25:26], v[16:17], off
	v_mov_b32_e32 v26, v20
	s_or_b32 exec_lo, exec_lo, s15
	s_and_b32 s16, s5, s8
	s_and_saveexec_b32 s15, s16
	s_cbranch_execz .LBB127_108
.LBB127_130:
	v_cmp_ne_u32_e32 vcc_lo, 1, v18
	v_mov_b32_e32 v20, v26
	s_cbranch_vccnz .LBB127_132
; %bb.131:
	v_lshlrev_b64 v[16:17], 3, v[10:11]
	s_delay_alu instid0(VALU_DEP_1) | instskip(NEXT) | instid1(VALU_DEP_2)
	v_add_co_u32 v16, vcc_lo, v24, v16
	v_add_co_ci_u32_e32 v17, vcc_lo, v23, v17, vcc_lo
	flat_load_b64 v[16:17], v[16:17]
	s_waitcnt vmcnt(0) lgkmcnt(0)
	v_mul_f64 v[16:17], v[16:17], s[10:11]
	s_branch .LBB127_133
.LBB127_132:
	v_mov_b32_e32 v16, 0
	v_mov_b32_e32 v17, 0
.LBB127_133:
	s_delay_alu instid0(VALU_DEP_1) | instskip(SKIP_2) | instid1(VALU_DEP_1)
	v_cvt_f32_f64_e32 v16, v[16:17]
	v_max_f32_e32 v17, v105, v105
	v_lshlrev_b64 v[25:26], 3, v[10:11]
	v_add_co_u32 v25, vcc_lo, v22, v25
	s_delay_alu instid0(VALU_DEP_2) | instskip(NEXT) | instid1(VALU_DEP_4)
	v_add_co_ci_u32_e32 v26, vcc_lo, v21, v26, vcc_lo
	v_min_f32_e32 v16, v16, v17
	s_delay_alu instid0(VALU_DEP_1) | instskip(SKIP_4) | instid1(SALU_CYCLE_1)
	v_cvt_f64_f32_e32 v[16:17], v16
	global_store_b64 v[25:26], v[16:17], off
	v_mov_b32_e32 v26, v20
	s_or_b32 exec_lo, exec_lo, s15
	s_and_b32 s16, s6, s8
	s_and_saveexec_b32 s15, s16
	s_cbranch_execz .LBB127_109
.LBB127_134:
	v_cmp_ne_u32_e32 vcc_lo, 1, v18
	v_mov_b32_e32 v20, v26
	s_cbranch_vccnz .LBB127_136
; %bb.135:
	v_lshlrev_b64 v[16:17], 3, v[12:13]
	s_delay_alu instid0(VALU_DEP_1) | instskip(NEXT) | instid1(VALU_DEP_2)
	v_add_co_u32 v16, vcc_lo, v24, v16
	v_add_co_ci_u32_e32 v17, vcc_lo, v23, v17, vcc_lo
	flat_load_b64 v[16:17], v[16:17]
	s_waitcnt vmcnt(0) lgkmcnt(0)
	v_mul_f64 v[16:17], v[16:17], s[10:11]
	s_branch .LBB127_137
.LBB127_136:
	v_mov_b32_e32 v16, 0
	v_mov_b32_e32 v17, 0
.LBB127_137:
	s_delay_alu instid0(VALU_DEP_1) | instskip(SKIP_2) | instid1(VALU_DEP_1)
	v_cvt_f32_f64_e32 v16, v[16:17]
	v_max_f32_e32 v17, v104, v104
	v_lshlrev_b64 v[25:26], 3, v[12:13]
	v_add_co_u32 v25, vcc_lo, v22, v25
	s_delay_alu instid0(VALU_DEP_2) | instskip(NEXT) | instid1(VALU_DEP_4)
	v_add_co_ci_u32_e32 v26, vcc_lo, v21, v26, vcc_lo
	v_min_f32_e32 v16, v16, v17
	s_delay_alu instid0(VALU_DEP_1) | instskip(SKIP_4) | instid1(SALU_CYCLE_1)
	v_cvt_f64_f32_e32 v[16:17], v16
	global_store_b64 v[25:26], v[16:17], off
	v_mov_b32_e32 v26, v20
	s_or_b32 exec_lo, exec_lo, s15
	s_and_b32 s15, s7, s8
	s_and_saveexec_b32 s8, s15
	s_cbranch_execz .LBB127_142
.LBB127_138:
	v_cmp_ne_u32_e32 vcc_lo, 1, v18
	s_cbranch_vccnz .LBB127_140
; %bb.139:
	v_lshlrev_b64 v[16:17], 3, v[14:15]
	s_delay_alu instid0(VALU_DEP_1) | instskip(NEXT) | instid1(VALU_DEP_2)
	v_add_co_u32 v16, vcc_lo, v24, v16
	v_add_co_ci_u32_e32 v17, vcc_lo, v23, v17, vcc_lo
	flat_load_b64 v[16:17], v[16:17]
	s_waitcnt vmcnt(0) lgkmcnt(0)
	v_mul_f64 v[16:17], v[16:17], s[10:11]
	s_branch .LBB127_141
.LBB127_140:
	v_mov_b32_e32 v16, 0
	v_mov_b32_e32 v17, 0
.LBB127_141:
	s_delay_alu instid0(VALU_DEP_1) | instskip(SKIP_2) | instid1(VALU_DEP_1)
	v_cvt_f32_f64_e32 v16, v[16:17]
	v_max_f32_e32 v17, v61, v61
	v_lshlrev_b64 v[23:24], 3, v[14:15]
	v_add_co_u32 v20, vcc_lo, v22, v23
	s_delay_alu instid0(VALU_DEP_2) | instskip(NEXT) | instid1(VALU_DEP_4)
	v_add_co_ci_u32_e32 v21, vcc_lo, v21, v24, vcc_lo
	v_min_f32_e32 v16, v16, v17
	s_delay_alu instid0(VALU_DEP_1)
	v_cvt_f64_f32_e32 v[16:17], v16
	global_store_b64 v[20:21], v[16:17], off
.LBB127_142:
	s_or_b32 exec_lo, exec_lo, s8
	v_add_nc_u32_e32 v22, 64, v19
	s_delay_alu instid0(VALU_DEP_1) | instskip(SKIP_2) | instid1(VALU_DEP_3)
	v_mad_i64_i32 v[16:17], null, v22, s18, 0
	v_mad_i64_i32 v[20:21], null, v22, s9, 0
	v_cmp_gt_i32_e64 s8, s17, v22
	v_lshlrev_b64 v[16:17], 3, v[16:17]
	s_delay_alu instid0(VALU_DEP_2) | instskip(NEXT) | instid1(VALU_DEP_3)
	s_and_b32 s16, s0, s8
	v_lshlrev_b64 v[20:21], 3, v[20:21]
	s_delay_alu instid0(VALU_DEP_2) | instskip(NEXT) | instid1(VALU_DEP_3)
	v_add_co_u32 v24, vcc_lo, s12, v16
	v_add_co_ci_u32_e32 v23, vcc_lo, s13, v17, vcc_lo
	s_delay_alu instid0(VALU_DEP_3) | instskip(NEXT) | instid1(VALU_DEP_4)
	v_add_co_u32 v22, vcc_lo, s14, v20
	v_add_co_ci_u32_e32 v21, vcc_lo, s19, v21, vcc_lo
	s_and_saveexec_b32 s15, s16
	s_cbranch_execnz .LBB127_150
; %bb.143:
	s_or_b32 exec_lo, exec_lo, s15
	s_and_b32 s16, s1, s8
	s_delay_alu instid0(SALU_CYCLE_1)
	s_and_saveexec_b32 s15, s16
	s_cbranch_execnz .LBB127_154
.LBB127_144:
	s_or_b32 exec_lo, exec_lo, s15
	s_and_b32 s16, s2, s8
	s_delay_alu instid0(SALU_CYCLE_1)
	s_and_saveexec_b32 s15, s16
	s_cbranch_execnz .LBB127_158
.LBB127_145:
	s_or_b32 exec_lo, exec_lo, s15
	s_and_b32 s16, s3, s8
	s_delay_alu instid0(SALU_CYCLE_1)
	s_and_saveexec_b32 s15, s16
	s_cbranch_execnz .LBB127_162
.LBB127_146:
	s_or_b32 exec_lo, exec_lo, s15
	s_and_b32 s16, s4, s8
	s_delay_alu instid0(SALU_CYCLE_1)
	s_and_saveexec_b32 s15, s16
	s_cbranch_execnz .LBB127_166
.LBB127_147:
	s_or_b32 exec_lo, exec_lo, s15
	s_and_b32 s16, s5, s8
	s_delay_alu instid0(SALU_CYCLE_1)
	s_and_saveexec_b32 s15, s16
	s_cbranch_execnz .LBB127_170
.LBB127_148:
	s_or_b32 exec_lo, exec_lo, s15
	s_and_b32 s16, s6, s8
	s_delay_alu instid0(SALU_CYCLE_1)
	s_and_saveexec_b32 s15, s16
	s_cbranch_execnz .LBB127_174
.LBB127_149:
	s_or_b32 exec_lo, exec_lo, s15
	s_and_b32 s15, s7, s8
	s_delay_alu instid0(SALU_CYCLE_1)
	s_and_saveexec_b32 s8, s15
	s_cbranch_execnz .LBB127_178
	s_branch .LBB127_182
.LBB127_150:
	v_cmp_ne_u32_e32 vcc_lo, 1, v18
	v_mov_b32_e32 v20, v26
	s_cbranch_vccnz .LBB127_152
; %bb.151:
	v_lshlrev_b64 v[16:17], 3, v[0:1]
	s_delay_alu instid0(VALU_DEP_1) | instskip(NEXT) | instid1(VALU_DEP_2)
	v_add_co_u32 v16, vcc_lo, v24, v16
	v_add_co_ci_u32_e32 v17, vcc_lo, v23, v17, vcc_lo
	flat_load_b64 v[16:17], v[16:17]
	s_waitcnt vmcnt(0) lgkmcnt(0)
	v_mul_f64 v[16:17], v[16:17], s[10:11]
	s_branch .LBB127_153
.LBB127_152:
	v_mov_b32_e32 v16, 0
	v_mov_b32_e32 v17, 0
.LBB127_153:
	s_delay_alu instid0(VALU_DEP_1) | instskip(SKIP_2) | instid1(VALU_DEP_1)
	v_cvt_f32_f64_e32 v16, v[16:17]
	v_max_f32_e32 v17, v60, v60
	v_lshlrev_b64 v[25:26], 3, v[0:1]
	v_add_co_u32 v25, vcc_lo, v22, v25
	s_delay_alu instid0(VALU_DEP_2) | instskip(NEXT) | instid1(VALU_DEP_4)
	v_add_co_ci_u32_e32 v26, vcc_lo, v21, v26, vcc_lo
	v_min_f32_e32 v16, v16, v17
	s_delay_alu instid0(VALU_DEP_1) | instskip(SKIP_4) | instid1(SALU_CYCLE_1)
	v_cvt_f64_f32_e32 v[16:17], v16
	global_store_b64 v[25:26], v[16:17], off
	v_mov_b32_e32 v26, v20
	s_or_b32 exec_lo, exec_lo, s15
	s_and_b32 s16, s1, s8
	s_and_saveexec_b32 s15, s16
	s_cbranch_execz .LBB127_144
.LBB127_154:
	v_cmp_ne_u32_e32 vcc_lo, 1, v18
	v_mov_b32_e32 v20, v26
	s_cbranch_vccnz .LBB127_156
; %bb.155:
	v_lshlrev_b64 v[16:17], 3, v[2:3]
	s_delay_alu instid0(VALU_DEP_1) | instskip(NEXT) | instid1(VALU_DEP_2)
	v_add_co_u32 v16, vcc_lo, v24, v16
	v_add_co_ci_u32_e32 v17, vcc_lo, v23, v17, vcc_lo
	flat_load_b64 v[16:17], v[16:17]
	s_waitcnt vmcnt(0) lgkmcnt(0)
	v_mul_f64 v[16:17], v[16:17], s[10:11]
	s_branch .LBB127_157
.LBB127_156:
	v_mov_b32_e32 v16, 0
	v_mov_b32_e32 v17, 0
.LBB127_157:
	s_delay_alu instid0(VALU_DEP_1) | instskip(SKIP_2) | instid1(VALU_DEP_1)
	v_cvt_f32_f64_e32 v16, v[16:17]
	v_max_f32_e32 v17, v65, v65
	v_lshlrev_b64 v[25:26], 3, v[2:3]
	v_add_co_u32 v25, vcc_lo, v22, v25
	s_delay_alu instid0(VALU_DEP_2) | instskip(NEXT) | instid1(VALU_DEP_4)
	v_add_co_ci_u32_e32 v26, vcc_lo, v21, v26, vcc_lo
	v_min_f32_e32 v16, v16, v17
	s_delay_alu instid0(VALU_DEP_1) | instskip(SKIP_4) | instid1(SALU_CYCLE_1)
	v_cvt_f64_f32_e32 v[16:17], v16
	global_store_b64 v[25:26], v[16:17], off
	v_mov_b32_e32 v26, v20
	s_or_b32 exec_lo, exec_lo, s15
	s_and_b32 s16, s2, s8
	s_and_saveexec_b32 s15, s16
	s_cbranch_execz .LBB127_145
.LBB127_158:
	v_cmp_ne_u32_e32 vcc_lo, 1, v18
	v_mov_b32_e32 v20, v26
	s_cbranch_vccnz .LBB127_160
; %bb.159:
	v_lshlrev_b64 v[16:17], 3, v[4:5]
	s_delay_alu instid0(VALU_DEP_1) | instskip(NEXT) | instid1(VALU_DEP_2)
	v_add_co_u32 v16, vcc_lo, v24, v16
	v_add_co_ci_u32_e32 v17, vcc_lo, v23, v17, vcc_lo
	flat_load_b64 v[16:17], v[16:17]
	s_waitcnt vmcnt(0) lgkmcnt(0)
	v_mul_f64 v[16:17], v[16:17], s[10:11]
	s_branch .LBB127_161
.LBB127_160:
	v_mov_b32_e32 v16, 0
	v_mov_b32_e32 v17, 0
.LBB127_161:
	s_delay_alu instid0(VALU_DEP_1) | instskip(SKIP_2) | instid1(VALU_DEP_1)
	v_cvt_f32_f64_e32 v16, v[16:17]
	v_max_f32_e32 v17, v109, v109
	v_lshlrev_b64 v[25:26], 3, v[4:5]
	v_add_co_u32 v25, vcc_lo, v22, v25
	s_delay_alu instid0(VALU_DEP_2) | instskip(NEXT) | instid1(VALU_DEP_4)
	v_add_co_ci_u32_e32 v26, vcc_lo, v21, v26, vcc_lo
	v_min_f32_e32 v16, v16, v17
	s_delay_alu instid0(VALU_DEP_1) | instskip(SKIP_4) | instid1(SALU_CYCLE_1)
	v_cvt_f64_f32_e32 v[16:17], v16
	global_store_b64 v[25:26], v[16:17], off
	v_mov_b32_e32 v26, v20
	s_or_b32 exec_lo, exec_lo, s15
	s_and_b32 s16, s3, s8
	s_and_saveexec_b32 s15, s16
	s_cbranch_execz .LBB127_146
.LBB127_162:
	v_cmp_ne_u32_e32 vcc_lo, 1, v18
	v_mov_b32_e32 v20, v26
	s_cbranch_vccnz .LBB127_164
; %bb.163:
	v_lshlrev_b64 v[16:17], 3, v[6:7]
	s_delay_alu instid0(VALU_DEP_1) | instskip(NEXT) | instid1(VALU_DEP_2)
	v_add_co_u32 v16, vcc_lo, v24, v16
	v_add_co_ci_u32_e32 v17, vcc_lo, v23, v17, vcc_lo
	flat_load_b64 v[16:17], v[16:17]
	s_waitcnt vmcnt(0) lgkmcnt(0)
	v_mul_f64 v[16:17], v[16:17], s[10:11]
	s_branch .LBB127_165
.LBB127_164:
	v_mov_b32_e32 v16, 0
	v_mov_b32_e32 v17, 0
.LBB127_165:
	s_delay_alu instid0(VALU_DEP_1) | instskip(SKIP_2) | instid1(VALU_DEP_1)
	v_cvt_f32_f64_e32 v16, v[16:17]
	v_max_f32_e32 v17, v108, v108
	v_lshlrev_b64 v[25:26], 3, v[6:7]
	v_add_co_u32 v25, vcc_lo, v22, v25
	s_delay_alu instid0(VALU_DEP_2) | instskip(NEXT) | instid1(VALU_DEP_4)
	v_add_co_ci_u32_e32 v26, vcc_lo, v21, v26, vcc_lo
	v_min_f32_e32 v16, v16, v17
	s_delay_alu instid0(VALU_DEP_1) | instskip(SKIP_4) | instid1(SALU_CYCLE_1)
	v_cvt_f64_f32_e32 v[16:17], v16
	global_store_b64 v[25:26], v[16:17], off
	v_mov_b32_e32 v26, v20
	s_or_b32 exec_lo, exec_lo, s15
	s_and_b32 s16, s4, s8
	s_and_saveexec_b32 s15, s16
	s_cbranch_execz .LBB127_147
.LBB127_166:
	v_cmp_ne_u32_e32 vcc_lo, 1, v18
	v_mov_b32_e32 v20, v26
	s_cbranch_vccnz .LBB127_168
; %bb.167:
	v_lshlrev_b64 v[16:17], 3, v[8:9]
	s_delay_alu instid0(VALU_DEP_1) | instskip(NEXT) | instid1(VALU_DEP_2)
	v_add_co_u32 v16, vcc_lo, v24, v16
	v_add_co_ci_u32_e32 v17, vcc_lo, v23, v17, vcc_lo
	flat_load_b64 v[16:17], v[16:17]
	s_waitcnt vmcnt(0) lgkmcnt(0)
	v_mul_f64 v[16:17], v[16:17], s[10:11]
	s_branch .LBB127_169
.LBB127_168:
	v_mov_b32_e32 v16, 0
	v_mov_b32_e32 v17, 0
.LBB127_169:
	s_delay_alu instid0(VALU_DEP_1) | instskip(SKIP_2) | instid1(VALU_DEP_1)
	v_cvt_f32_f64_e32 v16, v[16:17]
	v_max_f32_e32 v17, v201, v201
	v_lshlrev_b64 v[25:26], 3, v[8:9]
	v_add_co_u32 v25, vcc_lo, v22, v25
	s_delay_alu instid0(VALU_DEP_2) | instskip(NEXT) | instid1(VALU_DEP_4)
	v_add_co_ci_u32_e32 v26, vcc_lo, v21, v26, vcc_lo
	v_min_f32_e32 v16, v16, v17
	s_delay_alu instid0(VALU_DEP_1) | instskip(SKIP_4) | instid1(SALU_CYCLE_1)
	v_cvt_f64_f32_e32 v[16:17], v16
	global_store_b64 v[25:26], v[16:17], off
	v_mov_b32_e32 v26, v20
	s_or_b32 exec_lo, exec_lo, s15
	s_and_b32 s16, s5, s8
	s_and_saveexec_b32 s15, s16
	s_cbranch_execz .LBB127_148
.LBB127_170:
	v_cmp_ne_u32_e32 vcc_lo, 1, v18
	v_mov_b32_e32 v20, v26
	s_cbranch_vccnz .LBB127_172
; %bb.171:
	v_lshlrev_b64 v[16:17], 3, v[10:11]
	s_delay_alu instid0(VALU_DEP_1) | instskip(NEXT) | instid1(VALU_DEP_2)
	v_add_co_u32 v16, vcc_lo, v24, v16
	v_add_co_ci_u32_e32 v17, vcc_lo, v23, v17, vcc_lo
	flat_load_b64 v[16:17], v[16:17]
	s_waitcnt vmcnt(0) lgkmcnt(0)
	v_mul_f64 v[16:17], v[16:17], s[10:11]
	s_branch .LBB127_173
.LBB127_172:
	v_mov_b32_e32 v16, 0
	v_mov_b32_e32 v17, 0
.LBB127_173:
	s_delay_alu instid0(VALU_DEP_1) | instskip(SKIP_2) | instid1(VALU_DEP_1)
	v_cvt_f32_f64_e32 v16, v[16:17]
	v_max_f32_e32 v17, v113, v113
	v_lshlrev_b64 v[25:26], 3, v[10:11]
	v_add_co_u32 v25, vcc_lo, v22, v25
	s_delay_alu instid0(VALU_DEP_2) | instskip(NEXT) | instid1(VALU_DEP_4)
	v_add_co_ci_u32_e32 v26, vcc_lo, v21, v26, vcc_lo
	v_min_f32_e32 v16, v16, v17
	s_delay_alu instid0(VALU_DEP_1) | instskip(SKIP_4) | instid1(SALU_CYCLE_1)
	v_cvt_f64_f32_e32 v[16:17], v16
	global_store_b64 v[25:26], v[16:17], off
	v_mov_b32_e32 v26, v20
	s_or_b32 exec_lo, exec_lo, s15
	s_and_b32 s16, s6, s8
	s_and_saveexec_b32 s15, s16
	s_cbranch_execz .LBB127_149
.LBB127_174:
	v_cmp_ne_u32_e32 vcc_lo, 1, v18
	v_mov_b32_e32 v20, v26
	s_cbranch_vccnz .LBB127_176
; %bb.175:
	v_lshlrev_b64 v[16:17], 3, v[12:13]
	s_delay_alu instid0(VALU_DEP_1) | instskip(NEXT) | instid1(VALU_DEP_2)
	v_add_co_u32 v16, vcc_lo, v24, v16
	v_add_co_ci_u32_e32 v17, vcc_lo, v23, v17, vcc_lo
	flat_load_b64 v[16:17], v[16:17]
	s_waitcnt vmcnt(0) lgkmcnt(0)
	v_mul_f64 v[16:17], v[16:17], s[10:11]
	s_branch .LBB127_177
.LBB127_176:
	v_mov_b32_e32 v16, 0
	v_mov_b32_e32 v17, 0
.LBB127_177:
	s_delay_alu instid0(VALU_DEP_1) | instskip(SKIP_2) | instid1(VALU_DEP_1)
	v_cvt_f32_f64_e32 v16, v[16:17]
	v_max_f32_e32 v17, v112, v112
	v_lshlrev_b64 v[25:26], 3, v[12:13]
	v_add_co_u32 v25, vcc_lo, v22, v25
	s_delay_alu instid0(VALU_DEP_2) | instskip(NEXT) | instid1(VALU_DEP_4)
	v_add_co_ci_u32_e32 v26, vcc_lo, v21, v26, vcc_lo
	v_min_f32_e32 v16, v16, v17
	s_delay_alu instid0(VALU_DEP_1) | instskip(SKIP_4) | instid1(SALU_CYCLE_1)
	v_cvt_f64_f32_e32 v[16:17], v16
	global_store_b64 v[25:26], v[16:17], off
	v_mov_b32_e32 v26, v20
	s_or_b32 exec_lo, exec_lo, s15
	s_and_b32 s15, s7, s8
	s_and_saveexec_b32 s8, s15
	s_cbranch_execz .LBB127_182
.LBB127_178:
	v_cmp_ne_u32_e32 vcc_lo, 1, v18
	s_cbranch_vccnz .LBB127_180
; %bb.179:
	v_lshlrev_b64 v[16:17], 3, v[14:15]
	s_delay_alu instid0(VALU_DEP_1) | instskip(NEXT) | instid1(VALU_DEP_2)
	v_add_co_u32 v16, vcc_lo, v24, v16
	v_add_co_ci_u32_e32 v17, vcc_lo, v23, v17, vcc_lo
	flat_load_b64 v[16:17], v[16:17]
	s_waitcnt vmcnt(0) lgkmcnt(0)
	v_mul_f64 v[16:17], v[16:17], s[10:11]
	s_branch .LBB127_181
.LBB127_180:
	v_mov_b32_e32 v16, 0
	v_mov_b32_e32 v17, 0
.LBB127_181:
	s_delay_alu instid0(VALU_DEP_1) | instskip(SKIP_2) | instid1(VALU_DEP_1)
	v_cvt_f32_f64_e32 v16, v[16:17]
	v_max_f32_e32 v17, v77, v77
	v_lshlrev_b64 v[23:24], 3, v[14:15]
	v_add_co_u32 v20, vcc_lo, v22, v23
	s_delay_alu instid0(VALU_DEP_2) | instskip(NEXT) | instid1(VALU_DEP_4)
	v_add_co_ci_u32_e32 v21, vcc_lo, v21, v24, vcc_lo
	v_min_f32_e32 v16, v16, v17
	s_delay_alu instid0(VALU_DEP_1)
	v_cvt_f64_f32_e32 v[16:17], v16
	global_store_b64 v[20:21], v[16:17], off
.LBB127_182:
	s_or_b32 exec_lo, exec_lo, s8
	v_add_nc_u32_e32 v22, 0x60, v19
	s_delay_alu instid0(VALU_DEP_1) | instskip(SKIP_2) | instid1(VALU_DEP_3)
	v_mad_i64_i32 v[16:17], null, v22, s18, 0
	v_mad_i64_i32 v[20:21], null, v22, s9, 0
	v_cmp_gt_i32_e64 s8, s17, v22
	v_lshlrev_b64 v[16:17], 3, v[16:17]
	s_delay_alu instid0(VALU_DEP_2) | instskip(NEXT) | instid1(VALU_DEP_3)
	s_and_b32 s16, s0, s8
	v_lshlrev_b64 v[20:21], 3, v[20:21]
	s_delay_alu instid0(VALU_DEP_2) | instskip(NEXT) | instid1(VALU_DEP_3)
	v_add_co_u32 v24, vcc_lo, s12, v16
	v_add_co_ci_u32_e32 v23, vcc_lo, s13, v17, vcc_lo
	s_delay_alu instid0(VALU_DEP_3) | instskip(NEXT) | instid1(VALU_DEP_4)
	v_add_co_u32 v22, vcc_lo, s14, v20
	v_add_co_ci_u32_e32 v21, vcc_lo, s19, v21, vcc_lo
	s_and_saveexec_b32 s15, s16
	s_cbranch_execnz .LBB127_190
; %bb.183:
	s_or_b32 exec_lo, exec_lo, s15
	s_and_b32 s16, s1, s8
	s_delay_alu instid0(SALU_CYCLE_1)
	s_and_saveexec_b32 s15, s16
	s_cbranch_execnz .LBB127_194
.LBB127_184:
	s_or_b32 exec_lo, exec_lo, s15
	s_and_b32 s16, s2, s8
	s_delay_alu instid0(SALU_CYCLE_1)
	s_and_saveexec_b32 s15, s16
	s_cbranch_execnz .LBB127_198
.LBB127_185:
	s_or_b32 exec_lo, exec_lo, s15
	s_and_b32 s16, s3, s8
	s_delay_alu instid0(SALU_CYCLE_1)
	s_and_saveexec_b32 s15, s16
	s_cbranch_execnz .LBB127_202
.LBB127_186:
	s_or_b32 exec_lo, exec_lo, s15
	s_and_b32 s16, s4, s8
	s_delay_alu instid0(SALU_CYCLE_1)
	s_and_saveexec_b32 s15, s16
	s_cbranch_execnz .LBB127_206
.LBB127_187:
	s_or_b32 exec_lo, exec_lo, s15
	s_and_b32 s16, s5, s8
	s_delay_alu instid0(SALU_CYCLE_1)
	s_and_saveexec_b32 s15, s16
	s_cbranch_execnz .LBB127_210
.LBB127_188:
	s_or_b32 exec_lo, exec_lo, s15
	s_and_b32 s16, s6, s8
	s_delay_alu instid0(SALU_CYCLE_1)
	s_and_saveexec_b32 s15, s16
	s_cbranch_execnz .LBB127_214
.LBB127_189:
	s_or_b32 exec_lo, exec_lo, s15
	s_and_b32 s15, s7, s8
	s_delay_alu instid0(SALU_CYCLE_1)
	s_and_saveexec_b32 s8, s15
	s_cbranch_execnz .LBB127_218
	s_branch .LBB127_222
.LBB127_190:
	v_cmp_ne_u32_e32 vcc_lo, 1, v18
	v_mov_b32_e32 v20, v26
	s_cbranch_vccnz .LBB127_192
; %bb.191:
	v_lshlrev_b64 v[16:17], 3, v[0:1]
	s_delay_alu instid0(VALU_DEP_1) | instskip(NEXT) | instid1(VALU_DEP_2)
	v_add_co_u32 v16, vcc_lo, v24, v16
	v_add_co_ci_u32_e32 v17, vcc_lo, v23, v17, vcc_lo
	flat_load_b64 v[16:17], v[16:17]
	s_waitcnt vmcnt(0) lgkmcnt(0)
	v_mul_f64 v[16:17], v[16:17], s[10:11]
	s_branch .LBB127_193
.LBB127_192:
	v_mov_b32_e32 v16, 0
	v_mov_b32_e32 v17, 0
.LBB127_193:
	s_delay_alu instid0(VALU_DEP_1) | instskip(SKIP_2) | instid1(VALU_DEP_1)
	v_cvt_f32_f64_e32 v16, v[16:17]
	v_max_f32_e32 v17, v76, v76
	v_lshlrev_b64 v[25:26], 3, v[0:1]
	v_add_co_u32 v25, vcc_lo, v22, v25
	s_delay_alu instid0(VALU_DEP_2) | instskip(NEXT) | instid1(VALU_DEP_4)
	v_add_co_ci_u32_e32 v26, vcc_lo, v21, v26, vcc_lo
	v_min_f32_e32 v16, v16, v17
	s_delay_alu instid0(VALU_DEP_1) | instskip(SKIP_4) | instid1(SALU_CYCLE_1)
	v_cvt_f64_f32_e32 v[16:17], v16
	global_store_b64 v[25:26], v[16:17], off
	v_mov_b32_e32 v26, v20
	s_or_b32 exec_lo, exec_lo, s15
	s_and_b32 s16, s1, s8
	s_and_saveexec_b32 s15, s16
	s_cbranch_execz .LBB127_184
.LBB127_194:
	v_cmp_ne_u32_e32 vcc_lo, 1, v18
	v_mov_b32_e32 v20, v26
	s_cbranch_vccnz .LBB127_196
; %bb.195:
	v_lshlrev_b64 v[16:17], 3, v[2:3]
	s_delay_alu instid0(VALU_DEP_1) | instskip(NEXT) | instid1(VALU_DEP_2)
	v_add_co_u32 v16, vcc_lo, v24, v16
	v_add_co_ci_u32_e32 v17, vcc_lo, v23, v17, vcc_lo
	flat_load_b64 v[16:17], v[16:17]
	s_waitcnt vmcnt(0) lgkmcnt(0)
	v_mul_f64 v[16:17], v[16:17], s[10:11]
	s_branch .LBB127_197
.LBB127_196:
	v_mov_b32_e32 v16, 0
	v_mov_b32_e32 v17, 0
.LBB127_197:
	s_delay_alu instid0(VALU_DEP_1) | instskip(SKIP_2) | instid1(VALU_DEP_1)
	v_cvt_f32_f64_e32 v16, v[16:17]
	v_max_f32_e32 v17, v79, v79
	v_lshlrev_b64 v[25:26], 3, v[2:3]
	v_add_co_u32 v25, vcc_lo, v22, v25
	s_delay_alu instid0(VALU_DEP_2) | instskip(NEXT) | instid1(VALU_DEP_4)
	v_add_co_ci_u32_e32 v26, vcc_lo, v21, v26, vcc_lo
	v_min_f32_e32 v16, v16, v17
	s_delay_alu instid0(VALU_DEP_1) | instskip(SKIP_4) | instid1(SALU_CYCLE_1)
	v_cvt_f64_f32_e32 v[16:17], v16
	global_store_b64 v[25:26], v[16:17], off
	v_mov_b32_e32 v26, v20
	s_or_b32 exec_lo, exec_lo, s15
	s_and_b32 s16, s2, s8
	s_and_saveexec_b32 s15, s16
	s_cbranch_execz .LBB127_185
.LBB127_198:
	v_cmp_ne_u32_e32 vcc_lo, 1, v18
	v_mov_b32_e32 v20, v26
	s_cbranch_vccnz .LBB127_200
; %bb.199:
	v_lshlrev_b64 v[16:17], 3, v[4:5]
	s_delay_alu instid0(VALU_DEP_1) | instskip(NEXT) | instid1(VALU_DEP_2)
	v_add_co_u32 v16, vcc_lo, v24, v16
	v_add_co_ci_u32_e32 v17, vcc_lo, v23, v17, vcc_lo
	flat_load_b64 v[16:17], v[16:17]
	s_waitcnt vmcnt(0) lgkmcnt(0)
	v_mul_f64 v[16:17], v[16:17], s[10:11]
	s_branch .LBB127_201
.LBB127_200:
	v_mov_b32_e32 v16, 0
	v_mov_b32_e32 v17, 0
.LBB127_201:
	s_delay_alu instid0(VALU_DEP_1) | instskip(SKIP_2) | instid1(VALU_DEP_1)
	v_cvt_f32_f64_e32 v16, v[16:17]
	v_max_f32_e32 v17, v78, v78
	v_lshlrev_b64 v[25:26], 3, v[4:5]
	v_add_co_u32 v25, vcc_lo, v22, v25
	s_delay_alu instid0(VALU_DEP_2) | instskip(NEXT) | instid1(VALU_DEP_4)
	v_add_co_ci_u32_e32 v26, vcc_lo, v21, v26, vcc_lo
	v_min_f32_e32 v16, v16, v17
	s_delay_alu instid0(VALU_DEP_1) | instskip(SKIP_4) | instid1(SALU_CYCLE_1)
	v_cvt_f64_f32_e32 v[16:17], v16
	global_store_b64 v[25:26], v[16:17], off
	v_mov_b32_e32 v26, v20
	s_or_b32 exec_lo, exec_lo, s15
	s_and_b32 s16, s3, s8
	s_and_saveexec_b32 s15, s16
	s_cbranch_execz .LBB127_186
.LBB127_202:
	v_cmp_ne_u32_e32 vcc_lo, 1, v18
	v_mov_b32_e32 v20, v26
	s_cbranch_vccnz .LBB127_204
; %bb.203:
	v_lshlrev_b64 v[16:17], 3, v[6:7]
	s_delay_alu instid0(VALU_DEP_1) | instskip(NEXT) | instid1(VALU_DEP_2)
	v_add_co_u32 v16, vcc_lo, v24, v16
	v_add_co_ci_u32_e32 v17, vcc_lo, v23, v17, vcc_lo
	flat_load_b64 v[16:17], v[16:17]
	s_waitcnt vmcnt(0) lgkmcnt(0)
	v_mul_f64 v[16:17], v[16:17], s[10:11]
	s_branch .LBB127_205
.LBB127_204:
	v_mov_b32_e32 v16, 0
	v_mov_b32_e32 v17, 0
.LBB127_205:
	s_delay_alu instid0(VALU_DEP_1) | instskip(SKIP_2) | instid1(VALU_DEP_1)
	v_cvt_f32_f64_e32 v16, v[16:17]
	v_max_f32_e32 v17, v31, v31
	v_lshlrev_b64 v[25:26], 3, v[6:7]
	v_add_co_u32 v25, vcc_lo, v22, v25
	s_delay_alu instid0(VALU_DEP_2) | instskip(NEXT) | instid1(VALU_DEP_4)
	v_add_co_ci_u32_e32 v26, vcc_lo, v21, v26, vcc_lo
	v_min_f32_e32 v16, v16, v17
	s_delay_alu instid0(VALU_DEP_1) | instskip(SKIP_4) | instid1(SALU_CYCLE_1)
	v_cvt_f64_f32_e32 v[16:17], v16
	global_store_b64 v[25:26], v[16:17], off
	v_mov_b32_e32 v26, v20
	s_or_b32 exec_lo, exec_lo, s15
	s_and_b32 s16, s4, s8
	s_and_saveexec_b32 s15, s16
	s_cbranch_execz .LBB127_187
.LBB127_206:
	v_cmp_ne_u32_e32 vcc_lo, 1, v18
	v_mov_b32_e32 v20, v26
	s_cbranch_vccnz .LBB127_208
; %bb.207:
	v_lshlrev_b64 v[16:17], 3, v[8:9]
	s_delay_alu instid0(VALU_DEP_1) | instskip(NEXT) | instid1(VALU_DEP_2)
	v_add_co_u32 v16, vcc_lo, v24, v16
	v_add_co_ci_u32_e32 v17, vcc_lo, v23, v17, vcc_lo
	flat_load_b64 v[16:17], v[16:17]
	s_waitcnt vmcnt(0) lgkmcnt(0)
	v_mul_f64 v[16:17], v[16:17], s[10:11]
	s_branch .LBB127_209
.LBB127_208:
	v_mov_b32_e32 v16, 0
	v_mov_b32_e32 v17, 0
.LBB127_209:
	s_delay_alu instid0(VALU_DEP_1) | instskip(SKIP_2) | instid1(VALU_DEP_1)
	v_cvt_f32_f64_e32 v16, v[16:17]
	v_max_f32_e32 v17, v54, v54
	v_lshlrev_b64 v[25:26], 3, v[8:9]
	v_add_co_u32 v25, vcc_lo, v22, v25
	s_delay_alu instid0(VALU_DEP_2) | instskip(NEXT) | instid1(VALU_DEP_4)
	v_add_co_ci_u32_e32 v26, vcc_lo, v21, v26, vcc_lo
	v_min_f32_e32 v16, v16, v17
	s_delay_alu instid0(VALU_DEP_1) | instskip(SKIP_4) | instid1(SALU_CYCLE_1)
	v_cvt_f64_f32_e32 v[16:17], v16
	global_store_b64 v[25:26], v[16:17], off
	v_mov_b32_e32 v26, v20
	s_or_b32 exec_lo, exec_lo, s15
	s_and_b32 s16, s5, s8
	s_and_saveexec_b32 s15, s16
	s_cbranch_execz .LBB127_188
.LBB127_210:
	v_cmp_ne_u32_e32 vcc_lo, 1, v18
	v_mov_b32_e32 v20, v26
	s_cbranch_vccnz .LBB127_212
; %bb.211:
	v_lshlrev_b64 v[16:17], 3, v[10:11]
	s_delay_alu instid0(VALU_DEP_1) | instskip(NEXT) | instid1(VALU_DEP_2)
	v_add_co_u32 v16, vcc_lo, v24, v16
	v_add_co_ci_u32_e32 v17, vcc_lo, v23, v17, vcc_lo
	flat_load_b64 v[16:17], v[16:17]
	s_waitcnt vmcnt(0) lgkmcnt(0)
	v_mul_f64 v[16:17], v[16:17], s[10:11]
	s_branch .LBB127_213
.LBB127_212:
	v_mov_b32_e32 v16, 0
	v_mov_b32_e32 v17, 0
.LBB127_213:
	s_delay_alu instid0(VALU_DEP_1) | instskip(SKIP_2) | instid1(VALU_DEP_1)
	v_cvt_f32_f64_e32 v16, v[16:17]
	v_max_f32_e32 v17, v205, v205
	v_lshlrev_b64 v[25:26], 3, v[10:11]
	v_add_co_u32 v25, vcc_lo, v22, v25
	s_delay_alu instid0(VALU_DEP_2) | instskip(NEXT) | instid1(VALU_DEP_4)
	v_add_co_ci_u32_e32 v26, vcc_lo, v21, v26, vcc_lo
	v_min_f32_e32 v16, v16, v17
	s_delay_alu instid0(VALU_DEP_1) | instskip(SKIP_4) | instid1(SALU_CYCLE_1)
	v_cvt_f64_f32_e32 v[16:17], v16
	global_store_b64 v[25:26], v[16:17], off
	v_mov_b32_e32 v26, v20
	s_or_b32 exec_lo, exec_lo, s15
	s_and_b32 s16, s6, s8
	s_and_saveexec_b32 s15, s16
	s_cbranch_execz .LBB127_189
.LBB127_214:
	v_cmp_ne_u32_e32 vcc_lo, 1, v18
	v_mov_b32_e32 v20, v26
	s_cbranch_vccnz .LBB127_216
; %bb.215:
	v_lshlrev_b64 v[16:17], 3, v[12:13]
	s_delay_alu instid0(VALU_DEP_1) | instskip(NEXT) | instid1(VALU_DEP_2)
	v_add_co_u32 v16, vcc_lo, v24, v16
	v_add_co_ci_u32_e32 v17, vcc_lo, v23, v17, vcc_lo
	flat_load_b64 v[16:17], v[16:17]
	s_waitcnt vmcnt(0) lgkmcnt(0)
	v_mul_f64 v[16:17], v[16:17], s[10:11]
	s_branch .LBB127_217
.LBB127_216:
	v_mov_b32_e32 v16, 0
	v_mov_b32_e32 v17, 0
.LBB127_217:
	s_delay_alu instid0(VALU_DEP_1) | instskip(SKIP_2) | instid1(VALU_DEP_1)
	v_cvt_f32_f64_e32 v16, v[16:17]
	v_max_f32_e32 v17, v63, v63
	v_lshlrev_b64 v[25:26], 3, v[12:13]
	v_add_co_u32 v25, vcc_lo, v22, v25
	s_delay_alu instid0(VALU_DEP_2) | instskip(NEXT) | instid1(VALU_DEP_4)
	v_add_co_ci_u32_e32 v26, vcc_lo, v21, v26, vcc_lo
	v_min_f32_e32 v16, v16, v17
	s_delay_alu instid0(VALU_DEP_1) | instskip(SKIP_4) | instid1(SALU_CYCLE_1)
	v_cvt_f64_f32_e32 v[16:17], v16
	global_store_b64 v[25:26], v[16:17], off
	v_mov_b32_e32 v26, v20
	s_or_b32 exec_lo, exec_lo, s15
	s_and_b32 s15, s7, s8
	s_and_saveexec_b32 s8, s15
	s_cbranch_execz .LBB127_222
.LBB127_218:
	v_cmp_ne_u32_e32 vcc_lo, 1, v18
	s_cbranch_vccnz .LBB127_220
; %bb.219:
	v_lshlrev_b64 v[16:17], 3, v[14:15]
	s_delay_alu instid0(VALU_DEP_1) | instskip(NEXT) | instid1(VALU_DEP_2)
	v_add_co_u32 v16, vcc_lo, v24, v16
	v_add_co_ci_u32_e32 v17, vcc_lo, v23, v17, vcc_lo
	flat_load_b64 v[16:17], v[16:17]
	s_waitcnt vmcnt(0) lgkmcnt(0)
	v_mul_f64 v[16:17], v[16:17], s[10:11]
	s_branch .LBB127_221
.LBB127_220:
	v_mov_b32_e32 v16, 0
	v_mov_b32_e32 v17, 0
.LBB127_221:
	s_delay_alu instid0(VALU_DEP_1) | instskip(SKIP_2) | instid1(VALU_DEP_1)
	v_cvt_f32_f64_e32 v16, v[16:17]
	v_max_f32_e32 v17, v26, v26
	v_lshlrev_b64 v[23:24], 3, v[14:15]
	v_add_co_u32 v20, vcc_lo, v22, v23
	s_delay_alu instid0(VALU_DEP_2) | instskip(NEXT) | instid1(VALU_DEP_4)
	v_add_co_ci_u32_e32 v21, vcc_lo, v21, v24, vcc_lo
	v_min_f32_e32 v16, v16, v17
	s_delay_alu instid0(VALU_DEP_1)
	v_cvt_f64_f32_e32 v[16:17], v16
	global_store_b64 v[20:21], v[16:17], off
.LBB127_222:
	s_or_b32 exec_lo, exec_lo, s8
	v_add_nc_u32_e32 v22, 0x80, v19
	s_delay_alu instid0(VALU_DEP_1) | instskip(SKIP_2) | instid1(VALU_DEP_3)
	v_mad_i64_i32 v[16:17], null, v22, s18, 0
	v_mad_i64_i32 v[20:21], null, v22, s9, 0
	v_cmp_gt_i32_e64 s8, s17, v22
	v_lshlrev_b64 v[16:17], 3, v[16:17]
	s_delay_alu instid0(VALU_DEP_2) | instskip(NEXT) | instid1(VALU_DEP_3)
	s_and_b32 s16, s0, s8
	v_lshlrev_b64 v[20:21], 3, v[20:21]
	s_delay_alu instid0(VALU_DEP_2) | instskip(NEXT) | instid1(VALU_DEP_3)
	v_add_co_u32 v24, vcc_lo, s12, v16
	v_add_co_ci_u32_e32 v23, vcc_lo, s13, v17, vcc_lo
	s_delay_alu instid0(VALU_DEP_3) | instskip(NEXT) | instid1(VALU_DEP_4)
	v_add_co_u32 v22, vcc_lo, s14, v20
	v_add_co_ci_u32_e32 v21, vcc_lo, s19, v21, vcc_lo
	s_and_saveexec_b32 s15, s16
	s_cbranch_execnz .LBB127_230
; %bb.223:
	s_or_b32 exec_lo, exec_lo, s15
	s_and_b32 s16, s1, s8
	s_delay_alu instid0(SALU_CYCLE_1)
	s_and_saveexec_b32 s15, s16
	s_cbranch_execnz .LBB127_234
.LBB127_224:
	s_or_b32 exec_lo, exec_lo, s15
	s_and_b32 s16, s2, s8
	s_delay_alu instid0(SALU_CYCLE_1)
	s_and_saveexec_b32 s15, s16
	s_cbranch_execnz .LBB127_238
.LBB127_225:
	s_or_b32 exec_lo, exec_lo, s15
	s_and_b32 s16, s3, s8
	s_delay_alu instid0(SALU_CYCLE_1)
	s_and_saveexec_b32 s15, s16
	s_cbranch_execnz .LBB127_242
.LBB127_226:
	s_or_b32 exec_lo, exec_lo, s15
	s_and_b32 s16, s4, s8
	s_delay_alu instid0(SALU_CYCLE_1)
	s_and_saveexec_b32 s15, s16
	s_cbranch_execnz .LBB127_246
.LBB127_227:
	s_or_b32 exec_lo, exec_lo, s15
	s_and_b32 s16, s5, s8
	s_delay_alu instid0(SALU_CYCLE_1)
	s_and_saveexec_b32 s15, s16
	s_cbranch_execnz .LBB127_250
.LBB127_228:
	s_or_b32 exec_lo, exec_lo, s15
	s_and_b32 s16, s6, s8
	s_delay_alu instid0(SALU_CYCLE_1)
	s_and_saveexec_b32 s15, s16
	s_cbranch_execnz .LBB127_254
.LBB127_229:
	s_or_b32 exec_lo, exec_lo, s15
	s_and_b32 s15, s7, s8
	s_delay_alu instid0(SALU_CYCLE_1)
	s_and_saveexec_b32 s8, s15
	s_cbranch_execnz .LBB127_258
	s_branch .LBB127_262
.LBB127_230:
	v_cmp_ne_u32_e32 vcc_lo, 1, v18
	s_cbranch_vccnz .LBB127_232
; %bb.231:
	v_lshlrev_b64 v[16:17], 3, v[0:1]
	s_delay_alu instid0(VALU_DEP_1) | instskip(NEXT) | instid1(VALU_DEP_2)
	v_add_co_u32 v16, vcc_lo, v24, v16
	v_add_co_ci_u32_e32 v17, vcc_lo, v23, v17, vcc_lo
	flat_load_b64 v[16:17], v[16:17]
	s_waitcnt vmcnt(0) lgkmcnt(0)
	v_mul_f64 v[16:17], v[16:17], s[10:11]
	s_branch .LBB127_233
.LBB127_232:
	v_mov_b32_e32 v16, 0
	v_mov_b32_e32 v17, 0
.LBB127_233:
	s_delay_alu instid0(VALU_DEP_1) | instskip(SKIP_2) | instid1(VALU_DEP_1)
	v_cvt_f32_f64_e32 v16, v[16:17]
	v_max_f32_e32 v17, v27, v27
	v_lshlrev_b64 v[25:26], 3, v[0:1]
	v_add_co_u32 v25, vcc_lo, v22, v25
	s_delay_alu instid0(VALU_DEP_2) | instskip(NEXT) | instid1(VALU_DEP_4)
	v_add_co_ci_u32_e32 v26, vcc_lo, v21, v26, vcc_lo
	v_min_f32_e32 v16, v16, v17
	s_delay_alu instid0(VALU_DEP_1) | instskip(SKIP_3) | instid1(SALU_CYCLE_1)
	v_cvt_f64_f32_e32 v[16:17], v16
	global_store_b64 v[25:26], v[16:17], off
	s_or_b32 exec_lo, exec_lo, s15
	s_and_b32 s16, s1, s8
	s_and_saveexec_b32 s15, s16
	s_cbranch_execz .LBB127_224
.LBB127_234:
	v_cmp_ne_u32_e32 vcc_lo, 1, v18
	s_cbranch_vccnz .LBB127_236
; %bb.235:
	v_lshlrev_b64 v[16:17], 3, v[2:3]
	s_delay_alu instid0(VALU_DEP_1) | instskip(NEXT) | instid1(VALU_DEP_2)
	v_add_co_u32 v16, vcc_lo, v24, v16
	v_add_co_ci_u32_e32 v17, vcc_lo, v23, v17, vcc_lo
	flat_load_b64 v[16:17], v[16:17]
	s_waitcnt vmcnt(0) lgkmcnt(0)
	v_mul_f64 v[16:17], v[16:17], s[10:11]
	s_branch .LBB127_237
.LBB127_236:
	v_mov_b32_e32 v16, 0
	v_mov_b32_e32 v17, 0
.LBB127_237:
	s_delay_alu instid0(VALU_DEP_1) | instskip(SKIP_2) | instid1(VALU_DEP_1)
	v_cvt_f32_f64_e32 v16, v[16:17]
	v_max_f32_e32 v17, v139, v139
	v_lshlrev_b64 v[25:26], 3, v[2:3]
	v_add_co_u32 v25, vcc_lo, v22, v25
	s_delay_alu instid0(VALU_DEP_2) | instskip(NEXT) | instid1(VALU_DEP_4)
	v_add_co_ci_u32_e32 v26, vcc_lo, v21, v26, vcc_lo
	v_min_f32_e32 v16, v16, v17
	s_delay_alu instid0(VALU_DEP_1) | instskip(SKIP_3) | instid1(SALU_CYCLE_1)
	v_cvt_f64_f32_e32 v[16:17], v16
	global_store_b64 v[25:26], v[16:17], off
	s_or_b32 exec_lo, exec_lo, s15
	s_and_b32 s16, s2, s8
	s_and_saveexec_b32 s15, s16
	s_cbranch_execz .LBB127_225
.LBB127_238:
	v_cmp_ne_u32_e32 vcc_lo, 1, v18
	s_cbranch_vccnz .LBB127_240
; %bb.239:
	v_lshlrev_b64 v[16:17], 3, v[4:5]
	s_delay_alu instid0(VALU_DEP_1) | instskip(NEXT) | instid1(VALU_DEP_2)
	v_add_co_u32 v16, vcc_lo, v24, v16
	v_add_co_ci_u32_e32 v17, vcc_lo, v23, v17, vcc_lo
	flat_load_b64 v[16:17], v[16:17]
	s_waitcnt vmcnt(0) lgkmcnt(0)
	v_mul_f64 v[16:17], v[16:17], s[10:11]
	s_branch .LBB127_241
.LBB127_240:
	v_mov_b32_e32 v16, 0
	v_mov_b32_e32 v17, 0
.LBB127_241:
	s_delay_alu instid0(VALU_DEP_1) | instskip(SKIP_2) | instid1(VALU_DEP_1)
	v_cvt_f32_f64_e32 v16, v[16:17]
	v_max_f32_e32 v17, v45, v45
	v_lshlrev_b64 v[25:26], 3, v[4:5]
	v_add_co_u32 v25, vcc_lo, v22, v25
	s_delay_alu instid0(VALU_DEP_2) | instskip(NEXT) | instid1(VALU_DEP_4)
	v_add_co_ci_u32_e32 v26, vcc_lo, v21, v26, vcc_lo
	v_min_f32_e32 v16, v16, v17
	s_delay_alu instid0(VALU_DEP_1) | instskip(SKIP_3) | instid1(SALU_CYCLE_1)
	v_cvt_f64_f32_e32 v[16:17], v16
	global_store_b64 v[25:26], v[16:17], off
	s_or_b32 exec_lo, exec_lo, s15
	s_and_b32 s16, s3, s8
	s_and_saveexec_b32 s15, s16
	s_cbranch_execz .LBB127_226
.LBB127_242:
	v_cmp_ne_u32_e32 vcc_lo, 1, v18
	s_cbranch_vccnz .LBB127_244
; %bb.243:
	v_lshlrev_b64 v[16:17], 3, v[6:7]
	s_delay_alu instid0(VALU_DEP_1) | instskip(NEXT) | instid1(VALU_DEP_2)
	v_add_co_u32 v16, vcc_lo, v24, v16
	v_add_co_ci_u32_e32 v17, vcc_lo, v23, v17, vcc_lo
	flat_load_b64 v[16:17], v[16:17]
	s_waitcnt vmcnt(0) lgkmcnt(0)
	v_mul_f64 v[16:17], v[16:17], s[10:11]
	s_branch .LBB127_245
.LBB127_244:
	v_mov_b32_e32 v16, 0
	v_mov_b32_e32 v17, 0
.LBB127_245:
	s_delay_alu instid0(VALU_DEP_1) | instskip(SKIP_2) | instid1(VALU_DEP_1)
	v_cvt_f32_f64_e32 v16, v[16:17]
	v_max_f32_e32 v17, v138, v138
	v_lshlrev_b64 v[25:26], 3, v[6:7]
	v_add_co_u32 v25, vcc_lo, v22, v25
	s_delay_alu instid0(VALU_DEP_2) | instskip(NEXT) | instid1(VALU_DEP_4)
	v_add_co_ci_u32_e32 v26, vcc_lo, v21, v26, vcc_lo
	v_min_f32_e32 v16, v16, v17
	s_delay_alu instid0(VALU_DEP_1) | instskip(SKIP_3) | instid1(SALU_CYCLE_1)
	v_cvt_f64_f32_e32 v[16:17], v16
	global_store_b64 v[25:26], v[16:17], off
	s_or_b32 exec_lo, exec_lo, s15
	s_and_b32 s16, s4, s8
	s_and_saveexec_b32 s15, s16
	s_cbranch_execz .LBB127_227
.LBB127_246:
	v_cmp_ne_u32_e32 vcc_lo, 1, v18
	s_cbranch_vccnz .LBB127_248
; %bb.247:
	v_lshlrev_b64 v[16:17], 3, v[8:9]
	s_delay_alu instid0(VALU_DEP_1) | instskip(NEXT) | instid1(VALU_DEP_2)
	v_add_co_u32 v16, vcc_lo, v24, v16
	v_add_co_ci_u32_e32 v17, vcc_lo, v23, v17, vcc_lo
	flat_load_b64 v[16:17], v[16:17]
	s_waitcnt vmcnt(0) lgkmcnt(0)
	v_mul_f64 v[16:17], v[16:17], s[10:11]
	s_branch .LBB127_249
.LBB127_248:
	v_mov_b32_e32 v16, 0
	v_mov_b32_e32 v17, 0
.LBB127_249:
	s_delay_alu instid0(VALU_DEP_1) | instskip(SKIP_2) | instid1(VALU_DEP_1)
	v_cvt_f32_f64_e32 v16, v[16:17]
	v_max_f32_e32 v17, v136, v136
	v_lshlrev_b64 v[25:26], 3, v[8:9]
	v_add_co_u32 v25, vcc_lo, v22, v25
	s_delay_alu instid0(VALU_DEP_2) | instskip(NEXT) | instid1(VALU_DEP_4)
	v_add_co_ci_u32_e32 v26, vcc_lo, v21, v26, vcc_lo
	v_min_f32_e32 v16, v16, v17
	s_delay_alu instid0(VALU_DEP_1) | instskip(SKIP_3) | instid1(SALU_CYCLE_1)
	v_cvt_f64_f32_e32 v[16:17], v16
	global_store_b64 v[25:26], v[16:17], off
	s_or_b32 exec_lo, exec_lo, s15
	s_and_b32 s16, s5, s8
	s_and_saveexec_b32 s15, s16
	s_cbranch_execz .LBB127_228
.LBB127_250:
	v_cmp_ne_u32_e32 vcc_lo, 1, v18
	s_cbranch_vccnz .LBB127_252
; %bb.251:
	v_lshlrev_b64 v[16:17], 3, v[10:11]
	s_delay_alu instid0(VALU_DEP_1) | instskip(NEXT) | instid1(VALU_DEP_2)
	v_add_co_u32 v16, vcc_lo, v24, v16
	v_add_co_ci_u32_e32 v17, vcc_lo, v23, v17, vcc_lo
	flat_load_b64 v[16:17], v[16:17]
	s_waitcnt vmcnt(0) lgkmcnt(0)
	v_mul_f64 v[16:17], v[16:17], s[10:11]
	s_branch .LBB127_253
.LBB127_252:
	v_mov_b32_e32 v16, 0
	v_mov_b32_e32 v17, 0
.LBB127_253:
	s_delay_alu instid0(VALU_DEP_1) | instskip(SKIP_2) | instid1(VALU_DEP_1)
	v_cvt_f32_f64_e32 v16, v[16:17]
	v_max_f32_e32 v17, v42, v42
	v_lshlrev_b64 v[25:26], 3, v[10:11]
	v_add_co_u32 v25, vcc_lo, v22, v25
	s_delay_alu instid0(VALU_DEP_2) | instskip(NEXT) | instid1(VALU_DEP_4)
	v_add_co_ci_u32_e32 v26, vcc_lo, v21, v26, vcc_lo
	v_min_f32_e32 v16, v16, v17
	s_delay_alu instid0(VALU_DEP_1) | instskip(SKIP_3) | instid1(SALU_CYCLE_1)
	v_cvt_f64_f32_e32 v[16:17], v16
	global_store_b64 v[25:26], v[16:17], off
	s_or_b32 exec_lo, exec_lo, s15
	s_and_b32 s16, s6, s8
	s_and_saveexec_b32 s15, s16
	s_cbranch_execz .LBB127_229
.LBB127_254:
	v_cmp_ne_u32_e32 vcc_lo, 1, v18
	s_cbranch_vccnz .LBB127_256
; %bb.255:
	v_lshlrev_b64 v[16:17], 3, v[12:13]
	s_delay_alu instid0(VALU_DEP_1) | instskip(NEXT) | instid1(VALU_DEP_2)
	v_add_co_u32 v16, vcc_lo, v24, v16
	v_add_co_ci_u32_e32 v17, vcc_lo, v23, v17, vcc_lo
	flat_load_b64 v[16:17], v[16:17]
	s_waitcnt vmcnt(0) lgkmcnt(0)
	v_mul_f64 v[16:17], v[16:17], s[10:11]
	s_branch .LBB127_257
.LBB127_256:
	v_mov_b32_e32 v16, 0
	v_mov_b32_e32 v17, 0
.LBB127_257:
	s_delay_alu instid0(VALU_DEP_1) | instskip(SKIP_2) | instid1(VALU_DEP_1)
	v_cvt_f32_f64_e32 v16, v[16:17]
	v_max_f32_e32 v17, v135, v135
	v_lshlrev_b64 v[25:26], 3, v[12:13]
	v_add_co_u32 v25, vcc_lo, v22, v25
	s_delay_alu instid0(VALU_DEP_2) | instskip(NEXT) | instid1(VALU_DEP_4)
	v_add_co_ci_u32_e32 v26, vcc_lo, v21, v26, vcc_lo
	v_min_f32_e32 v16, v16, v17
	s_delay_alu instid0(VALU_DEP_1) | instskip(SKIP_3) | instid1(SALU_CYCLE_1)
	v_cvt_f64_f32_e32 v[16:17], v16
	global_store_b64 v[25:26], v[16:17], off
	s_or_b32 exec_lo, exec_lo, s15
	s_and_b32 s15, s7, s8
	s_and_saveexec_b32 s8, s15
	s_cbranch_execz .LBB127_262
.LBB127_258:
	v_cmp_ne_u32_e32 vcc_lo, 1, v18
	s_cbranch_vccnz .LBB127_260
; %bb.259:
	v_lshlrev_b64 v[16:17], 3, v[14:15]
	s_delay_alu instid0(VALU_DEP_1) | instskip(NEXT) | instid1(VALU_DEP_2)
	v_add_co_u32 v16, vcc_lo, v24, v16
	v_add_co_ci_u32_e32 v17, vcc_lo, v23, v17, vcc_lo
	flat_load_b64 v[16:17], v[16:17]
	s_waitcnt vmcnt(0) lgkmcnt(0)
	v_mul_f64 v[16:17], v[16:17], s[10:11]
	s_branch .LBB127_261
.LBB127_260:
	v_mov_b32_e32 v16, 0
	v_mov_b32_e32 v17, 0
.LBB127_261:
	s_delay_alu instid0(VALU_DEP_1) | instskip(SKIP_2) | instid1(VALU_DEP_1)
	v_cvt_f32_f64_e32 v16, v[16:17]
	v_max_f32_e32 v17, v110, v110
	v_lshlrev_b64 v[23:24], 3, v[14:15]
	v_add_co_u32 v20, vcc_lo, v22, v23
	s_delay_alu instid0(VALU_DEP_2) | instskip(NEXT) | instid1(VALU_DEP_4)
	v_add_co_ci_u32_e32 v21, vcc_lo, v21, v24, vcc_lo
	v_min_f32_e32 v16, v16, v17
	s_delay_alu instid0(VALU_DEP_1)
	v_cvt_f64_f32_e32 v[16:17], v16
	global_store_b64 v[20:21], v[16:17], off
.LBB127_262:
	s_or_b32 exec_lo, exec_lo, s8
	v_add_nc_u32_e32 v22, 0xa0, v19
	s_delay_alu instid0(VALU_DEP_1) | instskip(SKIP_2) | instid1(VALU_DEP_3)
	v_mad_i64_i32 v[16:17], null, v22, s18, 0
	v_mad_i64_i32 v[20:21], null, v22, s9, 0
	v_cmp_gt_i32_e64 s8, s17, v22
	v_lshlrev_b64 v[16:17], 3, v[16:17]
	s_delay_alu instid0(VALU_DEP_2) | instskip(NEXT) | instid1(VALU_DEP_3)
	s_and_b32 s16, s0, s8
	v_lshlrev_b64 v[20:21], 3, v[20:21]
	s_delay_alu instid0(VALU_DEP_2) | instskip(NEXT) | instid1(VALU_DEP_3)
	v_add_co_u32 v24, vcc_lo, s12, v16
	v_add_co_ci_u32_e32 v23, vcc_lo, s13, v17, vcc_lo
	s_delay_alu instid0(VALU_DEP_3) | instskip(NEXT) | instid1(VALU_DEP_4)
	v_add_co_u32 v20, vcc_lo, s14, v20
	v_add_co_ci_u32_e32 v21, vcc_lo, s19, v21, vcc_lo
	s_and_saveexec_b32 s15, s16
	s_cbranch_execnz .LBB127_270
; %bb.263:
	s_or_b32 exec_lo, exec_lo, s15
	s_and_b32 s16, s1, s8
	s_delay_alu instid0(SALU_CYCLE_1)
	s_and_saveexec_b32 s15, s16
	s_cbranch_execnz .LBB127_274
.LBB127_264:
	s_or_b32 exec_lo, exec_lo, s15
	s_and_b32 s16, s2, s8
	s_delay_alu instid0(SALU_CYCLE_1)
	s_and_saveexec_b32 s15, s16
	s_cbranch_execnz .LBB127_278
.LBB127_265:
	s_or_b32 exec_lo, exec_lo, s15
	s_and_b32 s16, s3, s8
	s_delay_alu instid0(SALU_CYCLE_1)
	s_and_saveexec_b32 s15, s16
	s_cbranch_execnz .LBB127_282
.LBB127_266:
	s_or_b32 exec_lo, exec_lo, s15
	s_and_b32 s16, s4, s8
	s_delay_alu instid0(SALU_CYCLE_1)
	s_and_saveexec_b32 s15, s16
	s_cbranch_execnz .LBB127_286
.LBB127_267:
	s_or_b32 exec_lo, exec_lo, s15
	s_and_b32 s16, s5, s8
	s_delay_alu instid0(SALU_CYCLE_1)
	s_and_saveexec_b32 s15, s16
	s_cbranch_execnz .LBB127_290
.LBB127_268:
	s_or_b32 exec_lo, exec_lo, s15
	s_and_b32 s16, s6, s8
	s_delay_alu instid0(SALU_CYCLE_1)
	s_and_saveexec_b32 s15, s16
	s_cbranch_execnz .LBB127_294
.LBB127_269:
	s_or_b32 exec_lo, exec_lo, s15
	s_and_b32 s15, s7, s8
	s_delay_alu instid0(SALU_CYCLE_1)
	s_and_saveexec_b32 s8, s15
	s_cbranch_execnz .LBB127_298
	s_branch .LBB127_302
.LBB127_270:
	v_cmp_ne_u32_e32 vcc_lo, 1, v18
	s_cbranch_vccnz .LBB127_272
; %bb.271:
	v_lshlrev_b64 v[16:17], 3, v[0:1]
	s_delay_alu instid0(VALU_DEP_1) | instskip(NEXT) | instid1(VALU_DEP_2)
	v_add_co_u32 v16, vcc_lo, v24, v16
	v_add_co_ci_u32_e32 v17, vcc_lo, v23, v17, vcc_lo
	flat_load_b64 v[16:17], v[16:17]
	s_waitcnt vmcnt(0) lgkmcnt(0)
	v_mul_f64 v[16:17], v[16:17], s[10:11]
	s_branch .LBB127_273
.LBB127_272:
	v_mov_b32_e32 v16, 0
	v_mov_b32_e32 v17, 0
.LBB127_273:
	s_delay_alu instid0(VALU_DEP_1) | instskip(SKIP_2) | instid1(VALU_DEP_1)
	v_cvt_f32_f64_e32 v16, v[16:17]
	v_max_f32_e32 v17, v118, v118
	v_lshlrev_b64 v[25:26], 3, v[0:1]
	v_add_co_u32 v25, vcc_lo, v20, v25
	s_delay_alu instid0(VALU_DEP_2) | instskip(NEXT) | instid1(VALU_DEP_4)
	v_add_co_ci_u32_e32 v26, vcc_lo, v21, v26, vcc_lo
	v_min_f32_e32 v16, v16, v17
	s_delay_alu instid0(VALU_DEP_1) | instskip(SKIP_3) | instid1(SALU_CYCLE_1)
	v_cvt_f64_f32_e32 v[16:17], v16
	global_store_b64 v[25:26], v[16:17], off
	s_or_b32 exec_lo, exec_lo, s15
	s_and_b32 s16, s1, s8
	s_and_saveexec_b32 s15, s16
	s_cbranch_execz .LBB127_264
.LBB127_274:
	v_cmp_ne_u32_e32 vcc_lo, 1, v18
	s_cbranch_vccnz .LBB127_276
; %bb.275:
	v_lshlrev_b64 v[16:17], 3, v[2:3]
	s_delay_alu instid0(VALU_DEP_1) | instskip(NEXT) | instid1(VALU_DEP_2)
	v_add_co_u32 v16, vcc_lo, v24, v16
	v_add_co_ci_u32_e32 v17, vcc_lo, v23, v17, vcc_lo
	flat_load_b64 v[16:17], v[16:17]
	s_waitcnt vmcnt(0) lgkmcnt(0)
	v_mul_f64 v[16:17], v[16:17], s[10:11]
	s_branch .LBB127_277
.LBB127_276:
	v_mov_b32_e32 v16, 0
	v_mov_b32_e32 v17, 0
.LBB127_277:
	s_delay_alu instid0(VALU_DEP_1) | instskip(SKIP_2) | instid1(VALU_DEP_1)
	v_cvt_f32_f64_e32 v16, v[16:17]
	v_max_f32_e32 v17, v212, v212
	v_lshlrev_b64 v[25:26], 3, v[2:3]
	v_add_co_u32 v25, vcc_lo, v20, v25
	s_delay_alu instid0(VALU_DEP_2) | instskip(NEXT) | instid1(VALU_DEP_4)
	v_add_co_ci_u32_e32 v26, vcc_lo, v21, v26, vcc_lo
	v_min_f32_e32 v16, v16, v17
	s_delay_alu instid0(VALU_DEP_1) | instskip(SKIP_3) | instid1(SALU_CYCLE_1)
	v_cvt_f64_f32_e32 v[16:17], v16
	global_store_b64 v[25:26], v[16:17], off
	s_or_b32 exec_lo, exec_lo, s15
	s_and_b32 s16, s2, s8
	s_and_saveexec_b32 s15, s16
	s_cbranch_execz .LBB127_265
.LBB127_278:
	v_cmp_ne_u32_e32 vcc_lo, 1, v18
	s_cbranch_vccnz .LBB127_280
; %bb.279:
	v_lshlrev_b64 v[16:17], 3, v[4:5]
	s_delay_alu instid0(VALU_DEP_1) | instskip(NEXT) | instid1(VALU_DEP_2)
	v_add_co_u32 v16, vcc_lo, v24, v16
	v_add_co_ci_u32_e32 v17, vcc_lo, v23, v17, vcc_lo
	flat_load_b64 v[16:17], v[16:17]
	s_waitcnt vmcnt(0) lgkmcnt(0)
	v_mul_f64 v[16:17], v[16:17], s[10:11]
	s_branch .LBB127_281
.LBB127_280:
	v_mov_b32_e32 v16, 0
	v_mov_b32_e32 v17, 0
.LBB127_281:
	s_delay_alu instid0(VALU_DEP_1) | instskip(SKIP_2) | instid1(VALU_DEP_1)
	v_cvt_f32_f64_e32 v16, v[16:17]
	v_max_f32_e32 v17, v116, v116
	v_lshlrev_b64 v[25:26], 3, v[4:5]
	v_add_co_u32 v25, vcc_lo, v20, v25
	s_delay_alu instid0(VALU_DEP_2) | instskip(NEXT) | instid1(VALU_DEP_4)
	v_add_co_ci_u32_e32 v26, vcc_lo, v21, v26, vcc_lo
	v_min_f32_e32 v16, v16, v17
	s_delay_alu instid0(VALU_DEP_1) | instskip(SKIP_3) | instid1(SALU_CYCLE_1)
	v_cvt_f64_f32_e32 v[16:17], v16
	global_store_b64 v[25:26], v[16:17], off
	s_or_b32 exec_lo, exec_lo, s15
	s_and_b32 s16, s3, s8
	s_and_saveexec_b32 s15, s16
	s_cbranch_execz .LBB127_266
.LBB127_282:
	v_cmp_ne_u32_e32 vcc_lo, 1, v18
	s_cbranch_vccnz .LBB127_284
; %bb.283:
	v_lshlrev_b64 v[16:17], 3, v[6:7]
	s_delay_alu instid0(VALU_DEP_1) | instskip(NEXT) | instid1(VALU_DEP_2)
	v_add_co_u32 v16, vcc_lo, v24, v16
	v_add_co_ci_u32_e32 v17, vcc_lo, v23, v17, vcc_lo
	flat_load_b64 v[16:17], v[16:17]
	s_waitcnt vmcnt(0) lgkmcnt(0)
	v_mul_f64 v[16:17], v[16:17], s[10:11]
	s_branch .LBB127_285
.LBB127_284:
	v_mov_b32_e32 v16, 0
	v_mov_b32_e32 v17, 0
.LBB127_285:
	s_delay_alu instid0(VALU_DEP_1) | instskip(SKIP_2) | instid1(VALU_DEP_1)
	v_cvt_f32_f64_e32 v16, v[16:17]
	v_max_f32_e32 v17, v55, v55
	v_lshlrev_b64 v[25:26], 3, v[6:7]
	v_add_co_u32 v25, vcc_lo, v20, v25
	s_delay_alu instid0(VALU_DEP_2) | instskip(NEXT) | instid1(VALU_DEP_4)
	v_add_co_ci_u32_e32 v26, vcc_lo, v21, v26, vcc_lo
	v_min_f32_e32 v16, v16, v17
	s_delay_alu instid0(VALU_DEP_1) | instskip(SKIP_3) | instid1(SALU_CYCLE_1)
	v_cvt_f64_f32_e32 v[16:17], v16
	global_store_b64 v[25:26], v[16:17], off
	s_or_b32 exec_lo, exec_lo, s15
	s_and_b32 s16, s4, s8
	s_and_saveexec_b32 s15, s16
	s_cbranch_execz .LBB127_267
.LBB127_286:
	v_cmp_ne_u32_e32 vcc_lo, 1, v18
	s_cbranch_vccnz .LBB127_288
; %bb.287:
	v_lshlrev_b64 v[16:17], 3, v[8:9]
	s_delay_alu instid0(VALU_DEP_1) | instskip(NEXT) | instid1(VALU_DEP_2)
	v_add_co_u32 v16, vcc_lo, v24, v16
	v_add_co_ci_u32_e32 v17, vcc_lo, v23, v17, vcc_lo
	flat_load_b64 v[16:17], v[16:17]
	s_waitcnt vmcnt(0) lgkmcnt(0)
	v_mul_f64 v[16:17], v[16:17], s[10:11]
	s_branch .LBB127_289
.LBB127_288:
	v_mov_b32_e32 v16, 0
	v_mov_b32_e32 v17, 0
.LBB127_289:
	s_delay_alu instid0(VALU_DEP_1) | instskip(SKIP_2) | instid1(VALU_DEP_1)
	v_cvt_f32_f64_e32 v16, v[16:17]
	v_max_f32_e32 v17, v114, v114
	v_lshlrev_b64 v[25:26], 3, v[8:9]
	v_add_co_u32 v25, vcc_lo, v20, v25
	s_delay_alu instid0(VALU_DEP_2) | instskip(NEXT) | instid1(VALU_DEP_4)
	v_add_co_ci_u32_e32 v26, vcc_lo, v21, v26, vcc_lo
	v_min_f32_e32 v16, v16, v17
	s_delay_alu instid0(VALU_DEP_1) | instskip(SKIP_3) | instid1(SALU_CYCLE_1)
	v_cvt_f64_f32_e32 v[16:17], v16
	global_store_b64 v[25:26], v[16:17], off
	s_or_b32 exec_lo, exec_lo, s15
	s_and_b32 s16, s5, s8
	s_and_saveexec_b32 s15, s16
	s_cbranch_execz .LBB127_268
.LBB127_290:
	v_cmp_ne_u32_e32 vcc_lo, 1, v18
	s_cbranch_vccnz .LBB127_292
; %bb.291:
	v_lshlrev_b64 v[16:17], 3, v[10:11]
	s_delay_alu instid0(VALU_DEP_1) | instskip(NEXT) | instid1(VALU_DEP_2)
	v_add_co_u32 v16, vcc_lo, v24, v16
	v_add_co_ci_u32_e32 v17, vcc_lo, v23, v17, vcc_lo
	flat_load_b64 v[16:17], v[16:17]
	s_waitcnt vmcnt(0) lgkmcnt(0)
	v_mul_f64 v[16:17], v[16:17], s[10:11]
	s_branch .LBB127_293
.LBB127_292:
	v_mov_b32_e32 v16, 0
	v_mov_b32_e32 v17, 0
.LBB127_293:
	s_delay_alu instid0(VALU_DEP_1) | instskip(SKIP_2) | instid1(VALU_DEP_1)
	v_cvt_f32_f64_e32 v16, v[16:17]
	v_max_f32_e32 v17, v192, v192
	v_lshlrev_b64 v[25:26], 3, v[10:11]
	v_add_co_u32 v25, vcc_lo, v20, v25
	s_delay_alu instid0(VALU_DEP_2) | instskip(NEXT) | instid1(VALU_DEP_4)
	v_add_co_ci_u32_e32 v26, vcc_lo, v21, v26, vcc_lo
	v_min_f32_e32 v16, v16, v17
	s_delay_alu instid0(VALU_DEP_1) | instskip(SKIP_3) | instid1(SALU_CYCLE_1)
	v_cvt_f64_f32_e32 v[16:17], v16
	global_store_b64 v[25:26], v[16:17], off
	s_or_b32 exec_lo, exec_lo, s15
	s_and_b32 s16, s6, s8
	s_and_saveexec_b32 s15, s16
	s_cbranch_execz .LBB127_269
.LBB127_294:
	v_cmp_ne_u32_e32 vcc_lo, 1, v18
	s_cbranch_vccnz .LBB127_296
; %bb.295:
	v_lshlrev_b64 v[16:17], 3, v[12:13]
	s_delay_alu instid0(VALU_DEP_1) | instskip(NEXT) | instid1(VALU_DEP_2)
	v_add_co_u32 v16, vcc_lo, v24, v16
	v_add_co_ci_u32_e32 v17, vcc_lo, v23, v17, vcc_lo
	flat_load_b64 v[16:17], v[16:17]
	s_waitcnt vmcnt(0) lgkmcnt(0)
	v_mul_f64 v[16:17], v[16:17], s[10:11]
	s_branch .LBB127_297
.LBB127_296:
	v_mov_b32_e32 v16, 0
	v_mov_b32_e32 v17, 0
.LBB127_297:
	s_delay_alu instid0(VALU_DEP_1) | instskip(SKIP_2) | instid1(VALU_DEP_1)
	v_cvt_f32_f64_e32 v16, v[16:17]
	v_max_f32_e32 v17, v53, v53
	v_lshlrev_b64 v[25:26], 3, v[12:13]
	v_add_co_u32 v25, vcc_lo, v20, v25
	s_delay_alu instid0(VALU_DEP_2) | instskip(NEXT) | instid1(VALU_DEP_4)
	v_add_co_ci_u32_e32 v26, vcc_lo, v21, v26, vcc_lo
	v_min_f32_e32 v16, v16, v17
	s_delay_alu instid0(VALU_DEP_1) | instskip(SKIP_3) | instid1(SALU_CYCLE_1)
	v_cvt_f64_f32_e32 v[16:17], v16
	global_store_b64 v[25:26], v[16:17], off
	s_or_b32 exec_lo, exec_lo, s15
	s_and_b32 s15, s7, s8
	s_and_saveexec_b32 s8, s15
	s_cbranch_execz .LBB127_302
.LBB127_298:
	v_cmp_ne_u32_e32 vcc_lo, 1, v18
	s_cbranch_vccnz .LBB127_300
; %bb.299:
	v_lshlrev_b64 v[16:17], 3, v[14:15]
	s_delay_alu instid0(VALU_DEP_1) | instskip(NEXT) | instid1(VALU_DEP_2)
	v_add_co_u32 v16, vcc_lo, v24, v16
	v_add_co_ci_u32_e32 v17, vcc_lo, v23, v17, vcc_lo
	flat_load_b64 v[16:17], v[16:17]
	s_waitcnt vmcnt(0) lgkmcnt(0)
	v_mul_f64 v[16:17], v[16:17], s[10:11]
	s_branch .LBB127_301
.LBB127_300:
	v_mov_b32_e32 v16, 0
	v_mov_b32_e32 v17, 0
.LBB127_301:
	s_delay_alu instid0(VALU_DEP_1) | instskip(SKIP_2) | instid1(VALU_DEP_1)
	v_cvt_f32_f64_e32 v16, v[16:17]
	v_max_f32_e32 v17, v237, v237
	v_lshlrev_b64 v[22:23], 3, v[14:15]
	v_add_co_u32 v20, vcc_lo, v20, v22
	s_delay_alu instid0(VALU_DEP_2) | instskip(NEXT) | instid1(VALU_DEP_4)
	v_add_co_ci_u32_e32 v21, vcc_lo, v21, v23, vcc_lo
	v_min_f32_e32 v16, v16, v17
	s_delay_alu instid0(VALU_DEP_1)
	v_cvt_f64_f32_e32 v[16:17], v16
	global_store_b64 v[20:21], v[16:17], off
.LBB127_302:
	s_or_b32 exec_lo, exec_lo, s8
	v_add_nc_u32_e32 v22, 0xc0, v19
	s_delay_alu instid0(VALU_DEP_1) | instskip(SKIP_2) | instid1(VALU_DEP_3)
	v_mad_i64_i32 v[16:17], null, v22, s18, 0
	v_mad_i64_i32 v[20:21], null, v22, s9, 0
	v_cmp_gt_i32_e64 s8, s17, v22
	v_lshlrev_b64 v[16:17], 3, v[16:17]
	s_delay_alu instid0(VALU_DEP_2) | instskip(NEXT) | instid1(VALU_DEP_3)
	s_and_b32 s16, s0, s8
	v_lshlrev_b64 v[20:21], 3, v[20:21]
	s_delay_alu instid0(VALU_DEP_2) | instskip(NEXT) | instid1(VALU_DEP_3)
	v_add_co_u32 v22, vcc_lo, s12, v16
	v_add_co_ci_u32_e32 v23, vcc_lo, s13, v17, vcc_lo
	s_delay_alu instid0(VALU_DEP_3) | instskip(NEXT) | instid1(VALU_DEP_4)
	v_add_co_u32 v20, vcc_lo, s14, v20
	v_add_co_ci_u32_e32 v21, vcc_lo, s19, v21, vcc_lo
	s_and_saveexec_b32 s15, s16
	s_cbranch_execnz .LBB127_310
; %bb.303:
	s_or_b32 exec_lo, exec_lo, s15
	s_and_b32 s16, s1, s8
	s_delay_alu instid0(SALU_CYCLE_1)
	s_and_saveexec_b32 s15, s16
	s_cbranch_execnz .LBB127_314
.LBB127_304:
	s_or_b32 exec_lo, exec_lo, s15
	s_and_b32 s16, s2, s8
	s_delay_alu instid0(SALU_CYCLE_1)
	s_and_saveexec_b32 s15, s16
	s_cbranch_execnz .LBB127_318
.LBB127_305:
	s_or_b32 exec_lo, exec_lo, s15
	s_and_b32 s16, s3, s8
	s_delay_alu instid0(SALU_CYCLE_1)
	s_and_saveexec_b32 s15, s16
	s_cbranch_execnz .LBB127_322
.LBB127_306:
	s_or_b32 exec_lo, exec_lo, s15
	s_and_b32 s16, s4, s8
	s_delay_alu instid0(SALU_CYCLE_1)
	s_and_saveexec_b32 s15, s16
	s_cbranch_execnz .LBB127_326
.LBB127_307:
	s_or_b32 exec_lo, exec_lo, s15
	s_and_b32 s16, s5, s8
	s_delay_alu instid0(SALU_CYCLE_1)
	s_and_saveexec_b32 s15, s16
	s_cbranch_execnz .LBB127_330
.LBB127_308:
	s_or_b32 exec_lo, exec_lo, s15
	s_and_b32 s16, s6, s8
	s_delay_alu instid0(SALU_CYCLE_1)
	s_and_saveexec_b32 s15, s16
	s_cbranch_execnz .LBB127_334
.LBB127_309:
	s_or_b32 exec_lo, exec_lo, s15
	s_and_b32 s15, s7, s8
	s_delay_alu instid0(SALU_CYCLE_1)
	s_and_saveexec_b32 s8, s15
	s_cbranch_execnz .LBB127_338
	s_branch .LBB127_342
.LBB127_310:
	v_cmp_ne_u32_e32 vcc_lo, 1, v18
	s_cbranch_vccnz .LBB127_312
; %bb.311:
	v_lshlrev_b64 v[16:17], 3, v[0:1]
	s_delay_alu instid0(VALU_DEP_1) | instskip(NEXT) | instid1(VALU_DEP_2)
	v_add_co_u32 v16, vcc_lo, v22, v16
	v_add_co_ci_u32_e32 v17, vcc_lo, v23, v17, vcc_lo
	flat_load_b64 v[16:17], v[16:17]
	s_waitcnt vmcnt(0) lgkmcnt(0)
	v_mul_f64 v[16:17], v[16:17], s[10:11]
	s_branch .LBB127_313
.LBB127_312:
	v_mov_b32_e32 v16, 0
	v_mov_b32_e32 v17, 0
.LBB127_313:
	s_delay_alu instid0(VALU_DEP_1) | instskip(SKIP_2) | instid1(VALU_DEP_1)
	v_cvt_f32_f64_e32 v16, v[16:17]
	v_max_f32_e32 v17, v214, v214
	v_lshlrev_b64 v[24:25], 3, v[0:1]
	v_add_co_u32 v24, vcc_lo, v20, v24
	s_delay_alu instid0(VALU_DEP_2) | instskip(NEXT) | instid1(VALU_DEP_4)
	v_add_co_ci_u32_e32 v25, vcc_lo, v21, v25, vcc_lo
	v_min_f32_e32 v16, v16, v17
	s_delay_alu instid0(VALU_DEP_1) | instskip(SKIP_3) | instid1(SALU_CYCLE_1)
	v_cvt_f64_f32_e32 v[16:17], v16
	global_store_b64 v[24:25], v[16:17], off
	s_or_b32 exec_lo, exec_lo, s15
	s_and_b32 s16, s1, s8
	s_and_saveexec_b32 s15, s16
	s_cbranch_execz .LBB127_304
.LBB127_314:
	v_cmp_ne_u32_e32 vcc_lo, 1, v18
	s_cbranch_vccnz .LBB127_316
; %bb.315:
	v_lshlrev_b64 v[16:17], 3, v[2:3]
	s_delay_alu instid0(VALU_DEP_1) | instskip(NEXT) | instid1(VALU_DEP_2)
	v_add_co_u32 v16, vcc_lo, v22, v16
	v_add_co_ci_u32_e32 v17, vcc_lo, v23, v17, vcc_lo
	flat_load_b64 v[16:17], v[16:17]
	s_waitcnt vmcnt(0) lgkmcnt(0)
	v_mul_f64 v[16:17], v[16:17], s[10:11]
	s_branch .LBB127_317
.LBB127_316:
	v_mov_b32_e32 v16, 0
	v_mov_b32_e32 v17, 0
.LBB127_317:
	s_delay_alu instid0(VALU_DEP_1) | instskip(SKIP_2) | instid1(VALU_DEP_1)
	v_cvt_f32_f64_e32 v16, v[16:17]
	v_max_f32_e32 v17, v219, v219
	v_lshlrev_b64 v[24:25], 3, v[2:3]
	v_add_co_u32 v24, vcc_lo, v20, v24
	s_delay_alu instid0(VALU_DEP_2) | instskip(NEXT) | instid1(VALU_DEP_4)
	v_add_co_ci_u32_e32 v25, vcc_lo, v21, v25, vcc_lo
	v_min_f32_e32 v16, v16, v17
	s_delay_alu instid0(VALU_DEP_1) | instskip(SKIP_3) | instid1(SALU_CYCLE_1)
	v_cvt_f64_f32_e32 v[16:17], v16
	global_store_b64 v[24:25], v[16:17], off
	s_or_b32 exec_lo, exec_lo, s15
	s_and_b32 s16, s2, s8
	s_and_saveexec_b32 s15, s16
	s_cbranch_execz .LBB127_305
.LBB127_318:
	v_cmp_ne_u32_e32 vcc_lo, 1, v18
	s_cbranch_vccnz .LBB127_320
; %bb.319:
	v_lshlrev_b64 v[16:17], 3, v[4:5]
	s_delay_alu instid0(VALU_DEP_1) | instskip(NEXT) | instid1(VALU_DEP_2)
	v_add_co_u32 v16, vcc_lo, v22, v16
	v_add_co_ci_u32_e32 v17, vcc_lo, v23, v17, vcc_lo
	flat_load_b64 v[16:17], v[16:17]
	s_waitcnt vmcnt(0) lgkmcnt(0)
	v_mul_f64 v[16:17], v[16:17], s[10:11]
	s_branch .LBB127_321
.LBB127_320:
	v_mov_b32_e32 v16, 0
	v_mov_b32_e32 v17, 0
.LBB127_321:
	s_delay_alu instid0(VALU_DEP_1) | instskip(SKIP_2) | instid1(VALU_DEP_1)
	v_cvt_f32_f64_e32 v16, v[16:17]
	v_max_f32_e32 v17, v218, v218
	v_lshlrev_b64 v[24:25], 3, v[4:5]
	v_add_co_u32 v24, vcc_lo, v20, v24
	s_delay_alu instid0(VALU_DEP_2) | instskip(NEXT) | instid1(VALU_DEP_4)
	v_add_co_ci_u32_e32 v25, vcc_lo, v21, v25, vcc_lo
	v_min_f32_e32 v16, v16, v17
	s_delay_alu instid0(VALU_DEP_1) | instskip(SKIP_3) | instid1(SALU_CYCLE_1)
	v_cvt_f64_f32_e32 v[16:17], v16
	global_store_b64 v[24:25], v[16:17], off
	s_or_b32 exec_lo, exec_lo, s15
	s_and_b32 s16, s3, s8
	s_and_saveexec_b32 s15, s16
	s_cbranch_execz .LBB127_306
.LBB127_322:
	v_cmp_ne_u32_e32 vcc_lo, 1, v18
	s_cbranch_vccnz .LBB127_324
; %bb.323:
	v_lshlrev_b64 v[16:17], 3, v[6:7]
	s_delay_alu instid0(VALU_DEP_1) | instskip(NEXT) | instid1(VALU_DEP_2)
	v_add_co_u32 v16, vcc_lo, v22, v16
	v_add_co_ci_u32_e32 v17, vcc_lo, v23, v17, vcc_lo
	flat_load_b64 v[16:17], v[16:17]
	s_waitcnt vmcnt(0) lgkmcnt(0)
	v_mul_f64 v[16:17], v[16:17], s[10:11]
	s_branch .LBB127_325
.LBB127_324:
	v_mov_b32_e32 v16, 0
	v_mov_b32_e32 v17, 0
.LBB127_325:
	s_delay_alu instid0(VALU_DEP_1) | instskip(SKIP_2) | instid1(VALU_DEP_1)
	v_cvt_f32_f64_e32 v16, v[16:17]
	v_max_f32_e32 v17, v200, v200
	v_lshlrev_b64 v[24:25], 3, v[6:7]
	v_add_co_u32 v24, vcc_lo, v20, v24
	s_delay_alu instid0(VALU_DEP_2) | instskip(NEXT) | instid1(VALU_DEP_4)
	v_add_co_ci_u32_e32 v25, vcc_lo, v21, v25, vcc_lo
	v_min_f32_e32 v16, v16, v17
	s_delay_alu instid0(VALU_DEP_1) | instskip(SKIP_3) | instid1(SALU_CYCLE_1)
	v_cvt_f64_f32_e32 v[16:17], v16
	global_store_b64 v[24:25], v[16:17], off
	s_or_b32 exec_lo, exec_lo, s15
	s_and_b32 s16, s4, s8
	s_and_saveexec_b32 s15, s16
	s_cbranch_execz .LBB127_307
.LBB127_326:
	v_cmp_ne_u32_e32 vcc_lo, 1, v18
	s_cbranch_vccnz .LBB127_328
; %bb.327:
	v_lshlrev_b64 v[16:17], 3, v[8:9]
	s_delay_alu instid0(VALU_DEP_1) | instskip(NEXT) | instid1(VALU_DEP_2)
	v_add_co_u32 v16, vcc_lo, v22, v16
	v_add_co_ci_u32_e32 v17, vcc_lo, v23, v17, vcc_lo
	flat_load_b64 v[16:17], v[16:17]
	s_waitcnt vmcnt(0) lgkmcnt(0)
	v_mul_f64 v[16:17], v[16:17], s[10:11]
	s_branch .LBB127_329
.LBB127_328:
	v_mov_b32_e32 v16, 0
	v_mov_b32_e32 v17, 0
.LBB127_329:
	s_delay_alu instid0(VALU_DEP_1) | instskip(SKIP_2) | instid1(VALU_DEP_1)
	v_cvt_f32_f64_e32 v16, v[16:17]
	scratch_load_b32 v17, off, off offset:4 ; 4-byte Folded Reload
	v_lshlrev_b64 v[24:25], 3, v[8:9]
	v_add_co_u32 v24, vcc_lo, v20, v24
	s_delay_alu instid0(VALU_DEP_2) | instskip(SKIP_2) | instid1(VALU_DEP_1)
	v_add_co_ci_u32_e32 v25, vcc_lo, v21, v25, vcc_lo
	s_waitcnt vmcnt(0)
	v_max_f32_e32 v17, v17, v17
	v_min_f32_e32 v16, v16, v17
	s_delay_alu instid0(VALU_DEP_1) | instskip(SKIP_3) | instid1(SALU_CYCLE_1)
	v_cvt_f64_f32_e32 v[16:17], v16
	global_store_b64 v[24:25], v[16:17], off
	s_or_b32 exec_lo, exec_lo, s15
	s_and_b32 s16, s5, s8
	s_and_saveexec_b32 s15, s16
	s_cbranch_execz .LBB127_308
.LBB127_330:
	v_cmp_ne_u32_e32 vcc_lo, 1, v18
	s_cbranch_vccnz .LBB127_332
; %bb.331:
	v_lshlrev_b64 v[16:17], 3, v[10:11]
	s_delay_alu instid0(VALU_DEP_1) | instskip(NEXT) | instid1(VALU_DEP_2)
	v_add_co_u32 v16, vcc_lo, v22, v16
	v_add_co_ci_u32_e32 v17, vcc_lo, v23, v17, vcc_lo
	flat_load_b64 v[16:17], v[16:17]
	s_waitcnt vmcnt(0) lgkmcnt(0)
	v_mul_f64 v[16:17], v[16:17], s[10:11]
	s_branch .LBB127_333
.LBB127_332:
	v_mov_b32_e32 v16, 0
	v_mov_b32_e32 v17, 0
.LBB127_333:
	s_delay_alu instid0(VALU_DEP_1) | instskip(SKIP_2) | instid1(VALU_DEP_1)
	v_cvt_f32_f64_e32 v16, v[16:17]
	v_max_f32_e32 v17, v133, v133
	v_lshlrev_b64 v[24:25], 3, v[10:11]
	v_add_co_u32 v24, vcc_lo, v20, v24
	s_delay_alu instid0(VALU_DEP_2) | instskip(NEXT) | instid1(VALU_DEP_4)
	v_add_co_ci_u32_e32 v25, vcc_lo, v21, v25, vcc_lo
	v_min_f32_e32 v16, v16, v17
	s_delay_alu instid0(VALU_DEP_1) | instskip(SKIP_3) | instid1(SALU_CYCLE_1)
	v_cvt_f64_f32_e32 v[16:17], v16
	global_store_b64 v[24:25], v[16:17], off
	s_or_b32 exec_lo, exec_lo, s15
	s_and_b32 s16, s6, s8
	s_and_saveexec_b32 s15, s16
	s_cbranch_execz .LBB127_309
.LBB127_334:
	v_cmp_ne_u32_e32 vcc_lo, 1, v18
	s_cbranch_vccnz .LBB127_336
; %bb.335:
	v_lshlrev_b64 v[16:17], 3, v[12:13]
	s_delay_alu instid0(VALU_DEP_1) | instskip(NEXT) | instid1(VALU_DEP_2)
	v_add_co_u32 v16, vcc_lo, v22, v16
	v_add_co_ci_u32_e32 v17, vcc_lo, v23, v17, vcc_lo
	flat_load_b64 v[16:17], v[16:17]
	s_waitcnt vmcnt(0) lgkmcnt(0)
	v_mul_f64 v[16:17], v[16:17], s[10:11]
	s_branch .LBB127_337
.LBB127_336:
	v_mov_b32_e32 v16, 0
	v_mov_b32_e32 v17, 0
.LBB127_337:
	s_delay_alu instid0(VALU_DEP_1) | instskip(SKIP_2) | instid1(VALU_DEP_1)
	v_cvt_f32_f64_e32 v16, v[16:17]
	v_max_f32_e32 v17, v132, v132
	v_lshlrev_b64 v[24:25], 3, v[12:13]
	v_add_co_u32 v24, vcc_lo, v20, v24
	s_delay_alu instid0(VALU_DEP_2) | instskip(NEXT) | instid1(VALU_DEP_4)
	v_add_co_ci_u32_e32 v25, vcc_lo, v21, v25, vcc_lo
	v_min_f32_e32 v16, v16, v17
	s_delay_alu instid0(VALU_DEP_1) | instskip(SKIP_3) | instid1(SALU_CYCLE_1)
	v_cvt_f64_f32_e32 v[16:17], v16
	global_store_b64 v[24:25], v[16:17], off
	s_or_b32 exec_lo, exec_lo, s15
	s_and_b32 s15, s7, s8
	s_and_saveexec_b32 s8, s15
	s_cbranch_execz .LBB127_342
.LBB127_338:
	v_cmp_ne_u32_e32 vcc_lo, 1, v18
	s_cbranch_vccnz .LBB127_340
; %bb.339:
	v_lshlrev_b64 v[16:17], 3, v[14:15]
	s_delay_alu instid0(VALU_DEP_1) | instskip(NEXT) | instid1(VALU_DEP_2)
	v_add_co_u32 v16, vcc_lo, v22, v16
	v_add_co_ci_u32_e32 v17, vcc_lo, v23, v17, vcc_lo
	flat_load_b64 v[16:17], v[16:17]
	s_waitcnt vmcnt(0) lgkmcnt(0)
	v_mul_f64 v[16:17], v[16:17], s[10:11]
	s_branch .LBB127_341
.LBB127_340:
	v_mov_b32_e32 v16, 0
	v_mov_b32_e32 v17, 0
.LBB127_341:
	s_delay_alu instid0(VALU_DEP_1) | instskip(SKIP_2) | instid1(VALU_DEP_1)
	v_cvt_f32_f64_e32 v16, v[16:17]
	v_max_f32_e32 v17, v131, v131
	v_lshlrev_b64 v[22:23], 3, v[14:15]
	v_add_co_u32 v20, vcc_lo, v20, v22
	s_delay_alu instid0(VALU_DEP_2) | instskip(NEXT) | instid1(VALU_DEP_4)
	v_add_co_ci_u32_e32 v21, vcc_lo, v21, v23, vcc_lo
	v_min_f32_e32 v16, v16, v17
	s_delay_alu instid0(VALU_DEP_1)
	v_cvt_f64_f32_e32 v[16:17], v16
	global_store_b64 v[20:21], v[16:17], off
.LBB127_342:
	s_or_b32 exec_lo, exec_lo, s8
	v_add_nc_u32_e32 v21, 0xe0, v19
	s_delay_alu instid0(VALU_DEP_1) | instskip(SKIP_2) | instid1(VALU_DEP_3)
	v_mad_i64_i32 v[16:17], null, v21, s18, 0
	v_mad_i64_i32 v[19:20], null, v21, s9, 0
	v_cmp_gt_i32_e64 s8, s17, v21
	v_lshlrev_b64 v[16:17], 3, v[16:17]
	s_delay_alu instid0(VALU_DEP_2) | instskip(NEXT) | instid1(VALU_DEP_3)
	s_and_b32 s9, s0, s8
	v_lshlrev_b64 v[21:22], 3, v[19:20]
	s_delay_alu instid0(VALU_DEP_2) | instskip(NEXT) | instid1(VALU_DEP_3)
	v_add_co_u32 v19, vcc_lo, s12, v16
	v_add_co_ci_u32_e32 v20, vcc_lo, s13, v17, vcc_lo
	s_delay_alu instid0(VALU_DEP_3) | instskip(NEXT) | instid1(VALU_DEP_4)
	v_add_co_u32 v16, vcc_lo, s14, v21
	v_add_co_ci_u32_e32 v17, vcc_lo, s19, v22, vcc_lo
	s_and_saveexec_b32 s0, s9
	s_cbranch_execnz .LBB127_351
; %bb.343:
	s_or_b32 exec_lo, exec_lo, s0
	s_and_b32 s1, s1, s8
	s_delay_alu instid0(SALU_CYCLE_1)
	s_and_saveexec_b32 s0, s1
	s_cbranch_execnz .LBB127_355
.LBB127_344:
	s_or_b32 exec_lo, exec_lo, s0
	s_and_b32 s1, s2, s8
	s_delay_alu instid0(SALU_CYCLE_1)
	s_and_saveexec_b32 s0, s1
	s_cbranch_execnz .LBB127_359
.LBB127_345:
	s_or_b32 exec_lo, exec_lo, s0
	s_and_b32 s1, s3, s8
	s_delay_alu instid0(SALU_CYCLE_1)
	s_and_saveexec_b32 s0, s1
	s_cbranch_execnz .LBB127_363
.LBB127_346:
	s_or_b32 exec_lo, exec_lo, s0
	s_and_b32 s1, s4, s8
	s_delay_alu instid0(SALU_CYCLE_1)
	s_and_saveexec_b32 s0, s1
	s_cbranch_execnz .LBB127_367
.LBB127_347:
	s_or_b32 exec_lo, exec_lo, s0
	s_and_b32 s1, s5, s8
	s_delay_alu instid0(SALU_CYCLE_1)
	s_and_saveexec_b32 s0, s1
	s_cbranch_execnz .LBB127_371
.LBB127_348:
	s_or_b32 exec_lo, exec_lo, s0
	s_and_b32 s1, s6, s8
	s_delay_alu instid0(SALU_CYCLE_1)
	s_and_saveexec_b32 s0, s1
	s_cbranch_execnz .LBB127_375
.LBB127_349:
	s_or_b32 exec_lo, exec_lo, s0
	s_and_b32 s0, s7, s8
	s_delay_alu instid0(SALU_CYCLE_1)
	s_and_saveexec_b32 s1, s0
	s_cbranch_execnz .LBB127_379
.LBB127_350:
	s_endpgm
.LBB127_351:
	v_cmp_ne_u32_e32 vcc_lo, 1, v18
	v_lshlrev_b64 v[0:1], 3, v[0:1]
	s_cbranch_vccnz .LBB127_353
; %bb.352:
	s_delay_alu instid0(VALU_DEP_1) | instskip(NEXT) | instid1(VALU_DEP_2)
	v_add_co_u32 v21, vcc_lo, v19, v0
	v_add_co_ci_u32_e32 v22, vcc_lo, v20, v1, vcc_lo
	flat_load_b64 v[21:22], v[21:22]
	s_waitcnt vmcnt(0) lgkmcnt(0)
	v_mul_f64 v[21:22], v[21:22], s[10:11]
	s_delay_alu instid0(VALU_DEP_1)
	v_cvt_f32_f64_e32 v21, v[21:22]
	s_branch .LBB127_354
.LBB127_353:
	v_mov_b32_e32 v21, 0
.LBB127_354:
	s_delay_alu instid0(VALU_DEP_1) | instskip(NEXT) | instid1(VALU_DEP_3)
	v_dual_max_f32 v22, v130, v130 :: v_dual_max_f32 v21, v21, v21
	v_add_co_u32 v0, vcc_lo, v16, v0
	s_delay_alu instid0(VALU_DEP_4) | instskip(NEXT) | instid1(VALU_DEP_3)
	v_add_co_ci_u32_e32 v1, vcc_lo, v17, v1, vcc_lo
	v_min_f32_e32 v21, v21, v22
	s_delay_alu instid0(VALU_DEP_1) | instskip(SKIP_3) | instid1(SALU_CYCLE_1)
	v_cvt_f64_f32_e32 v[21:22], v21
	global_store_b64 v[0:1], v[21:22], off
	s_or_b32 exec_lo, exec_lo, s0
	s_and_b32 s1, s1, s8
	s_and_saveexec_b32 s0, s1
	s_cbranch_execz .LBB127_344
.LBB127_355:
	v_cmp_ne_u32_e32 vcc_lo, 1, v18
	v_lshlrev_b64 v[0:1], 3, v[2:3]
	s_cbranch_vccnz .LBB127_357
; %bb.356:
	s_delay_alu instid0(VALU_DEP_1) | instskip(NEXT) | instid1(VALU_DEP_2)
	v_add_co_u32 v2, vcc_lo, v19, v0
	v_add_co_ci_u32_e32 v3, vcc_lo, v20, v1, vcc_lo
	flat_load_b64 v[2:3], v[2:3]
	s_waitcnt vmcnt(0) lgkmcnt(0)
	v_mul_f64 v[2:3], v[2:3], s[10:11]
	s_delay_alu instid0(VALU_DEP_1)
	v_cvt_f32_f64_e32 v2, v[2:3]
	s_branch .LBB127_358
.LBB127_357:
	v_mov_b32_e32 v2, 0
.LBB127_358:
	s_delay_alu instid0(VALU_DEP_1) | instskip(NEXT) | instid1(VALU_DEP_3)
	v_dual_max_f32 v3, v137, v137 :: v_dual_max_f32 v2, v2, v2
	v_add_co_u32 v0, vcc_lo, v16, v0
	s_delay_alu instid0(VALU_DEP_4) | instskip(NEXT) | instid1(VALU_DEP_3)
	v_add_co_ci_u32_e32 v1, vcc_lo, v17, v1, vcc_lo
	v_min_f32_e32 v2, v2, v3
	s_delay_alu instid0(VALU_DEP_1) | instskip(SKIP_3) | instid1(SALU_CYCLE_1)
	v_cvt_f64_f32_e32 v[2:3], v2
	global_store_b64 v[0:1], v[2:3], off
	s_or_b32 exec_lo, exec_lo, s0
	s_and_b32 s1, s2, s8
	s_and_saveexec_b32 s0, s1
	s_cbranch_execz .LBB127_345
.LBB127_359:
	v_cmp_ne_u32_e32 vcc_lo, 1, v18
	v_lshlrev_b64 v[0:1], 3, v[4:5]
	s_cbranch_vccnz .LBB127_361
; %bb.360:
	s_delay_alu instid0(VALU_DEP_1) | instskip(NEXT) | instid1(VALU_DEP_2)
	v_add_co_u32 v2, vcc_lo, v19, v0
	v_add_co_ci_u32_e32 v3, vcc_lo, v20, v1, vcc_lo
	flat_load_b64 v[2:3], v[2:3]
	s_waitcnt vmcnt(0) lgkmcnt(0)
	v_mul_f64 v[2:3], v[2:3], s[10:11]
	s_delay_alu instid0(VALU_DEP_1)
	v_cvt_f32_f64_e32 v2, v[2:3]
	s_branch .LBB127_362
.LBB127_361:
	v_mov_b32_e32 v2, 0
.LBB127_362:
	scratch_load_b32 v3, off, off           ; 4-byte Folded Reload
	v_add_co_u32 v0, vcc_lo, v16, v0
	v_add_co_ci_u32_e32 v1, vcc_lo, v17, v1, vcc_lo
	s_waitcnt vmcnt(0)
	v_dual_max_f32 v2, v2, v2 :: v_dual_max_f32 v3, v3, v3
	s_delay_alu instid0(VALU_DEP_1) | instskip(NEXT) | instid1(VALU_DEP_1)
	v_min_f32_e32 v2, v2, v3
	v_cvt_f64_f32_e32 v[2:3], v2
	global_store_b64 v[0:1], v[2:3], off
	s_or_b32 exec_lo, exec_lo, s0
	s_and_b32 s1, s3, s8
	s_delay_alu instid0(SALU_CYCLE_1)
	s_and_saveexec_b32 s0, s1
	s_cbranch_execz .LBB127_346
.LBB127_363:
	v_cmp_ne_u32_e32 vcc_lo, 1, v18
	v_lshlrev_b64 v[0:1], 3, v[6:7]
	s_cbranch_vccnz .LBB127_365
; %bb.364:
	s_delay_alu instid0(VALU_DEP_1) | instskip(NEXT) | instid1(VALU_DEP_2)
	v_add_co_u32 v2, vcc_lo, v19, v0
	v_add_co_ci_u32_e32 v3, vcc_lo, v20, v1, vcc_lo
	flat_load_b64 v[2:3], v[2:3]
	s_waitcnt vmcnt(0) lgkmcnt(0)
	v_mul_f64 v[2:3], v[2:3], s[10:11]
	s_delay_alu instid0(VALU_DEP_1)
	v_cvt_f32_f64_e32 v2, v[2:3]
	s_branch .LBB127_366
.LBB127_365:
	v_mov_b32_e32 v2, 0
.LBB127_366:
	s_delay_alu instid0(VALU_DEP_1) | instskip(NEXT) | instid1(VALU_DEP_3)
	v_dual_max_f32 v3, v128, v128 :: v_dual_max_f32 v2, v2, v2
	v_add_co_u32 v0, vcc_lo, v16, v0
	s_delay_alu instid0(VALU_DEP_4) | instskip(NEXT) | instid1(VALU_DEP_3)
	v_add_co_ci_u32_e32 v1, vcc_lo, v17, v1, vcc_lo
	v_min_f32_e32 v2, v2, v3
	s_delay_alu instid0(VALU_DEP_1) | instskip(SKIP_3) | instid1(SALU_CYCLE_1)
	v_cvt_f64_f32_e32 v[2:3], v2
	global_store_b64 v[0:1], v[2:3], off
	s_or_b32 exec_lo, exec_lo, s0
	s_and_b32 s1, s4, s8
	s_and_saveexec_b32 s0, s1
	s_cbranch_execz .LBB127_347
.LBB127_367:
	v_cmp_ne_u32_e32 vcc_lo, 1, v18
	v_lshlrev_b64 v[0:1], 3, v[8:9]
	s_cbranch_vccnz .LBB127_369
; %bb.368:
	s_delay_alu instid0(VALU_DEP_1) | instskip(NEXT) | instid1(VALU_DEP_2)
	v_add_co_u32 v2, vcc_lo, v19, v0
	v_add_co_ci_u32_e32 v3, vcc_lo, v20, v1, vcc_lo
	flat_load_b64 v[2:3], v[2:3]
	s_waitcnt vmcnt(0) lgkmcnt(0)
	v_mul_f64 v[2:3], v[2:3], s[10:11]
	s_delay_alu instid0(VALU_DEP_1)
	v_cvt_f32_f64_e32 v2, v[2:3]
	s_branch .LBB127_370
.LBB127_369:
	v_mov_b32_e32 v2, 0
.LBB127_370:
	v_max_f32_e32 v3, v126, v126
	s_delay_alu instid0(VALU_DEP_2) | instskip(NEXT) | instid1(VALU_DEP_4)
	v_max_f32_e32 v2, v2, v2
	v_add_co_u32 v0, vcc_lo, v16, v0
	v_add_co_ci_u32_e32 v1, vcc_lo, v17, v1, vcc_lo
	s_delay_alu instid0(VALU_DEP_3) | instskip(NEXT) | instid1(VALU_DEP_1)
	v_min_f32_e32 v2, v2, v3
	v_cvt_f64_f32_e32 v[2:3], v2
	global_store_b64 v[0:1], v[2:3], off
	s_or_b32 exec_lo, exec_lo, s0
	s_and_b32 s1, s5, s8
	s_delay_alu instid0(SALU_CYCLE_1)
	s_and_saveexec_b32 s0, s1
	s_cbranch_execz .LBB127_348
.LBB127_371:
	v_cmp_ne_u32_e32 vcc_lo, 1, v18
	v_lshlrev_b64 v[0:1], 3, v[10:11]
	s_cbranch_vccnz .LBB127_373
; %bb.372:
	s_delay_alu instid0(VALU_DEP_1) | instskip(NEXT) | instid1(VALU_DEP_2)
	v_add_co_u32 v2, vcc_lo, v19, v0
	v_add_co_ci_u32_e32 v3, vcc_lo, v20, v1, vcc_lo
	flat_load_b64 v[2:3], v[2:3]
	s_waitcnt vmcnt(0) lgkmcnt(0)
	v_mul_f64 v[2:3], v[2:3], s[10:11]
	s_delay_alu instid0(VALU_DEP_1)
	v_cvt_f32_f64_e32 v2, v[2:3]
	s_branch .LBB127_374
.LBB127_373:
	v_mov_b32_e32 v2, 0
.LBB127_374:
	s_delay_alu instid0(VALU_DEP_1) | instskip(NEXT) | instid1(VALU_DEP_3)
	v_dual_max_f32 v3, v124, v124 :: v_dual_max_f32 v2, v2, v2
	v_add_co_u32 v0, vcc_lo, v16, v0
	s_delay_alu instid0(VALU_DEP_4) | instskip(NEXT) | instid1(VALU_DEP_3)
	v_add_co_ci_u32_e32 v1, vcc_lo, v17, v1, vcc_lo
	v_min_f32_e32 v2, v2, v3
	s_delay_alu instid0(VALU_DEP_1) | instskip(SKIP_3) | instid1(SALU_CYCLE_1)
	v_cvt_f64_f32_e32 v[2:3], v2
	global_store_b64 v[0:1], v[2:3], off
	s_or_b32 exec_lo, exec_lo, s0
	s_and_b32 s1, s6, s8
	s_and_saveexec_b32 s0, s1
	s_cbranch_execz .LBB127_349
.LBB127_375:
	v_cmp_ne_u32_e32 vcc_lo, 1, v18
	v_lshlrev_b64 v[0:1], 3, v[12:13]
	s_cbranch_vccnz .LBB127_377
; %bb.376:
	s_delay_alu instid0(VALU_DEP_1) | instskip(NEXT) | instid1(VALU_DEP_2)
	v_add_co_u32 v2, vcc_lo, v19, v0
	v_add_co_ci_u32_e32 v3, vcc_lo, v20, v1, vcc_lo
	flat_load_b64 v[2:3], v[2:3]
	s_waitcnt vmcnt(0) lgkmcnt(0)
	v_mul_f64 v[2:3], v[2:3], s[10:11]
	s_delay_alu instid0(VALU_DEP_1)
	v_cvt_f32_f64_e32 v2, v[2:3]
	s_branch .LBB127_378
.LBB127_377:
	v_mov_b32_e32 v2, 0
.LBB127_378:
	v_max_f32_e32 v3, v122, v122
	s_delay_alu instid0(VALU_DEP_2) | instskip(NEXT) | instid1(VALU_DEP_4)
	v_max_f32_e32 v2, v2, v2
	v_add_co_u32 v0, vcc_lo, v16, v0
	v_add_co_ci_u32_e32 v1, vcc_lo, v17, v1, vcc_lo
	s_delay_alu instid0(VALU_DEP_3) | instskip(NEXT) | instid1(VALU_DEP_1)
	v_min_f32_e32 v2, v2, v3
	v_cvt_f64_f32_e32 v[2:3], v2
	global_store_b64 v[0:1], v[2:3], off
	s_or_b32 exec_lo, exec_lo, s0
	s_and_b32 s0, s7, s8
	s_delay_alu instid0(SALU_CYCLE_1)
	s_and_saveexec_b32 s1, s0
	s_cbranch_execz .LBB127_350
.LBB127_379:
	v_cmp_ne_u32_e32 vcc_lo, 1, v18
	v_lshlrev_b64 v[0:1], 3, v[14:15]
	s_cbranch_vccnz .LBB127_381
; %bb.380:
	s_delay_alu instid0(VALU_DEP_1) | instskip(NEXT) | instid1(VALU_DEP_2)
	v_add_co_u32 v2, vcc_lo, v19, v0
	v_add_co_ci_u32_e32 v3, vcc_lo, v20, v1, vcc_lo
	flat_load_b64 v[2:3], v[2:3]
	s_waitcnt vmcnt(0) lgkmcnt(0)
	v_mul_f64 v[2:3], v[2:3], s[10:11]
	s_delay_alu instid0(VALU_DEP_1)
	v_cvt_f32_f64_e32 v2, v[2:3]
	s_branch .LBB127_382
.LBB127_381:
	v_mov_b32_e32 v2, 0
.LBB127_382:
	s_delay_alu instid0(VALU_DEP_1) | instskip(NEXT) | instid1(VALU_DEP_3)
	v_dual_max_f32 v3, v120, v120 :: v_dual_max_f32 v2, v2, v2
	v_add_co_u32 v0, vcc_lo, v16, v0
	s_delay_alu instid0(VALU_DEP_4) | instskip(NEXT) | instid1(VALU_DEP_3)
	v_add_co_ci_u32_e32 v1, vcc_lo, v17, v1, vcc_lo
	v_min_f32_e32 v2, v2, v3
	s_delay_alu instid0(VALU_DEP_1)
	v_cvt_f64_f32_e32 v[2:3], v2
	global_store_b64 v[0:1], v[2:3], off
	s_endpgm
	.section	.rodata,"a",@progbits
	.p2align	6, 0x0
	.amdhsa_kernel _ZN12_GLOBAL__N_120geam_min_plus_kernelId15HIP_vector_typeIdLj2EEdLi8ELi32ELi64ELi256ELi4ELi4ELi64ELi64ELi4ELc84ELc84ELb1ELb1ELb1EdKPKdKPdEEviiiT16_PT17_ilSA_ilS8_SA_ilPT18_ili26rocblas_geam_ex_operation_
		.amdhsa_group_segment_fixed_size 20480
		.amdhsa_private_segment_fixed_size 424
		.amdhsa_kernarg_size 136
		.amdhsa_user_sgpr_count 14
		.amdhsa_user_sgpr_dispatch_ptr 0
		.amdhsa_user_sgpr_queue_ptr 0
		.amdhsa_user_sgpr_kernarg_segment_ptr 1
		.amdhsa_user_sgpr_dispatch_id 0
		.amdhsa_user_sgpr_private_segment_size 0
		.amdhsa_wavefront_size32 1
		.amdhsa_uses_dynamic_stack 0
		.amdhsa_enable_private_segment 1
		.amdhsa_system_sgpr_workgroup_id_x 1
		.amdhsa_system_sgpr_workgroup_id_y 0
		.amdhsa_system_sgpr_workgroup_id_z 1
		.amdhsa_system_sgpr_workgroup_info 0
		.amdhsa_system_vgpr_workitem_id 1
		.amdhsa_next_free_vgpr 256
		.amdhsa_next_free_sgpr 30
		.amdhsa_reserve_vcc 1
		.amdhsa_float_round_mode_32 0
		.amdhsa_float_round_mode_16_64 0
		.amdhsa_float_denorm_mode_32 3
		.amdhsa_float_denorm_mode_16_64 3
		.amdhsa_dx10_clamp 1
		.amdhsa_ieee_mode 1
		.amdhsa_fp16_overflow 0
		.amdhsa_workgroup_processor_mode 1
		.amdhsa_memory_ordered 1
		.amdhsa_forward_progress 0
		.amdhsa_shared_vgpr_count 0
		.amdhsa_exception_fp_ieee_invalid_op 0
		.amdhsa_exception_fp_denorm_src 0
		.amdhsa_exception_fp_ieee_div_zero 0
		.amdhsa_exception_fp_ieee_overflow 0
		.amdhsa_exception_fp_ieee_underflow 0
		.amdhsa_exception_fp_ieee_inexact 0
		.amdhsa_exception_int_div_zero 0
	.end_amdhsa_kernel
	.section	.text._ZN12_GLOBAL__N_120geam_min_plus_kernelId15HIP_vector_typeIdLj2EEdLi8ELi32ELi64ELi256ELi4ELi4ELi64ELi64ELi4ELc84ELc84ELb1ELb1ELb1EdKPKdKPdEEviiiT16_PT17_ilSA_ilS8_SA_ilPT18_ili26rocblas_geam_ex_operation_,"axG",@progbits,_ZN12_GLOBAL__N_120geam_min_plus_kernelId15HIP_vector_typeIdLj2EEdLi8ELi32ELi64ELi256ELi4ELi4ELi64ELi64ELi4ELc84ELc84ELb1ELb1ELb1EdKPKdKPdEEviiiT16_PT17_ilSA_ilS8_SA_ilPT18_ili26rocblas_geam_ex_operation_,comdat
.Lfunc_end127:
	.size	_ZN12_GLOBAL__N_120geam_min_plus_kernelId15HIP_vector_typeIdLj2EEdLi8ELi32ELi64ELi256ELi4ELi4ELi64ELi64ELi4ELc84ELc84ELb1ELb1ELb1EdKPKdKPdEEviiiT16_PT17_ilSA_ilS8_SA_ilPT18_ili26rocblas_geam_ex_operation_, .Lfunc_end127-_ZN12_GLOBAL__N_120geam_min_plus_kernelId15HIP_vector_typeIdLj2EEdLi8ELi32ELi64ELi256ELi4ELi4ELi64ELi64ELi4ELc84ELc84ELb1ELb1ELb1EdKPKdKPdEEviiiT16_PT17_ilSA_ilS8_SA_ilPT18_ili26rocblas_geam_ex_operation_
                                        ; -- End function
	.section	.AMDGPU.csdata,"",@progbits
; Kernel info:
; codeLenInByte = 27664
; NumSgprs: 32
; NumVgprs: 256
; ScratchSize: 424
; MemoryBound: 0
; FloatMode: 240
; IeeeMode: 1
; LDSByteSize: 20480 bytes/workgroup (compile time only)
; SGPRBlocks: 3
; VGPRBlocks: 31
; NumSGPRsForWavesPerEU: 32
; NumVGPRsForWavesPerEU: 256
; Occupancy: 5
; WaveLimiterHint : 1
; COMPUTE_PGM_RSRC2:SCRATCH_EN: 1
; COMPUTE_PGM_RSRC2:USER_SGPR: 14
; COMPUTE_PGM_RSRC2:TRAP_HANDLER: 0
; COMPUTE_PGM_RSRC2:TGID_X_EN: 1
; COMPUTE_PGM_RSRC2:TGID_Y_EN: 0
; COMPUTE_PGM_RSRC2:TGID_Z_EN: 1
; COMPUTE_PGM_RSRC2:TIDIG_COMP_CNT: 1
	.section	.text._ZN12_GLOBAL__N_120geam_min_plus_kernelId15HIP_vector_typeIdLj2EEdLi8ELi32ELi64ELi256ELi4ELi4ELi64ELi64ELi4ELc84ELc84ELb0ELb1ELb1EdKPKdKPdEEviiiT16_PT17_ilSA_ilS8_SA_ilPT18_ili26rocblas_geam_ex_operation_,"axG",@progbits,_ZN12_GLOBAL__N_120geam_min_plus_kernelId15HIP_vector_typeIdLj2EEdLi8ELi32ELi64ELi256ELi4ELi4ELi64ELi64ELi4ELc84ELc84ELb0ELb1ELb1EdKPKdKPdEEviiiT16_PT17_ilSA_ilS8_SA_ilPT18_ili26rocblas_geam_ex_operation_,comdat
	.globl	_ZN12_GLOBAL__N_120geam_min_plus_kernelId15HIP_vector_typeIdLj2EEdLi8ELi32ELi64ELi256ELi4ELi4ELi64ELi64ELi4ELc84ELc84ELb0ELb1ELb1EdKPKdKPdEEviiiT16_PT17_ilSA_ilS8_SA_ilPT18_ili26rocblas_geam_ex_operation_ ; -- Begin function _ZN12_GLOBAL__N_120geam_min_plus_kernelId15HIP_vector_typeIdLj2EEdLi8ELi32ELi64ELi256ELi4ELi4ELi64ELi64ELi4ELc84ELc84ELb0ELb1ELb1EdKPKdKPdEEviiiT16_PT17_ilSA_ilS8_SA_ilPT18_ili26rocblas_geam_ex_operation_
	.p2align	8
	.type	_ZN12_GLOBAL__N_120geam_min_plus_kernelId15HIP_vector_typeIdLj2EEdLi8ELi32ELi64ELi256ELi4ELi4ELi64ELi64ELi4ELc84ELc84ELb0ELb1ELb1EdKPKdKPdEEviiiT16_PT17_ilSA_ilS8_SA_ilPT18_ili26rocblas_geam_ex_operation_,@function
_ZN12_GLOBAL__N_120geam_min_plus_kernelId15HIP_vector_typeIdLj2EEdLi8ELi32ELi64ELi256ELi4ELi4ELi64ELi64ELi4ELc84ELc84ELb0ELb1ELb1EdKPKdKPdEEviiiT16_PT17_ilSA_ilS8_SA_ilPT18_ili26rocblas_geam_ex_operation_: ; @_ZN12_GLOBAL__N_120geam_min_plus_kernelId15HIP_vector_typeIdLj2EEdLi8ELi32ELi64ELi256ELi4ELi4ELi64ELi64ELi4ELc84ELc84ELb0ELb1ELb1EdKPKdKPdEEviiiT16_PT17_ilSA_ilS8_SA_ilPT18_ili26rocblas_geam_ex_operation_
; %bb.0:
	s_clause 0x1
	s_load_b128 s[20:23], s[0:1], 0x10
	s_load_b128 s[4:7], s[0:1], 0x28
	s_mov_b32 s2, s15
	s_mov_b64 s[24:25], 0
	s_waitcnt lgkmcnt(0)
	v_cmp_eq_f64_e64 s26, s[20:21], 0
	v_cmp_neq_f64_e64 s12, s[20:21], 0
	s_delay_alu instid0(VALU_DEP_2)
	s_and_b32 vcc_lo, exec_lo, s26
	s_cbranch_vccnz .LBB128_2
; %bb.1:
	s_mov_b32 s3, 0
	s_delay_alu instid0(SALU_CYCLE_1) | instskip(NEXT) | instid1(SALU_CYCLE_1)
	s_lshl_b64 s[8:9], s[2:3], 3
	s_add_u32 s8, s22, s8
	s_addc_u32 s9, s23, s9
	s_lshl_b64 s[4:5], s[4:5], 3
	s_load_b64 s[8:9], s[8:9], 0x0
	s_waitcnt lgkmcnt(0)
	s_add_u32 s24, s8, s4
	s_addc_u32 s25, s9, s5
.LBB128_2:
	s_clause 0x1
	s_load_b128 s[8:11], s[0:1], 0x40
	s_load_b64 s[16:17], s[0:1], 0x50
	s_delay_alu instid0(VALU_DEP_1)
	s_and_b32 vcc_lo, exec_lo, s12
	s_cbranch_vccz .LBB128_4
; %bb.3:
	s_mov_b32 s3, 0
	s_delay_alu instid0(SALU_CYCLE_1) | instskip(NEXT) | instid1(SALU_CYCLE_1)
	s_lshl_b64 s[4:5], s[2:3], 3
	s_add_u32 s4, s6, s4
	s_addc_u32 s5, s7, s5
	s_waitcnt lgkmcnt(0)
	s_lshl_b64 s[6:7], s[8:9], 3
	s_load_b64 s[4:5], s[4:5], 0x0
	s_waitcnt lgkmcnt(0)
	s_add_u32 s8, s4, s6
	s_addc_u32 s9, s5, s7
	s_cbranch_execz .LBB128_5
	s_branch .LBB128_6
.LBB128_4:
	s_mov_b32 s3, -1
                                        ; implicit-def: $sgpr8_sgpr9
.LBB128_5:
	s_mov_b32 s3, 0
	s_waitcnt lgkmcnt(0)
	s_mov_b64 s[8:9], 0
.LBB128_6:
	s_waitcnt lgkmcnt(0)
	v_cmp_eq_f64_e64 s12, s[10:11], 0
	v_cmp_neq_f64_e64 s22, s[10:11], 0
	s_load_b128 s[4:7], s[0:1], 0x60
	s_delay_alu instid0(VALU_DEP_2)
	s_and_b32 vcc_lo, exec_lo, s12
	s_mov_b64 s[12:13], 0
	s_cbranch_vccnz .LBB128_8
; %bb.7:
	s_lshl_b64 s[12:13], s[2:3], 3
	s_delay_alu instid0(SALU_CYCLE_1)
	s_add_u32 s12, s16, s12
	s_addc_u32 s13, s17, s13
	s_waitcnt lgkmcnt(0)
	s_lshl_b64 s[4:5], s[4:5], 3
	s_load_b64 s[12:13], s[12:13], 0x0
	s_waitcnt lgkmcnt(0)
	s_add_u32 s12, s12, s4
	s_addc_u32 s13, s13, s5
.LBB128_8:
	s_clause 0x1
	s_load_b128 s[16:19], s[0:1], 0x0
	s_load_b32 s30, s[0:1], 0x20
	s_lshl_b64 s[2:3], s[2:3], 3
	v_and_b32_e32 v221, 0x3ff, v0
	s_waitcnt lgkmcnt(0)
	s_add_u32 s4, s6, s2
	s_addc_u32 s5, s7, s3
	v_bfe_u32 v22, v0, 10, 10
	v_and_b32_e32 v3, 3, v221
	s_delay_alu instid0(VALU_DEP_2) | instskip(NEXT) | instid1(VALU_DEP_2)
	v_lshl_add_u32 v2, v22, 3, v221
	v_lshlrev_b32_e32 v25, 3, v3
	scratch_store_b32 off, v3, off offset:360 ; 4-byte Folded Spill
	v_lshrrev_b32_e32 v24, 2, v2
	s_add_i32 s6, s16, -1
	v_cmp_le_i32_e32 vcc_lo, s18, v3
	s_ashr_i32 s2, s6, 31
	s_delay_alu instid0(SALU_CYCLE_1) | instskip(NEXT) | instid1(SALU_CYCLE_1)
	s_lshr_b32 s2, s2, 26
	s_add_i32 s2, s6, s2
	s_delay_alu instid0(SALU_CYCLE_1) | instskip(NEXT) | instid1(SALU_CYCLE_1)
	s_ashr_i32 s2, s2, 6
	s_add_i32 s7, s2, 1
	s_not_b32 s2, s2
	v_cvt_f32_u32_e32 v1, s7
	s_delay_alu instid0(VALU_DEP_1) | instskip(SKIP_2) | instid1(VALU_DEP_1)
	v_rcp_iflag_f32_e32 v1, v1
	s_waitcnt_depctr 0xfff
	v_mul_f32_e32 v1, 0x4f7ffffe, v1
	v_cvt_u32_f32_e32 v1, v1
	s_delay_alu instid0(VALU_DEP_1) | instskip(NEXT) | instid1(VALU_DEP_1)
	v_readfirstlane_b32 s3, v1
	s_mul_i32 s2, s2, s3
	s_delay_alu instid0(SALU_CYCLE_1) | instskip(NEXT) | instid1(SALU_CYCLE_1)
	s_mul_hi_u32 s2, s3, s2
	s_add_i32 s3, s3, s2
	s_delay_alu instid0(SALU_CYCLE_1) | instskip(NEXT) | instid1(SALU_CYCLE_1)
	s_mul_hi_u32 s2, s14, s3
	s_mul_i32 s3, s2, s7
	s_add_i32 s15, s2, 1
	s_sub_i32 s3, s14, s3
	s_delay_alu instid0(SALU_CYCLE_1)
	s_sub_i32 s19, s3, s7
	s_cmp_ge_u32 s3, s7
	s_cselect_b32 s2, s15, s2
	s_cselect_b32 s3, s19, s3
	s_add_i32 s15, s2, 1
	s_cmp_ge_u32 s3, s7
	s_cselect_b32 s3, s15, s2
	s_delay_alu instid0(SALU_CYCLE_1) | instskip(NEXT) | instid1(SALU_CYCLE_1)
	s_mul_i32 s2, s3, s7
	s_sub_i32 s2, s14, s2
	s_load_b64 s[14:15], s[4:5], 0x0
	s_lshl_b32 s19, s2, 6
	s_delay_alu instid0(SALU_CYCLE_1) | instskip(NEXT) | instid1(VALU_DEP_1)
	v_add_nc_u32_e32 v0, s19, v24
	v_cmp_le_i32_e64 s2, s16, v0
	v_min_i32_e32 v12, s6, v0
	s_delay_alu instid0(VALU_DEP_2) | instskip(NEXT) | instid1(SALU_CYCLE_1)
	s_or_b32 s4, vcc_lo, s2
	v_cndmask_b32_e64 v1, 0, 0x7fefffff, s4
	v_cndmask_b32_e64 v0, 0, -1, s4
	s_or_b32 s4, s26, s4
	s_delay_alu instid0(SALU_CYCLE_1) | instskip(NEXT) | instid1(SALU_CYCLE_1)
	s_xor_b32 s5, s4, -1
	s_and_saveexec_b32 s4, s5
	s_cbranch_execz .LBB128_10
; %bb.9:
	v_mad_i64_i32 v[0:1], null, v12, s30, 0
	s_delay_alu instid0(VALU_DEP_1) | instskip(NEXT) | instid1(VALU_DEP_1)
	v_lshlrev_b64 v[0:1], 3, v[0:1]
	v_add_co_u32 v0, vcc_lo, s24, v0
	s_delay_alu instid0(VALU_DEP_2) | instskip(NEXT) | instid1(VALU_DEP_2)
	v_add_co_ci_u32_e32 v1, vcc_lo, s25, v1, vcc_lo
	v_add_co_u32 v0, vcc_lo, v0, v25
	s_delay_alu instid0(VALU_DEP_2)
	v_add_co_ci_u32_e32 v1, vcc_lo, 0, v1, vcc_lo
	flat_load_b64 v[0:1], v[0:1]
	s_waitcnt vmcnt(0) lgkmcnt(0)
	v_mul_f64 v[0:1], v[0:1], s[20:21]
.LBB128_10:
	s_or_b32 exec_lo, exec_lo, s4
	s_load_b32 s27, s[0:1], 0x38
	v_lshrrev_b32_e32 v117, 6, v2
	s_add_i32 s28, s18, -1
	v_and_b32_e32 v23, 63, v2
	s_lshl_b32 s23, s3, 8
	s_delay_alu instid0(VALU_DEP_2) | instskip(SKIP_1) | instid1(VALU_DEP_3)
	v_min_i32_e32 v4, s28, v117
	v_cmp_le_i32_e32 vcc_lo, s18, v117
	v_or_b32_e32 v28, s23, v23
	s_delay_alu instid0(VALU_DEP_1) | instskip(SKIP_1) | instid1(VALU_DEP_2)
	v_cmp_le_i32_e64 s3, s17, v28
	v_ashrrev_i32_e32 v29, 31, v28
	s_or_b32 s5, s3, vcc_lo
	s_waitcnt lgkmcnt(0)
	v_mad_i64_i32 v[2:3], null, s27, v4, 0
	s_delay_alu instid0(VALU_DEP_1) | instskip(SKIP_2) | instid1(VALU_DEP_3)
	v_lshlrev_b64 v[6:7], 3, v[2:3]
	v_cndmask_b32_e64 v3, 0, 0x7fefffff, s5
	v_cndmask_b32_e64 v2, 0, -1, s5
	v_add_co_u32 v6, s4, s8, v6
	s_delay_alu instid0(VALU_DEP_1) | instskip(SKIP_1) | instid1(SALU_CYCLE_1)
	v_add_co_ci_u32_e64 v7, s4, s9, v7, s4
	s_or_b32 s4, s26, s5
	s_xor_b32 s4, s4, -1
	s_delay_alu instid0(SALU_CYCLE_1)
	s_and_saveexec_b32 s5, s4
	s_cbranch_execz .LBB128_12
; %bb.11:
	v_lshlrev_b64 v[2:3], 3, v[28:29]
	s_delay_alu instid0(VALU_DEP_1) | instskip(NEXT) | instid1(VALU_DEP_1)
	v_add_co_u32 v2, s4, v6, v2
	v_add_co_ci_u32_e64 v3, s4, v7, v3, s4
	flat_load_b64 v[2:3], v[2:3]
	s_waitcnt vmcnt(0) lgkmcnt(0)
	v_mul_f64 v[2:3], v[2:3], s[20:21]
.LBB128_12:
	s_or_b32 exec_lo, exec_lo, s5
	v_or_b32_e32 v4, 64, v28
	s_delay_alu instid0(VALU_DEP_1) | instskip(NEXT) | instid1(VALU_DEP_1)
	v_cmp_le_i32_e64 s4, s17, v4
	s_or_b32 s5, s4, vcc_lo
	s_delay_alu instid0(SALU_CYCLE_1) | instskip(SKIP_2) | instid1(SALU_CYCLE_1)
	v_cndmask_b32_e64 v17, 0, 0x7fefffff, s5
	v_cndmask_b32_e64 v16, 0, -1, s5
	s_or_b32 s5, s26, s5
	s_xor_b32 s5, s5, -1
	s_delay_alu instid0(SALU_CYCLE_1)
	s_and_saveexec_b32 s6, s5
	s_cbranch_execz .LBB128_14
; %bb.13:
	v_lshlrev_b64 v[8:9], 3, v[28:29]
	s_delay_alu instid0(VALU_DEP_1) | instskip(NEXT) | instid1(VALU_DEP_1)
	v_add_co_u32 v8, s5, v6, v8
	v_add_co_ci_u32_e64 v9, s5, v7, v9, s5
	flat_load_b64 v[8:9], v[8:9] offset:512
	s_waitcnt vmcnt(0) lgkmcnt(0)
	v_mul_f64 v[16:17], v[8:9], s[20:21]
.LBB128_14:
	s_or_b32 exec_lo, exec_lo, s6
	v_or_b32_e32 v4, 0x80, v28
	s_delay_alu instid0(VALU_DEP_1) | instskip(NEXT) | instid1(VALU_DEP_1)
	v_cmp_le_i32_e64 s5, s17, v4
	s_or_b32 s6, s5, vcc_lo
	s_delay_alu instid0(SALU_CYCLE_1) | instskip(SKIP_2) | instid1(SALU_CYCLE_1)
	v_cndmask_b32_e64 v19, 0, 0x7fefffff, s6
	v_cndmask_b32_e64 v18, 0, -1, s6
	s_or_b32 s6, s26, s6
	s_xor_b32 s6, s6, -1
	s_delay_alu instid0(SALU_CYCLE_1)
	s_and_saveexec_b32 s7, s6
	s_cbranch_execz .LBB128_16
; %bb.15:
	v_lshlrev_b64 v[8:9], 3, v[28:29]
	s_delay_alu instid0(VALU_DEP_1) | instskip(NEXT) | instid1(VALU_DEP_1)
	v_add_co_u32 v8, s6, v6, v8
	v_add_co_ci_u32_e64 v9, s6, v7, v9, s6
	flat_load_b64 v[8:9], v[8:9] offset:1024
	s_waitcnt vmcnt(0) lgkmcnt(0)
	v_mul_f64 v[18:19], v[8:9], s[20:21]
.LBB128_16:
	s_or_b32 exec_lo, exec_lo, s7
	v_or_b32_e32 v4, 0xc0, v28
	s_delay_alu instid0(VALU_DEP_1) | instskip(NEXT) | instid1(VALU_DEP_1)
	v_cmp_le_i32_e64 s6, s17, v4
	s_or_b32 s7, s6, vcc_lo
	s_delay_alu instid0(SALU_CYCLE_1) | instskip(SKIP_2) | instid1(SALU_CYCLE_1)
	v_cndmask_b32_e64 v21, 0, 0x7fefffff, s7
	v_cndmask_b32_e64 v20, 0, -1, s7
	s_or_b32 s7, s26, s7
	s_xor_b32 s29, s7, -1
	s_delay_alu instid0(SALU_CYCLE_1)
	s_and_saveexec_b32 s7, s29
	s_cbranch_execz .LBB128_18
; %bb.17:
	v_lshlrev_b64 v[8:9], 3, v[28:29]
	s_delay_alu instid0(VALU_DEP_1) | instskip(NEXT) | instid1(VALU_DEP_2)
	v_add_co_u32 v6, vcc_lo, v6, v8
	v_add_co_ci_u32_e32 v7, vcc_lo, v7, v9, vcc_lo
	flat_load_b64 v[6:7], v[6:7] offset:1536
	s_waitcnt vmcnt(0) lgkmcnt(0)
	v_mul_f64 v[20:21], v[6:7], s[20:21]
.LBB128_18:
	s_or_b32 exec_lo, exec_lo, s7
	v_and_b32_e32 v4, 3, v221
	s_delay_alu instid0(VALU_DEP_1) | instskip(NEXT) | instid1(VALU_DEP_1)
	v_or_b32_e32 v4, 4, v4
	v_cmp_le_i32_e32 vcc_lo, s18, v4
	s_or_b32 s7, vcc_lo, s2
	s_delay_alu instid0(SALU_CYCLE_1) | instskip(SKIP_2) | instid1(SALU_CYCLE_1)
	v_cndmask_b32_e64 v7, 0, 0x7fefffff, s7
	v_cndmask_b32_e64 v6, 0, -1, s7
	s_or_b32 s7, s26, s7
	s_xor_b32 s29, s7, -1
	s_delay_alu instid0(SALU_CYCLE_1)
	s_and_saveexec_b32 s7, s29
	s_cbranch_execz .LBB128_20
; %bb.19:
	v_mad_i64_i32 v[6:7], null, v12, s30, 0
	s_delay_alu instid0(VALU_DEP_1) | instskip(NEXT) | instid1(VALU_DEP_1)
	v_lshlrev_b64 v[6:7], 3, v[6:7]
	v_add_co_u32 v4, vcc_lo, s24, v6
	s_delay_alu instid0(VALU_DEP_2) | instskip(NEXT) | instid1(VALU_DEP_2)
	v_add_co_ci_u32_e32 v5, vcc_lo, s25, v7, vcc_lo
	v_add_co_u32 v6, vcc_lo, v4, v25
	s_delay_alu instid0(VALU_DEP_2)
	v_add_co_ci_u32_e32 v7, vcc_lo, 0, v5, vcc_lo
	flat_load_b64 v[6:7], v[6:7] offset:32
	s_waitcnt vmcnt(0) lgkmcnt(0)
	v_mul_f64 v[6:7], v[6:7], s[20:21]
.LBB128_20:
	s_or_b32 exec_lo, exec_lo, s7
	v_add_nc_u32_e32 v4, 4, v117
	s_delay_alu instid0(VALU_DEP_1) | instskip(SKIP_1) | instid1(VALU_DEP_2)
	v_min_i32_e32 v5, s28, v4
	v_cmp_le_i32_e32 vcc_lo, s18, v4
	v_mad_i64_i32 v[8:9], null, s27, v5, 0
	s_or_b32 s29, s3, vcc_lo
	s_delay_alu instid0(SALU_CYCLE_1) | instskip(SKIP_1) | instid1(VALU_DEP_3)
	v_cndmask_b32_e64 v5, 0, 0x7fefffff, s29
	v_cndmask_b32_e64 v4, 0, -1, s29
	v_lshlrev_b64 v[10:11], 3, v[8:9]
	s_delay_alu instid0(VALU_DEP_1) | instskip(NEXT) | instid1(VALU_DEP_1)
	v_add_co_u32 v26, s7, s8, v10
	v_add_co_ci_u32_e64 v27, s7, s9, v11, s7
	s_or_b32 s7, s26, s29
	s_delay_alu instid0(SALU_CYCLE_1) | instskip(NEXT) | instid1(SALU_CYCLE_1)
	s_xor_b32 s7, s7, -1
	s_and_saveexec_b32 s29, s7
	s_cbranch_execz .LBB128_22
; %bb.21:
	v_lshlrev_b64 v[8:9], 3, v[28:29]
	s_delay_alu instid0(VALU_DEP_1) | instskip(NEXT) | instid1(VALU_DEP_1)
	v_add_co_u32 v8, s7, v26, v8
	v_add_co_ci_u32_e64 v9, s7, v27, v9, s7
	flat_load_b64 v[8:9], v[8:9]
	s_waitcnt vmcnt(0) lgkmcnt(0)
	v_mul_f64 v[4:5], v[8:9], s[20:21]
.LBB128_22:
	s_or_b32 exec_lo, exec_lo, s29
	s_or_b32 s7, s4, vcc_lo
	s_delay_alu instid0(SALU_CYCLE_1) | instskip(SKIP_2) | instid1(SALU_CYCLE_1)
	v_cndmask_b32_e64 v9, 0, 0x7fefffff, s7
	v_cndmask_b32_e64 v8, 0, -1, s7
	s_or_b32 s7, s26, s7
	s_xor_b32 s7, s7, -1
	s_delay_alu instid0(SALU_CYCLE_1)
	s_and_saveexec_b32 s29, s7
	s_cbranch_execz .LBB128_24
; %bb.23:
	v_lshlrev_b64 v[10:11], 3, v[28:29]
	s_delay_alu instid0(VALU_DEP_1) | instskip(NEXT) | instid1(VALU_DEP_1)
	v_add_co_u32 v10, s7, v26, v10
	v_add_co_ci_u32_e64 v11, s7, v27, v11, s7
	flat_load_b64 v[10:11], v[10:11] offset:512
	s_waitcnt vmcnt(0) lgkmcnt(0)
	v_mul_f64 v[8:9], v[10:11], s[20:21]
.LBB128_24:
	s_or_b32 exec_lo, exec_lo, s29
	s_or_b32 s7, s5, vcc_lo
	s_clause 0x2
	scratch_store_b64 off, v[4:5], off offset:312
	scratch_store_b64 off, v[6:7], off offset:304
	scratch_store_b32 off, v12, off offset:352
	v_cndmask_b32_e64 v5, 0, 0x7fefffff, s7
	v_cndmask_b32_e64 v4, 0, -1, s7
	s_or_b32 s7, s26, s7
	s_delay_alu instid0(SALU_CYCLE_1) | instskip(NEXT) | instid1(SALU_CYCLE_1)
	s_xor_b32 s7, s7, -1
	s_and_saveexec_b32 s29, s7
	s_cbranch_execz .LBB128_26
; %bb.25:
	v_lshlrev_b64 v[12:13], 3, v[28:29]
	s_delay_alu instid0(VALU_DEP_1) | instskip(NEXT) | instid1(VALU_DEP_1)
	v_add_co_u32 v12, s7, v26, v12
	v_add_co_ci_u32_e64 v13, s7, v27, v13, s7
	flat_load_b64 v[12:13], v[12:13] offset:1024
	s_waitcnt vmcnt(0) lgkmcnt(0)
	v_mul_f64 v[4:5], v[12:13], s[20:21]
.LBB128_26:
	s_or_b32 exec_lo, exec_lo, s29
	s_or_b32 s7, s6, vcc_lo
	s_clause 0x1
	scratch_store_b64 off, v[4:5], off offset:328
	scratch_store_b64 off, v[8:9], off offset:320
	v_cndmask_b32_e64 v5, 0, 0x7fefffff, s7
	v_cndmask_b32_e64 v4, 0, -1, s7
	s_or_b32 s29, s26, s7
	s_mov_b32 s7, -1
	s_xor_b32 s31, s29, -1
	s_delay_alu instid0(SALU_CYCLE_1)
	s_and_saveexec_b32 s29, s31
	s_cbranch_execz .LBB128_28
; %bb.27:
	v_lshlrev_b64 v[14:15], 3, v[28:29]
	s_delay_alu instid0(VALU_DEP_1) | instskip(NEXT) | instid1(VALU_DEP_2)
	v_add_co_u32 v14, vcc_lo, v26, v14
	v_add_co_ci_u32_e32 v15, vcc_lo, v27, v15, vcc_lo
	flat_load_b64 v[14:15], v[14:15] offset:1536
	s_waitcnt vmcnt(0) lgkmcnt(0)
	v_mul_f64 v[4:5], v[14:15], s[20:21]
.LBB128_28:
	s_or_b32 exec_lo, exec_lo, s29
	v_lshl_or_b32 v199, v24, 5, v25
	s_clause 0x1
	scratch_store_b64 off, v[4:5], off offset:336
	scratch_store_b64 off, v[28:29], off offset:344
	v_dual_mov_b32 v123, 0x7f800000 :: v_dual_lshlrev_b32 v4, 3, v117
	v_dual_mov_b32 v122, 0x7f800000 :: v_dual_mov_b32 v77, v23
	v_add_nc_u32_e32 v5, 0x4000, v199
	s_delay_alu instid0(VALU_DEP_3)
	v_lshl_add_u32 v4, v23, 5, v4
	v_dual_mov_b32 v124, 0x7f800000 :: v_dual_mov_b32 v125, 0x7f800000
	v_dual_mov_b32 v126, 0x7f800000 :: v_dual_mov_b32 v127, 0x7f800000
	scratch_store_b32 off, v5, off offset:368 ; 4-byte Folded Spill
	ds_store_b64 v199, v[0:1] offset:16384
	ds_store_2addr_stride64_b64 v4, v[2:3], v[16:17] offset1:4
	v_dual_mov_b32 v128, 0x7f800000 :: v_dual_mov_b32 v133, 0x7f800000
	v_dual_mov_b32 v198, 0x7f800000 :: v_dual_mov_b32 v131, 0x7f800000
	;; [unrolled: 1-line block ×28, first 2 shown]
	v_mov_b32_e32 v140, 0x7f800000
	v_mov_b32_e32 v142, 0x7f800000
	s_mov_b32 s29, 0
	s_clause 0x1
	scratch_store_b32 off, v4, off offset:364
	scratch_store_b32 off, v0, off
	ds_store_2addr_stride64_b64 v4, v[18:19], v[20:21] offset0:8 offset1:12
	s_waitcnt lgkmcnt(0)
	s_waitcnt_vscnt null, 0x0
	s_barrier
	buffer_gl0_inv
	scratch_store_b32 off, v22, off offset:4 ; 4-byte Folded Spill
.LBB128_29:                             ; =>This Inner Loop Header: Depth=1
	s_lshl_b32 s29, s29, 3
	v_mov_b32_e32 v81, v55
	v_lshl_add_u32 v20, v22, 5, s29
	v_lshl_add_u32 v4, v221, 5, s29
	v_mov_b32_e32 v82, v63
	s_mov_b32 s29, 2
	s_and_not1_b32 vcc_lo, exec_lo, s7
	ds_load_b128 v[16:19], v20
	ds_load_b128 v[0:3], v4 offset:16384
	ds_load_b128 v[103:106], v4 offset:16640
	;; [unrolled: 1-line block ×3, first 2 shown]
	s_mov_b32 s7, 0
	s_waitcnt lgkmcnt(2)
	v_add_f64 v[5:6], v[2:3], v[18:19]
	scratch_store_b64 off, v[5:6], off offset:40 ; 8-byte Folded Spill
	v_add_f64 v[5:6], v[0:1], v[16:17]
	scratch_store_b64 off, v[5:6], off offset:104 ; 8-byte Folded Spill
	s_waitcnt lgkmcnt(1)
	v_add_f64 v[5:6], v[105:106], v[18:19]
	scratch_store_b64 off, v[5:6], off offset:8 ; 8-byte Folded Spill
	v_add_f64 v[5:6], v[103:104], v[16:17]
	scratch_store_b64 off, v[5:6], off offset:72 ; 8-byte Folded Spill
	ds_load_b128 v[33:36], v4 offset:16896
	ds_load_b128 v[37:40], v4 offset:17152
	s_waitcnt lgkmcnt(1)
	v_add_f64 v[5:6], v[35:36], v[18:19]
	scratch_store_b64 off, v[5:6], off offset:48 ; 8-byte Folded Spill
	v_add_f64 v[5:6], v[33:34], v[16:17]
	scratch_store_b64 off, v[5:6], off offset:112 ; 8-byte Folded Spill
	s_waitcnt lgkmcnt(0)
	v_add_f64 v[5:6], v[39:40], v[18:19]
	scratch_store_b64 off, v[5:6], off offset:16 ; 8-byte Folded Spill
	v_add_f64 v[5:6], v[37:38], v[16:17]
	scratch_store_b64 off, v[5:6], off offset:80 ; 8-byte Folded Spill
	ds_load_b128 v[41:44], v4 offset:17408
	ds_load_b128 v[45:48], v4 offset:17664
	;; [unrolled: 1-line block ×4, first 2 shown]
	s_waitcnt lgkmcnt(3)
	v_add_f64 v[5:6], v[43:44], v[18:19]
	scratch_store_b64 off, v[5:6], off offset:56 ; 8-byte Folded Spill
	v_add_f64 v[5:6], v[41:42], v[16:17]
	scratch_store_b64 off, v[5:6], off offset:120 ; 8-byte Folded Spill
	s_waitcnt lgkmcnt(2)
	v_add_f64 v[5:6], v[47:48], v[18:19]
	scratch_store_b64 off, v[5:6], off offset:24 ; 8-byte Folded Spill
	v_add_f64 v[5:6], v[45:46], v[16:17]
	scratch_store_b64 off, v[5:6], off offset:88 ; 8-byte Folded Spill
	;; [unrolled: 5-line block ×4, first 2 shown]
	v_add_f64 v[4:5], v[2:3], v[31:32]
	scratch_store_b64 off, v[4:5], off offset:136 ; 8-byte Folded Spill
	v_add_f64 v[4:5], v[0:1], v[29:30]
	scratch_store_b64 off, v[4:5], off offset:144 ; 8-byte Folded Spill
	;; [unrolled: 2-line block ×16, first 2 shown]
	ds_load_b128 v[16:19], v20 offset:2048
	ds_load_b128 v[29:32], v20 offset:3072
	s_waitcnt lgkmcnt(1)
	v_add_f64 v[4:5], v[47:48], v[18:19]
	v_add_f64 v[172:173], v[2:3], v[18:19]
	;; [unrolled: 1-line block ×12, first 2 shown]
	s_waitcnt lgkmcnt(0)
	v_add_f64 v[174:175], v[2:3], v[31:32]
	v_add_f64 v[224:225], v[0:1], v[29:30]
	;; [unrolled: 1-line block ×16, first 2 shown]
	scratch_store_b64 off, v[4:5], off offset:280 ; 8-byte Folded Spill
	v_add_f64 v[4:5], v[51:52], v[18:19]
	scratch_store_b64 off, v[4:5], off offset:272 ; 8-byte Folded Spill
	v_add_f64 v[4:5], v[49:50], v[16:17]
	;; [unrolled: 2-line block ×4, first 2 shown]
	scratch_store_b64 off, v[4:5], off offset:288 ; 8-byte Folded Spill
	ds_load_b128 v[16:19], v20 offset:4096
	ds_load_b128 v[29:32], v20 offset:5120
	s_waitcnt lgkmcnt(1)
	v_add_f64 v[254:255], v[2:3], v[18:19]
	v_add_f64 v[23:24], v[0:1], v[16:17]
	v_add_f64 v[6:7], v[105:106], v[18:19]
	v_add_f64 v[8:9], v[103:104], v[16:17]
	v_add_f64 v[10:11], v[35:36], v[18:19]
	v_add_f64 v[12:13], v[33:34], v[16:17]
	v_add_f64 v[14:15], v[39:40], v[18:19]
	v_add_f64 v[144:145], v[37:38], v[16:17]
	v_add_f64 v[146:147], v[43:44], v[18:19]
	v_add_f64 v[4:5], v[41:42], v[16:17]
	v_add_f64 v[21:22], v[47:48], v[18:19]
	v_add_f64 v[109:110], v[45:46], v[16:17]
	v_add_f64 v[79:80], v[51:52], v[18:19]
	v_add_f64 v[107:108], v[49:50], v[16:17]
	v_add_f64 v[111:112], v[55:56], v[18:19]
	v_add_f64 v[75:76], v[53:54], v[16:17]
	s_waitcnt lgkmcnt(0)
	v_add_f64 v[162:163], v[2:3], v[31:32]
	v_add_f64 v[160:161], v[0:1], v[29:30]
	v_add_f64 v[158:159], v[105:106], v[31:32]
	v_add_f64 v[156:157], v[103:104], v[29:30]
	v_add_f64 v[154:155], v[35:36], v[31:32]
	v_add_f64 v[152:153], v[33:34], v[29:30]
	v_add_f64 v[150:151], v[39:40], v[31:32]
	v_add_f64 v[148:149], v[37:38], v[29:30]
	v_add_f64 v[61:62], v[43:44], v[31:32]
	v_add_f64 v[73:74], v[41:42], v[29:30]
	v_add_f64 v[71:72], v[47:48], v[31:32]
	v_add_f64 v[69:70], v[45:46], v[29:30]
	v_add_f64 v[67:68], v[51:52], v[31:32]
	v_add_f64 v[63:64], v[49:50], v[29:30]
	v_add_f64 v[59:60], v[55:56], v[31:32]
	v_add_f64 v[57:58], v[53:54], v[29:30]
	ds_load_b128 v[16:19], v20 offset:6144
	ds_load_b128 v[29:32], v20 offset:7168
	v_cvt_f32_f64_e32 v6, v[6:7]
	v_cvt_f32_f64_e32 v8, v[8:9]
	v_cvt_f32_f64_e32 v7, v[10:11]
	v_cvt_f32_f64_e32 v4, v[4:5]
	v_cvt_f32_f64_e32 v5, v[146:147]
	s_waitcnt lgkmcnt(1)
	v_add_f64 v[85:86], v[0:1], v[16:17]
	v_add_f64 v[89:90], v[103:104], v[16:17]
	;; [unrolled: 1-line block ×8, first 2 shown]
	s_waitcnt lgkmcnt(0)
	v_add_f64 v[0:1], v[0:1], v[29:30]
	v_add_f64 v[103:104], v[103:104], v[29:30]
	v_add_f64 v[33:34], v[33:34], v[29:30]
	v_add_f64 v[37:38], v[37:38], v[29:30]
	v_add_f64 v[41:42], v[41:42], v[29:30]
	v_add_f64 v[45:46], v[45:46], v[29:30]
	v_add_f64 v[49:50], v[49:50], v[29:30]
	v_add_f64 v[29:30], v[53:54], v[29:30]
	scratch_load_b64 v[53:54], off, off offset:104 ; 8-byte Folded Reload
	v_add_f64 v[83:84], v[2:3], v[18:19]
	v_add_f64 v[87:88], v[105:106], v[18:19]
	;; [unrolled: 1-line block ×11, first 2 shown]
	v_min3_f32 v135, v8, v6, v135
	v_cvt_f32_f64_e32 v6, v[12:13]
	v_add_f64 v[39:40], v[39:40], v[31:32]
	v_add_f64 v[43:44], v[43:44], v[31:32]
	v_add_f64 v[47:48], v[47:48], v[31:32]
	v_add_f64 v[51:52], v[51:52], v[31:32]
	v_add_f64 v[31:32], v[55:56], v[31:32]
	v_min3_f32 v116, v4, v5, v116
	v_cvt_f32_f64_e32 v5, v[21:22]
	v_cvt_f32_f64_e32 v4, v[109:110]
	v_mov_b32_e32 v55, v81
	scratch_load_b32 v22, off, off offset:4 ; 4-byte Folded Reload
	v_cvt_f32_f64_e32 v0, v[0:1]
	v_cvt_f32_f64_e32 v1, v[2:3]
	v_min3_f32 v134, v6, v7, v134
	v_cvt_f32_f64_e32 v6, v[144:145]
	v_cvt_f32_f64_e32 v7, v[14:15]
	v_min3_f32 v129, v4, v5, v129
	;; [unrolled: 3-line block ×4, first 2 shown]
	scratch_load_b32 v6, off, off           ; 4-byte Folded Reload
	v_min3_f32 v119, v4, v5, v119
	v_cvt_f32_f64_e32 v4, v[75:76]
	v_cvt_f32_f64_e32 v5, v[111:112]
	v_min3_f32 v128, v0, v1, v128
	v_cvt_f32_f64_e32 v0, v[33:34]
	v_cvt_f32_f64_e32 v1, v[35:36]
	s_delay_alu instid0(VALU_DEP_4) | instskip(SKIP_2) | instid1(VALU_DEP_4)
	v_min3_f32 v121, v4, v5, v121
	v_cvt_f32_f64_e32 v4, v[160:161]
	v_cvt_f32_f64_e32 v5, v[162:163]
	v_min3_f32 v127, v0, v1, v127
	v_cvt_f32_f64_e32 v0, v[37:38]
	v_cvt_f32_f64_e32 v1, v[39:40]
	s_delay_alu instid0(VALU_DEP_4) | instskip(SKIP_2) | instid1(VALU_DEP_4)
	;; [unrolled: 7-line block ×4, first 2 shown]
	v_min3_f32 v118, v4, v5, v118
	v_cvt_f32_f64_e32 v4, v[148:149]
	v_cvt_f32_f64_e32 v5, v[150:151]
	v_min3_f32 v124, v0, v1, v124
	v_cvt_f32_f64_e32 v0, v[49:50]
	v_cvt_f32_f64_e32 v1, v[51:52]
	s_delay_alu instid0(VALU_DEP_4)
	v_min3_f32 v113, v4, v5, v113
	v_cvt_f32_f64_e32 v4, v[73:74]
	v_cvt_f32_f64_e32 v5, v[61:62]
	s_waitcnt vmcnt(2)
	v_cvt_f32_f64_e32 v20, v[53:54]
	scratch_load_b64 v[53:54], off, off offset:40 ; 8-byte Folded Reload
	v_min3_f32 v123, v0, v1, v123
	v_cvt_f32_f64_e32 v0, v[29:30]
	v_cvt_f32_f64_e32 v1, v[31:32]
	v_min3_f32 v192, v4, v5, v192
	v_cvt_f32_f64_e32 v4, v[69:70]
	v_cvt_f32_f64_e32 v5, v[71:72]
	s_delay_alu instid0(VALU_DEP_4) | instskip(NEXT) | instid1(VALU_DEP_2)
	v_min3_f32 v122, v0, v1, v122
	v_min3_f32 v55, v4, v5, v55
	v_cvt_f32_f64_e32 v4, v[63:64]
	v_cvt_f32_f64_e32 v5, v[67:68]
	v_mov_b32_e32 v63, v82
	s_delay_alu instid0(VALU_DEP_2) | instskip(SKIP_2) | instid1(VALU_DEP_1)
	v_min3_f32 v210, v4, v5, v210
	v_cvt_f32_f64_e32 v4, v[57:58]
	v_cvt_f32_f64_e32 v5, v[59:60]
	v_min3_f32 v137, v4, v5, v137
	v_cvt_f32_f64_e32 v4, v[85:86]
	v_cvt_f32_f64_e32 v5, v[83:84]
	s_delay_alu instid0(VALU_DEP_1) | instskip(SKIP_2) | instid1(VALU_DEP_1)
	v_min3_f32 v115, v4, v5, v115
	v_cvt_f32_f64_e32 v4, v[89:90]
	v_cvt_f32_f64_e32 v5, v[87:88]
	v_min3_f32 v63, v4, v5, v63
	v_cvt_f32_f64_e32 v4, v[93:94]
	v_cvt_f32_f64_e32 v5, v[91:92]
	s_delay_alu instid0(VALU_DEP_1) | instskip(SKIP_2) | instid1(VALU_DEP_1)
	v_min3_f32 v235, v4, v5, v235
	v_cvt_f32_f64_e32 v4, v[208:209]
	v_cvt_f32_f64_e32 v5, v[101:102]
	v_min3_f32 v215, v4, v5, v215
	v_cvt_f32_f64_e32 v4, v[65:66]
	v_cvt_f32_f64_e32 v5, v[97:98]
	s_waitcnt vmcnt(0)
	v_cvt_f32_f64_e32 v53, v[53:54]
	s_delay_alu instid0(VALU_DEP_2) | instskip(SKIP_2) | instid1(VALU_DEP_4)
	v_min3_f32 v200, v4, v5, v200
	v_cvt_f32_f64_e32 v4, v[95:96]
	v_cvt_f32_f64_e32 v5, v[222:223]
	v_min3_f32 v143, v20, v53, v143
	scratch_load_b64 v[53:54], off, off offset:72 ; 8-byte Folded Reload
	v_min3_f32 v6, v4, v5, v6
	v_cvt_f32_f64_e32 v4, v[99:100]
	v_cvt_f32_f64_e32 v5, v[27:28]
	scratch_store_b32 off, v6, off          ; 4-byte Folded Spill
	v_min3_f32 v131, v4, v5, v131
	v_cvt_f32_f64_e32 v4, v[16:17]
	v_cvt_f32_f64_e32 v5, v[18:19]
	s_delay_alu instid0(VALU_DEP_1)
	v_min3_f32 v198, v4, v5, v198
	s_waitcnt vmcnt(0)
	v_cvt_f32_f64_e32 v20, v[53:54]
	scratch_load_b64 v[53:54], off, off offset:8 ; 8-byte Folded Reload
	s_waitcnt vmcnt(0)
	v_cvt_f32_f64_e32 v53, v[53:54]
	s_delay_alu instid0(VALU_DEP_1)
	v_min3_f32 v142, v20, v53, v142
	scratch_load_b64 v[53:54], off, off offset:112 ; 8-byte Folded Reload
	s_waitcnt vmcnt(0)
	v_cvt_f32_f64_e32 v20, v[53:54]
	scratch_load_b64 v[53:54], off, off offset:48 ; 8-byte Folded Reload
	s_waitcnt vmcnt(0)
	v_cvt_f32_f64_e32 v53, v[53:54]
	s_delay_alu instid0(VALU_DEP_1)
	v_min3_f32 v141, v20, v53, v141
	scratch_load_b64 v[53:54], off, off offset:80 ; 8-byte Folded Reload
	;; [unrolled: 8-line block ×14, first 2 shown]
	s_waitcnt vmcnt(0)
	v_cvt_f32_f64_e32 v20, v[53:54]
	scratch_load_b64 v[53:54], off, off offset:248 ; 8-byte Folded Reload
	s_waitcnt vmcnt(0)
	v_cvt_f32_f64_e32 v53, v[53:54]
	s_delay_alu instid0(VALU_DEP_1) | instskip(SKIP_2) | instid1(VALU_DEP_1)
	v_min3_f32 v213, v20, v53, v213
	v_cvt_f32_f64_e32 v20, v[166:167]
	v_cvt_f32_f64_e32 v53, v[172:173]
	v_min3_f32 v212, v20, v53, v212
	v_cvt_f32_f64_e32 v20, v[168:169]
	v_cvt_f32_f64_e32 v53, v[176:177]
	s_delay_alu instid0(VALU_DEP_1) | instskip(SKIP_2) | instid1(VALU_DEP_1)
	v_min3_f32 v211, v20, v53, v211
	v_cvt_f32_f64_e32 v20, v[170:171]
	v_cvt_f32_f64_e32 v53, v[180:181]
	v_min3_f32 v207, v20, v53, v207
	v_cvt_f32_f64_e32 v20, v[178:179]
	v_cvt_f32_f64_e32 v53, v[184:185]
	s_delay_alu instid0(VALU_DEP_1) | instskip(SKIP_2) | instid1(VALU_DEP_1)
	v_min3_f32 v206, v20, v53, v206
	v_cvt_f32_f64_e32 v20, v[182:183]
	v_cvt_f32_f64_e32 v53, v[188:189]
	v_min3_f32 v205, v20, v53, v205
	scratch_load_b64 v[53:54], off, off offset:280 ; 8-byte Folded Reload
	v_cvt_f32_f64_e32 v20, v[186:187]
	s_waitcnt vmcnt(0)
	v_cvt_f32_f64_e32 v53, v[53:54]
	s_delay_alu instid0(VALU_DEP_1)
	v_min3_f32 v204, v20, v53, v204
	scratch_load_b64 v[53:54], off, off offset:296 ; 8-byte Folded Reload
	s_waitcnt vmcnt(0)
	v_cvt_f32_f64_e32 v20, v[53:54]
	scratch_load_b64 v[53:54], off, off offset:272 ; 8-byte Folded Reload
	s_waitcnt vmcnt(0)
	v_cvt_f32_f64_e32 v53, v[53:54]
	s_delay_alu instid0(VALU_DEP_1)
	v_min3_f32 v203, v20, v53, v203
	scratch_load_b64 v[53:54], off, off offset:288 ; 8-byte Folded Reload
	s_waitcnt vmcnt(0)
	v_cvt_f32_f64_e32 v20, v[53:54]
	scratch_load_b64 v[53:54], off, off offset:264 ; 8-byte Folded Reload
	s_waitcnt vmcnt(0)
	v_cvt_f32_f64_e32 v53, v[53:54]
	s_delay_alu instid0(VALU_DEP_1) | instskip(SKIP_2) | instid1(VALU_DEP_1)
	v_min3_f32 v202, v20, v53, v202
	v_cvt_f32_f64_e32 v20, v[224:225]
	v_cvt_f32_f64_e32 v53, v[174:175]
	v_min3_f32 v196, v20, v53, v196
	v_cvt_f32_f64_e32 v20, v[228:229]
	v_cvt_f32_f64_e32 v53, v[226:227]
	s_delay_alu instid0(VALU_DEP_1) | instskip(SKIP_2) | instid1(VALU_DEP_1)
	v_min3_f32 v195, v20, v53, v195
	v_cvt_f32_f64_e32 v20, v[232:233]
	v_cvt_f32_f64_e32 v53, v[218:219]
	v_min3_f32 v194, v20, v53, v194
	v_cvt_f32_f64_e32 v20, v[236:237]
	;; [unrolled: 7-line block ×4, first 2 shown]
	v_cvt_f32_f64_e32 v53, v[250:251]
	s_delay_alu instid0(VALU_DEP_1) | instskip(SKIP_2) | instid1(VALU_DEP_1)
	v_min3_f32 v139, v20, v53, v139
	v_cvt_f32_f64_e32 v20, v[23:24]
	v_cvt_f32_f64_e32 v23, v[254:255]
	v_min3_f32 v138, v20, v23, v138
	s_cbranch_vccz .LBB128_29
; %bb.30:
	scratch_load_b64 v[1:2], off, off offset:304 ; 8-byte Folded Reload
	v_dual_mov_b32 v71, v194 :: v_dual_lshlrev_b32 v0, 5, v77
	v_dual_mov_b32 v99, v220 :: v_dual_mov_b32 v102, v213
	v_dual_mov_b32 v34, v216 :: v_dual_mov_b32 v103, v214
	s_delay_alu instid0(VALU_DEP_3)
	v_lshl_add_u32 v0, v117, 3, v0
	v_dual_mov_b32 v110, v212 :: v_dual_mov_b32 v41, v211
	v_dual_mov_b32 v107, v207 :: v_dual_mov_b32 v60, v204
	v_mov_b32_e32 v61, v205
	v_dual_mov_b32 v75, v203 :: v_dual_mov_b32 v70, v193
	v_dual_mov_b32 v73, v196 :: v_dual_mov_b32 v44, v139
	;; [unrolled: 1-line block ×3, first 2 shown]
	v_mov_b32_e32 v43, v138
	v_mov_b32_e32 v59, v130
	;; [unrolled: 1-line block ×3, first 2 shown]
	s_mov_b32 s29, 8
	s_cmp_gt_i32 s18, 8
	s_waitcnt vmcnt(0)
	ds_store_b64 v199, v[1:2] offset:18432
	s_clause 0x1
	scratch_load_b64 v[1:2], off, off offset:312
	scratch_load_b64 v[3:4], off, off offset:320
	s_waitcnt vmcnt(0)
	ds_store_2addr_stride64_b64 v0, v[1:2], v[3:4] offset0:16 offset1:20
	s_clause 0x1
	scratch_load_b64 v[1:2], off, off offset:328
	scratch_load_b64 v[3:4], off, off offset:336
	s_waitcnt vmcnt(0)
	ds_store_2addr_stride64_b64 v0, v[1:2], v[3:4] offset0:24 offset1:28
	s_waitcnt lgkmcnt(0)
	s_waitcnt_vscnt null, 0x0
	s_barrier
	buffer_gl0_inv
	scratch_store_b32 off, v221, off offset:8 ; 4-byte Folded Spill
	s_cbranch_scc0 .LBB128_58
; %bb.31:
	scratch_load_b32 v3, off, off offset:352 ; 4-byte Folded Reload
	v_or_b32_e32 v0, 0x2000, v0
	v_mov_b32_e32 v7, 0
	v_mov_b32_e32 v109, v59
	;; [unrolled: 1-line block ×6, first 2 shown]
	scratch_store_b32 off, v0, off offset:376 ; 4-byte Folded Spill
	s_waitcnt vmcnt(0)
	v_mad_i64_i32 v[1:2], null, v3, s30, 0
	v_add_nc_u32_e32 v3, 0x4800, v199
	scratch_store_b32 off, v3, off offset:372 ; 4-byte Folded Spill
	v_lshlrev_b64 v[1:2], 3, v[1:2]
	s_delay_alu instid0(VALU_DEP_1) | instskip(NEXT) | instid1(VALU_DEP_2)
	v_add_co_u32 v0, vcc_lo, s24, v1
	v_add_co_ci_u32_e32 v1, vcc_lo, s25, v2, vcc_lo
	scratch_load_b64 v[2:3], off, off offset:344 ; 8-byte Folded Reload
	scratch_store_b32 off, v0, off offset:384 ; 4-byte Folded Spill
	v_add_co_u32 v0, vcc_lo, v0, 32
	s_add_i32 s24, s18, -8
	s_mov_b32 s25, 0
	s_clause 0x1
	scratch_store_b32 off, v0, off offset:392
	scratch_store_b32 off, v1, off offset:388
	v_add_co_ci_u32_e32 v0, vcc_lo, 0, v1, vcc_lo
	scratch_store_b32 off, v0, off offset:396 ; 4-byte Folded Spill
	s_waitcnt vmcnt(0)
	v_lshlrev_b64 v[4:5], 3, v[2:3]
	s_clause 0x1
	scratch_store_b32 off, v117, off offset:380
	scratch_store_b64 off, v[4:5], off offset:312
.LBB128_32:                             ; =>This Loop Header: Depth=1
                                        ;     Child Loop BB128_43 Depth 2
                                        ;     Child Loop BB128_55 Depth 2
	scratch_load_b32 v0, off, off offset:360 ; 4-byte Folded Reload
	s_waitcnt vmcnt(0)
	v_or_b32_e32 v6, s29, v0
	s_delay_alu instid0(VALU_DEP_1) | instskip(SKIP_1) | instid1(SALU_CYCLE_1)
	v_cmp_le_i32_e32 vcc_lo, s18, v6
	s_or_b32 s7, vcc_lo, s2
	v_cndmask_b32_e64 v9, 0, 0x7fefffff, s7
	v_cndmask_b32_e64 v8, 0, -1, s7
	s_or_b32 s7, s26, s7
	s_delay_alu instid0(SALU_CYCLE_1) | instskip(SKIP_3) | instid1(SALU_CYCLE_1)
	s_xor_b32 s30, s7, -1
	s_mov_b32 s7, exec_lo
	v_dual_mov_b32 v74, v60 :: v_dual_mov_b32 v79, v110
	s_and_b32 s30, s7, s30
	s_mov_b32 exec_lo, s30
	s_cbranch_execz .LBB128_34
; %bb.33:                               ;   in Loop: Header=BB128_32 Depth=1
	scratch_load_b32 v2, off, off offset:384 ; 4-byte Folded Reload
	v_lshlrev_b64 v[0:1], 3, v[6:7]
	s_waitcnt vmcnt(0)
	s_delay_alu instid0(VALU_DEP_1)
	v_add_co_u32 v0, vcc_lo, v2, v0
	scratch_load_b32 v2, off, off offset:388 ; 4-byte Folded Reload
	s_waitcnt vmcnt(0)
	v_add_co_ci_u32_e32 v1, vcc_lo, v2, v1, vcc_lo
	flat_load_b64 v[0:1], v[0:1]
	s_waitcnt vmcnt(0) lgkmcnt(0)
	v_mul_f64 v[8:9], v[0:1], s[20:21]
.LBB128_34:                             ;   in Loop: Header=BB128_32 Depth=1
	s_or_b32 exec_lo, exec_lo, s7
	v_add_nc_u32_e32 v2, s29, v117
	s_delay_alu instid0(VALU_DEP_1) | instskip(SKIP_1) | instid1(VALU_DEP_2)
	v_min_i32_e32 v3, s28, v2
	v_cmp_le_i32_e32 vcc_lo, s18, v2
	v_mad_i64_i32 v[0:1], null, v3, s27, 0
	s_or_b32 s30, s3, vcc_lo
	s_delay_alu instid0(SALU_CYCLE_1) | instskip(SKIP_1) | instid1(VALU_DEP_3)
	v_cndmask_b32_e64 v11, 0, 0x7fefffff, s30
	v_cndmask_b32_e64 v10, 0, -1, s30
	v_lshlrev_b64 v[0:1], 3, v[0:1]
	s_delay_alu instid0(VALU_DEP_1) | instskip(NEXT) | instid1(VALU_DEP_1)
	v_add_co_u32 v0, s7, s8, v0
	v_add_co_ci_u32_e64 v1, s7, s9, v1, s7
	s_or_b32 s7, s26, s30
	s_delay_alu instid0(SALU_CYCLE_1) | instskip(NEXT) | instid1(SALU_CYCLE_1)
	s_xor_b32 s7, s7, -1
	s_and_saveexec_b32 s30, s7
	s_cbranch_execz .LBB128_36
; %bb.35:                               ;   in Loop: Header=BB128_32 Depth=1
	v_add_co_u32 v2, s7, v0, v4
	s_delay_alu instid0(VALU_DEP_1)
	v_add_co_ci_u32_e64 v3, s7, v1, v5, s7
	flat_load_b64 v[2:3], v[2:3]
	s_waitcnt vmcnt(0) lgkmcnt(0)
	v_mul_f64 v[10:11], v[2:3], s[20:21]
.LBB128_36:                             ;   in Loop: Header=BB128_32 Depth=1
	s_or_b32 exec_lo, exec_lo, s30
	s_or_b32 s7, s4, vcc_lo
	s_delay_alu instid0(SALU_CYCLE_1) | instskip(SKIP_2) | instid1(SALU_CYCLE_1)
	v_cndmask_b32_e64 v13, 0, 0x7fefffff, s7
	v_cndmask_b32_e64 v12, 0, -1, s7
	s_or_b32 s7, s26, s7
	s_xor_b32 s7, s7, -1
	s_delay_alu instid0(SALU_CYCLE_1)
	s_and_saveexec_b32 s30, s7
	s_cbranch_execz .LBB128_38
; %bb.37:                               ;   in Loop: Header=BB128_32 Depth=1
	v_add_co_u32 v2, s7, v0, v4
	s_delay_alu instid0(VALU_DEP_1)
	v_add_co_ci_u32_e64 v3, s7, v1, v5, s7
	flat_load_b64 v[2:3], v[2:3] offset:512
	s_waitcnt vmcnt(0) lgkmcnt(0)
	v_mul_f64 v[12:13], v[2:3], s[20:21]
.LBB128_38:                             ;   in Loop: Header=BB128_32 Depth=1
	s_or_b32 exec_lo, exec_lo, s30
	s_or_b32 s7, s5, vcc_lo
	s_clause 0x2
	scratch_store_b64 off, v[10:11], off offset:328
	scratch_store_b64 off, v[8:9], off offset:320
	;; [unrolled: 1-line block ×3, first 2 shown]
	v_cndmask_b32_e64 v3, 0, 0x7fefffff, s7
	v_cndmask_b32_e64 v2, 0, -1, s7
	s_or_b32 s7, s26, s7
	s_delay_alu instid0(SALU_CYCLE_1) | instskip(NEXT) | instid1(SALU_CYCLE_1)
	s_xor_b32 s7, s7, -1
	s_and_saveexec_b32 s30, s7
	s_cbranch_execz .LBB128_40
; %bb.39:                               ;   in Loop: Header=BB128_32 Depth=1
	v_add_co_u32 v2, s7, v0, v4
	s_delay_alu instid0(VALU_DEP_1)
	v_add_co_ci_u32_e64 v3, s7, v1, v5, s7
	flat_load_b64 v[2:3], v[2:3] offset:1024
	s_waitcnt vmcnt(0) lgkmcnt(0)
	v_mul_f64 v[2:3], v[2:3], s[20:21]
.LBB128_40:                             ;   in Loop: Header=BB128_32 Depth=1
	s_or_b32 exec_lo, exec_lo, s30
	s_or_b32 s7, s6, vcc_lo
	v_dual_mov_b32 v194, v78 :: v_dual_mov_b32 v53, v61
	v_dual_mov_b32 v36, v103 :: v_dual_mov_b32 v119, v46
	;; [unrolled: 1-line block ×3, first 2 shown]
	v_mov_b32_e32 v72, v202
	v_mov_b32_e32 v204, v135
	v_mov_b32_e32 v130, v109
	v_cndmask_b32_e64 v7, 0, 0x7fefffff, s7
	v_cndmask_b32_e64 v6, 0, -1, s7
	s_or_b32 s7, s26, s7
	scratch_store_b64 off, v[12:13], off offset:336 ; 8-byte Folded Spill
	s_xor_b32 s30, s7, -1
	s_delay_alu instid0(SALU_CYCLE_1)
	s_and_saveexec_b32 s7, s30
	s_cbranch_execz .LBB128_42
; %bb.41:                               ;   in Loop: Header=BB128_32 Depth=1
	v_add_co_u32 v0, vcc_lo, v0, v4
	v_add_co_ci_u32_e32 v1, vcc_lo, v1, v5, vcc_lo
	flat_load_b64 v[0:1], v[0:1] offset:1536
	s_waitcnt vmcnt(0) lgkmcnt(0)
	v_mul_f64 v[6:7], v[0:1], s[20:21]
.LBB128_42:                             ;   in Loop: Header=BB128_32 Depth=1
	s_or_b32 exec_lo, exec_lo, s7
	v_dual_mov_b32 v51, v134 :: v_dual_mov_b32 v64, v44
	v_mov_b32_e32 v68, v70
	v_mov_b32_e32 v70, v195
	v_dual_mov_b32 v195, v99 :: v_dual_mov_b32 v54, v206
	v_mov_b32_e32 v44, v102
	s_mov_b32 s30, 0
	s_mov_b32 s7, -1
	s_clause 0x1
	scratch_store_b64 off, v[6:7], off offset:352
	scratch_store_b64 off, v[2:3], off offset:344
.LBB128_43:                             ;   Parent Loop BB128_32 Depth=1
                                        ; =>  This Inner Loop Header: Depth=2
	s_lshl_b32 s30, s30, 3
	v_dual_mov_b32 v205, v43 :: v_dual_mov_b32 v52, v120
	v_lshl_add_u32 v20, v22, 5, s30
	v_lshl_add_u32 v4, v221, 5, s30
	v_dual_mov_b32 v199, v41 :: v_dual_mov_b32 v78, v235
	ds_load_b128 v[46:49], v20 offset:8192
	ds_load_b128 v[0:3], v4 offset:18432
	;; [unrolled: 1-line block ×4, first 2 shown]
	v_mov_b32_e32 v235, v63
	s_mov_b32 s30, 2
	s_and_not1_b32 vcc_lo, exec_lo, s7
	s_mov_b32 s7, 0
	s_waitcnt lgkmcnt(2)
	v_add_f64 v[144:145], v[0:1], v[46:47]
	s_waitcnt lgkmcnt(1)
	v_add_f64 v[5:6], v[156:157], v[48:49]
	v_add_f64 v[18:19], v[2:3], v[48:49]
	s_delay_alu instid0(VALU_DEP_3)
	v_cvt_f32_f64_e32 v120, v[144:145]
	v_mov_b32_e32 v144, v121
	scratch_store_b64 off, v[5:6], off offset:16 ; 8-byte Folded Spill
	v_add_f64 v[5:6], v[154:155], v[46:47]
	v_cvt_f32_f64_e32 v121, v[18:19]
	scratch_store_b64 off, v[5:6], off offset:72 ; 8-byte Folded Spill
	ds_load_b128 v[162:165], v4 offset:18944
	ds_load_b128 v[166:169], v4 offset:19200
	v_min3_f32 v143, v120, v121, v143
	s_waitcnt lgkmcnt(1)
	v_add_f64 v[5:6], v[164:165], v[48:49]
	s_waitcnt lgkmcnt(0)
	v_add_f64 v[42:43], v[166:167], v[158:159]
	scratch_store_b64 off, v[5:6], off offset:48 ; 8-byte Folded Spill
	v_add_f64 v[5:6], v[162:163], v[46:47]
	v_cvt_f32_f64_e32 v42, v[42:43]
	scratch_store_b64 off, v[5:6], off offset:104 ; 8-byte Folded Spill
	v_add_f64 v[5:6], v[168:169], v[48:49]
	scratch_store_b64 off, v[5:6], off offset:24 ; 8-byte Folded Spill
	v_add_f64 v[5:6], v[166:167], v[46:47]
	scratch_store_b64 off, v[5:6], off offset:80 ; 8-byte Folded Spill
	ds_load_b128 v[170:173], v4 offset:19456
	ds_load_b128 v[174:177], v4 offset:19712
	s_waitcnt lgkmcnt(1)
	v_add_f64 v[5:6], v[172:173], v[48:49]
	scratch_store_b64 off, v[5:6], off offset:56 ; 8-byte Folded Spill
	v_add_f64 v[5:6], v[170:171], v[46:47]
	scratch_store_b64 off, v[5:6], off offset:112 ; 8-byte Folded Spill
	s_waitcnt lgkmcnt(0)
	v_add_f64 v[5:6], v[176:177], v[48:49]
	scratch_store_b64 off, v[5:6], off offset:32 ; 8-byte Folded Spill
	v_add_f64 v[5:6], v[174:175], v[46:47]
	scratch_store_b64 off, v[5:6], off offset:88 ; 8-byte Folded Spill
	ds_load_b128 v[178:181], v4 offset:19968
	ds_load_b128 v[182:185], v4 offset:20224
	s_waitcnt lgkmcnt(1)
	v_add_f64 v[4:5], v[180:181], v[48:49]
	s_waitcnt lgkmcnt(0)
	v_add_f64 v[40:41], v[182:183], v[158:159]
	scratch_store_b64 off, v[4:5], off offset:64 ; 8-byte Folded Spill
	v_add_f64 v[4:5], v[178:179], v[46:47]
	v_cvt_f32_f64_e32 v40, v[40:41]
	scratch_store_b64 off, v[4:5], off offset:120 ; 8-byte Folded Spill
	v_add_f64 v[4:5], v[184:185], v[48:49]
	scratch_store_b64 off, v[4:5], off offset:40 ; 8-byte Folded Spill
	v_add_f64 v[4:5], v[182:183], v[46:47]
	v_add_f64 v[46:47], v[162:163], v[158:159]
	scratch_store_b64 off, v[4:5], off offset:96 ; 8-byte Folded Spill
	v_add_f64 v[4:5], v[2:3], v[160:161]
	v_cvt_f32_f64_e32 v46, v[46:47]
	scratch_store_b64 off, v[4:5], off offset:128 ; 8-byte Folded Spill
	v_add_f64 v[4:5], v[0:1], v[158:159]
	scratch_store_b64 off, v[4:5], off offset:136 ; 8-byte Folded Spill
	v_add_f64 v[4:5], v[156:157], v[160:161]
	;; [unrolled: 2-line block ×12, first 2 shown]
	scratch_store_b64 off, v[4:5], off offset:224 ; 8-byte Folded Spill
	ds_load_b128 v[158:161], v20 offset:10240
	ds_load_b128 v[186:189], v20 offset:11264
	s_waitcnt lgkmcnt(1)
	v_add_f64 v[4:5], v[164:165], v[160:161]
	v_add_f64 v[146:147], v[2:3], v[160:161]
	v_add_f64 v[28:29], v[0:1], v[158:159]
	v_add_f64 v[190:191], v[156:157], v[160:161]
	v_add_f64 v[32:33], v[154:155], v[158:159]
	v_add_f64 v[48:49], v[162:163], v[158:159]
	v_add_f64 v[66:67], v[166:167], v[158:159]
	v_add_f64 v[208:209], v[170:171], v[158:159]
	s_waitcnt lgkmcnt(0)
	v_add_f64 v[222:223], v[2:3], v[188:189]
	v_add_f64 v[224:225], v[0:1], v[186:187]
	v_add_f64 v[226:227], v[156:157], v[188:189]
	v_add_f64 v[228:229], v[154:155], v[186:187]
	v_add_f64 v[30:31], v[164:165], v[188:189]
	v_add_f64 v[232:233], v[162:163], v[186:187]
	v_add_f64 v[82:83], v[168:169], v[188:189]
	v_add_f64 v[236:237], v[166:167], v[186:187]
	v_add_f64 v[238:239], v[172:173], v[188:189]
	v_add_f64 v[240:241], v[170:171], v[186:187]
	v_add_f64 v[242:243], v[176:177], v[188:189]
	v_add_f64 v[244:245], v[174:175], v[186:187]
	v_add_f64 v[246:247], v[180:181], v[188:189]
	v_add_f64 v[248:249], v[178:179], v[186:187]
	v_add_f64 v[250:251], v[184:185], v[188:189]
	v_add_f64 v[252:253], v[182:183], v[186:187]
	scratch_store_b64 off, v[4:5], off offset:296 ; 8-byte Folded Spill
	v_add_f64 v[4:5], v[168:169], v[160:161]
	scratch_store_b64 off, v[4:5], off offset:280 ; 8-byte Folded Spill
	v_add_f64 v[4:5], v[172:173], v[160:161]
	;; [unrolled: 2-line block ×8, first 2 shown]
	scratch_store_b64 off, v[4:5], off offset:256 ; 8-byte Folded Spill
	ds_load_b128 v[158:161], v20 offset:12288
	ds_load_b128 v[186:189], v20 offset:13312
	s_waitcnt lgkmcnt(1)
	v_add_f64 v[254:255], v[2:3], v[160:161]
	v_add_f64 v[152:153], v[0:1], v[158:159]
	;; [unrolled: 1-line block ×16, first 2 shown]
	s_waitcnt lgkmcnt(0)
	v_add_f64 v[86:87], v[2:3], v[188:189]
	v_add_f64 v[88:89], v[0:1], v[186:187]
	;; [unrolled: 1-line block ×16, first 2 shown]
	ds_load_b128 v[158:161], v20 offset:14336
	ds_load_b128 v[186:189], v20 offset:15360
	scratch_load_b64 v[18:19], off, off offset:72 ; 8-byte Folded Reload
	v_cvt_f32_f64_e32 v4, v[4:5]
	v_cvt_f32_f64_e32 v6, v[6:7]
	;; [unrolled: 1-line block ×3, first 2 shown]
	s_waitcnt lgkmcnt(1)
	v_add_f64 v[20:21], v[2:3], v[160:161]
	v_add_f64 v[104:105], v[0:1], v[158:159]
	;; [unrolled: 1-line block ×9, first 2 shown]
	s_waitcnt lgkmcnt(0)
	v_add_f64 v[2:3], v[2:3], v[188:189]
	v_add_f64 v[0:1], v[0:1], v[186:187]
	;; [unrolled: 1-line block ×21, first 2 shown]
	v_min3_f32 v51, v6, v4, v51
	v_cvt_f32_f64_e32 v4, v[10:11]
	v_add_f64 v[184:185], v[184:185], v[188:189]
	v_add_f64 v[182:183], v[182:183], v[186:187]
	v_cvt_f32_f64_e32 v0, v[0:1]
	v_cvt_f32_f64_e32 v1, v[2:3]
	v_min3_f32 v130, v4, v5, v130
	v_cvt_f32_f64_e32 v4, v[14:15]
	v_cvt_f32_f64_e32 v5, v[12:13]
	s_delay_alu instid0(VALU_DEP_4) | instskip(SKIP_2) | instid1(VALU_DEP_4)
	v_min3_f32 v133, v0, v1, v133
	v_cvt_f32_f64_e32 v0, v[154:155]
	v_cvt_f32_f64_e32 v1, v[156:157]
	v_min3_f32 v116, v4, v5, v116
	v_cvt_f32_f64_e32 v4, v[138:139]
	v_cvt_f32_f64_e32 v5, v[16:17]
	s_delay_alu instid0(VALU_DEP_4) | instskip(SKIP_2) | instid1(VALU_DEP_4)
	v_min3_f32 v128, v0, v1, v128
	;; [unrolled: 7-line block ×3, first 2 shown]
	v_cvt_f32_f64_e32 v0, v[166:167]
	v_cvt_f32_f64_e32 v1, v[168:169]
	v_min3_f32 v119, v4, v5, v119
	v_cvt_f32_f64_e32 v4, v[84:85]
	v_cvt_f32_f64_e32 v5, v[134:135]
	s_delay_alu instid0(VALU_DEP_4) | instskip(SKIP_2) | instid1(VALU_DEP_1)
	v_min3_f32 v126, v0, v1, v126
	v_cvt_f32_f64_e32 v0, v[170:171]
	v_cvt_f32_f64_e32 v1, v[172:173]
	v_min3_f32 v125, v0, v1, v125
	v_cvt_f32_f64_e32 v0, v[174:175]
	v_cvt_f32_f64_e32 v1, v[176:177]
	s_delay_alu instid0(VALU_DEP_1)
	v_min3_f32 v124, v0, v1, v124
	v_cvt_f32_f64_e32 v0, v[178:179]
	v_cvt_f32_f64_e32 v1, v[180:181]
	s_waitcnt vmcnt(0)
	v_cvt_f32_f64_e32 v120, v[18:19]
	scratch_load_b64 v[18:19], off, off offset:16 ; 8-byte Folded Reload
	v_min3_f32 v123, v0, v1, v123
	v_cvt_f32_f64_e32 v0, v[182:183]
	v_cvt_f32_f64_e32 v1, v[184:185]
	s_delay_alu instid0(VALU_DEP_1)
	v_min3_f32 v122, v0, v1, v122
	s_waitcnt vmcnt(0)
	v_cvt_f32_f64_e32 v121, v[18:19]
	scratch_load_b64 v[18:19], off, off offset:104 ; 8-byte Folded Reload
	v_min3_f32 v142, v120, v121, v142
	s_waitcnt vmcnt(0)
	v_cvt_f32_f64_e32 v120, v[18:19]
	scratch_load_b64 v[18:19], off, off offset:48 ; 8-byte Folded Reload
	s_waitcnt vmcnt(0)
	v_cvt_f32_f64_e32 v121, v[18:19]
	scratch_load_b64 v[18:19], off, off offset:80 ; 8-byte Folded Reload
	v_min3_f32 v141, v120, v121, v141
	s_waitcnt vmcnt(0)
	v_cvt_f32_f64_e32 v120, v[18:19]
	scratch_load_b64 v[18:19], off, off offset:24 ; 8-byte Folded Reload
	;; [unrolled: 7-line block ×7, first 2 shown]
	s_waitcnt vmcnt(0)
	v_cvt_f32_f64_e32 v121, v[18:19]
	scratch_load_b64 v[18:19], off, off offset:152 ; 8-byte Folded Reload
	v_min3_f32 v234, v120, v121, v234
	v_mov_b32_e32 v121, v144
	v_mov_b32_e32 v120, v52
	s_delay_alu instid0(VALU_DEP_2) | instskip(SKIP_2) | instid1(VALU_DEP_1)
	v_min3_f32 v121, v4, v5, v121
	v_cvt_f32_f64_e32 v4, v[88:89]
	v_cvt_f32_f64_e32 v5, v[86:87]
	v_min3_f32 v120, v4, v5, v120
	v_cvt_f32_f64_e32 v4, v[92:93]
	v_cvt_f32_f64_e32 v5, v[90:91]
	s_delay_alu instid0(VALU_DEP_1) | instskip(SKIP_2) | instid1(VALU_DEP_1)
	v_min3_f32 v35, v4, v5, v35
	v_cvt_f32_f64_e32 v4, v[94:95]
	v_cvt_f32_f64_e32 v5, v[24:25]
	v_min3_f32 v118, v4, v5, v118
	v_cvt_f32_f64_e32 v4, v[96:97]
	v_cvt_f32_f64_e32 v5, v[22:23]
	scratch_load_b32 v22, off, off offset:4 ; 4-byte Folded Reload
	v_min3_f32 v193, v4, v5, v193
	v_cvt_f32_f64_e32 v4, v[56:57]
	v_cvt_f32_f64_e32 v5, v[98:99]
	s_delay_alu instid0(VALU_DEP_1) | instskip(SKIP_2) | instid1(VALU_DEP_1)
	v_min3_f32 v192, v4, v5, v192
	v_cvt_f32_f64_e32 v4, v[60:61]
	v_cvt_f32_f64_e32 v5, v[58:59]
	v_min3_f32 v55, v4, v5, v55
	v_cvt_f32_f64_e32 v4, v[100:101]
	v_cvt_f32_f64_e32 v5, v[62:63]
	v_mov_b32_e32 v63, v235
	v_mov_b32_e32 v235, v78
	s_waitcnt vmcnt(1)
	v_cvt_f32_f64_e32 v52, v[18:19]
	scratch_load_b64 v[18:19], off, off offset:144 ; 8-byte Folded Reload
	v_min3_f32 v39, v4, v5, v39
	v_cvt_f32_f64_e32 v4, v[102:103]
	v_cvt_f32_f64_e32 v5, v[76:77]
	s_delay_alu instid0(VALU_DEP_1) | instskip(SKIP_2) | instid1(VALU_DEP_1)
	v_min3_f32 v137, v4, v5, v137
	v_cvt_f32_f64_e32 v4, v[104:105]
	v_cvt_f32_f64_e32 v5, v[20:21]
	v_min3_f32 v115, v4, v5, v115
	v_cvt_f32_f64_e32 v4, v[108:109]
	v_cvt_f32_f64_e32 v5, v[106:107]
	s_delay_alu instid0(VALU_DEP_1) | instskip(SKIP_2) | instid1(VALU_DEP_1)
	v_min3_f32 v63, v4, v5, v63
	v_cvt_f32_f64_e32 v4, v[112:113]
	v_cvt_f32_f64_e32 v5, v[110:111]
	v_min3_f32 v235, v4, v5, v235
	v_cvt_f32_f64_e32 v4, v[214:215]
	v_cvt_f32_f64_e32 v5, v[218:219]
	s_delay_alu instid0(VALU_DEP_1)
	v_min3_f32 v37, v4, v5, v37
	v_cvt_f32_f64_e32 v4, v[220:221]
	s_clause 0x1
	scratch_load_b32 v221, off, off offset:8
	scratch_load_b32 v6, off, off
	v_cvt_f32_f64_e32 v5, v[210:211]
	s_delay_alu instid0(VALU_DEP_1)
	v_min3_f32 v200, v4, v5, v200
	v_cvt_f32_f64_e32 v4, v[216:217]
	v_cvt_f32_f64_e32 v5, v[206:207]
	s_waitcnt vmcnt(2)
	v_cvt_f32_f64_e32 v50, v[18:19]
	scratch_load_b64 v[18:19], off, off offset:160 ; 8-byte Folded Reload
	v_min3_f32 v230, v52, v50, v230
	s_waitcnt vmcnt(1)
	v_min3_f32 v6, v4, v5, v6
	v_cvt_f32_f64_e32 v4, v[212:213]
	v_cvt_f32_f64_e32 v5, v[202:203]
	scratch_store_b32 off, v6, off          ; 4-byte Folded Spill
	v_min3_f32 v131, v4, v5, v131
	v_cvt_f32_f64_e32 v4, v[158:159]
	v_cvt_f32_f64_e32 v5, v[160:161]
	s_delay_alu instid0(VALU_DEP_1)
	v_min3_f32 v198, v4, v5, v198
	s_waitcnt vmcnt(0)
	v_cvt_f32_f64_e32 v47, v[18:19]
	scratch_load_b64 v[18:19], off, off offset:168 ; 8-byte Folded Reload
	v_min3_f32 v195, v46, v47, v195
	s_waitcnt vmcnt(0)
	v_cvt_f32_f64_e32 v43, v[18:19]
	scratch_load_b64 v[18:19], off, off offset:184 ; 8-byte Folded Reload
	;; [unrolled: 4-line block ×3, first 2 shown]
	s_waitcnt vmcnt(0)
	v_cvt_f32_f64_e32 v43, v[18:19]
	scratch_load_b64 v[18:19], off, off offset:200 ; 8-byte Folded Reload
	v_min3_f32 v231, v42, v43, v231
	s_waitcnt vmcnt(0)
	v_cvt_f32_f64_e32 v42, v[18:19]
	scratch_load_b64 v[18:19], off, off offset:192 ; 8-byte Folded Reload
	s_waitcnt vmcnt(0)
	v_cvt_f32_f64_e32 v43, v[18:19]
	scratch_load_b64 v[18:19], off, off offset:216 ; 8-byte Folded Reload
	v_min3_f32 v34, v42, v43, v34
	s_waitcnt vmcnt(0)
	v_cvt_f32_f64_e32 v42, v[18:19]
	scratch_load_b64 v[18:19], off, off offset:208 ; 8-byte Folded Reload
	s_waitcnt vmcnt(0)
	v_cvt_f32_f64_e32 v43, v[18:19]
	scratch_load_b64 v[18:19], off, off offset:224 ; 8-byte Folded Reload
	v_min3_f32 v36, v42, v43, v36
	v_mov_b32_e32 v43, v205
	s_waitcnt vmcnt(0)
	v_cvt_f32_f64_e32 v41, v[18:19]
	scratch_load_b64 v[18:19], off, off offset:296 ; 8-byte Folded Reload
	v_min3_f32 v44, v40, v41, v44
	v_cvt_f32_f64_e32 v40, v[28:29]
	v_cvt_f32_f64_e32 v28, v[48:49]
	;; [unrolled: 1-line block ×3, first 2 shown]
	s_delay_alu instid0(VALU_DEP_1) | instskip(SKIP_2) | instid1(VALU_DEP_1)
	v_min3_f32 v79, v40, v41, v79
	v_cvt_f32_f64_e32 v40, v[32:33]
	v_cvt_f32_f64_e32 v41, v[190:191]
	v_min3_f32 v41, v40, v41, v199
	s_waitcnt vmcnt(0)
	v_cvt_f32_f64_e32 v29, v[18:19]
	scratch_load_b64 v[18:19], off, off offset:280 ; 8-byte Folded Reload
	v_min3_f32 v38, v28, v29, v38
	v_cvt_f32_f64_e32 v28, v[66:67]
	s_waitcnt vmcnt(0)
	v_cvt_f32_f64_e32 v18, v[18:19]
	s_delay_alu instid0(VALU_DEP_1)
	v_min3_f32 v54, v28, v18, v54
	scratch_load_b64 v[28:29], off, off offset:264 ; 8-byte Folded Reload
	v_cvt_f32_f64_e32 v18, v[208:209]
	s_waitcnt vmcnt(0)
	v_cvt_f32_f64_e32 v19, v[28:29]
	scratch_load_b64 v[28:29], off, off offset:248 ; 8-byte Folded Reload
	v_min3_f32 v53, v18, v19, v53
	scratch_load_b64 v[18:19], off, off offset:288 ; 8-byte Folded Reload
	s_waitcnt vmcnt(0)
	v_cvt_f32_f64_e32 v18, v[18:19]
	v_cvt_f32_f64_e32 v19, v[28:29]
	scratch_load_b64 v[28:29], off, off offset:240 ; 8-byte Folded Reload
	v_min3_f32 v74, v18, v19, v74
	scratch_load_b64 v[18:19], off, off offset:272 ; 8-byte Folded Reload
	s_waitcnt vmcnt(0)
	v_cvt_f32_f64_e32 v18, v[18:19]
	;; [unrolled: 6-line block ×3, first 2 shown]
	v_cvt_f32_f64_e32 v19, v[28:29]
	s_delay_alu instid0(VALU_DEP_1) | instskip(SKIP_2) | instid1(VALU_DEP_1)
	v_min3_f32 v72, v18, v19, v72
	v_cvt_f32_f64_e32 v18, v[224:225]
	v_cvt_f32_f64_e32 v19, v[222:223]
	v_min3_f32 v73, v18, v19, v73
	v_cvt_f32_f64_e32 v18, v[228:229]
	v_cvt_f32_f64_e32 v19, v[226:227]
	s_delay_alu instid0(VALU_DEP_1) | instskip(SKIP_2) | instid1(VALU_DEP_1)
	v_min3_f32 v70, v18, v19, v70
	v_cvt_f32_f64_e32 v18, v[232:233]
	v_cvt_f32_f64_e32 v19, v[30:31]
	v_min3_f32 v71, v18, v19, v71
	v_cvt_f32_f64_e32 v18, v[236:237]
	;; [unrolled: 7-line block ×5, first 2 shown]
	v_cvt_f32_f64_e32 v19, v[150:151]
	s_delay_alu instid0(VALU_DEP_1)
	v_min3_f32 v204, v18, v19, v204
	s_cbranch_vccz .LBB128_43
; %bb.44:                               ;   in Loop: Header=BB128_32 Depth=1
	scratch_load_b64 v[1:2], off, off offset:304 ; 8-byte Folded Reload
	v_dual_mov_b32 v99, v195 :: v_dual_mov_b32 v102, v44
	v_mov_b32_e32 v106, v54
	v_mov_b32_e32 v60, v74
	;; [unrolled: 1-line block ×6, first 2 shown]
	s_waitcnt vmcnt(0)
	v_or_b32_e32 v0, 4, v1
	s_delay_alu instid0(VALU_DEP_1) | instskip(SKIP_4) | instid1(SALU_CYCLE_1)
	v_cmp_le_i32_e32 vcc_lo, s18, v0
	s_clause 0x1
	scratch_load_b32 v0, off, off offset:368
	scratch_load_b64 v[3:4], off, off offset:320
	s_or_b32 s7, vcc_lo, s2
	v_cndmask_b32_e64 v7, 0, 0x7fefffff, s7
	s_waitcnt vmcnt(0)
	ds_store_b64 v0, v[3:4]
	s_clause 0x2
	scratch_load_b32 v0, off, off offset:364
	scratch_load_b64 v[3:4], off, off offset:328
	scratch_load_b64 v[5:6], off, off offset:336
	s_waitcnt vmcnt(0)
	ds_store_2addr_stride64_b64 v0, v[3:4], v[5:6] offset1:4
	s_clause 0x1
	scratch_load_b64 v[3:4], off, off offset:344
	scratch_load_b64 v[5:6], off, off offset:352
	s_waitcnt vmcnt(0)
	ds_store_2addr_stride64_b64 v0, v[3:4], v[5:6] offset0:8 offset1:12
	v_cndmask_b32_e64 v6, 0, -1, s7
	s_or_b32 s7, s26, s7
	s_waitcnt lgkmcnt(0)
	s_waitcnt_vscnt null, 0x0
	s_xor_b32 s30, s7, -1
	s_barrier
	buffer_gl0_inv
	s_and_saveexec_b32 s7, s30
	s_cbranch_execz .LBB128_46
; %bb.45:                               ;   in Loop: Header=BB128_32 Depth=1
	v_lshlrev_b64 v[0:1], 3, v[1:2]
	scratch_load_b32 v2, off, off offset:392 ; 4-byte Folded Reload
	s_waitcnt vmcnt(0)
	v_add_co_u32 v0, vcc_lo, v2, v0
	scratch_load_b32 v2, off, off offset:396 ; 4-byte Folded Reload
	s_waitcnt vmcnt(0)
	v_add_co_ci_u32_e32 v1, vcc_lo, v2, v1, vcc_lo
	flat_load_b64 v[0:1], v[0:1]
	s_waitcnt vmcnt(0) lgkmcnt(0)
	v_mul_f64 v[6:7], v[0:1], s[20:21]
.LBB128_46:                             ;   in Loop: Header=BB128_32 Depth=1
	s_or_b32 exec_lo, exec_lo, s7
	v_add3_u32 v2, v117, s29, 4
	s_delay_alu instid0(VALU_DEP_1) | instskip(SKIP_1) | instid1(VALU_DEP_2)
	v_min_i32_e32 v3, s28, v2
	v_cmp_le_i32_e32 vcc_lo, s18, v2
	v_mad_i64_i32 v[0:1], null, v3, s27, 0
	s_or_b32 s30, s3, vcc_lo
	s_delay_alu instid0(SALU_CYCLE_1) | instskip(SKIP_1) | instid1(VALU_DEP_3)
	v_cndmask_b32_e64 v9, 0, 0x7fefffff, s30
	v_cndmask_b32_e64 v8, 0, -1, s30
	v_lshlrev_b64 v[0:1], 3, v[0:1]
	s_delay_alu instid0(VALU_DEP_1) | instskip(NEXT) | instid1(VALU_DEP_1)
	v_add_co_u32 v0, s7, s8, v0
	v_add_co_ci_u32_e64 v1, s7, s9, v1, s7
	s_or_b32 s7, s26, s30
	s_delay_alu instid0(SALU_CYCLE_1)
	s_xor_b32 s7, s7, -1
	s_mov_b32 s30, exec_lo
	scratch_load_b64 v[4:5], off, off offset:312 ; 8-byte Folded Reload
	v_dual_mov_b32 v113, v193 :: v_dual_mov_b32 v46, v119
	v_mov_b32_e32 v109, v130
	v_dual_mov_b32 v61, v53 :: v_dual_mov_b32 v78, v194
	v_mov_b32_e32 v107, v38
	v_mov_b32_e32 v103, v36
	s_and_b32 s7, s30, s7
	s_delay_alu instid0(SALU_CYCLE_1)
	s_mov_b32 exec_lo, s7
	s_cbranch_execz .LBB128_48
; %bb.47:                               ;   in Loop: Header=BB128_32 Depth=1
	s_waitcnt vmcnt(0)
	v_add_co_u32 v2, s7, v0, v4
	s_delay_alu instid0(VALU_DEP_1)
	v_add_co_ci_u32_e64 v3, s7, v1, v5, s7
	flat_load_b64 v[2:3], v[2:3]
	s_waitcnt vmcnt(0) lgkmcnt(0)
	v_mul_f64 v[8:9], v[2:3], s[20:21]
.LBB128_48:                             ;   in Loop: Header=BB128_32 Depth=1
	s_or_b32 exec_lo, exec_lo, s30
	s_or_b32 s7, s4, vcc_lo
	s_delay_alu instid0(SALU_CYCLE_1) | instskip(SKIP_2) | instid1(SALU_CYCLE_1)
	v_cndmask_b32_e64 v11, 0, 0x7fefffff, s7
	v_cndmask_b32_e64 v10, 0, -1, s7
	s_or_b32 s7, s26, s7
	s_xor_b32 s7, s7, -1
	s_delay_alu instid0(SALU_CYCLE_1)
	s_and_saveexec_b32 s30, s7
	s_cbranch_execz .LBB128_50
; %bb.49:                               ;   in Loop: Header=BB128_32 Depth=1
	s_waitcnt vmcnt(0)
	v_add_co_u32 v2, s7, v0, v4
	s_delay_alu instid0(VALU_DEP_1)
	v_add_co_ci_u32_e64 v3, s7, v1, v5, s7
	flat_load_b64 v[2:3], v[2:3] offset:512
	s_waitcnt vmcnt(0) lgkmcnt(0)
	v_mul_f64 v[10:11], v[2:3], s[20:21]
.LBB128_50:                             ;   in Loop: Header=BB128_32 Depth=1
	s_or_b32 exec_lo, exec_lo, s30
	s_or_b32 s7, s5, vcc_lo
	s_clause 0x1
	scratch_store_b64 off, v[8:9], off offset:296
	scratch_store_b64 off, v[6:7], off offset:288
	v_cndmask_b32_e64 v3, 0, 0x7fefffff, s7
	v_cndmask_b32_e64 v2, 0, -1, s7
	s_or_b32 s7, s26, s7
	s_delay_alu instid0(SALU_CYCLE_1) | instskip(NEXT) | instid1(SALU_CYCLE_1)
	s_xor_b32 s7, s7, -1
	s_and_saveexec_b32 s30, s7
	s_cbranch_execz .LBB128_52
; %bb.51:                               ;   in Loop: Header=BB128_32 Depth=1
	s_waitcnt vmcnt(0)
	v_add_co_u32 v2, s7, v0, v4
	s_delay_alu instid0(VALU_DEP_1)
	v_add_co_ci_u32_e64 v3, s7, v1, v5, s7
	flat_load_b64 v[2:3], v[2:3] offset:1024
	s_waitcnt vmcnt(0) lgkmcnt(0)
	v_mul_f64 v[2:3], v[2:3], s[20:21]
.LBB128_52:                             ;   in Loop: Header=BB128_32 Depth=1
	s_or_b32 exec_lo, exec_lo, s30
	s_or_b32 s7, s6, vcc_lo
	v_mov_b32_e32 v108, v231
	v_dual_mov_b32 v56, v121 :: v_dual_mov_b32 v119, v35
	v_mov_b32_e32 v50, v39
	v_mov_b32_e32 v62, v37
	v_cndmask_b32_e64 v7, 0, 0x7fefffff, s7
	v_cndmask_b32_e64 v6, 0, -1, s7
	s_or_b32 s7, s26, s7
	scratch_store_b64 off, v[10:11], off offset:320 ; 8-byte Folded Spill
	s_xor_b32 s30, s7, -1
	s_delay_alu instid0(SALU_CYCLE_1)
	s_and_saveexec_b32 s7, s30
	s_cbranch_execz .LBB128_54
; %bb.53:                               ;   in Loop: Header=BB128_32 Depth=1
	s_waitcnt vmcnt(0)
	v_add_co_u32 v0, vcc_lo, v0, v4
	v_add_co_ci_u32_e32 v1, vcc_lo, v1, v5, vcc_lo
	flat_load_b64 v[0:1], v[0:1] offset:1536
	s_waitcnt vmcnt(0) lgkmcnt(0)
	v_mul_f64 v[6:7], v[0:1], s[20:21]
.LBB128_54:                             ;   in Loop: Header=BB128_32 Depth=1
	s_or_b32 exec_lo, exec_lo, s7
	v_dual_mov_b32 v52, v118 :: v_dual_mov_b32 v53, v119
	v_dual_mov_b32 v54, v120 :: v_dual_mov_b32 v57, v129
	;; [unrolled: 1-line block ×5, first 2 shown]
	v_mov_b32_e32 v98, v34
	s_mov_b32 s30, 0
	s_mov_b32 s7, -1
	s_clause 0x1
	scratch_store_b64 off, v[6:7], off offset:336
	scratch_store_b64 off, v[2:3], off offset:328
.LBB128_55:                             ;   Parent Loop BB128_32 Depth=1
                                        ; =>  This Inner Loop Header: Depth=2
	s_lshl_b32 s30, s30, 3
	v_mov_b32_e32 v231, v46
	v_lshl_add_u32 v26, v22, 5, s30
	s_waitcnt vmcnt(0)
	v_lshl_add_u32 v4, v221, 5, s30
	v_mov_b32_e32 v79, v41
	v_mov_b32_e32 v193, v113
	s_mov_b32 s30, 2
	ds_load_b128 v[46:49], v26
	ds_load_b128 v[0:3], v4 offset:16384
	ds_load_b128 v[154:157], v4 offset:16640
	;; [unrolled: 1-line block ×3, first 2 shown]
	s_and_not1_b32 vcc_lo, exec_lo, s7
	s_mov_b32 s7, 0
	s_waitcnt lgkmcnt(2)
	v_add_f64 v[20:21], v[2:3], v[48:49]
	s_waitcnt lgkmcnt(1)
	v_add_f64 v[5:6], v[156:157], v[48:49]
	v_add_f64 v[76:77], v[0:1], v[46:47]
	s_delay_alu instid0(VALU_DEP_3)
	v_cvt_f32_f64_e32 v20, v[20:21]
	scratch_store_b64 off, v[5:6], off offset:16 ; 8-byte Folded Spill
	v_add_f64 v[5:6], v[154:155], v[46:47]
	v_cvt_f32_f64_e32 v76, v[76:77]
	scratch_store_b64 off, v[5:6], off offset:72 ; 8-byte Folded Spill
	ds_load_b128 v[162:165], v4 offset:16896
	ds_load_b128 v[166:169], v4 offset:17152
	v_min3_f32 v143, v76, v20, v143
	s_waitcnt lgkmcnt(1)
	v_add_f64 v[5:6], v[164:165], v[48:49]
	scratch_store_b64 off, v[5:6], off offset:48 ; 8-byte Folded Spill
	v_add_f64 v[5:6], v[162:163], v[46:47]
	scratch_store_b64 off, v[5:6], off offset:104 ; 8-byte Folded Spill
	s_waitcnt lgkmcnt(0)
	v_add_f64 v[5:6], v[168:169], v[48:49]
	scratch_store_b64 off, v[5:6], off offset:24 ; 8-byte Folded Spill
	v_add_f64 v[5:6], v[166:167], v[46:47]
	scratch_store_b64 off, v[5:6], off offset:80 ; 8-byte Folded Spill
	ds_load_b128 v[170:173], v4 offset:17408
	ds_load_b128 v[174:177], v4 offset:17664
	s_waitcnt lgkmcnt(1)
	v_add_f64 v[5:6], v[172:173], v[48:49]
	scratch_store_b64 off, v[5:6], off offset:56 ; 8-byte Folded Spill
	v_add_f64 v[5:6], v[170:171], v[46:47]
	scratch_store_b64 off, v[5:6], off offset:112 ; 8-byte Folded Spill
	s_waitcnt lgkmcnt(0)
	v_add_f64 v[5:6], v[176:177], v[48:49]
	scratch_store_b64 off, v[5:6], off offset:32 ; 8-byte Folded Spill
	v_add_f64 v[5:6], v[174:175], v[46:47]
	scratch_store_b64 off, v[5:6], off offset:88 ; 8-byte Folded Spill
	ds_load_b128 v[178:181], v4 offset:17920
	ds_load_b128 v[182:185], v4 offset:18176
	s_waitcnt lgkmcnt(1)
	v_add_f64 v[4:5], v[180:181], v[48:49]
	scratch_store_b64 off, v[4:5], off offset:64 ; 8-byte Folded Spill
	v_add_f64 v[4:5], v[178:179], v[46:47]
	scratch_store_b64 off, v[4:5], off offset:120 ; 8-byte Folded Spill
	s_waitcnt lgkmcnt(0)
	v_add_f64 v[4:5], v[184:185], v[48:49]
	scratch_store_b64 off, v[4:5], off offset:40 ; 8-byte Folded Spill
	v_add_f64 v[4:5], v[182:183], v[46:47]
	scratch_store_b64 off, v[4:5], off offset:96 ; 8-byte Folded Spill
	;; [unrolled: 2-line block ×18, first 2 shown]
	ds_load_b128 v[158:161], v26 offset:2048
	ds_load_b128 v[186:189], v26 offset:3072
	s_waitcnt lgkmcnt(1)
	v_add_f64 v[4:5], v[176:177], v[160:161]
	v_add_f64 v[48:49], v[2:3], v[160:161]
	;; [unrolled: 1-line block ×13, first 2 shown]
	s_waitcnt lgkmcnt(0)
	v_add_f64 v[110:111], v[2:3], v[188:189]
	v_add_f64 v[112:113], v[0:1], v[186:187]
	;; [unrolled: 1-line block ×16, first 2 shown]
	scratch_store_b64 off, v[4:5], off offset:272 ; 8-byte Folded Spill
	v_add_f64 v[4:5], v[180:181], v[160:161]
	v_cvt_f32_f64_e32 v18, v[18:19]
	v_cvt_f32_f64_e32 v19, v[32:33]
	;; [unrolled: 1-line block ×4, first 2 shown]
	scratch_store_b64 off, v[4:5], off offset:264 ; 8-byte Folded Spill
	v_add_f64 v[4:5], v[184:185], v[160:161]
	v_min3_f32 v45, v18, v19, v45
	v_min3_f32 v44, v6, v7, v44
	scratch_store_b64 off, v[4:5], off offset:256 ; 8-byte Folded Spill
	v_add_f64 v[4:5], v[182:183], v[158:159]
	scratch_store_b64 off, v[4:5], off offset:280 ; 8-byte Folded Spill
	ds_load_b128 v[158:161], v26 offset:4096
	ds_load_b128 v[186:189], v26 offset:5120
	s_waitcnt lgkmcnt(1)
	v_add_f64 v[206:207], v[2:3], v[160:161]
	v_add_f64 v[208:209], v[0:1], v[158:159]
	;; [unrolled: 1-line block ×16, first 2 shown]
	s_waitcnt lgkmcnt(0)
	v_add_f64 v[238:239], v[2:3], v[188:189]
	v_add_f64 v[240:241], v[0:1], v[186:187]
	;; [unrolled: 1-line block ×16, first 2 shown]
	ds_load_b128 v[158:161], v26 offset:6144
	ds_load_b128 v[186:189], v26 offset:7168
	s_clause 0x1
	scratch_load_b64 v[20:21], off, off offset:72
	scratch_load_b64 v[76:77], off, off offset:16
	v_cvt_f32_f64_e32 v7, v[206:207]
	v_cvt_f32_f64_e32 v6, v[208:209]
	s_waitcnt lgkmcnt(1)
	v_add_f64 v[116:117], v[2:3], v[160:161]
	v_add_f64 v[118:119], v[0:1], v[158:159]
	s_waitcnt lgkmcnt(0)
	v_add_f64 v[2:3], v[2:3], v[188:189]
	v_add_f64 v[0:1], v[0:1], v[186:187]
	;; [unrolled: 1-line block ×15, first 2 shown]
	v_cvt_f32_f64_e32 v4, v[4:5]
	v_add_f64 v[64:65], v[170:171], v[158:159]
	v_add_f64 v[172:173], v[172:173], v[188:189]
	;; [unrolled: 1-line block ×8, first 2 shown]
	v_min3_f32 v43, v6, v7, v43
	v_cvt_f32_f64_e32 v6, v[212:213]
	v_cvt_f32_f64_e32 v7, v[210:211]
	v_add_f64 v[129:130], v[178:179], v[158:159]
	v_add_f64 v[180:181], v[180:181], v[188:189]
	;; [unrolled: 1-line block ×7, first 2 shown]
	v_cvt_f32_f64_e32 v5, v[116:117]
	v_cvt_f32_f64_e32 v0, v[0:1]
	;; [unrolled: 1-line block ×3, first 2 shown]
	v_min3_f32 v42, v6, v7, v42
	v_cvt_f32_f64_e32 v6, v[216:217]
	v_cvt_f32_f64_e32 v7, v[214:215]
	s_delay_alu instid0(VALU_DEP_4) | instskip(SKIP_2) | instid1(VALU_DEP_4)
	v_min3_f32 v133, v0, v1, v133
	v_cvt_f32_f64_e32 v0, v[154:155]
	v_cvt_f32_f64_e32 v1, v[156:157]
	v_min3_f32 v59, v6, v7, v59
	v_cvt_f32_f64_e32 v6, v[220:221]
	scratch_load_b32 v221, off, off offset:8 ; 4-byte Folded Reload
	v_cvt_f32_f64_e32 v7, v[218:219]
	v_min3_f32 v128, v0, v1, v128
	v_cvt_f32_f64_e32 v0, v[162:163]
	v_cvt_f32_f64_e32 v1, v[164:165]
	s_delay_alu instid0(VALU_DEP_4) | instskip(SKIP_2) | instid1(VALU_DEP_4)
	v_min3_f32 v109, v6, v7, v109
	v_cvt_f32_f64_e32 v6, v[224:225]
	v_cvt_f32_f64_e32 v7, v[222:223]
	v_min3_f32 v127, v0, v1, v127
	v_cvt_f32_f64_e32 v0, v[166:167]
	v_cvt_f32_f64_e32 v1, v[168:169]
	s_delay_alu instid0(VALU_DEP_4) | instskip(SKIP_2) | instid1(VALU_DEP_4)
	v_min3_f32 v58, v6, v7, v58
	v_cvt_f32_f64_e32 v6, v[228:229]
	v_cvt_f32_f64_e32 v7, v[226:227]
	v_min3_f32 v126, v0, v1, v126
	v_cvt_f32_f64_e32 v0, v[170:171]
	v_cvt_f32_f64_e32 v1, v[172:173]
	s_delay_alu instid0(VALU_DEP_4)
	v_min3_f32 v57, v6, v7, v57
	v_cvt_f32_f64_e32 v6, v[232:233]
	v_cvt_f32_f64_e32 v7, v[22:23]
	scratch_load_b32 v22, off, off offset:4 ; 4-byte Folded Reload
	v_min3_f32 v125, v0, v1, v125
	v_cvt_f32_f64_e32 v0, v[174:175]
	v_cvt_f32_f64_e32 v1, v[176:177]
	s_delay_alu instid0(VALU_DEP_1)
	v_min3_f32 v124, v0, v1, v124
	v_cvt_f32_f64_e32 v0, v[178:179]
	v_cvt_f32_f64_e32 v1, v[180:181]
	s_waitcnt vmcnt(3)
	v_cvt_f32_f64_e32 v20, v[20:21]
	s_waitcnt vmcnt(2)
	v_cvt_f32_f64_e32 v21, v[76:77]
	scratch_load_b64 v[76:77], off, off offset:48 ; 8-byte Folded Reload
	v_min3_f32 v123, v0, v1, v123
	v_cvt_f32_f64_e32 v0, v[182:183]
	v_cvt_f32_f64_e32 v1, v[184:185]
	v_min3_f32 v142, v20, v21, v142
	scratch_load_b64 v[20:21], off, off offset:104 ; 8-byte Folded Reload
	v_min3_f32 v122, v0, v1, v122
	s_waitcnt vmcnt(0)
	v_cvt_f32_f64_e32 v20, v[20:21]
	v_cvt_f32_f64_e32 v21, v[76:77]
	scratch_load_b64 v[76:77], off, off offset:24 ; 8-byte Folded Reload
	v_min3_f32 v141, v20, v21, v141
	scratch_load_b64 v[20:21], off, off offset:80 ; 8-byte Folded Reload
	s_waitcnt vmcnt(0)
	v_cvt_f32_f64_e32 v20, v[20:21]
	v_cvt_f32_f64_e32 v21, v[76:77]
	scratch_load_b64 v[76:77], off, off offset:56 ; 8-byte Folded Reload
	v_min3_f32 v140, v20, v21, v140
	scratch_load_b64 v[20:21], off, off offset:112 ; 8-byte Folded Reload
	;; [unrolled: 6-line block ×13, first 2 shown]
	s_waitcnt vmcnt(0)
	v_cvt_f32_f64_e32 v20, v[20:21]
	v_cvt_f32_f64_e32 v21, v[76:77]
	s_delay_alu instid0(VALU_DEP_1) | instskip(SKIP_3) | instid1(VALU_DEP_1)
	v_min3_f32 v102, v20, v21, v102
	v_cvt_f32_f64_e32 v21, v[48:49]
	scratch_load_b64 v[48:49], off, off offset:272 ; 8-byte Folded Reload
	v_cvt_f32_f64_e32 v20, v[80:81]
	v_min3_f32 v199, v20, v21, v199
	v_cvt_f32_f64_e32 v20, v[84:85]
	v_cvt_f32_f64_e32 v21, v[40:41]
	v_mov_b32_e32 v41, v79
	s_delay_alu instid0(VALU_DEP_1) | instskip(SKIP_2) | instid1(VALU_DEP_1)
	v_min3_f32 v41, v20, v21, v41
	v_cvt_f32_f64_e32 v20, v[88:89]
	v_cvt_f32_f64_e32 v21, v[86:87]
	v_min3_f32 v107, v20, v21, v107
	v_cvt_f32_f64_e32 v20, v[92:93]
	v_cvt_f32_f64_e32 v21, v[90:91]
	s_delay_alu instid0(VALU_DEP_1) | instskip(SKIP_2) | instid1(VALU_DEP_1)
	v_min3_f32 v106, v20, v21, v106
	v_cvt_f32_f64_e32 v20, v[96:97]
	v_cvt_f32_f64_e32 v21, v[94:95]
	v_min3_f32 v61, v20, v21, v61
	v_cvt_f32_f64_e32 v20, v[100:101]
	s_waitcnt vmcnt(0)
	v_cvt_f32_f64_e32 v21, v[48:49]
	scratch_load_b64 v[48:49], off, off offset:264 ; 8-byte Folded Reload
	v_min3_f32 v60, v20, v21, v60
	v_cvt_f32_f64_e32 v20, v[104:105]
	s_waitcnt vmcnt(0)
	v_cvt_f32_f64_e32 v21, v[48:49]
	scratch_load_b64 v[48:49], off, off offset:256 ; 8-byte Folded Reload
	v_min3_f32 v75, v20, v21, v75
	scratch_load_b64 v[20:21], off, off offset:280 ; 8-byte Folded Reload
	s_waitcnt vmcnt(0)
	v_cvt_f32_f64_e32 v20, v[20:21]
	v_cvt_f32_f64_e32 v21, v[48:49]
	s_delay_alu instid0(VALU_DEP_1) | instskip(SKIP_3) | instid1(VALU_DEP_2)
	v_min3_f32 v74, v20, v21, v74
	v_cvt_f32_f64_e32 v20, v[112:113]
	v_cvt_f32_f64_e32 v21, v[110:111]
	v_mov_b32_e32 v113, v193
	v_min3_f32 v73, v20, v21, v73
	v_cvt_f32_f64_e32 v21, v[46:47]
	v_mov_b32_e32 v46, v231
	v_cvt_f32_f64_e32 v20, v[144:145]
	s_delay_alu instid0(VALU_DEP_2) | instskip(SKIP_2) | instid1(VALU_DEP_4)
	v_min3_f32 v46, v6, v7, v46
	v_cvt_f32_f64_e32 v6, v[236:237]
	v_cvt_f32_f64_e32 v7, v[24:25]
	v_min3_f32 v72, v20, v21, v72
	v_cvt_f32_f64_e32 v20, v[148:149]
	v_cvt_f32_f64_e32 v21, v[146:147]
	s_delay_alu instid0(VALU_DEP_4) | instskip(SKIP_2) | instid1(VALU_DEP_4)
	v_min3_f32 v56, v6, v7, v56
	v_cvt_f32_f64_e32 v6, v[240:241]
	v_cvt_f32_f64_e32 v7, v[238:239]
	v_min3_f32 v71, v20, v21, v71
	v_cvt_f32_f64_e32 v20, v[152:153]
	v_cvt_f32_f64_e32 v21, v[150:151]
	s_delay_alu instid0(VALU_DEP_4) | instskip(SKIP_2) | instid1(VALU_DEP_4)
	;; [unrolled: 7-line block ×4, first 2 shown]
	v_min3_f32 v52, v6, v7, v52
	v_cvt_f32_f64_e32 v6, v[252:253]
	v_cvt_f32_f64_e32 v7, v[250:251]
	v_min3_f32 v68, v20, v21, v68
	s_delay_alu instid0(VALU_DEP_2) | instskip(SKIP_2) | instid1(VALU_DEP_1)
	v_min3_f32 v113, v6, v7, v113
	v_cvt_f32_f64_e32 v6, v[8:9]
	v_cvt_f32_f64_e32 v7, v[254:255]
	v_min3_f32 v192, v6, v7, v192
	v_cvt_f32_f64_e32 v6, v[12:13]
	v_cvt_f32_f64_e32 v7, v[10:11]
	s_delay_alu instid0(VALU_DEP_1) | instskip(SKIP_2) | instid1(VALU_DEP_1)
	v_min3_f32 v55, v6, v7, v55
	v_cvt_f32_f64_e32 v6, v[16:17]
	v_cvt_f32_f64_e32 v7, v[14:15]
	v_min3_f32 v50, v6, v7, v50
	v_cvt_f32_f64_e32 v6, v[138:139]
	s_delay_alu instid0(VALU_DEP_1) | instskip(SKIP_2) | instid1(VALU_DEP_1)
	v_min3_f32 v137, v6, v4, v137
	scratch_load_b32 v6, off, off           ; 4-byte Folded Reload
	v_cvt_f32_f64_e32 v4, v[118:119]
	v_min3_f32 v115, v4, v5, v115
	v_cvt_f32_f64_e32 v4, v[194:195]
	v_cvt_f32_f64_e32 v5, v[190:191]
	s_delay_alu instid0(VALU_DEP_1) | instskip(SKIP_2) | instid1(VALU_DEP_1)
	v_min3_f32 v63, v4, v5, v63
	v_cvt_f32_f64_e32 v4, v[134:135]
	v_cvt_f32_f64_e32 v5, v[196:197]
	v_min3_f32 v235, v4, v5, v235
	v_cvt_f32_f64_e32 v4, v[28:29]
	v_cvt_f32_f64_e32 v5, v[26:27]
	s_delay_alu instid0(VALU_DEP_1) | instskip(SKIP_2) | instid1(VALU_DEP_1)
	v_min3_f32 v62, v4, v5, v62
	v_cvt_f32_f64_e32 v4, v[64:65]
	v_cvt_f32_f64_e32 v5, v[82:83]
	v_min3_f32 v200, v4, v5, v200
	v_cvt_f32_f64_e32 v4, v[120:121]
	v_cvt_f32_f64_e32 v5, v[66:67]
	s_waitcnt vmcnt(0)
	s_delay_alu instid0(VALU_DEP_1)
	v_min3_f32 v6, v4, v5, v6
	v_cvt_f32_f64_e32 v4, v[129:130]
	v_cvt_f32_f64_e32 v5, v[204:205]
	scratch_store_b32 off, v6, off          ; 4-byte Folded Spill
	v_min3_f32 v131, v4, v5, v131
	v_cvt_f32_f64_e32 v4, v[158:159]
	v_cvt_f32_f64_e32 v5, v[160:161]
	s_delay_alu instid0(VALU_DEP_1)
	v_min3_f32 v198, v4, v5, v198
	s_cbranch_vccz .LBB128_55
; %bb.56:                               ;   in Loop: Header=BB128_32 Depth=1
	s_clause 0x1
	scratch_load_b32 v0, off, off offset:372
	scratch_load_b64 v[1:2], off, off offset:288
	v_dual_mov_b32 v34, v98 :: v_dual_mov_b32 v129, v57
	v_mov_b32_e32 v110, v199
	v_mov_b32_e32 v196, v68
	;; [unrolled: 1-line block ×6, first 2 shown]
	s_add_i32 s25, s25, 8
	s_add_i32 s29, s29, 8
	s_cmp_ge_i32 s25, s24
	s_waitcnt vmcnt(0)
	ds_store_b64 v0, v[1:2]
	s_clause 0x2
	scratch_load_b32 v0, off, off offset:376
	scratch_load_b64 v[1:2], off, off offset:296
	scratch_load_b64 v[3:4], off, off offset:320
	s_waitcnt vmcnt(0)
	ds_store_2addr_stride64_b64 v0, v[1:2], v[3:4] offset1:4
	s_clause 0x1
	scratch_load_b64 v[1:2], off, off offset:328
	scratch_load_b64 v[3:4], off, off offset:336
	s_waitcnt vmcnt(0)
	ds_store_2addr_stride64_b64 v0, v[1:2], v[3:4] offset0:8 offset1:12
	s_waitcnt lgkmcnt(0)
	s_waitcnt_vscnt null, 0x0
	s_barrier
	buffer_gl0_inv
	s_cbranch_scc1 .LBB128_59
; %bb.57:                               ;   in Loop: Header=BB128_32 Depth=1
	s_clause 0x2
	scratch_load_b32 v117, off, off offset:380
	scratch_load_b64 v[4:5], off, off offset:312
	scratch_load_b64 v[6:7], off, off offset:304
	v_mov_b32_e32 v37, v62
	v_mov_b32_e32 v39, v50
	v_dual_mov_b32 v35, v53 :: v_dual_mov_b32 v202, v74
	v_dual_mov_b32 v121, v56 :: v_dual_mov_b32 v206, v106
	v_mov_b32_e32 v135, v42
	v_mov_b32_e32 v197, v69
	;; [unrolled: 1-line block ×4, first 2 shown]
	s_branch .LBB128_32
.LBB128_58:
	v_dual_mov_b32 v106, v206 :: v_dual_mov_b32 v109, v59
	v_dual_mov_b32 v74, v202 :: v_dual_mov_b32 v205, v215
	;; [unrolled: 1-line block ×3, first 2 shown]
	v_mov_b32_e32 v46, v57
	v_mov_b32_e32 v42, v44
	;; [unrolled: 1-line block ×3, first 2 shown]
	s_branch .LBB128_60
.LBB128_59:
	v_mov_b32_e32 v205, v62
	v_dual_mov_b32 v38, v50 :: v_dual_mov_b32 v31, v53
	v_mov_b32_e32 v121, v56
	v_dual_mov_b32 v135, v42 :: v_dual_mov_b32 v42, v44
	v_mov_b32_e32 v197, v69
	v_mov_b32_e32 v231, v108
.LBB128_60:
	s_delay_alu instid0(VALU_DEP_2)
	v_dual_mov_b32 v30, v99 :: v_dual_mov_b32 v27, v197
	v_dual_mov_b32 v54, v71 :: v_dual_mov_b32 v111, v102
	;; [unrolled: 1-line block ×8, first 2 shown]
	s_mov_b32 s3, 0
	s_mov_b32 s2, -1
.LBB128_61:                             ; =>This Inner Loop Header: Depth=1
	s_lshl_b32 s3, s3, 3
	v_dual_mov_b32 v6, v63 :: v_dual_mov_b32 v119, v46
	v_lshl_add_u32 v4, v22, 5, s3
	s_waitcnt vmcnt(0)
	v_lshl_add_u32 v5, v221, 5, s3
	v_dual_mov_b32 v130, v109 :: v_dual_mov_b32 v9, v115
	ds_load_b128 v[32:35], v4 offset:8192
	ds_load_b128 v[0:3], v5 offset:18432
	;; [unrolled: 1-line block ×4, first 2 shown]
	v_mov_b32_e32 v115, v116
	v_mov_b32_e32 v193, v113
	s_mov_b32 s3, 2
	s_and_not1_b32 vcc_lo, exec_lo, s2
	s_mov_b32 s2, 0
	s_waitcnt lgkmcnt(1)
	v_add_f64 v[7:8], v[62:63], v[34:35]
	v_add_f64 v[28:29], v[2:3], v[34:35]
	;; [unrolled: 1-line block ×3, first 2 shown]
	scratch_store_b64 off, v[7:8], off offset:16 ; 8-byte Folded Spill
	v_add_f64 v[7:8], v[60:61], v[32:33]
	v_cvt_f32_f64_e32 v64, v[64:65]
	v_cvt_f32_f64_e32 v28, v[28:29]
	scratch_store_b64 off, v[7:8], off offset:72 ; 8-byte Folded Spill
	ds_load_b128 v[72:75], v5 offset:18944
	ds_load_b128 v[144:147], v5 offset:19200
	v_min3_f32 v143, v64, v28, v143
	s_waitcnt lgkmcnt(1)
	v_add_f64 v[7:8], v[74:75], v[34:35]
	scratch_store_b64 off, v[7:8], off offset:48 ; 8-byte Folded Spill
	v_add_f64 v[7:8], v[72:73], v[32:33]
	scratch_store_b64 off, v[7:8], off offset:104 ; 8-byte Folded Spill
	s_waitcnt lgkmcnt(0)
	v_add_f64 v[7:8], v[146:147], v[34:35]
	scratch_store_b64 off, v[7:8], off offset:24 ; 8-byte Folded Spill
	v_add_f64 v[7:8], v[144:145], v[32:33]
	scratch_store_b64 off, v[7:8], off offset:80 ; 8-byte Folded Spill
	ds_load_b128 v[148:151], v5 offset:19456
	ds_load_b128 v[152:155], v5 offset:19712
	s_waitcnt lgkmcnt(1)
	v_add_f64 v[7:8], v[150:151], v[34:35]
	scratch_store_b64 off, v[7:8], off offset:56 ; 8-byte Folded Spill
	v_add_f64 v[7:8], v[148:149], v[32:33]
	scratch_store_b64 off, v[7:8], off offset:112 ; 8-byte Folded Spill
	s_waitcnt lgkmcnt(0)
	v_add_f64 v[7:8], v[154:155], v[34:35]
	scratch_store_b64 off, v[7:8], off offset:32 ; 8-byte Folded Spill
	v_add_f64 v[7:8], v[152:153], v[32:33]
	scratch_store_b64 off, v[7:8], off offset:88 ; 8-byte Folded Spill
	ds_load_b128 v[156:159], v5 offset:19968
	ds_load_b128 v[160:163], v5 offset:20224
	s_waitcnt lgkmcnt(1)
	v_add_f64 v[7:8], v[158:159], v[34:35]
	scratch_store_b64 off, v[7:8], off offset:64 ; 8-byte Folded Spill
	v_add_f64 v[7:8], v[156:157], v[32:33]
	scratch_store_b64 off, v[7:8], off offset:120 ; 8-byte Folded Spill
	s_waitcnt lgkmcnt(0)
	v_add_f64 v[7:8], v[162:163], v[34:35]
	scratch_store_b64 off, v[7:8], off offset:40 ; 8-byte Folded Spill
	v_add_f64 v[7:8], v[160:161], v[32:33]
	scratch_store_b64 off, v[7:8], off offset:96 ; 8-byte Folded Spill
	;; [unrolled: 2-line block ×18, first 2 shown]
	ds_load_b128 v[68:71], v4 offset:10240
	ds_load_b128 v[164:167], v4 offset:11264
	s_waitcnt lgkmcnt(1)
	v_add_f64 v[7:8], v[150:151], v[70:71]
	v_add_f64 v[90:91], v[2:3], v[70:71]
	;; [unrolled: 1-line block ×12, first 2 shown]
	s_waitcnt lgkmcnt(0)
	v_add_f64 v[98:99], v[2:3], v[166:167]
	v_add_f64 v[116:117], v[0:1], v[164:165]
	;; [unrolled: 1-line block ×16, first 2 shown]
	scratch_store_b64 off, v[7:8], off offset:280 ; 8-byte Folded Spill
	v_add_f64 v[7:8], v[154:155], v[70:71]
	scratch_store_b64 off, v[7:8], off offset:272 ; 8-byte Folded Spill
	v_add_f64 v[7:8], v[158:159], v[70:71]
	;; [unrolled: 2-line block ×4, first 2 shown]
	scratch_store_b64 off, v[7:8], off offset:256 ; 8-byte Folded Spill
	ds_load_b128 v[68:71], v4 offset:12288
	ds_load_b128 v[164:167], v4 offset:13312
	s_waitcnt lgkmcnt(1)
	v_add_f64 v[188:189], v[2:3], v[70:71]
	v_add_f64 v[190:191], v[0:1], v[68:69]
	;; [unrolled: 1-line block ×16, first 2 shown]
	s_waitcnt lgkmcnt(0)
	v_add_f64 v[220:221], v[2:3], v[166:167]
	v_add_f64 v[222:223], v[0:1], v[164:165]
	;; [unrolled: 1-line block ×16, first 2 shown]
	ds_load_b128 v[68:71], v4 offset:14336
	ds_load_b128 v[164:167], v4 offset:15360
	s_clause 0x1
	scratch_load_b64 v[28:29], off, off offset:72
	scratch_load_b64 v[64:65], off, off offset:16
	s_waitcnt lgkmcnt(1)
	v_add_f64 v[12:13], v[62:63], v[70:71]
	s_waitcnt lgkmcnt(0)
	v_add_f64 v[84:85], v[62:63], v[166:167]
	v_mov_b32_e32 v63, v6
	v_add_f64 v[4:5], v[60:61], v[68:69]
	v_add_f64 v[16:17], v[74:75], v[70:71]
	;; [unrolled: 1-line block ×30, first 2 shown]
	scratch_load_b32 v6, off, off           ; 4-byte Folded Reload
	v_cvt_f32_f64_e32 v4, v[4:5]
	v_cvt_f32_f64_e32 v5, v[12:13]
	;; [unrolled: 1-line block ×4, first 2 shown]
	s_delay_alu instid0(VALU_DEP_3) | instskip(SKIP_2) | instid1(VALU_DEP_4)
	v_min3_f32 v63, v4, v5, v63
	v_cvt_f32_f64_e32 v4, v[7:8]
	v_cvt_f32_f64_e32 v5, v[16:17]
	v_min3_f32 v133, v0, v1, v133
	v_cvt_f32_f64_e32 v0, v[60:61]
	v_cvt_f32_f64_e32 v1, v[84:85]
	s_delay_alu instid0(VALU_DEP_4) | instskip(SKIP_2) | instid1(VALU_DEP_4)
	v_min3_f32 v235, v4, v5, v235
	v_cvt_f32_f64_e32 v4, v[10:11]
	v_cvt_f32_f64_e32 v5, v[20:21]
	v_min3_f32 v128, v0, v1, v128
	v_cvt_f32_f64_e32 v0, v[72:73]
	v_cvt_f32_f64_e32 v1, v[74:75]
	s_delay_alu instid0(VALU_DEP_4) | instskip(SKIP_2) | instid1(VALU_DEP_4)
	;; [unrolled: 7-line block ×3, first 2 shown]
	v_min3_f32 v200, v4, v5, v200
	v_cvt_f32_f64_e32 v4, v[18:19]
	v_cvt_f32_f64_e32 v5, v[32:33]
	v_min3_f32 v126, v0, v1, v126
	v_cvt_f32_f64_e32 v0, v[148:149]
	v_cvt_f32_f64_e32 v1, v[150:151]
	s_delay_alu instid0(VALU_DEP_1) | instskip(SKIP_2) | instid1(VALU_DEP_1)
	v_min3_f32 v125, v0, v1, v125
	v_cvt_f32_f64_e32 v0, v[152:153]
	v_cvt_f32_f64_e32 v1, v[154:155]
	v_min3_f32 v124, v0, v1, v124
	v_cvt_f32_f64_e32 v0, v[156:157]
	v_cvt_f32_f64_e32 v1, v[158:159]
	s_waitcnt vmcnt(2)
	v_cvt_f32_f64_e32 v28, v[28:29]
	s_waitcnt vmcnt(1)
	v_cvt_f32_f64_e32 v29, v[64:65]
	scratch_load_b64 v[64:65], off, off offset:48 ; 8-byte Folded Reload
	v_min3_f32 v123, v0, v1, v123
	v_cvt_f32_f64_e32 v0, v[160:161]
	v_cvt_f32_f64_e32 v1, v[162:163]
	v_min3_f32 v142, v28, v29, v142
	scratch_load_b64 v[28:29], off, off offset:104 ; 8-byte Folded Reload
	s_waitcnt vmcnt(2)
	v_min3_f32 v6, v4, v5, v6
	v_cvt_f32_f64_e32 v4, v[22:23]
	scratch_load_b32 v22, off, off offset:4 ; 4-byte Folded Reload
	v_cvt_f32_f64_e32 v5, v[34:35]
	scratch_store_b32 off, v6, off          ; 4-byte Folded Spill
	v_min3_f32 v122, v0, v1, v122
	v_min3_f32 v131, v4, v5, v131
	v_cvt_f32_f64_e32 v4, v[68:69]
	v_cvt_f32_f64_e32 v5, v[70:71]
	s_delay_alu instid0(VALU_DEP_1)
	v_min3_f32 v198, v4, v5, v198
	s_waitcnt vmcnt(1)
	v_cvt_f32_f64_e32 v28, v[28:29]
	v_cvt_f32_f64_e32 v29, v[64:65]
	scratch_load_b64 v[64:65], off, off offset:24 ; 8-byte Folded Reload
	v_min3_f32 v141, v28, v29, v141
	scratch_load_b64 v[28:29], off, off offset:80 ; 8-byte Folded Reload
	s_waitcnt vmcnt(0)
	v_cvt_f32_f64_e32 v28, v[28:29]
	v_cvt_f32_f64_e32 v29, v[64:65]
	scratch_load_b64 v[64:65], off, off offset:56 ; 8-byte Folded Reload
	v_min3_f32 v140, v28, v29, v140
	scratch_load_b64 v[28:29], off, off offset:112 ; 8-byte Folded Reload
	;; [unrolled: 6-line block ×13, first 2 shown]
	s_waitcnt vmcnt(0)
	v_cvt_f32_f64_e32 v28, v[28:29]
	v_cvt_f32_f64_e32 v29, v[64:65]
	scratch_load_b64 v[64:65], off, off offset:280 ; 8-byte Folded Reload
	v_min3_f32 v111, v28, v29, v111
	v_cvt_f32_f64_e32 v28, v[86:87]
	v_cvt_f32_f64_e32 v29, v[90:91]
	s_delay_alu instid0(VALU_DEP_1) | instskip(SKIP_2) | instid1(VALU_DEP_1)
	v_min3_f32 v110, v28, v29, v110
	v_cvt_f32_f64_e32 v28, v[88:89]
	v_cvt_f32_f64_e32 v29, v[94:95]
	v_min3_f32 v41, v28, v29, v41
	v_cvt_f32_f64_e32 v28, v[92:93]
	v_cvt_f32_f64_e32 v29, v[102:103]
	s_delay_alu instid0(VALU_DEP_1) | instskip(SKIP_3) | instid1(VALU_DEP_2)
	v_min3_f32 v59, v28, v29, v59
	v_cvt_f32_f64_e32 v28, v[96:97]
	v_cvt_f32_f64_e32 v29, v[108:109]
	v_mov_b32_e32 v109, v130
	v_min3_f32 v58, v28, v29, v58
	v_cvt_f32_f64_e32 v28, v[100:101]
	s_waitcnt vmcnt(0)
	v_cvt_f32_f64_e32 v29, v[64:65]
	scratch_load_b64 v[64:65], off, off offset:272 ; 8-byte Folded Reload
	v_min3_f32 v81, v28, v29, v81
	v_cvt_f32_f64_e32 v28, v[104:105]
	s_waitcnt vmcnt(0)
	v_cvt_f32_f64_e32 v29, v[64:65]
	scratch_load_b64 v[64:65], off, off offset:264 ; 8-byte Folded Reload
	v_min3_f32 v80, v28, v29, v80
	scratch_load_b64 v[28:29], off, off offset:288 ; 8-byte Folded Reload
	s_waitcnt vmcnt(0)
	v_cvt_f32_f64_e32 v28, v[28:29]
	v_cvt_f32_f64_e32 v29, v[64:65]
	scratch_load_b64 v[64:65], off, off offset:256 ; 8-byte Folded Reload
	v_min3_f32 v57, v28, v29, v57
	v_cvt_f32_f64_e32 v28, v[112:113]
	s_waitcnt vmcnt(0)
	v_cvt_f32_f64_e32 v29, v[64:65]
	s_delay_alu instid0(VALU_DEP_1) | instskip(SKIP_2) | instid1(VALU_DEP_1)
	v_min3_f32 v56, v28, v29, v56
	v_cvt_f32_f64_e32 v28, v[116:117]
	v_cvt_f32_f64_e32 v29, v[98:99]
	v_min3_f32 v79, v28, v29, v79
	v_cvt_f32_f64_e32 v28, v[52:53]
	v_cvt_f32_f64_e32 v29, v[76:77]
	s_delay_alu instid0(VALU_DEP_1) | instskip(SKIP_2) | instid1(VALU_DEP_1)
	v_min3_f32 v199, v28, v29, v199
	v_cvt_f32_f64_e32 v28, v[50:51]
	v_cvt_f32_f64_e32 v29, v[66:67]
	v_min3_f32 v54, v28, v29, v54
	v_cvt_f32_f64_e32 v28, v[170:171]
	;; [unrolled: 7-line block ×5, first 2 shown]
	v_cvt_f32_f64_e32 v29, v[138:139]
	s_delay_alu instid0(VALU_DEP_1)
	v_min3_f32 v135, v28, v29, v135
	v_cvt_f32_f64_e32 v28, v[46:47]
	v_cvt_f32_f64_e32 v29, v[196:197]
	v_mov_b32_e32 v46, v119
	v_dual_mov_b32 v116, v115 :: v_dual_mov_b32 v113, v193
	v_mov_b32_e32 v115, v9
	s_delay_alu instid0(VALU_DEP_4) | instskip(SKIP_2) | instid1(VALU_DEP_1)
	v_min3_f32 v134, v28, v29, v134
	v_cvt_f32_f64_e32 v28, v[202:203]
	v_cvt_f32_f64_e32 v29, v[82:83]
	v_min3_f32 v109, v28, v29, v109
	v_cvt_f32_f64_e32 v28, v[206:207]
	v_cvt_f32_f64_e32 v29, v[48:49]
	s_delay_alu instid0(VALU_DEP_1) | instskip(SKIP_2) | instid1(VALU_DEP_1)
	v_min3_f32 v116, v28, v29, v116
	v_cvt_f32_f64_e32 v28, v[210:211]
	v_cvt_f32_f64_e32 v29, v[208:209]
	v_min3_f32 v129, v28, v29, v129
	v_cvt_f32_f64_e32 v28, v[214:215]
	v_cvt_f32_f64_e32 v29, v[212:213]
	s_delay_alu instid0(VALU_DEP_1) | instskip(SKIP_2) | instid1(VALU_DEP_1)
	v_min3_f32 v46, v28, v29, v46
	v_cvt_f32_f64_e32 v28, v[218:219]
	v_cvt_f32_f64_e32 v29, v[216:217]
	v_min3_f32 v121, v28, v29, v121
	v_cvt_f32_f64_e32 v29, v[220:221]
	scratch_load_b32 v221, off, off offset:8 ; 4-byte Folded Reload
	v_cvt_f32_f64_e32 v28, v[222:223]
	s_delay_alu instid0(VALU_DEP_1) | instskip(SKIP_2) | instid1(VALU_DEP_1)
	v_min3_f32 v120, v28, v29, v120
	v_cvt_f32_f64_e32 v28, v[226:227]
	v_cvt_f32_f64_e32 v29, v[224:225]
	v_min3_f32 v31, v28, v29, v31
	v_cvt_f32_f64_e32 v28, v[39:40]
	v_cvt_f32_f64_e32 v29, v[228:229]
	s_delay_alu instid0(VALU_DEP_1) | instskip(SKIP_2) | instid1(VALU_DEP_1)
	v_min3_f32 v118, v28, v29, v118
	v_cvt_f32_f64_e32 v28, v[36:37]
	v_cvt_f32_f64_e32 v29, v[232:233]
	v_min3_f32 v113, v28, v29, v113
	v_cvt_f32_f64_e32 v28, v[238:239]
	;; [unrolled: 7-line block ×4, first 2 shown]
	v_cvt_f32_f64_e32 v29, v[252:253]
	s_delay_alu instid0(VALU_DEP_1)
	v_min3_f32 v115, v28, v29, v115
	s_cbranch_vccz .LBB128_61
; %bb.62:
	s_clause 0x2
	s_load_b32 s18, s[0:1], 0x58
	s_load_b32 s9, s[0:1], 0x70
	s_load_b64 s[2:3], s[0:1], 0x78
	v_add_nc_u32_e32 v19, s23, v22
	s_waitcnt vmcnt(0)
	v_add_nc_u32_e32 v0, s19, v221
	v_cndmask_b32_e64 v18, 0, 1, s22
	s_delay_alu instid0(VALU_DEP_3) | instskip(NEXT) | instid1(VALU_DEP_3)
	v_cmp_gt_i32_e64 s8, s17, v19
	v_cmp_gt_i32_e64 s0, s16, v0
	v_ashrrev_i32_e32 v1, 31, v0
	s_waitcnt lgkmcnt(0)
	v_mad_i64_i32 v[2:3], null, v19, s18, 0
	v_mad_i64_i32 v[4:5], null, v19, s9, 0
	s_lshl_b64 s[2:3], s[2:3], 3
	s_delay_alu instid0(SALU_CYCLE_1) | instskip(SKIP_1) | instid1(VALU_DEP_2)
	s_add_u32 s14, s14, s2
	s_addc_u32 s15, s15, s3
	v_lshlrev_b64 v[2:3], 3, v[2:3]
	s_and_b32 s2, s0, s8
	s_delay_alu instid0(VALU_DEP_2) | instskip(NEXT) | instid1(VALU_DEP_2)
	v_lshlrev_b64 v[4:5], 3, v[4:5]
	v_add_co_u32 v16, vcc_lo, s12, v2
	s_delay_alu instid0(VALU_DEP_3) | instskip(NEXT) | instid1(VALU_DEP_3)
	v_add_co_ci_u32_e32 v17, vcc_lo, s13, v3, vcc_lo
	v_add_co_u32 v22, vcc_lo, s14, v4
	s_delay_alu instid0(VALU_DEP_4)
	v_add_co_ci_u32_e32 v21, vcc_lo, s15, v5, vcc_lo
	s_and_saveexec_b32 s1, s2
	s_cbranch_execz .LBB128_67
; %bb.63:
	s_and_not1_b32 vcc_lo, exec_lo, s22
	s_cbranch_vccnz .LBB128_65
; %bb.64:
	v_lshlrev_b64 v[2:3], 3, v[0:1]
	s_delay_alu instid0(VALU_DEP_1) | instskip(NEXT) | instid1(VALU_DEP_2)
	v_add_co_u32 v2, vcc_lo, v16, v2
	v_add_co_ci_u32_e32 v3, vcc_lo, v17, v3, vcc_lo
	flat_load_b64 v[2:3], v[2:3]
	s_waitcnt vmcnt(0) lgkmcnt(0)
	v_mul_f64 v[2:3], v[2:3], s[10:11]
	s_branch .LBB128_66
.LBB128_65:
	v_mov_b32_e32 v2, 0
	v_mov_b32_e32 v3, 0
.LBB128_66:
	s_delay_alu instid0(VALU_DEP_1) | instskip(SKIP_2) | instid1(VALU_DEP_1)
	v_cvt_f32_f64_e32 v2, v[2:3]
	v_max_f32_e32 v3, v143, v143
	v_lshlrev_b64 v[4:5], 3, v[0:1]
	v_add_co_u32 v4, vcc_lo, v22, v4
	s_delay_alu instid0(VALU_DEP_2) | instskip(NEXT) | instid1(VALU_DEP_4)
	v_add_co_ci_u32_e32 v5, vcc_lo, v21, v5, vcc_lo
	v_min_f32_e32 v2, v2, v3
	s_delay_alu instid0(VALU_DEP_1)
	v_cvt_f64_f32_e32 v[2:3], v2
	global_store_b64 v[4:5], v[2:3], off
.LBB128_67:
	s_or_b32 exec_lo, exec_lo, s1
	v_add_nc_u32_e32 v2, 8, v0
	s_delay_alu instid0(VALU_DEP_1) | instskip(SKIP_1) | instid1(VALU_DEP_2)
	v_cmp_gt_i32_e64 s1, s16, v2
	v_ashrrev_i32_e32 v3, 31, v2
	s_and_b32 s3, s1, s8
	s_delay_alu instid0(SALU_CYCLE_1)
	s_and_saveexec_b32 s2, s3
	s_cbranch_execz .LBB128_72
; %bb.68:
	v_cmp_ne_u32_e32 vcc_lo, 1, v18
	s_cbranch_vccnz .LBB128_70
; %bb.69:
	v_lshlrev_b64 v[4:5], 3, v[2:3]
	s_delay_alu instid0(VALU_DEP_1) | instskip(NEXT) | instid1(VALU_DEP_2)
	v_add_co_u32 v4, vcc_lo, v16, v4
	v_add_co_ci_u32_e32 v5, vcc_lo, v17, v5, vcc_lo
	flat_load_b64 v[4:5], v[4:5]
	s_waitcnt vmcnt(0) lgkmcnt(0)
	v_mul_f64 v[4:5], v[4:5], s[10:11]
	s_branch .LBB128_71
.LBB128_70:
	v_mov_b32_e32 v4, 0
	v_mov_b32_e32 v5, 0
.LBB128_71:
	s_delay_alu instid0(VALU_DEP_1) | instskip(SKIP_2) | instid1(VALU_DEP_1)
	v_cvt_f32_f64_e32 v4, v[4:5]
	v_max_f32_e32 v5, v142, v142
	v_lshlrev_b64 v[6:7], 3, v[2:3]
	v_add_co_u32 v6, vcc_lo, v22, v6
	s_delay_alu instid0(VALU_DEP_2) | instskip(NEXT) | instid1(VALU_DEP_4)
	v_add_co_ci_u32_e32 v7, vcc_lo, v21, v7, vcc_lo
	v_min_f32_e32 v4, v4, v5
	s_delay_alu instid0(VALU_DEP_1)
	v_cvt_f64_f32_e32 v[4:5], v4
	global_store_b64 v[6:7], v[4:5], off
.LBB128_72:
	s_or_b32 exec_lo, exec_lo, s2
	v_add_nc_u32_e32 v4, 16, v0
	s_delay_alu instid0(VALU_DEP_1) | instskip(SKIP_1) | instid1(VALU_DEP_2)
	v_cmp_gt_i32_e64 s2, s16, v4
	v_ashrrev_i32_e32 v5, 31, v4
	s_and_b32 s4, s2, s8
	s_delay_alu instid0(SALU_CYCLE_1)
	s_and_saveexec_b32 s3, s4
	s_cbranch_execz .LBB128_77
; %bb.73:
	v_cmp_ne_u32_e32 vcc_lo, 1, v18
	s_cbranch_vccnz .LBB128_75
; %bb.74:
	v_lshlrev_b64 v[6:7], 3, v[4:5]
	s_delay_alu instid0(VALU_DEP_1) | instskip(NEXT) | instid1(VALU_DEP_2)
	v_add_co_u32 v6, vcc_lo, v16, v6
	v_add_co_ci_u32_e32 v7, vcc_lo, v17, v7, vcc_lo
	flat_load_b64 v[6:7], v[6:7]
	s_waitcnt vmcnt(0) lgkmcnt(0)
	v_mul_f64 v[6:7], v[6:7], s[10:11]
	s_branch .LBB128_76
.LBB128_75:
	v_mov_b32_e32 v6, 0
	v_mov_b32_e32 v7, 0
.LBB128_76:
	s_delay_alu instid0(VALU_DEP_1) | instskip(SKIP_2) | instid1(VALU_DEP_1)
	v_cvt_f32_f64_e32 v6, v[6:7]
	v_max_f32_e32 v7, v141, v141
	v_lshlrev_b64 v[8:9], 3, v[4:5]
	v_add_co_u32 v8, vcc_lo, v22, v8
	s_delay_alu instid0(VALU_DEP_2) | instskip(NEXT) | instid1(VALU_DEP_4)
	v_add_co_ci_u32_e32 v9, vcc_lo, v21, v9, vcc_lo
	v_min_f32_e32 v6, v6, v7
	s_delay_alu instid0(VALU_DEP_1)
	v_cvt_f64_f32_e32 v[6:7], v6
	global_store_b64 v[8:9], v[6:7], off
.LBB128_77:
	;; [unrolled: 37-line block ×7, first 2 shown]
	s_or_b32 exec_lo, exec_lo, s8
	v_add_nc_u32_e32 v22, 32, v19
	s_delay_alu instid0(VALU_DEP_1) | instskip(SKIP_2) | instid1(VALU_DEP_3)
	v_mad_i64_i32 v[16:17], null, v22, s18, 0
	v_mad_i64_i32 v[20:21], null, v22, s9, 0
	v_cmp_gt_i32_e64 s8, s17, v22
	v_lshlrev_b64 v[16:17], 3, v[16:17]
	s_delay_alu instid0(VALU_DEP_2) | instskip(NEXT) | instid1(VALU_DEP_3)
	s_and_b32 s19, s0, s8
	v_lshlrev_b64 v[20:21], 3, v[20:21]
	s_delay_alu instid0(VALU_DEP_2) | instskip(NEXT) | instid1(VALU_DEP_3)
	v_add_co_u32 v24, vcc_lo, s12, v16
	v_add_co_ci_u32_e32 v23, vcc_lo, s13, v17, vcc_lo
	s_delay_alu instid0(VALU_DEP_3) | instskip(NEXT) | instid1(VALU_DEP_4)
	v_add_co_u32 v22, vcc_lo, s14, v20
	v_add_co_ci_u32_e32 v21, vcc_lo, s15, v21, vcc_lo
	s_and_saveexec_b32 s16, s19
	s_cbranch_execnz .LBB128_110
; %bb.103:
	s_or_b32 exec_lo, exec_lo, s16
	s_and_b32 s19, s1, s8
	s_delay_alu instid0(SALU_CYCLE_1)
	s_and_saveexec_b32 s16, s19
	s_cbranch_execnz .LBB128_114
.LBB128_104:
	s_or_b32 exec_lo, exec_lo, s16
	s_and_b32 s19, s2, s8
	s_delay_alu instid0(SALU_CYCLE_1)
	s_and_saveexec_b32 s16, s19
	s_cbranch_execnz .LBB128_118
.LBB128_105:
	s_or_b32 exec_lo, exec_lo, s16
	s_and_b32 s19, s3, s8
	s_delay_alu instid0(SALU_CYCLE_1)
	s_and_saveexec_b32 s16, s19
	s_cbranch_execnz .LBB128_122
.LBB128_106:
	s_or_b32 exec_lo, exec_lo, s16
	s_and_b32 s19, s4, s8
	s_delay_alu instid0(SALU_CYCLE_1)
	s_and_saveexec_b32 s16, s19
	s_cbranch_execnz .LBB128_126
.LBB128_107:
	s_or_b32 exec_lo, exec_lo, s16
	s_and_b32 s19, s5, s8
	s_delay_alu instid0(SALU_CYCLE_1)
	s_and_saveexec_b32 s16, s19
	s_cbranch_execnz .LBB128_130
.LBB128_108:
	s_or_b32 exec_lo, exec_lo, s16
	s_and_b32 s19, s6, s8
	s_delay_alu instid0(SALU_CYCLE_1)
	s_and_saveexec_b32 s16, s19
	s_cbranch_execnz .LBB128_134
.LBB128_109:
	s_or_b32 exec_lo, exec_lo, s16
	s_and_b32 s16, s7, s8
	s_delay_alu instid0(SALU_CYCLE_1)
	s_and_saveexec_b32 s8, s16
	s_cbranch_execnz .LBB128_138
	s_branch .LBB128_142
.LBB128_110:
	v_cmp_ne_u32_e32 vcc_lo, 1, v18
	v_mov_b32_e32 v20, v26
	s_cbranch_vccnz .LBB128_112
; %bb.111:
	v_lshlrev_b64 v[16:17], 3, v[0:1]
	s_delay_alu instid0(VALU_DEP_1) | instskip(NEXT) | instid1(VALU_DEP_2)
	v_add_co_u32 v16, vcc_lo, v24, v16
	v_add_co_ci_u32_e32 v17, vcc_lo, v23, v17, vcc_lo
	flat_load_b64 v[16:17], v[16:17]
	s_waitcnt vmcnt(0) lgkmcnt(0)
	v_mul_f64 v[16:17], v[16:17], s[10:11]
	s_branch .LBB128_113
.LBB128_112:
	v_mov_b32_e32 v16, 0
	v_mov_b32_e32 v17, 0
.LBB128_113:
	s_delay_alu instid0(VALU_DEP_1) | instskip(SKIP_2) | instid1(VALU_DEP_1)
	v_cvt_f32_f64_e32 v16, v[16:17]
	v_max_f32_e32 v17, v234, v234
	v_lshlrev_b64 v[25:26], 3, v[0:1]
	v_add_co_u32 v25, vcc_lo, v22, v25
	s_delay_alu instid0(VALU_DEP_2) | instskip(NEXT) | instid1(VALU_DEP_4)
	v_add_co_ci_u32_e32 v26, vcc_lo, v21, v26, vcc_lo
	v_min_f32_e32 v16, v16, v17
	s_delay_alu instid0(VALU_DEP_1) | instskip(SKIP_4) | instid1(SALU_CYCLE_1)
	v_cvt_f64_f32_e32 v[16:17], v16
	global_store_b64 v[25:26], v[16:17], off
	v_mov_b32_e32 v26, v20
	s_or_b32 exec_lo, exec_lo, s16
	s_and_b32 s19, s1, s8
	s_and_saveexec_b32 s16, s19
	s_cbranch_execz .LBB128_104
.LBB128_114:
	v_cmp_ne_u32_e32 vcc_lo, 1, v18
	v_mov_b32_e32 v20, v26
	s_cbranch_vccnz .LBB128_116
; %bb.115:
	v_lshlrev_b64 v[16:17], 3, v[2:3]
	s_delay_alu instid0(VALU_DEP_1) | instskip(NEXT) | instid1(VALU_DEP_2)
	v_add_co_u32 v16, vcc_lo, v24, v16
	v_add_co_ci_u32_e32 v17, vcc_lo, v23, v17, vcc_lo
	flat_load_b64 v[16:17], v[16:17]
	s_waitcnt vmcnt(0) lgkmcnt(0)
	v_mul_f64 v[16:17], v[16:17], s[10:11]
	s_branch .LBB128_117
.LBB128_116:
	v_mov_b32_e32 v16, 0
	v_mov_b32_e32 v17, 0
.LBB128_117:
	s_delay_alu instid0(VALU_DEP_1) | instskip(SKIP_2) | instid1(VALU_DEP_1)
	v_cvt_f32_f64_e32 v16, v[16:17]
	v_max_f32_e32 v17, v230, v230
	v_lshlrev_b64 v[25:26], 3, v[2:3]
	v_add_co_u32 v25, vcc_lo, v22, v25
	s_delay_alu instid0(VALU_DEP_2) | instskip(NEXT) | instid1(VALU_DEP_4)
	v_add_co_ci_u32_e32 v26, vcc_lo, v21, v26, vcc_lo
	v_min_f32_e32 v16, v16, v17
	s_delay_alu instid0(VALU_DEP_1) | instskip(SKIP_4) | instid1(SALU_CYCLE_1)
	v_cvt_f64_f32_e32 v[16:17], v16
	global_store_b64 v[25:26], v[16:17], off
	v_mov_b32_e32 v26, v20
	s_or_b32 exec_lo, exec_lo, s16
	s_and_b32 s19, s2, s8
	s_and_saveexec_b32 s16, s19
	s_cbranch_execz .LBB128_105
.LBB128_118:
	v_cmp_ne_u32_e32 vcc_lo, 1, v18
	v_mov_b32_e32 v20, v26
	s_cbranch_vccnz .LBB128_120
; %bb.119:
	v_lshlrev_b64 v[16:17], 3, v[4:5]
	s_delay_alu instid0(VALU_DEP_1) | instskip(NEXT) | instid1(VALU_DEP_2)
	v_add_co_u32 v16, vcc_lo, v24, v16
	v_add_co_ci_u32_e32 v17, vcc_lo, v23, v17, vcc_lo
	flat_load_b64 v[16:17], v[16:17]
	s_waitcnt vmcnt(0) lgkmcnt(0)
	v_mul_f64 v[16:17], v[16:17], s[10:11]
	s_branch .LBB128_121
.LBB128_120:
	v_mov_b32_e32 v16, 0
	v_mov_b32_e32 v17, 0
.LBB128_121:
	s_delay_alu instid0(VALU_DEP_1) | instskip(SKIP_2) | instid1(VALU_DEP_1)
	v_cvt_f32_f64_e32 v16, v[16:17]
	v_max_f32_e32 v17, v30, v30
	v_lshlrev_b64 v[25:26], 3, v[4:5]
	v_add_co_u32 v25, vcc_lo, v22, v25
	s_delay_alu instid0(VALU_DEP_2) | instskip(NEXT) | instid1(VALU_DEP_4)
	v_add_co_ci_u32_e32 v26, vcc_lo, v21, v26, vcc_lo
	v_min_f32_e32 v16, v16, v17
	s_delay_alu instid0(VALU_DEP_1) | instskip(SKIP_4) | instid1(SALU_CYCLE_1)
	v_cvt_f64_f32_e32 v[16:17], v16
	global_store_b64 v[25:26], v[16:17], off
	v_mov_b32_e32 v26, v20
	s_or_b32 exec_lo, exec_lo, s16
	s_and_b32 s19, s3, s8
	s_and_saveexec_b32 s16, s19
	s_cbranch_execz .LBB128_106
.LBB128_122:
	v_cmp_ne_u32_e32 vcc_lo, 1, v18
	v_mov_b32_e32 v20, v26
	s_cbranch_vccnz .LBB128_124
; %bb.123:
	v_lshlrev_b64 v[16:17], 3, v[6:7]
	s_delay_alu instid0(VALU_DEP_1) | instskip(NEXT) | instid1(VALU_DEP_2)
	v_add_co_u32 v16, vcc_lo, v24, v16
	v_add_co_ci_u32_e32 v17, vcc_lo, v23, v17, vcc_lo
	flat_load_b64 v[16:17], v[16:17]
	s_waitcnt vmcnt(0) lgkmcnt(0)
	v_mul_f64 v[16:17], v[16:17], s[10:11]
	s_branch .LBB128_125
.LBB128_124:
	v_mov_b32_e32 v16, 0
	v_mov_b32_e32 v17, 0
.LBB128_125:
	s_delay_alu instid0(VALU_DEP_1) | instskip(SKIP_2) | instid1(VALU_DEP_1)
	v_cvt_f32_f64_e32 v16, v[16:17]
	v_max_f32_e32 v17, v78, v78
	v_lshlrev_b64 v[25:26], 3, v[6:7]
	v_add_co_u32 v25, vcc_lo, v22, v25
	s_delay_alu instid0(VALU_DEP_2) | instskip(NEXT) | instid1(VALU_DEP_4)
	v_add_co_ci_u32_e32 v26, vcc_lo, v21, v26, vcc_lo
	v_min_f32_e32 v16, v16, v17
	s_delay_alu instid0(VALU_DEP_1) | instskip(SKIP_4) | instid1(SALU_CYCLE_1)
	v_cvt_f64_f32_e32 v[16:17], v16
	global_store_b64 v[25:26], v[16:17], off
	v_mov_b32_e32 v26, v20
	s_or_b32 exec_lo, exec_lo, s16
	s_and_b32 s19, s4, s8
	s_and_saveexec_b32 s16, s19
	s_cbranch_execz .LBB128_107
.LBB128_126:
	v_cmp_ne_u32_e32 vcc_lo, 1, v18
	v_mov_b32_e32 v20, v26
	s_cbranch_vccnz .LBB128_128
; %bb.127:
	v_lshlrev_b64 v[16:17], 3, v[8:9]
	s_delay_alu instid0(VALU_DEP_1) | instskip(NEXT) | instid1(VALU_DEP_2)
	v_add_co_u32 v16, vcc_lo, v24, v16
	v_add_co_ci_u32_e32 v17, vcc_lo, v23, v17, vcc_lo
	flat_load_b64 v[16:17], v[16:17]
	s_waitcnt vmcnt(0) lgkmcnt(0)
	v_mul_f64 v[16:17], v[16:17], s[10:11]
	s_branch .LBB128_129
.LBB128_128:
	v_mov_b32_e32 v16, 0
	v_mov_b32_e32 v17, 0
.LBB128_129:
	s_delay_alu instid0(VALU_DEP_1) | instskip(SKIP_2) | instid1(VALU_DEP_1)
	v_cvt_f32_f64_e32 v16, v[16:17]
	v_max_f32_e32 v17, v231, v231
	v_lshlrev_b64 v[25:26], 3, v[8:9]
	v_add_co_u32 v25, vcc_lo, v22, v25
	s_delay_alu instid0(VALU_DEP_2) | instskip(NEXT) | instid1(VALU_DEP_4)
	v_add_co_ci_u32_e32 v26, vcc_lo, v21, v26, vcc_lo
	v_min_f32_e32 v16, v16, v17
	s_delay_alu instid0(VALU_DEP_1) | instskip(SKIP_4) | instid1(SALU_CYCLE_1)
	v_cvt_f64_f32_e32 v[16:17], v16
	global_store_b64 v[25:26], v[16:17], off
	v_mov_b32_e32 v26, v20
	s_or_b32 exec_lo, exec_lo, s16
	s_and_b32 s19, s5, s8
	s_and_saveexec_b32 s16, s19
	s_cbranch_execz .LBB128_108
.LBB128_130:
	v_cmp_ne_u32_e32 vcc_lo, 1, v18
	v_mov_b32_e32 v20, v26
	s_cbranch_vccnz .LBB128_132
; %bb.131:
	v_lshlrev_b64 v[16:17], 3, v[10:11]
	s_delay_alu instid0(VALU_DEP_1) | instskip(NEXT) | instid1(VALU_DEP_2)
	v_add_co_u32 v16, vcc_lo, v24, v16
	v_add_co_ci_u32_e32 v17, vcc_lo, v23, v17, vcc_lo
	flat_load_b64 v[16:17], v[16:17]
	s_waitcnt vmcnt(0) lgkmcnt(0)
	v_mul_f64 v[16:17], v[16:17], s[10:11]
	s_branch .LBB128_133
.LBB128_132:
	v_mov_b32_e32 v16, 0
	v_mov_b32_e32 v17, 0
.LBB128_133:
	s_delay_alu instid0(VALU_DEP_1) | instskip(SKIP_2) | instid1(VALU_DEP_1)
	v_cvt_f32_f64_e32 v16, v[16:17]
	v_max_f32_e32 v17, v107, v107
	v_lshlrev_b64 v[25:26], 3, v[10:11]
	v_add_co_u32 v25, vcc_lo, v22, v25
	s_delay_alu instid0(VALU_DEP_2) | instskip(NEXT) | instid1(VALU_DEP_4)
	v_add_co_ci_u32_e32 v26, vcc_lo, v21, v26, vcc_lo
	v_min_f32_e32 v16, v16, v17
	s_delay_alu instid0(VALU_DEP_1) | instskip(SKIP_4) | instid1(SALU_CYCLE_1)
	v_cvt_f64_f32_e32 v[16:17], v16
	global_store_b64 v[25:26], v[16:17], off
	v_mov_b32_e32 v26, v20
	s_or_b32 exec_lo, exec_lo, s16
	s_and_b32 s19, s6, s8
	s_and_saveexec_b32 s16, s19
	s_cbranch_execz .LBB128_109
.LBB128_134:
	v_cmp_ne_u32_e32 vcc_lo, 1, v18
	v_mov_b32_e32 v20, v26
	s_cbranch_vccnz .LBB128_136
; %bb.135:
	v_lshlrev_b64 v[16:17], 3, v[12:13]
	s_delay_alu instid0(VALU_DEP_1) | instskip(NEXT) | instid1(VALU_DEP_2)
	v_add_co_u32 v16, vcc_lo, v24, v16
	v_add_co_ci_u32_e32 v17, vcc_lo, v23, v17, vcc_lo
	flat_load_b64 v[16:17], v[16:17]
	s_waitcnt vmcnt(0) lgkmcnt(0)
	v_mul_f64 v[16:17], v[16:17], s[10:11]
	s_branch .LBB128_137
.LBB128_136:
	v_mov_b32_e32 v16, 0
	v_mov_b32_e32 v17, 0
.LBB128_137:
	s_delay_alu instid0(VALU_DEP_1) | instskip(SKIP_2) | instid1(VALU_DEP_1)
	v_cvt_f32_f64_e32 v16, v[16:17]
	v_max_f32_e32 v17, v106, v106
	v_lshlrev_b64 v[25:26], 3, v[12:13]
	v_add_co_u32 v25, vcc_lo, v22, v25
	s_delay_alu instid0(VALU_DEP_2) | instskip(NEXT) | instid1(VALU_DEP_4)
	v_add_co_ci_u32_e32 v26, vcc_lo, v21, v26, vcc_lo
	v_min_f32_e32 v16, v16, v17
	s_delay_alu instid0(VALU_DEP_1) | instskip(SKIP_4) | instid1(SALU_CYCLE_1)
	v_cvt_f64_f32_e32 v[16:17], v16
	global_store_b64 v[25:26], v[16:17], off
	v_mov_b32_e32 v26, v20
	s_or_b32 exec_lo, exec_lo, s16
	s_and_b32 s16, s7, s8
	s_and_saveexec_b32 s8, s16
	s_cbranch_execz .LBB128_142
.LBB128_138:
	v_cmp_ne_u32_e32 vcc_lo, 1, v18
	s_cbranch_vccnz .LBB128_140
; %bb.139:
	v_lshlrev_b64 v[16:17], 3, v[14:15]
	s_delay_alu instid0(VALU_DEP_1) | instskip(NEXT) | instid1(VALU_DEP_2)
	v_add_co_u32 v16, vcc_lo, v24, v16
	v_add_co_ci_u32_e32 v17, vcc_lo, v23, v17, vcc_lo
	flat_load_b64 v[16:17], v[16:17]
	s_waitcnt vmcnt(0) lgkmcnt(0)
	v_mul_f64 v[16:17], v[16:17], s[10:11]
	s_branch .LBB128_141
.LBB128_140:
	v_mov_b32_e32 v16, 0
	v_mov_b32_e32 v17, 0
.LBB128_141:
	s_delay_alu instid0(VALU_DEP_1) | instskip(SKIP_2) | instid1(VALU_DEP_1)
	v_cvt_f32_f64_e32 v16, v[16:17]
	v_max_f32_e32 v17, v111, v111
	v_lshlrev_b64 v[23:24], 3, v[14:15]
	v_add_co_u32 v20, vcc_lo, v22, v23
	s_delay_alu instid0(VALU_DEP_2) | instskip(NEXT) | instid1(VALU_DEP_4)
	v_add_co_ci_u32_e32 v21, vcc_lo, v21, v24, vcc_lo
	v_min_f32_e32 v16, v16, v17
	s_delay_alu instid0(VALU_DEP_1)
	v_cvt_f64_f32_e32 v[16:17], v16
	global_store_b64 v[20:21], v[16:17], off
.LBB128_142:
	s_or_b32 exec_lo, exec_lo, s8
	v_add_nc_u32_e32 v22, 64, v19
	s_delay_alu instid0(VALU_DEP_1) | instskip(SKIP_2) | instid1(VALU_DEP_3)
	v_mad_i64_i32 v[16:17], null, v22, s18, 0
	v_mad_i64_i32 v[20:21], null, v22, s9, 0
	v_cmp_gt_i32_e64 s8, s17, v22
	v_lshlrev_b64 v[16:17], 3, v[16:17]
	s_delay_alu instid0(VALU_DEP_2) | instskip(NEXT) | instid1(VALU_DEP_3)
	s_and_b32 s19, s0, s8
	v_lshlrev_b64 v[20:21], 3, v[20:21]
	s_delay_alu instid0(VALU_DEP_2) | instskip(NEXT) | instid1(VALU_DEP_3)
	v_add_co_u32 v24, vcc_lo, s12, v16
	v_add_co_ci_u32_e32 v23, vcc_lo, s13, v17, vcc_lo
	s_delay_alu instid0(VALU_DEP_3) | instskip(NEXT) | instid1(VALU_DEP_4)
	v_add_co_u32 v22, vcc_lo, s14, v20
	v_add_co_ci_u32_e32 v21, vcc_lo, s15, v21, vcc_lo
	s_and_saveexec_b32 s16, s19
	s_cbranch_execnz .LBB128_150
; %bb.143:
	s_or_b32 exec_lo, exec_lo, s16
	s_and_b32 s19, s1, s8
	s_delay_alu instid0(SALU_CYCLE_1)
	s_and_saveexec_b32 s16, s19
	s_cbranch_execnz .LBB128_154
.LBB128_144:
	s_or_b32 exec_lo, exec_lo, s16
	s_and_b32 s19, s2, s8
	s_delay_alu instid0(SALU_CYCLE_1)
	s_and_saveexec_b32 s16, s19
	s_cbranch_execnz .LBB128_158
.LBB128_145:
	s_or_b32 exec_lo, exec_lo, s16
	s_and_b32 s19, s3, s8
	s_delay_alu instid0(SALU_CYCLE_1)
	s_and_saveexec_b32 s16, s19
	s_cbranch_execnz .LBB128_162
.LBB128_146:
	s_or_b32 exec_lo, exec_lo, s16
	s_and_b32 s19, s4, s8
	s_delay_alu instid0(SALU_CYCLE_1)
	s_and_saveexec_b32 s16, s19
	s_cbranch_execnz .LBB128_166
.LBB128_147:
	s_or_b32 exec_lo, exec_lo, s16
	s_and_b32 s19, s5, s8
	s_delay_alu instid0(SALU_CYCLE_1)
	s_and_saveexec_b32 s16, s19
	s_cbranch_execnz .LBB128_170
.LBB128_148:
	s_or_b32 exec_lo, exec_lo, s16
	s_and_b32 s19, s6, s8
	s_delay_alu instid0(SALU_CYCLE_1)
	s_and_saveexec_b32 s16, s19
	s_cbranch_execnz .LBB128_174
.LBB128_149:
	s_or_b32 exec_lo, exec_lo, s16
	s_and_b32 s16, s7, s8
	s_delay_alu instid0(SALU_CYCLE_1)
	s_and_saveexec_b32 s8, s16
	s_cbranch_execnz .LBB128_178
	s_branch .LBB128_182
.LBB128_150:
	v_cmp_ne_u32_e32 vcc_lo, 1, v18
	v_mov_b32_e32 v20, v26
	s_cbranch_vccnz .LBB128_152
; %bb.151:
	v_lshlrev_b64 v[16:17], 3, v[0:1]
	s_delay_alu instid0(VALU_DEP_1) | instskip(NEXT) | instid1(VALU_DEP_2)
	v_add_co_u32 v16, vcc_lo, v24, v16
	v_add_co_ci_u32_e32 v17, vcc_lo, v23, v17, vcc_lo
	flat_load_b64 v[16:17], v[16:17]
	s_waitcnt vmcnt(0) lgkmcnt(0)
	v_mul_f64 v[16:17], v[16:17], s[10:11]
	s_branch .LBB128_153
.LBB128_152:
	v_mov_b32_e32 v16, 0
	v_mov_b32_e32 v17, 0
.LBB128_153:
	s_delay_alu instid0(VALU_DEP_1) | instskip(SKIP_2) | instid1(VALU_DEP_1)
	v_cvt_f32_f64_e32 v16, v[16:17]
	v_max_f32_e32 v17, v110, v110
	v_lshlrev_b64 v[25:26], 3, v[0:1]
	v_add_co_u32 v25, vcc_lo, v22, v25
	s_delay_alu instid0(VALU_DEP_2) | instskip(NEXT) | instid1(VALU_DEP_4)
	v_add_co_ci_u32_e32 v26, vcc_lo, v21, v26, vcc_lo
	v_min_f32_e32 v16, v16, v17
	s_delay_alu instid0(VALU_DEP_1) | instskip(SKIP_4) | instid1(SALU_CYCLE_1)
	v_cvt_f64_f32_e32 v[16:17], v16
	global_store_b64 v[25:26], v[16:17], off
	v_mov_b32_e32 v26, v20
	s_or_b32 exec_lo, exec_lo, s16
	s_and_b32 s19, s1, s8
	s_and_saveexec_b32 s16, s19
	s_cbranch_execz .LBB128_144
.LBB128_154:
	v_cmp_ne_u32_e32 vcc_lo, 1, v18
	v_mov_b32_e32 v20, v26
	s_cbranch_vccnz .LBB128_156
; %bb.155:
	v_lshlrev_b64 v[16:17], 3, v[2:3]
	s_delay_alu instid0(VALU_DEP_1) | instskip(NEXT) | instid1(VALU_DEP_2)
	v_add_co_u32 v16, vcc_lo, v24, v16
	v_add_co_ci_u32_e32 v17, vcc_lo, v23, v17, vcc_lo
	flat_load_b64 v[16:17], v[16:17]
	s_waitcnt vmcnt(0) lgkmcnt(0)
	v_mul_f64 v[16:17], v[16:17], s[10:11]
	s_branch .LBB128_157
.LBB128_156:
	v_mov_b32_e32 v16, 0
	v_mov_b32_e32 v17, 0
.LBB128_157:
	s_delay_alu instid0(VALU_DEP_1) | instskip(SKIP_2) | instid1(VALU_DEP_1)
	v_cvt_f32_f64_e32 v16, v[16:17]
	v_max_f32_e32 v17, v41, v41
	v_lshlrev_b64 v[25:26], 3, v[2:3]
	v_add_co_u32 v25, vcc_lo, v22, v25
	s_delay_alu instid0(VALU_DEP_2) | instskip(NEXT) | instid1(VALU_DEP_4)
	v_add_co_ci_u32_e32 v26, vcc_lo, v21, v26, vcc_lo
	v_min_f32_e32 v16, v16, v17
	s_delay_alu instid0(VALU_DEP_1) | instskip(SKIP_4) | instid1(SALU_CYCLE_1)
	v_cvt_f64_f32_e32 v[16:17], v16
	global_store_b64 v[25:26], v[16:17], off
	v_mov_b32_e32 v26, v20
	s_or_b32 exec_lo, exec_lo, s16
	s_and_b32 s19, s2, s8
	s_and_saveexec_b32 s16, s19
	s_cbranch_execz .LBB128_145
.LBB128_158:
	v_cmp_ne_u32_e32 vcc_lo, 1, v18
	v_mov_b32_e32 v20, v26
	s_cbranch_vccnz .LBB128_160
; %bb.159:
	v_lshlrev_b64 v[16:17], 3, v[4:5]
	s_delay_alu instid0(VALU_DEP_1) | instskip(NEXT) | instid1(VALU_DEP_2)
	v_add_co_u32 v16, vcc_lo, v24, v16
	v_add_co_ci_u32_e32 v17, vcc_lo, v23, v17, vcc_lo
	flat_load_b64 v[16:17], v[16:17]
	s_waitcnt vmcnt(0) lgkmcnt(0)
	v_mul_f64 v[16:17], v[16:17], s[10:11]
	s_branch .LBB128_161
.LBB128_160:
	v_mov_b32_e32 v16, 0
	v_mov_b32_e32 v17, 0
.LBB128_161:
	s_delay_alu instid0(VALU_DEP_1) | instskip(SKIP_2) | instid1(VALU_DEP_1)
	v_cvt_f32_f64_e32 v16, v[16:17]
	v_max_f32_e32 v17, v59, v59
	v_lshlrev_b64 v[25:26], 3, v[4:5]
	v_add_co_u32 v25, vcc_lo, v22, v25
	s_delay_alu instid0(VALU_DEP_2) | instskip(NEXT) | instid1(VALU_DEP_4)
	v_add_co_ci_u32_e32 v26, vcc_lo, v21, v26, vcc_lo
	v_min_f32_e32 v16, v16, v17
	s_delay_alu instid0(VALU_DEP_1) | instskip(SKIP_4) | instid1(SALU_CYCLE_1)
	v_cvt_f64_f32_e32 v[16:17], v16
	global_store_b64 v[25:26], v[16:17], off
	v_mov_b32_e32 v26, v20
	s_or_b32 exec_lo, exec_lo, s16
	s_and_b32 s19, s3, s8
	s_and_saveexec_b32 s16, s19
	s_cbranch_execz .LBB128_146
.LBB128_162:
	v_cmp_ne_u32_e32 vcc_lo, 1, v18
	v_mov_b32_e32 v20, v26
	s_cbranch_vccnz .LBB128_164
; %bb.163:
	v_lshlrev_b64 v[16:17], 3, v[6:7]
	s_delay_alu instid0(VALU_DEP_1) | instskip(NEXT) | instid1(VALU_DEP_2)
	v_add_co_u32 v16, vcc_lo, v24, v16
	v_add_co_ci_u32_e32 v17, vcc_lo, v23, v17, vcc_lo
	flat_load_b64 v[16:17], v[16:17]
	s_waitcnt vmcnt(0) lgkmcnt(0)
	v_mul_f64 v[16:17], v[16:17], s[10:11]
	s_branch .LBB128_165
.LBB128_164:
	v_mov_b32_e32 v16, 0
	v_mov_b32_e32 v17, 0
.LBB128_165:
	s_delay_alu instid0(VALU_DEP_1) | instskip(SKIP_2) | instid1(VALU_DEP_1)
	v_cvt_f32_f64_e32 v16, v[16:17]
	v_max_f32_e32 v17, v58, v58
	v_lshlrev_b64 v[25:26], 3, v[6:7]
	v_add_co_u32 v25, vcc_lo, v22, v25
	s_delay_alu instid0(VALU_DEP_2) | instskip(NEXT) | instid1(VALU_DEP_4)
	v_add_co_ci_u32_e32 v26, vcc_lo, v21, v26, vcc_lo
	v_min_f32_e32 v16, v16, v17
	s_delay_alu instid0(VALU_DEP_1) | instskip(SKIP_4) | instid1(SALU_CYCLE_1)
	v_cvt_f64_f32_e32 v[16:17], v16
	global_store_b64 v[25:26], v[16:17], off
	v_mov_b32_e32 v26, v20
	s_or_b32 exec_lo, exec_lo, s16
	s_and_b32 s19, s4, s8
	s_and_saveexec_b32 s16, s19
	s_cbranch_execz .LBB128_147
.LBB128_166:
	v_cmp_ne_u32_e32 vcc_lo, 1, v18
	v_mov_b32_e32 v20, v26
	s_cbranch_vccnz .LBB128_168
; %bb.167:
	v_lshlrev_b64 v[16:17], 3, v[8:9]
	s_delay_alu instid0(VALU_DEP_1) | instskip(NEXT) | instid1(VALU_DEP_2)
	v_add_co_u32 v16, vcc_lo, v24, v16
	v_add_co_ci_u32_e32 v17, vcc_lo, v23, v17, vcc_lo
	flat_load_b64 v[16:17], v[16:17]
	s_waitcnt vmcnt(0) lgkmcnt(0)
	v_mul_f64 v[16:17], v[16:17], s[10:11]
	s_branch .LBB128_169
.LBB128_168:
	v_mov_b32_e32 v16, 0
	v_mov_b32_e32 v17, 0
.LBB128_169:
	s_delay_alu instid0(VALU_DEP_1) | instskip(SKIP_2) | instid1(VALU_DEP_1)
	v_cvt_f32_f64_e32 v16, v[16:17]
	v_max_f32_e32 v17, v81, v81
	v_lshlrev_b64 v[25:26], 3, v[8:9]
	v_add_co_u32 v25, vcc_lo, v22, v25
	s_delay_alu instid0(VALU_DEP_2) | instskip(NEXT) | instid1(VALU_DEP_4)
	v_add_co_ci_u32_e32 v26, vcc_lo, v21, v26, vcc_lo
	v_min_f32_e32 v16, v16, v17
	s_delay_alu instid0(VALU_DEP_1) | instskip(SKIP_4) | instid1(SALU_CYCLE_1)
	v_cvt_f64_f32_e32 v[16:17], v16
	global_store_b64 v[25:26], v[16:17], off
	v_mov_b32_e32 v26, v20
	s_or_b32 exec_lo, exec_lo, s16
	s_and_b32 s19, s5, s8
	s_and_saveexec_b32 s16, s19
	s_cbranch_execz .LBB128_148
.LBB128_170:
	v_cmp_ne_u32_e32 vcc_lo, 1, v18
	v_mov_b32_e32 v20, v26
	s_cbranch_vccnz .LBB128_172
; %bb.171:
	v_lshlrev_b64 v[16:17], 3, v[10:11]
	s_delay_alu instid0(VALU_DEP_1) | instskip(NEXT) | instid1(VALU_DEP_2)
	v_add_co_u32 v16, vcc_lo, v24, v16
	v_add_co_ci_u32_e32 v17, vcc_lo, v23, v17, vcc_lo
	flat_load_b64 v[16:17], v[16:17]
	s_waitcnt vmcnt(0) lgkmcnt(0)
	v_mul_f64 v[16:17], v[16:17], s[10:11]
	s_branch .LBB128_173
.LBB128_172:
	v_mov_b32_e32 v16, 0
	v_mov_b32_e32 v17, 0
.LBB128_173:
	s_delay_alu instid0(VALU_DEP_1) | instskip(SKIP_2) | instid1(VALU_DEP_1)
	v_cvt_f32_f64_e32 v16, v[16:17]
	v_max_f32_e32 v17, v80, v80
	v_lshlrev_b64 v[25:26], 3, v[10:11]
	v_add_co_u32 v25, vcc_lo, v22, v25
	s_delay_alu instid0(VALU_DEP_2) | instskip(NEXT) | instid1(VALU_DEP_4)
	v_add_co_ci_u32_e32 v26, vcc_lo, v21, v26, vcc_lo
	v_min_f32_e32 v16, v16, v17
	s_delay_alu instid0(VALU_DEP_1) | instskip(SKIP_4) | instid1(SALU_CYCLE_1)
	v_cvt_f64_f32_e32 v[16:17], v16
	global_store_b64 v[25:26], v[16:17], off
	v_mov_b32_e32 v26, v20
	s_or_b32 exec_lo, exec_lo, s16
	s_and_b32 s19, s6, s8
	s_and_saveexec_b32 s16, s19
	s_cbranch_execz .LBB128_149
.LBB128_174:
	v_cmp_ne_u32_e32 vcc_lo, 1, v18
	v_mov_b32_e32 v20, v26
	s_cbranch_vccnz .LBB128_176
; %bb.175:
	v_lshlrev_b64 v[16:17], 3, v[12:13]
	s_delay_alu instid0(VALU_DEP_1) | instskip(NEXT) | instid1(VALU_DEP_2)
	v_add_co_u32 v16, vcc_lo, v24, v16
	v_add_co_ci_u32_e32 v17, vcc_lo, v23, v17, vcc_lo
	flat_load_b64 v[16:17], v[16:17]
	s_waitcnt vmcnt(0) lgkmcnt(0)
	v_mul_f64 v[16:17], v[16:17], s[10:11]
	s_branch .LBB128_177
.LBB128_176:
	v_mov_b32_e32 v16, 0
	v_mov_b32_e32 v17, 0
.LBB128_177:
	s_delay_alu instid0(VALU_DEP_1) | instskip(SKIP_2) | instid1(VALU_DEP_1)
	v_cvt_f32_f64_e32 v16, v[16:17]
	v_max_f32_e32 v17, v57, v57
	v_lshlrev_b64 v[25:26], 3, v[12:13]
	v_add_co_u32 v25, vcc_lo, v22, v25
	s_delay_alu instid0(VALU_DEP_2) | instskip(NEXT) | instid1(VALU_DEP_4)
	v_add_co_ci_u32_e32 v26, vcc_lo, v21, v26, vcc_lo
	v_min_f32_e32 v16, v16, v17
	s_delay_alu instid0(VALU_DEP_1) | instskip(SKIP_4) | instid1(SALU_CYCLE_1)
	v_cvt_f64_f32_e32 v[16:17], v16
	global_store_b64 v[25:26], v[16:17], off
	v_mov_b32_e32 v26, v20
	s_or_b32 exec_lo, exec_lo, s16
	s_and_b32 s16, s7, s8
	s_and_saveexec_b32 s8, s16
	s_cbranch_execz .LBB128_182
.LBB128_178:
	v_cmp_ne_u32_e32 vcc_lo, 1, v18
	s_cbranch_vccnz .LBB128_180
; %bb.179:
	v_lshlrev_b64 v[16:17], 3, v[14:15]
	s_delay_alu instid0(VALU_DEP_1) | instskip(NEXT) | instid1(VALU_DEP_2)
	v_add_co_u32 v16, vcc_lo, v24, v16
	v_add_co_ci_u32_e32 v17, vcc_lo, v23, v17, vcc_lo
	flat_load_b64 v[16:17], v[16:17]
	s_waitcnt vmcnt(0) lgkmcnt(0)
	v_mul_f64 v[16:17], v[16:17], s[10:11]
	s_branch .LBB128_181
.LBB128_180:
	v_mov_b32_e32 v16, 0
	v_mov_b32_e32 v17, 0
.LBB128_181:
	s_delay_alu instid0(VALU_DEP_1) | instskip(SKIP_2) | instid1(VALU_DEP_1)
	v_cvt_f32_f64_e32 v16, v[16:17]
	v_max_f32_e32 v17, v56, v56
	v_lshlrev_b64 v[23:24], 3, v[14:15]
	v_add_co_u32 v20, vcc_lo, v22, v23
	s_delay_alu instid0(VALU_DEP_2) | instskip(NEXT) | instid1(VALU_DEP_4)
	v_add_co_ci_u32_e32 v21, vcc_lo, v21, v24, vcc_lo
	v_min_f32_e32 v16, v16, v17
	s_delay_alu instid0(VALU_DEP_1)
	v_cvt_f64_f32_e32 v[16:17], v16
	global_store_b64 v[20:21], v[16:17], off
.LBB128_182:
	s_or_b32 exec_lo, exec_lo, s8
	v_add_nc_u32_e32 v22, 0x60, v19
	s_delay_alu instid0(VALU_DEP_1) | instskip(SKIP_2) | instid1(VALU_DEP_3)
	v_mad_i64_i32 v[16:17], null, v22, s18, 0
	v_mad_i64_i32 v[20:21], null, v22, s9, 0
	v_cmp_gt_i32_e64 s8, s17, v22
	v_lshlrev_b64 v[16:17], 3, v[16:17]
	s_delay_alu instid0(VALU_DEP_2) | instskip(NEXT) | instid1(VALU_DEP_3)
	s_and_b32 s19, s0, s8
	v_lshlrev_b64 v[20:21], 3, v[20:21]
	s_delay_alu instid0(VALU_DEP_2) | instskip(NEXT) | instid1(VALU_DEP_3)
	v_add_co_u32 v24, vcc_lo, s12, v16
	v_add_co_ci_u32_e32 v23, vcc_lo, s13, v17, vcc_lo
	s_delay_alu instid0(VALU_DEP_3) | instskip(NEXT) | instid1(VALU_DEP_4)
	v_add_co_u32 v22, vcc_lo, s14, v20
	v_add_co_ci_u32_e32 v21, vcc_lo, s15, v21, vcc_lo
	s_and_saveexec_b32 s16, s19
	s_cbranch_execnz .LBB128_190
; %bb.183:
	s_or_b32 exec_lo, exec_lo, s16
	s_and_b32 s19, s1, s8
	s_delay_alu instid0(SALU_CYCLE_1)
	s_and_saveexec_b32 s16, s19
	s_cbranch_execnz .LBB128_194
.LBB128_184:
	s_or_b32 exec_lo, exec_lo, s16
	s_and_b32 s19, s2, s8
	s_delay_alu instid0(SALU_CYCLE_1)
	s_and_saveexec_b32 s16, s19
	s_cbranch_execnz .LBB128_198
.LBB128_185:
	s_or_b32 exec_lo, exec_lo, s16
	s_and_b32 s19, s3, s8
	s_delay_alu instid0(SALU_CYCLE_1)
	s_and_saveexec_b32 s16, s19
	s_cbranch_execnz .LBB128_202
.LBB128_186:
	s_or_b32 exec_lo, exec_lo, s16
	s_and_b32 s19, s4, s8
	s_delay_alu instid0(SALU_CYCLE_1)
	s_and_saveexec_b32 s16, s19
	s_cbranch_execnz .LBB128_206
.LBB128_187:
	s_or_b32 exec_lo, exec_lo, s16
	s_and_b32 s19, s5, s8
	s_delay_alu instid0(SALU_CYCLE_1)
	s_and_saveexec_b32 s16, s19
	s_cbranch_execnz .LBB128_210
.LBB128_188:
	s_or_b32 exec_lo, exec_lo, s16
	s_and_b32 s19, s6, s8
	s_delay_alu instid0(SALU_CYCLE_1)
	s_and_saveexec_b32 s16, s19
	s_cbranch_execnz .LBB128_214
.LBB128_189:
	s_or_b32 exec_lo, exec_lo, s16
	s_and_b32 s16, s7, s8
	s_delay_alu instid0(SALU_CYCLE_1)
	s_and_saveexec_b32 s8, s16
	s_cbranch_execnz .LBB128_218
	s_branch .LBB128_222
.LBB128_190:
	v_cmp_ne_u32_e32 vcc_lo, 1, v18
	v_mov_b32_e32 v20, v26
	s_cbranch_vccnz .LBB128_192
; %bb.191:
	v_lshlrev_b64 v[16:17], 3, v[0:1]
	s_delay_alu instid0(VALU_DEP_1) | instskip(NEXT) | instid1(VALU_DEP_2)
	v_add_co_u32 v16, vcc_lo, v24, v16
	v_add_co_ci_u32_e32 v17, vcc_lo, v23, v17, vcc_lo
	flat_load_b64 v[16:17], v[16:17]
	s_waitcnt vmcnt(0) lgkmcnt(0)
	v_mul_f64 v[16:17], v[16:17], s[10:11]
	s_branch .LBB128_193
.LBB128_192:
	v_mov_b32_e32 v16, 0
	v_mov_b32_e32 v17, 0
.LBB128_193:
	s_delay_alu instid0(VALU_DEP_1) | instskip(SKIP_2) | instid1(VALU_DEP_1)
	v_cvt_f32_f64_e32 v16, v[16:17]
	v_max_f32_e32 v17, v79, v79
	v_lshlrev_b64 v[25:26], 3, v[0:1]
	v_add_co_u32 v25, vcc_lo, v22, v25
	s_delay_alu instid0(VALU_DEP_2) | instskip(NEXT) | instid1(VALU_DEP_4)
	v_add_co_ci_u32_e32 v26, vcc_lo, v21, v26, vcc_lo
	v_min_f32_e32 v16, v16, v17
	s_delay_alu instid0(VALU_DEP_1) | instskip(SKIP_4) | instid1(SALU_CYCLE_1)
	v_cvt_f64_f32_e32 v[16:17], v16
	global_store_b64 v[25:26], v[16:17], off
	v_mov_b32_e32 v26, v20
	s_or_b32 exec_lo, exec_lo, s16
	s_and_b32 s19, s1, s8
	s_and_saveexec_b32 s16, s19
	s_cbranch_execz .LBB128_184
.LBB128_194:
	v_cmp_ne_u32_e32 vcc_lo, 1, v18
	v_mov_b32_e32 v20, v26
	s_cbranch_vccnz .LBB128_196
; %bb.195:
	v_lshlrev_b64 v[16:17], 3, v[2:3]
	s_delay_alu instid0(VALU_DEP_1) | instskip(NEXT) | instid1(VALU_DEP_2)
	v_add_co_u32 v16, vcc_lo, v24, v16
	v_add_co_ci_u32_e32 v17, vcc_lo, v23, v17, vcc_lo
	flat_load_b64 v[16:17], v[16:17]
	s_waitcnt vmcnt(0) lgkmcnt(0)
	v_mul_f64 v[16:17], v[16:17], s[10:11]
	s_branch .LBB128_197
.LBB128_196:
	v_mov_b32_e32 v16, 0
	v_mov_b32_e32 v17, 0
.LBB128_197:
	s_delay_alu instid0(VALU_DEP_1) | instskip(SKIP_2) | instid1(VALU_DEP_1)
	v_cvt_f32_f64_e32 v16, v[16:17]
	v_max_f32_e32 v17, v199, v199
	v_lshlrev_b64 v[25:26], 3, v[2:3]
	v_add_co_u32 v25, vcc_lo, v22, v25
	s_delay_alu instid0(VALU_DEP_2) | instskip(NEXT) | instid1(VALU_DEP_4)
	v_add_co_ci_u32_e32 v26, vcc_lo, v21, v26, vcc_lo
	v_min_f32_e32 v16, v16, v17
	s_delay_alu instid0(VALU_DEP_1) | instskip(SKIP_4) | instid1(SALU_CYCLE_1)
	v_cvt_f64_f32_e32 v[16:17], v16
	global_store_b64 v[25:26], v[16:17], off
	v_mov_b32_e32 v26, v20
	s_or_b32 exec_lo, exec_lo, s16
	s_and_b32 s19, s2, s8
	s_and_saveexec_b32 s16, s19
	s_cbranch_execz .LBB128_185
.LBB128_198:
	v_cmp_ne_u32_e32 vcc_lo, 1, v18
	v_mov_b32_e32 v20, v26
	s_cbranch_vccnz .LBB128_200
; %bb.199:
	v_lshlrev_b64 v[16:17], 3, v[4:5]
	s_delay_alu instid0(VALU_DEP_1) | instskip(NEXT) | instid1(VALU_DEP_2)
	v_add_co_u32 v16, vcc_lo, v24, v16
	v_add_co_ci_u32_e32 v17, vcc_lo, v23, v17, vcc_lo
	flat_load_b64 v[16:17], v[16:17]
	s_waitcnt vmcnt(0) lgkmcnt(0)
	v_mul_f64 v[16:17], v[16:17], s[10:11]
	s_branch .LBB128_201
.LBB128_200:
	v_mov_b32_e32 v16, 0
	v_mov_b32_e32 v17, 0
.LBB128_201:
	s_delay_alu instid0(VALU_DEP_1) | instskip(SKIP_2) | instid1(VALU_DEP_1)
	v_cvt_f32_f64_e32 v16, v[16:17]
	v_max_f32_e32 v17, v54, v54
	v_lshlrev_b64 v[25:26], 3, v[4:5]
	v_add_co_u32 v25, vcc_lo, v22, v25
	s_delay_alu instid0(VALU_DEP_2) | instskip(NEXT) | instid1(VALU_DEP_4)
	v_add_co_ci_u32_e32 v26, vcc_lo, v21, v26, vcc_lo
	v_min_f32_e32 v16, v16, v17
	s_delay_alu instid0(VALU_DEP_1) | instskip(SKIP_4) | instid1(SALU_CYCLE_1)
	v_cvt_f64_f32_e32 v[16:17], v16
	global_store_b64 v[25:26], v[16:17], off
	v_mov_b32_e32 v26, v20
	s_or_b32 exec_lo, exec_lo, s16
	s_and_b32 s19, s3, s8
	s_and_saveexec_b32 s16, s19
	s_cbranch_execz .LBB128_186
.LBB128_202:
	v_cmp_ne_u32_e32 vcc_lo, 1, v18
	s_cbranch_vccnz .LBB128_204
; %bb.203:
	v_lshlrev_b64 v[16:17], 3, v[6:7]
	s_delay_alu instid0(VALU_DEP_1) | instskip(NEXT) | instid1(VALU_DEP_2)
	v_add_co_u32 v16, vcc_lo, v24, v16
	v_add_co_ci_u32_e32 v17, vcc_lo, v23, v17, vcc_lo
	flat_load_b64 v[16:17], v[16:17]
	s_waitcnt vmcnt(0) lgkmcnt(0)
	v_mul_f64 v[16:17], v[16:17], s[10:11]
	s_branch .LBB128_205
.LBB128_204:
	v_mov_b32_e32 v16, 0
	v_mov_b32_e32 v17, 0
.LBB128_205:
	s_delay_alu instid0(VALU_DEP_1) | instskip(SKIP_2) | instid1(VALU_DEP_1)
	v_cvt_f32_f64_e32 v16, v[16:17]
	v_max_f32_e32 v17, v26, v26
	v_lshlrev_b64 v[25:26], 3, v[6:7]
	v_add_co_u32 v25, vcc_lo, v22, v25
	s_delay_alu instid0(VALU_DEP_2) | instskip(NEXT) | instid1(VALU_DEP_4)
	v_add_co_ci_u32_e32 v26, vcc_lo, v21, v26, vcc_lo
	v_min_f32_e32 v16, v16, v17
	s_delay_alu instid0(VALU_DEP_1) | instskip(SKIP_3) | instid1(SALU_CYCLE_1)
	v_cvt_f64_f32_e32 v[16:17], v16
	global_store_b64 v[25:26], v[16:17], off
	s_or_b32 exec_lo, exec_lo, s16
	s_and_b32 s19, s4, s8
	s_and_saveexec_b32 s16, s19
	s_cbranch_execz .LBB128_187
.LBB128_206:
	v_cmp_ne_u32_e32 vcc_lo, 1, v18
	s_cbranch_vccnz .LBB128_208
; %bb.207:
	v_lshlrev_b64 v[16:17], 3, v[8:9]
	s_delay_alu instid0(VALU_DEP_1) | instskip(NEXT) | instid1(VALU_DEP_2)
	v_add_co_u32 v16, vcc_lo, v24, v16
	v_add_co_ci_u32_e32 v17, vcc_lo, v23, v17, vcc_lo
	flat_load_b64 v[16:17], v[16:17]
	s_waitcnt vmcnt(0) lgkmcnt(0)
	v_mul_f64 v[16:17], v[16:17], s[10:11]
	s_branch .LBB128_209
.LBB128_208:
	v_mov_b32_e32 v16, 0
	v_mov_b32_e32 v17, 0
.LBB128_209:
	s_delay_alu instid0(VALU_DEP_1) | instskip(SKIP_2) | instid1(VALU_DEP_1)
	v_cvt_f32_f64_e32 v16, v[16:17]
	v_max_f32_e32 v17, v27, v27
	v_lshlrev_b64 v[25:26], 3, v[8:9]
	v_add_co_u32 v25, vcc_lo, v22, v25
	s_delay_alu instid0(VALU_DEP_2) | instskip(NEXT) | instid1(VALU_DEP_4)
	v_add_co_ci_u32_e32 v26, vcc_lo, v21, v26, vcc_lo
	v_min_f32_e32 v16, v16, v17
	s_delay_alu instid0(VALU_DEP_1) | instskip(SKIP_3) | instid1(SALU_CYCLE_1)
	v_cvt_f64_f32_e32 v[16:17], v16
	global_store_b64 v[25:26], v[16:17], off
	s_or_b32 exec_lo, exec_lo, s16
	s_and_b32 s19, s5, s8
	s_and_saveexec_b32 s16, s19
	s_cbranch_execz .LBB128_188
.LBB128_210:
	v_cmp_ne_u32_e32 vcc_lo, 1, v18
	s_cbranch_vccnz .LBB128_212
; %bb.211:
	v_lshlrev_b64 v[16:17], 3, v[10:11]
	s_delay_alu instid0(VALU_DEP_1) | instskip(NEXT) | instid1(VALU_DEP_2)
	v_add_co_u32 v16, vcc_lo, v24, v16
	v_add_co_ci_u32_e32 v17, vcc_lo, v23, v17, vcc_lo
	flat_load_b64 v[16:17], v[16:17]
	s_waitcnt vmcnt(0) lgkmcnt(0)
	v_mul_f64 v[16:17], v[16:17], s[10:11]
	s_branch .LBB128_213
.LBB128_212:
	v_mov_b32_e32 v16, 0
	v_mov_b32_e32 v17, 0
.LBB128_213:
	s_delay_alu instid0(VALU_DEP_1) | instskip(SKIP_2) | instid1(VALU_DEP_1)
	v_cvt_f32_f64_e32 v16, v[16:17]
	v_max_f32_e32 v17, v44, v44
	v_lshlrev_b64 v[25:26], 3, v[10:11]
	v_add_co_u32 v25, vcc_lo, v22, v25
	s_delay_alu instid0(VALU_DEP_2) | instskip(NEXT) | instid1(VALU_DEP_4)
	v_add_co_ci_u32_e32 v26, vcc_lo, v21, v26, vcc_lo
	v_min_f32_e32 v16, v16, v17
	s_delay_alu instid0(VALU_DEP_1) | instskip(SKIP_3) | instid1(SALU_CYCLE_1)
	v_cvt_f64_f32_e32 v[16:17], v16
	global_store_b64 v[25:26], v[16:17], off
	s_or_b32 exec_lo, exec_lo, s16
	s_and_b32 s19, s6, s8
	s_and_saveexec_b32 s16, s19
	s_cbranch_execz .LBB128_189
.LBB128_214:
	v_cmp_ne_u32_e32 vcc_lo, 1, v18
	s_cbranch_vccnz .LBB128_216
; %bb.215:
	v_lshlrev_b64 v[16:17], 3, v[12:13]
	s_delay_alu instid0(VALU_DEP_1) | instskip(NEXT) | instid1(VALU_DEP_2)
	v_add_co_u32 v16, vcc_lo, v24, v16
	v_add_co_ci_u32_e32 v17, vcc_lo, v23, v17, vcc_lo
	flat_load_b64 v[16:17], v[16:17]
	s_waitcnt vmcnt(0) lgkmcnt(0)
	v_mul_f64 v[16:17], v[16:17], s[10:11]
	s_branch .LBB128_217
.LBB128_216:
	v_mov_b32_e32 v16, 0
	v_mov_b32_e32 v17, 0
.LBB128_217:
	s_delay_alu instid0(VALU_DEP_1) | instskip(SKIP_2) | instid1(VALU_DEP_1)
	v_cvt_f32_f64_e32 v16, v[16:17]
	v_max_f32_e32 v17, v45, v45
	v_lshlrev_b64 v[25:26], 3, v[12:13]
	v_add_co_u32 v25, vcc_lo, v22, v25
	s_delay_alu instid0(VALU_DEP_2) | instskip(NEXT) | instid1(VALU_DEP_4)
	v_add_co_ci_u32_e32 v26, vcc_lo, v21, v26, vcc_lo
	v_min_f32_e32 v16, v16, v17
	s_delay_alu instid0(VALU_DEP_1) | instskip(SKIP_3) | instid1(SALU_CYCLE_1)
	v_cvt_f64_f32_e32 v[16:17], v16
	global_store_b64 v[25:26], v[16:17], off
	s_or_b32 exec_lo, exec_lo, s16
	s_and_b32 s16, s7, s8
	s_and_saveexec_b32 s8, s16
	s_cbranch_execz .LBB128_222
.LBB128_218:
	v_cmp_ne_u32_e32 vcc_lo, 1, v18
	s_cbranch_vccnz .LBB128_220
; %bb.219:
	v_lshlrev_b64 v[16:17], 3, v[14:15]
	s_delay_alu instid0(VALU_DEP_1) | instskip(NEXT) | instid1(VALU_DEP_2)
	v_add_co_u32 v16, vcc_lo, v24, v16
	v_add_co_ci_u32_e32 v17, vcc_lo, v23, v17, vcc_lo
	flat_load_b64 v[16:17], v[16:17]
	s_waitcnt vmcnt(0) lgkmcnt(0)
	v_mul_f64 v[16:17], v[16:17], s[10:11]
	s_branch .LBB128_221
.LBB128_220:
	v_mov_b32_e32 v16, 0
	v_mov_b32_e32 v17, 0
.LBB128_221:
	s_delay_alu instid0(VALU_DEP_1) | instskip(SKIP_2) | instid1(VALU_DEP_1)
	v_cvt_f32_f64_e32 v16, v[16:17]
	v_max_f32_e32 v17, v42, v42
	v_lshlrev_b64 v[23:24], 3, v[14:15]
	v_add_co_u32 v20, vcc_lo, v22, v23
	s_delay_alu instid0(VALU_DEP_2) | instskip(NEXT) | instid1(VALU_DEP_4)
	v_add_co_ci_u32_e32 v21, vcc_lo, v21, v24, vcc_lo
	v_min_f32_e32 v16, v16, v17
	s_delay_alu instid0(VALU_DEP_1)
	v_cvt_f64_f32_e32 v[16:17], v16
	global_store_b64 v[20:21], v[16:17], off
.LBB128_222:
	s_or_b32 exec_lo, exec_lo, s8
	v_add_nc_u32_e32 v22, 0x80, v19
	s_delay_alu instid0(VALU_DEP_1) | instskip(SKIP_2) | instid1(VALU_DEP_3)
	v_mad_i64_i32 v[16:17], null, v22, s18, 0
	v_mad_i64_i32 v[20:21], null, v22, s9, 0
	v_cmp_gt_i32_e64 s8, s17, v22
	v_lshlrev_b64 v[16:17], 3, v[16:17]
	s_delay_alu instid0(VALU_DEP_2) | instskip(NEXT) | instid1(VALU_DEP_3)
	s_and_b32 s19, s0, s8
	v_lshlrev_b64 v[20:21], 3, v[20:21]
	s_delay_alu instid0(VALU_DEP_2) | instskip(NEXT) | instid1(VALU_DEP_3)
	v_add_co_u32 v24, vcc_lo, s12, v16
	v_add_co_ci_u32_e32 v23, vcc_lo, s13, v17, vcc_lo
	s_delay_alu instid0(VALU_DEP_3) | instskip(NEXT) | instid1(VALU_DEP_4)
	v_add_co_u32 v22, vcc_lo, s14, v20
	v_add_co_ci_u32_e32 v21, vcc_lo, s15, v21, vcc_lo
	s_and_saveexec_b32 s16, s19
	s_cbranch_execnz .LBB128_230
; %bb.223:
	s_or_b32 exec_lo, exec_lo, s16
	s_and_b32 s19, s1, s8
	s_delay_alu instid0(SALU_CYCLE_1)
	s_and_saveexec_b32 s16, s19
	s_cbranch_execnz .LBB128_234
.LBB128_224:
	s_or_b32 exec_lo, exec_lo, s16
	s_and_b32 s19, s2, s8
	s_delay_alu instid0(SALU_CYCLE_1)
	s_and_saveexec_b32 s16, s19
	s_cbranch_execnz .LBB128_238
.LBB128_225:
	s_or_b32 exec_lo, exec_lo, s16
	s_and_b32 s19, s3, s8
	s_delay_alu instid0(SALU_CYCLE_1)
	s_and_saveexec_b32 s16, s19
	s_cbranch_execnz .LBB128_242
.LBB128_226:
	s_or_b32 exec_lo, exec_lo, s16
	s_and_b32 s19, s4, s8
	s_delay_alu instid0(SALU_CYCLE_1)
	s_and_saveexec_b32 s16, s19
	s_cbranch_execnz .LBB128_246
.LBB128_227:
	s_or_b32 exec_lo, exec_lo, s16
	s_and_b32 s19, s5, s8
	s_delay_alu instid0(SALU_CYCLE_1)
	s_and_saveexec_b32 s16, s19
	s_cbranch_execnz .LBB128_250
.LBB128_228:
	s_or_b32 exec_lo, exec_lo, s16
	s_and_b32 s19, s6, s8
	s_delay_alu instid0(SALU_CYCLE_1)
	s_and_saveexec_b32 s16, s19
	s_cbranch_execnz .LBB128_254
.LBB128_229:
	s_or_b32 exec_lo, exec_lo, s16
	s_and_b32 s16, s7, s8
	s_delay_alu instid0(SALU_CYCLE_1)
	s_and_saveexec_b32 s8, s16
	s_cbranch_execnz .LBB128_258
	s_branch .LBB128_262
.LBB128_230:
	v_cmp_ne_u32_e32 vcc_lo, 1, v18
	s_cbranch_vccnz .LBB128_232
; %bb.231:
	v_lshlrev_b64 v[16:17], 3, v[0:1]
	s_delay_alu instid0(VALU_DEP_1) | instskip(NEXT) | instid1(VALU_DEP_2)
	v_add_co_u32 v16, vcc_lo, v24, v16
	v_add_co_ci_u32_e32 v17, vcc_lo, v23, v17, vcc_lo
	flat_load_b64 v[16:17], v[16:17]
	s_waitcnt vmcnt(0) lgkmcnt(0)
	v_mul_f64 v[16:17], v[16:17], s[10:11]
	s_branch .LBB128_233
.LBB128_232:
	v_mov_b32_e32 v16, 0
	v_mov_b32_e32 v17, 0
.LBB128_233:
	s_delay_alu instid0(VALU_DEP_1) | instskip(SKIP_2) | instid1(VALU_DEP_1)
	v_cvt_f32_f64_e32 v16, v[16:17]
	v_max_f32_e32 v17, v43, v43
	v_lshlrev_b64 v[25:26], 3, v[0:1]
	v_add_co_u32 v25, vcc_lo, v22, v25
	s_delay_alu instid0(VALU_DEP_2) | instskip(NEXT) | instid1(VALU_DEP_4)
	v_add_co_ci_u32_e32 v26, vcc_lo, v21, v26, vcc_lo
	v_min_f32_e32 v16, v16, v17
	s_delay_alu instid0(VALU_DEP_1) | instskip(SKIP_3) | instid1(SALU_CYCLE_1)
	v_cvt_f64_f32_e32 v[16:17], v16
	global_store_b64 v[25:26], v[16:17], off
	s_or_b32 exec_lo, exec_lo, s16
	s_and_b32 s19, s1, s8
	s_and_saveexec_b32 s16, s19
	s_cbranch_execz .LBB128_224
.LBB128_234:
	v_cmp_ne_u32_e32 vcc_lo, 1, v18
	s_cbranch_vccnz .LBB128_236
; %bb.235:
	v_lshlrev_b64 v[16:17], 3, v[2:3]
	s_delay_alu instid0(VALU_DEP_1) | instskip(NEXT) | instid1(VALU_DEP_2)
	v_add_co_u32 v16, vcc_lo, v24, v16
	v_add_co_ci_u32_e32 v17, vcc_lo, v23, v17, vcc_lo
	flat_load_b64 v[16:17], v[16:17]
	s_waitcnt vmcnt(0) lgkmcnt(0)
	v_mul_f64 v[16:17], v[16:17], s[10:11]
	s_branch .LBB128_237
.LBB128_236:
	v_mov_b32_e32 v16, 0
	v_mov_b32_e32 v17, 0
.LBB128_237:
	s_delay_alu instid0(VALU_DEP_1) | instskip(SKIP_2) | instid1(VALU_DEP_1)
	v_cvt_f32_f64_e32 v16, v[16:17]
	v_max_f32_e32 v17, v135, v135
	v_lshlrev_b64 v[25:26], 3, v[2:3]
	v_add_co_u32 v25, vcc_lo, v22, v25
	s_delay_alu instid0(VALU_DEP_2) | instskip(NEXT) | instid1(VALU_DEP_4)
	v_add_co_ci_u32_e32 v26, vcc_lo, v21, v26, vcc_lo
	v_min_f32_e32 v16, v16, v17
	s_delay_alu instid0(VALU_DEP_1) | instskip(SKIP_3) | instid1(SALU_CYCLE_1)
	v_cvt_f64_f32_e32 v[16:17], v16
	global_store_b64 v[25:26], v[16:17], off
	s_or_b32 exec_lo, exec_lo, s16
	s_and_b32 s19, s2, s8
	s_and_saveexec_b32 s16, s19
	s_cbranch_execz .LBB128_225
.LBB128_238:
	v_cmp_ne_u32_e32 vcc_lo, 1, v18
	s_cbranch_vccnz .LBB128_240
; %bb.239:
	v_lshlrev_b64 v[16:17], 3, v[4:5]
	s_delay_alu instid0(VALU_DEP_1) | instskip(NEXT) | instid1(VALU_DEP_2)
	v_add_co_u32 v16, vcc_lo, v24, v16
	v_add_co_ci_u32_e32 v17, vcc_lo, v23, v17, vcc_lo
	flat_load_b64 v[16:17], v[16:17]
	s_waitcnt vmcnt(0) lgkmcnt(0)
	v_mul_f64 v[16:17], v[16:17], s[10:11]
	s_branch .LBB128_241
.LBB128_240:
	v_mov_b32_e32 v16, 0
	v_mov_b32_e32 v17, 0
.LBB128_241:
	s_delay_alu instid0(VALU_DEP_1) | instskip(SKIP_2) | instid1(VALU_DEP_1)
	v_cvt_f32_f64_e32 v16, v[16:17]
	v_max_f32_e32 v17, v134, v134
	v_lshlrev_b64 v[25:26], 3, v[4:5]
	v_add_co_u32 v25, vcc_lo, v22, v25
	s_delay_alu instid0(VALU_DEP_2) | instskip(NEXT) | instid1(VALU_DEP_4)
	v_add_co_ci_u32_e32 v26, vcc_lo, v21, v26, vcc_lo
	v_min_f32_e32 v16, v16, v17
	s_delay_alu instid0(VALU_DEP_1) | instskip(SKIP_3) | instid1(SALU_CYCLE_1)
	v_cvt_f64_f32_e32 v[16:17], v16
	global_store_b64 v[25:26], v[16:17], off
	s_or_b32 exec_lo, exec_lo, s16
	s_and_b32 s19, s3, s8
	s_and_saveexec_b32 s16, s19
	s_cbranch_execz .LBB128_226
.LBB128_242:
	v_cmp_ne_u32_e32 vcc_lo, 1, v18
	s_cbranch_vccnz .LBB128_244
; %bb.243:
	v_lshlrev_b64 v[16:17], 3, v[6:7]
	s_delay_alu instid0(VALU_DEP_1) | instskip(NEXT) | instid1(VALU_DEP_2)
	v_add_co_u32 v16, vcc_lo, v24, v16
	v_add_co_ci_u32_e32 v17, vcc_lo, v23, v17, vcc_lo
	flat_load_b64 v[16:17], v[16:17]
	s_waitcnt vmcnt(0) lgkmcnt(0)
	v_mul_f64 v[16:17], v[16:17], s[10:11]
	s_branch .LBB128_245
.LBB128_244:
	v_mov_b32_e32 v16, 0
	v_mov_b32_e32 v17, 0
.LBB128_245:
	s_delay_alu instid0(VALU_DEP_1) | instskip(SKIP_2) | instid1(VALU_DEP_1)
	v_cvt_f32_f64_e32 v16, v[16:17]
	v_max_f32_e32 v17, v109, v109
	v_lshlrev_b64 v[25:26], 3, v[6:7]
	v_add_co_u32 v25, vcc_lo, v22, v25
	s_delay_alu instid0(VALU_DEP_2) | instskip(NEXT) | instid1(VALU_DEP_4)
	v_add_co_ci_u32_e32 v26, vcc_lo, v21, v26, vcc_lo
	v_min_f32_e32 v16, v16, v17
	s_delay_alu instid0(VALU_DEP_1) | instskip(SKIP_3) | instid1(SALU_CYCLE_1)
	v_cvt_f64_f32_e32 v[16:17], v16
	global_store_b64 v[25:26], v[16:17], off
	s_or_b32 exec_lo, exec_lo, s16
	s_and_b32 s19, s4, s8
	s_and_saveexec_b32 s16, s19
	s_cbranch_execz .LBB128_227
.LBB128_246:
	v_cmp_ne_u32_e32 vcc_lo, 1, v18
	s_cbranch_vccnz .LBB128_248
; %bb.247:
	v_lshlrev_b64 v[16:17], 3, v[8:9]
	s_delay_alu instid0(VALU_DEP_1) | instskip(NEXT) | instid1(VALU_DEP_2)
	v_add_co_u32 v16, vcc_lo, v24, v16
	v_add_co_ci_u32_e32 v17, vcc_lo, v23, v17, vcc_lo
	flat_load_b64 v[16:17], v[16:17]
	s_waitcnt vmcnt(0) lgkmcnt(0)
	v_mul_f64 v[16:17], v[16:17], s[10:11]
	s_branch .LBB128_249
.LBB128_248:
	v_mov_b32_e32 v16, 0
	v_mov_b32_e32 v17, 0
.LBB128_249:
	s_delay_alu instid0(VALU_DEP_1) | instskip(SKIP_2) | instid1(VALU_DEP_1)
	v_cvt_f32_f64_e32 v16, v[16:17]
	v_max_f32_e32 v17, v116, v116
	v_lshlrev_b64 v[25:26], 3, v[8:9]
	v_add_co_u32 v25, vcc_lo, v22, v25
	s_delay_alu instid0(VALU_DEP_2) | instskip(NEXT) | instid1(VALU_DEP_4)
	v_add_co_ci_u32_e32 v26, vcc_lo, v21, v26, vcc_lo
	v_min_f32_e32 v16, v16, v17
	s_delay_alu instid0(VALU_DEP_1) | instskip(SKIP_3) | instid1(SALU_CYCLE_1)
	v_cvt_f64_f32_e32 v[16:17], v16
	global_store_b64 v[25:26], v[16:17], off
	s_or_b32 exec_lo, exec_lo, s16
	s_and_b32 s19, s5, s8
	s_and_saveexec_b32 s16, s19
	s_cbranch_execz .LBB128_228
.LBB128_250:
	v_cmp_ne_u32_e32 vcc_lo, 1, v18
	s_cbranch_vccnz .LBB128_252
; %bb.251:
	v_lshlrev_b64 v[16:17], 3, v[10:11]
	s_delay_alu instid0(VALU_DEP_1) | instskip(NEXT) | instid1(VALU_DEP_2)
	v_add_co_u32 v16, vcc_lo, v24, v16
	v_add_co_ci_u32_e32 v17, vcc_lo, v23, v17, vcc_lo
	flat_load_b64 v[16:17], v[16:17]
	s_waitcnt vmcnt(0) lgkmcnt(0)
	v_mul_f64 v[16:17], v[16:17], s[10:11]
	s_branch .LBB128_253
.LBB128_252:
	v_mov_b32_e32 v16, 0
	v_mov_b32_e32 v17, 0
.LBB128_253:
	s_delay_alu instid0(VALU_DEP_1) | instskip(SKIP_2) | instid1(VALU_DEP_1)
	v_cvt_f32_f64_e32 v16, v[16:17]
	v_max_f32_e32 v17, v129, v129
	v_lshlrev_b64 v[25:26], 3, v[10:11]
	v_add_co_u32 v25, vcc_lo, v22, v25
	s_delay_alu instid0(VALU_DEP_2) | instskip(NEXT) | instid1(VALU_DEP_4)
	v_add_co_ci_u32_e32 v26, vcc_lo, v21, v26, vcc_lo
	v_min_f32_e32 v16, v16, v17
	s_delay_alu instid0(VALU_DEP_1) | instskip(SKIP_3) | instid1(SALU_CYCLE_1)
	v_cvt_f64_f32_e32 v[16:17], v16
	global_store_b64 v[25:26], v[16:17], off
	s_or_b32 exec_lo, exec_lo, s16
	s_and_b32 s19, s6, s8
	s_and_saveexec_b32 s16, s19
	s_cbranch_execz .LBB128_229
.LBB128_254:
	v_cmp_ne_u32_e32 vcc_lo, 1, v18
	s_cbranch_vccnz .LBB128_256
; %bb.255:
	v_lshlrev_b64 v[16:17], 3, v[12:13]
	s_delay_alu instid0(VALU_DEP_1) | instskip(NEXT) | instid1(VALU_DEP_2)
	v_add_co_u32 v16, vcc_lo, v24, v16
	v_add_co_ci_u32_e32 v17, vcc_lo, v23, v17, vcc_lo
	flat_load_b64 v[16:17], v[16:17]
	s_waitcnt vmcnt(0) lgkmcnt(0)
	v_mul_f64 v[16:17], v[16:17], s[10:11]
	s_branch .LBB128_257
.LBB128_256:
	v_mov_b32_e32 v16, 0
	v_mov_b32_e32 v17, 0
.LBB128_257:
	s_delay_alu instid0(VALU_DEP_1) | instskip(SKIP_2) | instid1(VALU_DEP_1)
	v_cvt_f32_f64_e32 v16, v[16:17]
	v_max_f32_e32 v17, v46, v46
	v_lshlrev_b64 v[25:26], 3, v[12:13]
	v_add_co_u32 v25, vcc_lo, v22, v25
	s_delay_alu instid0(VALU_DEP_2) | instskip(NEXT) | instid1(VALU_DEP_4)
	v_add_co_ci_u32_e32 v26, vcc_lo, v21, v26, vcc_lo
	v_min_f32_e32 v16, v16, v17
	s_delay_alu instid0(VALU_DEP_1) | instskip(SKIP_3) | instid1(SALU_CYCLE_1)
	v_cvt_f64_f32_e32 v[16:17], v16
	global_store_b64 v[25:26], v[16:17], off
	s_or_b32 exec_lo, exec_lo, s16
	s_and_b32 s16, s7, s8
	s_and_saveexec_b32 s8, s16
	s_cbranch_execz .LBB128_262
.LBB128_258:
	v_cmp_ne_u32_e32 vcc_lo, 1, v18
	s_cbranch_vccnz .LBB128_260
; %bb.259:
	v_lshlrev_b64 v[16:17], 3, v[14:15]
	s_delay_alu instid0(VALU_DEP_1) | instskip(NEXT) | instid1(VALU_DEP_2)
	v_add_co_u32 v16, vcc_lo, v24, v16
	v_add_co_ci_u32_e32 v17, vcc_lo, v23, v17, vcc_lo
	flat_load_b64 v[16:17], v[16:17]
	s_waitcnt vmcnt(0) lgkmcnt(0)
	v_mul_f64 v[16:17], v[16:17], s[10:11]
	s_branch .LBB128_261
.LBB128_260:
	v_mov_b32_e32 v16, 0
	v_mov_b32_e32 v17, 0
.LBB128_261:
	s_delay_alu instid0(VALU_DEP_1) | instskip(SKIP_2) | instid1(VALU_DEP_1)
	v_cvt_f32_f64_e32 v16, v[16:17]
	v_max_f32_e32 v17, v121, v121
	v_lshlrev_b64 v[23:24], 3, v[14:15]
	v_add_co_u32 v20, vcc_lo, v22, v23
	s_delay_alu instid0(VALU_DEP_2) | instskip(NEXT) | instid1(VALU_DEP_4)
	v_add_co_ci_u32_e32 v21, vcc_lo, v21, v24, vcc_lo
	v_min_f32_e32 v16, v16, v17
	s_delay_alu instid0(VALU_DEP_1)
	v_cvt_f64_f32_e32 v[16:17], v16
	global_store_b64 v[20:21], v[16:17], off
.LBB128_262:
	s_or_b32 exec_lo, exec_lo, s8
	v_add_nc_u32_e32 v22, 0xa0, v19
	s_delay_alu instid0(VALU_DEP_1) | instskip(SKIP_2) | instid1(VALU_DEP_3)
	v_mad_i64_i32 v[16:17], null, v22, s18, 0
	v_mad_i64_i32 v[20:21], null, v22, s9, 0
	v_cmp_gt_i32_e64 s8, s17, v22
	v_lshlrev_b64 v[16:17], 3, v[16:17]
	s_delay_alu instid0(VALU_DEP_2) | instskip(NEXT) | instid1(VALU_DEP_3)
	s_and_b32 s19, s0, s8
	v_lshlrev_b64 v[20:21], 3, v[20:21]
	s_delay_alu instid0(VALU_DEP_2) | instskip(NEXT) | instid1(VALU_DEP_3)
	v_add_co_u32 v24, vcc_lo, s12, v16
	v_add_co_ci_u32_e32 v23, vcc_lo, s13, v17, vcc_lo
	s_delay_alu instid0(VALU_DEP_3) | instskip(NEXT) | instid1(VALU_DEP_4)
	v_add_co_u32 v20, vcc_lo, s14, v20
	v_add_co_ci_u32_e32 v21, vcc_lo, s15, v21, vcc_lo
	s_and_saveexec_b32 s16, s19
	s_cbranch_execnz .LBB128_270
; %bb.263:
	s_or_b32 exec_lo, exec_lo, s16
	s_and_b32 s19, s1, s8
	s_delay_alu instid0(SALU_CYCLE_1)
	s_and_saveexec_b32 s16, s19
	s_cbranch_execnz .LBB128_274
.LBB128_264:
	s_or_b32 exec_lo, exec_lo, s16
	s_and_b32 s19, s2, s8
	s_delay_alu instid0(SALU_CYCLE_1)
	s_and_saveexec_b32 s16, s19
	s_cbranch_execnz .LBB128_278
.LBB128_265:
	s_or_b32 exec_lo, exec_lo, s16
	s_and_b32 s19, s3, s8
	s_delay_alu instid0(SALU_CYCLE_1)
	s_and_saveexec_b32 s16, s19
	s_cbranch_execnz .LBB128_282
.LBB128_266:
	s_or_b32 exec_lo, exec_lo, s16
	s_and_b32 s19, s4, s8
	s_delay_alu instid0(SALU_CYCLE_1)
	s_and_saveexec_b32 s16, s19
	s_cbranch_execnz .LBB128_286
.LBB128_267:
	s_or_b32 exec_lo, exec_lo, s16
	s_and_b32 s19, s5, s8
	s_delay_alu instid0(SALU_CYCLE_1)
	s_and_saveexec_b32 s16, s19
	s_cbranch_execnz .LBB128_290
.LBB128_268:
	s_or_b32 exec_lo, exec_lo, s16
	s_and_b32 s19, s6, s8
	s_delay_alu instid0(SALU_CYCLE_1)
	s_and_saveexec_b32 s16, s19
	s_cbranch_execnz .LBB128_294
.LBB128_269:
	s_or_b32 exec_lo, exec_lo, s16
	s_and_b32 s16, s7, s8
	s_delay_alu instid0(SALU_CYCLE_1)
	s_and_saveexec_b32 s8, s16
	s_cbranch_execnz .LBB128_298
	s_branch .LBB128_302
.LBB128_270:
	v_cmp_ne_u32_e32 vcc_lo, 1, v18
	s_cbranch_vccnz .LBB128_272
; %bb.271:
	v_lshlrev_b64 v[16:17], 3, v[0:1]
	s_delay_alu instid0(VALU_DEP_1) | instskip(NEXT) | instid1(VALU_DEP_2)
	v_add_co_u32 v16, vcc_lo, v24, v16
	v_add_co_ci_u32_e32 v17, vcc_lo, v23, v17, vcc_lo
	flat_load_b64 v[16:17], v[16:17]
	s_waitcnt vmcnt(0) lgkmcnt(0)
	v_mul_f64 v[16:17], v[16:17], s[10:11]
	s_branch .LBB128_273
.LBB128_272:
	v_mov_b32_e32 v16, 0
	v_mov_b32_e32 v17, 0
.LBB128_273:
	s_delay_alu instid0(VALU_DEP_1) | instskip(SKIP_2) | instid1(VALU_DEP_1)
	v_cvt_f32_f64_e32 v16, v[16:17]
	v_max_f32_e32 v17, v120, v120
	v_lshlrev_b64 v[25:26], 3, v[0:1]
	v_add_co_u32 v25, vcc_lo, v20, v25
	s_delay_alu instid0(VALU_DEP_2) | instskip(NEXT) | instid1(VALU_DEP_4)
	v_add_co_ci_u32_e32 v26, vcc_lo, v21, v26, vcc_lo
	v_min_f32_e32 v16, v16, v17
	s_delay_alu instid0(VALU_DEP_1) | instskip(SKIP_3) | instid1(SALU_CYCLE_1)
	v_cvt_f64_f32_e32 v[16:17], v16
	global_store_b64 v[25:26], v[16:17], off
	s_or_b32 exec_lo, exec_lo, s16
	s_and_b32 s19, s1, s8
	s_and_saveexec_b32 s16, s19
	s_cbranch_execz .LBB128_264
.LBB128_274:
	v_cmp_ne_u32_e32 vcc_lo, 1, v18
	s_cbranch_vccnz .LBB128_276
; %bb.275:
	v_lshlrev_b64 v[16:17], 3, v[2:3]
	s_delay_alu instid0(VALU_DEP_1) | instskip(NEXT) | instid1(VALU_DEP_2)
	v_add_co_u32 v16, vcc_lo, v24, v16
	v_add_co_ci_u32_e32 v17, vcc_lo, v23, v17, vcc_lo
	flat_load_b64 v[16:17], v[16:17]
	s_waitcnt vmcnt(0) lgkmcnt(0)
	v_mul_f64 v[16:17], v[16:17], s[10:11]
	s_branch .LBB128_277
.LBB128_276:
	v_mov_b32_e32 v16, 0
	v_mov_b32_e32 v17, 0
.LBB128_277:
	s_delay_alu instid0(VALU_DEP_1) | instskip(SKIP_2) | instid1(VALU_DEP_1)
	v_cvt_f32_f64_e32 v16, v[16:17]
	v_max_f32_e32 v17, v31, v31
	v_lshlrev_b64 v[25:26], 3, v[2:3]
	v_add_co_u32 v25, vcc_lo, v20, v25
	s_delay_alu instid0(VALU_DEP_2) | instskip(NEXT) | instid1(VALU_DEP_4)
	v_add_co_ci_u32_e32 v26, vcc_lo, v21, v26, vcc_lo
	v_min_f32_e32 v16, v16, v17
	s_delay_alu instid0(VALU_DEP_1) | instskip(SKIP_3) | instid1(SALU_CYCLE_1)
	v_cvt_f64_f32_e32 v[16:17], v16
	global_store_b64 v[25:26], v[16:17], off
	s_or_b32 exec_lo, exec_lo, s16
	s_and_b32 s19, s2, s8
	s_and_saveexec_b32 s16, s19
	s_cbranch_execz .LBB128_265
.LBB128_278:
	v_cmp_ne_u32_e32 vcc_lo, 1, v18
	s_cbranch_vccnz .LBB128_280
; %bb.279:
	v_lshlrev_b64 v[16:17], 3, v[4:5]
	s_delay_alu instid0(VALU_DEP_1) | instskip(NEXT) | instid1(VALU_DEP_2)
	v_add_co_u32 v16, vcc_lo, v24, v16
	v_add_co_ci_u32_e32 v17, vcc_lo, v23, v17, vcc_lo
	flat_load_b64 v[16:17], v[16:17]
	s_waitcnt vmcnt(0) lgkmcnt(0)
	v_mul_f64 v[16:17], v[16:17], s[10:11]
	s_branch .LBB128_281
.LBB128_280:
	v_mov_b32_e32 v16, 0
	v_mov_b32_e32 v17, 0
.LBB128_281:
	s_delay_alu instid0(VALU_DEP_1) | instskip(SKIP_2) | instid1(VALU_DEP_1)
	v_cvt_f32_f64_e32 v16, v[16:17]
	v_max_f32_e32 v17, v118, v118
	v_lshlrev_b64 v[25:26], 3, v[4:5]
	v_add_co_u32 v25, vcc_lo, v20, v25
	s_delay_alu instid0(VALU_DEP_2) | instskip(NEXT) | instid1(VALU_DEP_4)
	v_add_co_ci_u32_e32 v26, vcc_lo, v21, v26, vcc_lo
	v_min_f32_e32 v16, v16, v17
	s_delay_alu instid0(VALU_DEP_1) | instskip(SKIP_3) | instid1(SALU_CYCLE_1)
	v_cvt_f64_f32_e32 v[16:17], v16
	global_store_b64 v[25:26], v[16:17], off
	s_or_b32 exec_lo, exec_lo, s16
	s_and_b32 s19, s3, s8
	s_and_saveexec_b32 s16, s19
	s_cbranch_execz .LBB128_266
.LBB128_282:
	v_cmp_ne_u32_e32 vcc_lo, 1, v18
	s_cbranch_vccnz .LBB128_284
; %bb.283:
	v_lshlrev_b64 v[16:17], 3, v[6:7]
	s_delay_alu instid0(VALU_DEP_1) | instskip(NEXT) | instid1(VALU_DEP_2)
	v_add_co_u32 v16, vcc_lo, v24, v16
	v_add_co_ci_u32_e32 v17, vcc_lo, v23, v17, vcc_lo
	flat_load_b64 v[16:17], v[16:17]
	s_waitcnt vmcnt(0) lgkmcnt(0)
	v_mul_f64 v[16:17], v[16:17], s[10:11]
	s_branch .LBB128_285
.LBB128_284:
	v_mov_b32_e32 v16, 0
	v_mov_b32_e32 v17, 0
.LBB128_285:
	s_delay_alu instid0(VALU_DEP_1) | instskip(SKIP_2) | instid1(VALU_DEP_1)
	v_cvt_f32_f64_e32 v16, v[16:17]
	v_max_f32_e32 v17, v113, v113
	v_lshlrev_b64 v[25:26], 3, v[6:7]
	v_add_co_u32 v25, vcc_lo, v20, v25
	s_delay_alu instid0(VALU_DEP_2) | instskip(NEXT) | instid1(VALU_DEP_4)
	v_add_co_ci_u32_e32 v26, vcc_lo, v21, v26, vcc_lo
	v_min_f32_e32 v16, v16, v17
	s_delay_alu instid0(VALU_DEP_1) | instskip(SKIP_3) | instid1(SALU_CYCLE_1)
	v_cvt_f64_f32_e32 v[16:17], v16
	global_store_b64 v[25:26], v[16:17], off
	s_or_b32 exec_lo, exec_lo, s16
	s_and_b32 s19, s4, s8
	s_and_saveexec_b32 s16, s19
	s_cbranch_execz .LBB128_267
.LBB128_286:
	v_cmp_ne_u32_e32 vcc_lo, 1, v18
	s_cbranch_vccnz .LBB128_288
; %bb.287:
	v_lshlrev_b64 v[16:17], 3, v[8:9]
	s_delay_alu instid0(VALU_DEP_1) | instskip(NEXT) | instid1(VALU_DEP_2)
	v_add_co_u32 v16, vcc_lo, v24, v16
	v_add_co_ci_u32_e32 v17, vcc_lo, v23, v17, vcc_lo
	flat_load_b64 v[16:17], v[16:17]
	s_waitcnt vmcnt(0) lgkmcnt(0)
	v_mul_f64 v[16:17], v[16:17], s[10:11]
	s_branch .LBB128_289
.LBB128_288:
	v_mov_b32_e32 v16, 0
	v_mov_b32_e32 v17, 0
.LBB128_289:
	s_delay_alu instid0(VALU_DEP_1) | instskip(SKIP_2) | instid1(VALU_DEP_1)
	v_cvt_f32_f64_e32 v16, v[16:17]
	v_max_f32_e32 v17, v192, v192
	v_lshlrev_b64 v[25:26], 3, v[8:9]
	v_add_co_u32 v25, vcc_lo, v20, v25
	s_delay_alu instid0(VALU_DEP_2) | instskip(NEXT) | instid1(VALU_DEP_4)
	v_add_co_ci_u32_e32 v26, vcc_lo, v21, v26, vcc_lo
	v_min_f32_e32 v16, v16, v17
	s_delay_alu instid0(VALU_DEP_1) | instskip(SKIP_3) | instid1(SALU_CYCLE_1)
	v_cvt_f64_f32_e32 v[16:17], v16
	global_store_b64 v[25:26], v[16:17], off
	s_or_b32 exec_lo, exec_lo, s16
	s_and_b32 s19, s5, s8
	s_and_saveexec_b32 s16, s19
	s_cbranch_execz .LBB128_268
.LBB128_290:
	v_cmp_ne_u32_e32 vcc_lo, 1, v18
	s_cbranch_vccnz .LBB128_292
; %bb.291:
	v_lshlrev_b64 v[16:17], 3, v[10:11]
	s_delay_alu instid0(VALU_DEP_1) | instskip(NEXT) | instid1(VALU_DEP_2)
	v_add_co_u32 v16, vcc_lo, v24, v16
	v_add_co_ci_u32_e32 v17, vcc_lo, v23, v17, vcc_lo
	flat_load_b64 v[16:17], v[16:17]
	s_waitcnt vmcnt(0) lgkmcnt(0)
	v_mul_f64 v[16:17], v[16:17], s[10:11]
	s_branch .LBB128_293
.LBB128_292:
	v_mov_b32_e32 v16, 0
	v_mov_b32_e32 v17, 0
.LBB128_293:
	s_delay_alu instid0(VALU_DEP_1) | instskip(SKIP_2) | instid1(VALU_DEP_1)
	v_cvt_f32_f64_e32 v16, v[16:17]
	v_max_f32_e32 v17, v55, v55
	v_lshlrev_b64 v[25:26], 3, v[10:11]
	v_add_co_u32 v25, vcc_lo, v20, v25
	s_delay_alu instid0(VALU_DEP_2) | instskip(NEXT) | instid1(VALU_DEP_4)
	v_add_co_ci_u32_e32 v26, vcc_lo, v21, v26, vcc_lo
	v_min_f32_e32 v16, v16, v17
	s_delay_alu instid0(VALU_DEP_1) | instskip(SKIP_3) | instid1(SALU_CYCLE_1)
	v_cvt_f64_f32_e32 v[16:17], v16
	global_store_b64 v[25:26], v[16:17], off
	s_or_b32 exec_lo, exec_lo, s16
	s_and_b32 s19, s6, s8
	s_and_saveexec_b32 s16, s19
	s_cbranch_execz .LBB128_269
.LBB128_294:
	v_cmp_ne_u32_e32 vcc_lo, 1, v18
	s_cbranch_vccnz .LBB128_296
; %bb.295:
	v_lshlrev_b64 v[16:17], 3, v[12:13]
	s_delay_alu instid0(VALU_DEP_1) | instskip(NEXT) | instid1(VALU_DEP_2)
	v_add_co_u32 v16, vcc_lo, v24, v16
	v_add_co_ci_u32_e32 v17, vcc_lo, v23, v17, vcc_lo
	flat_load_b64 v[16:17], v[16:17]
	s_waitcnt vmcnt(0) lgkmcnt(0)
	v_mul_f64 v[16:17], v[16:17], s[10:11]
	s_branch .LBB128_297
.LBB128_296:
	v_mov_b32_e32 v16, 0
	v_mov_b32_e32 v17, 0
.LBB128_297:
	s_delay_alu instid0(VALU_DEP_1) | instskip(SKIP_2) | instid1(VALU_DEP_1)
	v_cvt_f32_f64_e32 v16, v[16:17]
	v_max_f32_e32 v17, v38, v38
	v_lshlrev_b64 v[25:26], 3, v[12:13]
	v_add_co_u32 v25, vcc_lo, v20, v25
	s_delay_alu instid0(VALU_DEP_2) | instskip(NEXT) | instid1(VALU_DEP_4)
	v_add_co_ci_u32_e32 v26, vcc_lo, v21, v26, vcc_lo
	v_min_f32_e32 v16, v16, v17
	s_delay_alu instid0(VALU_DEP_1) | instskip(SKIP_3) | instid1(SALU_CYCLE_1)
	v_cvt_f64_f32_e32 v[16:17], v16
	global_store_b64 v[25:26], v[16:17], off
	s_or_b32 exec_lo, exec_lo, s16
	s_and_b32 s16, s7, s8
	s_and_saveexec_b32 s8, s16
	s_cbranch_execz .LBB128_302
.LBB128_298:
	v_cmp_ne_u32_e32 vcc_lo, 1, v18
	s_cbranch_vccnz .LBB128_300
; %bb.299:
	v_lshlrev_b64 v[16:17], 3, v[14:15]
	s_delay_alu instid0(VALU_DEP_1) | instskip(NEXT) | instid1(VALU_DEP_2)
	v_add_co_u32 v16, vcc_lo, v24, v16
	v_add_co_ci_u32_e32 v17, vcc_lo, v23, v17, vcc_lo
	flat_load_b64 v[16:17], v[16:17]
	s_waitcnt vmcnt(0) lgkmcnt(0)
	v_mul_f64 v[16:17], v[16:17], s[10:11]
	s_branch .LBB128_301
.LBB128_300:
	v_mov_b32_e32 v16, 0
	v_mov_b32_e32 v17, 0
.LBB128_301:
	s_delay_alu instid0(VALU_DEP_1) | instskip(SKIP_2) | instid1(VALU_DEP_1)
	v_cvt_f32_f64_e32 v16, v[16:17]
	v_max_f32_e32 v17, v137, v137
	v_lshlrev_b64 v[22:23], 3, v[14:15]
	v_add_co_u32 v20, vcc_lo, v20, v22
	s_delay_alu instid0(VALU_DEP_2) | instskip(NEXT) | instid1(VALU_DEP_4)
	v_add_co_ci_u32_e32 v21, vcc_lo, v21, v23, vcc_lo
	v_min_f32_e32 v16, v16, v17
	s_delay_alu instid0(VALU_DEP_1)
	v_cvt_f64_f32_e32 v[16:17], v16
	global_store_b64 v[20:21], v[16:17], off
.LBB128_302:
	s_or_b32 exec_lo, exec_lo, s8
	v_add_nc_u32_e32 v22, 0xc0, v19
	s_delay_alu instid0(VALU_DEP_1) | instskip(SKIP_2) | instid1(VALU_DEP_3)
	v_mad_i64_i32 v[16:17], null, v22, s18, 0
	v_mad_i64_i32 v[20:21], null, v22, s9, 0
	v_cmp_gt_i32_e64 s8, s17, v22
	v_lshlrev_b64 v[16:17], 3, v[16:17]
	s_delay_alu instid0(VALU_DEP_2) | instskip(NEXT) | instid1(VALU_DEP_3)
	s_and_b32 s19, s0, s8
	v_lshlrev_b64 v[20:21], 3, v[20:21]
	s_delay_alu instid0(VALU_DEP_2) | instskip(NEXT) | instid1(VALU_DEP_3)
	v_add_co_u32 v22, vcc_lo, s12, v16
	v_add_co_ci_u32_e32 v23, vcc_lo, s13, v17, vcc_lo
	s_delay_alu instid0(VALU_DEP_3) | instskip(NEXT) | instid1(VALU_DEP_4)
	v_add_co_u32 v20, vcc_lo, s14, v20
	v_add_co_ci_u32_e32 v21, vcc_lo, s15, v21, vcc_lo
	s_and_saveexec_b32 s16, s19
	s_cbranch_execnz .LBB128_310
; %bb.303:
	s_or_b32 exec_lo, exec_lo, s16
	s_and_b32 s19, s1, s8
	s_delay_alu instid0(SALU_CYCLE_1)
	s_and_saveexec_b32 s16, s19
	s_cbranch_execnz .LBB128_314
.LBB128_304:
	s_or_b32 exec_lo, exec_lo, s16
	s_and_b32 s19, s2, s8
	s_delay_alu instid0(SALU_CYCLE_1)
	s_and_saveexec_b32 s16, s19
	s_cbranch_execnz .LBB128_318
.LBB128_305:
	s_or_b32 exec_lo, exec_lo, s16
	s_and_b32 s19, s3, s8
	s_delay_alu instid0(SALU_CYCLE_1)
	s_and_saveexec_b32 s16, s19
	s_cbranch_execnz .LBB128_322
.LBB128_306:
	s_or_b32 exec_lo, exec_lo, s16
	s_and_b32 s19, s4, s8
	s_delay_alu instid0(SALU_CYCLE_1)
	s_and_saveexec_b32 s16, s19
	s_cbranch_execnz .LBB128_326
.LBB128_307:
	s_or_b32 exec_lo, exec_lo, s16
	s_and_b32 s19, s5, s8
	s_delay_alu instid0(SALU_CYCLE_1)
	s_and_saveexec_b32 s16, s19
	s_cbranch_execnz .LBB128_330
.LBB128_308:
	s_or_b32 exec_lo, exec_lo, s16
	s_and_b32 s19, s6, s8
	s_delay_alu instid0(SALU_CYCLE_1)
	s_and_saveexec_b32 s16, s19
	s_cbranch_execnz .LBB128_334
.LBB128_309:
	s_or_b32 exec_lo, exec_lo, s16
	s_and_b32 s16, s7, s8
	s_delay_alu instid0(SALU_CYCLE_1)
	s_and_saveexec_b32 s8, s16
	s_cbranch_execnz .LBB128_338
	s_branch .LBB128_342
.LBB128_310:
	v_cmp_ne_u32_e32 vcc_lo, 1, v18
	s_cbranch_vccnz .LBB128_312
; %bb.311:
	v_lshlrev_b64 v[16:17], 3, v[0:1]
	s_delay_alu instid0(VALU_DEP_1) | instskip(NEXT) | instid1(VALU_DEP_2)
	v_add_co_u32 v16, vcc_lo, v22, v16
	v_add_co_ci_u32_e32 v17, vcc_lo, v23, v17, vcc_lo
	flat_load_b64 v[16:17], v[16:17]
	s_waitcnt vmcnt(0) lgkmcnt(0)
	v_mul_f64 v[16:17], v[16:17], s[10:11]
	s_branch .LBB128_313
.LBB128_312:
	v_mov_b32_e32 v16, 0
	v_mov_b32_e32 v17, 0
.LBB128_313:
	s_delay_alu instid0(VALU_DEP_1) | instskip(SKIP_2) | instid1(VALU_DEP_1)
	v_cvt_f32_f64_e32 v16, v[16:17]
	v_max_f32_e32 v17, v115, v115
	v_lshlrev_b64 v[24:25], 3, v[0:1]
	v_add_co_u32 v24, vcc_lo, v20, v24
	s_delay_alu instid0(VALU_DEP_2) | instskip(NEXT) | instid1(VALU_DEP_4)
	v_add_co_ci_u32_e32 v25, vcc_lo, v21, v25, vcc_lo
	v_min_f32_e32 v16, v16, v17
	s_delay_alu instid0(VALU_DEP_1) | instskip(SKIP_3) | instid1(SALU_CYCLE_1)
	v_cvt_f64_f32_e32 v[16:17], v16
	global_store_b64 v[24:25], v[16:17], off
	s_or_b32 exec_lo, exec_lo, s16
	s_and_b32 s19, s1, s8
	s_and_saveexec_b32 s16, s19
	s_cbranch_execz .LBB128_304
.LBB128_314:
	v_cmp_ne_u32_e32 vcc_lo, 1, v18
	s_cbranch_vccnz .LBB128_316
; %bb.315:
	v_lshlrev_b64 v[16:17], 3, v[2:3]
	s_delay_alu instid0(VALU_DEP_1) | instskip(NEXT) | instid1(VALU_DEP_2)
	v_add_co_u32 v16, vcc_lo, v22, v16
	v_add_co_ci_u32_e32 v17, vcc_lo, v23, v17, vcc_lo
	flat_load_b64 v[16:17], v[16:17]
	s_waitcnt vmcnt(0) lgkmcnt(0)
	v_mul_f64 v[16:17], v[16:17], s[10:11]
	s_branch .LBB128_317
.LBB128_316:
	v_mov_b32_e32 v16, 0
	v_mov_b32_e32 v17, 0
.LBB128_317:
	s_delay_alu instid0(VALU_DEP_1) | instskip(SKIP_2) | instid1(VALU_DEP_1)
	v_cvt_f32_f64_e32 v16, v[16:17]
	v_max_f32_e32 v17, v63, v63
	v_lshlrev_b64 v[24:25], 3, v[2:3]
	v_add_co_u32 v24, vcc_lo, v20, v24
	s_delay_alu instid0(VALU_DEP_2) | instskip(NEXT) | instid1(VALU_DEP_4)
	v_add_co_ci_u32_e32 v25, vcc_lo, v21, v25, vcc_lo
	v_min_f32_e32 v16, v16, v17
	s_delay_alu instid0(VALU_DEP_1) | instskip(SKIP_3) | instid1(SALU_CYCLE_1)
	v_cvt_f64_f32_e32 v[16:17], v16
	global_store_b64 v[24:25], v[16:17], off
	s_or_b32 exec_lo, exec_lo, s16
	s_and_b32 s19, s2, s8
	s_and_saveexec_b32 s16, s19
	s_cbranch_execz .LBB128_305
.LBB128_318:
	v_cmp_ne_u32_e32 vcc_lo, 1, v18
	s_cbranch_vccnz .LBB128_320
; %bb.319:
	v_lshlrev_b64 v[16:17], 3, v[4:5]
	s_delay_alu instid0(VALU_DEP_1) | instskip(NEXT) | instid1(VALU_DEP_2)
	v_add_co_u32 v16, vcc_lo, v22, v16
	v_add_co_ci_u32_e32 v17, vcc_lo, v23, v17, vcc_lo
	flat_load_b64 v[16:17], v[16:17]
	s_waitcnt vmcnt(0) lgkmcnt(0)
	v_mul_f64 v[16:17], v[16:17], s[10:11]
	s_branch .LBB128_321
.LBB128_320:
	v_mov_b32_e32 v16, 0
	v_mov_b32_e32 v17, 0
.LBB128_321:
	s_delay_alu instid0(VALU_DEP_1) | instskip(SKIP_2) | instid1(VALU_DEP_1)
	v_cvt_f32_f64_e32 v16, v[16:17]
	v_max_f32_e32 v17, v235, v235
	v_lshlrev_b64 v[24:25], 3, v[4:5]
	v_add_co_u32 v24, vcc_lo, v20, v24
	s_delay_alu instid0(VALU_DEP_2) | instskip(NEXT) | instid1(VALU_DEP_4)
	v_add_co_ci_u32_e32 v25, vcc_lo, v21, v25, vcc_lo
	v_min_f32_e32 v16, v16, v17
	s_delay_alu instid0(VALU_DEP_1) | instskip(SKIP_3) | instid1(SALU_CYCLE_1)
	v_cvt_f64_f32_e32 v[16:17], v16
	global_store_b64 v[24:25], v[16:17], off
	s_or_b32 exec_lo, exec_lo, s16
	s_and_b32 s19, s3, s8
	s_and_saveexec_b32 s16, s19
	s_cbranch_execz .LBB128_306
.LBB128_322:
	v_cmp_ne_u32_e32 vcc_lo, 1, v18
	s_cbranch_vccnz .LBB128_324
; %bb.323:
	v_lshlrev_b64 v[16:17], 3, v[6:7]
	s_delay_alu instid0(VALU_DEP_1) | instskip(NEXT) | instid1(VALU_DEP_2)
	v_add_co_u32 v16, vcc_lo, v22, v16
	v_add_co_ci_u32_e32 v17, vcc_lo, v23, v17, vcc_lo
	flat_load_b64 v[16:17], v[16:17]
	s_waitcnt vmcnt(0) lgkmcnt(0)
	v_mul_f64 v[16:17], v[16:17], s[10:11]
	s_branch .LBB128_325
.LBB128_324:
	v_mov_b32_e32 v16, 0
	v_mov_b32_e32 v17, 0
.LBB128_325:
	s_delay_alu instid0(VALU_DEP_1) | instskip(SKIP_2) | instid1(VALU_DEP_1)
	v_cvt_f32_f64_e32 v16, v[16:17]
	v_max_f32_e32 v17, v205, v205
	v_lshlrev_b64 v[24:25], 3, v[6:7]
	v_add_co_u32 v24, vcc_lo, v20, v24
	s_delay_alu instid0(VALU_DEP_2) | instskip(NEXT) | instid1(VALU_DEP_4)
	v_add_co_ci_u32_e32 v25, vcc_lo, v21, v25, vcc_lo
	v_min_f32_e32 v16, v16, v17
	s_delay_alu instid0(VALU_DEP_1) | instskip(SKIP_3) | instid1(SALU_CYCLE_1)
	v_cvt_f64_f32_e32 v[16:17], v16
	global_store_b64 v[24:25], v[16:17], off
	s_or_b32 exec_lo, exec_lo, s16
	s_and_b32 s19, s4, s8
	s_and_saveexec_b32 s16, s19
	s_cbranch_execz .LBB128_307
.LBB128_326:
	v_cmp_ne_u32_e32 vcc_lo, 1, v18
	s_cbranch_vccnz .LBB128_328
; %bb.327:
	v_lshlrev_b64 v[16:17], 3, v[8:9]
	s_delay_alu instid0(VALU_DEP_1) | instskip(NEXT) | instid1(VALU_DEP_2)
	v_add_co_u32 v16, vcc_lo, v22, v16
	v_add_co_ci_u32_e32 v17, vcc_lo, v23, v17, vcc_lo
	flat_load_b64 v[16:17], v[16:17]
	s_waitcnt vmcnt(0) lgkmcnt(0)
	v_mul_f64 v[16:17], v[16:17], s[10:11]
	s_branch .LBB128_329
.LBB128_328:
	v_mov_b32_e32 v16, 0
	v_mov_b32_e32 v17, 0
.LBB128_329:
	s_delay_alu instid0(VALU_DEP_1) | instskip(SKIP_2) | instid1(VALU_DEP_1)
	v_cvt_f32_f64_e32 v16, v[16:17]
	v_max_f32_e32 v17, v200, v200
	v_lshlrev_b64 v[24:25], 3, v[8:9]
	v_add_co_u32 v24, vcc_lo, v20, v24
	s_delay_alu instid0(VALU_DEP_2) | instskip(NEXT) | instid1(VALU_DEP_4)
	v_add_co_ci_u32_e32 v25, vcc_lo, v21, v25, vcc_lo
	v_min_f32_e32 v16, v16, v17
	s_delay_alu instid0(VALU_DEP_1) | instskip(SKIP_3) | instid1(SALU_CYCLE_1)
	v_cvt_f64_f32_e32 v[16:17], v16
	global_store_b64 v[24:25], v[16:17], off
	s_or_b32 exec_lo, exec_lo, s16
	s_and_b32 s19, s5, s8
	s_and_saveexec_b32 s16, s19
	s_cbranch_execz .LBB128_308
.LBB128_330:
	v_cmp_ne_u32_e32 vcc_lo, 1, v18
	s_cbranch_vccnz .LBB128_332
; %bb.331:
	v_lshlrev_b64 v[16:17], 3, v[10:11]
	s_delay_alu instid0(VALU_DEP_1) | instskip(NEXT) | instid1(VALU_DEP_2)
	v_add_co_u32 v16, vcc_lo, v22, v16
	v_add_co_ci_u32_e32 v17, vcc_lo, v23, v17, vcc_lo
	flat_load_b64 v[16:17], v[16:17]
	s_waitcnt vmcnt(0) lgkmcnt(0)
	v_mul_f64 v[16:17], v[16:17], s[10:11]
	s_branch .LBB128_333
.LBB128_332:
	v_mov_b32_e32 v16, 0
	v_mov_b32_e32 v17, 0
.LBB128_333:
	s_delay_alu instid0(VALU_DEP_1) | instskip(SKIP_2) | instid1(VALU_DEP_1)
	v_cvt_f32_f64_e32 v16, v[16:17]
	scratch_load_b32 v17, off, off          ; 4-byte Folded Reload
	v_lshlrev_b64 v[24:25], 3, v[10:11]
	v_add_co_u32 v24, vcc_lo, v20, v24
	s_delay_alu instid0(VALU_DEP_2) | instskip(SKIP_2) | instid1(VALU_DEP_1)
	v_add_co_ci_u32_e32 v25, vcc_lo, v21, v25, vcc_lo
	s_waitcnt vmcnt(0)
	v_max_f32_e32 v17, v17, v17
	v_min_f32_e32 v16, v16, v17
	s_delay_alu instid0(VALU_DEP_1) | instskip(SKIP_3) | instid1(SALU_CYCLE_1)
	v_cvt_f64_f32_e32 v[16:17], v16
	global_store_b64 v[24:25], v[16:17], off
	s_or_b32 exec_lo, exec_lo, s16
	s_and_b32 s19, s6, s8
	s_and_saveexec_b32 s16, s19
	s_cbranch_execz .LBB128_309
.LBB128_334:
	v_cmp_ne_u32_e32 vcc_lo, 1, v18
	s_cbranch_vccnz .LBB128_336
; %bb.335:
	v_lshlrev_b64 v[16:17], 3, v[12:13]
	s_delay_alu instid0(VALU_DEP_1) | instskip(NEXT) | instid1(VALU_DEP_2)
	v_add_co_u32 v16, vcc_lo, v22, v16
	v_add_co_ci_u32_e32 v17, vcc_lo, v23, v17, vcc_lo
	flat_load_b64 v[16:17], v[16:17]
	s_waitcnt vmcnt(0) lgkmcnt(0)
	v_mul_f64 v[16:17], v[16:17], s[10:11]
	s_branch .LBB128_337
.LBB128_336:
	v_mov_b32_e32 v16, 0
	v_mov_b32_e32 v17, 0
.LBB128_337:
	s_delay_alu instid0(VALU_DEP_1) | instskip(SKIP_2) | instid1(VALU_DEP_1)
	v_cvt_f32_f64_e32 v16, v[16:17]
	v_max_f32_e32 v17, v131, v131
	v_lshlrev_b64 v[24:25], 3, v[12:13]
	v_add_co_u32 v24, vcc_lo, v20, v24
	s_delay_alu instid0(VALU_DEP_2) | instskip(NEXT) | instid1(VALU_DEP_4)
	v_add_co_ci_u32_e32 v25, vcc_lo, v21, v25, vcc_lo
	v_min_f32_e32 v16, v16, v17
	s_delay_alu instid0(VALU_DEP_1) | instskip(SKIP_3) | instid1(SALU_CYCLE_1)
	v_cvt_f64_f32_e32 v[16:17], v16
	global_store_b64 v[24:25], v[16:17], off
	s_or_b32 exec_lo, exec_lo, s16
	s_and_b32 s16, s7, s8
	s_and_saveexec_b32 s8, s16
	s_cbranch_execz .LBB128_342
.LBB128_338:
	v_cmp_ne_u32_e32 vcc_lo, 1, v18
	s_cbranch_vccnz .LBB128_340
; %bb.339:
	v_lshlrev_b64 v[16:17], 3, v[14:15]
	s_delay_alu instid0(VALU_DEP_1) | instskip(NEXT) | instid1(VALU_DEP_2)
	v_add_co_u32 v16, vcc_lo, v22, v16
	v_add_co_ci_u32_e32 v17, vcc_lo, v23, v17, vcc_lo
	flat_load_b64 v[16:17], v[16:17]
	s_waitcnt vmcnt(0) lgkmcnt(0)
	v_mul_f64 v[16:17], v[16:17], s[10:11]
	s_branch .LBB128_341
.LBB128_340:
	v_mov_b32_e32 v16, 0
	v_mov_b32_e32 v17, 0
.LBB128_341:
	s_delay_alu instid0(VALU_DEP_1) | instskip(SKIP_2) | instid1(VALU_DEP_1)
	v_cvt_f32_f64_e32 v16, v[16:17]
	v_max_f32_e32 v17, v198, v198
	v_lshlrev_b64 v[22:23], 3, v[14:15]
	v_add_co_u32 v20, vcc_lo, v20, v22
	s_delay_alu instid0(VALU_DEP_2) | instskip(NEXT) | instid1(VALU_DEP_4)
	v_add_co_ci_u32_e32 v21, vcc_lo, v21, v23, vcc_lo
	v_min_f32_e32 v16, v16, v17
	s_delay_alu instid0(VALU_DEP_1)
	v_cvt_f64_f32_e32 v[16:17], v16
	global_store_b64 v[20:21], v[16:17], off
.LBB128_342:
	s_or_b32 exec_lo, exec_lo, s8
	v_add_nc_u32_e32 v21, 0xe0, v19
	s_delay_alu instid0(VALU_DEP_1) | instskip(SKIP_2) | instid1(VALU_DEP_3)
	v_mad_i64_i32 v[16:17], null, v21, s18, 0
	v_mad_i64_i32 v[19:20], null, v21, s9, 0
	v_cmp_gt_i32_e64 s8, s17, v21
	v_lshlrev_b64 v[16:17], 3, v[16:17]
	s_delay_alu instid0(VALU_DEP_2) | instskip(NEXT) | instid1(VALU_DEP_3)
	s_and_b32 s9, s0, s8
	v_lshlrev_b64 v[21:22], 3, v[19:20]
	s_delay_alu instid0(VALU_DEP_2) | instskip(NEXT) | instid1(VALU_DEP_3)
	v_add_co_u32 v19, vcc_lo, s12, v16
	v_add_co_ci_u32_e32 v20, vcc_lo, s13, v17, vcc_lo
	s_delay_alu instid0(VALU_DEP_3) | instskip(NEXT) | instid1(VALU_DEP_4)
	v_add_co_u32 v16, vcc_lo, s14, v21
	v_add_co_ci_u32_e32 v17, vcc_lo, s15, v22, vcc_lo
	s_and_saveexec_b32 s0, s9
	s_cbranch_execnz .LBB128_351
; %bb.343:
	s_or_b32 exec_lo, exec_lo, s0
	s_and_b32 s1, s1, s8
	s_delay_alu instid0(SALU_CYCLE_1)
	s_and_saveexec_b32 s0, s1
	s_cbranch_execnz .LBB128_355
.LBB128_344:
	s_or_b32 exec_lo, exec_lo, s0
	s_and_b32 s1, s2, s8
	s_delay_alu instid0(SALU_CYCLE_1)
	s_and_saveexec_b32 s0, s1
	s_cbranch_execnz .LBB128_359
.LBB128_345:
	s_or_b32 exec_lo, exec_lo, s0
	s_and_b32 s1, s3, s8
	s_delay_alu instid0(SALU_CYCLE_1)
	s_and_saveexec_b32 s0, s1
	s_cbranch_execnz .LBB128_363
.LBB128_346:
	s_or_b32 exec_lo, exec_lo, s0
	s_and_b32 s1, s4, s8
	s_delay_alu instid0(SALU_CYCLE_1)
	s_and_saveexec_b32 s0, s1
	s_cbranch_execnz .LBB128_367
.LBB128_347:
	s_or_b32 exec_lo, exec_lo, s0
	s_and_b32 s1, s5, s8
	s_delay_alu instid0(SALU_CYCLE_1)
	s_and_saveexec_b32 s0, s1
	s_cbranch_execnz .LBB128_371
.LBB128_348:
	s_or_b32 exec_lo, exec_lo, s0
	s_and_b32 s1, s6, s8
	s_delay_alu instid0(SALU_CYCLE_1)
	s_and_saveexec_b32 s0, s1
	s_cbranch_execnz .LBB128_375
.LBB128_349:
	s_or_b32 exec_lo, exec_lo, s0
	s_and_b32 s0, s7, s8
	s_delay_alu instid0(SALU_CYCLE_1)
	s_and_saveexec_b32 s1, s0
	s_cbranch_execnz .LBB128_379
.LBB128_350:
	s_endpgm
.LBB128_351:
	v_cmp_ne_u32_e32 vcc_lo, 1, v18
	v_lshlrev_b64 v[0:1], 3, v[0:1]
	s_cbranch_vccnz .LBB128_353
; %bb.352:
	s_delay_alu instid0(VALU_DEP_1) | instskip(NEXT) | instid1(VALU_DEP_2)
	v_add_co_u32 v21, vcc_lo, v19, v0
	v_add_co_ci_u32_e32 v22, vcc_lo, v20, v1, vcc_lo
	flat_load_b64 v[21:22], v[21:22]
	s_waitcnt vmcnt(0) lgkmcnt(0)
	v_mul_f64 v[21:22], v[21:22], s[10:11]
	s_delay_alu instid0(VALU_DEP_1)
	v_cvt_f32_f64_e32 v21, v[21:22]
	s_branch .LBB128_354
.LBB128_353:
	v_mov_b32_e32 v21, 0
.LBB128_354:
	v_max_f32_e32 v22, v133, v133
	s_delay_alu instid0(VALU_DEP_2) | instskip(NEXT) | instid1(VALU_DEP_4)
	v_max_f32_e32 v21, v21, v21
	v_add_co_u32 v0, vcc_lo, v16, v0
	v_add_co_ci_u32_e32 v1, vcc_lo, v17, v1, vcc_lo
	s_delay_alu instid0(VALU_DEP_3) | instskip(NEXT) | instid1(VALU_DEP_1)
	v_min_f32_e32 v21, v21, v22
	v_cvt_f64_f32_e32 v[21:22], v21
	global_store_b64 v[0:1], v[21:22], off
	s_or_b32 exec_lo, exec_lo, s0
	s_and_b32 s1, s1, s8
	s_delay_alu instid0(SALU_CYCLE_1)
	s_and_saveexec_b32 s0, s1
	s_cbranch_execz .LBB128_344
.LBB128_355:
	v_cmp_ne_u32_e32 vcc_lo, 1, v18
	v_lshlrev_b64 v[0:1], 3, v[2:3]
	s_cbranch_vccnz .LBB128_357
; %bb.356:
	s_delay_alu instid0(VALU_DEP_1) | instskip(NEXT) | instid1(VALU_DEP_2)
	v_add_co_u32 v2, vcc_lo, v19, v0
	v_add_co_ci_u32_e32 v3, vcc_lo, v20, v1, vcc_lo
	flat_load_b64 v[2:3], v[2:3]
	s_waitcnt vmcnt(0) lgkmcnt(0)
	v_mul_f64 v[2:3], v[2:3], s[10:11]
	s_delay_alu instid0(VALU_DEP_1)
	v_cvt_f32_f64_e32 v2, v[2:3]
	s_branch .LBB128_358
.LBB128_357:
	v_mov_b32_e32 v2, 0
.LBB128_358:
	s_delay_alu instid0(VALU_DEP_1) | instskip(NEXT) | instid1(VALU_DEP_3)
	v_dual_max_f32 v3, v128, v128 :: v_dual_max_f32 v2, v2, v2
	v_add_co_u32 v0, vcc_lo, v16, v0
	s_delay_alu instid0(VALU_DEP_4) | instskip(NEXT) | instid1(VALU_DEP_3)
	v_add_co_ci_u32_e32 v1, vcc_lo, v17, v1, vcc_lo
	v_min_f32_e32 v2, v2, v3
	s_delay_alu instid0(VALU_DEP_1) | instskip(SKIP_3) | instid1(SALU_CYCLE_1)
	v_cvt_f64_f32_e32 v[2:3], v2
	global_store_b64 v[0:1], v[2:3], off
	s_or_b32 exec_lo, exec_lo, s0
	s_and_b32 s1, s2, s8
	s_and_saveexec_b32 s0, s1
	s_cbranch_execz .LBB128_345
.LBB128_359:
	v_cmp_ne_u32_e32 vcc_lo, 1, v18
	v_lshlrev_b64 v[0:1], 3, v[4:5]
	s_cbranch_vccnz .LBB128_361
; %bb.360:
	s_delay_alu instid0(VALU_DEP_1) | instskip(NEXT) | instid1(VALU_DEP_2)
	v_add_co_u32 v2, vcc_lo, v19, v0
	v_add_co_ci_u32_e32 v3, vcc_lo, v20, v1, vcc_lo
	flat_load_b64 v[2:3], v[2:3]
	s_waitcnt vmcnt(0) lgkmcnt(0)
	v_mul_f64 v[2:3], v[2:3], s[10:11]
	s_delay_alu instid0(VALU_DEP_1)
	v_cvt_f32_f64_e32 v2, v[2:3]
	s_branch .LBB128_362
.LBB128_361:
	v_mov_b32_e32 v2, 0
.LBB128_362:
	s_delay_alu instid0(VALU_DEP_1) | instskip(NEXT) | instid1(VALU_DEP_3)
	v_dual_max_f32 v3, v127, v127 :: v_dual_max_f32 v2, v2, v2
	v_add_co_u32 v0, vcc_lo, v16, v0
	s_delay_alu instid0(VALU_DEP_4) | instskip(NEXT) | instid1(VALU_DEP_3)
	v_add_co_ci_u32_e32 v1, vcc_lo, v17, v1, vcc_lo
	v_min_f32_e32 v2, v2, v3
	s_delay_alu instid0(VALU_DEP_1) | instskip(SKIP_3) | instid1(SALU_CYCLE_1)
	v_cvt_f64_f32_e32 v[2:3], v2
	global_store_b64 v[0:1], v[2:3], off
	s_or_b32 exec_lo, exec_lo, s0
	s_and_b32 s1, s3, s8
	s_and_saveexec_b32 s0, s1
	s_cbranch_execz .LBB128_346
.LBB128_363:
	v_cmp_ne_u32_e32 vcc_lo, 1, v18
	v_lshlrev_b64 v[0:1], 3, v[6:7]
	s_cbranch_vccnz .LBB128_365
; %bb.364:
	s_delay_alu instid0(VALU_DEP_1) | instskip(NEXT) | instid1(VALU_DEP_2)
	v_add_co_u32 v2, vcc_lo, v19, v0
	v_add_co_ci_u32_e32 v3, vcc_lo, v20, v1, vcc_lo
	flat_load_b64 v[2:3], v[2:3]
	s_waitcnt vmcnt(0) lgkmcnt(0)
	v_mul_f64 v[2:3], v[2:3], s[10:11]
	s_delay_alu instid0(VALU_DEP_1)
	v_cvt_f32_f64_e32 v2, v[2:3]
	s_branch .LBB128_366
.LBB128_365:
	v_mov_b32_e32 v2, 0
.LBB128_366:
	v_max_f32_e32 v3, v126, v126
	s_delay_alu instid0(VALU_DEP_2) | instskip(NEXT) | instid1(VALU_DEP_4)
	v_max_f32_e32 v2, v2, v2
	v_add_co_u32 v0, vcc_lo, v16, v0
	v_add_co_ci_u32_e32 v1, vcc_lo, v17, v1, vcc_lo
	s_delay_alu instid0(VALU_DEP_3) | instskip(NEXT) | instid1(VALU_DEP_1)
	v_min_f32_e32 v2, v2, v3
	v_cvt_f64_f32_e32 v[2:3], v2
	global_store_b64 v[0:1], v[2:3], off
	s_or_b32 exec_lo, exec_lo, s0
	s_and_b32 s1, s4, s8
	s_delay_alu instid0(SALU_CYCLE_1)
	s_and_saveexec_b32 s0, s1
	s_cbranch_execz .LBB128_347
.LBB128_367:
	v_cmp_ne_u32_e32 vcc_lo, 1, v18
	v_lshlrev_b64 v[0:1], 3, v[8:9]
	s_cbranch_vccnz .LBB128_369
; %bb.368:
	s_delay_alu instid0(VALU_DEP_1) | instskip(NEXT) | instid1(VALU_DEP_2)
	v_add_co_u32 v2, vcc_lo, v19, v0
	v_add_co_ci_u32_e32 v3, vcc_lo, v20, v1, vcc_lo
	flat_load_b64 v[2:3], v[2:3]
	s_waitcnt vmcnt(0) lgkmcnt(0)
	v_mul_f64 v[2:3], v[2:3], s[10:11]
	s_delay_alu instid0(VALU_DEP_1)
	v_cvt_f32_f64_e32 v2, v[2:3]
	s_branch .LBB128_370
.LBB128_369:
	v_mov_b32_e32 v2, 0
.LBB128_370:
	s_delay_alu instid0(VALU_DEP_1) | instskip(NEXT) | instid1(VALU_DEP_3)
	v_dual_max_f32 v3, v125, v125 :: v_dual_max_f32 v2, v2, v2
	v_add_co_u32 v0, vcc_lo, v16, v0
	s_delay_alu instid0(VALU_DEP_4) | instskip(NEXT) | instid1(VALU_DEP_3)
	v_add_co_ci_u32_e32 v1, vcc_lo, v17, v1, vcc_lo
	v_min_f32_e32 v2, v2, v3
	s_delay_alu instid0(VALU_DEP_1) | instskip(SKIP_3) | instid1(SALU_CYCLE_1)
	v_cvt_f64_f32_e32 v[2:3], v2
	global_store_b64 v[0:1], v[2:3], off
	s_or_b32 exec_lo, exec_lo, s0
	s_and_b32 s1, s5, s8
	s_and_saveexec_b32 s0, s1
	s_cbranch_execz .LBB128_348
.LBB128_371:
	v_cmp_ne_u32_e32 vcc_lo, 1, v18
	v_lshlrev_b64 v[0:1], 3, v[10:11]
	s_cbranch_vccnz .LBB128_373
; %bb.372:
	s_delay_alu instid0(VALU_DEP_1) | instskip(NEXT) | instid1(VALU_DEP_2)
	v_add_co_u32 v2, vcc_lo, v19, v0
	v_add_co_ci_u32_e32 v3, vcc_lo, v20, v1, vcc_lo
	flat_load_b64 v[2:3], v[2:3]
	s_waitcnt vmcnt(0) lgkmcnt(0)
	v_mul_f64 v[2:3], v[2:3], s[10:11]
	s_delay_alu instid0(VALU_DEP_1)
	v_cvt_f32_f64_e32 v2, v[2:3]
	s_branch .LBB128_374
.LBB128_373:
	v_mov_b32_e32 v2, 0
.LBB128_374:
	s_delay_alu instid0(VALU_DEP_1) | instskip(NEXT) | instid1(VALU_DEP_3)
	v_dual_max_f32 v3, v124, v124 :: v_dual_max_f32 v2, v2, v2
	v_add_co_u32 v0, vcc_lo, v16, v0
	s_delay_alu instid0(VALU_DEP_4) | instskip(NEXT) | instid1(VALU_DEP_3)
	v_add_co_ci_u32_e32 v1, vcc_lo, v17, v1, vcc_lo
	v_min_f32_e32 v2, v2, v3
	s_delay_alu instid0(VALU_DEP_1) | instskip(SKIP_3) | instid1(SALU_CYCLE_1)
	v_cvt_f64_f32_e32 v[2:3], v2
	global_store_b64 v[0:1], v[2:3], off
	s_or_b32 exec_lo, exec_lo, s0
	s_and_b32 s1, s6, s8
	s_and_saveexec_b32 s0, s1
	s_cbranch_execz .LBB128_349
.LBB128_375:
	v_cmp_ne_u32_e32 vcc_lo, 1, v18
	v_lshlrev_b64 v[0:1], 3, v[12:13]
	s_cbranch_vccnz .LBB128_377
; %bb.376:
	s_delay_alu instid0(VALU_DEP_1) | instskip(NEXT) | instid1(VALU_DEP_2)
	v_add_co_u32 v2, vcc_lo, v19, v0
	v_add_co_ci_u32_e32 v3, vcc_lo, v20, v1, vcc_lo
	flat_load_b64 v[2:3], v[2:3]
	s_waitcnt vmcnt(0) lgkmcnt(0)
	v_mul_f64 v[2:3], v[2:3], s[10:11]
	s_delay_alu instid0(VALU_DEP_1)
	v_cvt_f32_f64_e32 v2, v[2:3]
	s_branch .LBB128_378
.LBB128_377:
	v_mov_b32_e32 v2, 0
.LBB128_378:
	s_delay_alu instid0(VALU_DEP_1) | instskip(NEXT) | instid1(VALU_DEP_3)
	v_dual_max_f32 v3, v123, v123 :: v_dual_max_f32 v2, v2, v2
	v_add_co_u32 v0, vcc_lo, v16, v0
	s_delay_alu instid0(VALU_DEP_4) | instskip(NEXT) | instid1(VALU_DEP_3)
	v_add_co_ci_u32_e32 v1, vcc_lo, v17, v1, vcc_lo
	v_min_f32_e32 v2, v2, v3
	s_delay_alu instid0(VALU_DEP_1) | instskip(SKIP_3) | instid1(SALU_CYCLE_1)
	v_cvt_f64_f32_e32 v[2:3], v2
	global_store_b64 v[0:1], v[2:3], off
	s_or_b32 exec_lo, exec_lo, s0
	s_and_b32 s0, s7, s8
	s_and_saveexec_b32 s1, s0
	s_cbranch_execz .LBB128_350
.LBB128_379:
	v_cmp_ne_u32_e32 vcc_lo, 1, v18
	v_lshlrev_b64 v[0:1], 3, v[14:15]
	s_cbranch_vccnz .LBB128_381
; %bb.380:
	s_delay_alu instid0(VALU_DEP_1) | instskip(NEXT) | instid1(VALU_DEP_2)
	v_add_co_u32 v2, vcc_lo, v19, v0
	v_add_co_ci_u32_e32 v3, vcc_lo, v20, v1, vcc_lo
	flat_load_b64 v[2:3], v[2:3]
	s_waitcnt vmcnt(0) lgkmcnt(0)
	v_mul_f64 v[2:3], v[2:3], s[10:11]
	s_delay_alu instid0(VALU_DEP_1)
	v_cvt_f32_f64_e32 v2, v[2:3]
	s_branch .LBB128_382
.LBB128_381:
	v_mov_b32_e32 v2, 0
.LBB128_382:
	v_max_f32_e32 v3, v122, v122
	s_delay_alu instid0(VALU_DEP_2) | instskip(NEXT) | instid1(VALU_DEP_4)
	v_max_f32_e32 v2, v2, v2
	v_add_co_u32 v0, vcc_lo, v16, v0
	v_add_co_ci_u32_e32 v1, vcc_lo, v17, v1, vcc_lo
	s_delay_alu instid0(VALU_DEP_3) | instskip(NEXT) | instid1(VALU_DEP_1)
	v_min_f32_e32 v2, v2, v3
	v_cvt_f64_f32_e32 v[2:3], v2
	global_store_b64 v[0:1], v[2:3], off
	s_endpgm
	.section	.rodata,"a",@progbits
	.p2align	6, 0x0
	.amdhsa_kernel _ZN12_GLOBAL__N_120geam_min_plus_kernelId15HIP_vector_typeIdLj2EEdLi8ELi32ELi64ELi256ELi4ELi4ELi64ELi64ELi4ELc84ELc84ELb0ELb1ELb1EdKPKdKPdEEviiiT16_PT17_ilSA_ilS8_SA_ilPT18_ili26rocblas_geam_ex_operation_
		.amdhsa_group_segment_fixed_size 20480
		.amdhsa_private_segment_fixed_size 404
		.amdhsa_kernarg_size 136
		.amdhsa_user_sgpr_count 14
		.amdhsa_user_sgpr_dispatch_ptr 0
		.amdhsa_user_sgpr_queue_ptr 0
		.amdhsa_user_sgpr_kernarg_segment_ptr 1
		.amdhsa_user_sgpr_dispatch_id 0
		.amdhsa_user_sgpr_private_segment_size 0
		.amdhsa_wavefront_size32 1
		.amdhsa_uses_dynamic_stack 0
		.amdhsa_enable_private_segment 1
		.amdhsa_system_sgpr_workgroup_id_x 1
		.amdhsa_system_sgpr_workgroup_id_y 0
		.amdhsa_system_sgpr_workgroup_id_z 1
		.amdhsa_system_sgpr_workgroup_info 0
		.amdhsa_system_vgpr_workitem_id 1
		.amdhsa_next_free_vgpr 256
		.amdhsa_next_free_sgpr 32
		.amdhsa_reserve_vcc 1
		.amdhsa_float_round_mode_32 0
		.amdhsa_float_round_mode_16_64 0
		.amdhsa_float_denorm_mode_32 3
		.amdhsa_float_denorm_mode_16_64 3
		.amdhsa_dx10_clamp 1
		.amdhsa_ieee_mode 1
		.amdhsa_fp16_overflow 0
		.amdhsa_workgroup_processor_mode 1
		.amdhsa_memory_ordered 1
		.amdhsa_forward_progress 0
		.amdhsa_shared_vgpr_count 0
		.amdhsa_exception_fp_ieee_invalid_op 0
		.amdhsa_exception_fp_denorm_src 0
		.amdhsa_exception_fp_ieee_div_zero 0
		.amdhsa_exception_fp_ieee_overflow 0
		.amdhsa_exception_fp_ieee_underflow 0
		.amdhsa_exception_fp_ieee_inexact 0
		.amdhsa_exception_int_div_zero 0
	.end_amdhsa_kernel
	.section	.text._ZN12_GLOBAL__N_120geam_min_plus_kernelId15HIP_vector_typeIdLj2EEdLi8ELi32ELi64ELi256ELi4ELi4ELi64ELi64ELi4ELc84ELc84ELb0ELb1ELb1EdKPKdKPdEEviiiT16_PT17_ilSA_ilS8_SA_ilPT18_ili26rocblas_geam_ex_operation_,"axG",@progbits,_ZN12_GLOBAL__N_120geam_min_plus_kernelId15HIP_vector_typeIdLj2EEdLi8ELi32ELi64ELi256ELi4ELi4ELi64ELi64ELi4ELc84ELc84ELb0ELb1ELb1EdKPKdKPdEEviiiT16_PT17_ilSA_ilS8_SA_ilPT18_ili26rocblas_geam_ex_operation_,comdat
.Lfunc_end128:
	.size	_ZN12_GLOBAL__N_120geam_min_plus_kernelId15HIP_vector_typeIdLj2EEdLi8ELi32ELi64ELi256ELi4ELi4ELi64ELi64ELi4ELc84ELc84ELb0ELb1ELb1EdKPKdKPdEEviiiT16_PT17_ilSA_ilS8_SA_ilPT18_ili26rocblas_geam_ex_operation_, .Lfunc_end128-_ZN12_GLOBAL__N_120geam_min_plus_kernelId15HIP_vector_typeIdLj2EEdLi8ELi32ELi64ELi256ELi4ELi4ELi64ELi64ELi4ELc84ELc84ELb0ELb1ELb1EdKPKdKPdEEviiiT16_PT17_ilSA_ilS8_SA_ilPT18_ili26rocblas_geam_ex_operation_
                                        ; -- End function
	.section	.AMDGPU.csdata,"",@progbits
; Kernel info:
; codeLenInByte = 28004
; NumSgprs: 34
; NumVgprs: 256
; ScratchSize: 404
; MemoryBound: 0
; FloatMode: 240
; IeeeMode: 1
; LDSByteSize: 20480 bytes/workgroup (compile time only)
; SGPRBlocks: 4
; VGPRBlocks: 31
; NumSGPRsForWavesPerEU: 34
; NumVGPRsForWavesPerEU: 256
; Occupancy: 5
; WaveLimiterHint : 1
; COMPUTE_PGM_RSRC2:SCRATCH_EN: 1
; COMPUTE_PGM_RSRC2:USER_SGPR: 14
; COMPUTE_PGM_RSRC2:TRAP_HANDLER: 0
; COMPUTE_PGM_RSRC2:TGID_X_EN: 1
; COMPUTE_PGM_RSRC2:TGID_Y_EN: 0
; COMPUTE_PGM_RSRC2:TGID_Z_EN: 1
; COMPUTE_PGM_RSRC2:TIDIG_COMP_CNT: 1
	.section	.text._ZN12_GLOBAL__N_120geam_min_plus_kernelIdddLi4ELi64ELi128ELi128ELi4ELi64ELi4ELi4ELi64ELc78ELc78ELb0ELb0ELb0EPKdKS2_KPdEEviiiT16_PT17_ilS8_ilS6_S8_ilPT18_ili26rocblas_geam_ex_operation_,"axG",@progbits,_ZN12_GLOBAL__N_120geam_min_plus_kernelIdddLi4ELi64ELi128ELi128ELi4ELi64ELi4ELi4ELi64ELc78ELc78ELb0ELb0ELb0EPKdKS2_KPdEEviiiT16_PT17_ilS8_ilS6_S8_ilPT18_ili26rocblas_geam_ex_operation_,comdat
	.globl	_ZN12_GLOBAL__N_120geam_min_plus_kernelIdddLi4ELi64ELi128ELi128ELi4ELi64ELi4ELi4ELi64ELc78ELc78ELb0ELb0ELb0EPKdKS2_KPdEEviiiT16_PT17_ilS8_ilS6_S8_ilPT18_ili26rocblas_geam_ex_operation_ ; -- Begin function _ZN12_GLOBAL__N_120geam_min_plus_kernelIdddLi4ELi64ELi128ELi128ELi4ELi64ELi4ELi4ELi64ELc78ELc78ELb0ELb0ELb0EPKdKS2_KPdEEviiiT16_PT17_ilS8_ilS6_S8_ilPT18_ili26rocblas_geam_ex_operation_
	.p2align	8
	.type	_ZN12_GLOBAL__N_120geam_min_plus_kernelIdddLi4ELi64ELi128ELi128ELi4ELi64ELi4ELi4ELi64ELc78ELc78ELb0ELb0ELb0EPKdKS2_KPdEEviiiT16_PT17_ilS8_ilS6_S8_ilPT18_ili26rocblas_geam_ex_operation_,@function
_ZN12_GLOBAL__N_120geam_min_plus_kernelIdddLi4ELi64ELi128ELi128ELi4ELi64ELi4ELi4ELi64ELc78ELc78ELb0ELb0ELb0EPKdKS2_KPdEEviiiT16_PT17_ilS8_ilS6_S8_ilPT18_ili26rocblas_geam_ex_operation_: ; @_ZN12_GLOBAL__N_120geam_min_plus_kernelIdddLi4ELi64ELi128ELi128ELi4ELi64ELi4ELi4ELi64ELc78ELc78ELb0ELb0ELb0EPKdKS2_KPdEEviiiT16_PT17_ilS8_ilS6_S8_ilPT18_ili26rocblas_geam_ex_operation_
; %bb.0:
	s_clause 0x1
	s_load_b128 s[16:19], s[0:1], 0x10
	s_load_b128 s[4:7], s[0:1], 0x28
	s_mov_b32 s2, s15
	s_mov_b32 s3, 0
	s_mov_b64 s[20:21], 0
	s_lshl_b64 s[22:23], s[2:3], 3
	s_waitcnt lgkmcnt(0)
	s_add_u32 s2, s16, s22
	s_addc_u32 s3, s17, s23
	s_mov_b64 s[16:17], 0
	s_load_b64 s[12:13], s[2:3], 0x0
	s_clause 0x1
	s_load_b128 s[8:11], s[0:1], 0x40
	s_load_b64 s[24:25], s[0:1], 0x50
	s_waitcnt lgkmcnt(0)
	s_add_u32 s2, s10, s22
	v_cmp_eq_f64_e64 s15, s[12:13], 0
	v_cmp_neq_f64_e64 s26, s[12:13], 0
	s_addc_u32 s3, s11, s23
	s_delay_alu instid0(VALU_DEP_2)
	s_and_b32 vcc_lo, exec_lo, s15
	s_cbranch_vccnz .LBB129_2
; %bb.1:
	s_add_u32 s10, s18, s22
	s_addc_u32 s11, s19, s23
	s_lshl_b64 s[4:5], s[4:5], 3
	s_load_b64 s[10:11], s[10:11], 0x0
	s_waitcnt lgkmcnt(0)
	s_add_u32 s20, s10, s4
	s_addc_u32 s21, s11, s5
.LBB129_2:
	s_load_b64 s[10:11], s[2:3], 0x0
	s_delay_alu instid0(VALU_DEP_1) | instskip(SKIP_1) | instid1(VALU_DEP_1)
	v_cndmask_b32_e64 v1, 0, 1, s26
	s_and_not1_b32 vcc_lo, exec_lo, s26
	v_cmp_ne_u32_e64 s2, 1, v1
	s_cbranch_vccnz .LBB129_4
; %bb.3:
	s_add_u32 s4, s6, s22
	s_addc_u32 s5, s7, s23
	s_lshl_b64 s[6:7], s[8:9], 3
	s_load_b64 s[4:5], s[4:5], 0x0
	s_waitcnt lgkmcnt(0)
	s_add_u32 s16, s4, s6
	s_addc_u32 s17, s5, s7
.LBB129_4:
	s_waitcnt lgkmcnt(0)
	v_cmp_eq_f64_e64 s3, s[10:11], 0
	s_load_b128 s[4:7], s[0:1], 0x60
	s_mov_b64 s[8:9], 0
	s_delay_alu instid0(VALU_DEP_1)
	s_and_b32 vcc_lo, exec_lo, s3
	s_cbranch_vccnz .LBB129_6
; %bb.5:
	s_add_u32 s8, s24, s22
	s_addc_u32 s9, s25, s23
	s_waitcnt lgkmcnt(0)
	s_lshl_b64 s[4:5], s[4:5], 3
	s_load_b64 s[8:9], s[8:9], 0x0
	s_waitcnt lgkmcnt(0)
	s_add_u32 s8, s8, s4
	s_addc_u32 s9, s9, s5
.LBB129_6:
	s_clause 0x1
	s_load_b32 s3, s[0:1], 0x0
	s_load_b32 s19, s[0:1], 0x20
	s_waitcnt lgkmcnt(0)
	s_mov_b32 s4, 0
	v_bfe_u32 v82, v0, 10, 10
	s_mov_b32 s5, s4
	v_dual_mov_b32 v0, s4 :: v_dual_and_b32 v81, 0x3ff, v0
	v_mov_b32_e32 v1, s5
	s_delay_alu instid0(VALU_DEP_2) | instskip(NEXT) | instid1(VALU_DEP_1)
	v_lshl_add_u32 v4, v82, 2, v81
	v_and_b32_e32 v78, 63, v4
	v_lshrrev_b32_e32 v83, 6, v4
	s_ashr_i32 s24, s19, 31
	s_add_u32 s4, s6, s22
	s_addc_u32 s5, s7, s23
	s_add_i32 s3, s3, -1
	s_delay_alu instid0(SALU_CYCLE_1) | instskip(NEXT) | instid1(SALU_CYCLE_1)
	s_ashr_i32 s6, s3, 31
	s_lshr_b32 s6, s6, 25
	s_delay_alu instid0(SALU_CYCLE_1) | instskip(NEXT) | instid1(SALU_CYCLE_1)
	s_add_i32 s3, s3, s6
	s_ashr_i32 s3, s3, 7
	s_delay_alu instid0(SALU_CYCLE_1) | instskip(SKIP_2) | instid1(VALU_DEP_1)
	s_add_i32 s7, s3, 1
	s_not_b32 s3, s3
	v_cvt_f32_u32_e32 v2, s7
	v_rcp_iflag_f32_e32 v2, v2
	s_waitcnt_depctr 0xfff
	v_mul_f32_e32 v2, 0x4f7ffffe, v2
	s_clause 0xe
	scratch_store_b64 off, v[0:1], off
	scratch_store_b64 off, v[0:1], off offset:8
	scratch_store_b64 off, v[0:1], off offset:16
	;; [unrolled: 1-line block ×14, first 2 shown]
	v_cvt_u32_f32_e32 v2, v2
	s_clause 0xe
	scratch_store_b64 off, v[0:1], off offset:120
	scratch_store_b64 off, v[0:1], off offset:128
	;; [unrolled: 1-line block ×15, first 2 shown]
	v_readfirstlane_b32 s6, v2
	s_clause 0x9
	scratch_store_b64 off, v[0:1], off offset:240
	scratch_store_b64 off, v[0:1], off offset:248
	scratch_store_b64 off, v[0:1], off offset:256
	scratch_store_b64 off, v[0:1], off offset:264
	scratch_store_b64 off, v[0:1], off offset:272
	scratch_store_b64 off, v[0:1], off offset:280
	scratch_store_b64 off, v[0:1], off offset:288
	scratch_store_b64 off, v[0:1], off offset:296
	scratch_store_b64 off, v[0:1], off offset:304
	scratch_store_b64 off, v[0:1], off offset:312
	s_load_b64 s[4:5], s[4:5], 0x0
	s_mul_i32 s3, s3, s6
	s_clause 0x3
	scratch_store_b64 off, v[0:1], off offset:320
	scratch_store_b64 off, v[0:1], off offset:328
	scratch_store_b64 off, v[0:1], off offset:336
	scratch_store_b64 off, v[0:1], off offset:344
	s_mul_hi_u32 s3, s6, s3
	s_clause 0x3
	scratch_store_b64 off, v[0:1], off offset:352
	scratch_store_b64 off, v[0:1], off offset:360
	;; [unrolled: 1-line block ×4, first 2 shown]
	s_add_i32 s6, s6, s3
	s_clause 0x8
	scratch_store_b64 off, v[0:1], off offset:384
	scratch_store_b64 off, v[0:1], off offset:392
	;; [unrolled: 1-line block ×9, first 2 shown]
	s_mul_hi_u32 s3, s14, s6
	s_clause 0x3
	scratch_store_b64 off, v[0:1], off offset:456
	scratch_store_b64 off, v[0:1], off offset:464
	;; [unrolled: 1-line block ×4, first 2 shown]
	s_mul_i32 s6, s3, s7
	s_add_i32 s15, s3, 1
	s_sub_i32 s6, s14, s6
	scratch_store_b64 off, v[0:1], off offset:488
	s_sub_i32 s18, s6, s7
	s_cmp_ge_u32 s6, s7
	s_clause 0x1
	scratch_store_b64 off, v[0:1], off offset:496
	scratch_store_b64 off, v[0:1], off offset:504
	s_cselect_b32 s3, s15, s3
	s_cselect_b32 s6, s18, s6
	s_add_i32 s15, s3, 1
	s_cmp_ge_u32 s6, s7
	s_cselect_b32 s6, s15, s3
	s_and_b32 vcc_lo, exec_lo, s2
	s_mul_i32 s3, s6, s7
	s_delay_alu instid0(SALU_CYCLE_1) | instskip(NEXT) | instid1(SALU_CYCLE_1)
	s_sub_i32 s3, s14, s3
	s_lshl_b32 s14, s3, 7
	s_delay_alu instid0(SALU_CYCLE_1) | instskip(NEXT) | instid1(VALU_DEP_1)
	v_or_b32_e32 v68, s14, v78
	v_ashrrev_i32_e32 v69, 31, v68
	s_cbranch_vccnz .LBB129_8
; %bb.7:
	v_mad_i64_i32 v[0:1], null, s19, v83, 0
	s_delay_alu instid0(VALU_DEP_2) | instskip(NEXT) | instid1(VALU_DEP_2)
	v_lshlrev_b64 v[2:3], 3, v[68:69]
	v_lshlrev_b64 v[0:1], 3, v[0:1]
	s_delay_alu instid0(VALU_DEP_1) | instskip(NEXT) | instid1(VALU_DEP_2)
	v_add_co_u32 v0, vcc_lo, s20, v0
	v_add_co_ci_u32_e32 v1, vcc_lo, s21, v1, vcc_lo
	s_delay_alu instid0(VALU_DEP_2) | instskip(NEXT) | instid1(VALU_DEP_2)
	v_add_co_u32 v0, vcc_lo, v0, v2
	v_add_co_ci_u32_e32 v1, vcc_lo, v1, v3, vcc_lo
	s_clause 0x1
	flat_load_b64 v[2:3], v[0:1]
	flat_load_b64 v[5:6], v[0:1] offset:512
	s_waitcnt vmcnt(1) lgkmcnt(0)
	v_mul_f64 v[0:1], s[12:13], v[2:3]
	s_waitcnt vmcnt(0)
	v_mul_f64 v[2:3], s[12:13], v[5:6]
	s_branch .LBB129_9
.LBB129_8:
	v_mov_b32_e32 v0, 0
	v_dual_mov_b32 v1, 0 :: v_dual_mov_b32 v2, 0
	v_mov_b32_e32 v3, 0
.LBB129_9:
	s_load_b32 s3, s[0:1], 0x38
	v_lshrrev_b32_e32 v8, 2, v4
	s_lshl_b32 s15, s6, 7
	v_and_b32_e32 v84, 3, v81
	s_and_b32 vcc_lo, exec_lo, s2
	s_delay_alu instid0(VALU_DEP_2) | instskip(NEXT) | instid1(VALU_DEP_2)
	v_add_nc_u32_e32 v80, s15, v8
	v_lshlrev_b32_e32 v9, 3, v84
	s_delay_alu instid0(VALU_DEP_2)
	v_add_nc_u32_e32 v79, 64, v80
	s_cbranch_vccnz .LBB129_13
; %bb.10:
	s_waitcnt lgkmcnt(0)
	v_mad_i64_i32 v[4:5], null, v80, s3, 0
	s_delay_alu instid0(VALU_DEP_2) | instskip(SKIP_1) | instid1(VALU_DEP_1)
	v_mad_i64_i32 v[6:7], null, v79, s3, 0
	v_add_co_u32 v10, s6, s16, v9
	v_add_co_ci_u32_e64 v11, null, s17, 0, s6
	s_delay_alu instid0(VALU_DEP_4) | instskip(NEXT) | instid1(VALU_DEP_4)
	v_lshlrev_b64 v[4:5], 3, v[4:5]
	v_lshlrev_b64 v[6:7], 3, v[6:7]
	s_delay_alu instid0(VALU_DEP_2) | instskip(NEXT) | instid1(VALU_DEP_3)
	v_add_co_u32 v4, vcc_lo, v10, v4
	v_add_co_ci_u32_e32 v5, vcc_lo, v11, v5, vcc_lo
	s_delay_alu instid0(VALU_DEP_3) | instskip(NEXT) | instid1(VALU_DEP_4)
	v_add_co_u32 v6, vcc_lo, v10, v6
	v_add_co_ci_u32_e32 v7, vcc_lo, v11, v7, vcc_lo
	s_clause 0x1
	flat_load_b64 v[4:5], v[4:5]
	flat_load_b64 v[6:7], v[6:7]
	s_waitcnt vmcnt(1) lgkmcnt(1)
	v_mul_f64 v[4:5], s[12:13], v[4:5]
	s_waitcnt vmcnt(0) lgkmcnt(0)
	v_mul_f64 v[6:7], s[12:13], v[6:7]
	v_add_nc_u32_e32 v85, 4, v83
	s_and_b32 vcc_lo, exec_lo, s2
	s_cbranch_vccnz .LBB129_14
.LBB129_11:
	s_delay_alu instid0(VALU_DEP_1) | instskip(SKIP_1) | instid1(VALU_DEP_2)
	v_mad_i64_i32 v[10:11], null, s19, v85, 0
	v_lshlrev_b64 v[12:13], 3, v[68:69]
	v_lshlrev_b64 v[10:11], 3, v[10:11]
	s_delay_alu instid0(VALU_DEP_1) | instskip(NEXT) | instid1(VALU_DEP_2)
	v_add_co_u32 v10, vcc_lo, s20, v10
	v_add_co_ci_u32_e32 v11, vcc_lo, s21, v11, vcc_lo
	s_delay_alu instid0(VALU_DEP_2) | instskip(NEXT) | instid1(VALU_DEP_2)
	v_add_co_u32 v10, vcc_lo, v10, v12
	v_add_co_ci_u32_e32 v11, vcc_lo, v11, v13, vcc_lo
	s_clause 0x1
	flat_load_b64 v[12:13], v[10:11]
	flat_load_b64 v[10:11], v[10:11] offset:512
	s_waitcnt vmcnt(1) lgkmcnt(0)
	v_mul_f64 v[70:71], s[12:13], v[12:13]
	s_waitcnt vmcnt(0)
	v_mul_f64 v[72:73], s[12:13], v[10:11]
	s_and_b32 vcc_lo, exec_lo, s2
	s_mov_b64 s[6:7], 0
	s_cbranch_vccnz .LBB129_15
.LBB129_12:
	s_waitcnt lgkmcnt(0)
	v_mad_i64_i32 v[10:11], null, v80, s3, 0
	v_mad_i64_i32 v[12:13], null, v79, s3, 0
	v_add_co_u32 v14, s7, s16, v9
	s_delay_alu instid0(VALU_DEP_1) | instskip(NEXT) | instid1(VALU_DEP_4)
	v_add_co_ci_u32_e64 v15, null, s17, 0, s7
	v_lshlrev_b64 v[10:11], 3, v[10:11]
	s_delay_alu instid0(VALU_DEP_4) | instskip(NEXT) | instid1(VALU_DEP_2)
	v_lshlrev_b64 v[12:13], 3, v[12:13]
	v_add_co_u32 v10, vcc_lo, v14, v10
	s_delay_alu instid0(VALU_DEP_3) | instskip(NEXT) | instid1(VALU_DEP_3)
	v_add_co_ci_u32_e32 v11, vcc_lo, v15, v11, vcc_lo
	v_add_co_u32 v12, vcc_lo, v14, v12
	s_delay_alu instid0(VALU_DEP_4)
	v_add_co_ci_u32_e32 v13, vcc_lo, v15, v13, vcc_lo
	s_clause 0x1
	flat_load_b64 v[10:11], v[10:11] offset:32
	flat_load_b64 v[12:13], v[12:13] offset:32
	s_waitcnt vmcnt(1) lgkmcnt(1)
	v_mul_f64 v[74:75], s[12:13], v[10:11]
	s_waitcnt vmcnt(0) lgkmcnt(0)
	v_mul_f64 v[76:77], s[12:13], v[12:13]
	s_branch .LBB129_16
.LBB129_13:
	v_mov_b32_e32 v4, 0
	v_dual_mov_b32 v5, 0 :: v_dual_mov_b32 v6, 0
	v_mov_b32_e32 v7, 0
	v_add_nc_u32_e32 v85, 4, v83
	s_and_b32 vcc_lo, exec_lo, s2
	s_cbranch_vccz .LBB129_11
.LBB129_14:
	v_mov_b32_e32 v70, 0
	v_dual_mov_b32 v71, 0 :: v_dual_mov_b32 v72, 0
	v_mov_b32_e32 v73, 0
	s_and_b32 vcc_lo, exec_lo, s2
	s_mov_b64 s[6:7], 0
	s_cbranch_vccz .LBB129_12
.LBB129_15:
	v_mov_b32_e32 v74, 0
	v_dual_mov_b32 v75, 0 :: v_dual_mov_b32 v76, 0
	v_mov_b32_e32 v77, 0
.LBB129_16:
	v_cmp_neq_f64_e64 s18, s[10:11], 0
	v_dual_mov_b32 v91, 0 :: v_dual_lshlrev_b32 v10, 3, v83
	v_dual_mov_b32 v93, 8 :: v_dual_lshlrev_b32 v86, 5, v81
	v_lshl_or_b32 v92, v8, 5, v9
	s_delay_alu instid0(VALU_DEP_3) | instskip(NEXT) | instid1(VALU_DEP_3)
	v_lshl_add_u32 v87, v78, 5, v10
	v_dual_mov_b32 v97, 40 :: v_dual_add_nc_u32 v48, 0x800, v86
	ds_store_2addr_stride64_b64 v92, v[4:5], v[6:7] offset0:16 offset1:20
	ds_store_2addr_stride64_b64 v87, v[0:1], v[2:3] offset1:4
	s_waitcnt lgkmcnt(0)
	s_waitcnt_vscnt null, 0x0
	s_barrier
	buffer_gl0_inv
	ds_load_2addr_b64 v[0:3], v86 offset1:16
	ds_load_2addr_b64 v[4:7], v86 offset0:32 offset1:48
	ds_load_2addr_b64 v[8:11], v86 offset0:64 offset1:80
	;; [unrolled: 1-line block ×4, first 2 shown]
	ds_load_2addr_b64 v[20:23], v48 offset1:16
	ds_load_2addr_b64 v[24:27], v48 offset0:32 offset1:48
	ds_load_2addr_b64 v[28:31], v48 offset0:64 offset1:80
	v_dual_mov_b32 v94, 16 :: v_dual_lshlrev_b32 v89, 5, v82
	ds_load_2addr_b64 v[32:35], v48 offset0:96 offset1:112
	ds_load_2addr_b64 v[36:39], v48 offset0:128 offset1:144
	;; [unrolled: 1-line block ×8, first 2 shown]
	ds_load_2addr_stride64_b64 v[64:67], v89 offset0:16 offset1:20
	v_dual_mov_b32 v95, 24 :: v_dual_add_nc_u32 v88, 0x2000, v92
	v_dual_mov_b32 v99, 56 :: v_dual_add_nc_u32 v90, 0x2000, v89
	v_dual_mov_b32 v96, 32 :: v_dual_mov_b32 v101, 0x48
	v_dual_mov_b32 v98, 48 :: v_dual_mov_b32 v103, 0x58
	;; [unrolled: 1-line block ×3, first 2 shown]
	v_mov_b32_e32 v102, 0x50
	v_mov_b32_e32 v104, 0x60
	;; [unrolled: 1-line block ×20, first 2 shown]
	s_mov_b32 s22, -1
.LBB129_17:                             ; =>This Inner Loop Header: Depth=1
	scratch_load_b64 v[124:125], v91, off
	scratch_load_b64 v[126:127], v93, off
	;; [unrolled: 1-line block ×32, first 2 shown]
	s_cmp_eq_u32 s6, 1
	s_waitcnt lgkmcnt(16)
	v_max_f64 v[190:191], v[0:1], v[0:1]
	s_cselect_b32 vcc_lo, -1, 0
	v_max_f64 v[192:193], v[2:3], v[2:3]
	s_waitcnt lgkmcnt(0)
	v_dual_cndmask_b32 v189, v65, v67 :: v_dual_cndmask_b32 v188, v64, v66
	v_max_f64 v[194:195], v[4:5], v[4:5]
	v_max_f64 v[196:197], v[6:7], v[6:7]
	;; [unrolled: 1-line block ×31, first 2 shown]
	s_mov_b64 s[6:7], 1
	s_and_b32 vcc_lo, exec_lo, s22
	s_mov_b32 s22, 0
	v_min_f64 v[190:191], v[190:191], v[188:189]
	v_min_f64 v[192:193], v[192:193], v[188:189]
	;; [unrolled: 1-line block ×32, first 2 shown]
	s_waitcnt vmcnt(31)
	v_add_f64 v[124:125], v[124:125], v[190:191]
	s_waitcnt vmcnt(30)
	v_add_f64 v[126:127], v[192:193], v[126:127]
	;; [unrolled: 2-line block ×32, first 2 shown]
	scratch_store_b64 v91, v[124:125], off
	scratch_store_b64 v93, v[126:127], off
	;; [unrolled: 1-line block ×32, first 2 shown]
	v_mov_b32_e32 v91, 0x100
	v_mov_b32_e32 v93, 0x108
	;; [unrolled: 1-line block ×32, first 2 shown]
	s_cbranch_vccnz .LBB129_17
; %bb.18:
	v_dual_mov_b32 v91, 0 :: v_dual_add_nc_u32 v60, 0x800, v86
	ds_load_2addr_b64 v[0:3], v86 offset0:1 offset1:17
	ds_load_2addr_b64 v[4:7], v86 offset0:33 offset1:49
	;; [unrolled: 1-line block ×12, first 2 shown]
	v_dual_mov_b32 v93, 8 :: v_dual_add_nc_u32 v64, 8, v90
	ds_load_2addr_b64 v[48:51], v60 offset0:129 offset1:145
	ds_load_2addr_b64 v[52:55], v60 offset0:161 offset1:177
	;; [unrolled: 1-line block ×4, first 2 shown]
	ds_load_2addr_stride64_b64 v[64:67], v64 offset1:4
	v_dual_mov_b32 v94, 16 :: v_dual_mov_b32 v95, 24
	v_dual_mov_b32 v96, 32 :: v_dual_mov_b32 v97, 40
	;; [unrolled: 1-line block ×4, first 2 shown]
	v_mov_b32_e32 v102, 0x50
	v_mov_b32_e32 v103, 0x58
	;; [unrolled: 1-line block ×22, first 2 shown]
	s_mov_b64 s[6:7], 0
	s_mov_b32 s22, -1
.LBB129_19:                             ; =>This Inner Loop Header: Depth=1
	scratch_load_b64 v[124:125], v91, off
	scratch_load_b64 v[126:127], v93, off
	;; [unrolled: 1-line block ×32, first 2 shown]
	s_cmp_eq_u32 s6, 1
	s_waitcnt lgkmcnt(16)
	v_max_f64 v[190:191], v[0:1], v[0:1]
	s_cselect_b32 vcc_lo, -1, 0
	v_max_f64 v[192:193], v[2:3], v[2:3]
	s_waitcnt lgkmcnt(0)
	v_dual_cndmask_b32 v189, v65, v67 :: v_dual_cndmask_b32 v188, v64, v66
	v_max_f64 v[194:195], v[4:5], v[4:5]
	v_max_f64 v[196:197], v[6:7], v[6:7]
	;; [unrolled: 1-line block ×31, first 2 shown]
	s_mov_b64 s[6:7], 1
	s_and_b32 vcc_lo, exec_lo, s22
	s_mov_b32 s22, 0
	v_min_f64 v[190:191], v[190:191], v[188:189]
	v_min_f64 v[192:193], v[192:193], v[188:189]
	;; [unrolled: 1-line block ×32, first 2 shown]
	s_waitcnt vmcnt(31)
	v_add_f64 v[124:125], v[124:125], v[190:191]
	s_waitcnt vmcnt(30)
	v_add_f64 v[126:127], v[192:193], v[126:127]
	;; [unrolled: 2-line block ×32, first 2 shown]
	scratch_store_b64 v91, v[124:125], off
	scratch_store_b64 v93, v[126:127], off
	;; [unrolled: 1-line block ×32, first 2 shown]
	v_mov_b32_e32 v91, 0x100
	v_mov_b32_e32 v93, 0x108
	;; [unrolled: 1-line block ×32, first 2 shown]
	s_cbranch_vccnz .LBB129_19
; %bb.20:
	v_dual_mov_b32 v91, 0 :: v_dual_add_nc_u32 v60, 0x800, v86
	ds_load_2addr_b64 v[0:3], v86 offset0:2 offset1:18
	ds_load_2addr_b64 v[4:7], v86 offset0:34 offset1:50
	ds_load_2addr_b64 v[8:11], v86 offset0:66 offset1:82
	ds_load_2addr_b64 v[12:15], v86 offset0:98 offset1:114
	ds_load_2addr_b64 v[16:19], v86 offset0:130 offset1:146
	ds_load_2addr_b64 v[20:23], v86 offset0:162 offset1:178
	ds_load_2addr_b64 v[24:27], v86 offset0:194 offset1:210
	ds_load_2addr_b64 v[28:31], v86 offset0:226 offset1:242
	ds_load_2addr_b64 v[32:35], v60 offset0:2 offset1:18
	ds_load_2addr_b64 v[36:39], v60 offset0:34 offset1:50
	ds_load_2addr_b64 v[40:43], v60 offset0:66 offset1:82
	ds_load_2addr_b64 v[44:47], v60 offset0:98 offset1:114
	v_dual_mov_b32 v93, 8 :: v_dual_add_nc_u32 v64, 16, v90
	ds_load_2addr_b64 v[48:51], v60 offset0:130 offset1:146
	ds_load_2addr_b64 v[52:55], v60 offset0:162 offset1:178
	;; [unrolled: 1-line block ×4, first 2 shown]
	ds_load_2addr_stride64_b64 v[64:67], v64 offset1:4
	v_dual_mov_b32 v94, 16 :: v_dual_mov_b32 v95, 24
	v_dual_mov_b32 v96, 32 :: v_dual_mov_b32 v97, 40
	;; [unrolled: 1-line block ×4, first 2 shown]
	v_mov_b32_e32 v102, 0x50
	v_mov_b32_e32 v103, 0x58
	;; [unrolled: 1-line block ×22, first 2 shown]
	s_mov_b64 s[6:7], 0
	s_mov_b32 s22, -1
.LBB129_21:                             ; =>This Inner Loop Header: Depth=1
	scratch_load_b64 v[124:125], v91, off
	scratch_load_b64 v[126:127], v93, off
	;; [unrolled: 1-line block ×32, first 2 shown]
	s_cmp_eq_u32 s6, 1
	s_waitcnt lgkmcnt(16)
	v_max_f64 v[190:191], v[0:1], v[0:1]
	s_cselect_b32 vcc_lo, -1, 0
	v_max_f64 v[192:193], v[2:3], v[2:3]
	s_waitcnt lgkmcnt(0)
	v_dual_cndmask_b32 v189, v65, v67 :: v_dual_cndmask_b32 v188, v64, v66
	v_max_f64 v[194:195], v[4:5], v[4:5]
	v_max_f64 v[196:197], v[6:7], v[6:7]
	;; [unrolled: 1-line block ×31, first 2 shown]
	s_mov_b64 s[6:7], 1
	s_and_b32 vcc_lo, exec_lo, s22
	s_mov_b32 s22, 0
	v_min_f64 v[190:191], v[190:191], v[188:189]
	v_min_f64 v[192:193], v[192:193], v[188:189]
	;; [unrolled: 1-line block ×32, first 2 shown]
	s_waitcnt vmcnt(31)
	v_add_f64 v[124:125], v[124:125], v[190:191]
	s_waitcnt vmcnt(30)
	v_add_f64 v[126:127], v[192:193], v[126:127]
	;; [unrolled: 2-line block ×32, first 2 shown]
	scratch_store_b64 v91, v[124:125], off
	scratch_store_b64 v93, v[126:127], off
	;; [unrolled: 1-line block ×32, first 2 shown]
	v_mov_b32_e32 v91, 0x100
	v_mov_b32_e32 v93, 0x108
	;; [unrolled: 1-line block ×32, first 2 shown]
	s_cbranch_vccnz .LBB129_21
; %bb.22:
	v_dual_mov_b32 v91, 0 :: v_dual_add_nc_u32 v60, 0x800, v86
	ds_load_2addr_b64 v[0:3], v86 offset0:3 offset1:19
	ds_load_2addr_b64 v[4:7], v86 offset0:35 offset1:51
	;; [unrolled: 1-line block ×12, first 2 shown]
	v_dual_mov_b32 v93, 8 :: v_dual_add_nc_u32 v64, 24, v90
	ds_load_2addr_b64 v[48:51], v60 offset0:131 offset1:147
	ds_load_2addr_b64 v[52:55], v60 offset0:163 offset1:179
	;; [unrolled: 1-line block ×4, first 2 shown]
	ds_load_2addr_stride64_b64 v[64:67], v64 offset1:4
	v_dual_mov_b32 v94, 16 :: v_dual_mov_b32 v95, 24
	v_dual_mov_b32 v96, 32 :: v_dual_mov_b32 v97, 40
	;; [unrolled: 1-line block ×4, first 2 shown]
	v_mov_b32_e32 v102, 0x50
	v_mov_b32_e32 v103, 0x58
	;; [unrolled: 1-line block ×22, first 2 shown]
	s_mov_b64 s[6:7], 0
	s_mov_b32 s22, -1
.LBB129_23:                             ; =>This Inner Loop Header: Depth=1
	scratch_load_b64 v[124:125], v91, off
	scratch_load_b64 v[126:127], v93, off
	;; [unrolled: 1-line block ×32, first 2 shown]
	s_cmp_eq_u32 s6, 1
	s_waitcnt lgkmcnt(16)
	v_max_f64 v[190:191], v[0:1], v[0:1]
	s_cselect_b32 vcc_lo, -1, 0
	v_max_f64 v[192:193], v[2:3], v[2:3]
	s_waitcnt lgkmcnt(0)
	v_dual_cndmask_b32 v189, v65, v67 :: v_dual_cndmask_b32 v188, v64, v66
	v_max_f64 v[194:195], v[4:5], v[4:5]
	v_max_f64 v[196:197], v[6:7], v[6:7]
	;; [unrolled: 1-line block ×31, first 2 shown]
	s_mov_b64 s[6:7], 1
	s_and_b32 vcc_lo, exec_lo, s22
	s_mov_b32 s22, 0
	v_min_f64 v[190:191], v[190:191], v[188:189]
	v_min_f64 v[192:193], v[192:193], v[188:189]
	;; [unrolled: 1-line block ×32, first 2 shown]
	s_waitcnt vmcnt(31)
	v_add_f64 v[124:125], v[124:125], v[190:191]
	s_waitcnt vmcnt(30)
	v_add_f64 v[126:127], v[192:193], v[126:127]
	;; [unrolled: 2-line block ×32, first 2 shown]
	scratch_store_b64 v91, v[124:125], off
	scratch_store_b64 v93, v[126:127], off
	;; [unrolled: 1-line block ×32, first 2 shown]
	v_mov_b32_e32 v91, 0x100
	v_mov_b32_e32 v93, 0x108
	;; [unrolled: 1-line block ×32, first 2 shown]
	s_cbranch_vccnz .LBB129_23
; %bb.24:
	s_load_b32 s6, s[0:1], 0x8
	v_lshlrev_b32_e32 v0, 5, v78
	s_mov_b32 s22, 8
	s_delay_alu instid0(VALU_DEP_1)
	v_lshl_add_u32 v0, v83, 3, v0
	ds_store_2addr_stride64_b64 v0, v[70:71], v[72:73] offset0:8 offset1:12
	ds_store_2addr_stride64_b64 v92, v[74:75], v[76:77] offset0:24 offset1:28
	s_waitcnt lgkmcnt(0)
	s_waitcnt_vscnt null, 0x0
	s_barrier
	buffer_gl0_inv
	s_cmp_gt_i32 s6, 8
	s_cbranch_scc0 .LBB129_53
; %bb.25:
	v_or_b32_e32 v91, 0x1000, v0
	v_mad_i64_i32 v[0:1], null, v80, s3, 0
	v_mad_i64_i32 v[4:5], null, v79, s3, 0
	v_lshlrev_b64 v[2:3], 3, v[68:69]
	v_lshl_add_u32 v93, v81, 5, 0x1000
	v_add_nc_u32_e32 v92, 0x3000, v92
	v_lshl_add_u32 v94, v82, 5, 0x3000
	v_lshlrev_b64 v[69:70], 3, v[0:1]
	s_delay_alu instid0(VALU_DEP_4)
	v_dual_mov_b32 v68, 0 :: v_dual_add_nc_u32 v97, 0x800, v93
	v_add_co_u32 v95, vcc_lo, s20, v2
	v_lshlrev_b64 v[71:72], 3, v[4:5]
	v_add_co_ci_u32_e32 v96, vcc_lo, s21, v3, vcc_lo
	s_add_i32 s20, s6, -8
	s_mov_b32 s21, 0
	s_and_b32 s3, exec_lo, s26
.LBB129_26:                             ; =>This Loop Header: Depth=1
                                        ;     Child Loop BB129_32 Depth 2
                                        ;     Child Loop BB129_34 Depth 2
	;; [unrolled: 1-line block ×8, first 2 shown]
	s_and_b32 vcc_lo, exec_lo, s2
	s_cbranch_vccnz .LBB129_29
; %bb.27:                               ;   in Loop: Header=BB129_26 Depth=1
	v_add_nc_u32_e32 v4, s22, v83
	s_delay_alu instid0(VALU_DEP_1) | instskip(NEXT) | instid1(VALU_DEP_1)
	v_mad_u64_u32 v[0:1], null, v4, s19, 0
	v_mad_u64_u32 v[2:3], null, v4, s24, v[1:2]
	s_delay_alu instid0(VALU_DEP_1) | instskip(NEXT) | instid1(VALU_DEP_1)
	v_mov_b32_e32 v1, v2
	v_lshlrev_b64 v[0:1], 3, v[0:1]
	s_delay_alu instid0(VALU_DEP_1) | instskip(NEXT) | instid1(VALU_DEP_2)
	v_add_co_u32 v0, vcc_lo, v95, v0
	v_add_co_ci_u32_e32 v1, vcc_lo, v96, v1, vcc_lo
	s_clause 0x1
	flat_load_b64 v[2:3], v[0:1]
	flat_load_b64 v[0:1], v[0:1] offset:512
	s_waitcnt vmcnt(1) lgkmcnt(1)
	v_mul_f64 v[73:74], s[12:13], v[2:3]
	s_waitcnt vmcnt(0) lgkmcnt(0)
	v_mul_f64 v[75:76], s[12:13], v[0:1]
	s_and_b32 vcc_lo, exec_lo, s2
	s_mov_b64 s[6:7], 0
	s_cbranch_vccnz .LBB129_30
.LBB129_28:                             ;   in Loop: Header=BB129_26 Depth=1
	v_or_b32_e32 v67, s22, v84
	s_delay_alu instid0(VALU_DEP_1) | instskip(NEXT) | instid1(VALU_DEP_1)
	v_lshlrev_b64 v[0:1], 3, v[67:68]
	v_add_co_u32 v2, vcc_lo, s16, v0
	s_delay_alu instid0(VALU_DEP_2) | instskip(NEXT) | instid1(VALU_DEP_2)
	v_add_co_ci_u32_e32 v3, vcc_lo, s17, v1, vcc_lo
	v_add_co_u32 v0, vcc_lo, v2, v69
	s_delay_alu instid0(VALU_DEP_2)
	v_add_co_ci_u32_e32 v1, vcc_lo, v3, v70, vcc_lo
	v_add_co_u32 v2, vcc_lo, v2, v71
	v_add_co_ci_u32_e32 v3, vcc_lo, v3, v72, vcc_lo
	s_clause 0x1
	flat_load_b64 v[0:1], v[0:1]
	flat_load_b64 v[2:3], v[2:3]
	s_waitcnt vmcnt(1) lgkmcnt(1)
	v_mul_f64 v[77:78], s[12:13], v[0:1]
	s_waitcnt vmcnt(0) lgkmcnt(0)
	v_mul_f64 v[79:80], s[12:13], v[2:3]
	s_branch .LBB129_31
.LBB129_29:                             ;   in Loop: Header=BB129_26 Depth=1
	v_mov_b32_e32 v73, 0
	v_dual_mov_b32 v74, 0 :: v_dual_mov_b32 v75, 0
	v_mov_b32_e32 v76, 0
	s_and_b32 vcc_lo, exec_lo, s2
	s_mov_b64 s[6:7], 0
	s_cbranch_vccz .LBB129_28
.LBB129_30:                             ;   in Loop: Header=BB129_26 Depth=1
	v_mov_b32_e32 v77, 0
	v_dual_mov_b32 v78, 0 :: v_dual_mov_b32 v79, 0
	v_mov_b32_e32 v80, 0
.LBB129_31:                             ;   in Loop: Header=BB129_26 Depth=1
	ds_load_2addr_b64 v[0:3], v93 offset1:16
	ds_load_2addr_b64 v[4:7], v93 offset0:32 offset1:48
	ds_load_2addr_b64 v[8:11], v93 offset0:64 offset1:80
	;; [unrolled: 1-line block ×7, first 2 shown]
	ds_load_2addr_b64 v[32:35], v97 offset1:16
	ds_load_2addr_b64 v[36:39], v97 offset0:32 offset1:48
	ds_load_2addr_b64 v[40:43], v97 offset0:64 offset1:80
	;; [unrolled: 1-line block ×7, first 2 shown]
	ds_load_2addr_stride64_b64 v[64:67], v94 offset1:4
	v_dual_mov_b32 v129, 0 :: v_dual_mov_b32 v128, 8
	v_dual_mov_b32 v127, 16 :: v_dual_mov_b32 v126, 24
	v_dual_mov_b32 v125, 32 :: v_dual_mov_b32 v124, 40
	v_dual_mov_b32 v123, 48 :: v_dual_mov_b32 v122, 56
	v_dual_mov_b32 v121, 64 :: v_dual_mov_b32 v120, 0x48
	v_mov_b32_e32 v119, 0x50
	v_mov_b32_e32 v118, 0x58
	v_mov_b32_e32 v117, 0x60
	v_mov_b32_e32 v116, 0x68
	v_mov_b32_e32 v115, 0x70
	v_mov_b32_e32 v114, 0x78
	v_mov_b32_e32 v113, 0x80
	v_mov_b32_e32 v112, 0x88
	v_mov_b32_e32 v111, 0x90
	v_mov_b32_e32 v110, 0x98
	v_mov_b32_e32 v109, 0xa0
	v_mov_b32_e32 v108, 0xa8
	v_mov_b32_e32 v107, 0xb0
	v_mov_b32_e32 v106, 0xb8
	v_mov_b32_e32 v105, 0xc0
	v_mov_b32_e32 v104, 0xc8
	v_mov_b32_e32 v103, 0xd0
	v_mov_b32_e32 v102, 0xd8
	v_mov_b32_e32 v101, 0xe0
	v_mov_b32_e32 v100, 0xe8
	v_mov_b32_e32 v99, 0xf0
	v_mov_b32_e32 v98, 0xf8
	s_mov_b32 s23, -1
.LBB129_32:                             ;   Parent Loop BB129_26 Depth=1
                                        ; =>  This Inner Loop Header: Depth=2
	scratch_load_b64 v[134:135], v129, off
	s_cmp_eq_u32 s6, 1
	s_waitcnt lgkmcnt(16)
	v_max_f64 v[132:133], v[0:1], v[0:1]
	s_cselect_b32 vcc_lo, -1, 0
	s_mov_b64 s[6:7], 1
	s_waitcnt lgkmcnt(0)
	v_dual_cndmask_b32 v131, v65, v67 :: v_dual_cndmask_b32 v130, v64, v66
	s_and_b32 vcc_lo, exec_lo, s23
	s_mov_b32 s23, 0
	s_delay_alu instid0(VALU_DEP_1) | instskip(NEXT) | instid1(VALU_DEP_1)
	v_max_f64 v[130:131], v[130:131], v[130:131]
	v_min_f64 v[132:133], v[132:133], v[130:131]
	s_waitcnt vmcnt(0)
	s_delay_alu instid0(VALU_DEP_1) | instskip(SKIP_3) | instid1(VALU_DEP_1)
	v_add_f64 v[132:133], v[134:135], v[132:133]
	scratch_load_b64 v[134:135], v128, off
	scratch_store_b64 v129, v[132:133], off
	v_max_f64 v[132:133], v[2:3], v[2:3]
	v_min_f64 v[132:133], v[132:133], v[130:131]
	s_waitcnt vmcnt(0)
	s_delay_alu instid0(VALU_DEP_1) | instskip(SKIP_3) | instid1(VALU_DEP_1)
	v_add_f64 v[132:133], v[132:133], v[134:135]
	scratch_store_b64 v128, v[132:133], off
	scratch_load_b64 v[132:133], v127, off
	v_max_f64 v[128:129], v[4:5], v[4:5]
	v_min_f64 v[128:129], v[128:129], v[130:131]
	s_waitcnt vmcnt(0)
	s_delay_alu instid0(VALU_DEP_1) | instskip(SKIP_3) | instid1(VALU_DEP_1)
	v_add_f64 v[128:129], v[128:129], v[132:133]
	scratch_load_b64 v[132:133], v126, off
	scratch_store_b64 v127, v[128:129], off
	v_max_f64 v[127:128], v[6:7], v[6:7]
	v_min_f64 v[127:128], v[127:128], v[130:131]
	s_waitcnt vmcnt(0)
	s_delay_alu instid0(VALU_DEP_1) | instskip(SKIP_3) | instid1(VALU_DEP_1)
	v_add_f64 v[127:128], v[127:128], v[132:133]
	scratch_store_b64 v126, v[127:128], off
	scratch_load_b64 v[128:129], v125, off
	v_max_f64 v[126:127], v[8:9], v[8:9]
	v_min_f64 v[126:127], v[126:127], v[130:131]
	s_waitcnt vmcnt(0)
	s_delay_alu instid0(VALU_DEP_1) | instskip(SKIP_4) | instid1(VALU_DEP_1)
	v_add_f64 v[126:127], v[126:127], v[128:129]
	v_mov_b32_e32 v129, 0x100
	scratch_store_b64 v125, v[126:127], off
	scratch_load_b64 v[127:128], v124, off
	v_max_f64 v[125:126], v[10:11], v[10:11]
	v_min_f64 v[125:126], v[125:126], v[130:131]
	s_waitcnt vmcnt(0)
	s_delay_alu instid0(VALU_DEP_1) | instskip(SKIP_4) | instid1(VALU_DEP_1)
	v_add_f64 v[125:126], v[125:126], v[127:128]
	v_mov_b32_e32 v128, 0x108
	;; [unrolled: 8-line block ×27, first 2 shown]
	scratch_store_b64 v99, v[100:101], off
	scratch_load_b64 v[101:102], v98, off
	v_max_f64 v[99:100], v[62:63], v[62:63]
	v_min_f64 v[99:100], v[99:100], v[130:131]
	s_waitcnt vmcnt(0)
	s_delay_alu instid0(VALU_DEP_1)
	v_add_f64 v[99:100], v[99:100], v[101:102]
	v_mov_b32_e32 v102, 0x1d8
	v_mov_b32_e32 v101, 0x1e0
	scratch_store_b64 v98, v[99:100], off
	v_mov_b32_e32 v100, 0x1e8
	v_mov_b32_e32 v99, 0x1f0
	;; [unrolled: 1-line block ×3, first 2 shown]
	s_cbranch_vccnz .LBB129_32
; %bb.33:                               ;   in Loop: Header=BB129_26 Depth=1
	ds_load_2addr_b64 v[0:3], v93 offset0:1 offset1:17
	ds_load_2addr_b64 v[4:7], v93 offset0:33 offset1:49
	;; [unrolled: 1-line block ×12, first 2 shown]
	v_dual_mov_b32 v129, 0 :: v_dual_add_nc_u32 v64, 8, v94
	ds_load_2addr_b64 v[48:51], v97 offset0:129 offset1:145
	ds_load_2addr_b64 v[52:55], v97 offset0:161 offset1:177
	;; [unrolled: 1-line block ×4, first 2 shown]
	ds_load_2addr_stride64_b64 v[64:67], v64 offset1:4
	v_dual_mov_b32 v128, 8 :: v_dual_mov_b32 v127, 16
	v_dual_mov_b32 v126, 24 :: v_dual_mov_b32 v125, 32
	;; [unrolled: 1-line block ×4, first 2 shown]
	v_mov_b32_e32 v120, 0x48
	v_mov_b32_e32 v119, 0x50
	;; [unrolled: 1-line block ×23, first 2 shown]
	s_mov_b64 s[6:7], 0
	s_mov_b32 s23, -1
.LBB129_34:                             ;   Parent Loop BB129_26 Depth=1
                                        ; =>  This Inner Loop Header: Depth=2
	scratch_load_b64 v[134:135], v129, off
	s_cmp_eq_u32 s6, 1
	s_waitcnt lgkmcnt(16)
	v_max_f64 v[132:133], v[0:1], v[0:1]
	s_cselect_b32 vcc_lo, -1, 0
	s_mov_b64 s[6:7], 1
	s_waitcnt lgkmcnt(0)
	v_dual_cndmask_b32 v131, v65, v67 :: v_dual_cndmask_b32 v130, v64, v66
	s_and_b32 vcc_lo, exec_lo, s23
	s_mov_b32 s23, 0
	s_delay_alu instid0(VALU_DEP_1) | instskip(NEXT) | instid1(VALU_DEP_1)
	v_max_f64 v[130:131], v[130:131], v[130:131]
	v_min_f64 v[132:133], v[132:133], v[130:131]
	s_waitcnt vmcnt(0)
	s_delay_alu instid0(VALU_DEP_1) | instskip(SKIP_3) | instid1(VALU_DEP_1)
	v_add_f64 v[132:133], v[134:135], v[132:133]
	scratch_load_b64 v[134:135], v128, off
	scratch_store_b64 v129, v[132:133], off
	v_max_f64 v[132:133], v[2:3], v[2:3]
	v_min_f64 v[132:133], v[132:133], v[130:131]
	s_waitcnt vmcnt(0)
	s_delay_alu instid0(VALU_DEP_1) | instskip(SKIP_3) | instid1(VALU_DEP_1)
	v_add_f64 v[132:133], v[132:133], v[134:135]
	scratch_store_b64 v128, v[132:133], off
	scratch_load_b64 v[132:133], v127, off
	v_max_f64 v[128:129], v[4:5], v[4:5]
	v_min_f64 v[128:129], v[128:129], v[130:131]
	s_waitcnt vmcnt(0)
	s_delay_alu instid0(VALU_DEP_1) | instskip(SKIP_3) | instid1(VALU_DEP_1)
	v_add_f64 v[128:129], v[128:129], v[132:133]
	scratch_load_b64 v[132:133], v126, off
	scratch_store_b64 v127, v[128:129], off
	v_max_f64 v[127:128], v[6:7], v[6:7]
	v_min_f64 v[127:128], v[127:128], v[130:131]
	s_waitcnt vmcnt(0)
	s_delay_alu instid0(VALU_DEP_1) | instskip(SKIP_3) | instid1(VALU_DEP_1)
	v_add_f64 v[127:128], v[127:128], v[132:133]
	scratch_store_b64 v126, v[127:128], off
	scratch_load_b64 v[128:129], v125, off
	v_max_f64 v[126:127], v[8:9], v[8:9]
	v_min_f64 v[126:127], v[126:127], v[130:131]
	s_waitcnt vmcnt(0)
	s_delay_alu instid0(VALU_DEP_1) | instskip(SKIP_4) | instid1(VALU_DEP_1)
	v_add_f64 v[126:127], v[126:127], v[128:129]
	v_mov_b32_e32 v129, 0x100
	scratch_store_b64 v125, v[126:127], off
	scratch_load_b64 v[127:128], v124, off
	v_max_f64 v[125:126], v[10:11], v[10:11]
	v_min_f64 v[125:126], v[125:126], v[130:131]
	s_waitcnt vmcnt(0)
	s_delay_alu instid0(VALU_DEP_1) | instskip(SKIP_4) | instid1(VALU_DEP_1)
	v_add_f64 v[125:126], v[125:126], v[127:128]
	v_mov_b32_e32 v128, 0x108
	;; [unrolled: 8-line block ×27, first 2 shown]
	scratch_store_b64 v99, v[100:101], off
	scratch_load_b64 v[101:102], v98, off
	v_max_f64 v[99:100], v[62:63], v[62:63]
	v_min_f64 v[99:100], v[99:100], v[130:131]
	s_waitcnt vmcnt(0)
	s_delay_alu instid0(VALU_DEP_1)
	v_add_f64 v[99:100], v[99:100], v[101:102]
	v_mov_b32_e32 v102, 0x1d8
	v_mov_b32_e32 v101, 0x1e0
	scratch_store_b64 v98, v[99:100], off
	v_mov_b32_e32 v100, 0x1e8
	v_mov_b32_e32 v99, 0x1f0
	;; [unrolled: 1-line block ×3, first 2 shown]
	s_cbranch_vccnz .LBB129_34
; %bb.35:                               ;   in Loop: Header=BB129_26 Depth=1
	ds_load_2addr_b64 v[0:3], v93 offset0:2 offset1:18
	ds_load_2addr_b64 v[4:7], v93 offset0:34 offset1:50
	;; [unrolled: 1-line block ×12, first 2 shown]
	v_dual_mov_b32 v129, 0 :: v_dual_add_nc_u32 v64, 16, v94
	ds_load_2addr_b64 v[48:51], v97 offset0:130 offset1:146
	ds_load_2addr_b64 v[52:55], v97 offset0:162 offset1:178
	;; [unrolled: 1-line block ×4, first 2 shown]
	ds_load_2addr_stride64_b64 v[64:67], v64 offset1:4
	v_dual_mov_b32 v128, 8 :: v_dual_mov_b32 v127, 16
	v_dual_mov_b32 v126, 24 :: v_dual_mov_b32 v125, 32
	;; [unrolled: 1-line block ×4, first 2 shown]
	v_mov_b32_e32 v120, 0x48
	v_mov_b32_e32 v119, 0x50
	;; [unrolled: 1-line block ×23, first 2 shown]
	s_mov_b64 s[6:7], 0
	s_mov_b32 s23, -1
.LBB129_36:                             ;   Parent Loop BB129_26 Depth=1
                                        ; =>  This Inner Loop Header: Depth=2
	scratch_load_b64 v[134:135], v129, off
	s_cmp_eq_u32 s6, 1
	s_waitcnt lgkmcnt(16)
	v_max_f64 v[132:133], v[0:1], v[0:1]
	s_cselect_b32 vcc_lo, -1, 0
	s_mov_b64 s[6:7], 1
	s_waitcnt lgkmcnt(0)
	v_dual_cndmask_b32 v131, v65, v67 :: v_dual_cndmask_b32 v130, v64, v66
	s_and_b32 vcc_lo, exec_lo, s23
	s_mov_b32 s23, 0
	s_delay_alu instid0(VALU_DEP_1) | instskip(NEXT) | instid1(VALU_DEP_1)
	v_max_f64 v[130:131], v[130:131], v[130:131]
	v_min_f64 v[132:133], v[132:133], v[130:131]
	s_waitcnt vmcnt(0)
	s_delay_alu instid0(VALU_DEP_1) | instskip(SKIP_3) | instid1(VALU_DEP_1)
	v_add_f64 v[132:133], v[134:135], v[132:133]
	scratch_load_b64 v[134:135], v128, off
	scratch_store_b64 v129, v[132:133], off
	v_max_f64 v[132:133], v[2:3], v[2:3]
	v_min_f64 v[132:133], v[132:133], v[130:131]
	s_waitcnt vmcnt(0)
	s_delay_alu instid0(VALU_DEP_1) | instskip(SKIP_3) | instid1(VALU_DEP_1)
	v_add_f64 v[132:133], v[132:133], v[134:135]
	scratch_store_b64 v128, v[132:133], off
	scratch_load_b64 v[132:133], v127, off
	v_max_f64 v[128:129], v[4:5], v[4:5]
	v_min_f64 v[128:129], v[128:129], v[130:131]
	s_waitcnt vmcnt(0)
	s_delay_alu instid0(VALU_DEP_1) | instskip(SKIP_3) | instid1(VALU_DEP_1)
	v_add_f64 v[128:129], v[128:129], v[132:133]
	scratch_load_b64 v[132:133], v126, off
	scratch_store_b64 v127, v[128:129], off
	v_max_f64 v[127:128], v[6:7], v[6:7]
	v_min_f64 v[127:128], v[127:128], v[130:131]
	s_waitcnt vmcnt(0)
	s_delay_alu instid0(VALU_DEP_1) | instskip(SKIP_3) | instid1(VALU_DEP_1)
	v_add_f64 v[127:128], v[127:128], v[132:133]
	scratch_store_b64 v126, v[127:128], off
	scratch_load_b64 v[128:129], v125, off
	v_max_f64 v[126:127], v[8:9], v[8:9]
	v_min_f64 v[126:127], v[126:127], v[130:131]
	s_waitcnt vmcnt(0)
	s_delay_alu instid0(VALU_DEP_1) | instskip(SKIP_4) | instid1(VALU_DEP_1)
	v_add_f64 v[126:127], v[126:127], v[128:129]
	v_mov_b32_e32 v129, 0x100
	scratch_store_b64 v125, v[126:127], off
	scratch_load_b64 v[127:128], v124, off
	v_max_f64 v[125:126], v[10:11], v[10:11]
	v_min_f64 v[125:126], v[125:126], v[130:131]
	s_waitcnt vmcnt(0)
	s_delay_alu instid0(VALU_DEP_1) | instskip(SKIP_4) | instid1(VALU_DEP_1)
	v_add_f64 v[125:126], v[125:126], v[127:128]
	v_mov_b32_e32 v128, 0x108
	;; [unrolled: 8-line block ×27, first 2 shown]
	scratch_store_b64 v99, v[100:101], off
	scratch_load_b64 v[101:102], v98, off
	v_max_f64 v[99:100], v[62:63], v[62:63]
	v_min_f64 v[99:100], v[99:100], v[130:131]
	s_waitcnt vmcnt(0)
	s_delay_alu instid0(VALU_DEP_1)
	v_add_f64 v[99:100], v[99:100], v[101:102]
	v_mov_b32_e32 v102, 0x1d8
	v_mov_b32_e32 v101, 0x1e0
	scratch_store_b64 v98, v[99:100], off
	v_mov_b32_e32 v100, 0x1e8
	v_mov_b32_e32 v99, 0x1f0
	v_mov_b32_e32 v98, 0x1f8
	s_cbranch_vccnz .LBB129_36
; %bb.37:                               ;   in Loop: Header=BB129_26 Depth=1
	ds_load_2addr_b64 v[0:3], v93 offset0:3 offset1:19
	ds_load_2addr_b64 v[4:7], v93 offset0:35 offset1:51
	;; [unrolled: 1-line block ×12, first 2 shown]
	v_dual_mov_b32 v129, 0 :: v_dual_add_nc_u32 v64, 24, v94
	ds_load_2addr_b64 v[48:51], v97 offset0:131 offset1:147
	ds_load_2addr_b64 v[52:55], v97 offset0:163 offset1:179
	;; [unrolled: 1-line block ×4, first 2 shown]
	ds_load_2addr_stride64_b64 v[64:67], v64 offset1:4
	v_dual_mov_b32 v128, 8 :: v_dual_mov_b32 v127, 16
	v_dual_mov_b32 v126, 24 :: v_dual_mov_b32 v125, 32
	;; [unrolled: 1-line block ×4, first 2 shown]
	v_mov_b32_e32 v120, 0x48
	v_mov_b32_e32 v119, 0x50
	;; [unrolled: 1-line block ×23, first 2 shown]
	s_mov_b64 s[6:7], 0
	s_mov_b32 s23, -1
.LBB129_38:                             ;   Parent Loop BB129_26 Depth=1
                                        ; =>  This Inner Loop Header: Depth=2
	scratch_load_b64 v[134:135], v129, off
	s_cmp_eq_u32 s6, 1
	s_waitcnt lgkmcnt(16)
	v_max_f64 v[132:133], v[0:1], v[0:1]
	s_cselect_b32 vcc_lo, -1, 0
	s_mov_b64 s[6:7], 1
	s_waitcnt lgkmcnt(0)
	v_dual_cndmask_b32 v131, v65, v67 :: v_dual_cndmask_b32 v130, v64, v66
	s_and_b32 vcc_lo, exec_lo, s23
	s_mov_b32 s23, 0
	s_delay_alu instid0(VALU_DEP_1) | instskip(NEXT) | instid1(VALU_DEP_1)
	v_max_f64 v[130:131], v[130:131], v[130:131]
	v_min_f64 v[132:133], v[132:133], v[130:131]
	s_waitcnt vmcnt(0)
	s_delay_alu instid0(VALU_DEP_1) | instskip(SKIP_3) | instid1(VALU_DEP_1)
	v_add_f64 v[132:133], v[134:135], v[132:133]
	scratch_load_b64 v[134:135], v128, off
	scratch_store_b64 v129, v[132:133], off
	v_max_f64 v[132:133], v[2:3], v[2:3]
	v_min_f64 v[132:133], v[132:133], v[130:131]
	s_waitcnt vmcnt(0)
	s_delay_alu instid0(VALU_DEP_1) | instskip(SKIP_3) | instid1(VALU_DEP_1)
	v_add_f64 v[132:133], v[132:133], v[134:135]
	scratch_store_b64 v128, v[132:133], off
	scratch_load_b64 v[132:133], v127, off
	v_max_f64 v[128:129], v[4:5], v[4:5]
	v_min_f64 v[128:129], v[128:129], v[130:131]
	s_waitcnt vmcnt(0)
	s_delay_alu instid0(VALU_DEP_1) | instskip(SKIP_3) | instid1(VALU_DEP_1)
	v_add_f64 v[128:129], v[128:129], v[132:133]
	scratch_load_b64 v[132:133], v126, off
	scratch_store_b64 v127, v[128:129], off
	v_max_f64 v[127:128], v[6:7], v[6:7]
	v_min_f64 v[127:128], v[127:128], v[130:131]
	s_waitcnt vmcnt(0)
	s_delay_alu instid0(VALU_DEP_1) | instskip(SKIP_3) | instid1(VALU_DEP_1)
	v_add_f64 v[127:128], v[127:128], v[132:133]
	scratch_store_b64 v126, v[127:128], off
	scratch_load_b64 v[128:129], v125, off
	v_max_f64 v[126:127], v[8:9], v[8:9]
	v_min_f64 v[126:127], v[126:127], v[130:131]
	s_waitcnt vmcnt(0)
	s_delay_alu instid0(VALU_DEP_1) | instskip(SKIP_4) | instid1(VALU_DEP_1)
	v_add_f64 v[126:127], v[126:127], v[128:129]
	v_mov_b32_e32 v129, 0x100
	scratch_store_b64 v125, v[126:127], off
	scratch_load_b64 v[127:128], v124, off
	v_max_f64 v[125:126], v[10:11], v[10:11]
	v_min_f64 v[125:126], v[125:126], v[130:131]
	s_waitcnt vmcnt(0)
	s_delay_alu instid0(VALU_DEP_1) | instskip(SKIP_4) | instid1(VALU_DEP_1)
	v_add_f64 v[125:126], v[125:126], v[127:128]
	v_mov_b32_e32 v128, 0x108
	scratch_store_b64 v124, v[125:126], off
	scratch_load_b64 v[126:127], v123, off
	v_max_f64 v[124:125], v[12:13], v[12:13]
	v_min_f64 v[124:125], v[124:125], v[130:131]
	s_waitcnt vmcnt(0)
	s_delay_alu instid0(VALU_DEP_1) | instskip(SKIP_4) | instid1(VALU_DEP_1)
	v_add_f64 v[124:125], v[124:125], v[126:127]
	v_mov_b32_e32 v127, 0x110
	scratch_store_b64 v123, v[124:125], off
	scratch_load_b64 v[125:126], v122, off
	v_max_f64 v[123:124], v[14:15], v[14:15]
	v_min_f64 v[123:124], v[123:124], v[130:131]
	s_waitcnt vmcnt(0)
	s_delay_alu instid0(VALU_DEP_1) | instskip(SKIP_4) | instid1(VALU_DEP_1)
	v_add_f64 v[123:124], v[123:124], v[125:126]
	v_mov_b32_e32 v126, 0x118
	scratch_store_b64 v122, v[123:124], off
	scratch_load_b64 v[124:125], v121, off
	v_max_f64 v[122:123], v[16:17], v[16:17]
	v_min_f64 v[122:123], v[122:123], v[130:131]
	s_waitcnt vmcnt(0)
	s_delay_alu instid0(VALU_DEP_1) | instskip(SKIP_4) | instid1(VALU_DEP_1)
	v_add_f64 v[122:123], v[122:123], v[124:125]
	v_mov_b32_e32 v125, 0x120
	scratch_store_b64 v121, v[122:123], off
	scratch_load_b64 v[123:124], v120, off
	v_max_f64 v[121:122], v[18:19], v[18:19]
	v_min_f64 v[121:122], v[121:122], v[130:131]
	s_waitcnt vmcnt(0)
	s_delay_alu instid0(VALU_DEP_1) | instskip(SKIP_4) | instid1(VALU_DEP_1)
	v_add_f64 v[121:122], v[121:122], v[123:124]
	v_mov_b32_e32 v124, 0x128
	scratch_store_b64 v120, v[121:122], off
	scratch_load_b64 v[122:123], v119, off
	v_max_f64 v[120:121], v[20:21], v[20:21]
	v_min_f64 v[120:121], v[120:121], v[130:131]
	s_waitcnt vmcnt(0)
	s_delay_alu instid0(VALU_DEP_1) | instskip(SKIP_4) | instid1(VALU_DEP_1)
	v_add_f64 v[120:121], v[120:121], v[122:123]
	v_mov_b32_e32 v123, 0x130
	scratch_store_b64 v119, v[120:121], off
	scratch_load_b64 v[121:122], v118, off
	v_max_f64 v[119:120], v[22:23], v[22:23]
	v_min_f64 v[119:120], v[119:120], v[130:131]
	s_waitcnt vmcnt(0)
	s_delay_alu instid0(VALU_DEP_1) | instskip(SKIP_4) | instid1(VALU_DEP_1)
	v_add_f64 v[119:120], v[119:120], v[121:122]
	v_mov_b32_e32 v122, 0x138
	scratch_store_b64 v118, v[119:120], off
	scratch_load_b64 v[120:121], v117, off
	v_max_f64 v[118:119], v[24:25], v[24:25]
	v_min_f64 v[118:119], v[118:119], v[130:131]
	s_waitcnt vmcnt(0)
	s_delay_alu instid0(VALU_DEP_1) | instskip(SKIP_4) | instid1(VALU_DEP_1)
	v_add_f64 v[118:119], v[118:119], v[120:121]
	v_mov_b32_e32 v121, 0x140
	scratch_store_b64 v117, v[118:119], off
	scratch_load_b64 v[119:120], v116, off
	v_max_f64 v[117:118], v[26:27], v[26:27]
	v_min_f64 v[117:118], v[117:118], v[130:131]
	s_waitcnt vmcnt(0)
	s_delay_alu instid0(VALU_DEP_1) | instskip(SKIP_4) | instid1(VALU_DEP_1)
	v_add_f64 v[117:118], v[117:118], v[119:120]
	v_mov_b32_e32 v120, 0x148
	scratch_store_b64 v116, v[117:118], off
	scratch_load_b64 v[118:119], v115, off
	v_max_f64 v[116:117], v[28:29], v[28:29]
	v_min_f64 v[116:117], v[116:117], v[130:131]
	s_waitcnt vmcnt(0)
	s_delay_alu instid0(VALU_DEP_1) | instskip(SKIP_4) | instid1(VALU_DEP_1)
	v_add_f64 v[116:117], v[116:117], v[118:119]
	v_mov_b32_e32 v119, 0x150
	scratch_store_b64 v115, v[116:117], off
	scratch_load_b64 v[117:118], v114, off
	v_max_f64 v[115:116], v[30:31], v[30:31]
	v_min_f64 v[115:116], v[115:116], v[130:131]
	s_waitcnt vmcnt(0)
	s_delay_alu instid0(VALU_DEP_1) | instskip(SKIP_4) | instid1(VALU_DEP_1)
	v_add_f64 v[115:116], v[115:116], v[117:118]
	v_mov_b32_e32 v118, 0x158
	scratch_store_b64 v114, v[115:116], off
	scratch_load_b64 v[116:117], v113, off
	v_max_f64 v[114:115], v[32:33], v[32:33]
	v_min_f64 v[114:115], v[114:115], v[130:131]
	s_waitcnt vmcnt(0)
	s_delay_alu instid0(VALU_DEP_1) | instskip(SKIP_4) | instid1(VALU_DEP_1)
	v_add_f64 v[114:115], v[114:115], v[116:117]
	v_mov_b32_e32 v117, 0x160
	scratch_store_b64 v113, v[114:115], off
	scratch_load_b64 v[115:116], v112, off
	v_max_f64 v[113:114], v[34:35], v[34:35]
	v_min_f64 v[113:114], v[113:114], v[130:131]
	s_waitcnt vmcnt(0)
	s_delay_alu instid0(VALU_DEP_1) | instskip(SKIP_4) | instid1(VALU_DEP_1)
	v_add_f64 v[113:114], v[113:114], v[115:116]
	v_mov_b32_e32 v116, 0x168
	scratch_store_b64 v112, v[113:114], off
	scratch_load_b64 v[114:115], v111, off
	v_max_f64 v[112:113], v[36:37], v[36:37]
	v_min_f64 v[112:113], v[112:113], v[130:131]
	s_waitcnt vmcnt(0)
	s_delay_alu instid0(VALU_DEP_1) | instskip(SKIP_4) | instid1(VALU_DEP_1)
	v_add_f64 v[112:113], v[112:113], v[114:115]
	v_mov_b32_e32 v115, 0x170
	scratch_store_b64 v111, v[112:113], off
	scratch_load_b64 v[113:114], v110, off
	v_max_f64 v[111:112], v[38:39], v[38:39]
	v_min_f64 v[111:112], v[111:112], v[130:131]
	s_waitcnt vmcnt(0)
	s_delay_alu instid0(VALU_DEP_1) | instskip(SKIP_4) | instid1(VALU_DEP_1)
	v_add_f64 v[111:112], v[111:112], v[113:114]
	v_mov_b32_e32 v114, 0x178
	scratch_store_b64 v110, v[111:112], off
	scratch_load_b64 v[112:113], v109, off
	v_max_f64 v[110:111], v[40:41], v[40:41]
	v_min_f64 v[110:111], v[110:111], v[130:131]
	s_waitcnt vmcnt(0)
	s_delay_alu instid0(VALU_DEP_1) | instskip(SKIP_4) | instid1(VALU_DEP_1)
	v_add_f64 v[110:111], v[110:111], v[112:113]
	v_mov_b32_e32 v113, 0x180
	scratch_store_b64 v109, v[110:111], off
	scratch_load_b64 v[111:112], v108, off
	v_max_f64 v[109:110], v[42:43], v[42:43]
	v_min_f64 v[109:110], v[109:110], v[130:131]
	s_waitcnt vmcnt(0)
	s_delay_alu instid0(VALU_DEP_1) | instskip(SKIP_4) | instid1(VALU_DEP_1)
	v_add_f64 v[109:110], v[109:110], v[111:112]
	v_mov_b32_e32 v112, 0x188
	scratch_store_b64 v108, v[109:110], off
	scratch_load_b64 v[110:111], v107, off
	v_max_f64 v[108:109], v[44:45], v[44:45]
	v_min_f64 v[108:109], v[108:109], v[130:131]
	s_waitcnt vmcnt(0)
	s_delay_alu instid0(VALU_DEP_1) | instskip(SKIP_4) | instid1(VALU_DEP_1)
	v_add_f64 v[108:109], v[108:109], v[110:111]
	v_mov_b32_e32 v111, 0x190
	scratch_store_b64 v107, v[108:109], off
	scratch_load_b64 v[109:110], v106, off
	v_max_f64 v[107:108], v[46:47], v[46:47]
	v_min_f64 v[107:108], v[107:108], v[130:131]
	s_waitcnt vmcnt(0)
	s_delay_alu instid0(VALU_DEP_1) | instskip(SKIP_4) | instid1(VALU_DEP_1)
	v_add_f64 v[107:108], v[107:108], v[109:110]
	v_mov_b32_e32 v110, 0x198
	scratch_store_b64 v106, v[107:108], off
	scratch_load_b64 v[108:109], v105, off
	v_max_f64 v[106:107], v[48:49], v[48:49]
	v_min_f64 v[106:107], v[106:107], v[130:131]
	s_waitcnt vmcnt(0)
	s_delay_alu instid0(VALU_DEP_1) | instskip(SKIP_4) | instid1(VALU_DEP_1)
	v_add_f64 v[106:107], v[106:107], v[108:109]
	v_mov_b32_e32 v109, 0x1a0
	scratch_store_b64 v105, v[106:107], off
	scratch_load_b64 v[107:108], v104, off
	v_max_f64 v[105:106], v[50:51], v[50:51]
	v_min_f64 v[105:106], v[105:106], v[130:131]
	s_waitcnt vmcnt(0)
	s_delay_alu instid0(VALU_DEP_1) | instskip(SKIP_4) | instid1(VALU_DEP_1)
	v_add_f64 v[105:106], v[105:106], v[107:108]
	v_mov_b32_e32 v108, 0x1a8
	scratch_store_b64 v104, v[105:106], off
	scratch_load_b64 v[106:107], v103, off
	v_max_f64 v[104:105], v[52:53], v[52:53]
	v_min_f64 v[104:105], v[104:105], v[130:131]
	s_waitcnt vmcnt(0)
	s_delay_alu instid0(VALU_DEP_1) | instskip(SKIP_4) | instid1(VALU_DEP_1)
	v_add_f64 v[104:105], v[104:105], v[106:107]
	v_mov_b32_e32 v107, 0x1b0
	scratch_store_b64 v103, v[104:105], off
	scratch_load_b64 v[105:106], v102, off
	v_max_f64 v[103:104], v[54:55], v[54:55]
	v_min_f64 v[103:104], v[103:104], v[130:131]
	s_waitcnt vmcnt(0)
	s_delay_alu instid0(VALU_DEP_1) | instskip(SKIP_4) | instid1(VALU_DEP_1)
	v_add_f64 v[103:104], v[103:104], v[105:106]
	v_mov_b32_e32 v106, 0x1b8
	scratch_store_b64 v102, v[103:104], off
	scratch_load_b64 v[104:105], v101, off
	v_max_f64 v[102:103], v[56:57], v[56:57]
	v_min_f64 v[102:103], v[102:103], v[130:131]
	s_waitcnt vmcnt(0)
	s_delay_alu instid0(VALU_DEP_1) | instskip(SKIP_4) | instid1(VALU_DEP_1)
	v_add_f64 v[102:103], v[102:103], v[104:105]
	v_mov_b32_e32 v105, 0x1c0
	scratch_store_b64 v101, v[102:103], off
	scratch_load_b64 v[103:104], v100, off
	v_max_f64 v[101:102], v[58:59], v[58:59]
	v_min_f64 v[101:102], v[101:102], v[130:131]
	s_waitcnt vmcnt(0)
	s_delay_alu instid0(VALU_DEP_1) | instskip(SKIP_4) | instid1(VALU_DEP_1)
	v_add_f64 v[101:102], v[101:102], v[103:104]
	v_mov_b32_e32 v104, 0x1c8
	scratch_store_b64 v100, v[101:102], off
	scratch_load_b64 v[102:103], v99, off
	v_max_f64 v[100:101], v[60:61], v[60:61]
	v_min_f64 v[100:101], v[100:101], v[130:131]
	s_waitcnt vmcnt(0)
	s_delay_alu instid0(VALU_DEP_1) | instskip(SKIP_4) | instid1(VALU_DEP_1)
	v_add_f64 v[100:101], v[100:101], v[102:103]
	v_mov_b32_e32 v103, 0x1d0
	scratch_store_b64 v99, v[100:101], off
	scratch_load_b64 v[101:102], v98, off
	v_max_f64 v[99:100], v[62:63], v[62:63]
	v_min_f64 v[99:100], v[99:100], v[130:131]
	s_waitcnt vmcnt(0)
	s_delay_alu instid0(VALU_DEP_1)
	v_add_f64 v[99:100], v[99:100], v[101:102]
	v_mov_b32_e32 v102, 0x1d8
	v_mov_b32_e32 v101, 0x1e0
	scratch_store_b64 v98, v[99:100], off
	v_mov_b32_e32 v100, 0x1e8
	v_mov_b32_e32 v99, 0x1f0
	;; [unrolled: 1-line block ×3, first 2 shown]
	s_cbranch_vccnz .LBB129_38
; %bb.39:                               ;   in Loop: Header=BB129_26 Depth=1
	s_mov_b32 vcc_lo, s3
	ds_store_2addr_stride64_b64 v87, v[73:74], v[75:76] offset1:4
	ds_store_2addr_stride64_b64 v88, v[77:78], v[79:80] offset1:4
	s_waitcnt lgkmcnt(0)
	s_waitcnt_vscnt null, 0x0
	s_barrier
	buffer_gl0_inv
	s_cbranch_vccz .LBB129_42
; %bb.40:                               ;   in Loop: Header=BB129_26 Depth=1
	v_add_nc_u32_e32 v4, s22, v85
	s_delay_alu instid0(VALU_DEP_1) | instskip(NEXT) | instid1(VALU_DEP_1)
	v_mad_u64_u32 v[0:1], null, v4, s19, 0
	v_mad_u64_u32 v[2:3], null, v4, s24, v[1:2]
	s_delay_alu instid0(VALU_DEP_1) | instskip(NEXT) | instid1(VALU_DEP_1)
	v_mov_b32_e32 v1, v2
	v_lshlrev_b64 v[0:1], 3, v[0:1]
	s_delay_alu instid0(VALU_DEP_1) | instskip(NEXT) | instid1(VALU_DEP_2)
	v_add_co_u32 v0, vcc_lo, v95, v0
	v_add_co_ci_u32_e32 v1, vcc_lo, v96, v1, vcc_lo
	s_clause 0x1
	flat_load_b64 v[2:3], v[0:1]
	flat_load_b64 v[0:1], v[0:1] offset:512
	s_waitcnt vmcnt(1) lgkmcnt(1)
	v_mul_f64 v[73:74], s[12:13], v[2:3]
	s_waitcnt vmcnt(0) lgkmcnt(0)
	v_mul_f64 v[75:76], s[12:13], v[0:1]
	s_and_b32 vcc_lo, exec_lo, s2
	s_mov_b64 s[6:7], 0
	s_cbranch_vccnz .LBB129_43
.LBB129_41:                             ;   in Loop: Header=BB129_26 Depth=1
	v_or_b32_e32 v67, s22, v84
	s_delay_alu instid0(VALU_DEP_1) | instskip(NEXT) | instid1(VALU_DEP_1)
	v_lshlrev_b64 v[0:1], 3, v[67:68]
	v_add_co_u32 v2, vcc_lo, s16, v0
	s_delay_alu instid0(VALU_DEP_2) | instskip(NEXT) | instid1(VALU_DEP_2)
	v_add_co_ci_u32_e32 v3, vcc_lo, s17, v1, vcc_lo
	v_add_co_u32 v0, vcc_lo, v2, v69
	s_delay_alu instid0(VALU_DEP_2)
	v_add_co_ci_u32_e32 v1, vcc_lo, v3, v70, vcc_lo
	v_add_co_u32 v2, vcc_lo, v2, v71
	v_add_co_ci_u32_e32 v3, vcc_lo, v3, v72, vcc_lo
	s_clause 0x1
	flat_load_b64 v[0:1], v[0:1] offset:32
	flat_load_b64 v[2:3], v[2:3] offset:32
	s_waitcnt vmcnt(1) lgkmcnt(1)
	v_mul_f64 v[77:78], s[12:13], v[0:1]
	s_waitcnt vmcnt(0) lgkmcnt(0)
	v_mul_f64 v[79:80], s[12:13], v[2:3]
	s_branch .LBB129_44
.LBB129_42:                             ;   in Loop: Header=BB129_26 Depth=1
	v_mov_b32_e32 v73, 0
	v_dual_mov_b32 v74, 0 :: v_dual_mov_b32 v75, 0
	v_mov_b32_e32 v76, 0
	s_and_b32 vcc_lo, exec_lo, s2
	s_mov_b64 s[6:7], 0
	s_cbranch_vccz .LBB129_41
.LBB129_43:                             ;   in Loop: Header=BB129_26 Depth=1
	v_mov_b32_e32 v77, 0
	v_dual_mov_b32 v78, 0 :: v_dual_mov_b32 v79, 0
	v_mov_b32_e32 v80, 0
.LBB129_44:                             ;   in Loop: Header=BB129_26 Depth=1
	v_dual_mov_b32 v129, 8 :: v_dual_add_nc_u32 v98, 0x800, v86
	ds_load_2addr_b64 v[0:3], v86 offset1:16
	ds_load_2addr_b64 v[4:7], v86 offset0:32 offset1:48
	ds_load_2addr_b64 v[8:11], v86 offset0:64 offset1:80
	;; [unrolled: 1-line block ×7, first 2 shown]
	ds_load_2addr_b64 v[32:35], v98 offset1:16
	ds_load_2addr_b64 v[36:39], v98 offset0:32 offset1:48
	ds_load_2addr_b64 v[40:43], v98 offset0:64 offset1:80
	;; [unrolled: 1-line block ×7, first 2 shown]
	ds_load_2addr_stride64_b64 v[64:67], v90 offset1:4
	v_dual_mov_b32 v130, 0 :: v_dual_mov_b32 v127, 24
	v_dual_mov_b32 v128, 16 :: v_dual_mov_b32 v125, 40
	;; [unrolled: 1-line block ×5, first 2 shown]
	v_mov_b32_e32 v120, 0x50
	v_mov_b32_e32 v118, 0x60
	;; [unrolled: 1-line block ×21, first 2 shown]
	s_mov_b32 s23, -1
.LBB129_45:                             ;   Parent Loop BB129_26 Depth=1
                                        ; =>  This Inner Loop Header: Depth=2
	scratch_load_b64 v[135:136], v130, off
	s_cmp_eq_u32 s6, 1
	s_waitcnt lgkmcnt(16)
	v_max_f64 v[133:134], v[0:1], v[0:1]
	s_cselect_b32 vcc_lo, -1, 0
	s_mov_b64 s[6:7], 1
	s_waitcnt lgkmcnt(0)
	v_dual_cndmask_b32 v132, v65, v67 :: v_dual_cndmask_b32 v131, v64, v66
	s_and_b32 vcc_lo, exec_lo, s23
	s_mov_b32 s23, 0
	s_delay_alu instid0(VALU_DEP_1) | instskip(NEXT) | instid1(VALU_DEP_1)
	v_max_f64 v[131:132], v[131:132], v[131:132]
	v_min_f64 v[133:134], v[133:134], v[131:132]
	s_waitcnt vmcnt(0)
	s_delay_alu instid0(VALU_DEP_1) | instskip(SKIP_3) | instid1(VALU_DEP_1)
	v_add_f64 v[133:134], v[135:136], v[133:134]
	scratch_load_b64 v[135:136], v129, off
	scratch_store_b64 v130, v[133:134], off
	v_max_f64 v[133:134], v[2:3], v[2:3]
	v_min_f64 v[133:134], v[133:134], v[131:132]
	s_waitcnt vmcnt(0)
	s_delay_alu instid0(VALU_DEP_1) | instskip(SKIP_3) | instid1(VALU_DEP_1)
	v_add_f64 v[133:134], v[133:134], v[135:136]
	scratch_store_b64 v129, v[133:134], off
	scratch_load_b64 v[133:134], v128, off
	v_max_f64 v[129:130], v[4:5], v[4:5]
	v_min_f64 v[129:130], v[129:130], v[131:132]
	s_waitcnt vmcnt(0)
	s_delay_alu instid0(VALU_DEP_1) | instskip(SKIP_3) | instid1(VALU_DEP_1)
	v_add_f64 v[129:130], v[129:130], v[133:134]
	scratch_load_b64 v[133:134], v127, off
	scratch_store_b64 v128, v[129:130], off
	v_max_f64 v[128:129], v[6:7], v[6:7]
	v_min_f64 v[128:129], v[128:129], v[131:132]
	s_waitcnt vmcnt(0)
	s_delay_alu instid0(VALU_DEP_1) | instskip(SKIP_3) | instid1(VALU_DEP_1)
	v_add_f64 v[128:129], v[128:129], v[133:134]
	scratch_store_b64 v127, v[128:129], off
	scratch_load_b64 v[129:130], v126, off
	v_max_f64 v[127:128], v[8:9], v[8:9]
	v_min_f64 v[127:128], v[127:128], v[131:132]
	s_waitcnt vmcnt(0)
	s_delay_alu instid0(VALU_DEP_1) | instskip(SKIP_4) | instid1(VALU_DEP_1)
	v_add_f64 v[127:128], v[127:128], v[129:130]
	v_mov_b32_e32 v130, 0x100
	scratch_store_b64 v126, v[127:128], off
	scratch_load_b64 v[128:129], v125, off
	v_max_f64 v[126:127], v[10:11], v[10:11]
	v_min_f64 v[126:127], v[126:127], v[131:132]
	s_waitcnt vmcnt(0)
	s_delay_alu instid0(VALU_DEP_1) | instskip(SKIP_4) | instid1(VALU_DEP_1)
	v_add_f64 v[126:127], v[126:127], v[128:129]
	v_mov_b32_e32 v129, 0x108
	;; [unrolled: 8-line block ×27, first 2 shown]
	scratch_store_b64 v100, v[101:102], off
	scratch_load_b64 v[102:103], v99, off
	v_max_f64 v[100:101], v[62:63], v[62:63]
	v_min_f64 v[100:101], v[100:101], v[131:132]
	s_waitcnt vmcnt(0)
	s_delay_alu instid0(VALU_DEP_1)
	v_add_f64 v[100:101], v[100:101], v[102:103]
	v_mov_b32_e32 v103, 0x1d8
	v_mov_b32_e32 v102, 0x1e0
	scratch_store_b64 v99, v[100:101], off
	v_mov_b32_e32 v101, 0x1e8
	v_mov_b32_e32 v100, 0x1f0
	;; [unrolled: 1-line block ×3, first 2 shown]
	s_cbranch_vccnz .LBB129_45
; %bb.46:                               ;   in Loop: Header=BB129_26 Depth=1
	ds_load_2addr_b64 v[0:3], v86 offset0:1 offset1:17
	ds_load_2addr_b64 v[4:7], v86 offset0:33 offset1:49
	;; [unrolled: 1-line block ×12, first 2 shown]
	v_dual_mov_b32 v129, 8 :: v_dual_add_nc_u32 v64, 8, v90
	ds_load_2addr_b64 v[48:51], v98 offset0:129 offset1:145
	ds_load_2addr_b64 v[52:55], v98 offset0:161 offset1:177
	;; [unrolled: 1-line block ×4, first 2 shown]
	ds_load_2addr_stride64_b64 v[64:67], v64 offset1:4
	v_dual_mov_b32 v130, 0 :: v_dual_mov_b32 v127, 24
	v_dual_mov_b32 v128, 16 :: v_dual_mov_b32 v125, 40
	;; [unrolled: 1-line block ×5, first 2 shown]
	v_mov_b32_e32 v120, 0x50
	v_mov_b32_e32 v118, 0x60
	;; [unrolled: 1-line block ×21, first 2 shown]
	s_mov_b64 s[6:7], 0
	s_mov_b32 s23, -1
.LBB129_47:                             ;   Parent Loop BB129_26 Depth=1
                                        ; =>  This Inner Loop Header: Depth=2
	scratch_load_b64 v[135:136], v130, off
	s_cmp_eq_u32 s6, 1
	s_waitcnt lgkmcnt(16)
	v_max_f64 v[133:134], v[0:1], v[0:1]
	s_cselect_b32 vcc_lo, -1, 0
	s_mov_b64 s[6:7], 1
	s_waitcnt lgkmcnt(0)
	v_dual_cndmask_b32 v132, v65, v67 :: v_dual_cndmask_b32 v131, v64, v66
	s_and_b32 vcc_lo, exec_lo, s23
	s_mov_b32 s23, 0
	s_delay_alu instid0(VALU_DEP_1) | instskip(NEXT) | instid1(VALU_DEP_1)
	v_max_f64 v[131:132], v[131:132], v[131:132]
	v_min_f64 v[133:134], v[133:134], v[131:132]
	s_waitcnt vmcnt(0)
	s_delay_alu instid0(VALU_DEP_1) | instskip(SKIP_3) | instid1(VALU_DEP_1)
	v_add_f64 v[133:134], v[135:136], v[133:134]
	scratch_load_b64 v[135:136], v129, off
	scratch_store_b64 v130, v[133:134], off
	v_max_f64 v[133:134], v[2:3], v[2:3]
	v_min_f64 v[133:134], v[133:134], v[131:132]
	s_waitcnt vmcnt(0)
	s_delay_alu instid0(VALU_DEP_1) | instskip(SKIP_3) | instid1(VALU_DEP_1)
	v_add_f64 v[133:134], v[133:134], v[135:136]
	scratch_store_b64 v129, v[133:134], off
	scratch_load_b64 v[133:134], v128, off
	v_max_f64 v[129:130], v[4:5], v[4:5]
	v_min_f64 v[129:130], v[129:130], v[131:132]
	s_waitcnt vmcnt(0)
	s_delay_alu instid0(VALU_DEP_1) | instskip(SKIP_3) | instid1(VALU_DEP_1)
	v_add_f64 v[129:130], v[129:130], v[133:134]
	scratch_load_b64 v[133:134], v127, off
	scratch_store_b64 v128, v[129:130], off
	v_max_f64 v[128:129], v[6:7], v[6:7]
	v_min_f64 v[128:129], v[128:129], v[131:132]
	s_waitcnt vmcnt(0)
	s_delay_alu instid0(VALU_DEP_1) | instskip(SKIP_3) | instid1(VALU_DEP_1)
	v_add_f64 v[128:129], v[128:129], v[133:134]
	scratch_store_b64 v127, v[128:129], off
	scratch_load_b64 v[129:130], v126, off
	v_max_f64 v[127:128], v[8:9], v[8:9]
	v_min_f64 v[127:128], v[127:128], v[131:132]
	s_waitcnt vmcnt(0)
	s_delay_alu instid0(VALU_DEP_1) | instskip(SKIP_4) | instid1(VALU_DEP_1)
	v_add_f64 v[127:128], v[127:128], v[129:130]
	v_mov_b32_e32 v130, 0x100
	scratch_store_b64 v126, v[127:128], off
	scratch_load_b64 v[128:129], v125, off
	v_max_f64 v[126:127], v[10:11], v[10:11]
	v_min_f64 v[126:127], v[126:127], v[131:132]
	s_waitcnt vmcnt(0)
	s_delay_alu instid0(VALU_DEP_1) | instskip(SKIP_4) | instid1(VALU_DEP_1)
	v_add_f64 v[126:127], v[126:127], v[128:129]
	v_mov_b32_e32 v129, 0x108
	scratch_store_b64 v125, v[126:127], off
	scratch_load_b64 v[127:128], v124, off
	v_max_f64 v[125:126], v[12:13], v[12:13]
	v_min_f64 v[125:126], v[125:126], v[131:132]
	s_waitcnt vmcnt(0)
	s_delay_alu instid0(VALU_DEP_1) | instskip(SKIP_4) | instid1(VALU_DEP_1)
	v_add_f64 v[125:126], v[125:126], v[127:128]
	v_mov_b32_e32 v128, 0x110
	scratch_store_b64 v124, v[125:126], off
	scratch_load_b64 v[126:127], v123, off
	v_max_f64 v[124:125], v[14:15], v[14:15]
	v_min_f64 v[124:125], v[124:125], v[131:132]
	s_waitcnt vmcnt(0)
	s_delay_alu instid0(VALU_DEP_1) | instskip(SKIP_4) | instid1(VALU_DEP_1)
	v_add_f64 v[124:125], v[124:125], v[126:127]
	v_mov_b32_e32 v127, 0x118
	scratch_store_b64 v123, v[124:125], off
	scratch_load_b64 v[125:126], v122, off
	v_max_f64 v[123:124], v[16:17], v[16:17]
	v_min_f64 v[123:124], v[123:124], v[131:132]
	s_waitcnt vmcnt(0)
	s_delay_alu instid0(VALU_DEP_1) | instskip(SKIP_4) | instid1(VALU_DEP_1)
	v_add_f64 v[123:124], v[123:124], v[125:126]
	v_mov_b32_e32 v126, 0x120
	scratch_store_b64 v122, v[123:124], off
	scratch_load_b64 v[124:125], v121, off
	v_max_f64 v[122:123], v[18:19], v[18:19]
	v_min_f64 v[122:123], v[122:123], v[131:132]
	s_waitcnt vmcnt(0)
	s_delay_alu instid0(VALU_DEP_1) | instskip(SKIP_4) | instid1(VALU_DEP_1)
	v_add_f64 v[122:123], v[122:123], v[124:125]
	v_mov_b32_e32 v125, 0x128
	scratch_store_b64 v121, v[122:123], off
	scratch_load_b64 v[123:124], v120, off
	v_max_f64 v[121:122], v[20:21], v[20:21]
	v_min_f64 v[121:122], v[121:122], v[131:132]
	s_waitcnt vmcnt(0)
	s_delay_alu instid0(VALU_DEP_1) | instskip(SKIP_4) | instid1(VALU_DEP_1)
	v_add_f64 v[121:122], v[121:122], v[123:124]
	v_mov_b32_e32 v124, 0x130
	scratch_store_b64 v120, v[121:122], off
	scratch_load_b64 v[122:123], v119, off
	v_max_f64 v[120:121], v[22:23], v[22:23]
	v_min_f64 v[120:121], v[120:121], v[131:132]
	s_waitcnt vmcnt(0)
	s_delay_alu instid0(VALU_DEP_1) | instskip(SKIP_4) | instid1(VALU_DEP_1)
	v_add_f64 v[120:121], v[120:121], v[122:123]
	v_mov_b32_e32 v123, 0x138
	scratch_store_b64 v119, v[120:121], off
	scratch_load_b64 v[121:122], v118, off
	v_max_f64 v[119:120], v[24:25], v[24:25]
	v_min_f64 v[119:120], v[119:120], v[131:132]
	s_waitcnt vmcnt(0)
	s_delay_alu instid0(VALU_DEP_1) | instskip(SKIP_4) | instid1(VALU_DEP_1)
	v_add_f64 v[119:120], v[119:120], v[121:122]
	v_mov_b32_e32 v122, 0x140
	scratch_store_b64 v118, v[119:120], off
	scratch_load_b64 v[120:121], v117, off
	v_max_f64 v[118:119], v[26:27], v[26:27]
	v_min_f64 v[118:119], v[118:119], v[131:132]
	s_waitcnt vmcnt(0)
	s_delay_alu instid0(VALU_DEP_1) | instskip(SKIP_4) | instid1(VALU_DEP_1)
	v_add_f64 v[118:119], v[118:119], v[120:121]
	v_mov_b32_e32 v121, 0x148
	scratch_store_b64 v117, v[118:119], off
	scratch_load_b64 v[119:120], v116, off
	v_max_f64 v[117:118], v[28:29], v[28:29]
	v_min_f64 v[117:118], v[117:118], v[131:132]
	s_waitcnt vmcnt(0)
	s_delay_alu instid0(VALU_DEP_1) | instskip(SKIP_4) | instid1(VALU_DEP_1)
	v_add_f64 v[117:118], v[117:118], v[119:120]
	v_mov_b32_e32 v120, 0x150
	scratch_store_b64 v116, v[117:118], off
	scratch_load_b64 v[118:119], v115, off
	v_max_f64 v[116:117], v[30:31], v[30:31]
	v_min_f64 v[116:117], v[116:117], v[131:132]
	s_waitcnt vmcnt(0)
	s_delay_alu instid0(VALU_DEP_1) | instskip(SKIP_4) | instid1(VALU_DEP_1)
	v_add_f64 v[116:117], v[116:117], v[118:119]
	v_mov_b32_e32 v119, 0x158
	scratch_store_b64 v115, v[116:117], off
	scratch_load_b64 v[117:118], v114, off
	v_max_f64 v[115:116], v[32:33], v[32:33]
	v_min_f64 v[115:116], v[115:116], v[131:132]
	s_waitcnt vmcnt(0)
	s_delay_alu instid0(VALU_DEP_1) | instskip(SKIP_4) | instid1(VALU_DEP_1)
	v_add_f64 v[115:116], v[115:116], v[117:118]
	v_mov_b32_e32 v118, 0x160
	scratch_store_b64 v114, v[115:116], off
	scratch_load_b64 v[116:117], v113, off
	v_max_f64 v[114:115], v[34:35], v[34:35]
	v_min_f64 v[114:115], v[114:115], v[131:132]
	s_waitcnt vmcnt(0)
	s_delay_alu instid0(VALU_DEP_1) | instskip(SKIP_4) | instid1(VALU_DEP_1)
	v_add_f64 v[114:115], v[114:115], v[116:117]
	v_mov_b32_e32 v117, 0x168
	scratch_store_b64 v113, v[114:115], off
	scratch_load_b64 v[115:116], v112, off
	v_max_f64 v[113:114], v[36:37], v[36:37]
	v_min_f64 v[113:114], v[113:114], v[131:132]
	s_waitcnt vmcnt(0)
	s_delay_alu instid0(VALU_DEP_1) | instskip(SKIP_4) | instid1(VALU_DEP_1)
	v_add_f64 v[113:114], v[113:114], v[115:116]
	v_mov_b32_e32 v116, 0x170
	scratch_store_b64 v112, v[113:114], off
	scratch_load_b64 v[114:115], v111, off
	v_max_f64 v[112:113], v[38:39], v[38:39]
	v_min_f64 v[112:113], v[112:113], v[131:132]
	s_waitcnt vmcnt(0)
	s_delay_alu instid0(VALU_DEP_1) | instskip(SKIP_4) | instid1(VALU_DEP_1)
	v_add_f64 v[112:113], v[112:113], v[114:115]
	v_mov_b32_e32 v115, 0x178
	scratch_store_b64 v111, v[112:113], off
	scratch_load_b64 v[113:114], v110, off
	v_max_f64 v[111:112], v[40:41], v[40:41]
	v_min_f64 v[111:112], v[111:112], v[131:132]
	s_waitcnt vmcnt(0)
	s_delay_alu instid0(VALU_DEP_1) | instskip(SKIP_4) | instid1(VALU_DEP_1)
	v_add_f64 v[111:112], v[111:112], v[113:114]
	v_mov_b32_e32 v114, 0x180
	scratch_store_b64 v110, v[111:112], off
	scratch_load_b64 v[112:113], v109, off
	v_max_f64 v[110:111], v[42:43], v[42:43]
	v_min_f64 v[110:111], v[110:111], v[131:132]
	s_waitcnt vmcnt(0)
	s_delay_alu instid0(VALU_DEP_1) | instskip(SKIP_4) | instid1(VALU_DEP_1)
	v_add_f64 v[110:111], v[110:111], v[112:113]
	v_mov_b32_e32 v113, 0x188
	scratch_store_b64 v109, v[110:111], off
	scratch_load_b64 v[111:112], v108, off
	v_max_f64 v[109:110], v[44:45], v[44:45]
	v_min_f64 v[109:110], v[109:110], v[131:132]
	s_waitcnt vmcnt(0)
	s_delay_alu instid0(VALU_DEP_1) | instskip(SKIP_4) | instid1(VALU_DEP_1)
	v_add_f64 v[109:110], v[109:110], v[111:112]
	v_mov_b32_e32 v112, 0x190
	scratch_store_b64 v108, v[109:110], off
	scratch_load_b64 v[110:111], v107, off
	v_max_f64 v[108:109], v[46:47], v[46:47]
	v_min_f64 v[108:109], v[108:109], v[131:132]
	s_waitcnt vmcnt(0)
	s_delay_alu instid0(VALU_DEP_1) | instskip(SKIP_4) | instid1(VALU_DEP_1)
	v_add_f64 v[108:109], v[108:109], v[110:111]
	v_mov_b32_e32 v111, 0x198
	scratch_store_b64 v107, v[108:109], off
	scratch_load_b64 v[109:110], v106, off
	v_max_f64 v[107:108], v[48:49], v[48:49]
	v_min_f64 v[107:108], v[107:108], v[131:132]
	s_waitcnt vmcnt(0)
	s_delay_alu instid0(VALU_DEP_1) | instskip(SKIP_4) | instid1(VALU_DEP_1)
	v_add_f64 v[107:108], v[107:108], v[109:110]
	v_mov_b32_e32 v110, 0x1a0
	scratch_store_b64 v106, v[107:108], off
	scratch_load_b64 v[108:109], v105, off
	v_max_f64 v[106:107], v[50:51], v[50:51]
	v_min_f64 v[106:107], v[106:107], v[131:132]
	s_waitcnt vmcnt(0)
	s_delay_alu instid0(VALU_DEP_1) | instskip(SKIP_4) | instid1(VALU_DEP_1)
	v_add_f64 v[106:107], v[106:107], v[108:109]
	v_mov_b32_e32 v109, 0x1a8
	scratch_store_b64 v105, v[106:107], off
	scratch_load_b64 v[107:108], v104, off
	v_max_f64 v[105:106], v[52:53], v[52:53]
	v_min_f64 v[105:106], v[105:106], v[131:132]
	s_waitcnt vmcnt(0)
	s_delay_alu instid0(VALU_DEP_1) | instskip(SKIP_4) | instid1(VALU_DEP_1)
	v_add_f64 v[105:106], v[105:106], v[107:108]
	v_mov_b32_e32 v108, 0x1b0
	scratch_store_b64 v104, v[105:106], off
	scratch_load_b64 v[106:107], v103, off
	v_max_f64 v[104:105], v[54:55], v[54:55]
	v_min_f64 v[104:105], v[104:105], v[131:132]
	s_waitcnt vmcnt(0)
	s_delay_alu instid0(VALU_DEP_1) | instskip(SKIP_4) | instid1(VALU_DEP_1)
	v_add_f64 v[104:105], v[104:105], v[106:107]
	v_mov_b32_e32 v107, 0x1b8
	scratch_store_b64 v103, v[104:105], off
	scratch_load_b64 v[105:106], v102, off
	v_max_f64 v[103:104], v[56:57], v[56:57]
	v_min_f64 v[103:104], v[103:104], v[131:132]
	s_waitcnt vmcnt(0)
	s_delay_alu instid0(VALU_DEP_1) | instskip(SKIP_4) | instid1(VALU_DEP_1)
	v_add_f64 v[103:104], v[103:104], v[105:106]
	v_mov_b32_e32 v106, 0x1c0
	scratch_store_b64 v102, v[103:104], off
	scratch_load_b64 v[104:105], v101, off
	v_max_f64 v[102:103], v[58:59], v[58:59]
	v_min_f64 v[102:103], v[102:103], v[131:132]
	s_waitcnt vmcnt(0)
	s_delay_alu instid0(VALU_DEP_1) | instskip(SKIP_4) | instid1(VALU_DEP_1)
	v_add_f64 v[102:103], v[102:103], v[104:105]
	v_mov_b32_e32 v105, 0x1c8
	scratch_store_b64 v101, v[102:103], off
	scratch_load_b64 v[103:104], v100, off
	v_max_f64 v[101:102], v[60:61], v[60:61]
	v_min_f64 v[101:102], v[101:102], v[131:132]
	s_waitcnt vmcnt(0)
	s_delay_alu instid0(VALU_DEP_1) | instskip(SKIP_4) | instid1(VALU_DEP_1)
	v_add_f64 v[101:102], v[101:102], v[103:104]
	v_mov_b32_e32 v104, 0x1d0
	scratch_store_b64 v100, v[101:102], off
	scratch_load_b64 v[102:103], v99, off
	v_max_f64 v[100:101], v[62:63], v[62:63]
	v_min_f64 v[100:101], v[100:101], v[131:132]
	s_waitcnt vmcnt(0)
	s_delay_alu instid0(VALU_DEP_1)
	v_add_f64 v[100:101], v[100:101], v[102:103]
	v_mov_b32_e32 v103, 0x1d8
	v_mov_b32_e32 v102, 0x1e0
	scratch_store_b64 v99, v[100:101], off
	v_mov_b32_e32 v101, 0x1e8
	v_mov_b32_e32 v100, 0x1f0
	;; [unrolled: 1-line block ×3, first 2 shown]
	s_cbranch_vccnz .LBB129_47
; %bb.48:                               ;   in Loop: Header=BB129_26 Depth=1
	ds_load_2addr_b64 v[0:3], v86 offset0:2 offset1:18
	ds_load_2addr_b64 v[4:7], v86 offset0:34 offset1:50
	;; [unrolled: 1-line block ×12, first 2 shown]
	v_dual_mov_b32 v129, 8 :: v_dual_add_nc_u32 v64, 16, v90
	ds_load_2addr_b64 v[48:51], v98 offset0:130 offset1:146
	ds_load_2addr_b64 v[52:55], v98 offset0:162 offset1:178
	;; [unrolled: 1-line block ×4, first 2 shown]
	ds_load_2addr_stride64_b64 v[64:67], v64 offset1:4
	v_dual_mov_b32 v130, 0 :: v_dual_mov_b32 v127, 24
	v_dual_mov_b32 v128, 16 :: v_dual_mov_b32 v125, 40
	;; [unrolled: 1-line block ×5, first 2 shown]
	v_mov_b32_e32 v120, 0x50
	v_mov_b32_e32 v118, 0x60
	;; [unrolled: 1-line block ×21, first 2 shown]
	s_mov_b64 s[6:7], 0
	s_mov_b32 s23, -1
.LBB129_49:                             ;   Parent Loop BB129_26 Depth=1
                                        ; =>  This Inner Loop Header: Depth=2
	scratch_load_b64 v[135:136], v130, off
	s_cmp_eq_u32 s6, 1
	s_waitcnt lgkmcnt(16)
	v_max_f64 v[133:134], v[0:1], v[0:1]
	s_cselect_b32 vcc_lo, -1, 0
	s_mov_b64 s[6:7], 1
	s_waitcnt lgkmcnt(0)
	v_dual_cndmask_b32 v132, v65, v67 :: v_dual_cndmask_b32 v131, v64, v66
	s_and_b32 vcc_lo, exec_lo, s23
	s_mov_b32 s23, 0
	s_delay_alu instid0(VALU_DEP_1) | instskip(NEXT) | instid1(VALU_DEP_1)
	v_max_f64 v[131:132], v[131:132], v[131:132]
	v_min_f64 v[133:134], v[133:134], v[131:132]
	s_waitcnt vmcnt(0)
	s_delay_alu instid0(VALU_DEP_1) | instskip(SKIP_3) | instid1(VALU_DEP_1)
	v_add_f64 v[133:134], v[135:136], v[133:134]
	scratch_load_b64 v[135:136], v129, off
	scratch_store_b64 v130, v[133:134], off
	v_max_f64 v[133:134], v[2:3], v[2:3]
	v_min_f64 v[133:134], v[133:134], v[131:132]
	s_waitcnt vmcnt(0)
	s_delay_alu instid0(VALU_DEP_1) | instskip(SKIP_3) | instid1(VALU_DEP_1)
	v_add_f64 v[133:134], v[133:134], v[135:136]
	scratch_store_b64 v129, v[133:134], off
	scratch_load_b64 v[133:134], v128, off
	v_max_f64 v[129:130], v[4:5], v[4:5]
	v_min_f64 v[129:130], v[129:130], v[131:132]
	s_waitcnt vmcnt(0)
	s_delay_alu instid0(VALU_DEP_1) | instskip(SKIP_3) | instid1(VALU_DEP_1)
	v_add_f64 v[129:130], v[129:130], v[133:134]
	scratch_load_b64 v[133:134], v127, off
	scratch_store_b64 v128, v[129:130], off
	v_max_f64 v[128:129], v[6:7], v[6:7]
	v_min_f64 v[128:129], v[128:129], v[131:132]
	s_waitcnt vmcnt(0)
	s_delay_alu instid0(VALU_DEP_1) | instskip(SKIP_3) | instid1(VALU_DEP_1)
	v_add_f64 v[128:129], v[128:129], v[133:134]
	scratch_store_b64 v127, v[128:129], off
	scratch_load_b64 v[129:130], v126, off
	v_max_f64 v[127:128], v[8:9], v[8:9]
	v_min_f64 v[127:128], v[127:128], v[131:132]
	s_waitcnt vmcnt(0)
	s_delay_alu instid0(VALU_DEP_1) | instskip(SKIP_4) | instid1(VALU_DEP_1)
	v_add_f64 v[127:128], v[127:128], v[129:130]
	v_mov_b32_e32 v130, 0x100
	scratch_store_b64 v126, v[127:128], off
	scratch_load_b64 v[128:129], v125, off
	v_max_f64 v[126:127], v[10:11], v[10:11]
	v_min_f64 v[126:127], v[126:127], v[131:132]
	s_waitcnt vmcnt(0)
	s_delay_alu instid0(VALU_DEP_1) | instskip(SKIP_4) | instid1(VALU_DEP_1)
	v_add_f64 v[126:127], v[126:127], v[128:129]
	v_mov_b32_e32 v129, 0x108
	;; [unrolled: 8-line block ×27, first 2 shown]
	scratch_store_b64 v100, v[101:102], off
	scratch_load_b64 v[102:103], v99, off
	v_max_f64 v[100:101], v[62:63], v[62:63]
	v_min_f64 v[100:101], v[100:101], v[131:132]
	s_waitcnt vmcnt(0)
	s_delay_alu instid0(VALU_DEP_1)
	v_add_f64 v[100:101], v[100:101], v[102:103]
	v_mov_b32_e32 v103, 0x1d8
	v_mov_b32_e32 v102, 0x1e0
	scratch_store_b64 v99, v[100:101], off
	v_mov_b32_e32 v101, 0x1e8
	v_mov_b32_e32 v100, 0x1f0
	;; [unrolled: 1-line block ×3, first 2 shown]
	s_cbranch_vccnz .LBB129_49
; %bb.50:                               ;   in Loop: Header=BB129_26 Depth=1
	ds_load_2addr_b64 v[0:3], v86 offset0:3 offset1:19
	ds_load_2addr_b64 v[4:7], v86 offset0:35 offset1:51
	;; [unrolled: 1-line block ×12, first 2 shown]
	v_dual_mov_b32 v129, 0 :: v_dual_add_nc_u32 v64, 24, v90
	ds_load_2addr_b64 v[48:51], v98 offset0:131 offset1:147
	ds_load_2addr_b64 v[52:55], v98 offset0:163 offset1:179
	;; [unrolled: 1-line block ×4, first 2 shown]
	ds_load_2addr_stride64_b64 v[64:67], v64 offset1:4
	v_dual_mov_b32 v128, 8 :: v_dual_mov_b32 v127, 16
	v_dual_mov_b32 v126, 24 :: v_dual_mov_b32 v125, 32
	;; [unrolled: 1-line block ×4, first 2 shown]
	v_mov_b32_e32 v120, 0x48
	v_mov_b32_e32 v119, 0x50
	;; [unrolled: 1-line block ×23, first 2 shown]
	s_mov_b64 s[6:7], 0
	s_mov_b32 s23, -1
.LBB129_51:                             ;   Parent Loop BB129_26 Depth=1
                                        ; =>  This Inner Loop Header: Depth=2
	scratch_load_b64 v[134:135], v129, off
	s_cmp_eq_u32 s6, 1
	s_waitcnt lgkmcnt(16)
	v_max_f64 v[132:133], v[0:1], v[0:1]
	s_cselect_b32 vcc_lo, -1, 0
	s_mov_b64 s[6:7], 1
	s_waitcnt lgkmcnt(0)
	v_dual_cndmask_b32 v131, v65, v67 :: v_dual_cndmask_b32 v130, v64, v66
	s_and_b32 vcc_lo, exec_lo, s23
	s_mov_b32 s23, 0
	s_delay_alu instid0(VALU_DEP_1) | instskip(NEXT) | instid1(VALU_DEP_1)
	v_max_f64 v[130:131], v[130:131], v[130:131]
	v_min_f64 v[132:133], v[132:133], v[130:131]
	s_waitcnt vmcnt(0)
	s_delay_alu instid0(VALU_DEP_1) | instskip(SKIP_3) | instid1(VALU_DEP_1)
	v_add_f64 v[132:133], v[134:135], v[132:133]
	scratch_load_b64 v[134:135], v128, off
	scratch_store_b64 v129, v[132:133], off
	v_max_f64 v[132:133], v[2:3], v[2:3]
	v_min_f64 v[132:133], v[132:133], v[130:131]
	s_waitcnt vmcnt(0)
	s_delay_alu instid0(VALU_DEP_1) | instskip(SKIP_3) | instid1(VALU_DEP_1)
	v_add_f64 v[132:133], v[132:133], v[134:135]
	scratch_store_b64 v128, v[132:133], off
	scratch_load_b64 v[132:133], v127, off
	v_max_f64 v[128:129], v[4:5], v[4:5]
	v_min_f64 v[128:129], v[128:129], v[130:131]
	s_waitcnt vmcnt(0)
	s_delay_alu instid0(VALU_DEP_1) | instskip(SKIP_3) | instid1(VALU_DEP_1)
	v_add_f64 v[128:129], v[128:129], v[132:133]
	scratch_load_b64 v[132:133], v126, off
	scratch_store_b64 v127, v[128:129], off
	v_max_f64 v[127:128], v[6:7], v[6:7]
	v_min_f64 v[127:128], v[127:128], v[130:131]
	s_waitcnt vmcnt(0)
	s_delay_alu instid0(VALU_DEP_1) | instskip(SKIP_3) | instid1(VALU_DEP_1)
	v_add_f64 v[127:128], v[127:128], v[132:133]
	scratch_store_b64 v126, v[127:128], off
	scratch_load_b64 v[128:129], v125, off
	v_max_f64 v[126:127], v[8:9], v[8:9]
	v_min_f64 v[126:127], v[126:127], v[130:131]
	s_waitcnt vmcnt(0)
	s_delay_alu instid0(VALU_DEP_1) | instskip(SKIP_4) | instid1(VALU_DEP_1)
	v_add_f64 v[126:127], v[126:127], v[128:129]
	v_mov_b32_e32 v129, 0x100
	scratch_store_b64 v125, v[126:127], off
	scratch_load_b64 v[127:128], v124, off
	v_max_f64 v[125:126], v[10:11], v[10:11]
	v_min_f64 v[125:126], v[125:126], v[130:131]
	s_waitcnt vmcnt(0)
	s_delay_alu instid0(VALU_DEP_1) | instskip(SKIP_4) | instid1(VALU_DEP_1)
	v_add_f64 v[125:126], v[125:126], v[127:128]
	v_mov_b32_e32 v128, 0x108
	scratch_store_b64 v124, v[125:126], off
	scratch_load_b64 v[126:127], v123, off
	v_max_f64 v[124:125], v[12:13], v[12:13]
	v_min_f64 v[124:125], v[124:125], v[130:131]
	s_waitcnt vmcnt(0)
	s_delay_alu instid0(VALU_DEP_1) | instskip(SKIP_4) | instid1(VALU_DEP_1)
	v_add_f64 v[124:125], v[124:125], v[126:127]
	v_mov_b32_e32 v127, 0x110
	scratch_store_b64 v123, v[124:125], off
	scratch_load_b64 v[125:126], v122, off
	v_max_f64 v[123:124], v[14:15], v[14:15]
	v_min_f64 v[123:124], v[123:124], v[130:131]
	s_waitcnt vmcnt(0)
	s_delay_alu instid0(VALU_DEP_1) | instskip(SKIP_4) | instid1(VALU_DEP_1)
	v_add_f64 v[123:124], v[123:124], v[125:126]
	v_mov_b32_e32 v126, 0x118
	scratch_store_b64 v122, v[123:124], off
	scratch_load_b64 v[124:125], v121, off
	v_max_f64 v[122:123], v[16:17], v[16:17]
	v_min_f64 v[122:123], v[122:123], v[130:131]
	s_waitcnt vmcnt(0)
	s_delay_alu instid0(VALU_DEP_1) | instskip(SKIP_4) | instid1(VALU_DEP_1)
	v_add_f64 v[122:123], v[122:123], v[124:125]
	v_mov_b32_e32 v125, 0x120
	scratch_store_b64 v121, v[122:123], off
	scratch_load_b64 v[123:124], v120, off
	v_max_f64 v[121:122], v[18:19], v[18:19]
	v_min_f64 v[121:122], v[121:122], v[130:131]
	s_waitcnt vmcnt(0)
	s_delay_alu instid0(VALU_DEP_1) | instskip(SKIP_4) | instid1(VALU_DEP_1)
	v_add_f64 v[121:122], v[121:122], v[123:124]
	v_mov_b32_e32 v124, 0x128
	scratch_store_b64 v120, v[121:122], off
	scratch_load_b64 v[122:123], v119, off
	v_max_f64 v[120:121], v[20:21], v[20:21]
	v_min_f64 v[120:121], v[120:121], v[130:131]
	s_waitcnt vmcnt(0)
	s_delay_alu instid0(VALU_DEP_1) | instskip(SKIP_4) | instid1(VALU_DEP_1)
	v_add_f64 v[120:121], v[120:121], v[122:123]
	v_mov_b32_e32 v123, 0x130
	scratch_store_b64 v119, v[120:121], off
	scratch_load_b64 v[121:122], v118, off
	v_max_f64 v[119:120], v[22:23], v[22:23]
	v_min_f64 v[119:120], v[119:120], v[130:131]
	s_waitcnt vmcnt(0)
	s_delay_alu instid0(VALU_DEP_1) | instskip(SKIP_4) | instid1(VALU_DEP_1)
	v_add_f64 v[119:120], v[119:120], v[121:122]
	v_mov_b32_e32 v122, 0x138
	scratch_store_b64 v118, v[119:120], off
	scratch_load_b64 v[120:121], v117, off
	v_max_f64 v[118:119], v[24:25], v[24:25]
	v_min_f64 v[118:119], v[118:119], v[130:131]
	s_waitcnt vmcnt(0)
	s_delay_alu instid0(VALU_DEP_1) | instskip(SKIP_4) | instid1(VALU_DEP_1)
	v_add_f64 v[118:119], v[118:119], v[120:121]
	v_mov_b32_e32 v121, 0x140
	scratch_store_b64 v117, v[118:119], off
	scratch_load_b64 v[119:120], v116, off
	v_max_f64 v[117:118], v[26:27], v[26:27]
	v_min_f64 v[117:118], v[117:118], v[130:131]
	s_waitcnt vmcnt(0)
	s_delay_alu instid0(VALU_DEP_1) | instskip(SKIP_4) | instid1(VALU_DEP_1)
	v_add_f64 v[117:118], v[117:118], v[119:120]
	v_mov_b32_e32 v120, 0x148
	scratch_store_b64 v116, v[117:118], off
	scratch_load_b64 v[118:119], v115, off
	v_max_f64 v[116:117], v[28:29], v[28:29]
	v_min_f64 v[116:117], v[116:117], v[130:131]
	s_waitcnt vmcnt(0)
	s_delay_alu instid0(VALU_DEP_1) | instskip(SKIP_4) | instid1(VALU_DEP_1)
	v_add_f64 v[116:117], v[116:117], v[118:119]
	v_mov_b32_e32 v119, 0x150
	scratch_store_b64 v115, v[116:117], off
	scratch_load_b64 v[117:118], v114, off
	v_max_f64 v[115:116], v[30:31], v[30:31]
	v_min_f64 v[115:116], v[115:116], v[130:131]
	s_waitcnt vmcnt(0)
	s_delay_alu instid0(VALU_DEP_1) | instskip(SKIP_4) | instid1(VALU_DEP_1)
	v_add_f64 v[115:116], v[115:116], v[117:118]
	v_mov_b32_e32 v118, 0x158
	scratch_store_b64 v114, v[115:116], off
	scratch_load_b64 v[116:117], v113, off
	v_max_f64 v[114:115], v[32:33], v[32:33]
	v_min_f64 v[114:115], v[114:115], v[130:131]
	s_waitcnt vmcnt(0)
	s_delay_alu instid0(VALU_DEP_1) | instskip(SKIP_4) | instid1(VALU_DEP_1)
	v_add_f64 v[114:115], v[114:115], v[116:117]
	v_mov_b32_e32 v117, 0x160
	scratch_store_b64 v113, v[114:115], off
	scratch_load_b64 v[115:116], v112, off
	v_max_f64 v[113:114], v[34:35], v[34:35]
	v_min_f64 v[113:114], v[113:114], v[130:131]
	s_waitcnt vmcnt(0)
	s_delay_alu instid0(VALU_DEP_1) | instskip(SKIP_4) | instid1(VALU_DEP_1)
	v_add_f64 v[113:114], v[113:114], v[115:116]
	v_mov_b32_e32 v116, 0x168
	scratch_store_b64 v112, v[113:114], off
	scratch_load_b64 v[114:115], v111, off
	v_max_f64 v[112:113], v[36:37], v[36:37]
	v_min_f64 v[112:113], v[112:113], v[130:131]
	s_waitcnt vmcnt(0)
	s_delay_alu instid0(VALU_DEP_1) | instskip(SKIP_4) | instid1(VALU_DEP_1)
	v_add_f64 v[112:113], v[112:113], v[114:115]
	v_mov_b32_e32 v115, 0x170
	scratch_store_b64 v111, v[112:113], off
	scratch_load_b64 v[113:114], v110, off
	v_max_f64 v[111:112], v[38:39], v[38:39]
	v_min_f64 v[111:112], v[111:112], v[130:131]
	s_waitcnt vmcnt(0)
	s_delay_alu instid0(VALU_DEP_1) | instskip(SKIP_4) | instid1(VALU_DEP_1)
	v_add_f64 v[111:112], v[111:112], v[113:114]
	v_mov_b32_e32 v114, 0x178
	scratch_store_b64 v110, v[111:112], off
	scratch_load_b64 v[112:113], v109, off
	v_max_f64 v[110:111], v[40:41], v[40:41]
	v_min_f64 v[110:111], v[110:111], v[130:131]
	s_waitcnt vmcnt(0)
	s_delay_alu instid0(VALU_DEP_1) | instskip(SKIP_4) | instid1(VALU_DEP_1)
	v_add_f64 v[110:111], v[110:111], v[112:113]
	v_mov_b32_e32 v113, 0x180
	scratch_store_b64 v109, v[110:111], off
	scratch_load_b64 v[111:112], v108, off
	v_max_f64 v[109:110], v[42:43], v[42:43]
	v_min_f64 v[109:110], v[109:110], v[130:131]
	s_waitcnt vmcnt(0)
	s_delay_alu instid0(VALU_DEP_1) | instskip(SKIP_4) | instid1(VALU_DEP_1)
	v_add_f64 v[109:110], v[109:110], v[111:112]
	v_mov_b32_e32 v112, 0x188
	scratch_store_b64 v108, v[109:110], off
	scratch_load_b64 v[110:111], v107, off
	v_max_f64 v[108:109], v[44:45], v[44:45]
	v_min_f64 v[108:109], v[108:109], v[130:131]
	s_waitcnt vmcnt(0)
	s_delay_alu instid0(VALU_DEP_1) | instskip(SKIP_4) | instid1(VALU_DEP_1)
	v_add_f64 v[108:109], v[108:109], v[110:111]
	v_mov_b32_e32 v111, 0x190
	scratch_store_b64 v107, v[108:109], off
	scratch_load_b64 v[109:110], v106, off
	v_max_f64 v[107:108], v[46:47], v[46:47]
	v_min_f64 v[107:108], v[107:108], v[130:131]
	s_waitcnt vmcnt(0)
	s_delay_alu instid0(VALU_DEP_1) | instskip(SKIP_4) | instid1(VALU_DEP_1)
	v_add_f64 v[107:108], v[107:108], v[109:110]
	v_mov_b32_e32 v110, 0x198
	scratch_store_b64 v106, v[107:108], off
	scratch_load_b64 v[108:109], v105, off
	v_max_f64 v[106:107], v[48:49], v[48:49]
	v_min_f64 v[106:107], v[106:107], v[130:131]
	s_waitcnt vmcnt(0)
	s_delay_alu instid0(VALU_DEP_1) | instskip(SKIP_4) | instid1(VALU_DEP_1)
	v_add_f64 v[106:107], v[106:107], v[108:109]
	v_mov_b32_e32 v109, 0x1a0
	scratch_store_b64 v105, v[106:107], off
	scratch_load_b64 v[107:108], v104, off
	v_max_f64 v[105:106], v[50:51], v[50:51]
	v_min_f64 v[105:106], v[105:106], v[130:131]
	s_waitcnt vmcnt(0)
	s_delay_alu instid0(VALU_DEP_1) | instskip(SKIP_4) | instid1(VALU_DEP_1)
	v_add_f64 v[105:106], v[105:106], v[107:108]
	v_mov_b32_e32 v108, 0x1a8
	scratch_store_b64 v104, v[105:106], off
	scratch_load_b64 v[106:107], v103, off
	v_max_f64 v[104:105], v[52:53], v[52:53]
	v_min_f64 v[104:105], v[104:105], v[130:131]
	s_waitcnt vmcnt(0)
	s_delay_alu instid0(VALU_DEP_1) | instskip(SKIP_4) | instid1(VALU_DEP_1)
	v_add_f64 v[104:105], v[104:105], v[106:107]
	v_mov_b32_e32 v107, 0x1b0
	scratch_store_b64 v103, v[104:105], off
	scratch_load_b64 v[105:106], v102, off
	v_max_f64 v[103:104], v[54:55], v[54:55]
	v_min_f64 v[103:104], v[103:104], v[130:131]
	s_waitcnt vmcnt(0)
	s_delay_alu instid0(VALU_DEP_1) | instskip(SKIP_4) | instid1(VALU_DEP_1)
	v_add_f64 v[103:104], v[103:104], v[105:106]
	v_mov_b32_e32 v106, 0x1b8
	scratch_store_b64 v102, v[103:104], off
	scratch_load_b64 v[104:105], v101, off
	v_max_f64 v[102:103], v[56:57], v[56:57]
	v_min_f64 v[102:103], v[102:103], v[130:131]
	s_waitcnt vmcnt(0)
	s_delay_alu instid0(VALU_DEP_1) | instskip(SKIP_4) | instid1(VALU_DEP_1)
	v_add_f64 v[102:103], v[102:103], v[104:105]
	v_mov_b32_e32 v105, 0x1c0
	scratch_store_b64 v101, v[102:103], off
	scratch_load_b64 v[103:104], v100, off
	v_max_f64 v[101:102], v[58:59], v[58:59]
	v_min_f64 v[101:102], v[101:102], v[130:131]
	s_waitcnt vmcnt(0)
	s_delay_alu instid0(VALU_DEP_1) | instskip(SKIP_4) | instid1(VALU_DEP_1)
	v_add_f64 v[101:102], v[101:102], v[103:104]
	v_mov_b32_e32 v104, 0x1c8
	scratch_store_b64 v100, v[101:102], off
	scratch_load_b64 v[102:103], v99, off
	v_max_f64 v[100:101], v[60:61], v[60:61]
	v_min_f64 v[100:101], v[100:101], v[130:131]
	s_waitcnt vmcnt(0)
	s_delay_alu instid0(VALU_DEP_1) | instskip(SKIP_4) | instid1(VALU_DEP_1)
	v_add_f64 v[100:101], v[100:101], v[102:103]
	v_mov_b32_e32 v103, 0x1d0
	scratch_store_b64 v99, v[100:101], off
	scratch_load_b64 v[101:102], v98, off
	v_max_f64 v[99:100], v[62:63], v[62:63]
	v_min_f64 v[99:100], v[99:100], v[130:131]
	s_waitcnt vmcnt(0)
	s_delay_alu instid0(VALU_DEP_1)
	v_add_f64 v[99:100], v[99:100], v[101:102]
	v_mov_b32_e32 v102, 0x1d8
	v_mov_b32_e32 v101, 0x1e0
	scratch_store_b64 v98, v[99:100], off
	v_mov_b32_e32 v100, 0x1e8
	v_mov_b32_e32 v99, 0x1f0
	;; [unrolled: 1-line block ×3, first 2 shown]
	s_cbranch_vccnz .LBB129_51
; %bb.52:                               ;   in Loop: Header=BB129_26 Depth=1
	s_add_i32 s21, s21, 8
	s_add_i32 s22, s22, 8
	s_cmp_ge_i32 s21, s20
	ds_store_2addr_stride64_b64 v91, v[73:74], v[75:76] offset1:4
	ds_store_2addr_stride64_b64 v92, v[77:78], v[79:80] offset1:4
	s_waitcnt lgkmcnt(0)
	s_waitcnt_vscnt null, 0x0
	s_barrier
	buffer_gl0_inv
	s_cbranch_scc0 .LBB129_26
.LBB129_53:
	v_dual_mov_b32 v71, 8 :: v_dual_add_nc_u32 v28, 0x1000, v86
	v_dual_mov_b32 v75, 40 :: v_dual_add_nc_u32 v60, 0x1800, v86
	;; [unrolled: 1-line block ×3, first 2 shown]
	ds_load_2addr_b64 v[0:3], v28 offset1:16
	ds_load_2addr_b64 v[4:7], v28 offset0:32 offset1:48
	ds_load_2addr_b64 v[8:11], v28 offset0:64 offset1:80
	ds_load_2addr_b64 v[12:15], v28 offset0:96 offset1:112
	ds_load_2addr_b64 v[16:19], v28 offset0:128 offset1:144
	ds_load_2addr_b64 v[20:23], v28 offset0:160 offset1:176
	ds_load_2addr_b64 v[24:27], v28 offset0:192 offset1:208
	ds_load_2addr_b64 v[28:31], v28 offset0:224 offset1:240
	ds_load_2addr_b64 v[32:35], v60 offset1:16
	ds_load_2addr_b64 v[36:39], v60 offset0:32 offset1:48
	ds_load_2addr_b64 v[40:43], v60 offset0:64 offset1:80
	;; [unrolled: 1-line block ×7, first 2 shown]
	ds_load_2addr_stride64_b64 v[64:67], v89 offset0:24 offset1:28
	v_dual_mov_b32 v70, 0 :: v_dual_add_nc_u32 v69, 0x3000, v89
	v_dual_mov_b32 v72, 16 :: v_dual_mov_b32 v77, 56
	v_dual_mov_b32 v74, 32 :: v_dual_mov_b32 v79, 0x48
	;; [unrolled: 1-line block ×4, first 2 shown]
	v_mov_b32_e32 v80, 0x50
	v_mov_b32_e32 v84, 0x60
	v_mov_b32_e32 v86, 0x70
	v_mov_b32_e32 v87, 0x78
	v_mov_b32_e32 v88, 0x80
	v_mov_b32_e32 v89, 0x88
	v_mov_b32_e32 v90, 0x90
	v_mov_b32_e32 v91, 0x98
	v_mov_b32_e32 v92, 0xa0
	v_mov_b32_e32 v93, 0xa8
	v_mov_b32_e32 v94, 0xb0
	v_mov_b32_e32 v95, 0xb8
	v_mov_b32_e32 v96, 0xc0
	v_mov_b32_e32 v97, 0xc8
	v_mov_b32_e32 v98, 0xd0
	v_mov_b32_e32 v99, 0xd8
	v_mov_b32_e32 v100, 0xe0
	v_mov_b32_e32 v101, 0xe8
	v_mov_b32_e32 v102, 0xf0
	v_mov_b32_e32 v103, 0xf8
	s_mov_b64 s[2:3], 0
	s_mov_b32 s6, -1
.LBB129_54:                             ; =>This Inner Loop Header: Depth=1
	scratch_load_b64 v[104:105], v70, off
	scratch_load_b64 v[106:107], v71, off
	;; [unrolled: 1-line block ×32, first 2 shown]
	s_cmp_eq_u32 s2, 1
	s_waitcnt lgkmcnt(16)
	v_max_f64 v[170:171], v[0:1], v[0:1]
	s_cselect_b32 vcc_lo, -1, 0
	v_max_f64 v[172:173], v[2:3], v[2:3]
	s_waitcnt lgkmcnt(0)
	v_dual_cndmask_b32 v169, v65, v67 :: v_dual_cndmask_b32 v168, v64, v66
	v_max_f64 v[174:175], v[4:5], v[4:5]
	v_max_f64 v[176:177], v[6:7], v[6:7]
	;; [unrolled: 1-line block ×31, first 2 shown]
	s_mov_b64 s[2:3], 1
	s_and_b32 vcc_lo, exec_lo, s6
	s_mov_b32 s6, 0
	v_min_f64 v[170:171], v[170:171], v[168:169]
	v_min_f64 v[172:173], v[172:173], v[168:169]
	;; [unrolled: 1-line block ×32, first 2 shown]
	s_waitcnt vmcnt(31)
	v_add_f64 v[104:105], v[104:105], v[170:171]
	s_waitcnt vmcnt(30)
	v_add_f64 v[106:107], v[172:173], v[106:107]
	;; [unrolled: 2-line block ×32, first 2 shown]
	scratch_store_b64 v70, v[104:105], off
	scratch_store_b64 v71, v[106:107], off
	;; [unrolled: 1-line block ×32, first 2 shown]
	v_mov_b32_e32 v70, 0x100
	v_mov_b32_e32 v71, 0x108
	;; [unrolled: 1-line block ×32, first 2 shown]
	s_cbranch_vccnz .LBB129_54
; %bb.55:
	v_dual_mov_b32 v71, 8 :: v_dual_add_nc_u32 v60, 0x800, v68
	ds_load_2addr_b64 v[0:3], v68 offset0:1 offset1:17
	ds_load_2addr_b64 v[4:7], v68 offset0:33 offset1:49
	;; [unrolled: 1-line block ×12, first 2 shown]
	v_dual_mov_b32 v73, 24 :: v_dual_add_nc_u32 v64, 8, v69
	ds_load_2addr_b64 v[48:51], v60 offset0:129 offset1:145
	ds_load_2addr_b64 v[52:55], v60 offset0:161 offset1:177
	;; [unrolled: 1-line block ×4, first 2 shown]
	ds_load_2addr_stride64_b64 v[64:67], v64 offset1:4
	v_dual_mov_b32 v70, 0 :: v_dual_mov_b32 v75, 40
	v_dual_mov_b32 v72, 16 :: v_dual_mov_b32 v77, 56
	;; [unrolled: 1-line block ×5, first 2 shown]
	v_mov_b32_e32 v80, 0x50
	v_mov_b32_e32 v84, 0x60
	;; [unrolled: 1-line block ×20, first 2 shown]
	s_mov_b64 s[2:3], 0
	s_mov_b32 s6, -1
.LBB129_56:                             ; =>This Inner Loop Header: Depth=1
	scratch_load_b64 v[104:105], v70, off
	scratch_load_b64 v[106:107], v71, off
	;; [unrolled: 1-line block ×32, first 2 shown]
	s_cmp_eq_u32 s2, 1
	s_waitcnt lgkmcnt(16)
	v_max_f64 v[170:171], v[0:1], v[0:1]
	s_cselect_b32 vcc_lo, -1, 0
	v_max_f64 v[172:173], v[2:3], v[2:3]
	s_waitcnt lgkmcnt(0)
	v_dual_cndmask_b32 v169, v65, v67 :: v_dual_cndmask_b32 v168, v64, v66
	v_max_f64 v[174:175], v[4:5], v[4:5]
	v_max_f64 v[176:177], v[6:7], v[6:7]
	;; [unrolled: 1-line block ×31, first 2 shown]
	s_mov_b64 s[2:3], 1
	s_and_b32 vcc_lo, exec_lo, s6
	s_mov_b32 s6, 0
	v_min_f64 v[170:171], v[170:171], v[168:169]
	v_min_f64 v[172:173], v[172:173], v[168:169]
	;; [unrolled: 1-line block ×32, first 2 shown]
	s_waitcnt vmcnt(31)
	v_add_f64 v[104:105], v[104:105], v[170:171]
	s_waitcnt vmcnt(30)
	v_add_f64 v[106:107], v[172:173], v[106:107]
	;; [unrolled: 2-line block ×32, first 2 shown]
	scratch_store_b64 v70, v[104:105], off
	scratch_store_b64 v71, v[106:107], off
	;; [unrolled: 1-line block ×32, first 2 shown]
	v_mov_b32_e32 v70, 0x100
	v_mov_b32_e32 v71, 0x108
	;; [unrolled: 1-line block ×32, first 2 shown]
	s_cbranch_vccnz .LBB129_56
; %bb.57:
	v_dual_mov_b32 v71, 8 :: v_dual_add_nc_u32 v60, 0x800, v68
	ds_load_2addr_b64 v[0:3], v68 offset0:2 offset1:18
	ds_load_2addr_b64 v[4:7], v68 offset0:34 offset1:50
	;; [unrolled: 1-line block ×12, first 2 shown]
	v_dual_mov_b32 v73, 24 :: v_dual_add_nc_u32 v64, 16, v69
	ds_load_2addr_b64 v[48:51], v60 offset0:130 offset1:146
	ds_load_2addr_b64 v[52:55], v60 offset0:162 offset1:178
	ds_load_2addr_b64 v[56:59], v60 offset0:194 offset1:210
	ds_load_2addr_b64 v[60:63], v60 offset0:226 offset1:242
	ds_load_2addr_stride64_b64 v[64:67], v64 offset1:4
	v_dual_mov_b32 v70, 0 :: v_dual_mov_b32 v75, 40
	v_dual_mov_b32 v72, 16 :: v_dual_mov_b32 v77, 56
	;; [unrolled: 1-line block ×5, first 2 shown]
	v_mov_b32_e32 v80, 0x50
	v_mov_b32_e32 v84, 0x60
	v_mov_b32_e32 v86, 0x70
	v_mov_b32_e32 v87, 0x78
	v_mov_b32_e32 v88, 0x80
	v_mov_b32_e32 v89, 0x88
	v_mov_b32_e32 v90, 0x90
	v_mov_b32_e32 v91, 0x98
	v_mov_b32_e32 v92, 0xa0
	v_mov_b32_e32 v93, 0xa8
	v_mov_b32_e32 v94, 0xb0
	v_mov_b32_e32 v95, 0xb8
	v_mov_b32_e32 v96, 0xc0
	v_mov_b32_e32 v97, 0xc8
	v_mov_b32_e32 v98, 0xd0
	v_mov_b32_e32 v99, 0xd8
	v_mov_b32_e32 v100, 0xe0
	v_mov_b32_e32 v101, 0xe8
	v_mov_b32_e32 v102, 0xf0
	v_mov_b32_e32 v103, 0xf8
	s_mov_b64 s[2:3], 0
	s_mov_b32 s6, -1
.LBB129_58:                             ; =>This Inner Loop Header: Depth=1
	scratch_load_b64 v[104:105], v70, off
	scratch_load_b64 v[106:107], v71, off
	;; [unrolled: 1-line block ×32, first 2 shown]
	s_cmp_eq_u32 s2, 1
	s_waitcnt lgkmcnt(16)
	v_max_f64 v[170:171], v[0:1], v[0:1]
	s_cselect_b32 vcc_lo, -1, 0
	v_max_f64 v[172:173], v[2:3], v[2:3]
	s_waitcnt lgkmcnt(0)
	v_dual_cndmask_b32 v169, v65, v67 :: v_dual_cndmask_b32 v168, v64, v66
	v_max_f64 v[174:175], v[4:5], v[4:5]
	v_max_f64 v[176:177], v[6:7], v[6:7]
	;; [unrolled: 1-line block ×31, first 2 shown]
	s_mov_b64 s[2:3], 1
	s_and_b32 vcc_lo, exec_lo, s6
	s_mov_b32 s6, 0
	v_min_f64 v[170:171], v[170:171], v[168:169]
	v_min_f64 v[172:173], v[172:173], v[168:169]
	v_min_f64 v[174:175], v[174:175], v[168:169]
	v_min_f64 v[176:177], v[176:177], v[168:169]
	v_min_f64 v[178:179], v[178:179], v[168:169]
	v_min_f64 v[180:181], v[180:181], v[168:169]
	v_min_f64 v[182:183], v[182:183], v[168:169]
	v_min_f64 v[184:185], v[184:185], v[168:169]
	v_min_f64 v[186:187], v[186:187], v[168:169]
	v_min_f64 v[188:189], v[188:189], v[168:169]
	v_min_f64 v[190:191], v[190:191], v[168:169]
	v_min_f64 v[192:193], v[192:193], v[168:169]
	v_min_f64 v[194:195], v[194:195], v[168:169]
	v_min_f64 v[196:197], v[196:197], v[168:169]
	v_min_f64 v[198:199], v[198:199], v[168:169]
	v_min_f64 v[200:201], v[200:201], v[168:169]
	v_min_f64 v[202:203], v[202:203], v[168:169]
	v_min_f64 v[204:205], v[204:205], v[168:169]
	v_min_f64 v[206:207], v[206:207], v[168:169]
	v_min_f64 v[208:209], v[208:209], v[168:169]
	v_min_f64 v[210:211], v[210:211], v[168:169]
	v_min_f64 v[212:213], v[212:213], v[168:169]
	v_min_f64 v[214:215], v[214:215], v[168:169]
	v_min_f64 v[216:217], v[216:217], v[168:169]
	v_min_f64 v[218:219], v[218:219], v[168:169]
	v_min_f64 v[220:221], v[220:221], v[168:169]
	v_min_f64 v[222:223], v[222:223], v[168:169]
	v_min_f64 v[224:225], v[224:225], v[168:169]
	v_min_f64 v[226:227], v[226:227], v[168:169]
	v_min_f64 v[228:229], v[228:229], v[168:169]
	v_min_f64 v[230:231], v[230:231], v[168:169]
	v_min_f64 v[168:169], v[232:233], v[168:169]
	s_waitcnt vmcnt(31)
	v_add_f64 v[104:105], v[104:105], v[170:171]
	s_waitcnt vmcnt(30)
	v_add_f64 v[106:107], v[172:173], v[106:107]
	;; [unrolled: 2-line block ×32, first 2 shown]
	scratch_store_b64 v70, v[104:105], off
	scratch_store_b64 v71, v[106:107], off
	;; [unrolled: 1-line block ×32, first 2 shown]
	v_mov_b32_e32 v70, 0x100
	v_mov_b32_e32 v71, 0x108
	;; [unrolled: 1-line block ×32, first 2 shown]
	s_cbranch_vccnz .LBB129_58
; %bb.59:
	v_add_nc_u32_e32 v60, 0x800, v68
	ds_load_2addr_b64 v[0:3], v68 offset0:3 offset1:19
	ds_load_2addr_b64 v[4:7], v68 offset0:35 offset1:51
	;; [unrolled: 1-line block ×4, first 2 shown]
	v_dual_mov_b32 v71, 24 :: v_dual_add_nc_u32 v64, 24, v69
	v_mov_b32_e32 v69, 8
	ds_load_2addr_b64 v[16:19], v68 offset0:131 offset1:147
	ds_load_2addr_b64 v[20:23], v68 offset0:163 offset1:179
	;; [unrolled: 1-line block ×12, first 2 shown]
	ds_load_2addr_stride64_b64 v[64:67], v64 offset1:4
	v_dual_mov_b32 v68, 0 :: v_dual_mov_b32 v73, 40
	v_dual_mov_b32 v70, 16 :: v_dual_mov_b32 v75, 56
	;; [unrolled: 1-line block ×5, first 2 shown]
	v_mov_b32_e32 v78, 0x50
	v_mov_b32_e32 v80, 0x60
	;; [unrolled: 1-line block ×20, first 2 shown]
	s_mov_b64 s[2:3], 0
	s_mov_b32 s6, -1
.LBB129_60:                             ; =>This Inner Loop Header: Depth=1
	scratch_load_b64 v[102:103], v68, off
	scratch_load_b64 v[104:105], v69, off
	;; [unrolled: 1-line block ×32, first 2 shown]
	s_cmp_eq_u32 s2, 1
	s_waitcnt lgkmcnt(16)
	v_max_f64 v[168:169], v[0:1], v[0:1]
	s_cselect_b32 vcc_lo, -1, 0
	v_max_f64 v[170:171], v[2:3], v[2:3]
	s_waitcnt lgkmcnt(0)
	v_dual_cndmask_b32 v167, v65, v67 :: v_dual_cndmask_b32 v166, v64, v66
	v_max_f64 v[172:173], v[4:5], v[4:5]
	v_max_f64 v[174:175], v[6:7], v[6:7]
	;; [unrolled: 1-line block ×31, first 2 shown]
	s_mov_b64 s[2:3], 1
	s_and_b32 vcc_lo, exec_lo, s6
	s_mov_b32 s6, 0
	v_min_f64 v[168:169], v[168:169], v[166:167]
	v_min_f64 v[170:171], v[170:171], v[166:167]
	;; [unrolled: 1-line block ×32, first 2 shown]
	s_waitcnt vmcnt(31)
	v_add_f64 v[102:103], v[102:103], v[168:169]
	s_waitcnt vmcnt(30)
	v_add_f64 v[104:105], v[170:171], v[104:105]
	;; [unrolled: 2-line block ×32, first 2 shown]
	scratch_store_b64 v68, v[102:103], off
	scratch_store_b64 v69, v[104:105], off
	;; [unrolled: 1-line block ×32, first 2 shown]
	v_mov_b32_e32 v68, 0x100
	v_mov_b32_e32 v69, 0x108
	v_mov_b32_e32 v70, 0x110
	v_mov_b32_e32 v71, 0x118
	v_mov_b32_e32 v72, 0x120
	v_mov_b32_e32 v73, 0x128
	v_mov_b32_e32 v74, 0x130
	v_mov_b32_e32 v75, 0x138
	v_mov_b32_e32 v76, 0x140
	v_mov_b32_e32 v77, 0x148
	v_mov_b32_e32 v78, 0x150
	v_mov_b32_e32 v79, 0x158
	v_mov_b32_e32 v80, 0x160
	v_mov_b32_e32 v83, 0x168
	v_mov_b32_e32 v84, 0x170
	v_mov_b32_e32 v85, 0x178
	v_mov_b32_e32 v86, 0x180
	v_mov_b32_e32 v87, 0x188
	v_mov_b32_e32 v88, 0x190
	v_mov_b32_e32 v89, 0x198
	v_mov_b32_e32 v90, 0x1a0
	v_mov_b32_e32 v91, 0x1a8
	v_mov_b32_e32 v92, 0x1b0
	v_mov_b32_e32 v93, 0x1b8
	v_mov_b32_e32 v94, 0x1c0
	v_mov_b32_e32 v95, 0x1c8
	v_mov_b32_e32 v96, 0x1d0
	v_mov_b32_e32 v97, 0x1d8
	v_mov_b32_e32 v98, 0x1e0
	v_mov_b32_e32 v99, 0x1e8
	v_mov_b32_e32 v100, 0x1f0
	v_mov_b32_e32 v101, 0x1f8
	s_cbranch_vccnz .LBB129_60
; %bb.61:
	scratch_load_b64 v[2:3], off, off
	s_load_b32 s3, s[0:1], 0x58
	v_dual_mov_b32 v4, 0 :: v_dual_add_nc_u32 v71, s15, v82
	v_dual_mov_b32 v5, 0 :: v_dual_add_nc_u32 v16, s14, v81
	v_mov_b32_e32 v8, 0
	v_mov_b32_e32 v9, 0
	s_and_b32 s2, exec_lo, s18
	s_delay_alu instid0(VALU_DEP_3) | instskip(SKIP_2) | instid1(VALU_DEP_1)
	v_ashrrev_i32_e32 v17, 31, v16
	s_waitcnt lgkmcnt(0)
	v_mad_i64_i32 v[0:1], null, v71, s3, 0
	v_lshlrev_b64 v[0:1], 3, v[0:1]
	s_delay_alu instid0(VALU_DEP_1) | instskip(NEXT) | instid1(VALU_DEP_2)
	v_add_co_u32 v72, vcc_lo, s8, v0
	v_add_co_ci_u32_e32 v73, vcc_lo, s9, v1, vcc_lo
	v_lshlrev_b64 v[0:1], 3, v[16:17]
	s_mov_b32 vcc_lo, s2
	s_cbranch_vccz .LBB129_63
; %bb.62:
	s_delay_alu instid0(VALU_DEP_1) | instskip(NEXT) | instid1(VALU_DEP_2)
	v_add_co_u32 v6, vcc_lo, v72, v0
	v_add_co_ci_u32_e32 v7, vcc_lo, v73, v1, vcc_lo
	flat_load_b64 v[6:7], v[6:7]
	s_waitcnt vmcnt(0) lgkmcnt(0)
	v_mul_f64 v[8:9], s[10:11], v[6:7]
.LBB129_63:
	scratch_load_b64 v[6:7], off, off offset:8
	s_clause 0x1
	s_load_b32 s6, s[0:1], 0x70
	s_load_b64 s[0:1], s[0:1], 0x78
	s_waitcnt vmcnt(1)
	v_add_f64 v[8:9], v[2:3], v[8:9]
	v_add_nc_u32_e32 v10, 4, v16
	v_cndmask_b32_e64 v12, 0, 1, s18
	s_delay_alu instid0(VALU_DEP_2)
	v_ashrrev_i32_e32 v11, 31, v10
	s_waitcnt lgkmcnt(0)
	v_mad_i64_i32 v[2:3], null, v71, s6, 0
	s_lshl_b64 s[12:13], s[0:1], 3
	v_cmp_ne_u32_e64 s0, 1, v12
	s_add_u32 s1, s4, s12
	s_addc_u32 s4, s5, s13
	s_delay_alu instid0(VALU_DEP_2) | instskip(NEXT) | instid1(VALU_DEP_1)
	v_lshlrev_b64 v[2:3], 3, v[2:3]
	v_add_co_u32 v74, vcc_lo, s1, v2
	s_delay_alu instid0(VALU_DEP_2) | instskip(SKIP_1) | instid1(VALU_DEP_3)
	v_add_co_ci_u32_e32 v75, vcc_lo, s4, v3, vcc_lo
	v_lshlrev_b64 v[2:3], 3, v[10:11]
	v_add_co_u32 v12, vcc_lo, v74, v0
	s_delay_alu instid0(VALU_DEP_3)
	v_add_co_ci_u32_e32 v13, vcc_lo, v75, v1, vcc_lo
	s_and_not1_b32 vcc_lo, exec_lo, s18
	global_store_b64 v[12:13], v[8:9], off
	s_cbranch_vccnz .LBB129_65
; %bb.64:
	v_add_co_u32 v4, vcc_lo, v72, v2
	v_add_co_ci_u32_e32 v5, vcc_lo, v73, v3, vcc_lo
	flat_load_b64 v[4:5], v[4:5]
	s_waitcnt vmcnt(0) lgkmcnt(0)
	v_mul_f64 v[4:5], s[10:11], v[4:5]
.LBB129_65:
	scratch_load_b64 v[10:11], off, off offset:16
	s_waitcnt vmcnt(1)
	v_add_f64 v[12:13], v[6:7], v[4:5]
	v_add_nc_u32_e32 v4, 8, v16
	v_mov_b32_e32 v8, 0
	v_mov_b32_e32 v9, 0
	v_add_co_u32 v14, vcc_lo, v74, v2
	s_delay_alu instid0(VALU_DEP_4) | instskip(SKIP_3) | instid1(VALU_DEP_4)
	v_ashrrev_i32_e32 v5, 31, v4
	v_mov_b32_e32 v6, 0
	v_mov_b32_e32 v7, 0
	v_add_co_ci_u32_e32 v15, vcc_lo, v75, v3, vcc_lo
	v_lshlrev_b64 v[4:5], 3, v[4:5]
	s_and_b32 vcc_lo, exec_lo, s0
	global_store_b64 v[14:15], v[12:13], off
	s_cbranch_vccnz .LBB129_67
; %bb.66:
	v_add_co_u32 v6, vcc_lo, v72, v4
	v_add_co_ci_u32_e32 v7, vcc_lo, v73, v5, vcc_lo
	flat_load_b64 v[6:7], v[6:7]
	s_waitcnt vmcnt(0) lgkmcnt(0)
	v_mul_f64 v[6:7], s[10:11], v[6:7]
.LBB129_67:
	scratch_load_b64 v[12:13], off, off offset:24
	s_waitcnt vmcnt(1)
	v_add_f64 v[10:11], v[10:11], v[6:7]
	v_add_nc_u32_e32 v6, 12, v16
	v_add_co_u32 v14, vcc_lo, v74, v4
	v_add_co_ci_u32_e32 v15, vcc_lo, v75, v5, vcc_lo
	s_delay_alu instid0(VALU_DEP_3) | instskip(SKIP_1) | instid1(VALU_DEP_1)
	v_ashrrev_i32_e32 v7, 31, v6
	s_and_b32 vcc_lo, exec_lo, s0
	v_lshlrev_b64 v[6:7], 3, v[6:7]
	global_store_b64 v[14:15], v[10:11], off
	s_cbranch_vccnz .LBB129_69
; %bb.68:
	v_add_co_u32 v8, vcc_lo, v72, v6
	v_add_co_ci_u32_e32 v9, vcc_lo, v73, v7, vcc_lo
	flat_load_b64 v[8:9], v[8:9]
	s_waitcnt vmcnt(0) lgkmcnt(0)
	v_mul_f64 v[8:9], s[10:11], v[8:9]
.LBB129_69:
	scratch_load_b64 v[10:11], off, off offset:32
	s_waitcnt vmcnt(1)
	v_add_f64 v[17:18], v[12:13], v[8:9]
	v_add_nc_u32_e32 v8, 16, v16
	v_mov_b32_e32 v12, 0
	v_mov_b32_e32 v13, 0
	v_add_co_u32 v19, vcc_lo, v74, v6
	s_delay_alu instid0(VALU_DEP_4) | instskip(SKIP_3) | instid1(VALU_DEP_4)
	v_ashrrev_i32_e32 v9, 31, v8
	v_mov_b32_e32 v14, 0
	v_mov_b32_e32 v15, 0
	v_add_co_ci_u32_e32 v20, vcc_lo, v75, v7, vcc_lo
	v_lshlrev_b64 v[8:9], 3, v[8:9]
	s_and_b32 vcc_lo, exec_lo, s0
	global_store_b64 v[19:20], v[17:18], off
	s_cbranch_vccnz .LBB129_71
; %bb.70:
	v_add_co_u32 v14, vcc_lo, v72, v8
	v_add_co_ci_u32_e32 v15, vcc_lo, v73, v9, vcc_lo
	flat_load_b64 v[14:15], v[14:15]
	s_waitcnt vmcnt(0) lgkmcnt(0)
	v_mul_f64 v[14:15], s[10:11], v[14:15]
.LBB129_71:
	scratch_load_b64 v[17:18], off, off offset:40
	s_waitcnt vmcnt(1)
	v_add_f64 v[14:15], v[10:11], v[14:15]
	v_add_nc_u32_e32 v10, 20, v16
	v_add_co_u32 v19, vcc_lo, v74, v8
	v_add_co_ci_u32_e32 v20, vcc_lo, v75, v9, vcc_lo
	s_delay_alu instid0(VALU_DEP_3) | instskip(SKIP_1) | instid1(VALU_DEP_1)
	v_ashrrev_i32_e32 v11, 31, v10
	s_and_b32 vcc_lo, exec_lo, s0
	v_lshlrev_b64 v[10:11], 3, v[10:11]
	global_store_b64 v[19:20], v[14:15], off
	s_cbranch_vccnz .LBB129_73
; %bb.72:
	v_add_co_u32 v12, vcc_lo, v72, v10
	v_add_co_ci_u32_e32 v13, vcc_lo, v73, v11, vcc_lo
	flat_load_b64 v[12:13], v[12:13]
	s_waitcnt vmcnt(0) lgkmcnt(0)
	v_mul_f64 v[12:13], s[10:11], v[12:13]
.LBB129_73:
	scratch_load_b64 v[14:15], off, off offset:48
	s_waitcnt vmcnt(1)
	v_add_f64 v[21:22], v[17:18], v[12:13]
	v_dual_mov_b32 v17, 0 :: v_dual_add_nc_u32 v12, 24, v16
	v_add_co_u32 v23, vcc_lo, v74, v10
	v_dual_mov_b32 v18, 0 :: v_dual_mov_b32 v19, 0
	s_delay_alu instid0(VALU_DEP_3) | instskip(SKIP_3) | instid1(VALU_DEP_3)
	v_ashrrev_i32_e32 v13, 31, v12
	v_add_co_ci_u32_e32 v24, vcc_lo, v75, v11, vcc_lo
	v_mov_b32_e32 v20, 0
	s_and_b32 vcc_lo, exec_lo, s0
	v_lshlrev_b64 v[12:13], 3, v[12:13]
	global_store_b64 v[23:24], v[21:22], off
	s_cbranch_vccnz .LBB129_75
; %bb.74:
	v_add_co_u32 v19, vcc_lo, v72, v12
	v_add_co_ci_u32_e32 v20, vcc_lo, v73, v13, vcc_lo
	flat_load_b64 v[19:20], v[19:20]
	s_waitcnt vmcnt(0) lgkmcnt(0)
	v_mul_f64 v[19:20], s[10:11], v[19:20]
.LBB129_75:
	scratch_load_b64 v[21:22], off, off offset:56
	s_waitcnt vmcnt(1)
	v_add_f64 v[19:20], v[14:15], v[19:20]
	v_add_nc_u32_e32 v14, 28, v16
	v_add_co_u32 v23, vcc_lo, v74, v12
	v_add_co_ci_u32_e32 v24, vcc_lo, v75, v13, vcc_lo
	s_delay_alu instid0(VALU_DEP_3) | instskip(SKIP_1) | instid1(VALU_DEP_1)
	v_ashrrev_i32_e32 v15, 31, v14
	s_and_b32 vcc_lo, exec_lo, s0
	v_lshlrev_b64 v[14:15], 3, v[14:15]
	global_store_b64 v[23:24], v[19:20], off
	s_cbranch_vccnz .LBB129_77
; %bb.76:
	v_add_co_u32 v17, vcc_lo, v72, v14
	v_add_co_ci_u32_e32 v18, vcc_lo, v73, v15, vcc_lo
	flat_load_b64 v[17:18], v[17:18]
	s_waitcnt vmcnt(0) lgkmcnt(0)
	v_mul_f64 v[17:18], s[10:11], v[17:18]
.LBB129_77:
	scratch_load_b64 v[19:20], off, off offset:64
	s_waitcnt vmcnt(1)
	v_add_f64 v[25:26], v[21:22], v[17:18]
	v_add_nc_u32_e32 v17, 32, v16
	v_mov_b32_e32 v21, 0
	v_mov_b32_e32 v22, 0
	v_add_co_u32 v27, vcc_lo, v74, v14
	s_delay_alu instid0(VALU_DEP_4) | instskip(SKIP_3) | instid1(VALU_DEP_4)
	v_ashrrev_i32_e32 v18, 31, v17
	v_mov_b32_e32 v23, 0
	v_mov_b32_e32 v24, 0
	v_add_co_ci_u32_e32 v28, vcc_lo, v75, v15, vcc_lo
	v_lshlrev_b64 v[17:18], 3, v[17:18]
	s_and_b32 vcc_lo, exec_lo, s0
	global_store_b64 v[27:28], v[25:26], off
	s_cbranch_vccnz .LBB129_79
; %bb.78:
	v_add_co_u32 v23, vcc_lo, v72, v17
	v_add_co_ci_u32_e32 v24, vcc_lo, v73, v18, vcc_lo
	flat_load_b64 v[23:24], v[23:24]
	s_waitcnt vmcnt(0) lgkmcnt(0)
	v_mul_f64 v[23:24], s[10:11], v[23:24]
.LBB129_79:
	scratch_load_b64 v[25:26], off, off offset:72
	s_waitcnt vmcnt(1)
	v_add_f64 v[23:24], v[19:20], v[23:24]
	v_add_nc_u32_e32 v19, 36, v16
	v_add_co_u32 v27, vcc_lo, v74, v17
	v_add_co_ci_u32_e32 v28, vcc_lo, v75, v18, vcc_lo
	s_delay_alu instid0(VALU_DEP_3) | instskip(SKIP_1) | instid1(VALU_DEP_1)
	v_ashrrev_i32_e32 v20, 31, v19
	s_and_b32 vcc_lo, exec_lo, s0
	v_lshlrev_b64 v[19:20], 3, v[19:20]
	global_store_b64 v[27:28], v[23:24], off
	s_cbranch_vccnz .LBB129_81
; %bb.80:
	v_add_co_u32 v21, vcc_lo, v72, v19
	v_add_co_ci_u32_e32 v22, vcc_lo, v73, v20, vcc_lo
	flat_load_b64 v[21:22], v[21:22]
	s_waitcnt vmcnt(0) lgkmcnt(0)
	v_mul_f64 v[21:22], s[10:11], v[21:22]
.LBB129_81:
	scratch_load_b64 v[23:24], off, off offset:80
	s_waitcnt vmcnt(1)
	v_add_f64 v[29:30], v[25:26], v[21:22]
	v_add_nc_u32_e32 v21, 40, v16
	v_mov_b32_e32 v25, 0
	v_mov_b32_e32 v26, 0
	v_add_co_u32 v31, vcc_lo, v74, v19
	s_delay_alu instid0(VALU_DEP_4) | instskip(SKIP_3) | instid1(VALU_DEP_4)
	v_ashrrev_i32_e32 v22, 31, v21
	v_mov_b32_e32 v27, 0
	v_mov_b32_e32 v28, 0
	v_add_co_ci_u32_e32 v32, vcc_lo, v75, v20, vcc_lo
	v_lshlrev_b64 v[21:22], 3, v[21:22]
	s_and_b32 vcc_lo, exec_lo, s0
	;; [unrolled: 42-line block ×12, first 2 shown]
	global_store_b64 v[76:77], v[67:68], off
	s_cbranch_vccnz .LBB129_123
; %bb.122:
	v_add_co_u32 v67, vcc_lo, v72, v61
	v_add_co_ci_u32_e32 v68, vcc_lo, v73, v62, vcc_lo
	flat_load_b64 v[67:68], v[67:68]
	s_waitcnt vmcnt(0) lgkmcnt(0)
	v_mul_f64 v[69:70], s[10:11], v[67:68]
.LBB129_123:
	scratch_load_b64 v[67:68], off, off offset:248
	s_waitcnt vmcnt(1)
	v_add_f64 v[69:70], v[63:64], v[69:70]
	v_add_nc_u32_e32 v63, 0x7c, v16
	v_add_co_u32 v76, vcc_lo, v74, v61
	v_add_co_ci_u32_e32 v77, vcc_lo, v75, v62, vcc_lo
	s_delay_alu instid0(VALU_DEP_3) | instskip(SKIP_1) | instid1(VALU_DEP_1)
	v_ashrrev_i32_e32 v64, 31, v63
	s_and_b32 vcc_lo, exec_lo, s0
	v_lshlrev_b64 v[63:64], 3, v[63:64]
	global_store_b64 v[76:77], v[69:70], off
	s_cbranch_vccnz .LBB129_125
; %bb.124:
	v_add_co_u32 v65, vcc_lo, v72, v63
	v_add_co_ci_u32_e32 v66, vcc_lo, v73, v64, vcc_lo
	flat_load_b64 v[65:66], v[65:66]
	s_waitcnt vmcnt(0) lgkmcnt(0)
	v_mul_f64 v[65:66], s[10:11], v[65:66]
.LBB129_125:
	scratch_load_b64 v[69:70], off, off offset:256
	s_waitcnt vmcnt(1)
	v_add_f64 v[67:68], v[67:68], v[65:66]
	v_add_nc_u32_e32 v76, 64, v71
	v_add_co_u32 v74, vcc_lo, v74, v63
	v_add_co_ci_u32_e32 v75, vcc_lo, v75, v64, vcc_lo
	s_delay_alu instid0(VALU_DEP_3) | instskip(SKIP_2) | instid1(VALU_DEP_3)
	v_mad_i64_i32 v[65:66], null, v76, s3, 0
	v_mov_b32_e32 v71, 0
	v_mov_b32_e32 v72, 0
	v_lshlrev_b64 v[77:78], 3, v[65:66]
	v_mov_b32_e32 v65, 0
	v_mov_b32_e32 v66, 0
	s_delay_alu instid0(VALU_DEP_3) | instskip(NEXT) | instid1(VALU_DEP_4)
	v_add_co_u32 v16, vcc_lo, s8, v77
	v_add_co_ci_u32_e32 v73, vcc_lo, s9, v78, vcc_lo
	s_mov_b32 vcc_lo, s2
	global_store_b64 v[74:75], v[67:68], off
	s_cbranch_vccz .LBB129_127
; %bb.126:
	v_add_co_u32 v67, vcc_lo, v16, v0
	v_add_co_ci_u32_e32 v68, vcc_lo, v73, v1, vcc_lo
	flat_load_b64 v[67:68], v[67:68]
	s_waitcnt vmcnt(0) lgkmcnt(0)
	v_mul_f64 v[71:72], s[10:11], v[67:68]
.LBB129_127:
	scratch_load_b64 v[67:68], off, off offset:264
	s_waitcnt vmcnt(1)
	v_add_f64 v[69:70], v[69:70], v[71:72]
	v_mad_i64_i32 v[71:72], null, v76, s6, 0
	s_delay_alu instid0(VALU_DEP_1) | instskip(NEXT) | instid1(VALU_DEP_1)
	v_lshlrev_b64 v[71:72], 3, v[71:72]
	v_add_co_u32 v71, vcc_lo, s1, v71
	s_delay_alu instid0(VALU_DEP_2) | instskip(NEXT) | instid1(VALU_DEP_2)
	v_add_co_ci_u32_e32 v72, vcc_lo, s4, v72, vcc_lo
	v_add_co_u32 v0, vcc_lo, v71, v0
	s_delay_alu instid0(VALU_DEP_2)
	v_add_co_ci_u32_e32 v1, vcc_lo, v72, v1, vcc_lo
	s_and_b32 vcc_lo, exec_lo, s0
	global_store_b64 v[0:1], v[69:70], off
	s_cbranch_vccnz .LBB129_129
; %bb.128:
	v_add_co_u32 v0, vcc_lo, v16, v2
	v_add_co_ci_u32_e32 v1, vcc_lo, v73, v3, vcc_lo
	flat_load_b64 v[0:1], v[0:1]
	s_waitcnt vmcnt(0) lgkmcnt(0)
	v_mul_f64 v[65:66], s[10:11], v[0:1]
.LBB129_129:
	scratch_load_b64 v[69:70], off, off offset:272
	s_waitcnt vmcnt(1)
	v_add_f64 v[65:66], v[67:68], v[65:66]
	v_add_co_u32 v67, vcc_lo, v71, v2
	v_mov_b32_e32 v0, 0
	v_add_co_ci_u32_e32 v68, vcc_lo, v72, v3, vcc_lo
	v_dual_mov_b32 v1, 0 :: v_dual_mov_b32 v2, 0
	v_mov_b32_e32 v3, 0
	s_and_b32 vcc_lo, exec_lo, s0
	global_store_b64 v[67:68], v[65:66], off
	s_cbranch_vccnz .LBB129_131
; %bb.130:
	v_add_co_u32 v2, vcc_lo, v16, v4
	v_add_co_ci_u32_e32 v3, vcc_lo, v73, v5, vcc_lo
	flat_load_b64 v[2:3], v[2:3]
	s_waitcnt vmcnt(0) lgkmcnt(0)
	v_mul_f64 v[2:3], s[10:11], v[2:3]
.LBB129_131:
	scratch_load_b64 v[65:66], off, off offset:280
	s_waitcnt vmcnt(1)
	v_add_f64 v[2:3], v[69:70], v[2:3]
	v_add_co_u32 v4, vcc_lo, v71, v4
	v_add_co_ci_u32_e32 v5, vcc_lo, v72, v5, vcc_lo
	s_and_b32 vcc_lo, exec_lo, s0
	global_store_b64 v[4:5], v[2:3], off
	s_cbranch_vccnz .LBB129_133
; %bb.132:
	v_add_co_u32 v0, vcc_lo, v16, v6
	v_add_co_ci_u32_e32 v1, vcc_lo, v73, v7, vcc_lo
	flat_load_b64 v[0:1], v[0:1]
	s_waitcnt vmcnt(0) lgkmcnt(0)
	v_mul_f64 v[0:1], s[10:11], v[0:1]
.LBB129_133:
	scratch_load_b64 v[2:3], off, off offset:288
	s_waitcnt vmcnt(1)
	v_add_f64 v[4:5], v[65:66], v[0:1]
	v_add_co_u32 v65, vcc_lo, v71, v6
	v_mov_b32_e32 v0, 0
	v_add_co_ci_u32_e32 v66, vcc_lo, v72, v7, vcc_lo
	v_dual_mov_b32 v1, 0 :: v_dual_mov_b32 v6, 0
	v_mov_b32_e32 v7, 0
	s_and_b32 vcc_lo, exec_lo, s0
	global_store_b64 v[65:66], v[4:5], off
	s_cbranch_vccnz .LBB129_135
; %bb.134:
	v_add_co_u32 v4, vcc_lo, v16, v8
	v_add_co_ci_u32_e32 v5, vcc_lo, v73, v9, vcc_lo
	flat_load_b64 v[4:5], v[4:5]
	s_waitcnt vmcnt(0) lgkmcnt(0)
	v_mul_f64 v[6:7], s[10:11], v[4:5]
.LBB129_135:
	scratch_load_b64 v[4:5], off, off offset:296
	s_waitcnt vmcnt(1)
	v_add_f64 v[2:3], v[2:3], v[6:7]
	v_add_co_u32 v6, vcc_lo, v71, v8
	v_add_co_ci_u32_e32 v7, vcc_lo, v72, v9, vcc_lo
	s_and_b32 vcc_lo, exec_lo, s0
	global_store_b64 v[6:7], v[2:3], off
	s_cbranch_vccnz .LBB129_137
; %bb.136:
	v_add_co_u32 v0, vcc_lo, v16, v10
	v_add_co_ci_u32_e32 v1, vcc_lo, v73, v11, vcc_lo
	flat_load_b64 v[0:1], v[0:1]
	s_waitcnt vmcnt(0) lgkmcnt(0)
	v_mul_f64 v[0:1], s[10:11], v[0:1]
.LBB129_137:
	scratch_load_b64 v[2:3], off, off offset:304
	s_waitcnt vmcnt(1)
	v_add_f64 v[4:5], v[4:5], v[0:1]
	v_add_co_u32 v8, vcc_lo, v71, v10
	v_mov_b32_e32 v0, 0
	v_dual_mov_b32 v1, 0 :: v_dual_mov_b32 v6, 0
	v_add_co_ci_u32_e32 v9, vcc_lo, v72, v11, vcc_lo
	v_mov_b32_e32 v7, 0
	s_and_b32 vcc_lo, exec_lo, s0
	global_store_b64 v[8:9], v[4:5], off
	s_cbranch_vccnz .LBB129_139
; %bb.138:
	v_add_co_u32 v4, vcc_lo, v16, v12
	v_add_co_ci_u32_e32 v5, vcc_lo, v73, v13, vcc_lo
	flat_load_b64 v[4:5], v[4:5]
	s_waitcnt vmcnt(0) lgkmcnt(0)
	v_mul_f64 v[6:7], s[10:11], v[4:5]
.LBB129_139:
	scratch_load_b64 v[4:5], off, off offset:312
	s_waitcnt vmcnt(1)
	v_add_f64 v[2:3], v[2:3], v[6:7]
	v_add_co_u32 v6, vcc_lo, v71, v12
	v_add_co_ci_u32_e32 v7, vcc_lo, v72, v13, vcc_lo
	s_and_b32 vcc_lo, exec_lo, s0
	global_store_b64 v[6:7], v[2:3], off
	s_cbranch_vccnz .LBB129_141
; %bb.140:
	v_add_co_u32 v0, vcc_lo, v16, v14
	v_add_co_ci_u32_e32 v1, vcc_lo, v73, v15, vcc_lo
	flat_load_b64 v[0:1], v[0:1]
	s_waitcnt vmcnt(0) lgkmcnt(0)
	v_mul_f64 v[0:1], s[10:11], v[0:1]
.LBB129_141:
	scratch_load_b64 v[2:3], off, off offset:320
	s_waitcnt vmcnt(1)
	v_add_f64 v[4:5], v[4:5], v[0:1]
	v_add_co_u32 v8, vcc_lo, v71, v14
	v_mov_b32_e32 v0, 0
	v_dual_mov_b32 v1, 0 :: v_dual_mov_b32 v6, 0
	v_add_co_ci_u32_e32 v9, vcc_lo, v72, v15, vcc_lo
	v_mov_b32_e32 v7, 0
	s_and_b32 vcc_lo, exec_lo, s0
	global_store_b64 v[8:9], v[4:5], off
	s_cbranch_vccnz .LBB129_143
; %bb.142:
	v_add_co_u32 v4, vcc_lo, v16, v17
	v_add_co_ci_u32_e32 v5, vcc_lo, v73, v18, vcc_lo
	flat_load_b64 v[4:5], v[4:5]
	s_waitcnt vmcnt(0) lgkmcnt(0)
	v_mul_f64 v[6:7], s[10:11], v[4:5]
.LBB129_143:
	scratch_load_b64 v[4:5], off, off offset:328
	s_waitcnt vmcnt(1)
	v_add_f64 v[2:3], v[2:3], v[6:7]
	v_add_co_u32 v6, vcc_lo, v71, v17
	v_add_co_ci_u32_e32 v7, vcc_lo, v72, v18, vcc_lo
	s_and_b32 vcc_lo, exec_lo, s0
	global_store_b64 v[6:7], v[2:3], off
	s_cbranch_vccnz .LBB129_145
; %bb.144:
	v_add_co_u32 v0, vcc_lo, v16, v19
	v_add_co_ci_u32_e32 v1, vcc_lo, v73, v20, vcc_lo
	flat_load_b64 v[0:1], v[0:1]
	s_waitcnt vmcnt(0) lgkmcnt(0)
	v_mul_f64 v[0:1], s[10:11], v[0:1]
.LBB129_145:
	scratch_load_b64 v[2:3], off, off offset:336
	s_waitcnt vmcnt(1)
	v_add_f64 v[4:5], v[4:5], v[0:1]
	v_add_co_u32 v8, vcc_lo, v71, v19
	v_mov_b32_e32 v0, 0
	v_dual_mov_b32 v1, 0 :: v_dual_mov_b32 v6, 0
	v_add_co_ci_u32_e32 v9, vcc_lo, v72, v20, vcc_lo
	v_mov_b32_e32 v7, 0
	s_and_b32 vcc_lo, exec_lo, s0
	global_store_b64 v[8:9], v[4:5], off
	s_cbranch_vccnz .LBB129_147
; %bb.146:
	v_add_co_u32 v4, vcc_lo, v16, v21
	v_add_co_ci_u32_e32 v5, vcc_lo, v73, v22, vcc_lo
	flat_load_b64 v[4:5], v[4:5]
	s_waitcnt vmcnt(0) lgkmcnt(0)
	v_mul_f64 v[6:7], s[10:11], v[4:5]
.LBB129_147:
	scratch_load_b64 v[4:5], off, off offset:344
	s_waitcnt vmcnt(1)
	v_add_f64 v[2:3], v[2:3], v[6:7]
	v_add_co_u32 v6, vcc_lo, v71, v21
	v_add_co_ci_u32_e32 v7, vcc_lo, v72, v22, vcc_lo
	s_and_b32 vcc_lo, exec_lo, s0
	global_store_b64 v[6:7], v[2:3], off
	s_cbranch_vccnz .LBB129_149
; %bb.148:
	v_add_co_u32 v0, vcc_lo, v16, v23
	v_add_co_ci_u32_e32 v1, vcc_lo, v73, v24, vcc_lo
	flat_load_b64 v[0:1], v[0:1]
	s_waitcnt vmcnt(0) lgkmcnt(0)
	v_mul_f64 v[0:1], s[10:11], v[0:1]
.LBB129_149:
	scratch_load_b64 v[2:3], off, off offset:352
	s_waitcnt vmcnt(1)
	v_add_f64 v[4:5], v[4:5], v[0:1]
	v_add_co_u32 v8, vcc_lo, v71, v23
	v_mov_b32_e32 v0, 0
	v_dual_mov_b32 v1, 0 :: v_dual_mov_b32 v6, 0
	v_add_co_ci_u32_e32 v9, vcc_lo, v72, v24, vcc_lo
	v_mov_b32_e32 v7, 0
	s_and_b32 vcc_lo, exec_lo, s0
	global_store_b64 v[8:9], v[4:5], off
	s_cbranch_vccnz .LBB129_151
; %bb.150:
	v_add_co_u32 v4, vcc_lo, v16, v25
	v_add_co_ci_u32_e32 v5, vcc_lo, v73, v26, vcc_lo
	flat_load_b64 v[4:5], v[4:5]
	s_waitcnt vmcnt(0) lgkmcnt(0)
	v_mul_f64 v[6:7], s[10:11], v[4:5]
.LBB129_151:
	scratch_load_b64 v[4:5], off, off offset:360
	s_waitcnt vmcnt(1)
	v_add_f64 v[2:3], v[2:3], v[6:7]
	v_add_co_u32 v6, vcc_lo, v71, v25
	v_add_co_ci_u32_e32 v7, vcc_lo, v72, v26, vcc_lo
	s_and_b32 vcc_lo, exec_lo, s0
	global_store_b64 v[6:7], v[2:3], off
	s_cbranch_vccnz .LBB129_153
; %bb.152:
	v_add_co_u32 v0, vcc_lo, v16, v27
	v_add_co_ci_u32_e32 v1, vcc_lo, v73, v28, vcc_lo
	flat_load_b64 v[0:1], v[0:1]
	s_waitcnt vmcnt(0) lgkmcnt(0)
	v_mul_f64 v[0:1], s[10:11], v[0:1]
.LBB129_153:
	scratch_load_b64 v[2:3], off, off offset:368
	s_waitcnt vmcnt(1)
	v_add_f64 v[4:5], v[4:5], v[0:1]
	v_add_co_u32 v8, vcc_lo, v71, v27
	v_mov_b32_e32 v0, 0
	v_dual_mov_b32 v1, 0 :: v_dual_mov_b32 v6, 0
	v_add_co_ci_u32_e32 v9, vcc_lo, v72, v28, vcc_lo
	v_mov_b32_e32 v7, 0
	s_and_b32 vcc_lo, exec_lo, s0
	global_store_b64 v[8:9], v[4:5], off
	s_cbranch_vccnz .LBB129_155
; %bb.154:
	v_add_co_u32 v4, vcc_lo, v16, v29
	v_add_co_ci_u32_e32 v5, vcc_lo, v73, v30, vcc_lo
	flat_load_b64 v[4:5], v[4:5]
	s_waitcnt vmcnt(0) lgkmcnt(0)
	v_mul_f64 v[6:7], s[10:11], v[4:5]
.LBB129_155:
	scratch_load_b64 v[4:5], off, off offset:376
	s_waitcnt vmcnt(1)
	v_add_f64 v[2:3], v[2:3], v[6:7]
	v_add_co_u32 v6, vcc_lo, v71, v29
	v_add_co_ci_u32_e32 v7, vcc_lo, v72, v30, vcc_lo
	s_and_b32 vcc_lo, exec_lo, s0
	global_store_b64 v[6:7], v[2:3], off
	s_cbranch_vccnz .LBB129_157
; %bb.156:
	v_add_co_u32 v0, vcc_lo, v16, v31
	v_add_co_ci_u32_e32 v1, vcc_lo, v73, v32, vcc_lo
	flat_load_b64 v[0:1], v[0:1]
	s_waitcnt vmcnt(0) lgkmcnt(0)
	v_mul_f64 v[0:1], s[10:11], v[0:1]
.LBB129_157:
	scratch_load_b64 v[2:3], off, off offset:384
	s_waitcnt vmcnt(1)
	v_add_f64 v[4:5], v[4:5], v[0:1]
	v_add_co_u32 v8, vcc_lo, v71, v31
	v_mov_b32_e32 v0, 0
	v_dual_mov_b32 v1, 0 :: v_dual_mov_b32 v6, 0
	v_add_co_ci_u32_e32 v9, vcc_lo, v72, v32, vcc_lo
	v_mov_b32_e32 v7, 0
	s_and_b32 vcc_lo, exec_lo, s0
	global_store_b64 v[8:9], v[4:5], off
	s_cbranch_vccnz .LBB129_159
; %bb.158:
	v_add_co_u32 v4, vcc_lo, v16, v33
	v_add_co_ci_u32_e32 v5, vcc_lo, v73, v34, vcc_lo
	flat_load_b64 v[4:5], v[4:5]
	s_waitcnt vmcnt(0) lgkmcnt(0)
	v_mul_f64 v[6:7], s[10:11], v[4:5]
.LBB129_159:
	scratch_load_b64 v[4:5], off, off offset:392
	s_waitcnt vmcnt(1)
	v_add_f64 v[2:3], v[2:3], v[6:7]
	v_add_co_u32 v6, vcc_lo, v71, v33
	v_add_co_ci_u32_e32 v7, vcc_lo, v72, v34, vcc_lo
	s_and_b32 vcc_lo, exec_lo, s0
	global_store_b64 v[6:7], v[2:3], off
	s_cbranch_vccnz .LBB129_161
; %bb.160:
	v_add_co_u32 v0, vcc_lo, v16, v35
	v_add_co_ci_u32_e32 v1, vcc_lo, v73, v36, vcc_lo
	flat_load_b64 v[0:1], v[0:1]
	s_waitcnt vmcnt(0) lgkmcnt(0)
	v_mul_f64 v[0:1], s[10:11], v[0:1]
.LBB129_161:
	scratch_load_b64 v[2:3], off, off offset:400
	s_waitcnt vmcnt(1)
	v_add_f64 v[4:5], v[4:5], v[0:1]
	v_add_co_u32 v8, vcc_lo, v71, v35
	v_mov_b32_e32 v0, 0
	v_dual_mov_b32 v1, 0 :: v_dual_mov_b32 v6, 0
	v_add_co_ci_u32_e32 v9, vcc_lo, v72, v36, vcc_lo
	v_mov_b32_e32 v7, 0
	s_and_b32 vcc_lo, exec_lo, s0
	global_store_b64 v[8:9], v[4:5], off
	s_cbranch_vccnz .LBB129_163
; %bb.162:
	v_add_co_u32 v4, vcc_lo, v16, v37
	v_add_co_ci_u32_e32 v5, vcc_lo, v73, v38, vcc_lo
	flat_load_b64 v[4:5], v[4:5]
	s_waitcnt vmcnt(0) lgkmcnt(0)
	v_mul_f64 v[6:7], s[10:11], v[4:5]
.LBB129_163:
	scratch_load_b64 v[4:5], off, off offset:408
	s_waitcnt vmcnt(1)
	v_add_f64 v[2:3], v[2:3], v[6:7]
	v_add_co_u32 v6, vcc_lo, v71, v37
	v_add_co_ci_u32_e32 v7, vcc_lo, v72, v38, vcc_lo
	s_and_b32 vcc_lo, exec_lo, s0
	global_store_b64 v[6:7], v[2:3], off
	s_cbranch_vccnz .LBB129_165
; %bb.164:
	v_add_co_u32 v0, vcc_lo, v16, v39
	v_add_co_ci_u32_e32 v1, vcc_lo, v73, v40, vcc_lo
	flat_load_b64 v[0:1], v[0:1]
	s_waitcnt vmcnt(0) lgkmcnt(0)
	v_mul_f64 v[0:1], s[10:11], v[0:1]
.LBB129_165:
	scratch_load_b64 v[2:3], off, off offset:416
	s_waitcnt vmcnt(1)
	v_add_f64 v[4:5], v[4:5], v[0:1]
	v_add_co_u32 v8, vcc_lo, v71, v39
	v_mov_b32_e32 v0, 0
	v_dual_mov_b32 v1, 0 :: v_dual_mov_b32 v6, 0
	v_add_co_ci_u32_e32 v9, vcc_lo, v72, v40, vcc_lo
	v_mov_b32_e32 v7, 0
	s_and_b32 vcc_lo, exec_lo, s0
	global_store_b64 v[8:9], v[4:5], off
	s_cbranch_vccnz .LBB129_167
; %bb.166:
	v_add_co_u32 v4, vcc_lo, v16, v41
	v_add_co_ci_u32_e32 v5, vcc_lo, v73, v42, vcc_lo
	flat_load_b64 v[4:5], v[4:5]
	s_waitcnt vmcnt(0) lgkmcnt(0)
	v_mul_f64 v[6:7], s[10:11], v[4:5]
.LBB129_167:
	scratch_load_b64 v[4:5], off, off offset:424
	s_waitcnt vmcnt(1)
	v_add_f64 v[2:3], v[2:3], v[6:7]
	v_add_co_u32 v6, vcc_lo, v71, v41
	v_add_co_ci_u32_e32 v7, vcc_lo, v72, v42, vcc_lo
	s_and_b32 vcc_lo, exec_lo, s0
	global_store_b64 v[6:7], v[2:3], off
	s_cbranch_vccnz .LBB129_169
; %bb.168:
	v_add_co_u32 v0, vcc_lo, v16, v43
	v_add_co_ci_u32_e32 v1, vcc_lo, v73, v44, vcc_lo
	flat_load_b64 v[0:1], v[0:1]
	s_waitcnt vmcnt(0) lgkmcnt(0)
	v_mul_f64 v[0:1], s[10:11], v[0:1]
.LBB129_169:
	scratch_load_b64 v[2:3], off, off offset:432
	s_waitcnt vmcnt(1)
	v_add_f64 v[4:5], v[4:5], v[0:1]
	v_add_co_u32 v8, vcc_lo, v71, v43
	v_mov_b32_e32 v0, 0
	v_dual_mov_b32 v1, 0 :: v_dual_mov_b32 v6, 0
	v_add_co_ci_u32_e32 v9, vcc_lo, v72, v44, vcc_lo
	v_mov_b32_e32 v7, 0
	s_and_b32 vcc_lo, exec_lo, s0
	global_store_b64 v[8:9], v[4:5], off
	s_cbranch_vccnz .LBB129_171
; %bb.170:
	v_add_co_u32 v4, vcc_lo, v16, v45
	v_add_co_ci_u32_e32 v5, vcc_lo, v73, v46, vcc_lo
	flat_load_b64 v[4:5], v[4:5]
	s_waitcnt vmcnt(0) lgkmcnt(0)
	v_mul_f64 v[6:7], s[10:11], v[4:5]
.LBB129_171:
	scratch_load_b64 v[4:5], off, off offset:440
	s_waitcnt vmcnt(1)
	v_add_f64 v[2:3], v[2:3], v[6:7]
	v_add_co_u32 v6, vcc_lo, v71, v45
	v_add_co_ci_u32_e32 v7, vcc_lo, v72, v46, vcc_lo
	s_and_b32 vcc_lo, exec_lo, s0
	global_store_b64 v[6:7], v[2:3], off
	s_cbranch_vccnz .LBB129_173
; %bb.172:
	v_add_co_u32 v0, vcc_lo, v16, v47
	v_add_co_ci_u32_e32 v1, vcc_lo, v73, v48, vcc_lo
	flat_load_b64 v[0:1], v[0:1]
	s_waitcnt vmcnt(0) lgkmcnt(0)
	v_mul_f64 v[0:1], s[10:11], v[0:1]
.LBB129_173:
	scratch_load_b64 v[2:3], off, off offset:448
	s_waitcnt vmcnt(1)
	v_add_f64 v[4:5], v[4:5], v[0:1]
	v_add_co_u32 v8, vcc_lo, v71, v47
	v_mov_b32_e32 v0, 0
	v_dual_mov_b32 v1, 0 :: v_dual_mov_b32 v6, 0
	v_add_co_ci_u32_e32 v9, vcc_lo, v72, v48, vcc_lo
	v_mov_b32_e32 v7, 0
	s_and_b32 vcc_lo, exec_lo, s0
	global_store_b64 v[8:9], v[4:5], off
	s_cbranch_vccnz .LBB129_175
; %bb.174:
	v_add_co_u32 v4, vcc_lo, v16, v49
	v_add_co_ci_u32_e32 v5, vcc_lo, v73, v50, vcc_lo
	flat_load_b64 v[4:5], v[4:5]
	s_waitcnt vmcnt(0) lgkmcnt(0)
	v_mul_f64 v[6:7], s[10:11], v[4:5]
.LBB129_175:
	scratch_load_b64 v[4:5], off, off offset:456
	s_waitcnt vmcnt(1)
	v_add_f64 v[2:3], v[2:3], v[6:7]
	v_add_co_u32 v6, vcc_lo, v71, v49
	v_add_co_ci_u32_e32 v7, vcc_lo, v72, v50, vcc_lo
	s_and_b32 vcc_lo, exec_lo, s0
	global_store_b64 v[6:7], v[2:3], off
	s_cbranch_vccnz .LBB129_177
; %bb.176:
	v_add_co_u32 v0, vcc_lo, v16, v51
	v_add_co_ci_u32_e32 v1, vcc_lo, v73, v52, vcc_lo
	flat_load_b64 v[0:1], v[0:1]
	s_waitcnt vmcnt(0) lgkmcnt(0)
	v_mul_f64 v[0:1], s[10:11], v[0:1]
.LBB129_177:
	scratch_load_b64 v[2:3], off, off offset:464
	s_waitcnt vmcnt(1)
	v_add_f64 v[4:5], v[4:5], v[0:1]
	v_add_co_u32 v8, vcc_lo, v71, v51
	v_mov_b32_e32 v0, 0
	v_dual_mov_b32 v1, 0 :: v_dual_mov_b32 v6, 0
	v_add_co_ci_u32_e32 v9, vcc_lo, v72, v52, vcc_lo
	v_mov_b32_e32 v7, 0
	s_and_b32 vcc_lo, exec_lo, s0
	global_store_b64 v[8:9], v[4:5], off
	s_cbranch_vccnz .LBB129_179
; %bb.178:
	v_add_co_u32 v4, vcc_lo, v16, v53
	v_add_co_ci_u32_e32 v5, vcc_lo, v73, v54, vcc_lo
	flat_load_b64 v[4:5], v[4:5]
	s_waitcnt vmcnt(0) lgkmcnt(0)
	v_mul_f64 v[6:7], s[10:11], v[4:5]
.LBB129_179:
	scratch_load_b64 v[4:5], off, off offset:472
	s_waitcnt vmcnt(1)
	v_add_f64 v[2:3], v[2:3], v[6:7]
	v_add_co_u32 v6, vcc_lo, v71, v53
	v_add_co_ci_u32_e32 v7, vcc_lo, v72, v54, vcc_lo
	s_and_b32 vcc_lo, exec_lo, s0
	global_store_b64 v[6:7], v[2:3], off
	s_cbranch_vccnz .LBB129_181
; %bb.180:
	v_add_co_u32 v0, vcc_lo, v16, v55
	v_add_co_ci_u32_e32 v1, vcc_lo, v73, v56, vcc_lo
	flat_load_b64 v[0:1], v[0:1]
	s_waitcnt vmcnt(0) lgkmcnt(0)
	v_mul_f64 v[0:1], s[10:11], v[0:1]
.LBB129_181:
	scratch_load_b64 v[2:3], off, off offset:480
	s_waitcnt vmcnt(1)
	v_add_f64 v[4:5], v[4:5], v[0:1]
	v_add_co_u32 v8, vcc_lo, v71, v55
	v_mov_b32_e32 v0, 0
	v_dual_mov_b32 v1, 0 :: v_dual_mov_b32 v6, 0
	v_add_co_ci_u32_e32 v9, vcc_lo, v72, v56, vcc_lo
	v_mov_b32_e32 v7, 0
	s_and_b32 vcc_lo, exec_lo, s0
	global_store_b64 v[8:9], v[4:5], off
	s_cbranch_vccnz .LBB129_183
; %bb.182:
	v_add_co_u32 v4, vcc_lo, v16, v57
	v_add_co_ci_u32_e32 v5, vcc_lo, v73, v58, vcc_lo
	flat_load_b64 v[4:5], v[4:5]
	s_waitcnt vmcnt(0) lgkmcnt(0)
	v_mul_f64 v[6:7], s[10:11], v[4:5]
.LBB129_183:
	scratch_load_b64 v[4:5], off, off offset:488
	s_waitcnt vmcnt(1)
	v_add_f64 v[2:3], v[2:3], v[6:7]
	v_add_co_u32 v6, vcc_lo, v71, v57
	v_add_co_ci_u32_e32 v7, vcc_lo, v72, v58, vcc_lo
	s_and_b32 vcc_lo, exec_lo, s0
	global_store_b64 v[6:7], v[2:3], off
	s_cbranch_vccnz .LBB129_185
; %bb.184:
	v_add_co_u32 v0, vcc_lo, v16, v59
	v_add_co_ci_u32_e32 v1, vcc_lo, v73, v60, vcc_lo
	flat_load_b64 v[0:1], v[0:1]
	s_waitcnt vmcnt(0) lgkmcnt(0)
	v_mul_f64 v[0:1], s[10:11], v[0:1]
.LBB129_185:
	scratch_load_b64 v[2:3], off, off offset:496
	s_waitcnt vmcnt(1)
	v_add_f64 v[4:5], v[4:5], v[0:1]
	v_add_co_u32 v8, vcc_lo, v71, v59
	v_mov_b32_e32 v0, 0
	v_dual_mov_b32 v1, 0 :: v_dual_mov_b32 v6, 0
	v_add_co_ci_u32_e32 v9, vcc_lo, v72, v60, vcc_lo
	v_mov_b32_e32 v7, 0
	s_and_b32 vcc_lo, exec_lo, s0
	global_store_b64 v[8:9], v[4:5], off
	s_cbranch_vccnz .LBB129_187
; %bb.186:
	v_add_co_u32 v4, vcc_lo, v16, v61
	v_add_co_ci_u32_e32 v5, vcc_lo, v73, v62, vcc_lo
	flat_load_b64 v[4:5], v[4:5]
	s_waitcnt vmcnt(0) lgkmcnt(0)
	v_mul_f64 v[6:7], s[10:11], v[4:5]
.LBB129_187:
	scratch_load_b64 v[4:5], off, off offset:504
	s_waitcnt vmcnt(1)
	v_add_f64 v[2:3], v[2:3], v[6:7]
	v_add_co_u32 v6, vcc_lo, v71, v61
	v_add_co_ci_u32_e32 v7, vcc_lo, v72, v62, vcc_lo
	s_and_b32 vcc_lo, exec_lo, s0
	global_store_b64 v[6:7], v[2:3], off
	s_cbranch_vccnz .LBB129_189
; %bb.188:
	v_add_co_u32 v0, vcc_lo, v16, v63
	v_add_co_ci_u32_e32 v1, vcc_lo, v73, v64, vcc_lo
	flat_load_b64 v[0:1], v[0:1]
	s_waitcnt vmcnt(0) lgkmcnt(0)
	v_mul_f64 v[0:1], s[10:11], v[0:1]
.LBB129_189:
	s_waitcnt vmcnt(0)
	s_delay_alu instid0(VALU_DEP_1)
	v_add_f64 v[0:1], v[4:5], v[0:1]
	v_add_co_u32 v2, vcc_lo, v71, v63
	v_add_co_ci_u32_e32 v3, vcc_lo, v72, v64, vcc_lo
	global_store_b64 v[2:3], v[0:1], off
	s_endpgm
	.section	.rodata,"a",@progbits
	.p2align	6, 0x0
	.amdhsa_kernel _ZN12_GLOBAL__N_120geam_min_plus_kernelIdddLi4ELi64ELi128ELi128ELi4ELi64ELi4ELi4ELi64ELc78ELc78ELb0ELb0ELb0EPKdKS2_KPdEEviiiT16_PT17_ilS8_ilS6_S8_ilPT18_ili26rocblas_geam_ex_operation_
		.amdhsa_group_segment_fixed_size 16384
		.amdhsa_private_segment_fixed_size 528
		.amdhsa_kernarg_size 136
		.amdhsa_user_sgpr_count 14
		.amdhsa_user_sgpr_dispatch_ptr 0
		.amdhsa_user_sgpr_queue_ptr 0
		.amdhsa_user_sgpr_kernarg_segment_ptr 1
		.amdhsa_user_sgpr_dispatch_id 0
		.amdhsa_user_sgpr_private_segment_size 0
		.amdhsa_wavefront_size32 1
		.amdhsa_uses_dynamic_stack 0
		.amdhsa_enable_private_segment 1
		.amdhsa_system_sgpr_workgroup_id_x 1
		.amdhsa_system_sgpr_workgroup_id_y 0
		.amdhsa_system_sgpr_workgroup_id_z 1
		.amdhsa_system_sgpr_workgroup_info 0
		.amdhsa_system_vgpr_workitem_id 1
		.amdhsa_next_free_vgpr 254
		.amdhsa_next_free_sgpr 27
		.amdhsa_reserve_vcc 1
		.amdhsa_float_round_mode_32 0
		.amdhsa_float_round_mode_16_64 0
		.amdhsa_float_denorm_mode_32 3
		.amdhsa_float_denorm_mode_16_64 3
		.amdhsa_dx10_clamp 1
		.amdhsa_ieee_mode 1
		.amdhsa_fp16_overflow 0
		.amdhsa_workgroup_processor_mode 1
		.amdhsa_memory_ordered 1
		.amdhsa_forward_progress 0
		.amdhsa_shared_vgpr_count 0
		.amdhsa_exception_fp_ieee_invalid_op 0
		.amdhsa_exception_fp_denorm_src 0
		.amdhsa_exception_fp_ieee_div_zero 0
		.amdhsa_exception_fp_ieee_overflow 0
		.amdhsa_exception_fp_ieee_underflow 0
		.amdhsa_exception_fp_ieee_inexact 0
		.amdhsa_exception_int_div_zero 0
	.end_amdhsa_kernel
	.section	.text._ZN12_GLOBAL__N_120geam_min_plus_kernelIdddLi4ELi64ELi128ELi128ELi4ELi64ELi4ELi4ELi64ELc78ELc78ELb0ELb0ELb0EPKdKS2_KPdEEviiiT16_PT17_ilS8_ilS6_S8_ilPT18_ili26rocblas_geam_ex_operation_,"axG",@progbits,_ZN12_GLOBAL__N_120geam_min_plus_kernelIdddLi4ELi64ELi128ELi128ELi4ELi64ELi4ELi4ELi64ELc78ELc78ELb0ELb0ELb0EPKdKS2_KPdEEviiiT16_PT17_ilS8_ilS6_S8_ilPT18_ili26rocblas_geam_ex_operation_,comdat
.Lfunc_end129:
	.size	_ZN12_GLOBAL__N_120geam_min_plus_kernelIdddLi4ELi64ELi128ELi128ELi4ELi64ELi4ELi4ELi64ELc78ELc78ELb0ELb0ELb0EPKdKS2_KPdEEviiiT16_PT17_ilS8_ilS6_S8_ilPT18_ili26rocblas_geam_ex_operation_, .Lfunc_end129-_ZN12_GLOBAL__N_120geam_min_plus_kernelIdddLi4ELi64ELi128ELi128ELi4ELi64ELi4ELi4ELi64ELc78ELc78ELb0ELb0ELb0EPKdKS2_KPdEEviiiT16_PT17_ilS8_ilS6_S8_ilPT18_ili26rocblas_geam_ex_operation_
                                        ; -- End function
	.section	.AMDGPU.csdata,"",@progbits
; Kernel info:
; codeLenInByte = 43628
; NumSgprs: 29
; NumVgprs: 254
; ScratchSize: 528
; MemoryBound: 1
; FloatMode: 240
; IeeeMode: 1
; LDSByteSize: 16384 bytes/workgroup (compile time only)
; SGPRBlocks: 3
; VGPRBlocks: 31
; NumSGPRsForWavesPerEU: 29
; NumVGPRsForWavesPerEU: 254
; Occupancy: 5
; WaveLimiterHint : 1
; COMPUTE_PGM_RSRC2:SCRATCH_EN: 1
; COMPUTE_PGM_RSRC2:USER_SGPR: 14
; COMPUTE_PGM_RSRC2:TRAP_HANDLER: 0
; COMPUTE_PGM_RSRC2:TGID_X_EN: 1
; COMPUTE_PGM_RSRC2:TGID_Y_EN: 0
; COMPUTE_PGM_RSRC2:TGID_Z_EN: 1
; COMPUTE_PGM_RSRC2:TIDIG_COMP_CNT: 1
	.section	.text._ZN12_GLOBAL__N_120geam_min_plus_kernelIdddLi4ELi64ELi128ELi128ELi4ELi64ELi4ELi4ELi64ELc78ELc78ELb1ELb0ELb0EdKPKdKPdEEviiiT16_PT17_ilS8_ilS6_S8_ilPT18_ili26rocblas_geam_ex_operation_,"axG",@progbits,_ZN12_GLOBAL__N_120geam_min_plus_kernelIdddLi4ELi64ELi128ELi128ELi4ELi64ELi4ELi4ELi64ELc78ELc78ELb1ELb0ELb0EdKPKdKPdEEviiiT16_PT17_ilS8_ilS6_S8_ilPT18_ili26rocblas_geam_ex_operation_,comdat
	.globl	_ZN12_GLOBAL__N_120geam_min_plus_kernelIdddLi4ELi64ELi128ELi128ELi4ELi64ELi4ELi4ELi64ELc78ELc78ELb1ELb0ELb0EdKPKdKPdEEviiiT16_PT17_ilS8_ilS6_S8_ilPT18_ili26rocblas_geam_ex_operation_ ; -- Begin function _ZN12_GLOBAL__N_120geam_min_plus_kernelIdddLi4ELi64ELi128ELi128ELi4ELi64ELi4ELi4ELi64ELc78ELc78ELb1ELb0ELb0EdKPKdKPdEEviiiT16_PT17_ilS8_ilS6_S8_ilPT18_ili26rocblas_geam_ex_operation_
	.p2align	8
	.type	_ZN12_GLOBAL__N_120geam_min_plus_kernelIdddLi4ELi64ELi128ELi128ELi4ELi64ELi4ELi4ELi64ELc78ELc78ELb1ELb0ELb0EdKPKdKPdEEviiiT16_PT17_ilS8_ilS6_S8_ilPT18_ili26rocblas_geam_ex_operation_,@function
_ZN12_GLOBAL__N_120geam_min_plus_kernelIdddLi4ELi64ELi128ELi128ELi4ELi64ELi4ELi4ELi64ELc78ELc78ELb1ELb0ELb0EdKPKdKPdEEviiiT16_PT17_ilS8_ilS6_S8_ilPT18_ili26rocblas_geam_ex_operation_: ; @_ZN12_GLOBAL__N_120geam_min_plus_kernelIdddLi4ELi64ELi128ELi128ELi4ELi64ELi4ELi4ELi64ELc78ELc78ELb1ELb0ELb0EdKPKdKPdEEviiiT16_PT17_ilS8_ilS6_S8_ilPT18_ili26rocblas_geam_ex_operation_
; %bb.0:
	s_clause 0x1
	s_load_b128 s[4:7], s[0:1], 0x10
	s_load_b128 s[8:11], s[0:1], 0x28
	s_mov_b32 s18, s15
	s_mov_b64 s[12:13], 0
	s_waitcnt lgkmcnt(0)
	v_cmp_eq_f64_e64 s2, s[4:5], 0
	s_delay_alu instid0(VALU_DEP_1)
	s_and_b32 vcc_lo, exec_lo, s2
	s_cbranch_vccnz .LBB130_2
; %bb.1:
	s_mov_b32 s19, 0
	s_delay_alu instid0(SALU_CYCLE_1) | instskip(NEXT) | instid1(SALU_CYCLE_1)
	s_lshl_b64 s[4:5], s[18:19], 3
	s_add_u32 s4, s6, s4
	s_addc_u32 s5, s7, s5
	s_lshl_b64 s[6:7], s[8:9], 3
	s_load_b64 s[4:5], s[4:5], 0x0
	s_waitcnt lgkmcnt(0)
	s_add_u32 s12, s4, s6
	s_addc_u32 s13, s5, s7
.LBB130_2:
	s_clause 0x1
	s_load_b128 s[4:7], s[0:1], 0x40
	s_load_b64 s[20:21], s[0:1], 0x50
	s_and_not1_b32 vcc_lo, exec_lo, s2
	s_cbranch_vccnz .LBB130_4
; %bb.3:
	s_mov_b32 s19, 0
	s_mov_b64 s[2:3], 0
	s_cbranch_execz .LBB130_5
	s_branch .LBB130_6
.LBB130_4:
	s_mov_b32 s19, -1
                                        ; implicit-def: $sgpr2_sgpr3
.LBB130_5:
	s_mov_b32 s19, 0
	s_delay_alu instid0(SALU_CYCLE_1) | instskip(NEXT) | instid1(SALU_CYCLE_1)
	s_lshl_b64 s[2:3], s[18:19], 3
	s_add_u32 s2, s10, s2
	s_addc_u32 s3, s11, s3
	s_waitcnt lgkmcnt(0)
	s_lshl_b64 s[4:5], s[4:5], 3
	s_load_b64 s[2:3], s[2:3], 0x0
	s_waitcnt lgkmcnt(0)
	s_add_u32 s2, s2, s4
	s_addc_u32 s3, s3, s5
.LBB130_6:
	s_waitcnt lgkmcnt(0)
	v_cmp_eq_f64_e64 s4, s[6:7], 0
	s_load_b128 s[8:11], s[0:1], 0x60
	s_mov_b64 s[16:17], 0
	s_delay_alu instid0(VALU_DEP_1)
	s_and_b32 vcc_lo, exec_lo, s4
	s_mov_b64 s[4:5], 0
	s_cbranch_vccnz .LBB130_8
; %bb.7:
	s_lshl_b64 s[4:5], s[18:19], 3
	s_delay_alu instid0(SALU_CYCLE_1)
	s_add_u32 s4, s20, s4
	s_addc_u32 s5, s21, s5
	s_waitcnt lgkmcnt(0)
	s_lshl_b64 s[8:9], s[8:9], 3
	s_load_b64 s[4:5], s[4:5], 0x0
	s_waitcnt lgkmcnt(0)
	s_add_u32 s4, s4, s8
	s_addc_u32 s5, s5, s9
.LBB130_8:
	s_clause 0x2
	s_load_b32 s17, s[0:1], 0x38
	s_load_b32 s20, s[0:1], 0x20
	s_load_b32 s15, s[0:1], 0x0
	s_waitcnt lgkmcnt(0)
	s_mov_b32 s8, 0
	v_bfe_u32 v87, v0, 10, 10
	s_mov_b32 s9, s8
	v_and_b32_e32 v86, 0x3ff, v0
	v_dual_mov_b32 v0, s8 :: v_dual_mov_b32 v1, s9
	s_lshl_b64 s[8:9], s[18:19], 3
	v_mov_b32_e32 v85, 8
	s_delay_alu instid0(VALU_DEP_3) | instskip(SKIP_2) | instid1(VALU_DEP_3)
	v_lshl_add_u32 v2, v87, 2, v86
	v_dual_mov_b32 v111, 0x88 :: v_dual_and_b32 v88, 3, v86
	v_dual_mov_b32 v97, 24 :: v_dual_lshlrev_b32 v92, 5, v86
	v_lshrrev_b32_e32 v89, 6, v2
	v_and_b32_e32 v82, 63, v2
	v_lshrrev_b32_e32 v14, 2, v2
	v_dual_mov_b32 v96, 16 :: v_dual_lshlrev_b32 v15, 3, v88
	s_ashr_i32 s19, s20, 31
	s_add_u32 s8, s10, s8
	s_addc_u32 s9, s11, s9
	s_add_i32 s10, s15, -1
	v_dual_mov_b32 v101, 56 :: v_dual_add_nc_u32 v90, 4, v89
	s_ashr_i32 s11, s10, 31
	v_mov_b32_e32 v109, 0x78
	s_lshr_b32 s11, s11, 25
	s_delay_alu instid0(VALU_DEP_2)
	v_mad_i64_i32 v[12:13], null, s20, v90, 0
	s_add_i32 s10, s10, s11
	v_lshl_or_b32 v83, v14, 5, v15
	s_ashr_i32 s10, s10, 7
	v_add_nc_u32_e32 v32, 0x800, v92
	s_add_i32 s11, s10, 1
	s_not_b32 s10, s10
	v_cvt_f32_u32_e32 v3, s11
	v_lshlrev_b64 v[12:13], 3, v[12:13]
	v_dual_mov_b32 v104, 0x50 :: v_dual_lshlrev_b32 v91, 5, v87
	v_dual_mov_b32 v98, 32 :: v_dual_mov_b32 v103, 0x48
	s_delay_alu instid0(VALU_DEP_4)
	v_rcp_iflag_f32_e32 v3, v3
	v_dual_mov_b32 v100, 48 :: v_dual_mov_b32 v105, 0x58
	v_dual_mov_b32 v102, 64 :: v_dual_mov_b32 v107, 0x68
	v_mov_b32_e32 v106, 0x60
	v_mov_b32_e32 v108, 0x70
	;; [unrolled: 1-line block ×5, first 2 shown]
	s_delay_alu instid0(TRANS32_DEP_1)
	v_mul_f32_e32 v3, 0x4f7ffffe, v3
	s_clause 0xb
	scratch_store_b64 off, v[0:1], off
	scratch_store_b64 off, v[0:1], off offset:8
	scratch_store_b64 off, v[0:1], off offset:16
	scratch_store_b64 off, v[0:1], off offset:24
	scratch_store_b64 off, v[0:1], off offset:32
	scratch_store_b64 off, v[0:1], off offset:40
	scratch_store_b64 off, v[0:1], off offset:48
	scratch_store_b64 off, v[0:1], off offset:56
	scratch_store_b64 off, v[0:1], off offset:64
	scratch_store_b64 off, v[0:1], off offset:72
	scratch_store_b64 off, v[0:1], off offset:80
	scratch_store_b64 off, v[0:1], off offset:88
	v_cvt_u32_f32_e32 v3, v3
	s_clause 0xe
	scratch_store_b64 off, v[0:1], off offset:96
	scratch_store_b64 off, v[0:1], off offset:104
	;; [unrolled: 1-line block ×15, first 2 shown]
	v_readfirstlane_b32 s15, v3
	v_mad_i64_i32 v[2:3], null, s20, v89, 0
	s_clause 0x7
	scratch_store_b64 off, v[0:1], off offset:216
	scratch_store_b64 off, v[0:1], off offset:224
	;; [unrolled: 1-line block ×8, first 2 shown]
	s_mul_i32 s10, s10, s15
	s_clause 0x1
	scratch_store_b64 off, v[0:1], off offset:280
	scratch_store_b64 off, v[0:1], off offset:288
	s_mul_hi_u32 s10, s15, s10
	s_clause 0x3
	scratch_store_b64 off, v[0:1], off offset:296
	scratch_store_b64 off, v[0:1], off offset:304
	;; [unrolled: 1-line block ×4, first 2 shown]
	s_add_i32 s15, s15, s10
	v_lshlrev_b64 v[2:3], 3, v[2:3]
	s_mul_hi_u32 s10, s14, s15
	s_clause 0x2
	scratch_store_b64 off, v[0:1], off offset:328
	scratch_store_b64 off, v[0:1], off offset:336
	;; [unrolled: 1-line block ×3, first 2 shown]
	s_mul_i32 s15, s10, s11
	s_add_i32 s18, s10, 1
	s_sub_i32 s15, s14, s15
	v_add_co_u32 v7, vcc_lo, s12, v2
	s_sub_i32 s21, s15, s11
	s_cmp_ge_u32 s15, s11
	v_mov_b32_e32 v99, 40
	s_cselect_b32 s10, s18, s10
	s_cselect_b32 s15, s21, s15
	s_add_i32 s18, s10, 1
	s_cmp_ge_u32 s15, s11
	v_add_co_ci_u32_e32 v8, vcc_lo, s13, v3, vcc_lo
	s_cselect_b32 s10, s18, s10
	v_mov_b32_e32 v84, 0
	s_mul_i32 s11, s10, s11
	s_lshl_b32 s15, s10, 7
	s_sub_i32 s11, s14, s11
	v_add_nc_u32_e32 v6, s15, v14
	s_lshl_b32 s14, s11, 7
	s_clause 0xa
	scratch_store_b64 off, v[0:1], off offset:352
	scratch_store_b64 off, v[0:1], off offset:360
	;; [unrolled: 1-line block ×11, first 2 shown]
	v_or_b32_e32 v4, s14, v82
	s_clause 0x4
	scratch_store_b64 off, v[0:1], off offset:440
	scratch_store_b64 off, v[0:1], off offset:448
	;; [unrolled: 1-line block ×5, first 2 shown]
	v_add_nc_u32_e32 v9, 64, v6
	v_mad_i64_i32 v[2:3], null, v6, s17, 0
	v_ashrrev_i32_e32 v5, 31, v4
	s_clause 0x3
	scratch_store_b64 off, v[0:1], off offset:480
	scratch_store_b64 off, v[0:1], off offset:488
	;; [unrolled: 1-line block ×4, first 2 shown]
	v_cmp_neq_f64_e64 s18, s[6:7], 0
	v_lshlrev_b64 v[72:73], 3, v[4:5]
	v_mad_i64_i32 v[4:5], null, v9, s17, 0
	v_lshlrev_b64 v[68:69], 3, v[2:3]
	v_mov_b32_e32 v114, 0xa0
	v_mov_b32_e32 v115, 0xa8
	v_add_co_u32 v6, vcc_lo, v7, v72
	v_add_co_ci_u32_e32 v7, vcc_lo, v8, v73, vcc_lo
	v_add_co_u32 v8, s10, s2, v15
	s_delay_alu instid0(VALU_DEP_1) | instskip(SKIP_1) | instid1(VALU_DEP_3)
	v_add_co_ci_u32_e64 v9, null, s3, 0, s10
	v_lshlrev_b64 v[70:71], 3, v[4:5]
	v_add_co_u32 v2, vcc_lo, v8, v68
	s_delay_alu instid0(VALU_DEP_3) | instskip(SKIP_1) | instid1(VALU_DEP_4)
	v_add_co_ci_u32_e32 v3, vcc_lo, v9, v69, vcc_lo
	v_mov_b32_e32 v116, 0xb0
	v_add_co_u32 v4, vcc_lo, v8, v70
	v_add_co_ci_u32_e32 v5, vcc_lo, v9, v71, vcc_lo
	s_clause 0x1
	flat_load_b64 v[0:1], v[6:7]
	flat_load_b64 v[6:7], v[6:7] offset:512
	s_clause 0x1
	flat_load_b64 v[8:9], v[2:3]
	flat_load_b64 v[10:11], v[4:5]
	v_add_co_u32 v12, vcc_lo, s12, v12
	v_add_co_ci_u32_e32 v13, vcc_lo, s13, v13, vcc_lo
	v_mov_b32_e32 v117, 0xb8
	s_delay_alu instid0(VALU_DEP_3) | instskip(NEXT) | instid1(VALU_DEP_3)
	v_add_co_u32 v12, vcc_lo, v12, v72
	v_add_co_ci_u32_e32 v13, vcc_lo, v13, v73, vcc_lo
	s_clause 0x1
	flat_load_b64 v[74:75], v[12:13]
	flat_load_b64 v[76:77], v[12:13] offset:512
	s_clause 0x1
	flat_load_b64 v[78:79], v[4:5] offset:32
	flat_load_b64 v[80:81], v[2:3] offset:32
	v_lshlrev_b32_e32 v2, 3, v89
	s_load_b64 s[8:9], s[8:9], 0x0
	v_mov_b32_e32 v118, 0xc0
	v_mov_b32_e32 v119, 0xc8
	;; [unrolled: 1-line block ×3, first 2 shown]
	v_lshl_add_u32 v93, v82, 5, v2
	v_mov_b32_e32 v121, 0xd8
	v_mov_b32_e32 v122, 0xe0
	v_mov_b32_e32 v123, 0xe8
	v_mov_b32_e32 v124, 0xf0
	v_mov_b32_e32 v125, 0xf8
	v_add_nc_u32_e32 v94, 0x2000, v91
	v_add_nc_u32_e32 v95, 0x2000, v83
	s_mov_b32 s10, -1
	s_waitcnt vmcnt(6) lgkmcnt(0)
	ds_store_2addr_stride64_b64 v93, v[0:1], v[6:7] offset1:4
	s_waitcnt vmcnt(4)
	ds_store_2addr_stride64_b64 v83, v[8:9], v[10:11] offset0:16 offset1:20
	s_waitcnt vmcnt(0) lgkmcnt(0)
	s_waitcnt_vscnt null, 0x0
	s_barrier
	buffer_gl0_inv
	ds_load_2addr_b64 v[0:3], v92 offset1:16
	ds_load_2addr_b64 v[4:7], v32 offset1:16
	ds_load_2addr_b64 v[8:11], v32 offset0:32 offset1:48
	ds_load_2addr_b64 v[12:15], v32 offset0:64 offset1:80
	ds_load_2addr_b64 v[16:19], v32 offset0:96 offset1:112
	ds_load_2addr_b64 v[20:23], v32 offset0:128 offset1:144
	ds_load_2addr_b64 v[24:27], v32 offset0:160 offset1:176
	ds_load_2addr_b64 v[28:31], v32 offset0:192 offset1:208
	ds_load_2addr_b64 v[32:35], v32 offset0:224 offset1:240
	ds_load_2addr_b64 v[36:39], v92 offset0:32 offset1:48
	ds_load_2addr_b64 v[40:43], v92 offset0:64 offset1:80
	ds_load_2addr_b64 v[44:47], v92 offset0:96 offset1:112
	ds_load_2addr_b64 v[48:51], v92 offset0:128 offset1:144
	ds_load_2addr_b64 v[52:55], v92 offset0:160 offset1:176
	ds_load_2addr_b64 v[56:59], v92 offset0:192 offset1:208
	ds_load_2addr_b64 v[60:63], v92 offset0:224 offset1:240
	ds_load_2addr_stride64_b64 v[64:67], v91 offset0:16 offset1:20
.LBB130_9:                              ; =>This Inner Loop Header: Depth=1
	scratch_load_b64 v[126:127], v84, off
	scratch_load_b64 v[128:129], v85, off
	;; [unrolled: 1-line block ×32, first 2 shown]
	s_cmp_eq_u32 s16, 1
	s_waitcnt lgkmcnt(16)
	v_max_f64 v[192:193], v[0:1], v[0:1]
	s_cselect_b32 vcc_lo, -1, 0
	v_max_f64 v[194:195], v[2:3], v[2:3]
	s_waitcnt lgkmcnt(0)
	v_dual_cndmask_b32 v191, v65, v67 :: v_dual_cndmask_b32 v190, v64, v66
	v_max_f64 v[196:197], v[36:37], v[36:37]
	v_max_f64 v[198:199], v[38:39], v[38:39]
	;; [unrolled: 1-line block ×31, first 2 shown]
	s_mov_b64 s[16:17], 1
	s_and_b32 vcc_lo, exec_lo, s10
	s_mov_b32 s10, 0
	v_min_f64 v[192:193], v[192:193], v[190:191]
	v_min_f64 v[194:195], v[194:195], v[190:191]
	;; [unrolled: 1-line block ×32, first 2 shown]
	s_waitcnt vmcnt(31)
	v_add_f64 v[126:127], v[126:127], v[192:193]
	s_waitcnt vmcnt(30)
	v_add_f64 v[128:129], v[194:195], v[128:129]
	;; [unrolled: 2-line block ×32, first 2 shown]
	scratch_store_b64 v84, v[126:127], off
	scratch_store_b64 v85, v[128:129], off
	;; [unrolled: 1-line block ×32, first 2 shown]
	v_mov_b32_e32 v84, 0x100
	v_mov_b32_e32 v85, 0x108
	;; [unrolled: 1-line block ×32, first 2 shown]
	s_cbranch_vccnz .LBB130_9
; %bb.10:
	v_dual_mov_b32 v85, 8 :: v_dual_add_nc_u32 v60, 0x800, v92
	ds_load_2addr_b64 v[0:3], v92 offset0:1 offset1:17
	ds_load_2addr_b64 v[4:7], v92 offset0:33 offset1:49
	;; [unrolled: 1-line block ×12, first 2 shown]
	v_dual_mov_b32 v97, 24 :: v_dual_add_nc_u32 v64, 8, v94
	ds_load_2addr_b64 v[48:51], v60 offset0:129 offset1:145
	ds_load_2addr_b64 v[52:55], v60 offset0:161 offset1:177
	;; [unrolled: 1-line block ×4, first 2 shown]
	ds_load_2addr_stride64_b64 v[64:67], v64 offset1:4
	v_dual_mov_b32 v84, 0 :: v_dual_mov_b32 v99, 40
	v_dual_mov_b32 v96, 16 :: v_dual_mov_b32 v101, 56
	;; [unrolled: 1-line block ×5, first 2 shown]
	v_mov_b32_e32 v104, 0x50
	v_mov_b32_e32 v106, 0x60
	v_mov_b32_e32 v108, 0x70
	v_mov_b32_e32 v109, 0x78
	v_mov_b32_e32 v110, 0x80
	v_mov_b32_e32 v111, 0x88
	v_mov_b32_e32 v112, 0x90
	v_mov_b32_e32 v113, 0x98
	v_mov_b32_e32 v114, 0xa0
	v_mov_b32_e32 v115, 0xa8
	v_mov_b32_e32 v116, 0xb0
	v_mov_b32_e32 v117, 0xb8
	v_mov_b32_e32 v118, 0xc0
	v_mov_b32_e32 v119, 0xc8
	v_mov_b32_e32 v120, 0xd0
	v_mov_b32_e32 v121, 0xd8
	v_mov_b32_e32 v122, 0xe0
	v_mov_b32_e32 v123, 0xe8
	v_mov_b32_e32 v124, 0xf0
	v_mov_b32_e32 v125, 0xf8
	s_mov_b64 s[10:11], 0
	s_mov_b32 s16, -1
.LBB130_11:                             ; =>This Inner Loop Header: Depth=1
	scratch_load_b64 v[126:127], v84, off
	scratch_load_b64 v[128:129], v85, off
	scratch_load_b64 v[130:131], v96, off
	scratch_load_b64 v[132:133], v97, off
	scratch_load_b64 v[134:135], v98, off
	scratch_load_b64 v[136:137], v99, off
	scratch_load_b64 v[138:139], v100, off
	scratch_load_b64 v[140:141], v101, off
	scratch_load_b64 v[142:143], v102, off
	scratch_load_b64 v[144:145], v103, off
	scratch_load_b64 v[146:147], v104, off
	scratch_load_b64 v[148:149], v105, off
	scratch_load_b64 v[150:151], v106, off
	scratch_load_b64 v[152:153], v107, off
	scratch_load_b64 v[154:155], v108, off
	scratch_load_b64 v[156:157], v109, off
	scratch_load_b64 v[158:159], v110, off
	scratch_load_b64 v[160:161], v111, off
	scratch_load_b64 v[162:163], v112, off
	scratch_load_b64 v[164:165], v113, off
	scratch_load_b64 v[166:167], v114, off
	scratch_load_b64 v[168:169], v115, off
	scratch_load_b64 v[170:171], v116, off
	scratch_load_b64 v[172:173], v117, off
	scratch_load_b64 v[174:175], v118, off
	scratch_load_b64 v[176:177], v119, off
	scratch_load_b64 v[178:179], v120, off
	scratch_load_b64 v[180:181], v121, off
	scratch_load_b64 v[182:183], v122, off
	scratch_load_b64 v[184:185], v123, off
	scratch_load_b64 v[186:187], v124, off
	scratch_load_b64 v[188:189], v125, off
	s_cmp_eq_u32 s10, 1
	s_waitcnt lgkmcnt(16)
	v_max_f64 v[192:193], v[0:1], v[0:1]
	s_cselect_b32 vcc_lo, -1, 0
	v_max_f64 v[194:195], v[2:3], v[2:3]
	s_waitcnt lgkmcnt(0)
	v_dual_cndmask_b32 v191, v65, v67 :: v_dual_cndmask_b32 v190, v64, v66
	v_max_f64 v[196:197], v[4:5], v[4:5]
	v_max_f64 v[198:199], v[6:7], v[6:7]
	;; [unrolled: 1-line block ×31, first 2 shown]
	s_mov_b64 s[10:11], 1
	s_and_b32 vcc_lo, exec_lo, s16
	s_mov_b32 s16, 0
	v_min_f64 v[192:193], v[192:193], v[190:191]
	v_min_f64 v[194:195], v[194:195], v[190:191]
	;; [unrolled: 1-line block ×32, first 2 shown]
	s_waitcnt vmcnt(31)
	v_add_f64 v[126:127], v[126:127], v[192:193]
	s_waitcnt vmcnt(30)
	v_add_f64 v[128:129], v[194:195], v[128:129]
	;; [unrolled: 2-line block ×32, first 2 shown]
	scratch_store_b64 v84, v[126:127], off
	scratch_store_b64 v85, v[128:129], off
	scratch_store_b64 v96, v[130:131], off
	scratch_store_b64 v97, v[132:133], off
	scratch_store_b64 v98, v[134:135], off
	scratch_store_b64 v99, v[136:137], off
	scratch_store_b64 v100, v[138:139], off
	scratch_store_b64 v101, v[140:141], off
	scratch_store_b64 v102, v[142:143], off
	scratch_store_b64 v103, v[144:145], off
	scratch_store_b64 v104, v[146:147], off
	scratch_store_b64 v105, v[148:149], off
	scratch_store_b64 v106, v[150:151], off
	scratch_store_b64 v107, v[152:153], off
	scratch_store_b64 v108, v[154:155], off
	scratch_store_b64 v109, v[156:157], off
	scratch_store_b64 v110, v[158:159], off
	scratch_store_b64 v111, v[160:161], off
	scratch_store_b64 v112, v[162:163], off
	scratch_store_b64 v113, v[164:165], off
	scratch_store_b64 v114, v[166:167], off
	scratch_store_b64 v115, v[168:169], off
	scratch_store_b64 v116, v[170:171], off
	scratch_store_b64 v117, v[172:173], off
	scratch_store_b64 v118, v[174:175], off
	scratch_store_b64 v119, v[176:177], off
	scratch_store_b64 v120, v[178:179], off
	scratch_store_b64 v121, v[180:181], off
	scratch_store_b64 v122, v[182:183], off
	scratch_store_b64 v123, v[184:185], off
	scratch_store_b64 v124, v[186:187], off
	scratch_store_b64 v125, v[188:189], off
	v_mov_b32_e32 v84, 0x100
	v_mov_b32_e32 v85, 0x108
	;; [unrolled: 1-line block ×32, first 2 shown]
	s_cbranch_vccnz .LBB130_11
; %bb.12:
	v_dual_mov_b32 v85, 8 :: v_dual_add_nc_u32 v60, 0x800, v92
	ds_load_2addr_b64 v[0:3], v92 offset0:2 offset1:18
	ds_load_2addr_b64 v[4:7], v92 offset0:34 offset1:50
	;; [unrolled: 1-line block ×12, first 2 shown]
	v_dual_mov_b32 v97, 24 :: v_dual_add_nc_u32 v64, 16, v94
	ds_load_2addr_b64 v[48:51], v60 offset0:130 offset1:146
	ds_load_2addr_b64 v[52:55], v60 offset0:162 offset1:178
	;; [unrolled: 1-line block ×4, first 2 shown]
	ds_load_2addr_stride64_b64 v[64:67], v64 offset1:4
	v_dual_mov_b32 v84, 0 :: v_dual_mov_b32 v99, 40
	v_dual_mov_b32 v96, 16 :: v_dual_mov_b32 v101, 56
	;; [unrolled: 1-line block ×5, first 2 shown]
	v_mov_b32_e32 v104, 0x50
	v_mov_b32_e32 v106, 0x60
	v_mov_b32_e32 v108, 0x70
	v_mov_b32_e32 v109, 0x78
	v_mov_b32_e32 v110, 0x80
	v_mov_b32_e32 v111, 0x88
	v_mov_b32_e32 v112, 0x90
	v_mov_b32_e32 v113, 0x98
	v_mov_b32_e32 v114, 0xa0
	v_mov_b32_e32 v115, 0xa8
	v_mov_b32_e32 v116, 0xb0
	v_mov_b32_e32 v117, 0xb8
	v_mov_b32_e32 v118, 0xc0
	v_mov_b32_e32 v119, 0xc8
	v_mov_b32_e32 v120, 0xd0
	v_mov_b32_e32 v121, 0xd8
	v_mov_b32_e32 v122, 0xe0
	v_mov_b32_e32 v123, 0xe8
	v_mov_b32_e32 v124, 0xf0
	v_mov_b32_e32 v125, 0xf8
	s_mov_b64 s[10:11], 0
	s_mov_b32 s16, -1
.LBB130_13:                             ; =>This Inner Loop Header: Depth=1
	scratch_load_b64 v[126:127], v84, off
	scratch_load_b64 v[128:129], v85, off
	;; [unrolled: 1-line block ×32, first 2 shown]
	s_cmp_eq_u32 s10, 1
	s_waitcnt lgkmcnt(16)
	v_max_f64 v[192:193], v[0:1], v[0:1]
	s_cselect_b32 vcc_lo, -1, 0
	v_max_f64 v[194:195], v[2:3], v[2:3]
	s_waitcnt lgkmcnt(0)
	v_dual_cndmask_b32 v191, v65, v67 :: v_dual_cndmask_b32 v190, v64, v66
	v_max_f64 v[196:197], v[4:5], v[4:5]
	v_max_f64 v[198:199], v[6:7], v[6:7]
	;; [unrolled: 1-line block ×31, first 2 shown]
	s_mov_b64 s[10:11], 1
	s_and_b32 vcc_lo, exec_lo, s16
	s_mov_b32 s16, 0
	v_min_f64 v[192:193], v[192:193], v[190:191]
	v_min_f64 v[194:195], v[194:195], v[190:191]
	;; [unrolled: 1-line block ×32, first 2 shown]
	s_waitcnt vmcnt(31)
	v_add_f64 v[126:127], v[126:127], v[192:193]
	s_waitcnt vmcnt(30)
	v_add_f64 v[128:129], v[194:195], v[128:129]
	;; [unrolled: 2-line block ×32, first 2 shown]
	scratch_store_b64 v84, v[126:127], off
	scratch_store_b64 v85, v[128:129], off
	;; [unrolled: 1-line block ×32, first 2 shown]
	v_mov_b32_e32 v84, 0x100
	v_mov_b32_e32 v85, 0x108
	;; [unrolled: 1-line block ×32, first 2 shown]
	s_cbranch_vccnz .LBB130_13
; %bb.14:
	v_dual_mov_b32 v125, 0 :: v_dual_add_nc_u32 v60, 0x800, v92
	ds_load_2addr_b64 v[0:3], v92 offset0:3 offset1:19
	ds_load_2addr_b64 v[4:7], v92 offset0:35 offset1:51
	;; [unrolled: 1-line block ×12, first 2 shown]
	v_dual_mov_b32 v123, 16 :: v_dual_add_nc_u32 v64, 24, v94
	ds_load_2addr_b64 v[48:51], v60 offset0:131 offset1:147
	ds_load_2addr_b64 v[52:55], v60 offset0:163 offset1:179
	;; [unrolled: 1-line block ×4, first 2 shown]
	ds_load_2addr_stride64_b64 v[64:67], v64 offset1:4
	v_dual_mov_b32 v124, 8 :: v_dual_mov_b32 v121, 32
	v_dual_mov_b32 v122, 24 :: v_dual_mov_b32 v119, 48
	;; [unrolled: 1-line block ×4, first 2 shown]
	v_mov_b32_e32 v116, 0x48
	v_mov_b32_e32 v114, 0x58
	;; [unrolled: 1-line block ×22, first 2 shown]
	s_mov_b64 s[10:11], 0
	s_mov_b32 s16, -1
.LBB130_15:                             ; =>This Inner Loop Header: Depth=1
	scratch_load_b64 v[130:131], v125, off
	s_cmp_eq_u32 s10, 1
	s_waitcnt lgkmcnt(16)
	v_max_f64 v[128:129], v[0:1], v[0:1]
	s_cselect_b32 vcc_lo, -1, 0
	s_mov_b64 s[10:11], 1
	s_waitcnt lgkmcnt(0)
	v_dual_cndmask_b32 v127, v65, v67 :: v_dual_cndmask_b32 v126, v64, v66
	s_and_b32 vcc_lo, exec_lo, s16
	s_mov_b32 s16, 0
	s_delay_alu instid0(VALU_DEP_1) | instskip(NEXT) | instid1(VALU_DEP_1)
	v_max_f64 v[126:127], v[126:127], v[126:127]
	v_min_f64 v[128:129], v[128:129], v[126:127]
	s_waitcnt vmcnt(0)
	s_delay_alu instid0(VALU_DEP_1) | instskip(SKIP_3) | instid1(VALU_DEP_1)
	v_add_f64 v[128:129], v[130:131], v[128:129]
	scratch_load_b64 v[130:131], v124, off
	scratch_store_b64 v125, v[128:129], off
	v_max_f64 v[128:129], v[2:3], v[2:3]
	v_min_f64 v[128:129], v[128:129], v[126:127]
	s_waitcnt vmcnt(0)
	s_delay_alu instid0(VALU_DEP_1) | instskip(SKIP_3) | instid1(VALU_DEP_1)
	v_add_f64 v[128:129], v[128:129], v[130:131]
	scratch_store_b64 v124, v[128:129], off
	scratch_load_b64 v[128:129], v123, off
	v_max_f64 v[124:125], v[4:5], v[4:5]
	v_min_f64 v[124:125], v[124:125], v[126:127]
	s_waitcnt vmcnt(0)
	s_delay_alu instid0(VALU_DEP_1) | instskip(SKIP_3) | instid1(VALU_DEP_1)
	v_add_f64 v[124:125], v[124:125], v[128:129]
	scratch_load_b64 v[128:129], v122, off
	scratch_store_b64 v123, v[124:125], off
	v_max_f64 v[123:124], v[6:7], v[6:7]
	v_min_f64 v[123:124], v[123:124], v[126:127]
	s_waitcnt vmcnt(0)
	s_delay_alu instid0(VALU_DEP_1) | instskip(SKIP_3) | instid1(VALU_DEP_1)
	v_add_f64 v[123:124], v[123:124], v[128:129]
	scratch_store_b64 v122, v[123:124], off
	scratch_load_b64 v[124:125], v121, off
	v_max_f64 v[122:123], v[8:9], v[8:9]
	v_min_f64 v[122:123], v[122:123], v[126:127]
	s_waitcnt vmcnt(0)
	s_delay_alu instid0(VALU_DEP_1) | instskip(SKIP_4) | instid1(VALU_DEP_1)
	v_add_f64 v[122:123], v[122:123], v[124:125]
	v_mov_b32_e32 v125, 0x100
	scratch_store_b64 v121, v[122:123], off
	scratch_load_b64 v[123:124], v120, off
	v_max_f64 v[121:122], v[10:11], v[10:11]
	v_min_f64 v[121:122], v[121:122], v[126:127]
	s_waitcnt vmcnt(0)
	s_delay_alu instid0(VALU_DEP_1) | instskip(SKIP_4) | instid1(VALU_DEP_1)
	v_add_f64 v[121:122], v[121:122], v[123:124]
	v_mov_b32_e32 v124, 0x108
	;; [unrolled: 8-line block ×26, first 2 shown]
	scratch_store_b64 v96, v[97:98], off
	scratch_load_b64 v[98:99], v85, off
	v_max_f64 v[96:97], v[60:61], v[60:61]
	v_min_f64 v[96:97], v[96:97], v[126:127]
	s_waitcnt vmcnt(0)
	s_delay_alu instid0(VALU_DEP_1) | instskip(SKIP_4) | instid1(VALU_DEP_2)
	v_add_f64 v[96:97], v[96:97], v[98:99]
	scratch_load_b64 v[98:99], v84, off
	scratch_store_b64 v85, v[96:97], off
	v_max_f64 v[96:97], v[62:63], v[62:63]
	v_mov_b32_e32 v85, 0x1f0
	v_min_f64 v[96:97], v[96:97], v[126:127]
	s_waitcnt vmcnt(0)
	s_delay_alu instid0(VALU_DEP_1)
	v_add_f64 v[96:97], v[96:97], v[98:99]
	v_mov_b32_e32 v99, 0x1d0
	v_mov_b32_e32 v98, 0x1d8
	scratch_store_b64 v84, v[96:97], off
	v_mov_b32_e32 v97, 0x1e0
	v_mov_b32_e32 v96, 0x1e8
	;; [unrolled: 1-line block ×3, first 2 shown]
	s_cbranch_vccnz .LBB130_15
; %bb.16:
	s_load_b32 s10, s[0:1], 0x8
	v_lshlrev_b32_e32 v0, 5, v82
	s_mov_b32 s16, 8
	s_delay_alu instid0(VALU_DEP_1)
	v_lshl_add_u32 v0, v89, 3, v0
	ds_store_2addr_stride64_b64 v0, v[74:75], v[76:77] offset0:8 offset1:12
	ds_store_2addr_stride64_b64 v83, v[80:81], v[78:79] offset0:24 offset1:28
	s_waitcnt lgkmcnt(0)
	s_waitcnt_vscnt null, 0x0
	s_barrier
	buffer_gl0_inv
	s_cmp_gt_i32 s10, 8
	s_cbranch_scc0 .LBB130_35
; %bb.17:
	v_lshl_add_u32 v98, v86, 5, 0x1000
	v_add_co_u32 v100, vcc_lo, s12, v72
	v_or_b32_e32 v96, 0x1000, v0
	v_add_nc_u32_e32 v97, 0x3000, v83
	v_lshl_add_u32 v99, v87, 5, 0x3000
	v_add_co_ci_u32_e32 v101, vcc_lo, s13, v73, vcc_lo
	v_dual_mov_b32 v73, 0 :: v_dual_add_nc_u32 v102, 0x800, v98
	s_add_i32 s12, s10, -8
	s_mov_b32 s13, 0
.LBB130_18:                             ; =>This Loop Header: Depth=1
                                        ;     Child Loop BB130_19 Depth 2
                                        ;     Child Loop BB130_21 Depth 2
	;; [unrolled: 1-line block ×8, first 2 shown]
	v_add_nc_u32_e32 v4, s16, v89
	v_or_b32_e32 v72, s16, v88
	v_dual_mov_b32 v133, 0 :: v_dual_mov_b32 v132, 8
	v_dual_mov_b32 v131, 16 :: v_dual_mov_b32 v130, 24
	s_delay_alu instid0(VALU_DEP_4) | instskip(SKIP_3) | instid1(VALU_DEP_4)
	v_mad_u64_u32 v[0:1], null, v4, s20, 0
	v_dual_mov_b32 v129, 32 :: v_dual_mov_b32 v128, 40
	v_dual_mov_b32 v127, 48 :: v_dual_mov_b32 v126, 56
	;; [unrolled: 1-line block ×3, first 2 shown]
	v_mad_u64_u32 v[2:3], null, v4, s19, v[1:2]
	v_lshlrev_b64 v[3:4], 3, v[72:73]
	v_mov_b32_e32 v123, 0x50
	v_mov_b32_e32 v122, 0x58
	;; [unrolled: 1-line block ×6, first 2 shown]
	v_add_co_u32 v2, vcc_lo, s2, v3
	v_add_co_ci_u32_e32 v3, vcc_lo, s3, v4, vcc_lo
	s_delay_alu instid0(VALU_DEP_3) | instskip(NEXT) | instid1(VALU_DEP_3)
	v_lshlrev_b64 v[0:1], 3, v[0:1]
	v_add_co_u32 v74, vcc_lo, v2, v68
	s_delay_alu instid0(VALU_DEP_3) | instskip(SKIP_1) | instid1(VALU_DEP_4)
	v_add_co_ci_u32_e32 v75, vcc_lo, v3, v69, vcc_lo
	v_mov_b32_e32 v118, 0x78
	v_add_co_u32 v0, vcc_lo, v100, v0
	v_add_co_ci_u32_e32 v1, vcc_lo, v101, v1, vcc_lo
	v_add_co_u32 v76, vcc_lo, v2, v70
	v_add_co_ci_u32_e32 v77, vcc_lo, v3, v71, vcc_lo
	s_clause 0x1
	flat_load_b64 v[80:81], v[0:1]
	flat_load_b64 v[82:83], v[0:1] offset:512
	s_clause 0x1
	flat_load_b64 v[78:79], v[74:75]
	flat_load_b64 v[84:85], v[76:77]
	ds_load_2addr_b64 v[0:3], v98 offset1:16
	ds_load_2addr_b64 v[4:7], v98 offset0:32 offset1:48
	ds_load_2addr_b64 v[8:11], v98 offset0:64 offset1:80
	;; [unrolled: 1-line block ×7, first 2 shown]
	ds_load_2addr_b64 v[32:35], v102 offset1:16
	ds_load_2addr_b64 v[36:39], v102 offset0:32 offset1:48
	ds_load_2addr_b64 v[40:43], v102 offset0:64 offset1:80
	;; [unrolled: 1-line block ×7, first 2 shown]
	ds_load_2addr_stride64_b64 v[64:67], v99 offset1:4
	v_mov_b32_e32 v117, 0x80
	v_mov_b32_e32 v116, 0x88
	;; [unrolled: 1-line block ×16, first 2 shown]
	s_mov_b64 s[10:11], 0
	s_mov_b32 s17, -1
.LBB130_19:                             ;   Parent Loop BB130_18 Depth=1
                                        ; =>  This Inner Loop Header: Depth=2
	scratch_load_b64 v[138:139], v133, off
	s_cmp_eq_u32 s10, 1
	s_waitcnt lgkmcnt(16)
	v_max_f64 v[136:137], v[0:1], v[0:1]
	s_cselect_b32 vcc_lo, -1, 0
	s_mov_b64 s[10:11], 1
	s_waitcnt lgkmcnt(0)
	v_dual_cndmask_b32 v135, v65, v67 :: v_dual_cndmask_b32 v134, v64, v66
	s_and_b32 vcc_lo, exec_lo, s17
	s_mov_b32 s17, 0
	s_delay_alu instid0(VALU_DEP_1) | instskip(NEXT) | instid1(VALU_DEP_1)
	v_max_f64 v[134:135], v[134:135], v[134:135]
	v_min_f64 v[136:137], v[136:137], v[134:135]
	s_waitcnt vmcnt(0)
	s_delay_alu instid0(VALU_DEP_1) | instskip(SKIP_3) | instid1(VALU_DEP_1)
	v_add_f64 v[136:137], v[138:139], v[136:137]
	scratch_load_b64 v[138:139], v132, off
	scratch_store_b64 v133, v[136:137], off
	v_max_f64 v[136:137], v[2:3], v[2:3]
	v_min_f64 v[136:137], v[136:137], v[134:135]
	s_waitcnt vmcnt(0)
	s_delay_alu instid0(VALU_DEP_1) | instskip(SKIP_3) | instid1(VALU_DEP_1)
	v_add_f64 v[136:137], v[136:137], v[138:139]
	scratch_store_b64 v132, v[136:137], off
	scratch_load_b64 v[136:137], v131, off
	v_max_f64 v[132:133], v[4:5], v[4:5]
	v_min_f64 v[132:133], v[132:133], v[134:135]
	s_waitcnt vmcnt(0)
	s_delay_alu instid0(VALU_DEP_1) | instskip(SKIP_3) | instid1(VALU_DEP_1)
	v_add_f64 v[132:133], v[132:133], v[136:137]
	scratch_load_b64 v[136:137], v130, off
	scratch_store_b64 v131, v[132:133], off
	v_max_f64 v[131:132], v[6:7], v[6:7]
	v_min_f64 v[131:132], v[131:132], v[134:135]
	s_waitcnt vmcnt(0)
	s_delay_alu instid0(VALU_DEP_1) | instskip(SKIP_3) | instid1(VALU_DEP_1)
	v_add_f64 v[131:132], v[131:132], v[136:137]
	scratch_store_b64 v130, v[131:132], off
	scratch_load_b64 v[132:133], v129, off
	v_max_f64 v[130:131], v[8:9], v[8:9]
	v_min_f64 v[130:131], v[130:131], v[134:135]
	s_waitcnt vmcnt(0)
	s_delay_alu instid0(VALU_DEP_1) | instskip(SKIP_4) | instid1(VALU_DEP_1)
	v_add_f64 v[130:131], v[130:131], v[132:133]
	v_mov_b32_e32 v133, 0x100
	scratch_store_b64 v129, v[130:131], off
	scratch_load_b64 v[131:132], v128, off
	v_max_f64 v[129:130], v[10:11], v[10:11]
	v_min_f64 v[129:130], v[129:130], v[134:135]
	s_waitcnt vmcnt(0)
	s_delay_alu instid0(VALU_DEP_1) | instskip(SKIP_4) | instid1(VALU_DEP_1)
	v_add_f64 v[129:130], v[129:130], v[131:132]
	v_mov_b32_e32 v132, 0x108
	;; [unrolled: 8-line block ×27, first 2 shown]
	scratch_store_b64 v103, v[104:105], off
	scratch_load_b64 v[105:106], v72, off
	v_max_f64 v[103:104], v[62:63], v[62:63]
	v_min_f64 v[103:104], v[103:104], v[134:135]
	s_waitcnt vmcnt(0)
	s_delay_alu instid0(VALU_DEP_1)
	v_add_f64 v[103:104], v[103:104], v[105:106]
	v_mov_b32_e32 v106, 0x1d8
	v_mov_b32_e32 v105, 0x1e0
	scratch_store_b64 v72, v[103:104], off
	v_mov_b32_e32 v104, 0x1e8
	v_mov_b32_e32 v103, 0x1f0
	;; [unrolled: 1-line block ×3, first 2 shown]
	s_cbranch_vccnz .LBB130_19
; %bb.20:                               ;   in Loop: Header=BB130_18 Depth=1
	ds_load_2addr_b64 v[0:3], v98 offset0:1 offset1:17
	ds_load_2addr_b64 v[4:7], v98 offset0:33 offset1:49
	;; [unrolled: 1-line block ×12, first 2 shown]
	v_dual_mov_b32 v133, 0 :: v_dual_add_nc_u32 v64, 8, v99
	ds_load_2addr_b64 v[48:51], v102 offset0:129 offset1:145
	ds_load_2addr_b64 v[52:55], v102 offset0:161 offset1:177
	;; [unrolled: 1-line block ×4, first 2 shown]
	ds_load_2addr_stride64_b64 v[64:67], v64 offset1:4
	v_dual_mov_b32 v132, 8 :: v_dual_mov_b32 v131, 16
	v_dual_mov_b32 v130, 24 :: v_dual_mov_b32 v129, 32
	;; [unrolled: 1-line block ×4, first 2 shown]
	v_mov_b32_e32 v124, 0x48
	v_mov_b32_e32 v123, 0x50
	;; [unrolled: 1-line block ×23, first 2 shown]
	s_mov_b64 s[10:11], 0
	s_mov_b32 s17, -1
.LBB130_21:                             ;   Parent Loop BB130_18 Depth=1
                                        ; =>  This Inner Loop Header: Depth=2
	scratch_load_b64 v[138:139], v133, off
	s_cmp_eq_u32 s10, 1
	s_waitcnt lgkmcnt(16)
	v_max_f64 v[136:137], v[0:1], v[0:1]
	s_cselect_b32 vcc_lo, -1, 0
	s_mov_b64 s[10:11], 1
	s_waitcnt lgkmcnt(0)
	v_dual_cndmask_b32 v135, v65, v67 :: v_dual_cndmask_b32 v134, v64, v66
	s_and_b32 vcc_lo, exec_lo, s17
	s_mov_b32 s17, 0
	s_delay_alu instid0(VALU_DEP_1) | instskip(NEXT) | instid1(VALU_DEP_1)
	v_max_f64 v[134:135], v[134:135], v[134:135]
	v_min_f64 v[136:137], v[136:137], v[134:135]
	s_waitcnt vmcnt(0)
	s_delay_alu instid0(VALU_DEP_1) | instskip(SKIP_3) | instid1(VALU_DEP_1)
	v_add_f64 v[136:137], v[138:139], v[136:137]
	scratch_load_b64 v[138:139], v132, off
	scratch_store_b64 v133, v[136:137], off
	v_max_f64 v[136:137], v[2:3], v[2:3]
	v_min_f64 v[136:137], v[136:137], v[134:135]
	s_waitcnt vmcnt(0)
	s_delay_alu instid0(VALU_DEP_1) | instskip(SKIP_3) | instid1(VALU_DEP_1)
	v_add_f64 v[136:137], v[136:137], v[138:139]
	scratch_store_b64 v132, v[136:137], off
	scratch_load_b64 v[136:137], v131, off
	v_max_f64 v[132:133], v[4:5], v[4:5]
	v_min_f64 v[132:133], v[132:133], v[134:135]
	s_waitcnt vmcnt(0)
	s_delay_alu instid0(VALU_DEP_1) | instskip(SKIP_3) | instid1(VALU_DEP_1)
	v_add_f64 v[132:133], v[132:133], v[136:137]
	scratch_load_b64 v[136:137], v130, off
	scratch_store_b64 v131, v[132:133], off
	v_max_f64 v[131:132], v[6:7], v[6:7]
	v_min_f64 v[131:132], v[131:132], v[134:135]
	s_waitcnt vmcnt(0)
	s_delay_alu instid0(VALU_DEP_1) | instskip(SKIP_3) | instid1(VALU_DEP_1)
	v_add_f64 v[131:132], v[131:132], v[136:137]
	scratch_store_b64 v130, v[131:132], off
	scratch_load_b64 v[132:133], v129, off
	v_max_f64 v[130:131], v[8:9], v[8:9]
	v_min_f64 v[130:131], v[130:131], v[134:135]
	s_waitcnt vmcnt(0)
	s_delay_alu instid0(VALU_DEP_1) | instskip(SKIP_4) | instid1(VALU_DEP_1)
	v_add_f64 v[130:131], v[130:131], v[132:133]
	v_mov_b32_e32 v133, 0x100
	scratch_store_b64 v129, v[130:131], off
	scratch_load_b64 v[131:132], v128, off
	v_max_f64 v[129:130], v[10:11], v[10:11]
	v_min_f64 v[129:130], v[129:130], v[134:135]
	s_waitcnt vmcnt(0)
	s_delay_alu instid0(VALU_DEP_1) | instskip(SKIP_4) | instid1(VALU_DEP_1)
	v_add_f64 v[129:130], v[129:130], v[131:132]
	v_mov_b32_e32 v132, 0x108
	;; [unrolled: 8-line block ×27, first 2 shown]
	scratch_store_b64 v103, v[104:105], off
	scratch_load_b64 v[105:106], v72, off
	v_max_f64 v[103:104], v[62:63], v[62:63]
	v_min_f64 v[103:104], v[103:104], v[134:135]
	s_waitcnt vmcnt(0)
	s_delay_alu instid0(VALU_DEP_1)
	v_add_f64 v[103:104], v[103:104], v[105:106]
	v_mov_b32_e32 v106, 0x1d8
	v_mov_b32_e32 v105, 0x1e0
	scratch_store_b64 v72, v[103:104], off
	v_mov_b32_e32 v104, 0x1e8
	v_mov_b32_e32 v103, 0x1f0
	;; [unrolled: 1-line block ×3, first 2 shown]
	s_cbranch_vccnz .LBB130_21
; %bb.22:                               ;   in Loop: Header=BB130_18 Depth=1
	ds_load_2addr_b64 v[0:3], v98 offset0:2 offset1:18
	ds_load_2addr_b64 v[4:7], v98 offset0:34 offset1:50
	;; [unrolled: 1-line block ×12, first 2 shown]
	v_dual_mov_b32 v133, 0 :: v_dual_add_nc_u32 v64, 16, v99
	ds_load_2addr_b64 v[48:51], v102 offset0:130 offset1:146
	ds_load_2addr_b64 v[52:55], v102 offset0:162 offset1:178
	;; [unrolled: 1-line block ×4, first 2 shown]
	ds_load_2addr_stride64_b64 v[64:67], v64 offset1:4
	v_dual_mov_b32 v132, 8 :: v_dual_mov_b32 v131, 16
	v_dual_mov_b32 v130, 24 :: v_dual_mov_b32 v129, 32
	;; [unrolled: 1-line block ×4, first 2 shown]
	v_mov_b32_e32 v124, 0x48
	v_mov_b32_e32 v123, 0x50
	;; [unrolled: 1-line block ×23, first 2 shown]
	s_mov_b64 s[10:11], 0
	s_mov_b32 s17, -1
.LBB130_23:                             ;   Parent Loop BB130_18 Depth=1
                                        ; =>  This Inner Loop Header: Depth=2
	scratch_load_b64 v[138:139], v133, off
	s_cmp_eq_u32 s10, 1
	s_waitcnt lgkmcnt(16)
	v_max_f64 v[136:137], v[0:1], v[0:1]
	s_cselect_b32 vcc_lo, -1, 0
	s_mov_b64 s[10:11], 1
	s_waitcnt lgkmcnt(0)
	v_dual_cndmask_b32 v135, v65, v67 :: v_dual_cndmask_b32 v134, v64, v66
	s_and_b32 vcc_lo, exec_lo, s17
	s_mov_b32 s17, 0
	s_delay_alu instid0(VALU_DEP_1) | instskip(NEXT) | instid1(VALU_DEP_1)
	v_max_f64 v[134:135], v[134:135], v[134:135]
	v_min_f64 v[136:137], v[136:137], v[134:135]
	s_waitcnt vmcnt(0)
	s_delay_alu instid0(VALU_DEP_1) | instskip(SKIP_3) | instid1(VALU_DEP_1)
	v_add_f64 v[136:137], v[138:139], v[136:137]
	scratch_load_b64 v[138:139], v132, off
	scratch_store_b64 v133, v[136:137], off
	v_max_f64 v[136:137], v[2:3], v[2:3]
	v_min_f64 v[136:137], v[136:137], v[134:135]
	s_waitcnt vmcnt(0)
	s_delay_alu instid0(VALU_DEP_1) | instskip(SKIP_3) | instid1(VALU_DEP_1)
	v_add_f64 v[136:137], v[136:137], v[138:139]
	scratch_store_b64 v132, v[136:137], off
	scratch_load_b64 v[136:137], v131, off
	v_max_f64 v[132:133], v[4:5], v[4:5]
	v_min_f64 v[132:133], v[132:133], v[134:135]
	s_waitcnt vmcnt(0)
	s_delay_alu instid0(VALU_DEP_1) | instskip(SKIP_3) | instid1(VALU_DEP_1)
	v_add_f64 v[132:133], v[132:133], v[136:137]
	scratch_load_b64 v[136:137], v130, off
	scratch_store_b64 v131, v[132:133], off
	v_max_f64 v[131:132], v[6:7], v[6:7]
	v_min_f64 v[131:132], v[131:132], v[134:135]
	s_waitcnt vmcnt(0)
	s_delay_alu instid0(VALU_DEP_1) | instskip(SKIP_3) | instid1(VALU_DEP_1)
	v_add_f64 v[131:132], v[131:132], v[136:137]
	scratch_store_b64 v130, v[131:132], off
	scratch_load_b64 v[132:133], v129, off
	v_max_f64 v[130:131], v[8:9], v[8:9]
	v_min_f64 v[130:131], v[130:131], v[134:135]
	s_waitcnt vmcnt(0)
	s_delay_alu instid0(VALU_DEP_1) | instskip(SKIP_4) | instid1(VALU_DEP_1)
	v_add_f64 v[130:131], v[130:131], v[132:133]
	v_mov_b32_e32 v133, 0x100
	scratch_store_b64 v129, v[130:131], off
	scratch_load_b64 v[131:132], v128, off
	v_max_f64 v[129:130], v[10:11], v[10:11]
	v_min_f64 v[129:130], v[129:130], v[134:135]
	s_waitcnt vmcnt(0)
	s_delay_alu instid0(VALU_DEP_1) | instskip(SKIP_4) | instid1(VALU_DEP_1)
	v_add_f64 v[129:130], v[129:130], v[131:132]
	v_mov_b32_e32 v132, 0x108
	;; [unrolled: 8-line block ×27, first 2 shown]
	scratch_store_b64 v103, v[104:105], off
	scratch_load_b64 v[105:106], v72, off
	v_max_f64 v[103:104], v[62:63], v[62:63]
	v_min_f64 v[103:104], v[103:104], v[134:135]
	s_waitcnt vmcnt(0)
	s_delay_alu instid0(VALU_DEP_1)
	v_add_f64 v[103:104], v[103:104], v[105:106]
	v_mov_b32_e32 v106, 0x1d8
	v_mov_b32_e32 v105, 0x1e0
	scratch_store_b64 v72, v[103:104], off
	v_mov_b32_e32 v104, 0x1e8
	v_mov_b32_e32 v103, 0x1f0
	;; [unrolled: 1-line block ×3, first 2 shown]
	s_cbranch_vccnz .LBB130_23
; %bb.24:                               ;   in Loop: Header=BB130_18 Depth=1
	ds_load_2addr_b64 v[0:3], v98 offset0:3 offset1:19
	ds_load_2addr_b64 v[4:7], v98 offset0:35 offset1:51
	;; [unrolled: 1-line block ×12, first 2 shown]
	v_dual_mov_b32 v133, 0 :: v_dual_add_nc_u32 v64, 24, v99
	ds_load_2addr_b64 v[48:51], v102 offset0:131 offset1:147
	ds_load_2addr_b64 v[52:55], v102 offset0:163 offset1:179
	;; [unrolled: 1-line block ×4, first 2 shown]
	ds_load_2addr_stride64_b64 v[64:67], v64 offset1:4
	v_dual_mov_b32 v132, 8 :: v_dual_mov_b32 v131, 16
	v_dual_mov_b32 v130, 24 :: v_dual_mov_b32 v129, 32
	;; [unrolled: 1-line block ×4, first 2 shown]
	v_mov_b32_e32 v124, 0x48
	v_mov_b32_e32 v123, 0x50
	;; [unrolled: 1-line block ×23, first 2 shown]
	s_mov_b64 s[10:11], 0
	s_mov_b32 s17, -1
.LBB130_25:                             ;   Parent Loop BB130_18 Depth=1
                                        ; =>  This Inner Loop Header: Depth=2
	scratch_load_b64 v[138:139], v133, off
	s_cmp_eq_u32 s10, 1
	s_waitcnt lgkmcnt(16)
	v_max_f64 v[136:137], v[0:1], v[0:1]
	s_cselect_b32 vcc_lo, -1, 0
	s_mov_b64 s[10:11], 1
	s_waitcnt lgkmcnt(0)
	v_dual_cndmask_b32 v135, v65, v67 :: v_dual_cndmask_b32 v134, v64, v66
	s_and_b32 vcc_lo, exec_lo, s17
	s_mov_b32 s17, 0
	s_delay_alu instid0(VALU_DEP_1) | instskip(NEXT) | instid1(VALU_DEP_1)
	v_max_f64 v[134:135], v[134:135], v[134:135]
	v_min_f64 v[136:137], v[136:137], v[134:135]
	s_waitcnt vmcnt(0)
	s_delay_alu instid0(VALU_DEP_1) | instskip(SKIP_3) | instid1(VALU_DEP_1)
	v_add_f64 v[136:137], v[138:139], v[136:137]
	scratch_load_b64 v[138:139], v132, off
	scratch_store_b64 v133, v[136:137], off
	v_max_f64 v[136:137], v[2:3], v[2:3]
	v_min_f64 v[136:137], v[136:137], v[134:135]
	s_waitcnt vmcnt(0)
	s_delay_alu instid0(VALU_DEP_1) | instskip(SKIP_3) | instid1(VALU_DEP_1)
	v_add_f64 v[136:137], v[136:137], v[138:139]
	scratch_store_b64 v132, v[136:137], off
	scratch_load_b64 v[136:137], v131, off
	v_max_f64 v[132:133], v[4:5], v[4:5]
	v_min_f64 v[132:133], v[132:133], v[134:135]
	s_waitcnt vmcnt(0)
	s_delay_alu instid0(VALU_DEP_1) | instskip(SKIP_3) | instid1(VALU_DEP_1)
	v_add_f64 v[132:133], v[132:133], v[136:137]
	scratch_load_b64 v[136:137], v130, off
	scratch_store_b64 v131, v[132:133], off
	v_max_f64 v[131:132], v[6:7], v[6:7]
	v_min_f64 v[131:132], v[131:132], v[134:135]
	s_waitcnt vmcnt(0)
	s_delay_alu instid0(VALU_DEP_1) | instskip(SKIP_3) | instid1(VALU_DEP_1)
	v_add_f64 v[131:132], v[131:132], v[136:137]
	scratch_store_b64 v130, v[131:132], off
	scratch_load_b64 v[132:133], v129, off
	v_max_f64 v[130:131], v[8:9], v[8:9]
	v_min_f64 v[130:131], v[130:131], v[134:135]
	s_waitcnt vmcnt(0)
	s_delay_alu instid0(VALU_DEP_1) | instskip(SKIP_4) | instid1(VALU_DEP_1)
	v_add_f64 v[130:131], v[130:131], v[132:133]
	v_mov_b32_e32 v133, 0x100
	scratch_store_b64 v129, v[130:131], off
	scratch_load_b64 v[131:132], v128, off
	v_max_f64 v[129:130], v[10:11], v[10:11]
	v_min_f64 v[129:130], v[129:130], v[134:135]
	s_waitcnt vmcnt(0)
	s_delay_alu instid0(VALU_DEP_1) | instskip(SKIP_4) | instid1(VALU_DEP_1)
	v_add_f64 v[129:130], v[129:130], v[131:132]
	v_mov_b32_e32 v132, 0x108
	;; [unrolled: 8-line block ×27, first 2 shown]
	scratch_store_b64 v103, v[104:105], off
	scratch_load_b64 v[105:106], v72, off
	v_max_f64 v[103:104], v[62:63], v[62:63]
	v_min_f64 v[103:104], v[103:104], v[134:135]
	s_waitcnt vmcnt(0)
	s_delay_alu instid0(VALU_DEP_1)
	v_add_f64 v[103:104], v[103:104], v[105:106]
	v_mov_b32_e32 v106, 0x1d8
	v_mov_b32_e32 v105, 0x1e0
	scratch_store_b64 v72, v[103:104], off
	v_mov_b32_e32 v104, 0x1e8
	v_mov_b32_e32 v103, 0x1f0
	;; [unrolled: 1-line block ×3, first 2 shown]
	s_cbranch_vccnz .LBB130_25
; %bb.26:                               ;   in Loop: Header=BB130_18 Depth=1
	v_add_nc_u32_e32 v4, s16, v90
	ds_store_2addr_stride64_b64 v93, v[80:81], v[82:83] offset1:4
	ds_store_2addr_stride64_b64 v95, v[78:79], v[84:85] offset1:4
	s_waitcnt lgkmcnt(0)
	s_waitcnt_vscnt null, 0x0
	s_barrier
	v_mad_u64_u32 v[0:1], null, v4, s20, 0
	buffer_gl0_inv
	v_dual_mov_b32 v129, 8 :: v_dual_add_nc_u32 v72, 0x800, v92
	v_dual_mov_b32 v130, 0 :: v_dual_mov_b32 v127, 24
	v_dual_mov_b32 v128, 16 :: v_dual_mov_b32 v125, 40
	v_mad_u64_u32 v[2:3], null, v4, s19, v[1:2]
	v_dual_mov_b32 v126, 32 :: v_dual_mov_b32 v123, 56
	v_dual_mov_b32 v124, 48 :: v_dual_mov_b32 v121, 0x48
	;; [unrolled: 1-line block ×3, first 2 shown]
	s_delay_alu instid0(VALU_DEP_4) | instskip(SKIP_3) | instid1(VALU_DEP_4)
	v_dual_mov_b32 v1, v2 :: v_dual_mov_b32 v120, 0x50
	v_mov_b32_e32 v118, 0x60
	v_mov_b32_e32 v117, 0x68
	;; [unrolled: 1-line block ×3, first 2 shown]
	v_lshlrev_b64 v[0:1], 3, v[0:1]
	v_mov_b32_e32 v115, 0x78
	v_mov_b32_e32 v114, 0x80
	;; [unrolled: 1-line block ×5, first 2 shown]
	v_add_co_u32 v0, vcc_lo, v100, v0
	v_add_co_ci_u32_e32 v1, vcc_lo, v101, v1, vcc_lo
	v_mov_b32_e32 v110, 0xa0
	v_mov_b32_e32 v109, 0xa8
	s_clause 0x1
	flat_load_b64 v[78:79], v[0:1]
	flat_load_b64 v[80:81], v[0:1] offset:512
	s_clause 0x1
	flat_load_b64 v[74:75], v[74:75] offset:32
	flat_load_b64 v[76:77], v[76:77] offset:32
	ds_load_2addr_b64 v[0:3], v92 offset1:16
	ds_load_2addr_b64 v[4:7], v92 offset0:32 offset1:48
	ds_load_2addr_b64 v[8:11], v92 offset0:64 offset1:80
	ds_load_2addr_b64 v[12:15], v92 offset0:96 offset1:112
	ds_load_2addr_b64 v[16:19], v92 offset0:128 offset1:144
	ds_load_2addr_b64 v[20:23], v92 offset0:160 offset1:176
	ds_load_2addr_b64 v[24:27], v92 offset0:192 offset1:208
	ds_load_2addr_b64 v[28:31], v92 offset0:224 offset1:240
	ds_load_2addr_b64 v[32:35], v72 offset1:16
	ds_load_2addr_b64 v[36:39], v72 offset0:32 offset1:48
	ds_load_2addr_b64 v[40:43], v72 offset0:64 offset1:80
	;; [unrolled: 1-line block ×7, first 2 shown]
	ds_load_2addr_stride64_b64 v[64:67], v94 offset1:4
	v_mov_b32_e32 v108, 0xb0
	v_mov_b32_e32 v107, 0xb8
	;; [unrolled: 1-line block ×10, first 2 shown]
	s_mov_b64 s[10:11], 0
	s_mov_b32 s17, -1
.LBB130_27:                             ;   Parent Loop BB130_18 Depth=1
                                        ; =>  This Inner Loop Header: Depth=2
	scratch_load_b64 v[135:136], v130, off
	s_cmp_eq_u32 s10, 1
	s_waitcnt lgkmcnt(16)
	v_max_f64 v[133:134], v[0:1], v[0:1]
	s_cselect_b32 vcc_lo, -1, 0
	s_mov_b64 s[10:11], 1
	s_waitcnt lgkmcnt(0)
	v_dual_cndmask_b32 v132, v65, v67 :: v_dual_cndmask_b32 v131, v64, v66
	s_and_b32 vcc_lo, exec_lo, s17
	s_mov_b32 s17, 0
	s_delay_alu instid0(VALU_DEP_1) | instskip(NEXT) | instid1(VALU_DEP_1)
	v_max_f64 v[131:132], v[131:132], v[131:132]
	v_min_f64 v[133:134], v[133:134], v[131:132]
	s_waitcnt vmcnt(0)
	s_delay_alu instid0(VALU_DEP_1) | instskip(SKIP_3) | instid1(VALU_DEP_1)
	v_add_f64 v[133:134], v[135:136], v[133:134]
	scratch_load_b64 v[135:136], v129, off
	scratch_store_b64 v130, v[133:134], off
	v_max_f64 v[133:134], v[2:3], v[2:3]
	v_min_f64 v[133:134], v[133:134], v[131:132]
	s_waitcnt vmcnt(0)
	s_delay_alu instid0(VALU_DEP_1) | instskip(SKIP_3) | instid1(VALU_DEP_1)
	v_add_f64 v[133:134], v[133:134], v[135:136]
	scratch_store_b64 v129, v[133:134], off
	scratch_load_b64 v[133:134], v128, off
	v_max_f64 v[129:130], v[4:5], v[4:5]
	v_min_f64 v[129:130], v[129:130], v[131:132]
	s_waitcnt vmcnt(0)
	s_delay_alu instid0(VALU_DEP_1) | instskip(SKIP_3) | instid1(VALU_DEP_1)
	v_add_f64 v[129:130], v[129:130], v[133:134]
	scratch_load_b64 v[133:134], v127, off
	scratch_store_b64 v128, v[129:130], off
	v_max_f64 v[128:129], v[6:7], v[6:7]
	v_min_f64 v[128:129], v[128:129], v[131:132]
	s_waitcnt vmcnt(0)
	s_delay_alu instid0(VALU_DEP_1) | instskip(SKIP_3) | instid1(VALU_DEP_1)
	v_add_f64 v[128:129], v[128:129], v[133:134]
	scratch_store_b64 v127, v[128:129], off
	scratch_load_b64 v[129:130], v126, off
	v_max_f64 v[127:128], v[8:9], v[8:9]
	v_min_f64 v[127:128], v[127:128], v[131:132]
	s_waitcnt vmcnt(0)
	s_delay_alu instid0(VALU_DEP_1) | instskip(SKIP_4) | instid1(VALU_DEP_1)
	v_add_f64 v[127:128], v[127:128], v[129:130]
	v_mov_b32_e32 v130, 0x100
	scratch_store_b64 v126, v[127:128], off
	scratch_load_b64 v[128:129], v125, off
	v_max_f64 v[126:127], v[10:11], v[10:11]
	v_min_f64 v[126:127], v[126:127], v[131:132]
	s_waitcnt vmcnt(0)
	s_delay_alu instid0(VALU_DEP_1) | instskip(SKIP_4) | instid1(VALU_DEP_1)
	v_add_f64 v[126:127], v[126:127], v[128:129]
	v_mov_b32_e32 v129, 0x108
	;; [unrolled: 8-line block ×24, first 2 shown]
	scratch_store_b64 v103, v[104:105], off
	scratch_load_b64 v[105:106], v85, off
	v_max_f64 v[103:104], v[56:57], v[56:57]
	v_min_f64 v[103:104], v[103:104], v[131:132]
	s_waitcnt vmcnt(0)
	s_delay_alu instid0(VALU_DEP_1) | instskip(SKIP_3) | instid1(VALU_DEP_1)
	v_add_f64 v[103:104], v[103:104], v[105:106]
	scratch_load_b64 v[105:106], v84, off
	scratch_store_b64 v85, v[103:104], off
	v_max_f64 v[103:104], v[58:59], v[58:59]
	v_min_f64 v[103:104], v[103:104], v[131:132]
	s_waitcnt vmcnt(0)
	s_delay_alu instid0(VALU_DEP_1)
	v_add_f64 v[103:104], v[103:104], v[105:106]
	v_mov_b32_e32 v106, 0x1c0
	v_mov_b32_e32 v105, 0x1c8
	scratch_store_b64 v84, v[103:104], off
	scratch_load_b64 v[103:104], v83, off
	v_max_f64 v[84:85], v[60:61], v[60:61]
	s_delay_alu instid0(VALU_DEP_1) | instskip(SKIP_1) | instid1(VALU_DEP_1)
	v_min_f64 v[84:85], v[84:85], v[131:132]
	s_waitcnt vmcnt(0)
	v_add_f64 v[84:85], v[84:85], v[103:104]
	scratch_load_b64 v[103:104], v82, off
	scratch_store_b64 v83, v[84:85], off
	v_max_f64 v[83:84], v[62:63], v[62:63]
	v_mov_b32_e32 v85, 0x1e0
	s_delay_alu instid0(VALU_DEP_2) | instskip(SKIP_1) | instid1(VALU_DEP_1)
	v_min_f64 v[83:84], v[83:84], v[131:132]
	s_waitcnt vmcnt(0)
	v_add_f64 v[83:84], v[83:84], v[103:104]
	v_mov_b32_e32 v104, 0x1d0
	v_mov_b32_e32 v103, 0x1d8
	scratch_store_b64 v82, v[83:84], off
	v_mov_b32_e32 v84, 0x1e8
	v_mov_b32_e32 v83, 0x1f0
	;; [unrolled: 1-line block ×3, first 2 shown]
	s_cbranch_vccnz .LBB130_27
; %bb.28:                               ;   in Loop: Header=BB130_18 Depth=1
	ds_load_2addr_b64 v[0:3], v92 offset0:1 offset1:17
	ds_load_2addr_b64 v[4:7], v92 offset0:33 offset1:49
	;; [unrolled: 1-line block ×12, first 2 shown]
	v_dual_mov_b32 v129, 8 :: v_dual_add_nc_u32 v64, 8, v94
	ds_load_2addr_b64 v[48:51], v72 offset0:129 offset1:145
	ds_load_2addr_b64 v[52:55], v72 offset0:161 offset1:177
	;; [unrolled: 1-line block ×4, first 2 shown]
	ds_load_2addr_stride64_b64 v[64:67], v64 offset1:4
	v_dual_mov_b32 v130, 0 :: v_dual_mov_b32 v127, 24
	v_dual_mov_b32 v128, 16 :: v_dual_mov_b32 v125, 40
	;; [unrolled: 1-line block ×5, first 2 shown]
	v_mov_b32_e32 v120, 0x50
	v_mov_b32_e32 v118, 0x60
	;; [unrolled: 1-line block ×21, first 2 shown]
	s_mov_b64 s[10:11], 0
	s_mov_b32 s17, -1
.LBB130_29:                             ;   Parent Loop BB130_18 Depth=1
                                        ; =>  This Inner Loop Header: Depth=2
	scratch_load_b64 v[135:136], v130, off
	s_cmp_eq_u32 s10, 1
	s_waitcnt lgkmcnt(16)
	v_max_f64 v[133:134], v[0:1], v[0:1]
	s_cselect_b32 vcc_lo, -1, 0
	s_mov_b64 s[10:11], 1
	s_waitcnt lgkmcnt(0)
	v_dual_cndmask_b32 v132, v65, v67 :: v_dual_cndmask_b32 v131, v64, v66
	s_and_b32 vcc_lo, exec_lo, s17
	s_mov_b32 s17, 0
	s_delay_alu instid0(VALU_DEP_1) | instskip(NEXT) | instid1(VALU_DEP_1)
	v_max_f64 v[131:132], v[131:132], v[131:132]
	v_min_f64 v[133:134], v[133:134], v[131:132]
	s_waitcnt vmcnt(0)
	s_delay_alu instid0(VALU_DEP_1) | instskip(SKIP_3) | instid1(VALU_DEP_1)
	v_add_f64 v[133:134], v[135:136], v[133:134]
	scratch_load_b64 v[135:136], v129, off
	scratch_store_b64 v130, v[133:134], off
	v_max_f64 v[133:134], v[2:3], v[2:3]
	v_min_f64 v[133:134], v[133:134], v[131:132]
	s_waitcnt vmcnt(0)
	s_delay_alu instid0(VALU_DEP_1) | instskip(SKIP_3) | instid1(VALU_DEP_1)
	v_add_f64 v[133:134], v[133:134], v[135:136]
	scratch_store_b64 v129, v[133:134], off
	scratch_load_b64 v[133:134], v128, off
	v_max_f64 v[129:130], v[4:5], v[4:5]
	v_min_f64 v[129:130], v[129:130], v[131:132]
	s_waitcnt vmcnt(0)
	s_delay_alu instid0(VALU_DEP_1) | instskip(SKIP_3) | instid1(VALU_DEP_1)
	v_add_f64 v[129:130], v[129:130], v[133:134]
	scratch_load_b64 v[133:134], v127, off
	scratch_store_b64 v128, v[129:130], off
	v_max_f64 v[128:129], v[6:7], v[6:7]
	v_min_f64 v[128:129], v[128:129], v[131:132]
	s_waitcnt vmcnt(0)
	s_delay_alu instid0(VALU_DEP_1) | instskip(SKIP_3) | instid1(VALU_DEP_1)
	v_add_f64 v[128:129], v[128:129], v[133:134]
	scratch_store_b64 v127, v[128:129], off
	scratch_load_b64 v[129:130], v126, off
	v_max_f64 v[127:128], v[8:9], v[8:9]
	v_min_f64 v[127:128], v[127:128], v[131:132]
	s_waitcnt vmcnt(0)
	s_delay_alu instid0(VALU_DEP_1) | instskip(SKIP_4) | instid1(VALU_DEP_1)
	v_add_f64 v[127:128], v[127:128], v[129:130]
	v_mov_b32_e32 v130, 0x100
	scratch_store_b64 v126, v[127:128], off
	scratch_load_b64 v[128:129], v125, off
	v_max_f64 v[126:127], v[10:11], v[10:11]
	v_min_f64 v[126:127], v[126:127], v[131:132]
	s_waitcnt vmcnt(0)
	s_delay_alu instid0(VALU_DEP_1) | instskip(SKIP_4) | instid1(VALU_DEP_1)
	v_add_f64 v[126:127], v[126:127], v[128:129]
	v_mov_b32_e32 v129, 0x108
	;; [unrolled: 8-line block ×24, first 2 shown]
	scratch_store_b64 v103, v[104:105], off
	scratch_load_b64 v[105:106], v85, off
	v_max_f64 v[103:104], v[56:57], v[56:57]
	v_min_f64 v[103:104], v[103:104], v[131:132]
	s_waitcnt vmcnt(0)
	s_delay_alu instid0(VALU_DEP_1) | instskip(SKIP_3) | instid1(VALU_DEP_1)
	v_add_f64 v[103:104], v[103:104], v[105:106]
	scratch_load_b64 v[105:106], v84, off
	scratch_store_b64 v85, v[103:104], off
	v_max_f64 v[103:104], v[58:59], v[58:59]
	v_min_f64 v[103:104], v[103:104], v[131:132]
	s_waitcnt vmcnt(0)
	s_delay_alu instid0(VALU_DEP_1)
	v_add_f64 v[103:104], v[103:104], v[105:106]
	v_mov_b32_e32 v106, 0x1c0
	v_mov_b32_e32 v105, 0x1c8
	scratch_store_b64 v84, v[103:104], off
	scratch_load_b64 v[103:104], v83, off
	v_max_f64 v[84:85], v[60:61], v[60:61]
	s_delay_alu instid0(VALU_DEP_1) | instskip(SKIP_1) | instid1(VALU_DEP_1)
	v_min_f64 v[84:85], v[84:85], v[131:132]
	s_waitcnt vmcnt(0)
	v_add_f64 v[84:85], v[84:85], v[103:104]
	scratch_load_b64 v[103:104], v82, off
	scratch_store_b64 v83, v[84:85], off
	v_max_f64 v[83:84], v[62:63], v[62:63]
	v_mov_b32_e32 v85, 0x1e0
	s_delay_alu instid0(VALU_DEP_2) | instskip(SKIP_1) | instid1(VALU_DEP_1)
	v_min_f64 v[83:84], v[83:84], v[131:132]
	s_waitcnt vmcnt(0)
	v_add_f64 v[83:84], v[83:84], v[103:104]
	v_mov_b32_e32 v104, 0x1d0
	v_mov_b32_e32 v103, 0x1d8
	scratch_store_b64 v82, v[83:84], off
	v_mov_b32_e32 v84, 0x1e8
	v_mov_b32_e32 v83, 0x1f0
	;; [unrolled: 1-line block ×3, first 2 shown]
	s_cbranch_vccnz .LBB130_29
; %bb.30:                               ;   in Loop: Header=BB130_18 Depth=1
	ds_load_2addr_b64 v[0:3], v92 offset0:2 offset1:18
	ds_load_2addr_b64 v[4:7], v92 offset0:34 offset1:50
	;; [unrolled: 1-line block ×12, first 2 shown]
	v_dual_mov_b32 v129, 8 :: v_dual_add_nc_u32 v64, 16, v94
	ds_load_2addr_b64 v[48:51], v72 offset0:130 offset1:146
	ds_load_2addr_b64 v[52:55], v72 offset0:162 offset1:178
	;; [unrolled: 1-line block ×4, first 2 shown]
	ds_load_2addr_stride64_b64 v[64:67], v64 offset1:4
	v_dual_mov_b32 v130, 0 :: v_dual_mov_b32 v127, 24
	v_dual_mov_b32 v128, 16 :: v_dual_mov_b32 v125, 40
	;; [unrolled: 1-line block ×5, first 2 shown]
	v_mov_b32_e32 v120, 0x50
	v_mov_b32_e32 v118, 0x60
	v_mov_b32_e32 v117, 0x68
	v_mov_b32_e32 v116, 0x70
	v_mov_b32_e32 v115, 0x78
	v_mov_b32_e32 v114, 0x80
	v_mov_b32_e32 v113, 0x88
	v_mov_b32_e32 v112, 0x90
	v_mov_b32_e32 v111, 0x98
	v_mov_b32_e32 v110, 0xa0
	v_mov_b32_e32 v109, 0xa8
	v_mov_b32_e32 v108, 0xb0
	v_mov_b32_e32 v107, 0xb8
	v_mov_b32_e32 v106, 0xc0
	v_mov_b32_e32 v105, 0xc8
	v_mov_b32_e32 v104, 0xd0
	v_mov_b32_e32 v103, 0xd8
	v_mov_b32_e32 v85, 0xe0
	v_mov_b32_e32 v84, 0xe8
	v_mov_b32_e32 v83, 0xf0
	v_mov_b32_e32 v82, 0xf8
	s_mov_b64 s[10:11], 0
	s_mov_b32 s17, -1
.LBB130_31:                             ;   Parent Loop BB130_18 Depth=1
                                        ; =>  This Inner Loop Header: Depth=2
	scratch_load_b64 v[135:136], v130, off
	s_cmp_eq_u32 s10, 1
	s_waitcnt lgkmcnt(16)
	v_max_f64 v[133:134], v[0:1], v[0:1]
	s_cselect_b32 vcc_lo, -1, 0
	s_mov_b64 s[10:11], 1
	s_waitcnt lgkmcnt(0)
	v_dual_cndmask_b32 v132, v65, v67 :: v_dual_cndmask_b32 v131, v64, v66
	s_and_b32 vcc_lo, exec_lo, s17
	s_mov_b32 s17, 0
	s_delay_alu instid0(VALU_DEP_1) | instskip(NEXT) | instid1(VALU_DEP_1)
	v_max_f64 v[131:132], v[131:132], v[131:132]
	v_min_f64 v[133:134], v[133:134], v[131:132]
	s_waitcnt vmcnt(0)
	s_delay_alu instid0(VALU_DEP_1) | instskip(SKIP_3) | instid1(VALU_DEP_1)
	v_add_f64 v[133:134], v[135:136], v[133:134]
	scratch_load_b64 v[135:136], v129, off
	scratch_store_b64 v130, v[133:134], off
	v_max_f64 v[133:134], v[2:3], v[2:3]
	v_min_f64 v[133:134], v[133:134], v[131:132]
	s_waitcnt vmcnt(0)
	s_delay_alu instid0(VALU_DEP_1) | instskip(SKIP_3) | instid1(VALU_DEP_1)
	v_add_f64 v[133:134], v[133:134], v[135:136]
	scratch_store_b64 v129, v[133:134], off
	scratch_load_b64 v[133:134], v128, off
	v_max_f64 v[129:130], v[4:5], v[4:5]
	v_min_f64 v[129:130], v[129:130], v[131:132]
	s_waitcnt vmcnt(0)
	s_delay_alu instid0(VALU_DEP_1) | instskip(SKIP_3) | instid1(VALU_DEP_1)
	v_add_f64 v[129:130], v[129:130], v[133:134]
	scratch_load_b64 v[133:134], v127, off
	scratch_store_b64 v128, v[129:130], off
	v_max_f64 v[128:129], v[6:7], v[6:7]
	v_min_f64 v[128:129], v[128:129], v[131:132]
	s_waitcnt vmcnt(0)
	s_delay_alu instid0(VALU_DEP_1) | instskip(SKIP_3) | instid1(VALU_DEP_1)
	v_add_f64 v[128:129], v[128:129], v[133:134]
	scratch_store_b64 v127, v[128:129], off
	scratch_load_b64 v[129:130], v126, off
	v_max_f64 v[127:128], v[8:9], v[8:9]
	v_min_f64 v[127:128], v[127:128], v[131:132]
	s_waitcnt vmcnt(0)
	s_delay_alu instid0(VALU_DEP_1) | instskip(SKIP_4) | instid1(VALU_DEP_1)
	v_add_f64 v[127:128], v[127:128], v[129:130]
	v_mov_b32_e32 v130, 0x100
	scratch_store_b64 v126, v[127:128], off
	scratch_load_b64 v[128:129], v125, off
	v_max_f64 v[126:127], v[10:11], v[10:11]
	v_min_f64 v[126:127], v[126:127], v[131:132]
	s_waitcnt vmcnt(0)
	s_delay_alu instid0(VALU_DEP_1) | instskip(SKIP_4) | instid1(VALU_DEP_1)
	v_add_f64 v[126:127], v[126:127], v[128:129]
	v_mov_b32_e32 v129, 0x108
	;; [unrolled: 8-line block ×24, first 2 shown]
	scratch_store_b64 v103, v[104:105], off
	scratch_load_b64 v[105:106], v85, off
	v_max_f64 v[103:104], v[56:57], v[56:57]
	v_min_f64 v[103:104], v[103:104], v[131:132]
	s_waitcnt vmcnt(0)
	s_delay_alu instid0(VALU_DEP_1) | instskip(SKIP_3) | instid1(VALU_DEP_1)
	v_add_f64 v[103:104], v[103:104], v[105:106]
	scratch_load_b64 v[105:106], v84, off
	scratch_store_b64 v85, v[103:104], off
	v_max_f64 v[103:104], v[58:59], v[58:59]
	v_min_f64 v[103:104], v[103:104], v[131:132]
	s_waitcnt vmcnt(0)
	s_delay_alu instid0(VALU_DEP_1)
	v_add_f64 v[103:104], v[103:104], v[105:106]
	v_mov_b32_e32 v106, 0x1c0
	v_mov_b32_e32 v105, 0x1c8
	scratch_store_b64 v84, v[103:104], off
	scratch_load_b64 v[103:104], v83, off
	v_max_f64 v[84:85], v[60:61], v[60:61]
	s_delay_alu instid0(VALU_DEP_1) | instskip(SKIP_1) | instid1(VALU_DEP_1)
	v_min_f64 v[84:85], v[84:85], v[131:132]
	s_waitcnt vmcnt(0)
	v_add_f64 v[84:85], v[84:85], v[103:104]
	scratch_load_b64 v[103:104], v82, off
	scratch_store_b64 v83, v[84:85], off
	v_max_f64 v[83:84], v[62:63], v[62:63]
	v_mov_b32_e32 v85, 0x1e0
	s_delay_alu instid0(VALU_DEP_2) | instskip(SKIP_1) | instid1(VALU_DEP_1)
	v_min_f64 v[83:84], v[83:84], v[131:132]
	s_waitcnt vmcnt(0)
	v_add_f64 v[83:84], v[83:84], v[103:104]
	v_mov_b32_e32 v104, 0x1d0
	v_mov_b32_e32 v103, 0x1d8
	scratch_store_b64 v82, v[83:84], off
	v_mov_b32_e32 v84, 0x1e8
	v_mov_b32_e32 v83, 0x1f0
	;; [unrolled: 1-line block ×3, first 2 shown]
	s_cbranch_vccnz .LBB130_31
; %bb.32:                               ;   in Loop: Header=BB130_18 Depth=1
	ds_load_2addr_b64 v[0:3], v92 offset0:3 offset1:19
	ds_load_2addr_b64 v[4:7], v92 offset0:35 offset1:51
	;; [unrolled: 1-line block ×12, first 2 shown]
	v_dual_mov_b32 v129, 0 :: v_dual_add_nc_u32 v64, 24, v94
	ds_load_2addr_b64 v[48:51], v72 offset0:131 offset1:147
	ds_load_2addr_b64 v[52:55], v72 offset0:163 offset1:179
	;; [unrolled: 1-line block ×4, first 2 shown]
	ds_load_2addr_stride64_b64 v[64:67], v64 offset1:4
	v_dual_mov_b32 v128, 8 :: v_dual_mov_b32 v127, 16
	v_dual_mov_b32 v126, 24 :: v_dual_mov_b32 v125, 32
	;; [unrolled: 1-line block ×4, first 2 shown]
	v_mov_b32_e32 v120, 0x48
	v_mov_b32_e32 v119, 0x50
	;; [unrolled: 1-line block ×23, first 2 shown]
	s_mov_b64 s[10:11], 0
	s_mov_b32 s17, -1
.LBB130_33:                             ;   Parent Loop BB130_18 Depth=1
                                        ; =>  This Inner Loop Header: Depth=2
	scratch_load_b64 v[134:135], v129, off
	s_cmp_eq_u32 s10, 1
	s_waitcnt lgkmcnt(16)
	v_max_f64 v[132:133], v[0:1], v[0:1]
	s_cselect_b32 vcc_lo, -1, 0
	s_mov_b64 s[10:11], 1
	s_waitcnt lgkmcnt(0)
	v_dual_cndmask_b32 v131, v65, v67 :: v_dual_cndmask_b32 v130, v64, v66
	s_and_b32 vcc_lo, exec_lo, s17
	s_mov_b32 s17, 0
	s_delay_alu instid0(VALU_DEP_1) | instskip(NEXT) | instid1(VALU_DEP_1)
	v_max_f64 v[130:131], v[130:131], v[130:131]
	v_min_f64 v[132:133], v[132:133], v[130:131]
	s_waitcnt vmcnt(0)
	s_delay_alu instid0(VALU_DEP_1) | instskip(SKIP_3) | instid1(VALU_DEP_1)
	v_add_f64 v[132:133], v[134:135], v[132:133]
	scratch_load_b64 v[134:135], v128, off
	scratch_store_b64 v129, v[132:133], off
	v_max_f64 v[132:133], v[2:3], v[2:3]
	v_min_f64 v[132:133], v[132:133], v[130:131]
	s_waitcnt vmcnt(0)
	s_delay_alu instid0(VALU_DEP_1) | instskip(SKIP_3) | instid1(VALU_DEP_1)
	v_add_f64 v[132:133], v[132:133], v[134:135]
	scratch_store_b64 v128, v[132:133], off
	scratch_load_b64 v[132:133], v127, off
	v_max_f64 v[128:129], v[4:5], v[4:5]
	v_min_f64 v[128:129], v[128:129], v[130:131]
	s_waitcnt vmcnt(0)
	s_delay_alu instid0(VALU_DEP_1) | instskip(SKIP_3) | instid1(VALU_DEP_1)
	v_add_f64 v[128:129], v[128:129], v[132:133]
	scratch_load_b64 v[132:133], v126, off
	scratch_store_b64 v127, v[128:129], off
	v_max_f64 v[127:128], v[6:7], v[6:7]
	v_min_f64 v[127:128], v[127:128], v[130:131]
	s_waitcnt vmcnt(0)
	s_delay_alu instid0(VALU_DEP_1) | instskip(SKIP_3) | instid1(VALU_DEP_1)
	v_add_f64 v[127:128], v[127:128], v[132:133]
	scratch_store_b64 v126, v[127:128], off
	scratch_load_b64 v[128:129], v125, off
	v_max_f64 v[126:127], v[8:9], v[8:9]
	v_min_f64 v[126:127], v[126:127], v[130:131]
	s_waitcnt vmcnt(0)
	s_delay_alu instid0(VALU_DEP_1) | instskip(SKIP_4) | instid1(VALU_DEP_1)
	v_add_f64 v[126:127], v[126:127], v[128:129]
	v_mov_b32_e32 v129, 0x100
	scratch_store_b64 v125, v[126:127], off
	scratch_load_b64 v[127:128], v124, off
	v_max_f64 v[125:126], v[10:11], v[10:11]
	v_min_f64 v[125:126], v[125:126], v[130:131]
	s_waitcnt vmcnt(0)
	s_delay_alu instid0(VALU_DEP_1) | instskip(SKIP_4) | instid1(VALU_DEP_1)
	v_add_f64 v[125:126], v[125:126], v[127:128]
	v_mov_b32_e32 v128, 0x108
	;; [unrolled: 8-line block ×23, first 2 shown]
	scratch_store_b64 v103, v[104:105], off
	scratch_load_b64 v[105:106], v85, off
	v_max_f64 v[103:104], v[54:55], v[54:55]
	v_min_f64 v[103:104], v[103:104], v[130:131]
	s_waitcnt vmcnt(0)
	s_delay_alu instid0(VALU_DEP_1) | instskip(SKIP_3) | instid1(VALU_DEP_1)
	v_add_f64 v[103:104], v[103:104], v[105:106]
	scratch_load_b64 v[105:106], v84, off
	scratch_store_b64 v85, v[103:104], off
	v_max_f64 v[103:104], v[56:57], v[56:57]
	v_min_f64 v[103:104], v[103:104], v[130:131]
	s_waitcnt vmcnt(0)
	s_delay_alu instid0(VALU_DEP_1)
	v_add_f64 v[103:104], v[103:104], v[105:106]
	v_mov_b32_e32 v106, 0x1b8
	v_mov_b32_e32 v105, 0x1c0
	scratch_store_b64 v84, v[103:104], off
	scratch_load_b64 v[103:104], v83, off
	v_max_f64 v[84:85], v[58:59], v[58:59]
	s_delay_alu instid0(VALU_DEP_1) | instskip(SKIP_1) | instid1(VALU_DEP_1)
	v_min_f64 v[84:85], v[84:85], v[130:131]
	s_waitcnt vmcnt(0)
	v_add_f64 v[84:85], v[84:85], v[103:104]
	scratch_load_b64 v[103:104], v82, off
	scratch_store_b64 v83, v[84:85], off
	v_max_f64 v[83:84], v[60:61], v[60:61]
	s_delay_alu instid0(VALU_DEP_1) | instskip(SKIP_1) | instid1(VALU_DEP_1)
	v_min_f64 v[83:84], v[83:84], v[130:131]
	s_waitcnt vmcnt(0)
	v_add_f64 v[83:84], v[83:84], v[103:104]
	v_mov_b32_e32 v104, 0x1c8
	v_mov_b32_e32 v103, 0x1d0
	scratch_store_b64 v82, v[83:84], off
	scratch_load_b64 v[84:85], v72, off
	v_max_f64 v[82:83], v[62:63], v[62:63]
	s_delay_alu instid0(VALU_DEP_1) | instskip(SKIP_1) | instid1(VALU_DEP_1)
	v_min_f64 v[82:83], v[82:83], v[130:131]
	s_waitcnt vmcnt(0)
	v_add_f64 v[82:83], v[82:83], v[84:85]
	v_mov_b32_e32 v85, 0x1d8
	v_mov_b32_e32 v84, 0x1e0
	scratch_store_b64 v72, v[82:83], off
	v_mov_b32_e32 v83, 0x1e8
	v_mov_b32_e32 v82, 0x1f0
	;; [unrolled: 1-line block ×3, first 2 shown]
	s_cbranch_vccnz .LBB130_33
; %bb.34:                               ;   in Loop: Header=BB130_18 Depth=1
	s_add_i32 s13, s13, 8
	s_add_i32 s16, s16, 8
	s_cmp_ge_i32 s13, s12
	ds_store_2addr_stride64_b64 v96, v[78:79], v[80:81] offset1:4
	ds_store_2addr_stride64_b64 v97, v[74:75], v[76:77] offset1:4
	s_waitcnt lgkmcnt(0)
	s_waitcnt_vscnt null, 0x0
	s_barrier
	buffer_gl0_inv
	s_cbranch_scc0 .LBB130_18
.LBB130_35:
	v_dual_mov_b32 v71, 8 :: v_dual_add_nc_u32 v28, 0x1000, v92
	v_dual_mov_b32 v75, 40 :: v_dual_add_nc_u32 v60, 0x1800, v92
	;; [unrolled: 1-line block ×3, first 2 shown]
	ds_load_2addr_b64 v[0:3], v28 offset1:16
	ds_load_2addr_b64 v[4:7], v28 offset0:32 offset1:48
	ds_load_2addr_b64 v[8:11], v28 offset0:64 offset1:80
	ds_load_2addr_b64 v[12:15], v28 offset0:96 offset1:112
	ds_load_2addr_b64 v[16:19], v28 offset0:128 offset1:144
	ds_load_2addr_b64 v[20:23], v28 offset0:160 offset1:176
	ds_load_2addr_b64 v[24:27], v28 offset0:192 offset1:208
	ds_load_2addr_b64 v[28:31], v28 offset0:224 offset1:240
	ds_load_2addr_b64 v[32:35], v60 offset1:16
	ds_load_2addr_b64 v[36:39], v60 offset0:32 offset1:48
	ds_load_2addr_b64 v[40:43], v60 offset0:64 offset1:80
	;; [unrolled: 1-line block ×7, first 2 shown]
	ds_load_2addr_stride64_b64 v[64:67], v91 offset0:24 offset1:28
	v_dual_mov_b32 v70, 0 :: v_dual_add_nc_u32 v69, 0x3000, v91
	v_dual_mov_b32 v72, 16 :: v_dual_mov_b32 v77, 56
	v_dual_mov_b32 v74, 32 :: v_dual_mov_b32 v79, 0x48
	;; [unrolled: 1-line block ×4, first 2 shown]
	v_mov_b32_e32 v80, 0x50
	v_mov_b32_e32 v82, 0x60
	;; [unrolled: 1-line block ×20, first 2 shown]
	s_mov_b64 s[2:3], 0
	s_mov_b32 s10, -1
.LBB130_36:                             ; =>This Inner Loop Header: Depth=1
	scratch_load_b64 v[104:105], v70, off
	scratch_load_b64 v[106:107], v71, off
	;; [unrolled: 1-line block ×32, first 2 shown]
	s_cmp_eq_u32 s2, 1
	s_waitcnt lgkmcnt(16)
	v_max_f64 v[170:171], v[0:1], v[0:1]
	s_cselect_b32 vcc_lo, -1, 0
	v_max_f64 v[172:173], v[2:3], v[2:3]
	s_waitcnt lgkmcnt(0)
	v_dual_cndmask_b32 v169, v65, v67 :: v_dual_cndmask_b32 v168, v64, v66
	v_max_f64 v[174:175], v[4:5], v[4:5]
	v_max_f64 v[176:177], v[6:7], v[6:7]
	;; [unrolled: 1-line block ×31, first 2 shown]
	s_mov_b64 s[2:3], 1
	s_and_b32 vcc_lo, exec_lo, s10
	s_mov_b32 s10, 0
	v_min_f64 v[170:171], v[170:171], v[168:169]
	v_min_f64 v[172:173], v[172:173], v[168:169]
	;; [unrolled: 1-line block ×32, first 2 shown]
	s_waitcnt vmcnt(31)
	v_add_f64 v[104:105], v[104:105], v[170:171]
	s_waitcnt vmcnt(30)
	v_add_f64 v[106:107], v[172:173], v[106:107]
	;; [unrolled: 2-line block ×32, first 2 shown]
	scratch_store_b64 v70, v[104:105], off
	scratch_store_b64 v71, v[106:107], off
	;; [unrolled: 1-line block ×32, first 2 shown]
	v_mov_b32_e32 v70, 0x100
	v_mov_b32_e32 v71, 0x108
	;; [unrolled: 1-line block ×32, first 2 shown]
	s_cbranch_vccnz .LBB130_36
; %bb.37:
	v_dual_mov_b32 v71, 8 :: v_dual_add_nc_u32 v60, 0x800, v68
	ds_load_2addr_b64 v[0:3], v68 offset0:1 offset1:17
	ds_load_2addr_b64 v[4:7], v68 offset0:33 offset1:49
	;; [unrolled: 1-line block ×12, first 2 shown]
	v_dual_mov_b32 v73, 24 :: v_dual_add_nc_u32 v64, 8, v69
	ds_load_2addr_b64 v[48:51], v60 offset0:129 offset1:145
	ds_load_2addr_b64 v[52:55], v60 offset0:161 offset1:177
	;; [unrolled: 1-line block ×4, first 2 shown]
	ds_load_2addr_stride64_b64 v[64:67], v64 offset1:4
	v_dual_mov_b32 v70, 0 :: v_dual_mov_b32 v75, 40
	v_dual_mov_b32 v72, 16 :: v_dual_mov_b32 v77, 56
	;; [unrolled: 1-line block ×5, first 2 shown]
	v_mov_b32_e32 v80, 0x50
	v_mov_b32_e32 v82, 0x60
	;; [unrolled: 1-line block ×20, first 2 shown]
	s_mov_b64 s[2:3], 0
	s_mov_b32 s10, -1
.LBB130_38:                             ; =>This Inner Loop Header: Depth=1
	scratch_load_b64 v[104:105], v70, off
	scratch_load_b64 v[106:107], v71, off
	;; [unrolled: 1-line block ×32, first 2 shown]
	s_cmp_eq_u32 s2, 1
	s_waitcnt lgkmcnt(16)
	v_max_f64 v[170:171], v[0:1], v[0:1]
	s_cselect_b32 vcc_lo, -1, 0
	v_max_f64 v[172:173], v[2:3], v[2:3]
	s_waitcnt lgkmcnt(0)
	v_dual_cndmask_b32 v169, v65, v67 :: v_dual_cndmask_b32 v168, v64, v66
	v_max_f64 v[174:175], v[4:5], v[4:5]
	v_max_f64 v[176:177], v[6:7], v[6:7]
	;; [unrolled: 1-line block ×31, first 2 shown]
	s_mov_b64 s[2:3], 1
	s_and_b32 vcc_lo, exec_lo, s10
	s_mov_b32 s10, 0
	v_min_f64 v[170:171], v[170:171], v[168:169]
	v_min_f64 v[172:173], v[172:173], v[168:169]
	;; [unrolled: 1-line block ×32, first 2 shown]
	s_waitcnt vmcnt(31)
	v_add_f64 v[104:105], v[104:105], v[170:171]
	s_waitcnt vmcnt(30)
	v_add_f64 v[106:107], v[172:173], v[106:107]
	;; [unrolled: 2-line block ×32, first 2 shown]
	scratch_store_b64 v70, v[104:105], off
	scratch_store_b64 v71, v[106:107], off
	;; [unrolled: 1-line block ×32, first 2 shown]
	v_mov_b32_e32 v70, 0x100
	v_mov_b32_e32 v71, 0x108
	v_mov_b32_e32 v72, 0x110
	v_mov_b32_e32 v73, 0x118
	v_mov_b32_e32 v74, 0x120
	v_mov_b32_e32 v75, 0x128
	v_mov_b32_e32 v76, 0x130
	v_mov_b32_e32 v77, 0x138
	v_mov_b32_e32 v78, 0x140
	v_mov_b32_e32 v79, 0x148
	v_mov_b32_e32 v80, 0x150
	v_mov_b32_e32 v81, 0x158
	v_mov_b32_e32 v82, 0x160
	v_mov_b32_e32 v83, 0x168
	v_mov_b32_e32 v84, 0x170
	v_mov_b32_e32 v85, 0x178
	v_mov_b32_e32 v88, 0x180
	v_mov_b32_e32 v89, 0x188
	v_mov_b32_e32 v90, 0x190
	v_mov_b32_e32 v91, 0x198
	v_mov_b32_e32 v92, 0x1a0
	v_mov_b32_e32 v93, 0x1a8
	v_mov_b32_e32 v94, 0x1b0
	v_mov_b32_e32 v95, 0x1b8
	v_mov_b32_e32 v96, 0x1c0
	v_mov_b32_e32 v97, 0x1c8
	v_mov_b32_e32 v98, 0x1d0
	v_mov_b32_e32 v99, 0x1d8
	v_mov_b32_e32 v100, 0x1e0
	v_mov_b32_e32 v101, 0x1e8
	v_mov_b32_e32 v102, 0x1f0
	v_mov_b32_e32 v103, 0x1f8
	s_cbranch_vccnz .LBB130_38
; %bb.39:
	v_dual_mov_b32 v71, 8 :: v_dual_add_nc_u32 v60, 0x800, v68
	ds_load_2addr_b64 v[0:3], v68 offset0:2 offset1:18
	ds_load_2addr_b64 v[4:7], v68 offset0:34 offset1:50
	;; [unrolled: 1-line block ×12, first 2 shown]
	v_dual_mov_b32 v73, 24 :: v_dual_add_nc_u32 v64, 16, v69
	ds_load_2addr_b64 v[48:51], v60 offset0:130 offset1:146
	ds_load_2addr_b64 v[52:55], v60 offset0:162 offset1:178
	;; [unrolled: 1-line block ×4, first 2 shown]
	ds_load_2addr_stride64_b64 v[64:67], v64 offset1:4
	v_dual_mov_b32 v70, 0 :: v_dual_mov_b32 v75, 40
	v_dual_mov_b32 v72, 16 :: v_dual_mov_b32 v77, 56
	;; [unrolled: 1-line block ×5, first 2 shown]
	v_mov_b32_e32 v80, 0x50
	v_mov_b32_e32 v82, 0x60
	;; [unrolled: 1-line block ×20, first 2 shown]
	s_mov_b64 s[2:3], 0
	s_mov_b32 s10, -1
.LBB130_40:                             ; =>This Inner Loop Header: Depth=1
	scratch_load_b64 v[104:105], v70, off
	scratch_load_b64 v[106:107], v71, off
	;; [unrolled: 1-line block ×32, first 2 shown]
	s_cmp_eq_u32 s2, 1
	s_waitcnt lgkmcnt(16)
	v_max_f64 v[170:171], v[0:1], v[0:1]
	s_cselect_b32 vcc_lo, -1, 0
	v_max_f64 v[172:173], v[2:3], v[2:3]
	s_waitcnt lgkmcnt(0)
	v_dual_cndmask_b32 v169, v65, v67 :: v_dual_cndmask_b32 v168, v64, v66
	v_max_f64 v[174:175], v[4:5], v[4:5]
	v_max_f64 v[176:177], v[6:7], v[6:7]
	;; [unrolled: 1-line block ×31, first 2 shown]
	s_mov_b64 s[2:3], 1
	s_and_b32 vcc_lo, exec_lo, s10
	s_mov_b32 s10, 0
	v_min_f64 v[170:171], v[170:171], v[168:169]
	v_min_f64 v[172:173], v[172:173], v[168:169]
	;; [unrolled: 1-line block ×32, first 2 shown]
	s_waitcnt vmcnt(31)
	v_add_f64 v[104:105], v[104:105], v[170:171]
	s_waitcnt vmcnt(30)
	v_add_f64 v[106:107], v[172:173], v[106:107]
	;; [unrolled: 2-line block ×32, first 2 shown]
	scratch_store_b64 v70, v[104:105], off
	scratch_store_b64 v71, v[106:107], off
	scratch_store_b64 v72, v[108:109], off
	scratch_store_b64 v73, v[110:111], off
	scratch_store_b64 v74, v[112:113], off
	scratch_store_b64 v75, v[114:115], off
	scratch_store_b64 v76, v[116:117], off
	scratch_store_b64 v77, v[118:119], off
	scratch_store_b64 v78, v[120:121], off
	scratch_store_b64 v79, v[122:123], off
	scratch_store_b64 v80, v[124:125], off
	scratch_store_b64 v81, v[126:127], off
	scratch_store_b64 v82, v[128:129], off
	scratch_store_b64 v83, v[130:131], off
	scratch_store_b64 v84, v[132:133], off
	scratch_store_b64 v85, v[134:135], off
	scratch_store_b64 v88, v[136:137], off
	scratch_store_b64 v89, v[138:139], off
	scratch_store_b64 v90, v[140:141], off
	scratch_store_b64 v91, v[142:143], off
	scratch_store_b64 v92, v[144:145], off
	scratch_store_b64 v93, v[146:147], off
	scratch_store_b64 v94, v[148:149], off
	scratch_store_b64 v95, v[150:151], off
	scratch_store_b64 v96, v[152:153], off
	scratch_store_b64 v97, v[154:155], off
	scratch_store_b64 v98, v[156:157], off
	scratch_store_b64 v99, v[158:159], off
	scratch_store_b64 v100, v[160:161], off
	scratch_store_b64 v101, v[162:163], off
	scratch_store_b64 v102, v[164:165], off
	scratch_store_b64 v103, v[166:167], off
	v_mov_b32_e32 v70, 0x100
	v_mov_b32_e32 v71, 0x108
	;; [unrolled: 1-line block ×32, first 2 shown]
	s_cbranch_vccnz .LBB130_40
; %bb.41:
	v_add_nc_u32_e32 v60, 0x800, v68
	ds_load_2addr_b64 v[0:3], v68 offset0:3 offset1:19
	ds_load_2addr_b64 v[4:7], v68 offset0:35 offset1:51
	;; [unrolled: 1-line block ×4, first 2 shown]
	v_dual_mov_b32 v71, 24 :: v_dual_add_nc_u32 v64, 24, v69
	v_mov_b32_e32 v69, 8
	ds_load_2addr_b64 v[16:19], v68 offset0:131 offset1:147
	ds_load_2addr_b64 v[20:23], v68 offset0:163 offset1:179
	;; [unrolled: 1-line block ×12, first 2 shown]
	ds_load_2addr_stride64_b64 v[64:67], v64 offset1:4
	v_dual_mov_b32 v68, 0 :: v_dual_mov_b32 v73, 40
	v_dual_mov_b32 v70, 16 :: v_dual_mov_b32 v75, 56
	;; [unrolled: 1-line block ×5, first 2 shown]
	v_mov_b32_e32 v78, 0x50
	v_mov_b32_e32 v80, 0x60
	;; [unrolled: 1-line block ×20, first 2 shown]
	s_mov_b64 s[2:3], 0
	s_mov_b32 s10, -1
.LBB130_42:                             ; =>This Inner Loop Header: Depth=1
	scratch_load_b64 v[102:103], v68, off
	scratch_load_b64 v[104:105], v69, off
	;; [unrolled: 1-line block ×32, first 2 shown]
	s_cmp_eq_u32 s2, 1
	s_waitcnt lgkmcnt(16)
	v_max_f64 v[168:169], v[0:1], v[0:1]
	s_cselect_b32 vcc_lo, -1, 0
	v_max_f64 v[170:171], v[2:3], v[2:3]
	s_waitcnt lgkmcnt(0)
	v_dual_cndmask_b32 v167, v65, v67 :: v_dual_cndmask_b32 v166, v64, v66
	v_max_f64 v[172:173], v[4:5], v[4:5]
	v_max_f64 v[174:175], v[6:7], v[6:7]
	;; [unrolled: 1-line block ×31, first 2 shown]
	s_mov_b64 s[2:3], 1
	s_and_b32 vcc_lo, exec_lo, s10
	s_mov_b32 s10, 0
	v_min_f64 v[168:169], v[168:169], v[166:167]
	v_min_f64 v[170:171], v[170:171], v[166:167]
	;; [unrolled: 1-line block ×32, first 2 shown]
	s_waitcnt vmcnt(31)
	v_add_f64 v[102:103], v[102:103], v[168:169]
	s_waitcnt vmcnt(30)
	v_add_f64 v[104:105], v[170:171], v[104:105]
	;; [unrolled: 2-line block ×32, first 2 shown]
	scratch_store_b64 v68, v[102:103], off
	scratch_store_b64 v69, v[104:105], off
	;; [unrolled: 1-line block ×32, first 2 shown]
	v_mov_b32_e32 v68, 0x100
	v_mov_b32_e32 v69, 0x108
	;; [unrolled: 1-line block ×32, first 2 shown]
	s_cbranch_vccnz .LBB130_42
; %bb.43:
	scratch_load_b64 v[2:3], off, off
	s_load_b32 s3, s[0:1], 0x58
	v_dual_mov_b32 v4, 0 :: v_dual_add_nc_u32 v71, s15, v87
	v_dual_mov_b32 v5, 0 :: v_dual_add_nc_u32 v16, s14, v86
	v_mov_b32_e32 v8, 0
	v_mov_b32_e32 v9, 0
	s_and_b32 s2, exec_lo, s18
	s_delay_alu instid0(VALU_DEP_3) | instskip(SKIP_2) | instid1(VALU_DEP_1)
	v_ashrrev_i32_e32 v17, 31, v16
	s_waitcnt lgkmcnt(0)
	v_mad_i64_i32 v[0:1], null, v71, s3, 0
	v_lshlrev_b64 v[0:1], 3, v[0:1]
	s_delay_alu instid0(VALU_DEP_1) | instskip(NEXT) | instid1(VALU_DEP_2)
	v_add_co_u32 v72, vcc_lo, s4, v0
	v_add_co_ci_u32_e32 v73, vcc_lo, s5, v1, vcc_lo
	v_lshlrev_b64 v[0:1], 3, v[16:17]
	s_mov_b32 vcc_lo, s2
	s_cbranch_vccz .LBB130_45
; %bb.44:
	s_delay_alu instid0(VALU_DEP_1) | instskip(NEXT) | instid1(VALU_DEP_2)
	v_add_co_u32 v6, vcc_lo, v72, v0
	v_add_co_ci_u32_e32 v7, vcc_lo, v73, v1, vcc_lo
	flat_load_b64 v[6:7], v[6:7]
	s_waitcnt vmcnt(0) lgkmcnt(0)
	v_mul_f64 v[8:9], v[6:7], s[6:7]
.LBB130_45:
	scratch_load_b64 v[6:7], off, off offset:8
	s_clause 0x1
	s_load_b32 s10, s[0:1], 0x70
	s_load_b64 s[0:1], s[0:1], 0x78
	s_waitcnt vmcnt(1)
	v_add_f64 v[8:9], v[2:3], v[8:9]
	v_add_nc_u32_e32 v10, 4, v16
	v_cndmask_b32_e64 v12, 0, 1, s18
	s_delay_alu instid0(VALU_DEP_2)
	v_ashrrev_i32_e32 v11, 31, v10
	s_waitcnt lgkmcnt(0)
	v_mad_i64_i32 v[2:3], null, v71, s10, 0
	s_lshl_b64 s[12:13], s[0:1], 3
	v_cmp_ne_u32_e64 s0, 1, v12
	s_add_u32 s1, s8, s12
	s_addc_u32 s8, s9, s13
	s_delay_alu instid0(VALU_DEP_2) | instskip(NEXT) | instid1(VALU_DEP_1)
	v_lshlrev_b64 v[2:3], 3, v[2:3]
	v_add_co_u32 v74, vcc_lo, s1, v2
	s_delay_alu instid0(VALU_DEP_2) | instskip(SKIP_1) | instid1(VALU_DEP_3)
	v_add_co_ci_u32_e32 v75, vcc_lo, s8, v3, vcc_lo
	v_lshlrev_b64 v[2:3], 3, v[10:11]
	v_add_co_u32 v12, vcc_lo, v74, v0
	s_delay_alu instid0(VALU_DEP_3)
	v_add_co_ci_u32_e32 v13, vcc_lo, v75, v1, vcc_lo
	s_and_not1_b32 vcc_lo, exec_lo, s18
	global_store_b64 v[12:13], v[8:9], off
	s_cbranch_vccnz .LBB130_47
; %bb.46:
	v_add_co_u32 v4, vcc_lo, v72, v2
	v_add_co_ci_u32_e32 v5, vcc_lo, v73, v3, vcc_lo
	flat_load_b64 v[4:5], v[4:5]
	s_waitcnt vmcnt(0) lgkmcnt(0)
	v_mul_f64 v[4:5], v[4:5], s[6:7]
.LBB130_47:
	scratch_load_b64 v[10:11], off, off offset:16
	s_waitcnt vmcnt(1)
	v_add_f64 v[12:13], v[6:7], v[4:5]
	v_add_nc_u32_e32 v4, 8, v16
	v_mov_b32_e32 v8, 0
	v_mov_b32_e32 v9, 0
	v_add_co_u32 v14, vcc_lo, v74, v2
	s_delay_alu instid0(VALU_DEP_4) | instskip(SKIP_3) | instid1(VALU_DEP_4)
	v_ashrrev_i32_e32 v5, 31, v4
	v_mov_b32_e32 v6, 0
	v_mov_b32_e32 v7, 0
	v_add_co_ci_u32_e32 v15, vcc_lo, v75, v3, vcc_lo
	v_lshlrev_b64 v[4:5], 3, v[4:5]
	s_and_b32 vcc_lo, exec_lo, s0
	global_store_b64 v[14:15], v[12:13], off
	s_cbranch_vccnz .LBB130_49
; %bb.48:
	v_add_co_u32 v6, vcc_lo, v72, v4
	v_add_co_ci_u32_e32 v7, vcc_lo, v73, v5, vcc_lo
	flat_load_b64 v[6:7], v[6:7]
	s_waitcnt vmcnt(0) lgkmcnt(0)
	v_mul_f64 v[6:7], v[6:7], s[6:7]
.LBB130_49:
	scratch_load_b64 v[12:13], off, off offset:24
	s_waitcnt vmcnt(1)
	v_add_f64 v[10:11], v[10:11], v[6:7]
	v_add_nc_u32_e32 v6, 12, v16
	v_add_co_u32 v14, vcc_lo, v74, v4
	v_add_co_ci_u32_e32 v15, vcc_lo, v75, v5, vcc_lo
	s_delay_alu instid0(VALU_DEP_3) | instskip(SKIP_1) | instid1(VALU_DEP_1)
	v_ashrrev_i32_e32 v7, 31, v6
	s_and_b32 vcc_lo, exec_lo, s0
	v_lshlrev_b64 v[6:7], 3, v[6:7]
	global_store_b64 v[14:15], v[10:11], off
	s_cbranch_vccnz .LBB130_51
; %bb.50:
	v_add_co_u32 v8, vcc_lo, v72, v6
	v_add_co_ci_u32_e32 v9, vcc_lo, v73, v7, vcc_lo
	flat_load_b64 v[8:9], v[8:9]
	s_waitcnt vmcnt(0) lgkmcnt(0)
	v_mul_f64 v[8:9], v[8:9], s[6:7]
.LBB130_51:
	scratch_load_b64 v[10:11], off, off offset:32
	s_waitcnt vmcnt(1)
	v_add_f64 v[17:18], v[12:13], v[8:9]
	v_add_nc_u32_e32 v8, 16, v16
	v_mov_b32_e32 v12, 0
	v_mov_b32_e32 v13, 0
	v_add_co_u32 v19, vcc_lo, v74, v6
	s_delay_alu instid0(VALU_DEP_4) | instskip(SKIP_3) | instid1(VALU_DEP_4)
	v_ashrrev_i32_e32 v9, 31, v8
	v_mov_b32_e32 v14, 0
	v_mov_b32_e32 v15, 0
	v_add_co_ci_u32_e32 v20, vcc_lo, v75, v7, vcc_lo
	v_lshlrev_b64 v[8:9], 3, v[8:9]
	s_and_b32 vcc_lo, exec_lo, s0
	global_store_b64 v[19:20], v[17:18], off
	s_cbranch_vccnz .LBB130_53
; %bb.52:
	v_add_co_u32 v14, vcc_lo, v72, v8
	v_add_co_ci_u32_e32 v15, vcc_lo, v73, v9, vcc_lo
	flat_load_b64 v[14:15], v[14:15]
	s_waitcnt vmcnt(0) lgkmcnt(0)
	v_mul_f64 v[14:15], v[14:15], s[6:7]
.LBB130_53:
	scratch_load_b64 v[17:18], off, off offset:40
	s_waitcnt vmcnt(1)
	v_add_f64 v[14:15], v[10:11], v[14:15]
	v_add_nc_u32_e32 v10, 20, v16
	v_add_co_u32 v19, vcc_lo, v74, v8
	v_add_co_ci_u32_e32 v20, vcc_lo, v75, v9, vcc_lo
	s_delay_alu instid0(VALU_DEP_3) | instskip(SKIP_1) | instid1(VALU_DEP_1)
	v_ashrrev_i32_e32 v11, 31, v10
	s_and_b32 vcc_lo, exec_lo, s0
	v_lshlrev_b64 v[10:11], 3, v[10:11]
	global_store_b64 v[19:20], v[14:15], off
	s_cbranch_vccnz .LBB130_55
; %bb.54:
	v_add_co_u32 v12, vcc_lo, v72, v10
	v_add_co_ci_u32_e32 v13, vcc_lo, v73, v11, vcc_lo
	flat_load_b64 v[12:13], v[12:13]
	s_waitcnt vmcnt(0) lgkmcnt(0)
	v_mul_f64 v[12:13], v[12:13], s[6:7]
.LBB130_55:
	scratch_load_b64 v[14:15], off, off offset:48
	s_waitcnt vmcnt(1)
	v_add_f64 v[21:22], v[17:18], v[12:13]
	v_dual_mov_b32 v17, 0 :: v_dual_add_nc_u32 v12, 24, v16
	v_add_co_u32 v23, vcc_lo, v74, v10
	v_dual_mov_b32 v18, 0 :: v_dual_mov_b32 v19, 0
	s_delay_alu instid0(VALU_DEP_3) | instskip(SKIP_3) | instid1(VALU_DEP_3)
	v_ashrrev_i32_e32 v13, 31, v12
	v_add_co_ci_u32_e32 v24, vcc_lo, v75, v11, vcc_lo
	v_mov_b32_e32 v20, 0
	s_and_b32 vcc_lo, exec_lo, s0
	v_lshlrev_b64 v[12:13], 3, v[12:13]
	global_store_b64 v[23:24], v[21:22], off
	s_cbranch_vccnz .LBB130_57
; %bb.56:
	v_add_co_u32 v19, vcc_lo, v72, v12
	v_add_co_ci_u32_e32 v20, vcc_lo, v73, v13, vcc_lo
	flat_load_b64 v[19:20], v[19:20]
	s_waitcnt vmcnt(0) lgkmcnt(0)
	v_mul_f64 v[19:20], v[19:20], s[6:7]
.LBB130_57:
	scratch_load_b64 v[21:22], off, off offset:56
	s_waitcnt vmcnt(1)
	v_add_f64 v[19:20], v[14:15], v[19:20]
	v_add_nc_u32_e32 v14, 28, v16
	v_add_co_u32 v23, vcc_lo, v74, v12
	v_add_co_ci_u32_e32 v24, vcc_lo, v75, v13, vcc_lo
	s_delay_alu instid0(VALU_DEP_3) | instskip(SKIP_1) | instid1(VALU_DEP_1)
	v_ashrrev_i32_e32 v15, 31, v14
	s_and_b32 vcc_lo, exec_lo, s0
	v_lshlrev_b64 v[14:15], 3, v[14:15]
	global_store_b64 v[23:24], v[19:20], off
	s_cbranch_vccnz .LBB130_59
; %bb.58:
	v_add_co_u32 v17, vcc_lo, v72, v14
	v_add_co_ci_u32_e32 v18, vcc_lo, v73, v15, vcc_lo
	flat_load_b64 v[17:18], v[17:18]
	s_waitcnt vmcnt(0) lgkmcnt(0)
	v_mul_f64 v[17:18], v[17:18], s[6:7]
.LBB130_59:
	scratch_load_b64 v[19:20], off, off offset:64
	s_waitcnt vmcnt(1)
	v_add_f64 v[25:26], v[21:22], v[17:18]
	v_add_nc_u32_e32 v17, 32, v16
	v_mov_b32_e32 v21, 0
	v_mov_b32_e32 v22, 0
	v_add_co_u32 v27, vcc_lo, v74, v14
	s_delay_alu instid0(VALU_DEP_4) | instskip(SKIP_3) | instid1(VALU_DEP_4)
	v_ashrrev_i32_e32 v18, 31, v17
	v_mov_b32_e32 v23, 0
	v_mov_b32_e32 v24, 0
	v_add_co_ci_u32_e32 v28, vcc_lo, v75, v15, vcc_lo
	v_lshlrev_b64 v[17:18], 3, v[17:18]
	s_and_b32 vcc_lo, exec_lo, s0
	global_store_b64 v[27:28], v[25:26], off
	s_cbranch_vccnz .LBB130_61
; %bb.60:
	v_add_co_u32 v23, vcc_lo, v72, v17
	v_add_co_ci_u32_e32 v24, vcc_lo, v73, v18, vcc_lo
	flat_load_b64 v[23:24], v[23:24]
	s_waitcnt vmcnt(0) lgkmcnt(0)
	v_mul_f64 v[23:24], v[23:24], s[6:7]
.LBB130_61:
	scratch_load_b64 v[25:26], off, off offset:72
	s_waitcnt vmcnt(1)
	v_add_f64 v[23:24], v[19:20], v[23:24]
	v_add_nc_u32_e32 v19, 36, v16
	v_add_co_u32 v27, vcc_lo, v74, v17
	v_add_co_ci_u32_e32 v28, vcc_lo, v75, v18, vcc_lo
	s_delay_alu instid0(VALU_DEP_3) | instskip(SKIP_1) | instid1(VALU_DEP_1)
	v_ashrrev_i32_e32 v20, 31, v19
	s_and_b32 vcc_lo, exec_lo, s0
	v_lshlrev_b64 v[19:20], 3, v[19:20]
	global_store_b64 v[27:28], v[23:24], off
	s_cbranch_vccnz .LBB130_63
; %bb.62:
	v_add_co_u32 v21, vcc_lo, v72, v19
	v_add_co_ci_u32_e32 v22, vcc_lo, v73, v20, vcc_lo
	flat_load_b64 v[21:22], v[21:22]
	s_waitcnt vmcnt(0) lgkmcnt(0)
	v_mul_f64 v[21:22], v[21:22], s[6:7]
.LBB130_63:
	scratch_load_b64 v[23:24], off, off offset:80
	s_waitcnt vmcnt(1)
	v_add_f64 v[29:30], v[25:26], v[21:22]
	v_add_nc_u32_e32 v21, 40, v16
	v_mov_b32_e32 v25, 0
	v_mov_b32_e32 v26, 0
	v_add_co_u32 v31, vcc_lo, v74, v19
	s_delay_alu instid0(VALU_DEP_4) | instskip(SKIP_3) | instid1(VALU_DEP_4)
	v_ashrrev_i32_e32 v22, 31, v21
	v_mov_b32_e32 v27, 0
	v_mov_b32_e32 v28, 0
	v_add_co_ci_u32_e32 v32, vcc_lo, v75, v20, vcc_lo
	v_lshlrev_b64 v[21:22], 3, v[21:22]
	s_and_b32 vcc_lo, exec_lo, s0
	;; [unrolled: 42-line block ×12, first 2 shown]
	global_store_b64 v[76:77], v[67:68], off
	s_cbranch_vccnz .LBB130_105
; %bb.104:
	v_add_co_u32 v67, vcc_lo, v72, v61
	v_add_co_ci_u32_e32 v68, vcc_lo, v73, v62, vcc_lo
	flat_load_b64 v[67:68], v[67:68]
	s_waitcnt vmcnt(0) lgkmcnt(0)
	v_mul_f64 v[69:70], v[67:68], s[6:7]
.LBB130_105:
	scratch_load_b64 v[67:68], off, off offset:248
	s_waitcnt vmcnt(1)
	v_add_f64 v[69:70], v[63:64], v[69:70]
	v_add_nc_u32_e32 v63, 0x7c, v16
	v_add_co_u32 v76, vcc_lo, v74, v61
	v_add_co_ci_u32_e32 v77, vcc_lo, v75, v62, vcc_lo
	s_delay_alu instid0(VALU_DEP_3) | instskip(SKIP_1) | instid1(VALU_DEP_1)
	v_ashrrev_i32_e32 v64, 31, v63
	s_and_b32 vcc_lo, exec_lo, s0
	v_lshlrev_b64 v[63:64], 3, v[63:64]
	global_store_b64 v[76:77], v[69:70], off
	s_cbranch_vccnz .LBB130_107
; %bb.106:
	v_add_co_u32 v65, vcc_lo, v72, v63
	v_add_co_ci_u32_e32 v66, vcc_lo, v73, v64, vcc_lo
	flat_load_b64 v[65:66], v[65:66]
	s_waitcnt vmcnt(0) lgkmcnt(0)
	v_mul_f64 v[65:66], v[65:66], s[6:7]
.LBB130_107:
	scratch_load_b64 v[69:70], off, off offset:256
	s_waitcnt vmcnt(1)
	v_add_f64 v[67:68], v[67:68], v[65:66]
	v_add_nc_u32_e32 v76, 64, v71
	v_add_co_u32 v74, vcc_lo, v74, v63
	v_add_co_ci_u32_e32 v75, vcc_lo, v75, v64, vcc_lo
	s_delay_alu instid0(VALU_DEP_3) | instskip(SKIP_2) | instid1(VALU_DEP_3)
	v_mad_i64_i32 v[65:66], null, v76, s3, 0
	v_mov_b32_e32 v71, 0
	v_mov_b32_e32 v72, 0
	v_lshlrev_b64 v[77:78], 3, v[65:66]
	v_mov_b32_e32 v65, 0
	v_mov_b32_e32 v66, 0
	s_delay_alu instid0(VALU_DEP_3) | instskip(NEXT) | instid1(VALU_DEP_4)
	v_add_co_u32 v16, vcc_lo, s4, v77
	v_add_co_ci_u32_e32 v73, vcc_lo, s5, v78, vcc_lo
	s_mov_b32 vcc_lo, s2
	global_store_b64 v[74:75], v[67:68], off
	s_cbranch_vccz .LBB130_109
; %bb.108:
	v_add_co_u32 v67, vcc_lo, v16, v0
	v_add_co_ci_u32_e32 v68, vcc_lo, v73, v1, vcc_lo
	flat_load_b64 v[67:68], v[67:68]
	s_waitcnt vmcnt(0) lgkmcnt(0)
	v_mul_f64 v[71:72], v[67:68], s[6:7]
.LBB130_109:
	scratch_load_b64 v[67:68], off, off offset:264
	s_waitcnt vmcnt(1)
	v_add_f64 v[69:70], v[69:70], v[71:72]
	v_mad_i64_i32 v[71:72], null, v76, s10, 0
	s_delay_alu instid0(VALU_DEP_1) | instskip(NEXT) | instid1(VALU_DEP_1)
	v_lshlrev_b64 v[71:72], 3, v[71:72]
	v_add_co_u32 v71, vcc_lo, s1, v71
	s_delay_alu instid0(VALU_DEP_2) | instskip(NEXT) | instid1(VALU_DEP_2)
	v_add_co_ci_u32_e32 v72, vcc_lo, s8, v72, vcc_lo
	v_add_co_u32 v0, vcc_lo, v71, v0
	s_delay_alu instid0(VALU_DEP_2)
	v_add_co_ci_u32_e32 v1, vcc_lo, v72, v1, vcc_lo
	s_and_b32 vcc_lo, exec_lo, s0
	global_store_b64 v[0:1], v[69:70], off
	s_cbranch_vccnz .LBB130_111
; %bb.110:
	v_add_co_u32 v0, vcc_lo, v16, v2
	v_add_co_ci_u32_e32 v1, vcc_lo, v73, v3, vcc_lo
	flat_load_b64 v[0:1], v[0:1]
	s_waitcnt vmcnt(0) lgkmcnt(0)
	v_mul_f64 v[65:66], v[0:1], s[6:7]
.LBB130_111:
	scratch_load_b64 v[69:70], off, off offset:272
	s_waitcnt vmcnt(1)
	v_add_f64 v[65:66], v[67:68], v[65:66]
	v_add_co_u32 v67, vcc_lo, v71, v2
	v_mov_b32_e32 v0, 0
	v_add_co_ci_u32_e32 v68, vcc_lo, v72, v3, vcc_lo
	v_dual_mov_b32 v1, 0 :: v_dual_mov_b32 v2, 0
	v_mov_b32_e32 v3, 0
	s_and_b32 vcc_lo, exec_lo, s0
	global_store_b64 v[67:68], v[65:66], off
	s_cbranch_vccnz .LBB130_113
; %bb.112:
	v_add_co_u32 v2, vcc_lo, v16, v4
	v_add_co_ci_u32_e32 v3, vcc_lo, v73, v5, vcc_lo
	flat_load_b64 v[2:3], v[2:3]
	s_waitcnt vmcnt(0) lgkmcnt(0)
	v_mul_f64 v[2:3], v[2:3], s[6:7]
.LBB130_113:
	scratch_load_b64 v[65:66], off, off offset:280
	s_waitcnt vmcnt(1)
	v_add_f64 v[2:3], v[69:70], v[2:3]
	v_add_co_u32 v4, vcc_lo, v71, v4
	v_add_co_ci_u32_e32 v5, vcc_lo, v72, v5, vcc_lo
	s_and_b32 vcc_lo, exec_lo, s0
	global_store_b64 v[4:5], v[2:3], off
	s_cbranch_vccnz .LBB130_115
; %bb.114:
	v_add_co_u32 v0, vcc_lo, v16, v6
	v_add_co_ci_u32_e32 v1, vcc_lo, v73, v7, vcc_lo
	flat_load_b64 v[0:1], v[0:1]
	s_waitcnt vmcnt(0) lgkmcnt(0)
	v_mul_f64 v[0:1], v[0:1], s[6:7]
.LBB130_115:
	scratch_load_b64 v[2:3], off, off offset:288
	s_waitcnt vmcnt(1)
	v_add_f64 v[4:5], v[65:66], v[0:1]
	v_add_co_u32 v65, vcc_lo, v71, v6
	v_mov_b32_e32 v0, 0
	v_add_co_ci_u32_e32 v66, vcc_lo, v72, v7, vcc_lo
	v_dual_mov_b32 v1, 0 :: v_dual_mov_b32 v6, 0
	v_mov_b32_e32 v7, 0
	s_and_b32 vcc_lo, exec_lo, s0
	global_store_b64 v[65:66], v[4:5], off
	s_cbranch_vccnz .LBB130_117
; %bb.116:
	v_add_co_u32 v4, vcc_lo, v16, v8
	v_add_co_ci_u32_e32 v5, vcc_lo, v73, v9, vcc_lo
	flat_load_b64 v[4:5], v[4:5]
	s_waitcnt vmcnt(0) lgkmcnt(0)
	v_mul_f64 v[6:7], v[4:5], s[6:7]
.LBB130_117:
	scratch_load_b64 v[4:5], off, off offset:296
	s_waitcnt vmcnt(1)
	v_add_f64 v[2:3], v[2:3], v[6:7]
	v_add_co_u32 v6, vcc_lo, v71, v8
	v_add_co_ci_u32_e32 v7, vcc_lo, v72, v9, vcc_lo
	s_and_b32 vcc_lo, exec_lo, s0
	global_store_b64 v[6:7], v[2:3], off
	s_cbranch_vccnz .LBB130_119
; %bb.118:
	v_add_co_u32 v0, vcc_lo, v16, v10
	v_add_co_ci_u32_e32 v1, vcc_lo, v73, v11, vcc_lo
	flat_load_b64 v[0:1], v[0:1]
	s_waitcnt vmcnt(0) lgkmcnt(0)
	v_mul_f64 v[0:1], v[0:1], s[6:7]
.LBB130_119:
	scratch_load_b64 v[2:3], off, off offset:304
	s_waitcnt vmcnt(1)
	v_add_f64 v[4:5], v[4:5], v[0:1]
	v_add_co_u32 v8, vcc_lo, v71, v10
	v_mov_b32_e32 v0, 0
	v_dual_mov_b32 v1, 0 :: v_dual_mov_b32 v6, 0
	v_add_co_ci_u32_e32 v9, vcc_lo, v72, v11, vcc_lo
	v_mov_b32_e32 v7, 0
	s_and_b32 vcc_lo, exec_lo, s0
	global_store_b64 v[8:9], v[4:5], off
	s_cbranch_vccnz .LBB130_121
; %bb.120:
	v_add_co_u32 v4, vcc_lo, v16, v12
	v_add_co_ci_u32_e32 v5, vcc_lo, v73, v13, vcc_lo
	flat_load_b64 v[4:5], v[4:5]
	s_waitcnt vmcnt(0) lgkmcnt(0)
	v_mul_f64 v[6:7], v[4:5], s[6:7]
.LBB130_121:
	scratch_load_b64 v[4:5], off, off offset:312
	s_waitcnt vmcnt(1)
	v_add_f64 v[2:3], v[2:3], v[6:7]
	v_add_co_u32 v6, vcc_lo, v71, v12
	v_add_co_ci_u32_e32 v7, vcc_lo, v72, v13, vcc_lo
	s_and_b32 vcc_lo, exec_lo, s0
	global_store_b64 v[6:7], v[2:3], off
	s_cbranch_vccnz .LBB130_123
; %bb.122:
	v_add_co_u32 v0, vcc_lo, v16, v14
	v_add_co_ci_u32_e32 v1, vcc_lo, v73, v15, vcc_lo
	flat_load_b64 v[0:1], v[0:1]
	s_waitcnt vmcnt(0) lgkmcnt(0)
	v_mul_f64 v[0:1], v[0:1], s[6:7]
.LBB130_123:
	scratch_load_b64 v[2:3], off, off offset:320
	s_waitcnt vmcnt(1)
	v_add_f64 v[4:5], v[4:5], v[0:1]
	v_add_co_u32 v8, vcc_lo, v71, v14
	v_mov_b32_e32 v0, 0
	v_dual_mov_b32 v1, 0 :: v_dual_mov_b32 v6, 0
	v_add_co_ci_u32_e32 v9, vcc_lo, v72, v15, vcc_lo
	;; [unrolled: 33-line block ×13, first 2 shown]
	v_mov_b32_e32 v7, 0
	s_and_b32 vcc_lo, exec_lo, s0
	global_store_b64 v[8:9], v[4:5], off
	s_cbranch_vccnz .LBB130_169
; %bb.168:
	v_add_co_u32 v4, vcc_lo, v16, v61
	v_add_co_ci_u32_e32 v5, vcc_lo, v73, v62, vcc_lo
	flat_load_b64 v[4:5], v[4:5]
	s_waitcnt vmcnt(0) lgkmcnt(0)
	v_mul_f64 v[6:7], v[4:5], s[6:7]
.LBB130_169:
	scratch_load_b64 v[4:5], off, off offset:504
	s_waitcnt vmcnt(1)
	v_add_f64 v[2:3], v[2:3], v[6:7]
	v_add_co_u32 v6, vcc_lo, v71, v61
	v_add_co_ci_u32_e32 v7, vcc_lo, v72, v62, vcc_lo
	s_and_b32 vcc_lo, exec_lo, s0
	global_store_b64 v[6:7], v[2:3], off
	s_cbranch_vccnz .LBB130_171
; %bb.170:
	v_add_co_u32 v0, vcc_lo, v16, v63
	v_add_co_ci_u32_e32 v1, vcc_lo, v73, v64, vcc_lo
	flat_load_b64 v[0:1], v[0:1]
	s_waitcnt vmcnt(0) lgkmcnt(0)
	v_mul_f64 v[0:1], v[0:1], s[6:7]
.LBB130_171:
	s_waitcnt vmcnt(0)
	s_delay_alu instid0(VALU_DEP_1)
	v_add_f64 v[0:1], v[4:5], v[0:1]
	v_add_co_u32 v2, vcc_lo, v71, v63
	v_add_co_ci_u32_e32 v3, vcc_lo, v72, v64, vcc_lo
	global_store_b64 v[2:3], v[0:1], off
	s_endpgm
	.section	.rodata,"a",@progbits
	.p2align	6, 0x0
	.amdhsa_kernel _ZN12_GLOBAL__N_120geam_min_plus_kernelIdddLi4ELi64ELi128ELi128ELi4ELi64ELi4ELi4ELi64ELc78ELc78ELb1ELb0ELb0EdKPKdKPdEEviiiT16_PT17_ilS8_ilS6_S8_ilPT18_ili26rocblas_geam_ex_operation_
		.amdhsa_group_segment_fixed_size 16384
		.amdhsa_private_segment_fixed_size 528
		.amdhsa_kernarg_size 136
		.amdhsa_user_sgpr_count 14
		.amdhsa_user_sgpr_dispatch_ptr 0
		.amdhsa_user_sgpr_queue_ptr 0
		.amdhsa_user_sgpr_kernarg_segment_ptr 1
		.amdhsa_user_sgpr_dispatch_id 0
		.amdhsa_user_sgpr_private_segment_size 0
		.amdhsa_wavefront_size32 1
		.amdhsa_uses_dynamic_stack 0
		.amdhsa_enable_private_segment 1
		.amdhsa_system_sgpr_workgroup_id_x 1
		.amdhsa_system_sgpr_workgroup_id_y 0
		.amdhsa_system_sgpr_workgroup_id_z 1
		.amdhsa_system_sgpr_workgroup_info 0
		.amdhsa_system_vgpr_workitem_id 1
		.amdhsa_next_free_vgpr 256
		.amdhsa_next_free_sgpr 22
		.amdhsa_reserve_vcc 1
		.amdhsa_float_round_mode_32 0
		.amdhsa_float_round_mode_16_64 0
		.amdhsa_float_denorm_mode_32 3
		.amdhsa_float_denorm_mode_16_64 3
		.amdhsa_dx10_clamp 1
		.amdhsa_ieee_mode 1
		.amdhsa_fp16_overflow 0
		.amdhsa_workgroup_processor_mode 1
		.amdhsa_memory_ordered 1
		.amdhsa_forward_progress 0
		.amdhsa_shared_vgpr_count 0
		.amdhsa_exception_fp_ieee_invalid_op 0
		.amdhsa_exception_fp_denorm_src 0
		.amdhsa_exception_fp_ieee_div_zero 0
		.amdhsa_exception_fp_ieee_overflow 0
		.amdhsa_exception_fp_ieee_underflow 0
		.amdhsa_exception_fp_ieee_inexact 0
		.amdhsa_exception_int_div_zero 0
	.end_amdhsa_kernel
	.section	.text._ZN12_GLOBAL__N_120geam_min_plus_kernelIdddLi4ELi64ELi128ELi128ELi4ELi64ELi4ELi4ELi64ELc78ELc78ELb1ELb0ELb0EdKPKdKPdEEviiiT16_PT17_ilS8_ilS6_S8_ilPT18_ili26rocblas_geam_ex_operation_,"axG",@progbits,_ZN12_GLOBAL__N_120geam_min_plus_kernelIdddLi4ELi64ELi128ELi128ELi4ELi64ELi4ELi4ELi64ELc78ELc78ELb1ELb0ELb0EdKPKdKPdEEviiiT16_PT17_ilS8_ilS6_S8_ilPT18_ili26rocblas_geam_ex_operation_,comdat
.Lfunc_end130:
	.size	_ZN12_GLOBAL__N_120geam_min_plus_kernelIdddLi4ELi64ELi128ELi128ELi4ELi64ELi4ELi4ELi64ELc78ELc78ELb1ELb0ELb0EdKPKdKPdEEviiiT16_PT17_ilS8_ilS6_S8_ilPT18_ili26rocblas_geam_ex_operation_, .Lfunc_end130-_ZN12_GLOBAL__N_120geam_min_plus_kernelIdddLi4ELi64ELi128ELi128ELi4ELi64ELi4ELi4ELi64ELc78ELc78ELb1ELb0ELb0EdKPKdKPdEEviiiT16_PT17_ilS8_ilS6_S8_ilPT18_ili26rocblas_geam_ex_operation_
                                        ; -- End function
	.section	.AMDGPU.csdata,"",@progbits
; Kernel info:
; codeLenInByte = 43024
; NumSgprs: 24
; NumVgprs: 256
; ScratchSize: 528
; MemoryBound: 1
; FloatMode: 240
; IeeeMode: 1
; LDSByteSize: 16384 bytes/workgroup (compile time only)
; SGPRBlocks: 2
; VGPRBlocks: 31
; NumSGPRsForWavesPerEU: 24
; NumVGPRsForWavesPerEU: 256
; Occupancy: 5
; WaveLimiterHint : 1
; COMPUTE_PGM_RSRC2:SCRATCH_EN: 1
; COMPUTE_PGM_RSRC2:USER_SGPR: 14
; COMPUTE_PGM_RSRC2:TRAP_HANDLER: 0
; COMPUTE_PGM_RSRC2:TGID_X_EN: 1
; COMPUTE_PGM_RSRC2:TGID_Y_EN: 0
; COMPUTE_PGM_RSRC2:TGID_Z_EN: 1
; COMPUTE_PGM_RSRC2:TIDIG_COMP_CNT: 1
	.section	.text._ZN12_GLOBAL__N_120geam_min_plus_kernelIdddLi4ELi64ELi128ELi128ELi4ELi64ELi4ELi4ELi64ELc78ELc78ELb0ELb0ELb0EdKPKdKPdEEviiiT16_PT17_ilS8_ilS6_S8_ilPT18_ili26rocblas_geam_ex_operation_,"axG",@progbits,_ZN12_GLOBAL__N_120geam_min_plus_kernelIdddLi4ELi64ELi128ELi128ELi4ELi64ELi4ELi4ELi64ELc78ELc78ELb0ELb0ELb0EdKPKdKPdEEviiiT16_PT17_ilS8_ilS6_S8_ilPT18_ili26rocblas_geam_ex_operation_,comdat
	.globl	_ZN12_GLOBAL__N_120geam_min_plus_kernelIdddLi4ELi64ELi128ELi128ELi4ELi64ELi4ELi4ELi64ELc78ELc78ELb0ELb0ELb0EdKPKdKPdEEviiiT16_PT17_ilS8_ilS6_S8_ilPT18_ili26rocblas_geam_ex_operation_ ; -- Begin function _ZN12_GLOBAL__N_120geam_min_plus_kernelIdddLi4ELi64ELi128ELi128ELi4ELi64ELi4ELi4ELi64ELc78ELc78ELb0ELb0ELb0EdKPKdKPdEEviiiT16_PT17_ilS8_ilS6_S8_ilPT18_ili26rocblas_geam_ex_operation_
	.p2align	8
	.type	_ZN12_GLOBAL__N_120geam_min_plus_kernelIdddLi4ELi64ELi128ELi128ELi4ELi64ELi4ELi4ELi64ELc78ELc78ELb0ELb0ELb0EdKPKdKPdEEviiiT16_PT17_ilS8_ilS6_S8_ilPT18_ili26rocblas_geam_ex_operation_,@function
_ZN12_GLOBAL__N_120geam_min_plus_kernelIdddLi4ELi64ELi128ELi128ELi4ELi64ELi4ELi4ELi64ELc78ELc78ELb0ELb0ELb0EdKPKdKPdEEviiiT16_PT17_ilS8_ilS6_S8_ilPT18_ili26rocblas_geam_ex_operation_: ; @_ZN12_GLOBAL__N_120geam_min_plus_kernelIdddLi4ELi64ELi128ELi128ELi4ELi64ELi4ELi4ELi64ELc78ELc78ELb0ELb0ELb0EdKPKdKPdEEviiiT16_PT17_ilS8_ilS6_S8_ilPT18_ili26rocblas_geam_ex_operation_
; %bb.0:
	s_clause 0x1
	s_load_b128 s[8:11], s[0:1], 0x10
	s_load_b128 s[16:19], s[0:1], 0x28
	s_mov_b32 s2, s15
	s_mov_b64 s[20:21], 0
	s_waitcnt lgkmcnt(0)
	v_cmp_eq_f64_e64 s12, s[8:9], 0
	s_delay_alu instid0(VALU_DEP_1)
	s_and_b32 vcc_lo, exec_lo, s12
	s_cbranch_vccnz .LBB131_2
; %bb.1:
	s_mov_b32 s3, 0
	s_delay_alu instid0(SALU_CYCLE_1) | instskip(NEXT) | instid1(SALU_CYCLE_1)
	s_lshl_b64 s[4:5], s[2:3], 3
	s_add_u32 s4, s10, s4
	s_addc_u32 s5, s11, s5
	s_lshl_b64 s[6:7], s[16:17], 3
	s_load_b64 s[4:5], s[4:5], 0x0
	s_waitcnt lgkmcnt(0)
	s_add_u32 s20, s4, s6
	s_addc_u32 s21, s5, s7
.LBB131_2:
	s_clause 0x1
	s_load_b128 s[4:7], s[0:1], 0x40
	s_load_b64 s[10:11], s[0:1], 0x50
	s_and_not1_b32 vcc_lo, exec_lo, s12
	s_cbranch_vccnz .LBB131_4
; %bb.3:
	s_mov_b32 s3, 0
	s_mov_b64 s[12:13], 0
	s_cbranch_execz .LBB131_5
	s_branch .LBB131_6
.LBB131_4:
	s_mov_b32 s3, -1
                                        ; implicit-def: $sgpr12_sgpr13
.LBB131_5:
	s_mov_b32 s3, 0
	s_delay_alu instid0(SALU_CYCLE_1) | instskip(NEXT) | instid1(SALU_CYCLE_1)
	s_lshl_b64 s[12:13], s[2:3], 3
	s_add_u32 s12, s18, s12
	s_addc_u32 s13, s19, s13
	s_waitcnt lgkmcnt(0)
	s_lshl_b64 s[4:5], s[4:5], 3
	s_load_b64 s[12:13], s[12:13], 0x0
	s_waitcnt lgkmcnt(0)
	s_add_u32 s12, s12, s4
	s_addc_u32 s13, s13, s5
.LBB131_6:
	s_waitcnt lgkmcnt(0)
	v_cmp_eq_f64_e64 s4, s[6:7], 0
	v_cmp_neq_f64_e64 s24, s[8:9], 0
	s_load_b128 s[16:19], s[0:1], 0x60
	s_delay_alu instid0(VALU_DEP_2)
	s_and_b32 vcc_lo, exec_lo, s4
	s_mov_b64 s[4:5], 0
	s_cbranch_vccnz .LBB131_8
; %bb.7:
	s_lshl_b64 s[4:5], s[2:3], 3
	s_delay_alu instid0(SALU_CYCLE_1)
	s_add_u32 s4, s10, s4
	s_addc_u32 s5, s11, s5
	s_waitcnt lgkmcnt(0)
	s_lshl_b64 s[10:11], s[16:17], 3
	s_load_b64 s[4:5], s[4:5], 0x0
	s_waitcnt lgkmcnt(0)
	s_add_u32 s4, s4, s10
	s_addc_u32 s5, s5, s11
.LBB131_8:
	s_clause 0x1
	s_load_b32 s15, s[0:1], 0x0
	s_load_b32 s22, s[0:1], 0x20
	s_mov_b32 s10, 0
	s_lshl_b64 s[2:3], s[2:3], 3
	s_mov_b32 s11, s10
	v_and_b32_e32 v81, 0x3ff, v0
	v_bfe_u32 v82, v0, 10, 10
	v_dual_mov_b32 v0, s10 :: v_dual_mov_b32 v1, s11
	s_delay_alu instid0(VALU_DEP_2) | instskip(NEXT) | instid1(VALU_DEP_1)
	v_lshl_add_u32 v4, v82, 2, v81
	v_and_b32_e32 v78, 63, v4
	v_lshrrev_b32_e32 v83, 6, v4
	s_waitcnt lgkmcnt(0)
	s_ashr_i32 s23, s22, 31
	s_add_u32 s2, s18, s2
	s_addc_u32 s3, s19, s3
	s_add_i32 s10, s15, -1
	s_delay_alu instid0(SALU_CYCLE_1) | instskip(NEXT) | instid1(SALU_CYCLE_1)
	s_ashr_i32 s11, s10, 31
	s_lshr_b32 s11, s11, 25
	s_delay_alu instid0(SALU_CYCLE_1) | instskip(NEXT) | instid1(SALU_CYCLE_1)
	s_add_i32 s10, s10, s11
	s_ashr_i32 s10, s10, 7
	s_delay_alu instid0(SALU_CYCLE_1) | instskip(SKIP_2) | instid1(VALU_DEP_1)
	s_add_i32 s11, s10, 1
	s_not_b32 s10, s10
	v_cvt_f32_u32_e32 v2, s11
	v_rcp_iflag_f32_e32 v2, v2
	s_waitcnt_depctr 0xfff
	v_mul_f32_e32 v2, 0x4f7ffffe, v2
	s_clause 0xd
	scratch_store_b64 off, v[0:1], off
	scratch_store_b64 off, v[0:1], off offset:8
	scratch_store_b64 off, v[0:1], off offset:16
	;; [unrolled: 1-line block ×13, first 2 shown]
	v_cvt_u32_f32_e32 v2, v2
	s_clause 0xe
	scratch_store_b64 off, v[0:1], off offset:112
	scratch_store_b64 off, v[0:1], off offset:120
	;; [unrolled: 1-line block ×15, first 2 shown]
	v_readfirstlane_b32 s15, v2
	s_clause 0x9
	scratch_store_b64 off, v[0:1], off offset:232
	scratch_store_b64 off, v[0:1], off offset:240
	;; [unrolled: 1-line block ×10, first 2 shown]
	v_cndmask_b32_e64 v2, 0, 1, s24
	s_mul_i32 s10, s10, s15
	s_clause 0x3
	scratch_store_b64 off, v[0:1], off offset:312
	scratch_store_b64 off, v[0:1], off offset:320
	;; [unrolled: 1-line block ×4, first 2 shown]
	s_mul_hi_u32 s10, s15, s10
	s_clause 0x3
	scratch_store_b64 off, v[0:1], off offset:344
	scratch_store_b64 off, v[0:1], off offset:352
	;; [unrolled: 1-line block ×4, first 2 shown]
	s_add_i32 s15, s15, s10
	s_delay_alu instid0(SALU_CYCLE_1) | instskip(NEXT) | instid1(SALU_CYCLE_1)
	s_mul_hi_u32 s10, s14, s15
	s_mul_i32 s15, s10, s11
	s_add_i32 s16, s10, 1
	s_sub_i32 s15, s14, s15
	s_delay_alu instid0(SALU_CYCLE_1)
	s_sub_i32 s17, s15, s11
	s_cmp_ge_u32 s15, s11
	s_cselect_b32 s10, s16, s10
	s_cselect_b32 s15, s17, s15
	s_add_i32 s16, s10, 1
	s_cmp_ge_u32 s15, s11
	s_cselect_b32 s15, s16, s10
	s_and_not1_b32 vcc_lo, exec_lo, s24
	s_mul_i32 s10, s15, s11
	s_delay_alu instid0(SALU_CYCLE_1)
	s_sub_i32 s14, s14, s10
	s_load_b64 s[10:11], s[2:3], 0x0
	s_lshl_b32 s16, s14, 7
	v_cmp_ne_u32_e64 s2, 1, v2
	v_or_b32_e32 v68, s16, v78
	s_clause 0xd
	scratch_store_b64 off, v[0:1], off offset:376
	scratch_store_b64 off, v[0:1], off offset:384
	;; [unrolled: 1-line block ×14, first 2 shown]
	v_ashrrev_i32_e32 v69, 31, v68
	s_clause 0x2
	scratch_store_b64 off, v[0:1], off offset:488
	scratch_store_b64 off, v[0:1], off offset:496
	;; [unrolled: 1-line block ×3, first 2 shown]
	s_cbranch_vccnz .LBB131_10
; %bb.9:
	v_mad_i64_i32 v[0:1], null, s22, v83, 0
	v_lshlrev_b64 v[2:3], 3, v[68:69]
	s_delay_alu instid0(VALU_DEP_2) | instskip(NEXT) | instid1(VALU_DEP_1)
	v_lshlrev_b64 v[0:1], 3, v[0:1]
	v_add_co_u32 v0, vcc_lo, s20, v0
	s_delay_alu instid0(VALU_DEP_2) | instskip(NEXT) | instid1(VALU_DEP_2)
	v_add_co_ci_u32_e32 v1, vcc_lo, s21, v1, vcc_lo
	v_add_co_u32 v0, vcc_lo, v0, v2
	s_delay_alu instid0(VALU_DEP_2)
	v_add_co_ci_u32_e32 v1, vcc_lo, v1, v3, vcc_lo
	s_clause 0x1
	flat_load_b64 v[2:3], v[0:1]
	flat_load_b64 v[5:6], v[0:1] offset:512
	s_waitcnt vmcnt(1) lgkmcnt(0)
	v_mul_f64 v[0:1], v[2:3], s[8:9]
	s_waitcnt vmcnt(0)
	v_mul_f64 v[2:3], v[5:6], s[8:9]
	s_branch .LBB131_11
.LBB131_10:
	v_mov_b32_e32 v0, 0
	v_dual_mov_b32 v1, 0 :: v_dual_mov_b32 v2, 0
	v_mov_b32_e32 v3, 0
.LBB131_11:
	s_load_b32 s3, s[0:1], 0x38
	v_lshrrev_b32_e32 v8, 2, v4
	s_lshl_b32 s17, s15, 7
	v_and_b32_e32 v84, 3, v81
	s_and_b32 vcc_lo, exec_lo, s2
	s_delay_alu instid0(VALU_DEP_2) | instskip(NEXT) | instid1(VALU_DEP_2)
	v_add_nc_u32_e32 v80, s17, v8
	v_lshlrev_b32_e32 v9, 3, v84
	s_delay_alu instid0(VALU_DEP_2)
	v_add_nc_u32_e32 v79, 64, v80
	s_cbranch_vccnz .LBB131_15
; %bb.12:
	s_waitcnt lgkmcnt(0)
	v_mad_i64_i32 v[4:5], null, v80, s3, 0
	s_delay_alu instid0(VALU_DEP_2) | instskip(SKIP_1) | instid1(VALU_DEP_1)
	v_mad_i64_i32 v[6:7], null, v79, s3, 0
	v_add_co_u32 v10, s14, s12, v9
	v_add_co_ci_u32_e64 v11, null, s13, 0, s14
	s_delay_alu instid0(VALU_DEP_4) | instskip(NEXT) | instid1(VALU_DEP_4)
	v_lshlrev_b64 v[4:5], 3, v[4:5]
	v_lshlrev_b64 v[6:7], 3, v[6:7]
	s_delay_alu instid0(VALU_DEP_2) | instskip(NEXT) | instid1(VALU_DEP_3)
	v_add_co_u32 v4, vcc_lo, v10, v4
	v_add_co_ci_u32_e32 v5, vcc_lo, v11, v5, vcc_lo
	s_delay_alu instid0(VALU_DEP_3) | instskip(NEXT) | instid1(VALU_DEP_4)
	v_add_co_u32 v6, vcc_lo, v10, v6
	v_add_co_ci_u32_e32 v7, vcc_lo, v11, v7, vcc_lo
	s_clause 0x1
	flat_load_b64 v[4:5], v[4:5]
	flat_load_b64 v[6:7], v[6:7]
	s_waitcnt vmcnt(1) lgkmcnt(1)
	v_mul_f64 v[4:5], v[4:5], s[8:9]
	s_waitcnt vmcnt(0) lgkmcnt(0)
	v_mul_f64 v[6:7], v[6:7], s[8:9]
	v_add_nc_u32_e32 v85, 4, v83
	s_and_b32 vcc_lo, exec_lo, s2
	s_cbranch_vccnz .LBB131_16
.LBB131_13:
	s_delay_alu instid0(VALU_DEP_1) | instskip(SKIP_1) | instid1(VALU_DEP_2)
	v_mad_i64_i32 v[10:11], null, s22, v85, 0
	v_lshlrev_b64 v[12:13], 3, v[68:69]
	v_lshlrev_b64 v[10:11], 3, v[10:11]
	s_delay_alu instid0(VALU_DEP_1) | instskip(NEXT) | instid1(VALU_DEP_2)
	v_add_co_u32 v10, vcc_lo, s20, v10
	v_add_co_ci_u32_e32 v11, vcc_lo, s21, v11, vcc_lo
	s_delay_alu instid0(VALU_DEP_2) | instskip(NEXT) | instid1(VALU_DEP_2)
	v_add_co_u32 v10, vcc_lo, v10, v12
	v_add_co_ci_u32_e32 v11, vcc_lo, v11, v13, vcc_lo
	s_clause 0x1
	flat_load_b64 v[12:13], v[10:11]
	flat_load_b64 v[10:11], v[10:11] offset:512
	s_waitcnt vmcnt(1) lgkmcnt(0)
	v_mul_f64 v[70:71], v[12:13], s[8:9]
	s_waitcnt vmcnt(0)
	v_mul_f64 v[72:73], v[10:11], s[8:9]
	s_and_b32 vcc_lo, exec_lo, s2
	s_mov_b64 s[14:15], 0
	s_cbranch_vccnz .LBB131_17
.LBB131_14:
	s_waitcnt lgkmcnt(0)
	v_mad_i64_i32 v[10:11], null, v80, s3, 0
	v_mad_i64_i32 v[12:13], null, v79, s3, 0
	v_add_co_u32 v14, s15, s12, v9
	s_delay_alu instid0(VALU_DEP_1) | instskip(NEXT) | instid1(VALU_DEP_4)
	v_add_co_ci_u32_e64 v15, null, s13, 0, s15
	v_lshlrev_b64 v[10:11], 3, v[10:11]
	s_delay_alu instid0(VALU_DEP_4) | instskip(NEXT) | instid1(VALU_DEP_2)
	v_lshlrev_b64 v[12:13], 3, v[12:13]
	v_add_co_u32 v10, vcc_lo, v14, v10
	s_delay_alu instid0(VALU_DEP_3) | instskip(NEXT) | instid1(VALU_DEP_3)
	v_add_co_ci_u32_e32 v11, vcc_lo, v15, v11, vcc_lo
	v_add_co_u32 v12, vcc_lo, v14, v12
	s_delay_alu instid0(VALU_DEP_4)
	v_add_co_ci_u32_e32 v13, vcc_lo, v15, v13, vcc_lo
	s_clause 0x1
	flat_load_b64 v[10:11], v[10:11] offset:32
	flat_load_b64 v[12:13], v[12:13] offset:32
	s_waitcnt vmcnt(1) lgkmcnt(1)
	v_mul_f64 v[74:75], v[10:11], s[8:9]
	s_waitcnt vmcnt(0) lgkmcnt(0)
	v_mul_f64 v[76:77], v[12:13], s[8:9]
	s_branch .LBB131_18
.LBB131_15:
	v_mov_b32_e32 v4, 0
	v_dual_mov_b32 v5, 0 :: v_dual_mov_b32 v6, 0
	v_mov_b32_e32 v7, 0
	v_add_nc_u32_e32 v85, 4, v83
	s_and_b32 vcc_lo, exec_lo, s2
	s_cbranch_vccz .LBB131_13
.LBB131_16:
	v_mov_b32_e32 v70, 0
	v_dual_mov_b32 v71, 0 :: v_dual_mov_b32 v72, 0
	v_mov_b32_e32 v73, 0
	s_and_b32 vcc_lo, exec_lo, s2
	s_mov_b64 s[14:15], 0
	s_cbranch_vccz .LBB131_14
.LBB131_17:
	v_mov_b32_e32 v74, 0
	v_dual_mov_b32 v75, 0 :: v_dual_mov_b32 v76, 0
	v_mov_b32_e32 v77, 0
.LBB131_18:
	v_cmp_neq_f64_e64 s18, s[6:7], 0
	v_dual_mov_b32 v91, 0 :: v_dual_lshlrev_b32 v10, 3, v83
	v_dual_mov_b32 v93, 8 :: v_dual_lshlrev_b32 v86, 5, v81
	v_lshl_or_b32 v92, v8, 5, v9
	s_delay_alu instid0(VALU_DEP_3) | instskip(NEXT) | instid1(VALU_DEP_3)
	v_lshl_add_u32 v87, v78, 5, v10
	v_dual_mov_b32 v97, 40 :: v_dual_add_nc_u32 v48, 0x800, v86
	ds_store_2addr_stride64_b64 v92, v[4:5], v[6:7] offset0:16 offset1:20
	ds_store_2addr_stride64_b64 v87, v[0:1], v[2:3] offset1:4
	s_waitcnt lgkmcnt(0)
	s_waitcnt_vscnt null, 0x0
	s_barrier
	buffer_gl0_inv
	ds_load_2addr_b64 v[0:3], v86 offset1:16
	ds_load_2addr_b64 v[4:7], v86 offset0:32 offset1:48
	ds_load_2addr_b64 v[8:11], v86 offset0:64 offset1:80
	;; [unrolled: 1-line block ×4, first 2 shown]
	ds_load_2addr_b64 v[20:23], v48 offset1:16
	ds_load_2addr_b64 v[24:27], v48 offset0:32 offset1:48
	ds_load_2addr_b64 v[28:31], v48 offset0:64 offset1:80
	v_dual_mov_b32 v94, 16 :: v_dual_lshlrev_b32 v89, 5, v82
	ds_load_2addr_b64 v[32:35], v48 offset0:96 offset1:112
	ds_load_2addr_b64 v[36:39], v48 offset0:128 offset1:144
	;; [unrolled: 1-line block ×8, first 2 shown]
	ds_load_2addr_stride64_b64 v[64:67], v89 offset0:16 offset1:20
	v_dual_mov_b32 v95, 24 :: v_dual_add_nc_u32 v88, 0x2000, v92
	v_dual_mov_b32 v99, 56 :: v_dual_add_nc_u32 v90, 0x2000, v89
	v_dual_mov_b32 v96, 32 :: v_dual_mov_b32 v101, 0x48
	v_dual_mov_b32 v98, 48 :: v_dual_mov_b32 v103, 0x58
	;; [unrolled: 1-line block ×3, first 2 shown]
	v_mov_b32_e32 v102, 0x50
	v_mov_b32_e32 v104, 0x60
	;; [unrolled: 1-line block ×20, first 2 shown]
	s_mov_b32 s19, -1
.LBB131_19:                             ; =>This Inner Loop Header: Depth=1
	scratch_load_b64 v[124:125], v91, off
	scratch_load_b64 v[126:127], v93, off
	;; [unrolled: 1-line block ×32, first 2 shown]
	s_cmp_eq_u32 s14, 1
	s_waitcnt lgkmcnt(16)
	v_max_f64 v[190:191], v[0:1], v[0:1]
	s_cselect_b32 vcc_lo, -1, 0
	v_max_f64 v[192:193], v[2:3], v[2:3]
	s_waitcnt lgkmcnt(0)
	v_dual_cndmask_b32 v189, v65, v67 :: v_dual_cndmask_b32 v188, v64, v66
	v_max_f64 v[194:195], v[4:5], v[4:5]
	v_max_f64 v[196:197], v[6:7], v[6:7]
	;; [unrolled: 1-line block ×31, first 2 shown]
	s_mov_b64 s[14:15], 1
	s_and_b32 vcc_lo, exec_lo, s19
	s_mov_b32 s19, 0
	v_min_f64 v[190:191], v[190:191], v[188:189]
	v_min_f64 v[192:193], v[192:193], v[188:189]
	;; [unrolled: 1-line block ×32, first 2 shown]
	s_waitcnt vmcnt(31)
	v_add_f64 v[124:125], v[124:125], v[190:191]
	s_waitcnt vmcnt(30)
	v_add_f64 v[126:127], v[192:193], v[126:127]
	;; [unrolled: 2-line block ×32, first 2 shown]
	scratch_store_b64 v91, v[124:125], off
	scratch_store_b64 v93, v[126:127], off
	;; [unrolled: 1-line block ×32, first 2 shown]
	v_mov_b32_e32 v91, 0x100
	v_mov_b32_e32 v93, 0x108
	;; [unrolled: 1-line block ×32, first 2 shown]
	s_cbranch_vccnz .LBB131_19
; %bb.20:
	v_dual_mov_b32 v91, 0 :: v_dual_add_nc_u32 v60, 0x800, v86
	ds_load_2addr_b64 v[0:3], v86 offset0:1 offset1:17
	ds_load_2addr_b64 v[4:7], v86 offset0:33 offset1:49
	;; [unrolled: 1-line block ×12, first 2 shown]
	v_dual_mov_b32 v93, 8 :: v_dual_add_nc_u32 v64, 8, v90
	ds_load_2addr_b64 v[48:51], v60 offset0:129 offset1:145
	ds_load_2addr_b64 v[52:55], v60 offset0:161 offset1:177
	;; [unrolled: 1-line block ×4, first 2 shown]
	ds_load_2addr_stride64_b64 v[64:67], v64 offset1:4
	v_dual_mov_b32 v94, 16 :: v_dual_mov_b32 v95, 24
	v_dual_mov_b32 v96, 32 :: v_dual_mov_b32 v97, 40
	;; [unrolled: 1-line block ×4, first 2 shown]
	v_mov_b32_e32 v102, 0x50
	v_mov_b32_e32 v103, 0x58
	;; [unrolled: 1-line block ×22, first 2 shown]
	s_mov_b64 s[14:15], 0
	s_mov_b32 s19, -1
.LBB131_21:                             ; =>This Inner Loop Header: Depth=1
	scratch_load_b64 v[124:125], v91, off
	scratch_load_b64 v[126:127], v93, off
	;; [unrolled: 1-line block ×32, first 2 shown]
	s_cmp_eq_u32 s14, 1
	s_waitcnt lgkmcnt(16)
	v_max_f64 v[190:191], v[0:1], v[0:1]
	s_cselect_b32 vcc_lo, -1, 0
	v_max_f64 v[192:193], v[2:3], v[2:3]
	s_waitcnt lgkmcnt(0)
	v_dual_cndmask_b32 v189, v65, v67 :: v_dual_cndmask_b32 v188, v64, v66
	v_max_f64 v[194:195], v[4:5], v[4:5]
	v_max_f64 v[196:197], v[6:7], v[6:7]
	;; [unrolled: 1-line block ×31, first 2 shown]
	s_mov_b64 s[14:15], 1
	s_and_b32 vcc_lo, exec_lo, s19
	s_mov_b32 s19, 0
	v_min_f64 v[190:191], v[190:191], v[188:189]
	v_min_f64 v[192:193], v[192:193], v[188:189]
	v_min_f64 v[194:195], v[194:195], v[188:189]
	v_min_f64 v[196:197], v[196:197], v[188:189]
	v_min_f64 v[198:199], v[198:199], v[188:189]
	v_min_f64 v[200:201], v[200:201], v[188:189]
	v_min_f64 v[202:203], v[202:203], v[188:189]
	v_min_f64 v[204:205], v[204:205], v[188:189]
	v_min_f64 v[206:207], v[206:207], v[188:189]
	v_min_f64 v[208:209], v[208:209], v[188:189]
	v_min_f64 v[210:211], v[210:211], v[188:189]
	v_min_f64 v[212:213], v[212:213], v[188:189]
	v_min_f64 v[214:215], v[214:215], v[188:189]
	v_min_f64 v[216:217], v[216:217], v[188:189]
	v_min_f64 v[218:219], v[218:219], v[188:189]
	v_min_f64 v[220:221], v[220:221], v[188:189]
	v_min_f64 v[222:223], v[222:223], v[188:189]
	v_min_f64 v[224:225], v[224:225], v[188:189]
	v_min_f64 v[226:227], v[226:227], v[188:189]
	v_min_f64 v[228:229], v[228:229], v[188:189]
	v_min_f64 v[230:231], v[230:231], v[188:189]
	v_min_f64 v[232:233], v[232:233], v[188:189]
	v_min_f64 v[234:235], v[234:235], v[188:189]
	v_min_f64 v[236:237], v[236:237], v[188:189]
	v_min_f64 v[238:239], v[238:239], v[188:189]
	v_min_f64 v[240:241], v[240:241], v[188:189]
	v_min_f64 v[242:243], v[242:243], v[188:189]
	v_min_f64 v[244:245], v[244:245], v[188:189]
	v_min_f64 v[246:247], v[246:247], v[188:189]
	v_min_f64 v[248:249], v[248:249], v[188:189]
	v_min_f64 v[250:251], v[250:251], v[188:189]
	v_min_f64 v[188:189], v[252:253], v[188:189]
	s_waitcnt vmcnt(31)
	v_add_f64 v[124:125], v[124:125], v[190:191]
	s_waitcnt vmcnt(30)
	v_add_f64 v[126:127], v[192:193], v[126:127]
	;; [unrolled: 2-line block ×32, first 2 shown]
	scratch_store_b64 v91, v[124:125], off
	scratch_store_b64 v93, v[126:127], off
	;; [unrolled: 1-line block ×32, first 2 shown]
	v_mov_b32_e32 v91, 0x100
	v_mov_b32_e32 v93, 0x108
	;; [unrolled: 1-line block ×32, first 2 shown]
	s_cbranch_vccnz .LBB131_21
; %bb.22:
	v_dual_mov_b32 v91, 0 :: v_dual_add_nc_u32 v60, 0x800, v86
	ds_load_2addr_b64 v[0:3], v86 offset0:2 offset1:18
	ds_load_2addr_b64 v[4:7], v86 offset0:34 offset1:50
	;; [unrolled: 1-line block ×12, first 2 shown]
	v_dual_mov_b32 v93, 8 :: v_dual_add_nc_u32 v64, 16, v90
	ds_load_2addr_b64 v[48:51], v60 offset0:130 offset1:146
	ds_load_2addr_b64 v[52:55], v60 offset0:162 offset1:178
	;; [unrolled: 1-line block ×4, first 2 shown]
	ds_load_2addr_stride64_b64 v[64:67], v64 offset1:4
	v_dual_mov_b32 v94, 16 :: v_dual_mov_b32 v95, 24
	v_dual_mov_b32 v96, 32 :: v_dual_mov_b32 v97, 40
	;; [unrolled: 1-line block ×4, first 2 shown]
	v_mov_b32_e32 v102, 0x50
	v_mov_b32_e32 v103, 0x58
	;; [unrolled: 1-line block ×22, first 2 shown]
	s_mov_b64 s[14:15], 0
	s_mov_b32 s19, -1
.LBB131_23:                             ; =>This Inner Loop Header: Depth=1
	scratch_load_b64 v[124:125], v91, off
	scratch_load_b64 v[126:127], v93, off
	;; [unrolled: 1-line block ×32, first 2 shown]
	s_cmp_eq_u32 s14, 1
	s_waitcnt lgkmcnt(16)
	v_max_f64 v[190:191], v[0:1], v[0:1]
	s_cselect_b32 vcc_lo, -1, 0
	v_max_f64 v[192:193], v[2:3], v[2:3]
	s_waitcnt lgkmcnt(0)
	v_dual_cndmask_b32 v189, v65, v67 :: v_dual_cndmask_b32 v188, v64, v66
	v_max_f64 v[194:195], v[4:5], v[4:5]
	v_max_f64 v[196:197], v[6:7], v[6:7]
	;; [unrolled: 1-line block ×31, first 2 shown]
	s_mov_b64 s[14:15], 1
	s_and_b32 vcc_lo, exec_lo, s19
	s_mov_b32 s19, 0
	v_min_f64 v[190:191], v[190:191], v[188:189]
	v_min_f64 v[192:193], v[192:193], v[188:189]
	;; [unrolled: 1-line block ×32, first 2 shown]
	s_waitcnt vmcnt(31)
	v_add_f64 v[124:125], v[124:125], v[190:191]
	s_waitcnt vmcnt(30)
	v_add_f64 v[126:127], v[192:193], v[126:127]
	;; [unrolled: 2-line block ×32, first 2 shown]
	scratch_store_b64 v91, v[124:125], off
	scratch_store_b64 v93, v[126:127], off
	;; [unrolled: 1-line block ×32, first 2 shown]
	v_mov_b32_e32 v91, 0x100
	v_mov_b32_e32 v93, 0x108
	v_mov_b32_e32 v94, 0x110
	v_mov_b32_e32 v95, 0x118
	v_mov_b32_e32 v96, 0x120
	v_mov_b32_e32 v97, 0x128
	v_mov_b32_e32 v98, 0x130
	v_mov_b32_e32 v99, 0x138
	v_mov_b32_e32 v100, 0x140
	v_mov_b32_e32 v101, 0x148
	v_mov_b32_e32 v102, 0x150
	v_mov_b32_e32 v103, 0x158
	v_mov_b32_e32 v104, 0x160
	v_mov_b32_e32 v105, 0x168
	v_mov_b32_e32 v106, 0x170
	v_mov_b32_e32 v107, 0x178
	v_mov_b32_e32 v108, 0x180
	v_mov_b32_e32 v109, 0x188
	v_mov_b32_e32 v110, 0x190
	v_mov_b32_e32 v111, 0x198
	v_mov_b32_e32 v112, 0x1a0
	v_mov_b32_e32 v113, 0x1a8
	v_mov_b32_e32 v114, 0x1b0
	v_mov_b32_e32 v115, 0x1b8
	v_mov_b32_e32 v116, 0x1c0
	v_mov_b32_e32 v117, 0x1c8
	v_mov_b32_e32 v118, 0x1d0
	v_mov_b32_e32 v119, 0x1d8
	v_mov_b32_e32 v120, 0x1e0
	v_mov_b32_e32 v121, 0x1e8
	v_mov_b32_e32 v122, 0x1f0
	v_mov_b32_e32 v123, 0x1f8
	s_cbranch_vccnz .LBB131_23
; %bb.24:
	v_dual_mov_b32 v91, 0 :: v_dual_add_nc_u32 v60, 0x800, v86
	ds_load_2addr_b64 v[0:3], v86 offset0:3 offset1:19
	ds_load_2addr_b64 v[4:7], v86 offset0:35 offset1:51
	;; [unrolled: 1-line block ×12, first 2 shown]
	v_dual_mov_b32 v93, 8 :: v_dual_add_nc_u32 v64, 24, v90
	ds_load_2addr_b64 v[48:51], v60 offset0:131 offset1:147
	ds_load_2addr_b64 v[52:55], v60 offset0:163 offset1:179
	;; [unrolled: 1-line block ×4, first 2 shown]
	ds_load_2addr_stride64_b64 v[64:67], v64 offset1:4
	v_dual_mov_b32 v94, 16 :: v_dual_mov_b32 v95, 24
	v_dual_mov_b32 v96, 32 :: v_dual_mov_b32 v97, 40
	;; [unrolled: 1-line block ×4, first 2 shown]
	v_mov_b32_e32 v102, 0x50
	v_mov_b32_e32 v103, 0x58
	;; [unrolled: 1-line block ×22, first 2 shown]
	s_mov_b64 s[14:15], 0
	s_mov_b32 s19, -1
.LBB131_25:                             ; =>This Inner Loop Header: Depth=1
	scratch_load_b64 v[124:125], v91, off
	scratch_load_b64 v[126:127], v93, off
	;; [unrolled: 1-line block ×32, first 2 shown]
	s_cmp_eq_u32 s14, 1
	s_waitcnt lgkmcnt(16)
	v_max_f64 v[190:191], v[0:1], v[0:1]
	s_cselect_b32 vcc_lo, -1, 0
	v_max_f64 v[192:193], v[2:3], v[2:3]
	s_waitcnt lgkmcnt(0)
	v_dual_cndmask_b32 v189, v65, v67 :: v_dual_cndmask_b32 v188, v64, v66
	v_max_f64 v[194:195], v[4:5], v[4:5]
	v_max_f64 v[196:197], v[6:7], v[6:7]
	;; [unrolled: 1-line block ×31, first 2 shown]
	s_mov_b64 s[14:15], 1
	s_and_b32 vcc_lo, exec_lo, s19
	s_mov_b32 s19, 0
	v_min_f64 v[190:191], v[190:191], v[188:189]
	v_min_f64 v[192:193], v[192:193], v[188:189]
	;; [unrolled: 1-line block ×32, first 2 shown]
	s_waitcnt vmcnt(31)
	v_add_f64 v[124:125], v[124:125], v[190:191]
	s_waitcnt vmcnt(30)
	v_add_f64 v[126:127], v[192:193], v[126:127]
	;; [unrolled: 2-line block ×32, first 2 shown]
	scratch_store_b64 v91, v[124:125], off
	scratch_store_b64 v93, v[126:127], off
	;; [unrolled: 1-line block ×32, first 2 shown]
	v_mov_b32_e32 v91, 0x100
	v_mov_b32_e32 v93, 0x108
	;; [unrolled: 1-line block ×32, first 2 shown]
	s_cbranch_vccnz .LBB131_25
; %bb.26:
	s_load_b32 s14, s[0:1], 0x8
	v_lshlrev_b32_e32 v0, 5, v78
	s_mov_b32 s19, 8
	s_delay_alu instid0(VALU_DEP_1)
	v_lshl_add_u32 v0, v83, 3, v0
	ds_store_2addr_stride64_b64 v0, v[70:71], v[72:73] offset0:8 offset1:12
	ds_store_2addr_stride64_b64 v92, v[74:75], v[76:77] offset0:24 offset1:28
	s_waitcnt lgkmcnt(0)
	s_waitcnt_vscnt null, 0x0
	s_barrier
	buffer_gl0_inv
	s_cmp_gt_i32 s14, 8
	s_cbranch_scc0 .LBB131_55
; %bb.27:
	v_or_b32_e32 v91, 0x1000, v0
	v_mad_i64_i32 v[0:1], null, v80, s3, 0
	v_mad_i64_i32 v[4:5], null, v79, s3, 0
	v_lshlrev_b64 v[2:3], 3, v[68:69]
	v_lshl_add_u32 v93, v81, 5, 0x1000
	v_add_nc_u32_e32 v92, 0x3000, v92
	v_lshl_add_u32 v94, v82, 5, 0x3000
	v_lshlrev_b64 v[69:70], 3, v[0:1]
	s_delay_alu instid0(VALU_DEP_4)
	v_dual_mov_b32 v68, 0 :: v_dual_add_nc_u32 v97, 0x800, v93
	v_add_co_u32 v95, vcc_lo, s20, v2
	v_lshlrev_b64 v[71:72], 3, v[4:5]
	v_add_co_ci_u32_e32 v96, vcc_lo, s21, v3, vcc_lo
	s_add_i32 s20, s14, -8
	s_mov_b32 s21, 0
	s_and_b32 s3, exec_lo, s24
.LBB131_28:                             ; =>This Loop Header: Depth=1
                                        ;     Child Loop BB131_34 Depth 2
                                        ;     Child Loop BB131_36 Depth 2
	;; [unrolled: 1-line block ×8, first 2 shown]
	s_and_b32 vcc_lo, exec_lo, s2
	s_cbranch_vccnz .LBB131_31
; %bb.29:                               ;   in Loop: Header=BB131_28 Depth=1
	v_add_nc_u32_e32 v4, s19, v83
	s_delay_alu instid0(VALU_DEP_1) | instskip(NEXT) | instid1(VALU_DEP_1)
	v_mad_u64_u32 v[0:1], null, v4, s22, 0
	v_mad_u64_u32 v[2:3], null, v4, s23, v[1:2]
	s_delay_alu instid0(VALU_DEP_1) | instskip(NEXT) | instid1(VALU_DEP_1)
	v_mov_b32_e32 v1, v2
	v_lshlrev_b64 v[0:1], 3, v[0:1]
	s_delay_alu instid0(VALU_DEP_1) | instskip(NEXT) | instid1(VALU_DEP_2)
	v_add_co_u32 v0, vcc_lo, v95, v0
	v_add_co_ci_u32_e32 v1, vcc_lo, v96, v1, vcc_lo
	s_clause 0x1
	flat_load_b64 v[2:3], v[0:1]
	flat_load_b64 v[0:1], v[0:1] offset:512
	s_waitcnt vmcnt(1) lgkmcnt(1)
	v_mul_f64 v[73:74], v[2:3], s[8:9]
	s_waitcnt vmcnt(0) lgkmcnt(0)
	v_mul_f64 v[75:76], v[0:1], s[8:9]
	s_and_b32 vcc_lo, exec_lo, s2
	s_mov_b64 s[14:15], 0
	s_cbranch_vccnz .LBB131_32
.LBB131_30:                             ;   in Loop: Header=BB131_28 Depth=1
	v_or_b32_e32 v67, s19, v84
	s_delay_alu instid0(VALU_DEP_1) | instskip(NEXT) | instid1(VALU_DEP_1)
	v_lshlrev_b64 v[0:1], 3, v[67:68]
	v_add_co_u32 v2, vcc_lo, s12, v0
	s_delay_alu instid0(VALU_DEP_2) | instskip(NEXT) | instid1(VALU_DEP_2)
	v_add_co_ci_u32_e32 v3, vcc_lo, s13, v1, vcc_lo
	v_add_co_u32 v0, vcc_lo, v2, v69
	s_delay_alu instid0(VALU_DEP_2)
	v_add_co_ci_u32_e32 v1, vcc_lo, v3, v70, vcc_lo
	v_add_co_u32 v2, vcc_lo, v2, v71
	v_add_co_ci_u32_e32 v3, vcc_lo, v3, v72, vcc_lo
	s_clause 0x1
	flat_load_b64 v[0:1], v[0:1]
	flat_load_b64 v[2:3], v[2:3]
	s_waitcnt vmcnt(1) lgkmcnt(1)
	v_mul_f64 v[77:78], v[0:1], s[8:9]
	s_waitcnt vmcnt(0) lgkmcnt(0)
	v_mul_f64 v[79:80], v[2:3], s[8:9]
	s_branch .LBB131_33
.LBB131_31:                             ;   in Loop: Header=BB131_28 Depth=1
	v_mov_b32_e32 v73, 0
	v_dual_mov_b32 v74, 0 :: v_dual_mov_b32 v75, 0
	v_mov_b32_e32 v76, 0
	s_and_b32 vcc_lo, exec_lo, s2
	s_mov_b64 s[14:15], 0
	s_cbranch_vccz .LBB131_30
.LBB131_32:                             ;   in Loop: Header=BB131_28 Depth=1
	v_mov_b32_e32 v77, 0
	v_dual_mov_b32 v78, 0 :: v_dual_mov_b32 v79, 0
	v_mov_b32_e32 v80, 0
.LBB131_33:                             ;   in Loop: Header=BB131_28 Depth=1
	ds_load_2addr_b64 v[0:3], v93 offset1:16
	ds_load_2addr_b64 v[4:7], v93 offset0:32 offset1:48
	ds_load_2addr_b64 v[8:11], v93 offset0:64 offset1:80
	;; [unrolled: 1-line block ×7, first 2 shown]
	ds_load_2addr_b64 v[32:35], v97 offset1:16
	ds_load_2addr_b64 v[36:39], v97 offset0:32 offset1:48
	ds_load_2addr_b64 v[40:43], v97 offset0:64 offset1:80
	;; [unrolled: 1-line block ×7, first 2 shown]
	ds_load_2addr_stride64_b64 v[64:67], v94 offset1:4
	v_dual_mov_b32 v129, 0 :: v_dual_mov_b32 v128, 8
	v_dual_mov_b32 v127, 16 :: v_dual_mov_b32 v126, 24
	v_dual_mov_b32 v125, 32 :: v_dual_mov_b32 v124, 40
	v_dual_mov_b32 v123, 48 :: v_dual_mov_b32 v122, 56
	v_dual_mov_b32 v121, 64 :: v_dual_mov_b32 v120, 0x48
	v_mov_b32_e32 v119, 0x50
	v_mov_b32_e32 v118, 0x58
	;; [unrolled: 1-line block ×22, first 2 shown]
	s_mov_b32 s24, -1
.LBB131_34:                             ;   Parent Loop BB131_28 Depth=1
                                        ; =>  This Inner Loop Header: Depth=2
	scratch_load_b64 v[134:135], v129, off
	s_cmp_eq_u32 s14, 1
	s_waitcnt lgkmcnt(16)
	v_max_f64 v[132:133], v[0:1], v[0:1]
	s_cselect_b32 vcc_lo, -1, 0
	s_mov_b64 s[14:15], 1
	s_waitcnt lgkmcnt(0)
	v_dual_cndmask_b32 v131, v65, v67 :: v_dual_cndmask_b32 v130, v64, v66
	s_and_b32 vcc_lo, exec_lo, s24
	s_mov_b32 s24, 0
	s_delay_alu instid0(VALU_DEP_1) | instskip(NEXT) | instid1(VALU_DEP_1)
	v_max_f64 v[130:131], v[130:131], v[130:131]
	v_min_f64 v[132:133], v[132:133], v[130:131]
	s_waitcnt vmcnt(0)
	s_delay_alu instid0(VALU_DEP_1) | instskip(SKIP_3) | instid1(VALU_DEP_1)
	v_add_f64 v[132:133], v[134:135], v[132:133]
	scratch_load_b64 v[134:135], v128, off
	scratch_store_b64 v129, v[132:133], off
	v_max_f64 v[132:133], v[2:3], v[2:3]
	v_min_f64 v[132:133], v[132:133], v[130:131]
	s_waitcnt vmcnt(0)
	s_delay_alu instid0(VALU_DEP_1) | instskip(SKIP_3) | instid1(VALU_DEP_1)
	v_add_f64 v[132:133], v[132:133], v[134:135]
	scratch_store_b64 v128, v[132:133], off
	scratch_load_b64 v[132:133], v127, off
	v_max_f64 v[128:129], v[4:5], v[4:5]
	v_min_f64 v[128:129], v[128:129], v[130:131]
	s_waitcnt vmcnt(0)
	s_delay_alu instid0(VALU_DEP_1) | instskip(SKIP_3) | instid1(VALU_DEP_1)
	v_add_f64 v[128:129], v[128:129], v[132:133]
	scratch_load_b64 v[132:133], v126, off
	scratch_store_b64 v127, v[128:129], off
	v_max_f64 v[127:128], v[6:7], v[6:7]
	v_min_f64 v[127:128], v[127:128], v[130:131]
	s_waitcnt vmcnt(0)
	s_delay_alu instid0(VALU_DEP_1) | instskip(SKIP_3) | instid1(VALU_DEP_1)
	v_add_f64 v[127:128], v[127:128], v[132:133]
	scratch_store_b64 v126, v[127:128], off
	scratch_load_b64 v[128:129], v125, off
	v_max_f64 v[126:127], v[8:9], v[8:9]
	v_min_f64 v[126:127], v[126:127], v[130:131]
	s_waitcnt vmcnt(0)
	s_delay_alu instid0(VALU_DEP_1) | instskip(SKIP_4) | instid1(VALU_DEP_1)
	v_add_f64 v[126:127], v[126:127], v[128:129]
	v_mov_b32_e32 v129, 0x100
	scratch_store_b64 v125, v[126:127], off
	scratch_load_b64 v[127:128], v124, off
	v_max_f64 v[125:126], v[10:11], v[10:11]
	v_min_f64 v[125:126], v[125:126], v[130:131]
	s_waitcnt vmcnt(0)
	s_delay_alu instid0(VALU_DEP_1) | instskip(SKIP_4) | instid1(VALU_DEP_1)
	v_add_f64 v[125:126], v[125:126], v[127:128]
	v_mov_b32_e32 v128, 0x108
	;; [unrolled: 8-line block ×27, first 2 shown]
	scratch_store_b64 v99, v[100:101], off
	scratch_load_b64 v[101:102], v98, off
	v_max_f64 v[99:100], v[62:63], v[62:63]
	v_min_f64 v[99:100], v[99:100], v[130:131]
	s_waitcnt vmcnt(0)
	s_delay_alu instid0(VALU_DEP_1)
	v_add_f64 v[99:100], v[99:100], v[101:102]
	v_mov_b32_e32 v102, 0x1d8
	v_mov_b32_e32 v101, 0x1e0
	scratch_store_b64 v98, v[99:100], off
	v_mov_b32_e32 v100, 0x1e8
	v_mov_b32_e32 v99, 0x1f0
	;; [unrolled: 1-line block ×3, first 2 shown]
	s_cbranch_vccnz .LBB131_34
; %bb.35:                               ;   in Loop: Header=BB131_28 Depth=1
	ds_load_2addr_b64 v[0:3], v93 offset0:1 offset1:17
	ds_load_2addr_b64 v[4:7], v93 offset0:33 offset1:49
	;; [unrolled: 1-line block ×12, first 2 shown]
	v_dual_mov_b32 v129, 0 :: v_dual_add_nc_u32 v64, 8, v94
	ds_load_2addr_b64 v[48:51], v97 offset0:129 offset1:145
	ds_load_2addr_b64 v[52:55], v97 offset0:161 offset1:177
	;; [unrolled: 1-line block ×4, first 2 shown]
	ds_load_2addr_stride64_b64 v[64:67], v64 offset1:4
	v_dual_mov_b32 v128, 8 :: v_dual_mov_b32 v127, 16
	v_dual_mov_b32 v126, 24 :: v_dual_mov_b32 v125, 32
	;; [unrolled: 1-line block ×4, first 2 shown]
	v_mov_b32_e32 v120, 0x48
	v_mov_b32_e32 v119, 0x50
	;; [unrolled: 1-line block ×23, first 2 shown]
	s_mov_b64 s[14:15], 0
	s_mov_b32 s24, -1
.LBB131_36:                             ;   Parent Loop BB131_28 Depth=1
                                        ; =>  This Inner Loop Header: Depth=2
	scratch_load_b64 v[134:135], v129, off
	s_cmp_eq_u32 s14, 1
	s_waitcnt lgkmcnt(16)
	v_max_f64 v[132:133], v[0:1], v[0:1]
	s_cselect_b32 vcc_lo, -1, 0
	s_mov_b64 s[14:15], 1
	s_waitcnt lgkmcnt(0)
	v_dual_cndmask_b32 v131, v65, v67 :: v_dual_cndmask_b32 v130, v64, v66
	s_and_b32 vcc_lo, exec_lo, s24
	s_mov_b32 s24, 0
	s_delay_alu instid0(VALU_DEP_1) | instskip(NEXT) | instid1(VALU_DEP_1)
	v_max_f64 v[130:131], v[130:131], v[130:131]
	v_min_f64 v[132:133], v[132:133], v[130:131]
	s_waitcnt vmcnt(0)
	s_delay_alu instid0(VALU_DEP_1) | instskip(SKIP_3) | instid1(VALU_DEP_1)
	v_add_f64 v[132:133], v[134:135], v[132:133]
	scratch_load_b64 v[134:135], v128, off
	scratch_store_b64 v129, v[132:133], off
	v_max_f64 v[132:133], v[2:3], v[2:3]
	v_min_f64 v[132:133], v[132:133], v[130:131]
	s_waitcnt vmcnt(0)
	s_delay_alu instid0(VALU_DEP_1) | instskip(SKIP_3) | instid1(VALU_DEP_1)
	v_add_f64 v[132:133], v[132:133], v[134:135]
	scratch_store_b64 v128, v[132:133], off
	scratch_load_b64 v[132:133], v127, off
	v_max_f64 v[128:129], v[4:5], v[4:5]
	v_min_f64 v[128:129], v[128:129], v[130:131]
	s_waitcnt vmcnt(0)
	s_delay_alu instid0(VALU_DEP_1) | instskip(SKIP_3) | instid1(VALU_DEP_1)
	v_add_f64 v[128:129], v[128:129], v[132:133]
	scratch_load_b64 v[132:133], v126, off
	scratch_store_b64 v127, v[128:129], off
	v_max_f64 v[127:128], v[6:7], v[6:7]
	v_min_f64 v[127:128], v[127:128], v[130:131]
	s_waitcnt vmcnt(0)
	s_delay_alu instid0(VALU_DEP_1) | instskip(SKIP_3) | instid1(VALU_DEP_1)
	v_add_f64 v[127:128], v[127:128], v[132:133]
	scratch_store_b64 v126, v[127:128], off
	scratch_load_b64 v[128:129], v125, off
	v_max_f64 v[126:127], v[8:9], v[8:9]
	v_min_f64 v[126:127], v[126:127], v[130:131]
	s_waitcnt vmcnt(0)
	s_delay_alu instid0(VALU_DEP_1) | instskip(SKIP_4) | instid1(VALU_DEP_1)
	v_add_f64 v[126:127], v[126:127], v[128:129]
	v_mov_b32_e32 v129, 0x100
	scratch_store_b64 v125, v[126:127], off
	scratch_load_b64 v[127:128], v124, off
	v_max_f64 v[125:126], v[10:11], v[10:11]
	v_min_f64 v[125:126], v[125:126], v[130:131]
	s_waitcnt vmcnt(0)
	s_delay_alu instid0(VALU_DEP_1) | instskip(SKIP_4) | instid1(VALU_DEP_1)
	v_add_f64 v[125:126], v[125:126], v[127:128]
	v_mov_b32_e32 v128, 0x108
	;; [unrolled: 8-line block ×27, first 2 shown]
	scratch_store_b64 v99, v[100:101], off
	scratch_load_b64 v[101:102], v98, off
	v_max_f64 v[99:100], v[62:63], v[62:63]
	v_min_f64 v[99:100], v[99:100], v[130:131]
	s_waitcnt vmcnt(0)
	s_delay_alu instid0(VALU_DEP_1)
	v_add_f64 v[99:100], v[99:100], v[101:102]
	v_mov_b32_e32 v102, 0x1d8
	v_mov_b32_e32 v101, 0x1e0
	scratch_store_b64 v98, v[99:100], off
	v_mov_b32_e32 v100, 0x1e8
	v_mov_b32_e32 v99, 0x1f0
	;; [unrolled: 1-line block ×3, first 2 shown]
	s_cbranch_vccnz .LBB131_36
; %bb.37:                               ;   in Loop: Header=BB131_28 Depth=1
	ds_load_2addr_b64 v[0:3], v93 offset0:2 offset1:18
	ds_load_2addr_b64 v[4:7], v93 offset0:34 offset1:50
	;; [unrolled: 1-line block ×12, first 2 shown]
	v_dual_mov_b32 v129, 0 :: v_dual_add_nc_u32 v64, 16, v94
	ds_load_2addr_b64 v[48:51], v97 offset0:130 offset1:146
	ds_load_2addr_b64 v[52:55], v97 offset0:162 offset1:178
	;; [unrolled: 1-line block ×4, first 2 shown]
	ds_load_2addr_stride64_b64 v[64:67], v64 offset1:4
	v_dual_mov_b32 v128, 8 :: v_dual_mov_b32 v127, 16
	v_dual_mov_b32 v126, 24 :: v_dual_mov_b32 v125, 32
	;; [unrolled: 1-line block ×4, first 2 shown]
	v_mov_b32_e32 v120, 0x48
	v_mov_b32_e32 v119, 0x50
	;; [unrolled: 1-line block ×23, first 2 shown]
	s_mov_b64 s[14:15], 0
	s_mov_b32 s24, -1
.LBB131_38:                             ;   Parent Loop BB131_28 Depth=1
                                        ; =>  This Inner Loop Header: Depth=2
	scratch_load_b64 v[134:135], v129, off
	s_cmp_eq_u32 s14, 1
	s_waitcnt lgkmcnt(16)
	v_max_f64 v[132:133], v[0:1], v[0:1]
	s_cselect_b32 vcc_lo, -1, 0
	s_mov_b64 s[14:15], 1
	s_waitcnt lgkmcnt(0)
	v_dual_cndmask_b32 v131, v65, v67 :: v_dual_cndmask_b32 v130, v64, v66
	s_and_b32 vcc_lo, exec_lo, s24
	s_mov_b32 s24, 0
	s_delay_alu instid0(VALU_DEP_1) | instskip(NEXT) | instid1(VALU_DEP_1)
	v_max_f64 v[130:131], v[130:131], v[130:131]
	v_min_f64 v[132:133], v[132:133], v[130:131]
	s_waitcnt vmcnt(0)
	s_delay_alu instid0(VALU_DEP_1) | instskip(SKIP_3) | instid1(VALU_DEP_1)
	v_add_f64 v[132:133], v[134:135], v[132:133]
	scratch_load_b64 v[134:135], v128, off
	scratch_store_b64 v129, v[132:133], off
	v_max_f64 v[132:133], v[2:3], v[2:3]
	v_min_f64 v[132:133], v[132:133], v[130:131]
	s_waitcnt vmcnt(0)
	s_delay_alu instid0(VALU_DEP_1) | instskip(SKIP_3) | instid1(VALU_DEP_1)
	v_add_f64 v[132:133], v[132:133], v[134:135]
	scratch_store_b64 v128, v[132:133], off
	scratch_load_b64 v[132:133], v127, off
	v_max_f64 v[128:129], v[4:5], v[4:5]
	v_min_f64 v[128:129], v[128:129], v[130:131]
	s_waitcnt vmcnt(0)
	s_delay_alu instid0(VALU_DEP_1) | instskip(SKIP_3) | instid1(VALU_DEP_1)
	v_add_f64 v[128:129], v[128:129], v[132:133]
	scratch_load_b64 v[132:133], v126, off
	scratch_store_b64 v127, v[128:129], off
	v_max_f64 v[127:128], v[6:7], v[6:7]
	v_min_f64 v[127:128], v[127:128], v[130:131]
	s_waitcnt vmcnt(0)
	s_delay_alu instid0(VALU_DEP_1) | instskip(SKIP_3) | instid1(VALU_DEP_1)
	v_add_f64 v[127:128], v[127:128], v[132:133]
	scratch_store_b64 v126, v[127:128], off
	scratch_load_b64 v[128:129], v125, off
	v_max_f64 v[126:127], v[8:9], v[8:9]
	v_min_f64 v[126:127], v[126:127], v[130:131]
	s_waitcnt vmcnt(0)
	s_delay_alu instid0(VALU_DEP_1) | instskip(SKIP_4) | instid1(VALU_DEP_1)
	v_add_f64 v[126:127], v[126:127], v[128:129]
	v_mov_b32_e32 v129, 0x100
	scratch_store_b64 v125, v[126:127], off
	scratch_load_b64 v[127:128], v124, off
	v_max_f64 v[125:126], v[10:11], v[10:11]
	v_min_f64 v[125:126], v[125:126], v[130:131]
	s_waitcnt vmcnt(0)
	s_delay_alu instid0(VALU_DEP_1) | instskip(SKIP_4) | instid1(VALU_DEP_1)
	v_add_f64 v[125:126], v[125:126], v[127:128]
	v_mov_b32_e32 v128, 0x108
	;; [unrolled: 8-line block ×27, first 2 shown]
	scratch_store_b64 v99, v[100:101], off
	scratch_load_b64 v[101:102], v98, off
	v_max_f64 v[99:100], v[62:63], v[62:63]
	v_min_f64 v[99:100], v[99:100], v[130:131]
	s_waitcnt vmcnt(0)
	s_delay_alu instid0(VALU_DEP_1)
	v_add_f64 v[99:100], v[99:100], v[101:102]
	v_mov_b32_e32 v102, 0x1d8
	v_mov_b32_e32 v101, 0x1e0
	scratch_store_b64 v98, v[99:100], off
	v_mov_b32_e32 v100, 0x1e8
	v_mov_b32_e32 v99, 0x1f0
	v_mov_b32_e32 v98, 0x1f8
	s_cbranch_vccnz .LBB131_38
; %bb.39:                               ;   in Loop: Header=BB131_28 Depth=1
	ds_load_2addr_b64 v[0:3], v93 offset0:3 offset1:19
	ds_load_2addr_b64 v[4:7], v93 offset0:35 offset1:51
	;; [unrolled: 1-line block ×12, first 2 shown]
	v_dual_mov_b32 v129, 0 :: v_dual_add_nc_u32 v64, 24, v94
	ds_load_2addr_b64 v[48:51], v97 offset0:131 offset1:147
	ds_load_2addr_b64 v[52:55], v97 offset0:163 offset1:179
	;; [unrolled: 1-line block ×4, first 2 shown]
	ds_load_2addr_stride64_b64 v[64:67], v64 offset1:4
	v_dual_mov_b32 v128, 8 :: v_dual_mov_b32 v127, 16
	v_dual_mov_b32 v126, 24 :: v_dual_mov_b32 v125, 32
	;; [unrolled: 1-line block ×4, first 2 shown]
	v_mov_b32_e32 v120, 0x48
	v_mov_b32_e32 v119, 0x50
	;; [unrolled: 1-line block ×23, first 2 shown]
	s_mov_b64 s[14:15], 0
	s_mov_b32 s24, -1
.LBB131_40:                             ;   Parent Loop BB131_28 Depth=1
                                        ; =>  This Inner Loop Header: Depth=2
	scratch_load_b64 v[134:135], v129, off
	s_cmp_eq_u32 s14, 1
	s_waitcnt lgkmcnt(16)
	v_max_f64 v[132:133], v[0:1], v[0:1]
	s_cselect_b32 vcc_lo, -1, 0
	s_mov_b64 s[14:15], 1
	s_waitcnt lgkmcnt(0)
	v_dual_cndmask_b32 v131, v65, v67 :: v_dual_cndmask_b32 v130, v64, v66
	s_and_b32 vcc_lo, exec_lo, s24
	s_mov_b32 s24, 0
	s_delay_alu instid0(VALU_DEP_1) | instskip(NEXT) | instid1(VALU_DEP_1)
	v_max_f64 v[130:131], v[130:131], v[130:131]
	v_min_f64 v[132:133], v[132:133], v[130:131]
	s_waitcnt vmcnt(0)
	s_delay_alu instid0(VALU_DEP_1) | instskip(SKIP_3) | instid1(VALU_DEP_1)
	v_add_f64 v[132:133], v[134:135], v[132:133]
	scratch_load_b64 v[134:135], v128, off
	scratch_store_b64 v129, v[132:133], off
	v_max_f64 v[132:133], v[2:3], v[2:3]
	v_min_f64 v[132:133], v[132:133], v[130:131]
	s_waitcnt vmcnt(0)
	s_delay_alu instid0(VALU_DEP_1) | instskip(SKIP_3) | instid1(VALU_DEP_1)
	v_add_f64 v[132:133], v[132:133], v[134:135]
	scratch_store_b64 v128, v[132:133], off
	scratch_load_b64 v[132:133], v127, off
	v_max_f64 v[128:129], v[4:5], v[4:5]
	v_min_f64 v[128:129], v[128:129], v[130:131]
	s_waitcnt vmcnt(0)
	s_delay_alu instid0(VALU_DEP_1) | instskip(SKIP_3) | instid1(VALU_DEP_1)
	v_add_f64 v[128:129], v[128:129], v[132:133]
	scratch_load_b64 v[132:133], v126, off
	scratch_store_b64 v127, v[128:129], off
	v_max_f64 v[127:128], v[6:7], v[6:7]
	v_min_f64 v[127:128], v[127:128], v[130:131]
	s_waitcnt vmcnt(0)
	s_delay_alu instid0(VALU_DEP_1) | instskip(SKIP_3) | instid1(VALU_DEP_1)
	v_add_f64 v[127:128], v[127:128], v[132:133]
	scratch_store_b64 v126, v[127:128], off
	scratch_load_b64 v[128:129], v125, off
	v_max_f64 v[126:127], v[8:9], v[8:9]
	v_min_f64 v[126:127], v[126:127], v[130:131]
	s_waitcnt vmcnt(0)
	s_delay_alu instid0(VALU_DEP_1) | instskip(SKIP_4) | instid1(VALU_DEP_1)
	v_add_f64 v[126:127], v[126:127], v[128:129]
	v_mov_b32_e32 v129, 0x100
	scratch_store_b64 v125, v[126:127], off
	scratch_load_b64 v[127:128], v124, off
	v_max_f64 v[125:126], v[10:11], v[10:11]
	v_min_f64 v[125:126], v[125:126], v[130:131]
	s_waitcnt vmcnt(0)
	s_delay_alu instid0(VALU_DEP_1) | instskip(SKIP_4) | instid1(VALU_DEP_1)
	v_add_f64 v[125:126], v[125:126], v[127:128]
	v_mov_b32_e32 v128, 0x108
	;; [unrolled: 8-line block ×27, first 2 shown]
	scratch_store_b64 v99, v[100:101], off
	scratch_load_b64 v[101:102], v98, off
	v_max_f64 v[99:100], v[62:63], v[62:63]
	v_min_f64 v[99:100], v[99:100], v[130:131]
	s_waitcnt vmcnt(0)
	s_delay_alu instid0(VALU_DEP_1)
	v_add_f64 v[99:100], v[99:100], v[101:102]
	v_mov_b32_e32 v102, 0x1d8
	v_mov_b32_e32 v101, 0x1e0
	scratch_store_b64 v98, v[99:100], off
	v_mov_b32_e32 v100, 0x1e8
	v_mov_b32_e32 v99, 0x1f0
	;; [unrolled: 1-line block ×3, first 2 shown]
	s_cbranch_vccnz .LBB131_40
; %bb.41:                               ;   in Loop: Header=BB131_28 Depth=1
	s_mov_b32 vcc_lo, s3
	ds_store_2addr_stride64_b64 v87, v[73:74], v[75:76] offset1:4
	ds_store_2addr_stride64_b64 v88, v[77:78], v[79:80] offset1:4
	s_waitcnt lgkmcnt(0)
	s_waitcnt_vscnt null, 0x0
	s_barrier
	buffer_gl0_inv
	s_cbranch_vccz .LBB131_44
; %bb.42:                               ;   in Loop: Header=BB131_28 Depth=1
	v_add_nc_u32_e32 v4, s19, v85
	s_delay_alu instid0(VALU_DEP_1) | instskip(NEXT) | instid1(VALU_DEP_1)
	v_mad_u64_u32 v[0:1], null, v4, s22, 0
	v_mad_u64_u32 v[2:3], null, v4, s23, v[1:2]
	s_delay_alu instid0(VALU_DEP_1) | instskip(NEXT) | instid1(VALU_DEP_1)
	v_mov_b32_e32 v1, v2
	v_lshlrev_b64 v[0:1], 3, v[0:1]
	s_delay_alu instid0(VALU_DEP_1) | instskip(NEXT) | instid1(VALU_DEP_2)
	v_add_co_u32 v0, vcc_lo, v95, v0
	v_add_co_ci_u32_e32 v1, vcc_lo, v96, v1, vcc_lo
	s_clause 0x1
	flat_load_b64 v[2:3], v[0:1]
	flat_load_b64 v[0:1], v[0:1] offset:512
	s_waitcnt vmcnt(1) lgkmcnt(1)
	v_mul_f64 v[73:74], v[2:3], s[8:9]
	s_waitcnt vmcnt(0) lgkmcnt(0)
	v_mul_f64 v[75:76], v[0:1], s[8:9]
	s_and_b32 vcc_lo, exec_lo, s2
	s_mov_b64 s[14:15], 0
	s_cbranch_vccnz .LBB131_45
.LBB131_43:                             ;   in Loop: Header=BB131_28 Depth=1
	v_or_b32_e32 v67, s19, v84
	s_delay_alu instid0(VALU_DEP_1) | instskip(NEXT) | instid1(VALU_DEP_1)
	v_lshlrev_b64 v[0:1], 3, v[67:68]
	v_add_co_u32 v2, vcc_lo, s12, v0
	s_delay_alu instid0(VALU_DEP_2) | instskip(NEXT) | instid1(VALU_DEP_2)
	v_add_co_ci_u32_e32 v3, vcc_lo, s13, v1, vcc_lo
	v_add_co_u32 v0, vcc_lo, v2, v69
	s_delay_alu instid0(VALU_DEP_2)
	v_add_co_ci_u32_e32 v1, vcc_lo, v3, v70, vcc_lo
	v_add_co_u32 v2, vcc_lo, v2, v71
	v_add_co_ci_u32_e32 v3, vcc_lo, v3, v72, vcc_lo
	s_clause 0x1
	flat_load_b64 v[0:1], v[0:1] offset:32
	flat_load_b64 v[2:3], v[2:3] offset:32
	s_waitcnt vmcnt(1) lgkmcnt(1)
	v_mul_f64 v[77:78], v[0:1], s[8:9]
	s_waitcnt vmcnt(0) lgkmcnt(0)
	v_mul_f64 v[79:80], v[2:3], s[8:9]
	s_branch .LBB131_46
.LBB131_44:                             ;   in Loop: Header=BB131_28 Depth=1
	v_mov_b32_e32 v73, 0
	v_dual_mov_b32 v74, 0 :: v_dual_mov_b32 v75, 0
	v_mov_b32_e32 v76, 0
	s_and_b32 vcc_lo, exec_lo, s2
	s_mov_b64 s[14:15], 0
	s_cbranch_vccz .LBB131_43
.LBB131_45:                             ;   in Loop: Header=BB131_28 Depth=1
	v_mov_b32_e32 v77, 0
	v_dual_mov_b32 v78, 0 :: v_dual_mov_b32 v79, 0
	v_mov_b32_e32 v80, 0
.LBB131_46:                             ;   in Loop: Header=BB131_28 Depth=1
	v_dual_mov_b32 v129, 8 :: v_dual_add_nc_u32 v98, 0x800, v86
	ds_load_2addr_b64 v[0:3], v86 offset1:16
	ds_load_2addr_b64 v[4:7], v86 offset0:32 offset1:48
	ds_load_2addr_b64 v[8:11], v86 offset0:64 offset1:80
	;; [unrolled: 1-line block ×7, first 2 shown]
	ds_load_2addr_b64 v[32:35], v98 offset1:16
	ds_load_2addr_b64 v[36:39], v98 offset0:32 offset1:48
	ds_load_2addr_b64 v[40:43], v98 offset0:64 offset1:80
	ds_load_2addr_b64 v[44:47], v98 offset0:96 offset1:112
	ds_load_2addr_b64 v[48:51], v98 offset0:128 offset1:144
	ds_load_2addr_b64 v[52:55], v98 offset0:160 offset1:176
	ds_load_2addr_b64 v[56:59], v98 offset0:192 offset1:208
	ds_load_2addr_b64 v[60:63], v98 offset0:224 offset1:240
	ds_load_2addr_stride64_b64 v[64:67], v90 offset1:4
	v_dual_mov_b32 v130, 0 :: v_dual_mov_b32 v127, 24
	v_dual_mov_b32 v128, 16 :: v_dual_mov_b32 v125, 40
	;; [unrolled: 1-line block ×5, first 2 shown]
	v_mov_b32_e32 v120, 0x50
	v_mov_b32_e32 v118, 0x60
	;; [unrolled: 1-line block ×21, first 2 shown]
	s_mov_b32 s24, -1
.LBB131_47:                             ;   Parent Loop BB131_28 Depth=1
                                        ; =>  This Inner Loop Header: Depth=2
	scratch_load_b64 v[135:136], v130, off
	s_cmp_eq_u32 s14, 1
	s_waitcnt lgkmcnt(16)
	v_max_f64 v[133:134], v[0:1], v[0:1]
	s_cselect_b32 vcc_lo, -1, 0
	s_mov_b64 s[14:15], 1
	s_waitcnt lgkmcnt(0)
	v_dual_cndmask_b32 v132, v65, v67 :: v_dual_cndmask_b32 v131, v64, v66
	s_and_b32 vcc_lo, exec_lo, s24
	s_mov_b32 s24, 0
	s_delay_alu instid0(VALU_DEP_1) | instskip(NEXT) | instid1(VALU_DEP_1)
	v_max_f64 v[131:132], v[131:132], v[131:132]
	v_min_f64 v[133:134], v[133:134], v[131:132]
	s_waitcnt vmcnt(0)
	s_delay_alu instid0(VALU_DEP_1) | instskip(SKIP_3) | instid1(VALU_DEP_1)
	v_add_f64 v[133:134], v[135:136], v[133:134]
	scratch_load_b64 v[135:136], v129, off
	scratch_store_b64 v130, v[133:134], off
	v_max_f64 v[133:134], v[2:3], v[2:3]
	v_min_f64 v[133:134], v[133:134], v[131:132]
	s_waitcnt vmcnt(0)
	s_delay_alu instid0(VALU_DEP_1) | instskip(SKIP_3) | instid1(VALU_DEP_1)
	v_add_f64 v[133:134], v[133:134], v[135:136]
	scratch_store_b64 v129, v[133:134], off
	scratch_load_b64 v[133:134], v128, off
	v_max_f64 v[129:130], v[4:5], v[4:5]
	v_min_f64 v[129:130], v[129:130], v[131:132]
	s_waitcnt vmcnt(0)
	s_delay_alu instid0(VALU_DEP_1) | instskip(SKIP_3) | instid1(VALU_DEP_1)
	v_add_f64 v[129:130], v[129:130], v[133:134]
	scratch_load_b64 v[133:134], v127, off
	scratch_store_b64 v128, v[129:130], off
	v_max_f64 v[128:129], v[6:7], v[6:7]
	v_min_f64 v[128:129], v[128:129], v[131:132]
	s_waitcnt vmcnt(0)
	s_delay_alu instid0(VALU_DEP_1) | instskip(SKIP_3) | instid1(VALU_DEP_1)
	v_add_f64 v[128:129], v[128:129], v[133:134]
	scratch_store_b64 v127, v[128:129], off
	scratch_load_b64 v[129:130], v126, off
	v_max_f64 v[127:128], v[8:9], v[8:9]
	v_min_f64 v[127:128], v[127:128], v[131:132]
	s_waitcnt vmcnt(0)
	s_delay_alu instid0(VALU_DEP_1) | instskip(SKIP_4) | instid1(VALU_DEP_1)
	v_add_f64 v[127:128], v[127:128], v[129:130]
	v_mov_b32_e32 v130, 0x100
	scratch_store_b64 v126, v[127:128], off
	scratch_load_b64 v[128:129], v125, off
	v_max_f64 v[126:127], v[10:11], v[10:11]
	v_min_f64 v[126:127], v[126:127], v[131:132]
	s_waitcnt vmcnt(0)
	s_delay_alu instid0(VALU_DEP_1) | instskip(SKIP_4) | instid1(VALU_DEP_1)
	v_add_f64 v[126:127], v[126:127], v[128:129]
	v_mov_b32_e32 v129, 0x108
	;; [unrolled: 8-line block ×27, first 2 shown]
	scratch_store_b64 v100, v[101:102], off
	scratch_load_b64 v[102:103], v99, off
	v_max_f64 v[100:101], v[62:63], v[62:63]
	v_min_f64 v[100:101], v[100:101], v[131:132]
	s_waitcnt vmcnt(0)
	s_delay_alu instid0(VALU_DEP_1)
	v_add_f64 v[100:101], v[100:101], v[102:103]
	v_mov_b32_e32 v103, 0x1d8
	v_mov_b32_e32 v102, 0x1e0
	scratch_store_b64 v99, v[100:101], off
	v_mov_b32_e32 v101, 0x1e8
	v_mov_b32_e32 v100, 0x1f0
	;; [unrolled: 1-line block ×3, first 2 shown]
	s_cbranch_vccnz .LBB131_47
; %bb.48:                               ;   in Loop: Header=BB131_28 Depth=1
	ds_load_2addr_b64 v[0:3], v86 offset0:1 offset1:17
	ds_load_2addr_b64 v[4:7], v86 offset0:33 offset1:49
	;; [unrolled: 1-line block ×12, first 2 shown]
	v_dual_mov_b32 v129, 8 :: v_dual_add_nc_u32 v64, 8, v90
	ds_load_2addr_b64 v[48:51], v98 offset0:129 offset1:145
	ds_load_2addr_b64 v[52:55], v98 offset0:161 offset1:177
	ds_load_2addr_b64 v[56:59], v98 offset0:193 offset1:209
	ds_load_2addr_b64 v[60:63], v98 offset0:225 offset1:241
	ds_load_2addr_stride64_b64 v[64:67], v64 offset1:4
	v_dual_mov_b32 v130, 0 :: v_dual_mov_b32 v127, 24
	v_dual_mov_b32 v128, 16 :: v_dual_mov_b32 v125, 40
	;; [unrolled: 1-line block ×5, first 2 shown]
	v_mov_b32_e32 v120, 0x50
	v_mov_b32_e32 v118, 0x60
	;; [unrolled: 1-line block ×21, first 2 shown]
	s_mov_b64 s[14:15], 0
	s_mov_b32 s24, -1
.LBB131_49:                             ;   Parent Loop BB131_28 Depth=1
                                        ; =>  This Inner Loop Header: Depth=2
	scratch_load_b64 v[135:136], v130, off
	s_cmp_eq_u32 s14, 1
	s_waitcnt lgkmcnt(16)
	v_max_f64 v[133:134], v[0:1], v[0:1]
	s_cselect_b32 vcc_lo, -1, 0
	s_mov_b64 s[14:15], 1
	s_waitcnt lgkmcnt(0)
	v_dual_cndmask_b32 v132, v65, v67 :: v_dual_cndmask_b32 v131, v64, v66
	s_and_b32 vcc_lo, exec_lo, s24
	s_mov_b32 s24, 0
	s_delay_alu instid0(VALU_DEP_1) | instskip(NEXT) | instid1(VALU_DEP_1)
	v_max_f64 v[131:132], v[131:132], v[131:132]
	v_min_f64 v[133:134], v[133:134], v[131:132]
	s_waitcnt vmcnt(0)
	s_delay_alu instid0(VALU_DEP_1) | instskip(SKIP_3) | instid1(VALU_DEP_1)
	v_add_f64 v[133:134], v[135:136], v[133:134]
	scratch_load_b64 v[135:136], v129, off
	scratch_store_b64 v130, v[133:134], off
	v_max_f64 v[133:134], v[2:3], v[2:3]
	v_min_f64 v[133:134], v[133:134], v[131:132]
	s_waitcnt vmcnt(0)
	s_delay_alu instid0(VALU_DEP_1) | instskip(SKIP_3) | instid1(VALU_DEP_1)
	v_add_f64 v[133:134], v[133:134], v[135:136]
	scratch_store_b64 v129, v[133:134], off
	scratch_load_b64 v[133:134], v128, off
	v_max_f64 v[129:130], v[4:5], v[4:5]
	v_min_f64 v[129:130], v[129:130], v[131:132]
	s_waitcnt vmcnt(0)
	s_delay_alu instid0(VALU_DEP_1) | instskip(SKIP_3) | instid1(VALU_DEP_1)
	v_add_f64 v[129:130], v[129:130], v[133:134]
	scratch_load_b64 v[133:134], v127, off
	scratch_store_b64 v128, v[129:130], off
	v_max_f64 v[128:129], v[6:7], v[6:7]
	v_min_f64 v[128:129], v[128:129], v[131:132]
	s_waitcnt vmcnt(0)
	s_delay_alu instid0(VALU_DEP_1) | instskip(SKIP_3) | instid1(VALU_DEP_1)
	v_add_f64 v[128:129], v[128:129], v[133:134]
	scratch_store_b64 v127, v[128:129], off
	scratch_load_b64 v[129:130], v126, off
	v_max_f64 v[127:128], v[8:9], v[8:9]
	v_min_f64 v[127:128], v[127:128], v[131:132]
	s_waitcnt vmcnt(0)
	s_delay_alu instid0(VALU_DEP_1) | instskip(SKIP_4) | instid1(VALU_DEP_1)
	v_add_f64 v[127:128], v[127:128], v[129:130]
	v_mov_b32_e32 v130, 0x100
	scratch_store_b64 v126, v[127:128], off
	scratch_load_b64 v[128:129], v125, off
	v_max_f64 v[126:127], v[10:11], v[10:11]
	v_min_f64 v[126:127], v[126:127], v[131:132]
	s_waitcnt vmcnt(0)
	s_delay_alu instid0(VALU_DEP_1) | instskip(SKIP_4) | instid1(VALU_DEP_1)
	v_add_f64 v[126:127], v[126:127], v[128:129]
	v_mov_b32_e32 v129, 0x108
	;; [unrolled: 8-line block ×27, first 2 shown]
	scratch_store_b64 v100, v[101:102], off
	scratch_load_b64 v[102:103], v99, off
	v_max_f64 v[100:101], v[62:63], v[62:63]
	v_min_f64 v[100:101], v[100:101], v[131:132]
	s_waitcnt vmcnt(0)
	s_delay_alu instid0(VALU_DEP_1)
	v_add_f64 v[100:101], v[100:101], v[102:103]
	v_mov_b32_e32 v103, 0x1d8
	v_mov_b32_e32 v102, 0x1e0
	scratch_store_b64 v99, v[100:101], off
	v_mov_b32_e32 v101, 0x1e8
	v_mov_b32_e32 v100, 0x1f0
	v_mov_b32_e32 v99, 0x1f8
	s_cbranch_vccnz .LBB131_49
; %bb.50:                               ;   in Loop: Header=BB131_28 Depth=1
	ds_load_2addr_b64 v[0:3], v86 offset0:2 offset1:18
	ds_load_2addr_b64 v[4:7], v86 offset0:34 offset1:50
	;; [unrolled: 1-line block ×12, first 2 shown]
	v_dual_mov_b32 v129, 8 :: v_dual_add_nc_u32 v64, 16, v90
	ds_load_2addr_b64 v[48:51], v98 offset0:130 offset1:146
	ds_load_2addr_b64 v[52:55], v98 offset0:162 offset1:178
	;; [unrolled: 1-line block ×4, first 2 shown]
	ds_load_2addr_stride64_b64 v[64:67], v64 offset1:4
	v_dual_mov_b32 v130, 0 :: v_dual_mov_b32 v127, 24
	v_dual_mov_b32 v128, 16 :: v_dual_mov_b32 v125, 40
	;; [unrolled: 1-line block ×5, first 2 shown]
	v_mov_b32_e32 v120, 0x50
	v_mov_b32_e32 v118, 0x60
	;; [unrolled: 1-line block ×21, first 2 shown]
	s_mov_b64 s[14:15], 0
	s_mov_b32 s24, -1
.LBB131_51:                             ;   Parent Loop BB131_28 Depth=1
                                        ; =>  This Inner Loop Header: Depth=2
	scratch_load_b64 v[135:136], v130, off
	s_cmp_eq_u32 s14, 1
	s_waitcnt lgkmcnt(16)
	v_max_f64 v[133:134], v[0:1], v[0:1]
	s_cselect_b32 vcc_lo, -1, 0
	s_mov_b64 s[14:15], 1
	s_waitcnt lgkmcnt(0)
	v_dual_cndmask_b32 v132, v65, v67 :: v_dual_cndmask_b32 v131, v64, v66
	s_and_b32 vcc_lo, exec_lo, s24
	s_mov_b32 s24, 0
	s_delay_alu instid0(VALU_DEP_1) | instskip(NEXT) | instid1(VALU_DEP_1)
	v_max_f64 v[131:132], v[131:132], v[131:132]
	v_min_f64 v[133:134], v[133:134], v[131:132]
	s_waitcnt vmcnt(0)
	s_delay_alu instid0(VALU_DEP_1) | instskip(SKIP_3) | instid1(VALU_DEP_1)
	v_add_f64 v[133:134], v[135:136], v[133:134]
	scratch_load_b64 v[135:136], v129, off
	scratch_store_b64 v130, v[133:134], off
	v_max_f64 v[133:134], v[2:3], v[2:3]
	v_min_f64 v[133:134], v[133:134], v[131:132]
	s_waitcnt vmcnt(0)
	s_delay_alu instid0(VALU_DEP_1) | instskip(SKIP_3) | instid1(VALU_DEP_1)
	v_add_f64 v[133:134], v[133:134], v[135:136]
	scratch_store_b64 v129, v[133:134], off
	scratch_load_b64 v[133:134], v128, off
	v_max_f64 v[129:130], v[4:5], v[4:5]
	v_min_f64 v[129:130], v[129:130], v[131:132]
	s_waitcnt vmcnt(0)
	s_delay_alu instid0(VALU_DEP_1) | instskip(SKIP_3) | instid1(VALU_DEP_1)
	v_add_f64 v[129:130], v[129:130], v[133:134]
	scratch_load_b64 v[133:134], v127, off
	scratch_store_b64 v128, v[129:130], off
	v_max_f64 v[128:129], v[6:7], v[6:7]
	v_min_f64 v[128:129], v[128:129], v[131:132]
	s_waitcnt vmcnt(0)
	s_delay_alu instid0(VALU_DEP_1) | instskip(SKIP_3) | instid1(VALU_DEP_1)
	v_add_f64 v[128:129], v[128:129], v[133:134]
	scratch_store_b64 v127, v[128:129], off
	scratch_load_b64 v[129:130], v126, off
	v_max_f64 v[127:128], v[8:9], v[8:9]
	v_min_f64 v[127:128], v[127:128], v[131:132]
	s_waitcnt vmcnt(0)
	s_delay_alu instid0(VALU_DEP_1) | instskip(SKIP_4) | instid1(VALU_DEP_1)
	v_add_f64 v[127:128], v[127:128], v[129:130]
	v_mov_b32_e32 v130, 0x100
	scratch_store_b64 v126, v[127:128], off
	scratch_load_b64 v[128:129], v125, off
	v_max_f64 v[126:127], v[10:11], v[10:11]
	v_min_f64 v[126:127], v[126:127], v[131:132]
	s_waitcnt vmcnt(0)
	s_delay_alu instid0(VALU_DEP_1) | instskip(SKIP_4) | instid1(VALU_DEP_1)
	v_add_f64 v[126:127], v[126:127], v[128:129]
	v_mov_b32_e32 v129, 0x108
	;; [unrolled: 8-line block ×27, first 2 shown]
	scratch_store_b64 v100, v[101:102], off
	scratch_load_b64 v[102:103], v99, off
	v_max_f64 v[100:101], v[62:63], v[62:63]
	v_min_f64 v[100:101], v[100:101], v[131:132]
	s_waitcnt vmcnt(0)
	s_delay_alu instid0(VALU_DEP_1)
	v_add_f64 v[100:101], v[100:101], v[102:103]
	v_mov_b32_e32 v103, 0x1d8
	v_mov_b32_e32 v102, 0x1e0
	scratch_store_b64 v99, v[100:101], off
	v_mov_b32_e32 v101, 0x1e8
	v_mov_b32_e32 v100, 0x1f0
	;; [unrolled: 1-line block ×3, first 2 shown]
	s_cbranch_vccnz .LBB131_51
; %bb.52:                               ;   in Loop: Header=BB131_28 Depth=1
	ds_load_2addr_b64 v[0:3], v86 offset0:3 offset1:19
	ds_load_2addr_b64 v[4:7], v86 offset0:35 offset1:51
	;; [unrolled: 1-line block ×12, first 2 shown]
	v_dual_mov_b32 v129, 0 :: v_dual_add_nc_u32 v64, 24, v90
	ds_load_2addr_b64 v[48:51], v98 offset0:131 offset1:147
	ds_load_2addr_b64 v[52:55], v98 offset0:163 offset1:179
	;; [unrolled: 1-line block ×4, first 2 shown]
	ds_load_2addr_stride64_b64 v[64:67], v64 offset1:4
	v_dual_mov_b32 v128, 8 :: v_dual_mov_b32 v127, 16
	v_dual_mov_b32 v126, 24 :: v_dual_mov_b32 v125, 32
	;; [unrolled: 1-line block ×4, first 2 shown]
	v_mov_b32_e32 v120, 0x48
	v_mov_b32_e32 v119, 0x50
	;; [unrolled: 1-line block ×23, first 2 shown]
	s_mov_b64 s[14:15], 0
	s_mov_b32 s24, -1
.LBB131_53:                             ;   Parent Loop BB131_28 Depth=1
                                        ; =>  This Inner Loop Header: Depth=2
	scratch_load_b64 v[134:135], v129, off
	s_cmp_eq_u32 s14, 1
	s_waitcnt lgkmcnt(16)
	v_max_f64 v[132:133], v[0:1], v[0:1]
	s_cselect_b32 vcc_lo, -1, 0
	s_mov_b64 s[14:15], 1
	s_waitcnt lgkmcnt(0)
	v_dual_cndmask_b32 v131, v65, v67 :: v_dual_cndmask_b32 v130, v64, v66
	s_and_b32 vcc_lo, exec_lo, s24
	s_mov_b32 s24, 0
	s_delay_alu instid0(VALU_DEP_1) | instskip(NEXT) | instid1(VALU_DEP_1)
	v_max_f64 v[130:131], v[130:131], v[130:131]
	v_min_f64 v[132:133], v[132:133], v[130:131]
	s_waitcnt vmcnt(0)
	s_delay_alu instid0(VALU_DEP_1) | instskip(SKIP_3) | instid1(VALU_DEP_1)
	v_add_f64 v[132:133], v[134:135], v[132:133]
	scratch_load_b64 v[134:135], v128, off
	scratch_store_b64 v129, v[132:133], off
	v_max_f64 v[132:133], v[2:3], v[2:3]
	v_min_f64 v[132:133], v[132:133], v[130:131]
	s_waitcnt vmcnt(0)
	s_delay_alu instid0(VALU_DEP_1) | instskip(SKIP_3) | instid1(VALU_DEP_1)
	v_add_f64 v[132:133], v[132:133], v[134:135]
	scratch_store_b64 v128, v[132:133], off
	scratch_load_b64 v[132:133], v127, off
	v_max_f64 v[128:129], v[4:5], v[4:5]
	v_min_f64 v[128:129], v[128:129], v[130:131]
	s_waitcnt vmcnt(0)
	s_delay_alu instid0(VALU_DEP_1) | instskip(SKIP_3) | instid1(VALU_DEP_1)
	v_add_f64 v[128:129], v[128:129], v[132:133]
	scratch_load_b64 v[132:133], v126, off
	scratch_store_b64 v127, v[128:129], off
	v_max_f64 v[127:128], v[6:7], v[6:7]
	v_min_f64 v[127:128], v[127:128], v[130:131]
	s_waitcnt vmcnt(0)
	s_delay_alu instid0(VALU_DEP_1) | instskip(SKIP_3) | instid1(VALU_DEP_1)
	v_add_f64 v[127:128], v[127:128], v[132:133]
	scratch_store_b64 v126, v[127:128], off
	scratch_load_b64 v[128:129], v125, off
	v_max_f64 v[126:127], v[8:9], v[8:9]
	v_min_f64 v[126:127], v[126:127], v[130:131]
	s_waitcnt vmcnt(0)
	s_delay_alu instid0(VALU_DEP_1) | instskip(SKIP_4) | instid1(VALU_DEP_1)
	v_add_f64 v[126:127], v[126:127], v[128:129]
	v_mov_b32_e32 v129, 0x100
	scratch_store_b64 v125, v[126:127], off
	scratch_load_b64 v[127:128], v124, off
	v_max_f64 v[125:126], v[10:11], v[10:11]
	v_min_f64 v[125:126], v[125:126], v[130:131]
	s_waitcnt vmcnt(0)
	s_delay_alu instid0(VALU_DEP_1) | instskip(SKIP_4) | instid1(VALU_DEP_1)
	v_add_f64 v[125:126], v[125:126], v[127:128]
	v_mov_b32_e32 v128, 0x108
	;; [unrolled: 8-line block ×27, first 2 shown]
	scratch_store_b64 v99, v[100:101], off
	scratch_load_b64 v[101:102], v98, off
	v_max_f64 v[99:100], v[62:63], v[62:63]
	v_min_f64 v[99:100], v[99:100], v[130:131]
	s_waitcnt vmcnt(0)
	s_delay_alu instid0(VALU_DEP_1)
	v_add_f64 v[99:100], v[99:100], v[101:102]
	v_mov_b32_e32 v102, 0x1d8
	v_mov_b32_e32 v101, 0x1e0
	scratch_store_b64 v98, v[99:100], off
	v_mov_b32_e32 v100, 0x1e8
	v_mov_b32_e32 v99, 0x1f0
	;; [unrolled: 1-line block ×3, first 2 shown]
	s_cbranch_vccnz .LBB131_53
; %bb.54:                               ;   in Loop: Header=BB131_28 Depth=1
	s_add_i32 s21, s21, 8
	s_add_i32 s19, s19, 8
	s_cmp_ge_i32 s21, s20
	ds_store_2addr_stride64_b64 v91, v[73:74], v[75:76] offset1:4
	ds_store_2addr_stride64_b64 v92, v[77:78], v[79:80] offset1:4
	s_waitcnt lgkmcnt(0)
	s_waitcnt_vscnt null, 0x0
	s_barrier
	buffer_gl0_inv
	s_cbranch_scc0 .LBB131_28
.LBB131_55:
	v_dual_mov_b32 v71, 8 :: v_dual_add_nc_u32 v28, 0x1000, v86
	v_dual_mov_b32 v75, 40 :: v_dual_add_nc_u32 v60, 0x1800, v86
	;; [unrolled: 1-line block ×3, first 2 shown]
	ds_load_2addr_b64 v[0:3], v28 offset1:16
	ds_load_2addr_b64 v[4:7], v28 offset0:32 offset1:48
	ds_load_2addr_b64 v[8:11], v28 offset0:64 offset1:80
	;; [unrolled: 1-line block ×7, first 2 shown]
	ds_load_2addr_b64 v[32:35], v60 offset1:16
	ds_load_2addr_b64 v[36:39], v60 offset0:32 offset1:48
	ds_load_2addr_b64 v[40:43], v60 offset0:64 offset1:80
	;; [unrolled: 1-line block ×7, first 2 shown]
	ds_load_2addr_stride64_b64 v[64:67], v89 offset0:24 offset1:28
	v_dual_mov_b32 v70, 0 :: v_dual_add_nc_u32 v69, 0x3000, v89
	v_dual_mov_b32 v72, 16 :: v_dual_mov_b32 v77, 56
	v_dual_mov_b32 v74, 32 :: v_dual_mov_b32 v79, 0x48
	v_dual_mov_b32 v76, 48 :: v_dual_mov_b32 v83, 0x58
	v_dual_mov_b32 v78, 64 :: v_dual_mov_b32 v85, 0x68
	v_mov_b32_e32 v80, 0x50
	v_mov_b32_e32 v84, 0x60
	;; [unrolled: 1-line block ×20, first 2 shown]
	s_mov_b64 s[2:3], 0
	s_mov_b32 s8, -1
.LBB131_56:                             ; =>This Inner Loop Header: Depth=1
	scratch_load_b64 v[104:105], v70, off
	scratch_load_b64 v[106:107], v71, off
	scratch_load_b64 v[108:109], v72, off
	scratch_load_b64 v[110:111], v73, off
	scratch_load_b64 v[112:113], v74, off
	scratch_load_b64 v[114:115], v75, off
	scratch_load_b64 v[116:117], v76, off
	scratch_load_b64 v[118:119], v77, off
	scratch_load_b64 v[120:121], v78, off
	scratch_load_b64 v[122:123], v79, off
	scratch_load_b64 v[124:125], v80, off
	scratch_load_b64 v[126:127], v83, off
	scratch_load_b64 v[128:129], v84, off
	scratch_load_b64 v[130:131], v85, off
	scratch_load_b64 v[132:133], v86, off
	scratch_load_b64 v[134:135], v87, off
	scratch_load_b64 v[136:137], v88, off
	scratch_load_b64 v[138:139], v89, off
	scratch_load_b64 v[140:141], v90, off
	scratch_load_b64 v[142:143], v91, off
	scratch_load_b64 v[144:145], v92, off
	scratch_load_b64 v[146:147], v93, off
	scratch_load_b64 v[148:149], v94, off
	scratch_load_b64 v[150:151], v95, off
	scratch_load_b64 v[152:153], v96, off
	scratch_load_b64 v[154:155], v97, off
	scratch_load_b64 v[156:157], v98, off
	scratch_load_b64 v[158:159], v99, off
	scratch_load_b64 v[160:161], v100, off
	scratch_load_b64 v[162:163], v101, off
	scratch_load_b64 v[164:165], v102, off
	scratch_load_b64 v[166:167], v103, off
	s_cmp_eq_u32 s2, 1
	s_waitcnt lgkmcnt(16)
	v_max_f64 v[170:171], v[0:1], v[0:1]
	s_cselect_b32 vcc_lo, -1, 0
	v_max_f64 v[172:173], v[2:3], v[2:3]
	s_waitcnt lgkmcnt(0)
	v_dual_cndmask_b32 v169, v65, v67 :: v_dual_cndmask_b32 v168, v64, v66
	v_max_f64 v[174:175], v[4:5], v[4:5]
	v_max_f64 v[176:177], v[6:7], v[6:7]
	;; [unrolled: 1-line block ×31, first 2 shown]
	s_mov_b64 s[2:3], 1
	s_and_b32 vcc_lo, exec_lo, s8
	s_mov_b32 s8, 0
	v_min_f64 v[170:171], v[170:171], v[168:169]
	v_min_f64 v[172:173], v[172:173], v[168:169]
	;; [unrolled: 1-line block ×32, first 2 shown]
	s_waitcnt vmcnt(31)
	v_add_f64 v[104:105], v[104:105], v[170:171]
	s_waitcnt vmcnt(30)
	v_add_f64 v[106:107], v[172:173], v[106:107]
	;; [unrolled: 2-line block ×32, first 2 shown]
	scratch_store_b64 v70, v[104:105], off
	scratch_store_b64 v71, v[106:107], off
	;; [unrolled: 1-line block ×32, first 2 shown]
	v_mov_b32_e32 v70, 0x100
	v_mov_b32_e32 v71, 0x108
	;; [unrolled: 1-line block ×32, first 2 shown]
	s_cbranch_vccnz .LBB131_56
; %bb.57:
	v_dual_mov_b32 v71, 8 :: v_dual_add_nc_u32 v60, 0x800, v68
	ds_load_2addr_b64 v[0:3], v68 offset0:1 offset1:17
	ds_load_2addr_b64 v[4:7], v68 offset0:33 offset1:49
	;; [unrolled: 1-line block ×12, first 2 shown]
	v_dual_mov_b32 v73, 24 :: v_dual_add_nc_u32 v64, 8, v69
	ds_load_2addr_b64 v[48:51], v60 offset0:129 offset1:145
	ds_load_2addr_b64 v[52:55], v60 offset0:161 offset1:177
	;; [unrolled: 1-line block ×4, first 2 shown]
	ds_load_2addr_stride64_b64 v[64:67], v64 offset1:4
	v_dual_mov_b32 v70, 0 :: v_dual_mov_b32 v75, 40
	v_dual_mov_b32 v72, 16 :: v_dual_mov_b32 v77, 56
	;; [unrolled: 1-line block ×5, first 2 shown]
	v_mov_b32_e32 v80, 0x50
	v_mov_b32_e32 v84, 0x60
	;; [unrolled: 1-line block ×20, first 2 shown]
	s_mov_b64 s[2:3], 0
	s_mov_b32 s8, -1
.LBB131_58:                             ; =>This Inner Loop Header: Depth=1
	scratch_load_b64 v[104:105], v70, off
	scratch_load_b64 v[106:107], v71, off
	;; [unrolled: 1-line block ×32, first 2 shown]
	s_cmp_eq_u32 s2, 1
	s_waitcnt lgkmcnt(16)
	v_max_f64 v[170:171], v[0:1], v[0:1]
	s_cselect_b32 vcc_lo, -1, 0
	v_max_f64 v[172:173], v[2:3], v[2:3]
	s_waitcnt lgkmcnt(0)
	v_dual_cndmask_b32 v169, v65, v67 :: v_dual_cndmask_b32 v168, v64, v66
	v_max_f64 v[174:175], v[4:5], v[4:5]
	v_max_f64 v[176:177], v[6:7], v[6:7]
	;; [unrolled: 1-line block ×31, first 2 shown]
	s_mov_b64 s[2:3], 1
	s_and_b32 vcc_lo, exec_lo, s8
	s_mov_b32 s8, 0
	v_min_f64 v[170:171], v[170:171], v[168:169]
	v_min_f64 v[172:173], v[172:173], v[168:169]
	;; [unrolled: 1-line block ×32, first 2 shown]
	s_waitcnt vmcnt(31)
	v_add_f64 v[104:105], v[104:105], v[170:171]
	s_waitcnt vmcnt(30)
	v_add_f64 v[106:107], v[172:173], v[106:107]
	;; [unrolled: 2-line block ×32, first 2 shown]
	scratch_store_b64 v70, v[104:105], off
	scratch_store_b64 v71, v[106:107], off
	;; [unrolled: 1-line block ×32, first 2 shown]
	v_mov_b32_e32 v70, 0x100
	v_mov_b32_e32 v71, 0x108
	;; [unrolled: 1-line block ×32, first 2 shown]
	s_cbranch_vccnz .LBB131_58
; %bb.59:
	v_dual_mov_b32 v71, 8 :: v_dual_add_nc_u32 v60, 0x800, v68
	ds_load_2addr_b64 v[0:3], v68 offset0:2 offset1:18
	ds_load_2addr_b64 v[4:7], v68 offset0:34 offset1:50
	;; [unrolled: 1-line block ×12, first 2 shown]
	v_dual_mov_b32 v73, 24 :: v_dual_add_nc_u32 v64, 16, v69
	ds_load_2addr_b64 v[48:51], v60 offset0:130 offset1:146
	ds_load_2addr_b64 v[52:55], v60 offset0:162 offset1:178
	;; [unrolled: 1-line block ×4, first 2 shown]
	ds_load_2addr_stride64_b64 v[64:67], v64 offset1:4
	v_dual_mov_b32 v70, 0 :: v_dual_mov_b32 v75, 40
	v_dual_mov_b32 v72, 16 :: v_dual_mov_b32 v77, 56
	v_dual_mov_b32 v74, 32 :: v_dual_mov_b32 v79, 0x48
	v_dual_mov_b32 v76, 48 :: v_dual_mov_b32 v83, 0x58
	v_dual_mov_b32 v78, 64 :: v_dual_mov_b32 v85, 0x68
	v_mov_b32_e32 v80, 0x50
	v_mov_b32_e32 v84, 0x60
	;; [unrolled: 1-line block ×20, first 2 shown]
	s_mov_b64 s[2:3], 0
	s_mov_b32 s8, -1
.LBB131_60:                             ; =>This Inner Loop Header: Depth=1
	scratch_load_b64 v[104:105], v70, off
	scratch_load_b64 v[106:107], v71, off
	;; [unrolled: 1-line block ×32, first 2 shown]
	s_cmp_eq_u32 s2, 1
	s_waitcnt lgkmcnt(16)
	v_max_f64 v[170:171], v[0:1], v[0:1]
	s_cselect_b32 vcc_lo, -1, 0
	v_max_f64 v[172:173], v[2:3], v[2:3]
	s_waitcnt lgkmcnt(0)
	v_dual_cndmask_b32 v169, v65, v67 :: v_dual_cndmask_b32 v168, v64, v66
	v_max_f64 v[174:175], v[4:5], v[4:5]
	v_max_f64 v[176:177], v[6:7], v[6:7]
	;; [unrolled: 1-line block ×31, first 2 shown]
	s_mov_b64 s[2:3], 1
	s_and_b32 vcc_lo, exec_lo, s8
	s_mov_b32 s8, 0
	v_min_f64 v[170:171], v[170:171], v[168:169]
	v_min_f64 v[172:173], v[172:173], v[168:169]
	;; [unrolled: 1-line block ×32, first 2 shown]
	s_waitcnt vmcnt(31)
	v_add_f64 v[104:105], v[104:105], v[170:171]
	s_waitcnt vmcnt(30)
	v_add_f64 v[106:107], v[172:173], v[106:107]
	;; [unrolled: 2-line block ×32, first 2 shown]
	scratch_store_b64 v70, v[104:105], off
	scratch_store_b64 v71, v[106:107], off
	;; [unrolled: 1-line block ×32, first 2 shown]
	v_mov_b32_e32 v70, 0x100
	v_mov_b32_e32 v71, 0x108
	;; [unrolled: 1-line block ×32, first 2 shown]
	s_cbranch_vccnz .LBB131_60
; %bb.61:
	v_add_nc_u32_e32 v60, 0x800, v68
	ds_load_2addr_b64 v[0:3], v68 offset0:3 offset1:19
	ds_load_2addr_b64 v[4:7], v68 offset0:35 offset1:51
	;; [unrolled: 1-line block ×4, first 2 shown]
	v_dual_mov_b32 v71, 24 :: v_dual_add_nc_u32 v64, 24, v69
	v_mov_b32_e32 v69, 8
	ds_load_2addr_b64 v[16:19], v68 offset0:131 offset1:147
	ds_load_2addr_b64 v[20:23], v68 offset0:163 offset1:179
	;; [unrolled: 1-line block ×12, first 2 shown]
	ds_load_2addr_stride64_b64 v[64:67], v64 offset1:4
	v_dual_mov_b32 v68, 0 :: v_dual_mov_b32 v73, 40
	v_dual_mov_b32 v70, 16 :: v_dual_mov_b32 v75, 56
	v_dual_mov_b32 v72, 32 :: v_dual_mov_b32 v77, 0x48
	v_dual_mov_b32 v74, 48 :: v_dual_mov_b32 v79, 0x58
	v_dual_mov_b32 v76, 64 :: v_dual_mov_b32 v83, 0x68
	v_mov_b32_e32 v78, 0x50
	v_mov_b32_e32 v80, 0x60
	v_mov_b32_e32 v84, 0x70
	v_mov_b32_e32 v85, 0x78
	v_mov_b32_e32 v86, 0x80
	v_mov_b32_e32 v87, 0x88
	v_mov_b32_e32 v88, 0x90
	v_mov_b32_e32 v89, 0x98
	v_mov_b32_e32 v90, 0xa0
	v_mov_b32_e32 v91, 0xa8
	v_mov_b32_e32 v92, 0xb0
	v_mov_b32_e32 v93, 0xb8
	v_mov_b32_e32 v94, 0xc0
	v_mov_b32_e32 v95, 0xc8
	v_mov_b32_e32 v96, 0xd0
	v_mov_b32_e32 v97, 0xd8
	v_mov_b32_e32 v98, 0xe0
	v_mov_b32_e32 v99, 0xe8
	v_mov_b32_e32 v100, 0xf0
	v_mov_b32_e32 v101, 0xf8
	s_mov_b64 s[2:3], 0
	s_mov_b32 s8, -1
.LBB131_62:                             ; =>This Inner Loop Header: Depth=1
	scratch_load_b64 v[102:103], v68, off
	scratch_load_b64 v[104:105], v69, off
	;; [unrolled: 1-line block ×32, first 2 shown]
	s_cmp_eq_u32 s2, 1
	s_waitcnt lgkmcnt(16)
	v_max_f64 v[168:169], v[0:1], v[0:1]
	s_cselect_b32 vcc_lo, -1, 0
	v_max_f64 v[170:171], v[2:3], v[2:3]
	s_waitcnt lgkmcnt(0)
	v_dual_cndmask_b32 v167, v65, v67 :: v_dual_cndmask_b32 v166, v64, v66
	v_max_f64 v[172:173], v[4:5], v[4:5]
	v_max_f64 v[174:175], v[6:7], v[6:7]
	;; [unrolled: 1-line block ×31, first 2 shown]
	s_mov_b64 s[2:3], 1
	s_and_b32 vcc_lo, exec_lo, s8
	s_mov_b32 s8, 0
	v_min_f64 v[168:169], v[168:169], v[166:167]
	v_min_f64 v[170:171], v[170:171], v[166:167]
	;; [unrolled: 1-line block ×32, first 2 shown]
	s_waitcnt vmcnt(31)
	v_add_f64 v[102:103], v[102:103], v[168:169]
	s_waitcnt vmcnt(30)
	v_add_f64 v[104:105], v[170:171], v[104:105]
	;; [unrolled: 2-line block ×32, first 2 shown]
	scratch_store_b64 v68, v[102:103], off
	scratch_store_b64 v69, v[104:105], off
	;; [unrolled: 1-line block ×32, first 2 shown]
	v_mov_b32_e32 v68, 0x100
	v_mov_b32_e32 v69, 0x108
	;; [unrolled: 1-line block ×32, first 2 shown]
	s_cbranch_vccnz .LBB131_62
; %bb.63:
	scratch_load_b64 v[2:3], off, off
	s_load_b32 s3, s[0:1], 0x58
	v_dual_mov_b32 v4, 0 :: v_dual_add_nc_u32 v71, s17, v82
	v_dual_mov_b32 v5, 0 :: v_dual_add_nc_u32 v16, s16, v81
	v_mov_b32_e32 v8, 0
	v_mov_b32_e32 v9, 0
	s_and_b32 s2, exec_lo, s18
	s_delay_alu instid0(VALU_DEP_3) | instskip(SKIP_2) | instid1(VALU_DEP_1)
	v_ashrrev_i32_e32 v17, 31, v16
	s_waitcnt lgkmcnt(0)
	v_mad_i64_i32 v[0:1], null, v71, s3, 0
	v_lshlrev_b64 v[0:1], 3, v[0:1]
	s_delay_alu instid0(VALU_DEP_1) | instskip(NEXT) | instid1(VALU_DEP_2)
	v_add_co_u32 v72, vcc_lo, s4, v0
	v_add_co_ci_u32_e32 v73, vcc_lo, s5, v1, vcc_lo
	v_lshlrev_b64 v[0:1], 3, v[16:17]
	s_mov_b32 vcc_lo, s2
	s_cbranch_vccz .LBB131_65
; %bb.64:
	s_delay_alu instid0(VALU_DEP_1) | instskip(NEXT) | instid1(VALU_DEP_2)
	v_add_co_u32 v6, vcc_lo, v72, v0
	v_add_co_ci_u32_e32 v7, vcc_lo, v73, v1, vcc_lo
	flat_load_b64 v[6:7], v[6:7]
	s_waitcnt vmcnt(0) lgkmcnt(0)
	v_mul_f64 v[8:9], v[6:7], s[6:7]
.LBB131_65:
	scratch_load_b64 v[6:7], off, off offset:8
	s_clause 0x1
	s_load_b32 s8, s[0:1], 0x70
	s_load_b64 s[0:1], s[0:1], 0x78
	s_waitcnt vmcnt(1)
	v_add_f64 v[8:9], v[2:3], v[8:9]
	v_add_nc_u32_e32 v10, 4, v16
	v_cndmask_b32_e64 v12, 0, 1, s18
	s_delay_alu instid0(VALU_DEP_2)
	v_ashrrev_i32_e32 v11, 31, v10
	s_waitcnt lgkmcnt(0)
	v_mad_i64_i32 v[2:3], null, v71, s8, 0
	s_lshl_b64 s[12:13], s[0:1], 3
	v_cmp_ne_u32_e64 s0, 1, v12
	s_add_u32 s1, s10, s12
	s_addc_u32 s9, s11, s13
	s_delay_alu instid0(VALU_DEP_2) | instskip(NEXT) | instid1(VALU_DEP_1)
	v_lshlrev_b64 v[2:3], 3, v[2:3]
	v_add_co_u32 v74, vcc_lo, s1, v2
	s_delay_alu instid0(VALU_DEP_2) | instskip(SKIP_1) | instid1(VALU_DEP_3)
	v_add_co_ci_u32_e32 v75, vcc_lo, s9, v3, vcc_lo
	v_lshlrev_b64 v[2:3], 3, v[10:11]
	v_add_co_u32 v12, vcc_lo, v74, v0
	s_delay_alu instid0(VALU_DEP_3)
	v_add_co_ci_u32_e32 v13, vcc_lo, v75, v1, vcc_lo
	s_and_not1_b32 vcc_lo, exec_lo, s18
	global_store_b64 v[12:13], v[8:9], off
	s_cbranch_vccnz .LBB131_67
; %bb.66:
	v_add_co_u32 v4, vcc_lo, v72, v2
	v_add_co_ci_u32_e32 v5, vcc_lo, v73, v3, vcc_lo
	flat_load_b64 v[4:5], v[4:5]
	s_waitcnt vmcnt(0) lgkmcnt(0)
	v_mul_f64 v[4:5], v[4:5], s[6:7]
.LBB131_67:
	scratch_load_b64 v[10:11], off, off offset:16
	s_waitcnt vmcnt(1)
	v_add_f64 v[12:13], v[6:7], v[4:5]
	v_add_nc_u32_e32 v4, 8, v16
	v_mov_b32_e32 v8, 0
	v_mov_b32_e32 v9, 0
	v_add_co_u32 v14, vcc_lo, v74, v2
	s_delay_alu instid0(VALU_DEP_4) | instskip(SKIP_3) | instid1(VALU_DEP_4)
	v_ashrrev_i32_e32 v5, 31, v4
	v_mov_b32_e32 v6, 0
	v_mov_b32_e32 v7, 0
	v_add_co_ci_u32_e32 v15, vcc_lo, v75, v3, vcc_lo
	v_lshlrev_b64 v[4:5], 3, v[4:5]
	s_and_b32 vcc_lo, exec_lo, s0
	global_store_b64 v[14:15], v[12:13], off
	s_cbranch_vccnz .LBB131_69
; %bb.68:
	v_add_co_u32 v6, vcc_lo, v72, v4
	v_add_co_ci_u32_e32 v7, vcc_lo, v73, v5, vcc_lo
	flat_load_b64 v[6:7], v[6:7]
	s_waitcnt vmcnt(0) lgkmcnt(0)
	v_mul_f64 v[6:7], v[6:7], s[6:7]
.LBB131_69:
	scratch_load_b64 v[12:13], off, off offset:24
	s_waitcnt vmcnt(1)
	v_add_f64 v[10:11], v[10:11], v[6:7]
	v_add_nc_u32_e32 v6, 12, v16
	v_add_co_u32 v14, vcc_lo, v74, v4
	v_add_co_ci_u32_e32 v15, vcc_lo, v75, v5, vcc_lo
	s_delay_alu instid0(VALU_DEP_3) | instskip(SKIP_1) | instid1(VALU_DEP_1)
	v_ashrrev_i32_e32 v7, 31, v6
	s_and_b32 vcc_lo, exec_lo, s0
	v_lshlrev_b64 v[6:7], 3, v[6:7]
	global_store_b64 v[14:15], v[10:11], off
	s_cbranch_vccnz .LBB131_71
; %bb.70:
	v_add_co_u32 v8, vcc_lo, v72, v6
	v_add_co_ci_u32_e32 v9, vcc_lo, v73, v7, vcc_lo
	flat_load_b64 v[8:9], v[8:9]
	s_waitcnt vmcnt(0) lgkmcnt(0)
	v_mul_f64 v[8:9], v[8:9], s[6:7]
.LBB131_71:
	scratch_load_b64 v[10:11], off, off offset:32
	s_waitcnt vmcnt(1)
	v_add_f64 v[17:18], v[12:13], v[8:9]
	v_add_nc_u32_e32 v8, 16, v16
	v_mov_b32_e32 v12, 0
	v_mov_b32_e32 v13, 0
	v_add_co_u32 v19, vcc_lo, v74, v6
	s_delay_alu instid0(VALU_DEP_4) | instskip(SKIP_3) | instid1(VALU_DEP_4)
	v_ashrrev_i32_e32 v9, 31, v8
	v_mov_b32_e32 v14, 0
	v_mov_b32_e32 v15, 0
	v_add_co_ci_u32_e32 v20, vcc_lo, v75, v7, vcc_lo
	v_lshlrev_b64 v[8:9], 3, v[8:9]
	s_and_b32 vcc_lo, exec_lo, s0
	global_store_b64 v[19:20], v[17:18], off
	s_cbranch_vccnz .LBB131_73
; %bb.72:
	v_add_co_u32 v14, vcc_lo, v72, v8
	v_add_co_ci_u32_e32 v15, vcc_lo, v73, v9, vcc_lo
	flat_load_b64 v[14:15], v[14:15]
	s_waitcnt vmcnt(0) lgkmcnt(0)
	v_mul_f64 v[14:15], v[14:15], s[6:7]
.LBB131_73:
	scratch_load_b64 v[17:18], off, off offset:40
	s_waitcnt vmcnt(1)
	v_add_f64 v[14:15], v[10:11], v[14:15]
	v_add_nc_u32_e32 v10, 20, v16
	v_add_co_u32 v19, vcc_lo, v74, v8
	v_add_co_ci_u32_e32 v20, vcc_lo, v75, v9, vcc_lo
	s_delay_alu instid0(VALU_DEP_3) | instskip(SKIP_1) | instid1(VALU_DEP_1)
	v_ashrrev_i32_e32 v11, 31, v10
	s_and_b32 vcc_lo, exec_lo, s0
	v_lshlrev_b64 v[10:11], 3, v[10:11]
	global_store_b64 v[19:20], v[14:15], off
	s_cbranch_vccnz .LBB131_75
; %bb.74:
	v_add_co_u32 v12, vcc_lo, v72, v10
	v_add_co_ci_u32_e32 v13, vcc_lo, v73, v11, vcc_lo
	flat_load_b64 v[12:13], v[12:13]
	s_waitcnt vmcnt(0) lgkmcnt(0)
	v_mul_f64 v[12:13], v[12:13], s[6:7]
.LBB131_75:
	scratch_load_b64 v[14:15], off, off offset:48
	s_waitcnt vmcnt(1)
	v_add_f64 v[21:22], v[17:18], v[12:13]
	v_dual_mov_b32 v17, 0 :: v_dual_add_nc_u32 v12, 24, v16
	v_add_co_u32 v23, vcc_lo, v74, v10
	v_dual_mov_b32 v18, 0 :: v_dual_mov_b32 v19, 0
	s_delay_alu instid0(VALU_DEP_3) | instskip(SKIP_3) | instid1(VALU_DEP_3)
	v_ashrrev_i32_e32 v13, 31, v12
	v_add_co_ci_u32_e32 v24, vcc_lo, v75, v11, vcc_lo
	v_mov_b32_e32 v20, 0
	s_and_b32 vcc_lo, exec_lo, s0
	v_lshlrev_b64 v[12:13], 3, v[12:13]
	global_store_b64 v[23:24], v[21:22], off
	s_cbranch_vccnz .LBB131_77
; %bb.76:
	v_add_co_u32 v19, vcc_lo, v72, v12
	v_add_co_ci_u32_e32 v20, vcc_lo, v73, v13, vcc_lo
	flat_load_b64 v[19:20], v[19:20]
	s_waitcnt vmcnt(0) lgkmcnt(0)
	v_mul_f64 v[19:20], v[19:20], s[6:7]
.LBB131_77:
	scratch_load_b64 v[21:22], off, off offset:56
	s_waitcnt vmcnt(1)
	v_add_f64 v[19:20], v[14:15], v[19:20]
	v_add_nc_u32_e32 v14, 28, v16
	v_add_co_u32 v23, vcc_lo, v74, v12
	v_add_co_ci_u32_e32 v24, vcc_lo, v75, v13, vcc_lo
	s_delay_alu instid0(VALU_DEP_3) | instskip(SKIP_1) | instid1(VALU_DEP_1)
	v_ashrrev_i32_e32 v15, 31, v14
	s_and_b32 vcc_lo, exec_lo, s0
	v_lshlrev_b64 v[14:15], 3, v[14:15]
	global_store_b64 v[23:24], v[19:20], off
	s_cbranch_vccnz .LBB131_79
; %bb.78:
	v_add_co_u32 v17, vcc_lo, v72, v14
	v_add_co_ci_u32_e32 v18, vcc_lo, v73, v15, vcc_lo
	flat_load_b64 v[17:18], v[17:18]
	s_waitcnt vmcnt(0) lgkmcnt(0)
	v_mul_f64 v[17:18], v[17:18], s[6:7]
.LBB131_79:
	scratch_load_b64 v[19:20], off, off offset:64
	s_waitcnt vmcnt(1)
	v_add_f64 v[25:26], v[21:22], v[17:18]
	v_add_nc_u32_e32 v17, 32, v16
	v_mov_b32_e32 v21, 0
	v_mov_b32_e32 v22, 0
	v_add_co_u32 v27, vcc_lo, v74, v14
	s_delay_alu instid0(VALU_DEP_4) | instskip(SKIP_3) | instid1(VALU_DEP_4)
	v_ashrrev_i32_e32 v18, 31, v17
	v_mov_b32_e32 v23, 0
	v_mov_b32_e32 v24, 0
	v_add_co_ci_u32_e32 v28, vcc_lo, v75, v15, vcc_lo
	v_lshlrev_b64 v[17:18], 3, v[17:18]
	s_and_b32 vcc_lo, exec_lo, s0
	global_store_b64 v[27:28], v[25:26], off
	s_cbranch_vccnz .LBB131_81
; %bb.80:
	v_add_co_u32 v23, vcc_lo, v72, v17
	v_add_co_ci_u32_e32 v24, vcc_lo, v73, v18, vcc_lo
	flat_load_b64 v[23:24], v[23:24]
	s_waitcnt vmcnt(0) lgkmcnt(0)
	v_mul_f64 v[23:24], v[23:24], s[6:7]
.LBB131_81:
	scratch_load_b64 v[25:26], off, off offset:72
	s_waitcnt vmcnt(1)
	v_add_f64 v[23:24], v[19:20], v[23:24]
	v_add_nc_u32_e32 v19, 36, v16
	v_add_co_u32 v27, vcc_lo, v74, v17
	v_add_co_ci_u32_e32 v28, vcc_lo, v75, v18, vcc_lo
	s_delay_alu instid0(VALU_DEP_3) | instskip(SKIP_1) | instid1(VALU_DEP_1)
	v_ashrrev_i32_e32 v20, 31, v19
	s_and_b32 vcc_lo, exec_lo, s0
	v_lshlrev_b64 v[19:20], 3, v[19:20]
	global_store_b64 v[27:28], v[23:24], off
	s_cbranch_vccnz .LBB131_83
; %bb.82:
	v_add_co_u32 v21, vcc_lo, v72, v19
	v_add_co_ci_u32_e32 v22, vcc_lo, v73, v20, vcc_lo
	flat_load_b64 v[21:22], v[21:22]
	s_waitcnt vmcnt(0) lgkmcnt(0)
	v_mul_f64 v[21:22], v[21:22], s[6:7]
.LBB131_83:
	scratch_load_b64 v[23:24], off, off offset:80
	s_waitcnt vmcnt(1)
	v_add_f64 v[29:30], v[25:26], v[21:22]
	v_add_nc_u32_e32 v21, 40, v16
	v_mov_b32_e32 v25, 0
	v_mov_b32_e32 v26, 0
	v_add_co_u32 v31, vcc_lo, v74, v19
	s_delay_alu instid0(VALU_DEP_4) | instskip(SKIP_3) | instid1(VALU_DEP_4)
	v_ashrrev_i32_e32 v22, 31, v21
	v_mov_b32_e32 v27, 0
	v_mov_b32_e32 v28, 0
	v_add_co_ci_u32_e32 v32, vcc_lo, v75, v20, vcc_lo
	v_lshlrev_b64 v[21:22], 3, v[21:22]
	s_and_b32 vcc_lo, exec_lo, s0
	global_store_b64 v[31:32], v[29:30], off
	s_cbranch_vccnz .LBB131_85
; %bb.84:
	v_add_co_u32 v27, vcc_lo, v72, v21
	v_add_co_ci_u32_e32 v28, vcc_lo, v73, v22, vcc_lo
	flat_load_b64 v[27:28], v[27:28]
	s_waitcnt vmcnt(0) lgkmcnt(0)
	v_mul_f64 v[27:28], v[27:28], s[6:7]
.LBB131_85:
	scratch_load_b64 v[29:30], off, off offset:88
	s_waitcnt vmcnt(1)
	v_add_f64 v[27:28], v[23:24], v[27:28]
	v_add_nc_u32_e32 v23, 44, v16
	v_add_co_u32 v31, vcc_lo, v74, v21
	v_add_co_ci_u32_e32 v32, vcc_lo, v75, v22, vcc_lo
	s_delay_alu instid0(VALU_DEP_3) | instskip(SKIP_1) | instid1(VALU_DEP_1)
	v_ashrrev_i32_e32 v24, 31, v23
	s_and_b32 vcc_lo, exec_lo, s0
	v_lshlrev_b64 v[23:24], 3, v[23:24]
	global_store_b64 v[31:32], v[27:28], off
	s_cbranch_vccnz .LBB131_87
; %bb.86:
	v_add_co_u32 v25, vcc_lo, v72, v23
	v_add_co_ci_u32_e32 v26, vcc_lo, v73, v24, vcc_lo
	flat_load_b64 v[25:26], v[25:26]
	s_waitcnt vmcnt(0) lgkmcnt(0)
	v_mul_f64 v[25:26], v[25:26], s[6:7]
.LBB131_87:
	scratch_load_b64 v[27:28], off, off offset:96
	s_waitcnt vmcnt(1)
	v_add_f64 v[33:34], v[29:30], v[25:26]
	v_add_nc_u32_e32 v25, 48, v16
	v_mov_b32_e32 v29, 0
	v_mov_b32_e32 v30, 0
	v_add_co_u32 v35, vcc_lo, v74, v23
	s_delay_alu instid0(VALU_DEP_4) | instskip(SKIP_3) | instid1(VALU_DEP_4)
	v_ashrrev_i32_e32 v26, 31, v25
	v_mov_b32_e32 v31, 0
	v_mov_b32_e32 v32, 0
	v_add_co_ci_u32_e32 v36, vcc_lo, v75, v24, vcc_lo
	v_lshlrev_b64 v[25:26], 3, v[25:26]
	s_and_b32 vcc_lo, exec_lo, s0
	global_store_b64 v[35:36], v[33:34], off
	s_cbranch_vccnz .LBB131_89
; %bb.88:
	v_add_co_u32 v31, vcc_lo, v72, v25
	v_add_co_ci_u32_e32 v32, vcc_lo, v73, v26, vcc_lo
	flat_load_b64 v[31:32], v[31:32]
	s_waitcnt vmcnt(0) lgkmcnt(0)
	v_mul_f64 v[31:32], v[31:32], s[6:7]
.LBB131_89:
	scratch_load_b64 v[33:34], off, off offset:104
	s_waitcnt vmcnt(1)
	v_add_f64 v[31:32], v[27:28], v[31:32]
	v_add_nc_u32_e32 v27, 52, v16
	v_add_co_u32 v35, vcc_lo, v74, v25
	v_add_co_ci_u32_e32 v36, vcc_lo, v75, v26, vcc_lo
	s_delay_alu instid0(VALU_DEP_3) | instskip(SKIP_1) | instid1(VALU_DEP_1)
	v_ashrrev_i32_e32 v28, 31, v27
	s_and_b32 vcc_lo, exec_lo, s0
	v_lshlrev_b64 v[27:28], 3, v[27:28]
	global_store_b64 v[35:36], v[31:32], off
	s_cbranch_vccnz .LBB131_91
; %bb.90:
	v_add_co_u32 v29, vcc_lo, v72, v27
	v_add_co_ci_u32_e32 v30, vcc_lo, v73, v28, vcc_lo
	flat_load_b64 v[29:30], v[29:30]
	s_waitcnt vmcnt(0) lgkmcnt(0)
	v_mul_f64 v[29:30], v[29:30], s[6:7]
.LBB131_91:
	scratch_load_b64 v[31:32], off, off offset:112
	s_waitcnt vmcnt(1)
	v_add_f64 v[37:38], v[33:34], v[29:30]
	v_add_nc_u32_e32 v29, 56, v16
	v_mov_b32_e32 v33, 0
	v_mov_b32_e32 v34, 0
	v_add_co_u32 v39, vcc_lo, v74, v27
	s_delay_alu instid0(VALU_DEP_4) | instskip(SKIP_3) | instid1(VALU_DEP_4)
	v_ashrrev_i32_e32 v30, 31, v29
	v_mov_b32_e32 v35, 0
	v_mov_b32_e32 v36, 0
	v_add_co_ci_u32_e32 v40, vcc_lo, v75, v28, vcc_lo
	v_lshlrev_b64 v[29:30], 3, v[29:30]
	s_and_b32 vcc_lo, exec_lo, s0
	global_store_b64 v[39:40], v[37:38], off
	s_cbranch_vccnz .LBB131_93
; %bb.92:
	v_add_co_u32 v35, vcc_lo, v72, v29
	v_add_co_ci_u32_e32 v36, vcc_lo, v73, v30, vcc_lo
	flat_load_b64 v[35:36], v[35:36]
	s_waitcnt vmcnt(0) lgkmcnt(0)
	v_mul_f64 v[35:36], v[35:36], s[6:7]
.LBB131_93:
	scratch_load_b64 v[37:38], off, off offset:120
	s_waitcnt vmcnt(1)
	v_add_f64 v[35:36], v[31:32], v[35:36]
	v_add_nc_u32_e32 v31, 60, v16
	v_add_co_u32 v39, vcc_lo, v74, v29
	v_add_co_ci_u32_e32 v40, vcc_lo, v75, v30, vcc_lo
	s_delay_alu instid0(VALU_DEP_3) | instskip(SKIP_1) | instid1(VALU_DEP_1)
	v_ashrrev_i32_e32 v32, 31, v31
	s_and_b32 vcc_lo, exec_lo, s0
	v_lshlrev_b64 v[31:32], 3, v[31:32]
	global_store_b64 v[39:40], v[35:36], off
	s_cbranch_vccnz .LBB131_95
; %bb.94:
	v_add_co_u32 v33, vcc_lo, v72, v31
	v_add_co_ci_u32_e32 v34, vcc_lo, v73, v32, vcc_lo
	flat_load_b64 v[33:34], v[33:34]
	s_waitcnt vmcnt(0) lgkmcnt(0)
	v_mul_f64 v[33:34], v[33:34], s[6:7]
.LBB131_95:
	scratch_load_b64 v[35:36], off, off offset:128
	s_waitcnt vmcnt(1)
	v_add_f64 v[41:42], v[37:38], v[33:34]
	v_add_nc_u32_e32 v33, 64, v16
	v_mov_b32_e32 v37, 0
	v_mov_b32_e32 v38, 0
	v_add_co_u32 v43, vcc_lo, v74, v31
	s_delay_alu instid0(VALU_DEP_4) | instskip(SKIP_3) | instid1(VALU_DEP_4)
	v_ashrrev_i32_e32 v34, 31, v33
	v_mov_b32_e32 v39, 0
	v_mov_b32_e32 v40, 0
	v_add_co_ci_u32_e32 v44, vcc_lo, v75, v32, vcc_lo
	v_lshlrev_b64 v[33:34], 3, v[33:34]
	s_and_b32 vcc_lo, exec_lo, s0
	global_store_b64 v[43:44], v[41:42], off
	s_cbranch_vccnz .LBB131_97
; %bb.96:
	v_add_co_u32 v39, vcc_lo, v72, v33
	v_add_co_ci_u32_e32 v40, vcc_lo, v73, v34, vcc_lo
	flat_load_b64 v[39:40], v[39:40]
	s_waitcnt vmcnt(0) lgkmcnt(0)
	v_mul_f64 v[39:40], v[39:40], s[6:7]
.LBB131_97:
	scratch_load_b64 v[41:42], off, off offset:136
	s_waitcnt vmcnt(1)
	v_add_f64 v[39:40], v[35:36], v[39:40]
	v_add_nc_u32_e32 v35, 0x44, v16
	v_add_co_u32 v43, vcc_lo, v74, v33
	v_add_co_ci_u32_e32 v44, vcc_lo, v75, v34, vcc_lo
	s_delay_alu instid0(VALU_DEP_3) | instskip(SKIP_1) | instid1(VALU_DEP_1)
	v_ashrrev_i32_e32 v36, 31, v35
	s_and_b32 vcc_lo, exec_lo, s0
	v_lshlrev_b64 v[35:36], 3, v[35:36]
	global_store_b64 v[43:44], v[39:40], off
	s_cbranch_vccnz .LBB131_99
; %bb.98:
	v_add_co_u32 v37, vcc_lo, v72, v35
	v_add_co_ci_u32_e32 v38, vcc_lo, v73, v36, vcc_lo
	flat_load_b64 v[37:38], v[37:38]
	s_waitcnt vmcnt(0) lgkmcnt(0)
	v_mul_f64 v[37:38], v[37:38], s[6:7]
.LBB131_99:
	scratch_load_b64 v[39:40], off, off offset:144
	s_waitcnt vmcnt(1)
	v_add_f64 v[45:46], v[41:42], v[37:38]
	v_add_nc_u32_e32 v37, 0x48, v16
	v_mov_b32_e32 v41, 0
	v_mov_b32_e32 v42, 0
	v_add_co_u32 v47, vcc_lo, v74, v35
	s_delay_alu instid0(VALU_DEP_4) | instskip(SKIP_3) | instid1(VALU_DEP_4)
	v_ashrrev_i32_e32 v38, 31, v37
	v_mov_b32_e32 v43, 0
	v_mov_b32_e32 v44, 0
	v_add_co_ci_u32_e32 v48, vcc_lo, v75, v36, vcc_lo
	v_lshlrev_b64 v[37:38], 3, v[37:38]
	s_and_b32 vcc_lo, exec_lo, s0
	global_store_b64 v[47:48], v[45:46], off
	s_cbranch_vccnz .LBB131_101
; %bb.100:
	v_add_co_u32 v43, vcc_lo, v72, v37
	v_add_co_ci_u32_e32 v44, vcc_lo, v73, v38, vcc_lo
	flat_load_b64 v[43:44], v[43:44]
	s_waitcnt vmcnt(0) lgkmcnt(0)
	v_mul_f64 v[43:44], v[43:44], s[6:7]
.LBB131_101:
	scratch_load_b64 v[45:46], off, off offset:152
	s_waitcnt vmcnt(1)
	v_add_f64 v[43:44], v[39:40], v[43:44]
	v_add_nc_u32_e32 v39, 0x4c, v16
	v_add_co_u32 v47, vcc_lo, v74, v37
	v_add_co_ci_u32_e32 v48, vcc_lo, v75, v38, vcc_lo
	s_delay_alu instid0(VALU_DEP_3) | instskip(SKIP_1) | instid1(VALU_DEP_1)
	v_ashrrev_i32_e32 v40, 31, v39
	s_and_b32 vcc_lo, exec_lo, s0
	v_lshlrev_b64 v[39:40], 3, v[39:40]
	global_store_b64 v[47:48], v[43:44], off
	s_cbranch_vccnz .LBB131_103
; %bb.102:
	v_add_co_u32 v41, vcc_lo, v72, v39
	v_add_co_ci_u32_e32 v42, vcc_lo, v73, v40, vcc_lo
	flat_load_b64 v[41:42], v[41:42]
	s_waitcnt vmcnt(0) lgkmcnt(0)
	v_mul_f64 v[41:42], v[41:42], s[6:7]
.LBB131_103:
	scratch_load_b64 v[43:44], off, off offset:160
	s_waitcnt vmcnt(1)
	v_add_f64 v[49:50], v[45:46], v[41:42]
	v_add_nc_u32_e32 v41, 0x50, v16
	v_mov_b32_e32 v45, 0
	v_mov_b32_e32 v46, 0
	v_add_co_u32 v51, vcc_lo, v74, v39
	s_delay_alu instid0(VALU_DEP_4) | instskip(SKIP_3) | instid1(VALU_DEP_4)
	v_ashrrev_i32_e32 v42, 31, v41
	v_mov_b32_e32 v47, 0
	v_mov_b32_e32 v48, 0
	v_add_co_ci_u32_e32 v52, vcc_lo, v75, v40, vcc_lo
	v_lshlrev_b64 v[41:42], 3, v[41:42]
	s_and_b32 vcc_lo, exec_lo, s0
	global_store_b64 v[51:52], v[49:50], off
	s_cbranch_vccnz .LBB131_105
; %bb.104:
	v_add_co_u32 v47, vcc_lo, v72, v41
	v_add_co_ci_u32_e32 v48, vcc_lo, v73, v42, vcc_lo
	flat_load_b64 v[47:48], v[47:48]
	s_waitcnt vmcnt(0) lgkmcnt(0)
	v_mul_f64 v[47:48], v[47:48], s[6:7]
.LBB131_105:
	scratch_load_b64 v[49:50], off, off offset:168
	s_waitcnt vmcnt(1)
	v_add_f64 v[47:48], v[43:44], v[47:48]
	v_add_nc_u32_e32 v43, 0x54, v16
	v_add_co_u32 v51, vcc_lo, v74, v41
	v_add_co_ci_u32_e32 v52, vcc_lo, v75, v42, vcc_lo
	s_delay_alu instid0(VALU_DEP_3) | instskip(SKIP_1) | instid1(VALU_DEP_1)
	v_ashrrev_i32_e32 v44, 31, v43
	s_and_b32 vcc_lo, exec_lo, s0
	v_lshlrev_b64 v[43:44], 3, v[43:44]
	global_store_b64 v[51:52], v[47:48], off
	s_cbranch_vccnz .LBB131_107
; %bb.106:
	v_add_co_u32 v45, vcc_lo, v72, v43
	v_add_co_ci_u32_e32 v46, vcc_lo, v73, v44, vcc_lo
	flat_load_b64 v[45:46], v[45:46]
	s_waitcnt vmcnt(0) lgkmcnt(0)
	v_mul_f64 v[45:46], v[45:46], s[6:7]
.LBB131_107:
	scratch_load_b64 v[47:48], off, off offset:176
	s_waitcnt vmcnt(1)
	v_add_f64 v[53:54], v[49:50], v[45:46]
	v_add_nc_u32_e32 v45, 0x58, v16
	v_mov_b32_e32 v49, 0
	v_mov_b32_e32 v50, 0
	v_add_co_u32 v55, vcc_lo, v74, v43
	s_delay_alu instid0(VALU_DEP_4) | instskip(SKIP_3) | instid1(VALU_DEP_4)
	v_ashrrev_i32_e32 v46, 31, v45
	v_mov_b32_e32 v51, 0
	v_mov_b32_e32 v52, 0
	v_add_co_ci_u32_e32 v56, vcc_lo, v75, v44, vcc_lo
	v_lshlrev_b64 v[45:46], 3, v[45:46]
	s_and_b32 vcc_lo, exec_lo, s0
	global_store_b64 v[55:56], v[53:54], off
	s_cbranch_vccnz .LBB131_109
; %bb.108:
	v_add_co_u32 v51, vcc_lo, v72, v45
	v_add_co_ci_u32_e32 v52, vcc_lo, v73, v46, vcc_lo
	flat_load_b64 v[51:52], v[51:52]
	s_waitcnt vmcnt(0) lgkmcnt(0)
	v_mul_f64 v[51:52], v[51:52], s[6:7]
.LBB131_109:
	scratch_load_b64 v[53:54], off, off offset:184
	s_waitcnt vmcnt(1)
	v_add_f64 v[51:52], v[47:48], v[51:52]
	v_add_nc_u32_e32 v47, 0x5c, v16
	v_add_co_u32 v55, vcc_lo, v74, v45
	v_add_co_ci_u32_e32 v56, vcc_lo, v75, v46, vcc_lo
	s_delay_alu instid0(VALU_DEP_3) | instskip(SKIP_1) | instid1(VALU_DEP_1)
	v_ashrrev_i32_e32 v48, 31, v47
	s_and_b32 vcc_lo, exec_lo, s0
	v_lshlrev_b64 v[47:48], 3, v[47:48]
	global_store_b64 v[55:56], v[51:52], off
	s_cbranch_vccnz .LBB131_111
; %bb.110:
	v_add_co_u32 v49, vcc_lo, v72, v47
	v_add_co_ci_u32_e32 v50, vcc_lo, v73, v48, vcc_lo
	flat_load_b64 v[49:50], v[49:50]
	s_waitcnt vmcnt(0) lgkmcnt(0)
	v_mul_f64 v[49:50], v[49:50], s[6:7]
.LBB131_111:
	scratch_load_b64 v[51:52], off, off offset:192
	s_waitcnt vmcnt(1)
	v_add_f64 v[57:58], v[53:54], v[49:50]
	v_add_nc_u32_e32 v49, 0x60, v16
	v_mov_b32_e32 v53, 0
	v_mov_b32_e32 v54, 0
	v_add_co_u32 v59, vcc_lo, v74, v47
	s_delay_alu instid0(VALU_DEP_4) | instskip(SKIP_3) | instid1(VALU_DEP_4)
	v_ashrrev_i32_e32 v50, 31, v49
	v_mov_b32_e32 v55, 0
	v_mov_b32_e32 v56, 0
	v_add_co_ci_u32_e32 v60, vcc_lo, v75, v48, vcc_lo
	v_lshlrev_b64 v[49:50], 3, v[49:50]
	s_and_b32 vcc_lo, exec_lo, s0
	global_store_b64 v[59:60], v[57:58], off
	s_cbranch_vccnz .LBB131_113
; %bb.112:
	v_add_co_u32 v55, vcc_lo, v72, v49
	v_add_co_ci_u32_e32 v56, vcc_lo, v73, v50, vcc_lo
	flat_load_b64 v[55:56], v[55:56]
	s_waitcnt vmcnt(0) lgkmcnt(0)
	v_mul_f64 v[55:56], v[55:56], s[6:7]
.LBB131_113:
	scratch_load_b64 v[57:58], off, off offset:200
	s_waitcnt vmcnt(1)
	v_add_f64 v[55:56], v[51:52], v[55:56]
	v_add_nc_u32_e32 v51, 0x64, v16
	v_add_co_u32 v59, vcc_lo, v74, v49
	v_add_co_ci_u32_e32 v60, vcc_lo, v75, v50, vcc_lo
	s_delay_alu instid0(VALU_DEP_3) | instskip(SKIP_1) | instid1(VALU_DEP_1)
	v_ashrrev_i32_e32 v52, 31, v51
	s_and_b32 vcc_lo, exec_lo, s0
	v_lshlrev_b64 v[51:52], 3, v[51:52]
	global_store_b64 v[59:60], v[55:56], off
	s_cbranch_vccnz .LBB131_115
; %bb.114:
	v_add_co_u32 v53, vcc_lo, v72, v51
	v_add_co_ci_u32_e32 v54, vcc_lo, v73, v52, vcc_lo
	flat_load_b64 v[53:54], v[53:54]
	s_waitcnt vmcnt(0) lgkmcnt(0)
	v_mul_f64 v[53:54], v[53:54], s[6:7]
.LBB131_115:
	scratch_load_b64 v[55:56], off, off offset:208
	s_waitcnt vmcnt(1)
	v_add_f64 v[61:62], v[57:58], v[53:54]
	v_add_nc_u32_e32 v53, 0x68, v16
	v_mov_b32_e32 v57, 0
	v_mov_b32_e32 v58, 0
	v_add_co_u32 v63, vcc_lo, v74, v51
	s_delay_alu instid0(VALU_DEP_4) | instskip(SKIP_3) | instid1(VALU_DEP_4)
	v_ashrrev_i32_e32 v54, 31, v53
	v_mov_b32_e32 v59, 0
	v_mov_b32_e32 v60, 0
	v_add_co_ci_u32_e32 v64, vcc_lo, v75, v52, vcc_lo
	v_lshlrev_b64 v[53:54], 3, v[53:54]
	s_and_b32 vcc_lo, exec_lo, s0
	global_store_b64 v[63:64], v[61:62], off
	s_cbranch_vccnz .LBB131_117
; %bb.116:
	v_add_co_u32 v59, vcc_lo, v72, v53
	v_add_co_ci_u32_e32 v60, vcc_lo, v73, v54, vcc_lo
	flat_load_b64 v[59:60], v[59:60]
	s_waitcnt vmcnt(0) lgkmcnt(0)
	v_mul_f64 v[59:60], v[59:60], s[6:7]
.LBB131_117:
	scratch_load_b64 v[61:62], off, off offset:216
	s_waitcnt vmcnt(1)
	v_add_f64 v[59:60], v[55:56], v[59:60]
	v_add_nc_u32_e32 v55, 0x6c, v16
	v_add_co_u32 v63, vcc_lo, v74, v53
	v_add_co_ci_u32_e32 v64, vcc_lo, v75, v54, vcc_lo
	s_delay_alu instid0(VALU_DEP_3) | instskip(SKIP_1) | instid1(VALU_DEP_1)
	v_ashrrev_i32_e32 v56, 31, v55
	s_and_b32 vcc_lo, exec_lo, s0
	v_lshlrev_b64 v[55:56], 3, v[55:56]
	global_store_b64 v[63:64], v[59:60], off
	s_cbranch_vccnz .LBB131_119
; %bb.118:
	v_add_co_u32 v57, vcc_lo, v72, v55
	v_add_co_ci_u32_e32 v58, vcc_lo, v73, v56, vcc_lo
	flat_load_b64 v[57:58], v[57:58]
	s_waitcnt vmcnt(0) lgkmcnt(0)
	v_mul_f64 v[57:58], v[57:58], s[6:7]
.LBB131_119:
	scratch_load_b64 v[59:60], off, off offset:224
	s_waitcnt vmcnt(1)
	v_add_f64 v[65:66], v[61:62], v[57:58]
	v_add_nc_u32_e32 v57, 0x70, v16
	v_mov_b32_e32 v61, 0
	v_mov_b32_e32 v62, 0
	v_add_co_u32 v67, vcc_lo, v74, v55
	s_delay_alu instid0(VALU_DEP_4) | instskip(SKIP_3) | instid1(VALU_DEP_4)
	v_ashrrev_i32_e32 v58, 31, v57
	v_mov_b32_e32 v63, 0
	v_mov_b32_e32 v64, 0
	v_add_co_ci_u32_e32 v68, vcc_lo, v75, v56, vcc_lo
	v_lshlrev_b64 v[57:58], 3, v[57:58]
	s_and_b32 vcc_lo, exec_lo, s0
	global_store_b64 v[67:68], v[65:66], off
	s_cbranch_vccnz .LBB131_121
; %bb.120:
	v_add_co_u32 v63, vcc_lo, v72, v57
	v_add_co_ci_u32_e32 v64, vcc_lo, v73, v58, vcc_lo
	flat_load_b64 v[63:64], v[63:64]
	s_waitcnt vmcnt(0) lgkmcnt(0)
	v_mul_f64 v[63:64], v[63:64], s[6:7]
.LBB131_121:
	scratch_load_b64 v[65:66], off, off offset:232
	s_waitcnt vmcnt(1)
	v_add_f64 v[63:64], v[59:60], v[63:64]
	v_add_nc_u32_e32 v59, 0x74, v16
	v_add_co_u32 v67, vcc_lo, v74, v57
	v_add_co_ci_u32_e32 v68, vcc_lo, v75, v58, vcc_lo
	s_delay_alu instid0(VALU_DEP_3) | instskip(SKIP_1) | instid1(VALU_DEP_1)
	v_ashrrev_i32_e32 v60, 31, v59
	s_and_b32 vcc_lo, exec_lo, s0
	v_lshlrev_b64 v[59:60], 3, v[59:60]
	global_store_b64 v[67:68], v[63:64], off
	s_cbranch_vccnz .LBB131_123
; %bb.122:
	v_add_co_u32 v61, vcc_lo, v72, v59
	v_add_co_ci_u32_e32 v62, vcc_lo, v73, v60, vcc_lo
	flat_load_b64 v[61:62], v[61:62]
	s_waitcnt vmcnt(0) lgkmcnt(0)
	v_mul_f64 v[61:62], v[61:62], s[6:7]
.LBB131_123:
	scratch_load_b64 v[63:64], off, off offset:240
	s_waitcnt vmcnt(1)
	v_add_f64 v[67:68], v[65:66], v[61:62]
	v_add_nc_u32_e32 v61, 0x78, v16
	v_mov_b32_e32 v65, 0
	v_mov_b32_e32 v66, 0
	v_add_co_u32 v76, vcc_lo, v74, v59
	s_delay_alu instid0(VALU_DEP_4) | instskip(SKIP_3) | instid1(VALU_DEP_4)
	v_ashrrev_i32_e32 v62, 31, v61
	v_mov_b32_e32 v69, 0
	v_mov_b32_e32 v70, 0
	v_add_co_ci_u32_e32 v77, vcc_lo, v75, v60, vcc_lo
	v_lshlrev_b64 v[61:62], 3, v[61:62]
	s_and_b32 vcc_lo, exec_lo, s0
	global_store_b64 v[76:77], v[67:68], off
	s_cbranch_vccnz .LBB131_125
; %bb.124:
	v_add_co_u32 v67, vcc_lo, v72, v61
	v_add_co_ci_u32_e32 v68, vcc_lo, v73, v62, vcc_lo
	flat_load_b64 v[67:68], v[67:68]
	s_waitcnt vmcnt(0) lgkmcnt(0)
	v_mul_f64 v[69:70], v[67:68], s[6:7]
.LBB131_125:
	scratch_load_b64 v[67:68], off, off offset:248
	s_waitcnt vmcnt(1)
	v_add_f64 v[69:70], v[63:64], v[69:70]
	v_add_nc_u32_e32 v63, 0x7c, v16
	v_add_co_u32 v76, vcc_lo, v74, v61
	v_add_co_ci_u32_e32 v77, vcc_lo, v75, v62, vcc_lo
	s_delay_alu instid0(VALU_DEP_3) | instskip(SKIP_1) | instid1(VALU_DEP_1)
	v_ashrrev_i32_e32 v64, 31, v63
	s_and_b32 vcc_lo, exec_lo, s0
	v_lshlrev_b64 v[63:64], 3, v[63:64]
	global_store_b64 v[76:77], v[69:70], off
	s_cbranch_vccnz .LBB131_127
; %bb.126:
	v_add_co_u32 v65, vcc_lo, v72, v63
	v_add_co_ci_u32_e32 v66, vcc_lo, v73, v64, vcc_lo
	flat_load_b64 v[65:66], v[65:66]
	s_waitcnt vmcnt(0) lgkmcnt(0)
	v_mul_f64 v[65:66], v[65:66], s[6:7]
.LBB131_127:
	scratch_load_b64 v[69:70], off, off offset:256
	s_waitcnt vmcnt(1)
	v_add_f64 v[67:68], v[67:68], v[65:66]
	v_add_nc_u32_e32 v76, 64, v71
	v_add_co_u32 v74, vcc_lo, v74, v63
	v_add_co_ci_u32_e32 v75, vcc_lo, v75, v64, vcc_lo
	s_delay_alu instid0(VALU_DEP_3) | instskip(SKIP_2) | instid1(VALU_DEP_3)
	v_mad_i64_i32 v[65:66], null, v76, s3, 0
	v_mov_b32_e32 v71, 0
	v_mov_b32_e32 v72, 0
	v_lshlrev_b64 v[77:78], 3, v[65:66]
	v_mov_b32_e32 v65, 0
	v_mov_b32_e32 v66, 0
	s_delay_alu instid0(VALU_DEP_3) | instskip(NEXT) | instid1(VALU_DEP_4)
	v_add_co_u32 v16, vcc_lo, s4, v77
	v_add_co_ci_u32_e32 v73, vcc_lo, s5, v78, vcc_lo
	s_mov_b32 vcc_lo, s2
	global_store_b64 v[74:75], v[67:68], off
	s_cbranch_vccz .LBB131_129
; %bb.128:
	v_add_co_u32 v67, vcc_lo, v16, v0
	v_add_co_ci_u32_e32 v68, vcc_lo, v73, v1, vcc_lo
	flat_load_b64 v[67:68], v[67:68]
	s_waitcnt vmcnt(0) lgkmcnt(0)
	v_mul_f64 v[71:72], v[67:68], s[6:7]
.LBB131_129:
	scratch_load_b64 v[67:68], off, off offset:264
	s_waitcnt vmcnt(1)
	v_add_f64 v[69:70], v[69:70], v[71:72]
	v_mad_i64_i32 v[71:72], null, v76, s8, 0
	s_delay_alu instid0(VALU_DEP_1) | instskip(NEXT) | instid1(VALU_DEP_1)
	v_lshlrev_b64 v[71:72], 3, v[71:72]
	v_add_co_u32 v71, vcc_lo, s1, v71
	s_delay_alu instid0(VALU_DEP_2) | instskip(NEXT) | instid1(VALU_DEP_2)
	v_add_co_ci_u32_e32 v72, vcc_lo, s9, v72, vcc_lo
	v_add_co_u32 v0, vcc_lo, v71, v0
	s_delay_alu instid0(VALU_DEP_2)
	v_add_co_ci_u32_e32 v1, vcc_lo, v72, v1, vcc_lo
	s_and_b32 vcc_lo, exec_lo, s0
	global_store_b64 v[0:1], v[69:70], off
	s_cbranch_vccnz .LBB131_131
; %bb.130:
	v_add_co_u32 v0, vcc_lo, v16, v2
	v_add_co_ci_u32_e32 v1, vcc_lo, v73, v3, vcc_lo
	flat_load_b64 v[0:1], v[0:1]
	s_waitcnt vmcnt(0) lgkmcnt(0)
	v_mul_f64 v[65:66], v[0:1], s[6:7]
.LBB131_131:
	scratch_load_b64 v[69:70], off, off offset:272
	s_waitcnt vmcnt(1)
	v_add_f64 v[65:66], v[67:68], v[65:66]
	v_add_co_u32 v67, vcc_lo, v71, v2
	v_mov_b32_e32 v0, 0
	v_add_co_ci_u32_e32 v68, vcc_lo, v72, v3, vcc_lo
	v_dual_mov_b32 v1, 0 :: v_dual_mov_b32 v2, 0
	v_mov_b32_e32 v3, 0
	s_and_b32 vcc_lo, exec_lo, s0
	global_store_b64 v[67:68], v[65:66], off
	s_cbranch_vccnz .LBB131_133
; %bb.132:
	v_add_co_u32 v2, vcc_lo, v16, v4
	v_add_co_ci_u32_e32 v3, vcc_lo, v73, v5, vcc_lo
	flat_load_b64 v[2:3], v[2:3]
	s_waitcnt vmcnt(0) lgkmcnt(0)
	v_mul_f64 v[2:3], v[2:3], s[6:7]
.LBB131_133:
	scratch_load_b64 v[65:66], off, off offset:280
	s_waitcnt vmcnt(1)
	v_add_f64 v[2:3], v[69:70], v[2:3]
	v_add_co_u32 v4, vcc_lo, v71, v4
	v_add_co_ci_u32_e32 v5, vcc_lo, v72, v5, vcc_lo
	s_and_b32 vcc_lo, exec_lo, s0
	global_store_b64 v[4:5], v[2:3], off
	s_cbranch_vccnz .LBB131_135
; %bb.134:
	v_add_co_u32 v0, vcc_lo, v16, v6
	v_add_co_ci_u32_e32 v1, vcc_lo, v73, v7, vcc_lo
	flat_load_b64 v[0:1], v[0:1]
	s_waitcnt vmcnt(0) lgkmcnt(0)
	v_mul_f64 v[0:1], v[0:1], s[6:7]
.LBB131_135:
	scratch_load_b64 v[2:3], off, off offset:288
	s_waitcnt vmcnt(1)
	v_add_f64 v[4:5], v[65:66], v[0:1]
	v_add_co_u32 v65, vcc_lo, v71, v6
	v_mov_b32_e32 v0, 0
	v_add_co_ci_u32_e32 v66, vcc_lo, v72, v7, vcc_lo
	v_dual_mov_b32 v1, 0 :: v_dual_mov_b32 v6, 0
	v_mov_b32_e32 v7, 0
	s_and_b32 vcc_lo, exec_lo, s0
	global_store_b64 v[65:66], v[4:5], off
	s_cbranch_vccnz .LBB131_137
; %bb.136:
	v_add_co_u32 v4, vcc_lo, v16, v8
	v_add_co_ci_u32_e32 v5, vcc_lo, v73, v9, vcc_lo
	flat_load_b64 v[4:5], v[4:5]
	s_waitcnt vmcnt(0) lgkmcnt(0)
	v_mul_f64 v[6:7], v[4:5], s[6:7]
.LBB131_137:
	scratch_load_b64 v[4:5], off, off offset:296
	s_waitcnt vmcnt(1)
	v_add_f64 v[2:3], v[2:3], v[6:7]
	v_add_co_u32 v6, vcc_lo, v71, v8
	v_add_co_ci_u32_e32 v7, vcc_lo, v72, v9, vcc_lo
	s_and_b32 vcc_lo, exec_lo, s0
	global_store_b64 v[6:7], v[2:3], off
	s_cbranch_vccnz .LBB131_139
; %bb.138:
	v_add_co_u32 v0, vcc_lo, v16, v10
	v_add_co_ci_u32_e32 v1, vcc_lo, v73, v11, vcc_lo
	flat_load_b64 v[0:1], v[0:1]
	s_waitcnt vmcnt(0) lgkmcnt(0)
	v_mul_f64 v[0:1], v[0:1], s[6:7]
.LBB131_139:
	scratch_load_b64 v[2:3], off, off offset:304
	s_waitcnt vmcnt(1)
	v_add_f64 v[4:5], v[4:5], v[0:1]
	v_add_co_u32 v8, vcc_lo, v71, v10
	v_mov_b32_e32 v0, 0
	v_dual_mov_b32 v1, 0 :: v_dual_mov_b32 v6, 0
	v_add_co_ci_u32_e32 v9, vcc_lo, v72, v11, vcc_lo
	v_mov_b32_e32 v7, 0
	s_and_b32 vcc_lo, exec_lo, s0
	global_store_b64 v[8:9], v[4:5], off
	s_cbranch_vccnz .LBB131_141
; %bb.140:
	v_add_co_u32 v4, vcc_lo, v16, v12
	v_add_co_ci_u32_e32 v5, vcc_lo, v73, v13, vcc_lo
	flat_load_b64 v[4:5], v[4:5]
	s_waitcnt vmcnt(0) lgkmcnt(0)
	v_mul_f64 v[6:7], v[4:5], s[6:7]
.LBB131_141:
	scratch_load_b64 v[4:5], off, off offset:312
	s_waitcnt vmcnt(1)
	v_add_f64 v[2:3], v[2:3], v[6:7]
	v_add_co_u32 v6, vcc_lo, v71, v12
	v_add_co_ci_u32_e32 v7, vcc_lo, v72, v13, vcc_lo
	s_and_b32 vcc_lo, exec_lo, s0
	global_store_b64 v[6:7], v[2:3], off
	s_cbranch_vccnz .LBB131_143
; %bb.142:
	v_add_co_u32 v0, vcc_lo, v16, v14
	v_add_co_ci_u32_e32 v1, vcc_lo, v73, v15, vcc_lo
	flat_load_b64 v[0:1], v[0:1]
	s_waitcnt vmcnt(0) lgkmcnt(0)
	v_mul_f64 v[0:1], v[0:1], s[6:7]
.LBB131_143:
	scratch_load_b64 v[2:3], off, off offset:320
	s_waitcnt vmcnt(1)
	v_add_f64 v[4:5], v[4:5], v[0:1]
	v_add_co_u32 v8, vcc_lo, v71, v14
	v_mov_b32_e32 v0, 0
	v_dual_mov_b32 v1, 0 :: v_dual_mov_b32 v6, 0
	v_add_co_ci_u32_e32 v9, vcc_lo, v72, v15, vcc_lo
	;; [unrolled: 33-line block ×13, first 2 shown]
	v_mov_b32_e32 v7, 0
	s_and_b32 vcc_lo, exec_lo, s0
	global_store_b64 v[8:9], v[4:5], off
	s_cbranch_vccnz .LBB131_189
; %bb.188:
	v_add_co_u32 v4, vcc_lo, v16, v61
	v_add_co_ci_u32_e32 v5, vcc_lo, v73, v62, vcc_lo
	flat_load_b64 v[4:5], v[4:5]
	s_waitcnt vmcnt(0) lgkmcnt(0)
	v_mul_f64 v[6:7], v[4:5], s[6:7]
.LBB131_189:
	scratch_load_b64 v[4:5], off, off offset:504
	s_waitcnt vmcnt(1)
	v_add_f64 v[2:3], v[2:3], v[6:7]
	v_add_co_u32 v6, vcc_lo, v71, v61
	v_add_co_ci_u32_e32 v7, vcc_lo, v72, v62, vcc_lo
	s_and_b32 vcc_lo, exec_lo, s0
	global_store_b64 v[6:7], v[2:3], off
	s_cbranch_vccnz .LBB131_191
; %bb.190:
	v_add_co_u32 v0, vcc_lo, v16, v63
	v_add_co_ci_u32_e32 v1, vcc_lo, v73, v64, vcc_lo
	flat_load_b64 v[0:1], v[0:1]
	s_waitcnt vmcnt(0) lgkmcnt(0)
	v_mul_f64 v[0:1], v[0:1], s[6:7]
.LBB131_191:
	s_waitcnt vmcnt(0)
	s_delay_alu instid0(VALU_DEP_1)
	v_add_f64 v[0:1], v[4:5], v[0:1]
	v_add_co_u32 v2, vcc_lo, v71, v63
	v_add_co_ci_u32_e32 v3, vcc_lo, v72, v64, vcc_lo
	global_store_b64 v[2:3], v[0:1], off
	s_endpgm
	.section	.rodata,"a",@progbits
	.p2align	6, 0x0
	.amdhsa_kernel _ZN12_GLOBAL__N_120geam_min_plus_kernelIdddLi4ELi64ELi128ELi128ELi4ELi64ELi4ELi4ELi64ELc78ELc78ELb0ELb0ELb0EdKPKdKPdEEviiiT16_PT17_ilS8_ilS6_S8_ilPT18_ili26rocblas_geam_ex_operation_
		.amdhsa_group_segment_fixed_size 16384
		.amdhsa_private_segment_fixed_size 528
		.amdhsa_kernarg_size 136
		.amdhsa_user_sgpr_count 14
		.amdhsa_user_sgpr_dispatch_ptr 0
		.amdhsa_user_sgpr_queue_ptr 0
		.amdhsa_user_sgpr_kernarg_segment_ptr 1
		.amdhsa_user_sgpr_dispatch_id 0
		.amdhsa_user_sgpr_private_segment_size 0
		.amdhsa_wavefront_size32 1
		.amdhsa_uses_dynamic_stack 0
		.amdhsa_enable_private_segment 1
		.amdhsa_system_sgpr_workgroup_id_x 1
		.amdhsa_system_sgpr_workgroup_id_y 0
		.amdhsa_system_sgpr_workgroup_id_z 1
		.amdhsa_system_sgpr_workgroup_info 0
		.amdhsa_system_vgpr_workitem_id 1
		.amdhsa_next_free_vgpr 254
		.amdhsa_next_free_sgpr 25
		.amdhsa_reserve_vcc 1
		.amdhsa_float_round_mode_32 0
		.amdhsa_float_round_mode_16_64 0
		.amdhsa_float_denorm_mode_32 3
		.amdhsa_float_denorm_mode_16_64 3
		.amdhsa_dx10_clamp 1
		.amdhsa_ieee_mode 1
		.amdhsa_fp16_overflow 0
		.amdhsa_workgroup_processor_mode 1
		.amdhsa_memory_ordered 1
		.amdhsa_forward_progress 0
		.amdhsa_shared_vgpr_count 0
		.amdhsa_exception_fp_ieee_invalid_op 0
		.amdhsa_exception_fp_denorm_src 0
		.amdhsa_exception_fp_ieee_div_zero 0
		.amdhsa_exception_fp_ieee_overflow 0
		.amdhsa_exception_fp_ieee_underflow 0
		.amdhsa_exception_fp_ieee_inexact 0
		.amdhsa_exception_int_div_zero 0
	.end_amdhsa_kernel
	.section	.text._ZN12_GLOBAL__N_120geam_min_plus_kernelIdddLi4ELi64ELi128ELi128ELi4ELi64ELi4ELi4ELi64ELc78ELc78ELb0ELb0ELb0EdKPKdKPdEEviiiT16_PT17_ilS8_ilS6_S8_ilPT18_ili26rocblas_geam_ex_operation_,"axG",@progbits,_ZN12_GLOBAL__N_120geam_min_plus_kernelIdddLi4ELi64ELi128ELi128ELi4ELi64ELi4ELi4ELi64ELc78ELc78ELb0ELb0ELb0EdKPKdKPdEEviiiT16_PT17_ilS8_ilS6_S8_ilPT18_ili26rocblas_geam_ex_operation_,comdat
.Lfunc_end131:
	.size	_ZN12_GLOBAL__N_120geam_min_plus_kernelIdddLi4ELi64ELi128ELi128ELi4ELi64ELi4ELi4ELi64ELc78ELc78ELb0ELb0ELb0EdKPKdKPdEEviiiT16_PT17_ilS8_ilS6_S8_ilPT18_ili26rocblas_geam_ex_operation_, .Lfunc_end131-_ZN12_GLOBAL__N_120geam_min_plus_kernelIdddLi4ELi64ELi128ELi128ELi4ELi64ELi4ELi4ELi64ELc78ELc78ELb0ELb0ELb0EdKPKdKPdEEviiiT16_PT17_ilS8_ilS6_S8_ilPT18_ili26rocblas_geam_ex_operation_
                                        ; -- End function
	.section	.AMDGPU.csdata,"",@progbits
; Kernel info:
; codeLenInByte = 43636
; NumSgprs: 27
; NumVgprs: 254
; ScratchSize: 528
; MemoryBound: 1
; FloatMode: 240
; IeeeMode: 1
; LDSByteSize: 16384 bytes/workgroup (compile time only)
; SGPRBlocks: 3
; VGPRBlocks: 31
; NumSGPRsForWavesPerEU: 27
; NumVGPRsForWavesPerEU: 254
; Occupancy: 5
; WaveLimiterHint : 1
; COMPUTE_PGM_RSRC2:SCRATCH_EN: 1
; COMPUTE_PGM_RSRC2:USER_SGPR: 14
; COMPUTE_PGM_RSRC2:TRAP_HANDLER: 0
; COMPUTE_PGM_RSRC2:TGID_X_EN: 1
; COMPUTE_PGM_RSRC2:TGID_Y_EN: 0
; COMPUTE_PGM_RSRC2:TGID_Z_EN: 1
; COMPUTE_PGM_RSRC2:TIDIG_COMP_CNT: 1
	.section	.text._ZN12_GLOBAL__N_120geam_min_plus_kernelIdddLi4ELi64ELi128ELi128ELi4ELi64ELi4ELi4ELi64ELc78ELc78ELb0ELb1ELb0EPKdKS2_KPdEEviiiT16_PT17_ilS8_ilS6_S8_ilPT18_ili26rocblas_geam_ex_operation_,"axG",@progbits,_ZN12_GLOBAL__N_120geam_min_plus_kernelIdddLi4ELi64ELi128ELi128ELi4ELi64ELi4ELi4ELi64ELc78ELc78ELb0ELb1ELb0EPKdKS2_KPdEEviiiT16_PT17_ilS8_ilS6_S8_ilPT18_ili26rocblas_geam_ex_operation_,comdat
	.globl	_ZN12_GLOBAL__N_120geam_min_plus_kernelIdddLi4ELi64ELi128ELi128ELi4ELi64ELi4ELi4ELi64ELc78ELc78ELb0ELb1ELb0EPKdKS2_KPdEEviiiT16_PT17_ilS8_ilS6_S8_ilPT18_ili26rocblas_geam_ex_operation_ ; -- Begin function _ZN12_GLOBAL__N_120geam_min_plus_kernelIdddLi4ELi64ELi128ELi128ELi4ELi64ELi4ELi4ELi64ELc78ELc78ELb0ELb1ELb0EPKdKS2_KPdEEviiiT16_PT17_ilS8_ilS6_S8_ilPT18_ili26rocblas_geam_ex_operation_
	.p2align	8
	.type	_ZN12_GLOBAL__N_120geam_min_plus_kernelIdddLi4ELi64ELi128ELi128ELi4ELi64ELi4ELi4ELi64ELc78ELc78ELb0ELb1ELb0EPKdKS2_KPdEEviiiT16_PT17_ilS8_ilS6_S8_ilPT18_ili26rocblas_geam_ex_operation_,@function
_ZN12_GLOBAL__N_120geam_min_plus_kernelIdddLi4ELi64ELi128ELi128ELi4ELi64ELi4ELi4ELi64ELc78ELc78ELb0ELb1ELb0EPKdKS2_KPdEEviiiT16_PT17_ilS8_ilS6_S8_ilPT18_ili26rocblas_geam_ex_operation_: ; @_ZN12_GLOBAL__N_120geam_min_plus_kernelIdddLi4ELi64ELi128ELi128ELi4ELi64ELi4ELi4ELi64ELc78ELc78ELb0ELb1ELb0EPKdKS2_KPdEEviiiT16_PT17_ilS8_ilS6_S8_ilPT18_ili26rocblas_geam_ex_operation_
; %bb.0:
	s_clause 0x1
	s_load_b128 s[16:19], s[0:1], 0x10
	s_load_b128 s[4:7], s[0:1], 0x28
	s_mov_b32 s2, s15
	s_mov_b32 s3, 0
	s_delay_alu instid0(SALU_CYCLE_1)
	s_lshl_b64 s[2:3], s[2:3], 3
	s_waitcnt lgkmcnt(0)
	s_add_u32 s8, s16, s2
	s_addc_u32 s9, s17, s3
	s_load_b64 s[12:13], s[8:9], 0x0
	s_clause 0x1
	s_load_b128 s[8:11], s[0:1], 0x40
	s_load_b64 s[20:21], s[0:1], 0x50
	s_waitcnt lgkmcnt(0)
	s_add_u32 s22, s10, s2
	v_cmp_eq_f64_e64 s16, s[12:13], 0
	v_cmp_neq_f64_e64 s15, s[12:13], 0
	s_addc_u32 s23, s11, s3
	s_mov_b64 s[10:11], 0
	s_delay_alu instid0(VALU_DEP_2)
	s_and_b32 vcc_lo, exec_lo, s16
	s_mov_b64 s[16:17], 0
	s_cbranch_vccnz .LBB132_2
; %bb.1:
	s_add_u32 s16, s18, s2
	s_addc_u32 s17, s19, s3
	s_lshl_b64 s[4:5], s[4:5], 3
	s_load_b64 s[16:17], s[16:17], 0x0
	s_waitcnt lgkmcnt(0)
	s_add_u32 s16, s16, s4
	s_addc_u32 s17, s17, s5
.LBB132_2:
	s_load_b64 s[34:35], s[22:23], 0x0
	s_delay_alu instid0(VALU_DEP_1)
	s_and_not1_b32 vcc_lo, exec_lo, s15
	s_cbranch_vccnz .LBB132_4
; %bb.3:
	s_add_u32 s4, s6, s2
	s_addc_u32 s5, s7, s3
	s_lshl_b64 s[6:7], s[8:9], 3
	s_load_b64 s[4:5], s[4:5], 0x0
	s_waitcnt lgkmcnt(0)
	s_add_u32 s10, s4, s6
	s_addc_u32 s11, s5, s7
.LBB132_4:
	s_waitcnt lgkmcnt(0)
	v_cmp_eq_f64_e64 s8, s[34:35], 0
	v_cmp_neq_f64_e64 s42, s[34:35], 0
	s_load_b128 s[4:7], s[0:1], 0x60
	s_mov_b64 s[40:41], 0
	s_delay_alu instid0(VALU_DEP_2)
	s_and_b32 vcc_lo, exec_lo, s8
	s_cbranch_vccnz .LBB132_6
; %bb.5:
	s_add_u32 s8, s20, s2
	s_addc_u32 s9, s21, s3
	s_waitcnt lgkmcnt(0)
	s_lshl_b64 s[4:5], s[4:5], 3
	s_load_b64 s[8:9], s[8:9], 0x0
	s_waitcnt lgkmcnt(0)
	s_add_u32 s40, s8, s4
	s_addc_u32 s41, s9, s5
.LBB132_6:
	s_clause 0x1
	s_load_b128 s[36:39], s[0:1], 0x0
	s_load_b32 s18, s[0:1], 0x20
	s_waitcnt lgkmcnt(0)
	s_add_u32 s2, s6, s2
	s_addc_u32 s3, s7, s3
	s_mov_b32 s4, 0
	s_load_b64 s[8:9], s[2:3], 0x0
	s_mov_b32 s5, s4
	v_and_b32_e32 v82, 0x3ff, v0
	v_bfe_u32 v83, v0, 10, 10
	v_dual_mov_b32 v4, s4 :: v_dual_mov_b32 v5, s5
	v_cmp_eq_f64_e64 s19, s[12:13], 0
	s_delay_alu instid0(VALU_DEP_3) | instskip(NEXT) | instid1(VALU_DEP_1)
	v_lshl_add_u32 v6, v83, 2, v82
	v_lshrrev_b32_e32 v84, 6, v6
	s_add_i32 s2, s36, -1
	s_delay_alu instid0(SALU_CYCLE_1) | instskip(NEXT) | instid1(VALU_DEP_1)
	s_ashr_i32 s3, s2, 31
	v_cmp_le_i32_e32 vcc_lo, s38, v84
	s_lshr_b32 s3, s3, 25
	s_delay_alu instid0(SALU_CYCLE_1) | instskip(NEXT) | instid1(SALU_CYCLE_1)
	s_add_i32 s2, s2, s3
	s_ashr_i32 s2, s2, 7
	s_delay_alu instid0(SALU_CYCLE_1) | instskip(SKIP_2) | instid1(VALU_DEP_1)
	s_add_i32 s3, s2, 1
	s_not_b32 s2, s2
	v_cvt_f32_u32_e32 v0, s3
	v_rcp_iflag_f32_e32 v0, v0
	s_waitcnt_depctr 0xfff
	v_mul_f32_e32 v0, 0x4f7ffffe, v0
	s_delay_alu instid0(VALU_DEP_1) | instskip(NEXT) | instid1(VALU_DEP_1)
	v_cvt_u32_f32_e32 v0, v0
	v_readfirstlane_b32 s4, v0
	s_delay_alu instid0(VALU_DEP_1) | instskip(NEXT) | instid1(SALU_CYCLE_1)
	s_mul_i32 s2, s2, s4
	s_mul_hi_u32 s2, s4, s2
	s_delay_alu instid0(SALU_CYCLE_1) | instskip(NEXT) | instid1(SALU_CYCLE_1)
	s_add_i32 s4, s4, s2
	s_mul_hi_u32 s2, s14, s4
	s_delay_alu instid0(SALU_CYCLE_1) | instskip(SKIP_2) | instid1(SALU_CYCLE_1)
	s_mul_i32 s4, s2, s3
	s_add_i32 s5, s2, 1
	s_sub_i32 s4, s14, s4
	s_sub_i32 s6, s4, s3
	s_cmp_ge_u32 s4, s3
	s_cselect_b32 s2, s5, s2
	s_cselect_b32 s4, s6, s4
	s_add_i32 s5, s2, 1
	s_cmp_ge_u32 s4, s3
	s_cselect_b32 s4, s5, s2
	s_add_i32 s20, s38, -1
	s_mul_i32 s2, s4, s3
	v_min_i32_e32 v2, s20, v84
	s_sub_i32 s2, s14, s2
	s_delay_alu instid0(SALU_CYCLE_1) | instskip(NEXT) | instid1(VALU_DEP_1)
	s_lshl_b32 s14, s2, 7
	v_mad_i64_i32 v[0:1], null, s18, v2, 0
	s_delay_alu instid0(VALU_DEP_1)
	v_lshlrev_b64 v[2:3], 3, v[0:1]
	v_mov_b32_e32 v0, 0
	v_dual_mov_b32 v1, 0 :: v_dual_and_b32 v78, 63, v6
	s_clause 0xb
	scratch_store_b64 off, v[4:5], off
	scratch_store_b64 off, v[4:5], off offset:8
	scratch_store_b64 off, v[4:5], off offset:16
	;; [unrolled: 1-line block ×11, first 2 shown]
	v_add_co_u32 v7, s3, s16, v2
	s_delay_alu instid0(VALU_DEP_1)
	v_add_co_ci_u32_e64 v8, s3, s17, v3, s3
	v_mov_b32_e32 v3, v1
	v_or_b32_e32 v68, s14, v78
	v_mov_b32_e32 v2, v0
	s_clause 0x5
	scratch_store_b64 off, v[4:5], off offset:96
	scratch_store_b64 off, v[4:5], off offset:104
	;; [unrolled: 1-line block ×6, first 2 shown]
	v_cmp_le_i32_e64 s2, s36, v68
	v_ashrrev_i32_e32 v69, 31, v68
	s_clause 0x10
	scratch_store_b64 off, v[4:5], off offset:144
	scratch_store_b64 off, v[4:5], off offset:152
	;; [unrolled: 1-line block ×17, first 2 shown]
	s_or_b32 s3, s2, vcc_lo
	s_clause 0x1
	scratch_store_b64 off, v[4:5], off offset:280
	scratch_store_b64 off, v[4:5], off offset:288
	s_or_b32 s3, s19, s3
	s_clause 0x3
	scratch_store_b64 off, v[4:5], off offset:296
	scratch_store_b64 off, v[4:5], off offset:304
	;; [unrolled: 1-line block ×4, first 2 shown]
	s_xor_b32 s3, s3, -1
	s_clause 0x16
	scratch_store_b64 off, v[4:5], off offset:328
	scratch_store_b64 off, v[4:5], off offset:336
	;; [unrolled: 1-line block ×23, first 2 shown]
	s_and_saveexec_b32 s5, s3
	s_cbranch_execz .LBB132_8
; %bb.7:
	v_lshlrev_b64 v[2:3], 3, v[68:69]
	s_delay_alu instid0(VALU_DEP_1) | instskip(NEXT) | instid1(VALU_DEP_1)
	v_add_co_u32 v2, s3, v7, v2
	v_add_co_ci_u32_e64 v3, s3, v8, v3, s3
	flat_load_b64 v[2:3], v[2:3]
	s_waitcnt vmcnt(0) lgkmcnt(0)
	v_mul_f64 v[2:3], s[12:13], v[2:3]
.LBB132_8:
	s_or_b32 exec_lo, exec_lo, s5
	v_or_b32_e32 v4, 64, v68
	s_delay_alu instid0(VALU_DEP_1) | instskip(SKIP_1) | instid1(VALU_DEP_2)
	v_cmp_le_i32_e64 s3, s36, v4
	v_dual_mov_b32 v5, v1 :: v_dual_mov_b32 v4, v0
	s_or_b32 s5, s3, vcc_lo
	s_delay_alu instid0(SALU_CYCLE_1) | instskip(NEXT) | instid1(SALU_CYCLE_1)
	s_or_b32 s5, s19, s5
	s_xor_b32 s6, s5, -1
	s_delay_alu instid0(SALU_CYCLE_1)
	s_and_saveexec_b32 s5, s6
	s_cbranch_execz .LBB132_10
; %bb.9:
	v_lshlrev_b64 v[4:5], 3, v[68:69]
	s_delay_alu instid0(VALU_DEP_1) | instskip(NEXT) | instid1(VALU_DEP_2)
	v_add_co_u32 v4, vcc_lo, v7, v4
	v_add_co_ci_u32_e32 v5, vcc_lo, v8, v5, vcc_lo
	flat_load_b64 v[4:5], v[4:5] offset:512
	s_waitcnt vmcnt(0) lgkmcnt(0)
	v_mul_f64 v[4:5], s[12:13], v[4:5]
.LBB132_10:
	s_or_b32 exec_lo, exec_lo, s5
	v_and_b32_e32 v85, 3, v82
	v_lshrrev_b32_e32 v8, 2, v6
	s_load_b32 s22, s[0:1], 0x38
	s_lshl_b32 s15, s4, 7
	s_delay_alu instid0(VALU_DEP_2) | instskip(NEXT) | instid1(VALU_DEP_2)
	v_min_i32_e32 v6, s20, v85
	v_add_nc_u32_e32 v79, s15, v8
	v_cmp_le_i32_e32 vcc_lo, s38, v85
	s_delay_alu instid0(VALU_DEP_3) | instskip(NEXT) | instid1(VALU_DEP_3)
	v_ashrrev_i32_e32 v7, 31, v6
	v_cmp_le_i32_e64 s4, s37, v79
	s_delay_alu instid0(VALU_DEP_2) | instskip(NEXT) | instid1(VALU_DEP_2)
	v_lshlrev_b64 v[6:7], 3, v[6:7]
	s_or_b32 s6, vcc_lo, s4
	s_delay_alu instid0(VALU_DEP_1) | instskip(NEXT) | instid1(VALU_DEP_1)
	v_add_co_u32 v9, s5, s10, v6
	v_add_co_ci_u32_e64 v10, s5, s11, v7, s5
	s_or_b32 s5, s19, s6
	s_delay_alu instid0(SALU_CYCLE_1) | instskip(NEXT) | instid1(SALU_CYCLE_1)
	s_xor_b32 s5, s5, -1
	s_and_saveexec_b32 s6, s5
	s_cbranch_execz .LBB132_12
; %bb.11:
	s_waitcnt lgkmcnt(0)
	v_mad_i64_i32 v[0:1], null, v79, s22, 0
	s_delay_alu instid0(VALU_DEP_1) | instskip(NEXT) | instid1(VALU_DEP_1)
	v_lshlrev_b64 v[0:1], 3, v[0:1]
	v_add_co_u32 v0, s5, v9, v0
	s_delay_alu instid0(VALU_DEP_1)
	v_add_co_ci_u32_e64 v1, s5, v10, v1, s5
	flat_load_b64 v[0:1], v[0:1]
	s_waitcnt vmcnt(0) lgkmcnt(0)
	v_mul_f64 v[0:1], s[12:13], v[0:1]
.LBB132_12:
	s_or_b32 exec_lo, exec_lo, s6
	v_add_nc_u32_e32 v80, 64, v79
	v_mov_b32_e32 v70, 0
	v_mov_b32_e32 v71, 0
	s_delay_alu instid0(VALU_DEP_2) | instskip(NEXT) | instid1(VALU_DEP_4)
	v_mov_b32_e32 v6, v70
	v_cmp_le_i32_e64 s5, s37, v80
	s_delay_alu instid0(VALU_DEP_3) | instskip(NEXT) | instid1(VALU_DEP_2)
	v_mov_b32_e32 v7, v71
	s_or_b32 s6, vcc_lo, s5
	s_delay_alu instid0(SALU_CYCLE_1) | instskip(NEXT) | instid1(SALU_CYCLE_1)
	s_or_b32 s6, s19, s6
	s_xor_b32 s7, s6, -1
	s_delay_alu instid0(SALU_CYCLE_1)
	s_and_saveexec_b32 s6, s7
	s_cbranch_execz .LBB132_14
; %bb.13:
	s_waitcnt lgkmcnt(0)
	v_mad_i64_i32 v[6:7], null, v80, s22, 0
	s_delay_alu instid0(VALU_DEP_1) | instskip(NEXT) | instid1(VALU_DEP_1)
	v_lshlrev_b64 v[6:7], 3, v[6:7]
	v_add_co_u32 v6, vcc_lo, v9, v6
	s_delay_alu instid0(VALU_DEP_2)
	v_add_co_ci_u32_e32 v7, vcc_lo, v10, v7, vcc_lo
	flat_load_b64 v[6:7], v[6:7]
	s_waitcnt vmcnt(0) lgkmcnt(0)
	v_mul_f64 v[6:7], s[12:13], v[6:7]
.LBB132_14:
	s_or_b32 exec_lo, exec_lo, s6
	v_add_nc_u32_e32 v11, 4, v84
	s_delay_alu instid0(VALU_DEP_1) | instskip(SKIP_1) | instid1(VALU_DEP_2)
	v_min_i32_e32 v12, s20, v11
	v_cmp_le_i32_e32 vcc_lo, s38, v11
	v_mad_i64_i32 v[9:10], null, s18, v12, 0
	s_or_b32 s7, s2, vcc_lo
	s_delay_alu instid0(VALU_DEP_1) | instskip(NEXT) | instid1(VALU_DEP_1)
	v_lshlrev_b64 v[9:10], 3, v[9:10]
	v_add_co_u32 v9, s6, s16, v9
	s_delay_alu instid0(VALU_DEP_1) | instskip(SKIP_1) | instid1(SALU_CYCLE_1)
	v_add_co_ci_u32_e64 v10, s6, s17, v10, s6
	s_or_b32 s6, s19, s7
	s_xor_b32 s6, s6, -1
	s_delay_alu instid0(SALU_CYCLE_1)
	s_and_saveexec_b32 s7, s6
	s_cbranch_execz .LBB132_16
; %bb.15:
	v_lshlrev_b64 v[11:12], 3, v[68:69]
	s_delay_alu instid0(VALU_DEP_1) | instskip(NEXT) | instid1(VALU_DEP_1)
	v_add_co_u32 v11, s6, v9, v11
	v_add_co_ci_u32_e64 v12, s6, v10, v12, s6
	flat_load_b64 v[11:12], v[11:12]
	s_waitcnt vmcnt(0) lgkmcnt(0)
	v_mul_f64 v[70:71], s[12:13], v[11:12]
.LBB132_16:
	s_or_b32 exec_lo, exec_lo, s7
	v_mov_b32_e32 v74, 0
	v_mov_b32_e32 v75, 0
	s_or_b32 s6, s3, vcc_lo
	s_delay_alu instid0(VALU_DEP_2) | instskip(SKIP_1) | instid1(VALU_DEP_2)
	v_mov_b32_e32 v72, v74
	s_or_b32 s6, s19, s6
	v_mov_b32_e32 v73, v75
	s_xor_b32 s7, s6, -1
	s_delay_alu instid0(SALU_CYCLE_1)
	s_and_saveexec_b32 s6, s7
	s_cbranch_execz .LBB132_18
; %bb.17:
	v_lshlrev_b64 v[11:12], 3, v[68:69]
	s_delay_alu instid0(VALU_DEP_1) | instskip(NEXT) | instid1(VALU_DEP_2)
	v_add_co_u32 v9, vcc_lo, v9, v11
	v_add_co_ci_u32_e32 v10, vcc_lo, v10, v12, vcc_lo
	flat_load_b64 v[9:10], v[9:10] offset:512
	s_waitcnt vmcnt(0) lgkmcnt(0)
	v_mul_f64 v[72:73], s[12:13], v[9:10]
.LBB132_18:
	s_or_b32 exec_lo, exec_lo, s6
	v_or_b32_e32 v11, 4, v85
	s_delay_alu instid0(VALU_DEP_1) | instskip(SKIP_1) | instid1(VALU_DEP_2)
	v_min_i32_e32 v9, s20, v11
	v_cmp_le_i32_e32 vcc_lo, s38, v11
	v_ashrrev_i32_e32 v10, 31, v9
	s_or_b32 s7, vcc_lo, s4
	s_delay_alu instid0(VALU_DEP_1) | instskip(NEXT) | instid1(VALU_DEP_1)
	v_lshlrev_b64 v[9:10], 3, v[9:10]
	v_add_co_u32 v9, s6, s10, v9
	s_delay_alu instid0(VALU_DEP_1) | instskip(SKIP_1) | instid1(SALU_CYCLE_1)
	v_add_co_ci_u32_e64 v10, s6, s11, v10, s6
	s_or_b32 s6, s19, s7
	s_xor_b32 s6, s6, -1
	s_delay_alu instid0(SALU_CYCLE_1)
	s_and_saveexec_b32 s7, s6
	s_cbranch_execz .LBB132_20
; %bb.19:
	s_waitcnt lgkmcnt(0)
	v_mad_i64_i32 v[11:12], null, v79, s22, 0
	s_delay_alu instid0(VALU_DEP_1) | instskip(NEXT) | instid1(VALU_DEP_1)
	v_lshlrev_b64 v[11:12], 3, v[11:12]
	v_add_co_u32 v11, s6, v9, v11
	s_delay_alu instid0(VALU_DEP_1)
	v_add_co_ci_u32_e64 v12, s6, v10, v12, s6
	flat_load_b64 v[11:12], v[11:12]
	s_waitcnt vmcnt(0) lgkmcnt(0)
	v_mul_f64 v[74:75], s[12:13], v[11:12]
.LBB132_20:
	s_or_b32 exec_lo, exec_lo, s7
	s_or_b32 s6, vcc_lo, s5
	v_mov_b32_e32 v76, 0
	v_mov_b32_e32 v77, 0
	s_or_b32 s6, s19, s6
	s_delay_alu instid0(SALU_CYCLE_1) | instskip(NEXT) | instid1(SALU_CYCLE_1)
	s_xor_b32 s7, s6, -1
	s_and_saveexec_b32 s6, s7
	s_cbranch_execz .LBB132_22
; %bb.21:
	s_waitcnt lgkmcnt(0)
	v_mad_i64_i32 v[11:12], null, v80, s22, 0
	s_delay_alu instid0(VALU_DEP_1) | instskip(NEXT) | instid1(VALU_DEP_1)
	v_lshlrev_b64 v[11:12], 3, v[11:12]
	v_add_co_u32 v9, vcc_lo, v9, v11
	s_delay_alu instid0(VALU_DEP_2)
	v_add_co_ci_u32_e32 v10, vcc_lo, v10, v12, vcc_lo
	flat_load_b64 v[9:10], v[9:10]
	s_waitcnt vmcnt(0) lgkmcnt(0)
	v_mul_f64 v[76:77], s[12:13], v[9:10]
.LBB132_22:
	s_or_b32 exec_lo, exec_lo, s6
	v_dual_mov_b32 v92, 8 :: v_dual_lshlrev_b32 v9, 3, v84
	v_dual_mov_b32 v91, 0 :: v_dual_lshlrev_b32 v10, 3, v85
	;; [unrolled: 1-line block ×3, first 2 shown]
	s_delay_alu instid0(VALU_DEP_3) | instskip(NEXT) | instid1(VALU_DEP_3)
	v_lshl_add_u32 v87, v78, 5, v9
	v_lshl_or_b32 v81, v8, 5, v10
	s_delay_alu instid0(VALU_DEP_3)
	v_dual_mov_b32 v95, 32 :: v_dual_add_nc_u32 v48, 0x800, v86
	v_dual_mov_b32 v97, 48 :: v_dual_lshlrev_b32 v88, 5, v83
	ds_store_2addr_stride64_b64 v87, v[2:3], v[4:5] offset1:4
	ds_store_2addr_stride64_b64 v81, v[0:1], v[6:7] offset0:16 offset1:20
	s_waitcnt lgkmcnt(0)
	s_waitcnt_vscnt null, 0x0
	s_barrier
	buffer_gl0_inv
	ds_load_2addr_b64 v[0:3], v86 offset1:16
	ds_load_2addr_b64 v[4:7], v86 offset0:32 offset1:48
	ds_load_2addr_b64 v[8:11], v86 offset0:64 offset1:80
	;; [unrolled: 1-line block ×4, first 2 shown]
	ds_load_2addr_b64 v[20:23], v48 offset1:16
	ds_load_2addr_b64 v[24:27], v48 offset0:32 offset1:48
	ds_load_2addr_b64 v[28:31], v48 offset0:64 offset1:80
	;; [unrolled: 1-line block ×10, first 2 shown]
	ds_load_2addr_stride64_b64 v[64:67], v88 offset0:16 offset1:20
	v_dual_mov_b32 v94, 24 :: v_dual_add_nc_u32 v89, 0x2000, v81
	v_dual_mov_b32 v99, 64 :: v_dual_add_nc_u32 v90, 0x2000, v88
	v_dual_mov_b32 v96, 40 :: v_dual_mov_b32 v101, 0x50
	v_dual_mov_b32 v98, 56 :: v_dual_mov_b32 v103, 0x60
	v_mov_b32_e32 v100, 0x48
	v_mov_b32_e32 v102, 0x58
	;; [unrolled: 1-line block ×21, first 2 shown]
	s_mov_b64 s[6:7], 0
	s_mov_b32 s21, -1
.LBB132_23:                             ; =>This Inner Loop Header: Depth=1
	scratch_load_b64 v[123:124], v91, off
	scratch_load_b64 v[125:126], v92, off
	;; [unrolled: 1-line block ×32, first 2 shown]
	s_cmp_eq_u32 s6, 1
	s_waitcnt lgkmcnt(16)
	v_max_f64 v[189:190], v[0:1], v[0:1]
	s_cselect_b32 vcc_lo, -1, 0
	v_max_f64 v[191:192], v[2:3], v[2:3]
	s_waitcnt lgkmcnt(0)
	v_dual_cndmask_b32 v188, v65, v67 :: v_dual_cndmask_b32 v187, v64, v66
	v_max_f64 v[193:194], v[4:5], v[4:5]
	v_max_f64 v[195:196], v[6:7], v[6:7]
	;; [unrolled: 1-line block ×31, first 2 shown]
	s_mov_b64 s[6:7], 1
	s_and_b32 vcc_lo, exec_lo, s21
	s_mov_b32 s21, 0
	v_min_f64 v[189:190], v[189:190], v[187:188]
	v_min_f64 v[191:192], v[191:192], v[187:188]
	;; [unrolled: 1-line block ×32, first 2 shown]
	s_waitcnt vmcnt(31)
	v_add_f64 v[123:124], v[123:124], v[189:190]
	s_waitcnt vmcnt(30)
	v_add_f64 v[125:126], v[191:192], v[125:126]
	;; [unrolled: 2-line block ×32, first 2 shown]
	scratch_store_b64 v91, v[123:124], off
	scratch_store_b64 v92, v[125:126], off
	;; [unrolled: 1-line block ×32, first 2 shown]
	v_mov_b32_e32 v91, 0x100
	v_mov_b32_e32 v92, 0x108
	v_mov_b32_e32 v93, 0x110
	v_mov_b32_e32 v94, 0x118
	v_mov_b32_e32 v95, 0x120
	v_mov_b32_e32 v96, 0x128
	v_mov_b32_e32 v97, 0x130
	v_mov_b32_e32 v98, 0x138
	v_mov_b32_e32 v99, 0x140
	v_mov_b32_e32 v100, 0x148
	v_mov_b32_e32 v101, 0x150
	v_mov_b32_e32 v102, 0x158
	v_mov_b32_e32 v103, 0x160
	v_mov_b32_e32 v104, 0x168
	v_mov_b32_e32 v105, 0x170
	v_mov_b32_e32 v106, 0x178
	v_mov_b32_e32 v107, 0x180
	v_mov_b32_e32 v108, 0x188
	v_mov_b32_e32 v109, 0x190
	v_mov_b32_e32 v110, 0x198
	v_mov_b32_e32 v111, 0x1a0
	v_mov_b32_e32 v112, 0x1a8
	v_mov_b32_e32 v113, 0x1b0
	v_mov_b32_e32 v114, 0x1b8
	v_mov_b32_e32 v115, 0x1c0
	v_mov_b32_e32 v116, 0x1c8
	v_mov_b32_e32 v117, 0x1d0
	v_mov_b32_e32 v118, 0x1d8
	v_mov_b32_e32 v119, 0x1e0
	v_mov_b32_e32 v120, 0x1e8
	v_mov_b32_e32 v121, 0x1f0
	v_mov_b32_e32 v122, 0x1f8
	s_cbranch_vccnz .LBB132_23
; %bb.24:
	v_dual_mov_b32 v91, 0 :: v_dual_add_nc_u32 v60, 0x800, v86
	ds_load_2addr_b64 v[0:3], v86 offset0:1 offset1:17
	ds_load_2addr_b64 v[4:7], v86 offset0:33 offset1:49
	;; [unrolled: 1-line block ×12, first 2 shown]
	v_dual_mov_b32 v93, 16 :: v_dual_add_nc_u32 v64, 8, v90
	ds_load_2addr_b64 v[48:51], v60 offset0:129 offset1:145
	ds_load_2addr_b64 v[52:55], v60 offset0:161 offset1:177
	;; [unrolled: 1-line block ×4, first 2 shown]
	ds_load_2addr_stride64_b64 v[64:67], v64 offset1:4
	v_dual_mov_b32 v92, 8 :: v_dual_mov_b32 v95, 32
	v_dual_mov_b32 v94, 24 :: v_dual_mov_b32 v97, 48
	;; [unrolled: 1-line block ×4, first 2 shown]
	v_mov_b32_e32 v100, 0x48
	v_mov_b32_e32 v102, 0x58
	;; [unrolled: 1-line block ×22, first 2 shown]
	s_mov_b64 s[6:7], 0
	s_mov_b32 s21, -1
.LBB132_25:                             ; =>This Inner Loop Header: Depth=1
	scratch_load_b64 v[123:124], v91, off
	scratch_load_b64 v[125:126], v92, off
	;; [unrolled: 1-line block ×32, first 2 shown]
	s_cmp_eq_u32 s6, 1
	s_waitcnt lgkmcnt(16)
	v_max_f64 v[189:190], v[0:1], v[0:1]
	s_cselect_b32 vcc_lo, -1, 0
	v_max_f64 v[191:192], v[2:3], v[2:3]
	s_waitcnt lgkmcnt(0)
	v_dual_cndmask_b32 v188, v65, v67 :: v_dual_cndmask_b32 v187, v64, v66
	v_max_f64 v[193:194], v[4:5], v[4:5]
	v_max_f64 v[195:196], v[6:7], v[6:7]
	;; [unrolled: 1-line block ×31, first 2 shown]
	s_mov_b64 s[6:7], 1
	s_and_b32 vcc_lo, exec_lo, s21
	s_mov_b32 s21, 0
	v_min_f64 v[189:190], v[189:190], v[187:188]
	v_min_f64 v[191:192], v[191:192], v[187:188]
	;; [unrolled: 1-line block ×32, first 2 shown]
	s_waitcnt vmcnt(31)
	v_add_f64 v[123:124], v[123:124], v[189:190]
	s_waitcnt vmcnt(30)
	v_add_f64 v[125:126], v[191:192], v[125:126]
	;; [unrolled: 2-line block ×32, first 2 shown]
	scratch_store_b64 v91, v[123:124], off
	scratch_store_b64 v92, v[125:126], off
	;; [unrolled: 1-line block ×32, first 2 shown]
	v_mov_b32_e32 v91, 0x100
	v_mov_b32_e32 v92, 0x108
	;; [unrolled: 1-line block ×32, first 2 shown]
	s_cbranch_vccnz .LBB132_25
; %bb.26:
	v_dual_mov_b32 v91, 0 :: v_dual_add_nc_u32 v60, 0x800, v86
	ds_load_2addr_b64 v[0:3], v86 offset0:2 offset1:18
	ds_load_2addr_b64 v[4:7], v86 offset0:34 offset1:50
	;; [unrolled: 1-line block ×12, first 2 shown]
	v_dual_mov_b32 v93, 16 :: v_dual_add_nc_u32 v64, 16, v90
	ds_load_2addr_b64 v[48:51], v60 offset0:130 offset1:146
	ds_load_2addr_b64 v[52:55], v60 offset0:162 offset1:178
	;; [unrolled: 1-line block ×4, first 2 shown]
	ds_load_2addr_stride64_b64 v[64:67], v64 offset1:4
	v_dual_mov_b32 v92, 8 :: v_dual_mov_b32 v95, 32
	v_dual_mov_b32 v94, 24 :: v_dual_mov_b32 v97, 48
	;; [unrolled: 1-line block ×4, first 2 shown]
	v_mov_b32_e32 v100, 0x48
	v_mov_b32_e32 v102, 0x58
	v_mov_b32_e32 v103, 0x60
	v_mov_b32_e32 v104, 0x68
	v_mov_b32_e32 v105, 0x70
	v_mov_b32_e32 v106, 0x78
	v_mov_b32_e32 v107, 0x80
	v_mov_b32_e32 v108, 0x88
	v_mov_b32_e32 v109, 0x90
	v_mov_b32_e32 v110, 0x98
	v_mov_b32_e32 v111, 0xa0
	v_mov_b32_e32 v112, 0xa8
	v_mov_b32_e32 v113, 0xb0
	v_mov_b32_e32 v114, 0xb8
	v_mov_b32_e32 v115, 0xc0
	v_mov_b32_e32 v116, 0xc8
	v_mov_b32_e32 v117, 0xd0
	v_mov_b32_e32 v118, 0xd8
	v_mov_b32_e32 v119, 0xe0
	v_mov_b32_e32 v120, 0xe8
	v_mov_b32_e32 v121, 0xf0
	v_mov_b32_e32 v122, 0xf8
	s_mov_b64 s[6:7], 0
	s_mov_b32 s21, -1
.LBB132_27:                             ; =>This Inner Loop Header: Depth=1
	scratch_load_b64 v[123:124], v91, off
	scratch_load_b64 v[125:126], v92, off
	;; [unrolled: 1-line block ×32, first 2 shown]
	s_cmp_eq_u32 s6, 1
	s_waitcnt lgkmcnt(16)
	v_max_f64 v[189:190], v[0:1], v[0:1]
	s_cselect_b32 vcc_lo, -1, 0
	v_max_f64 v[191:192], v[2:3], v[2:3]
	s_waitcnt lgkmcnt(0)
	v_dual_cndmask_b32 v188, v65, v67 :: v_dual_cndmask_b32 v187, v64, v66
	v_max_f64 v[193:194], v[4:5], v[4:5]
	v_max_f64 v[195:196], v[6:7], v[6:7]
	;; [unrolled: 1-line block ×31, first 2 shown]
	s_mov_b64 s[6:7], 1
	s_and_b32 vcc_lo, exec_lo, s21
	s_mov_b32 s21, 0
	v_min_f64 v[189:190], v[189:190], v[187:188]
	v_min_f64 v[191:192], v[191:192], v[187:188]
	v_min_f64 v[193:194], v[193:194], v[187:188]
	v_min_f64 v[195:196], v[195:196], v[187:188]
	v_min_f64 v[197:198], v[197:198], v[187:188]
	v_min_f64 v[199:200], v[199:200], v[187:188]
	v_min_f64 v[201:202], v[201:202], v[187:188]
	v_min_f64 v[203:204], v[203:204], v[187:188]
	v_min_f64 v[205:206], v[205:206], v[187:188]
	v_min_f64 v[207:208], v[207:208], v[187:188]
	v_min_f64 v[209:210], v[209:210], v[187:188]
	v_min_f64 v[211:212], v[211:212], v[187:188]
	v_min_f64 v[213:214], v[213:214], v[187:188]
	v_min_f64 v[215:216], v[215:216], v[187:188]
	v_min_f64 v[217:218], v[217:218], v[187:188]
	v_min_f64 v[219:220], v[219:220], v[187:188]
	v_min_f64 v[221:222], v[221:222], v[187:188]
	v_min_f64 v[223:224], v[223:224], v[187:188]
	v_min_f64 v[225:226], v[225:226], v[187:188]
	v_min_f64 v[227:228], v[227:228], v[187:188]
	v_min_f64 v[229:230], v[229:230], v[187:188]
	v_min_f64 v[231:232], v[231:232], v[187:188]
	v_min_f64 v[233:234], v[233:234], v[187:188]
	v_min_f64 v[235:236], v[235:236], v[187:188]
	v_min_f64 v[237:238], v[237:238], v[187:188]
	v_min_f64 v[239:240], v[239:240], v[187:188]
	v_min_f64 v[241:242], v[241:242], v[187:188]
	v_min_f64 v[243:244], v[243:244], v[187:188]
	v_min_f64 v[245:246], v[245:246], v[187:188]
	v_min_f64 v[247:248], v[247:248], v[187:188]
	v_min_f64 v[249:250], v[249:250], v[187:188]
	v_min_f64 v[187:188], v[251:252], v[187:188]
	s_waitcnt vmcnt(31)
	v_add_f64 v[123:124], v[123:124], v[189:190]
	s_waitcnt vmcnt(30)
	v_add_f64 v[125:126], v[191:192], v[125:126]
	s_waitcnt vmcnt(29)
	v_add_f64 v[127:128], v[193:194], v[127:128]
	s_waitcnt vmcnt(28)
	v_add_f64 v[129:130], v[195:196], v[129:130]
	s_waitcnt vmcnt(27)
	v_add_f64 v[131:132], v[197:198], v[131:132]
	s_waitcnt vmcnt(26)
	v_add_f64 v[133:134], v[199:200], v[133:134]
	s_waitcnt vmcnt(25)
	v_add_f64 v[135:136], v[201:202], v[135:136]
	s_waitcnt vmcnt(24)
	v_add_f64 v[137:138], v[203:204], v[137:138]
	s_waitcnt vmcnt(23)
	v_add_f64 v[139:140], v[205:206], v[139:140]
	s_waitcnt vmcnt(22)
	v_add_f64 v[141:142], v[207:208], v[141:142]
	s_waitcnt vmcnt(21)
	v_add_f64 v[143:144], v[209:210], v[143:144]
	s_waitcnt vmcnt(20)
	v_add_f64 v[145:146], v[211:212], v[145:146]
	s_waitcnt vmcnt(19)
	v_add_f64 v[147:148], v[213:214], v[147:148]
	s_waitcnt vmcnt(18)
	v_add_f64 v[149:150], v[215:216], v[149:150]
	s_waitcnt vmcnt(17)
	v_add_f64 v[151:152], v[217:218], v[151:152]
	s_waitcnt vmcnt(16)
	v_add_f64 v[153:154], v[219:220], v[153:154]
	s_waitcnt vmcnt(15)
	v_add_f64 v[155:156], v[221:222], v[155:156]
	s_waitcnt vmcnt(14)
	v_add_f64 v[157:158], v[223:224], v[157:158]
	s_waitcnt vmcnt(13)
	v_add_f64 v[159:160], v[225:226], v[159:160]
	s_waitcnt vmcnt(12)
	v_add_f64 v[161:162], v[227:228], v[161:162]
	s_waitcnt vmcnt(11)
	v_add_f64 v[163:164], v[229:230], v[163:164]
	s_waitcnt vmcnt(10)
	v_add_f64 v[165:166], v[231:232], v[165:166]
	s_waitcnt vmcnt(9)
	v_add_f64 v[167:168], v[233:234], v[167:168]
	s_waitcnt vmcnt(8)
	v_add_f64 v[169:170], v[235:236], v[169:170]
	s_waitcnt vmcnt(7)
	v_add_f64 v[171:172], v[237:238], v[171:172]
	s_waitcnt vmcnt(6)
	v_add_f64 v[173:174], v[239:240], v[173:174]
	s_waitcnt vmcnt(5)
	v_add_f64 v[175:176], v[241:242], v[175:176]
	s_waitcnt vmcnt(4)
	v_add_f64 v[177:178], v[243:244], v[177:178]
	s_waitcnt vmcnt(3)
	v_add_f64 v[179:180], v[245:246], v[179:180]
	s_waitcnt vmcnt(2)
	v_add_f64 v[181:182], v[247:248], v[181:182]
	s_waitcnt vmcnt(1)
	v_add_f64 v[183:184], v[249:250], v[183:184]
	s_waitcnt vmcnt(0)
	v_add_f64 v[185:186], v[187:188], v[185:186]
	scratch_store_b64 v91, v[123:124], off
	scratch_store_b64 v92, v[125:126], off
	;; [unrolled: 1-line block ×32, first 2 shown]
	v_mov_b32_e32 v91, 0x100
	v_mov_b32_e32 v92, 0x108
	;; [unrolled: 1-line block ×32, first 2 shown]
	s_cbranch_vccnz .LBB132_27
; %bb.28:
	v_dual_mov_b32 v91, 0 :: v_dual_add_nc_u32 v60, 0x800, v86
	ds_load_2addr_b64 v[0:3], v86 offset0:3 offset1:19
	ds_load_2addr_b64 v[4:7], v86 offset0:35 offset1:51
	;; [unrolled: 1-line block ×12, first 2 shown]
	v_dual_mov_b32 v93, 16 :: v_dual_add_nc_u32 v64, 24, v90
	ds_load_2addr_b64 v[48:51], v60 offset0:131 offset1:147
	ds_load_2addr_b64 v[52:55], v60 offset0:163 offset1:179
	ds_load_2addr_b64 v[56:59], v60 offset0:195 offset1:211
	ds_load_2addr_b64 v[60:63], v60 offset0:227 offset1:243
	ds_load_2addr_stride64_b64 v[64:67], v64 offset1:4
	v_dual_mov_b32 v92, 8 :: v_dual_mov_b32 v95, 32
	v_dual_mov_b32 v94, 24 :: v_dual_mov_b32 v97, 48
	;; [unrolled: 1-line block ×4, first 2 shown]
	v_mov_b32_e32 v100, 0x48
	v_mov_b32_e32 v102, 0x58
	;; [unrolled: 1-line block ×22, first 2 shown]
	s_mov_b64 s[6:7], 0
	s_mov_b32 s21, -1
.LBB132_29:                             ; =>This Inner Loop Header: Depth=1
	scratch_load_b64 v[123:124], v91, off
	scratch_load_b64 v[125:126], v92, off
	;; [unrolled: 1-line block ×32, first 2 shown]
	s_cmp_eq_u32 s6, 1
	s_waitcnt lgkmcnt(16)
	v_max_f64 v[189:190], v[0:1], v[0:1]
	s_cselect_b32 vcc_lo, -1, 0
	v_max_f64 v[191:192], v[2:3], v[2:3]
	s_waitcnt lgkmcnt(0)
	v_dual_cndmask_b32 v188, v65, v67 :: v_dual_cndmask_b32 v187, v64, v66
	v_max_f64 v[193:194], v[4:5], v[4:5]
	v_max_f64 v[195:196], v[6:7], v[6:7]
	v_max_f64 v[197:198], v[8:9], v[8:9]
	v_max_f64 v[199:200], v[10:11], v[10:11]
	v_max_f64 v[187:188], v[187:188], v[187:188]
	v_max_f64 v[201:202], v[12:13], v[12:13]
	v_max_f64 v[203:204], v[14:15], v[14:15]
	v_max_f64 v[205:206], v[16:17], v[16:17]
	v_max_f64 v[207:208], v[18:19], v[18:19]
	v_max_f64 v[209:210], v[20:21], v[20:21]
	v_max_f64 v[211:212], v[22:23], v[22:23]
	v_max_f64 v[213:214], v[24:25], v[24:25]
	v_max_f64 v[215:216], v[26:27], v[26:27]
	v_max_f64 v[217:218], v[28:29], v[28:29]
	v_max_f64 v[219:220], v[30:31], v[30:31]
	v_max_f64 v[221:222], v[32:33], v[32:33]
	v_max_f64 v[223:224], v[34:35], v[34:35]
	v_max_f64 v[225:226], v[36:37], v[36:37]
	v_max_f64 v[227:228], v[38:39], v[38:39]
	v_max_f64 v[229:230], v[40:41], v[40:41]
	v_max_f64 v[231:232], v[42:43], v[42:43]
	v_max_f64 v[233:234], v[44:45], v[44:45]
	v_max_f64 v[235:236], v[46:47], v[46:47]
	v_max_f64 v[237:238], v[48:49], v[48:49]
	v_max_f64 v[239:240], v[50:51], v[50:51]
	v_max_f64 v[241:242], v[52:53], v[52:53]
	v_max_f64 v[243:244], v[54:55], v[54:55]
	v_max_f64 v[245:246], v[56:57], v[56:57]
	v_max_f64 v[247:248], v[58:59], v[58:59]
	v_max_f64 v[249:250], v[60:61], v[60:61]
	v_max_f64 v[251:252], v[62:63], v[62:63]
	s_mov_b64 s[6:7], 1
	s_and_b32 vcc_lo, exec_lo, s21
	s_mov_b32 s21, 0
	v_min_f64 v[189:190], v[189:190], v[187:188]
	v_min_f64 v[191:192], v[191:192], v[187:188]
	;; [unrolled: 1-line block ×32, first 2 shown]
	s_waitcnt vmcnt(31)
	v_add_f64 v[123:124], v[123:124], v[189:190]
	s_waitcnt vmcnt(30)
	v_add_f64 v[125:126], v[191:192], v[125:126]
	;; [unrolled: 2-line block ×32, first 2 shown]
	scratch_store_b64 v91, v[123:124], off
	scratch_store_b64 v92, v[125:126], off
	;; [unrolled: 1-line block ×32, first 2 shown]
	v_mov_b32_e32 v91, 0x100
	v_mov_b32_e32 v92, 0x108
	;; [unrolled: 1-line block ×32, first 2 shown]
	s_cbranch_vccnz .LBB132_29
; %bb.30:
	v_lshlrev_b32_e32 v0, 5, v78
	s_mov_b32 s21, 8
	s_cmp_gt_i32 s38, 8
	ds_store_2addr_stride64_b64 v81, v[74:75], v[76:77] offset0:24 offset1:28
	v_lshl_add_u32 v0, v84, 3, v0
	ds_store_2addr_stride64_b64 v0, v[70:71], v[72:73] offset0:8 offset1:12
	s_waitcnt lgkmcnt(0)
	s_waitcnt_vscnt null, 0x0
	s_barrier
	buffer_gl0_inv
	s_cbranch_scc0 .LBB132_65
; %bb.31:
	v_mad_i64_i32 v[1:2], null, v79, s22, 0
	v_mad_i64_i32 v[3:4], null, v80, s22, 0
	v_lshl_add_u32 v93, v82, 5, 0x1000
	v_lshlrev_b64 v[68:69], 3, v[68:69]
	v_or_b32_e32 v91, 0x1000, v0
	v_add_nc_u32_e32 v92, 0x3000, v81
	v_lshlrev_b64 v[70:71], 3, v[1:2]
	v_lshl_add_u32 v94, v83, 5, 0x3000
	v_lshlrev_b64 v[72:73], 3, v[3:4]
	v_add_nc_u32_e32 v95, 0x800, v93
	s_add_i32 s22, s38, -8
	s_mov_b32 s23, 0
.LBB132_32:                             ; =>This Loop Header: Depth=1
                                        ;     Child Loop BB132_41 Depth 2
                                        ;     Child Loop BB132_43 Depth 2
	;; [unrolled: 1-line block ×8, first 2 shown]
	v_add_nc_u32_e32 v2, s21, v84
	v_mov_b32_e32 v74, 0
	v_mov_b32_e32 v75, 0
	s_delay_alu instid0(VALU_DEP_3) | instskip(SKIP_1) | instid1(VALU_DEP_3)
	v_min_i32_e32 v3, s20, v2
	v_cmp_le_i32_e32 vcc_lo, s38, v2
	v_dual_mov_b32 v77, v75 :: v_dual_mov_b32 v76, v74
	s_delay_alu instid0(VALU_DEP_3) | instskip(SKIP_1) | instid1(VALU_DEP_1)
	v_mad_i64_i32 v[0:1], null, v3, s18, 0
	s_or_b32 s7, s2, vcc_lo
	v_lshlrev_b64 v[0:1], 3, v[0:1]
	s_delay_alu instid0(VALU_DEP_1) | instskip(NEXT) | instid1(VALU_DEP_1)
	v_add_co_u32 v0, s6, s16, v0
	v_add_co_ci_u32_e64 v1, s6, s17, v1, s6
	s_or_b32 s6, s19, s7
	s_delay_alu instid0(SALU_CYCLE_1) | instskip(NEXT) | instid1(SALU_CYCLE_1)
	s_xor_b32 s6, s6, -1
	s_and_saveexec_b32 s7, s6
	s_cbranch_execz .LBB132_34
; %bb.33:                               ;   in Loop: Header=BB132_32 Depth=1
	v_add_co_u32 v2, s6, v0, v68
	s_delay_alu instid0(VALU_DEP_1)
	v_add_co_ci_u32_e64 v3, s6, v1, v69, s6
	flat_load_b64 v[2:3], v[2:3]
	s_waitcnt vmcnt(0) lgkmcnt(0)
	v_mul_f64 v[76:77], s[12:13], v[2:3]
.LBB132_34:                             ;   in Loop: Header=BB132_32 Depth=1
	s_or_b32 exec_lo, exec_lo, s7
	s_or_b32 s6, s3, vcc_lo
	s_delay_alu instid0(SALU_CYCLE_1) | instskip(NEXT) | instid1(SALU_CYCLE_1)
	s_or_b32 s6, s19, s6
	s_xor_b32 s7, s6, -1
	s_delay_alu instid0(SALU_CYCLE_1)
	s_and_saveexec_b32 s6, s7
	s_cbranch_execz .LBB132_36
; %bb.35:                               ;   in Loop: Header=BB132_32 Depth=1
	v_add_co_u32 v0, vcc_lo, v0, v68
	v_add_co_ci_u32_e32 v1, vcc_lo, v1, v69, vcc_lo
	flat_load_b64 v[0:1], v[0:1] offset:512
	s_waitcnt vmcnt(0) lgkmcnt(0)
	v_mul_f64 v[74:75], s[12:13], v[0:1]
.LBB132_36:                             ;   in Loop: Header=BB132_32 Depth=1
	s_or_b32 exec_lo, exec_lo, s6
	v_or_b32_e32 v96, s21, v85
	v_mov_b32_e32 v78, 0
	v_mov_b32_e32 v79, 0
	s_delay_alu instid0(VALU_DEP_3) | instskip(SKIP_1) | instid1(VALU_DEP_3)
	v_min_i32_e32 v0, s20, v96
	v_cmp_le_i32_e32 vcc_lo, s38, v96
	v_dual_mov_b32 v81, v79 :: v_dual_mov_b32 v80, v78
	s_delay_alu instid0(VALU_DEP_3) | instskip(SKIP_1) | instid1(VALU_DEP_1)
	v_ashrrev_i32_e32 v1, 31, v0
	s_or_b32 s7, s4, vcc_lo
	v_lshlrev_b64 v[0:1], 3, v[0:1]
	s_delay_alu instid0(VALU_DEP_1) | instskip(NEXT) | instid1(VALU_DEP_1)
	v_add_co_u32 v0, s6, s10, v0
	v_add_co_ci_u32_e64 v1, s6, s11, v1, s6
	s_or_b32 s6, s19, s7
	s_delay_alu instid0(SALU_CYCLE_1) | instskip(NEXT) | instid1(SALU_CYCLE_1)
	s_xor_b32 s6, s6, -1
	s_and_saveexec_b32 s7, s6
	s_cbranch_execz .LBB132_38
; %bb.37:                               ;   in Loop: Header=BB132_32 Depth=1
	v_add_co_u32 v2, s6, v0, v70
	s_delay_alu instid0(VALU_DEP_1)
	v_add_co_ci_u32_e64 v3, s6, v1, v71, s6
	flat_load_b64 v[2:3], v[2:3]
	s_waitcnt vmcnt(0) lgkmcnt(0)
	v_mul_f64 v[80:81], s[12:13], v[2:3]
.LBB132_38:                             ;   in Loop: Header=BB132_32 Depth=1
	s_or_b32 exec_lo, exec_lo, s7
	s_or_b32 s6, s5, vcc_lo
	s_delay_alu instid0(SALU_CYCLE_1) | instskip(NEXT) | instid1(SALU_CYCLE_1)
	s_or_b32 s6, s19, s6
	s_xor_b32 s7, s6, -1
	s_delay_alu instid0(SALU_CYCLE_1)
	s_and_saveexec_b32 s6, s7
	s_cbranch_execz .LBB132_40
; %bb.39:                               ;   in Loop: Header=BB132_32 Depth=1
	v_add_co_u32 v0, vcc_lo, v0, v72
	v_add_co_ci_u32_e32 v1, vcc_lo, v1, v73, vcc_lo
	flat_load_b64 v[0:1], v[0:1]
	s_waitcnt vmcnt(0) lgkmcnt(0)
	v_mul_f64 v[78:79], s[12:13], v[0:1]
.LBB132_40:                             ;   in Loop: Header=BB132_32 Depth=1
	s_or_b32 exec_lo, exec_lo, s6
	ds_load_2addr_b64 v[0:3], v93 offset1:16
	ds_load_2addr_b64 v[4:7], v93 offset0:32 offset1:48
	ds_load_2addr_b64 v[8:11], v93 offset0:64 offset1:80
	;; [unrolled: 1-line block ×7, first 2 shown]
	ds_load_2addr_b64 v[32:35], v95 offset1:16
	ds_load_2addr_b64 v[36:39], v95 offset0:32 offset1:48
	ds_load_2addr_b64 v[40:43], v95 offset0:64 offset1:80
	ds_load_2addr_b64 v[44:47], v95 offset0:96 offset1:112
	ds_load_2addr_b64 v[48:51], v95 offset0:128 offset1:144
	ds_load_2addr_b64 v[52:55], v95 offset0:160 offset1:176
	ds_load_2addr_b64 v[56:59], v95 offset0:192 offset1:208
	ds_load_2addr_b64 v[60:63], v95 offset0:224 offset1:240
	ds_load_2addr_stride64_b64 v[64:67], v94 offset1:4
	v_dual_mov_b32 v128, 0 :: v_dual_mov_b32 v127, 8
	v_dual_mov_b32 v126, 16 :: v_dual_mov_b32 v125, 24
	;; [unrolled: 1-line block ×5, first 2 shown]
	v_mov_b32_e32 v118, 0x50
	v_mov_b32_e32 v117, 0x58
	v_mov_b32_e32 v116, 0x60
	v_mov_b32_e32 v115, 0x68
	v_mov_b32_e32 v114, 0x70
	v_mov_b32_e32 v113, 0x78
	v_mov_b32_e32 v112, 0x80
	v_mov_b32_e32 v111, 0x88
	v_mov_b32_e32 v110, 0x90
	v_mov_b32_e32 v109, 0x98
	v_mov_b32_e32 v108, 0xa0
	v_mov_b32_e32 v107, 0xa8
	v_mov_b32_e32 v106, 0xb0
	v_mov_b32_e32 v105, 0xb8
	v_mov_b32_e32 v104, 0xc0
	v_mov_b32_e32 v103, 0xc8
	v_mov_b32_e32 v102, 0xd0
	v_mov_b32_e32 v101, 0xd8
	v_mov_b32_e32 v100, 0xe0
	v_mov_b32_e32 v99, 0xe8
	v_mov_b32_e32 v98, 0xf0
	v_mov_b32_e32 v97, 0xf8
	s_mov_b64 s[6:7], 0
	s_mov_b32 s24, -1
.LBB132_41:                             ;   Parent Loop BB132_32 Depth=1
                                        ; =>  This Inner Loop Header: Depth=2
	scratch_load_b64 v[133:134], v128, off
	s_cmp_eq_u32 s6, 1
	s_waitcnt lgkmcnt(16)
	v_max_f64 v[131:132], v[0:1], v[0:1]
	s_cselect_b32 vcc_lo, -1, 0
	s_mov_b64 s[6:7], 1
	s_waitcnt lgkmcnt(0)
	v_dual_cndmask_b32 v130, v65, v67 :: v_dual_cndmask_b32 v129, v64, v66
	s_and_b32 vcc_lo, exec_lo, s24
	s_mov_b32 s24, 0
	s_delay_alu instid0(VALU_DEP_1) | instskip(NEXT) | instid1(VALU_DEP_1)
	v_max_f64 v[129:130], v[129:130], v[129:130]
	v_min_f64 v[131:132], v[131:132], v[129:130]
	s_waitcnt vmcnt(0)
	s_delay_alu instid0(VALU_DEP_1) | instskip(SKIP_3) | instid1(VALU_DEP_1)
	v_add_f64 v[131:132], v[133:134], v[131:132]
	scratch_load_b64 v[133:134], v127, off
	scratch_store_b64 v128, v[131:132], off
	v_max_f64 v[131:132], v[2:3], v[2:3]
	v_min_f64 v[131:132], v[131:132], v[129:130]
	s_waitcnt vmcnt(0)
	s_delay_alu instid0(VALU_DEP_1) | instskip(SKIP_3) | instid1(VALU_DEP_1)
	v_add_f64 v[131:132], v[131:132], v[133:134]
	scratch_store_b64 v127, v[131:132], off
	scratch_load_b64 v[131:132], v126, off
	v_max_f64 v[127:128], v[4:5], v[4:5]
	v_min_f64 v[127:128], v[127:128], v[129:130]
	s_waitcnt vmcnt(0)
	s_delay_alu instid0(VALU_DEP_1) | instskip(SKIP_3) | instid1(VALU_DEP_1)
	v_add_f64 v[127:128], v[127:128], v[131:132]
	scratch_load_b64 v[131:132], v125, off
	scratch_store_b64 v126, v[127:128], off
	v_max_f64 v[126:127], v[6:7], v[6:7]
	v_min_f64 v[126:127], v[126:127], v[129:130]
	s_waitcnt vmcnt(0)
	s_delay_alu instid0(VALU_DEP_1) | instskip(SKIP_3) | instid1(VALU_DEP_1)
	v_add_f64 v[126:127], v[126:127], v[131:132]
	scratch_store_b64 v125, v[126:127], off
	scratch_load_b64 v[127:128], v124, off
	v_max_f64 v[125:126], v[8:9], v[8:9]
	v_min_f64 v[125:126], v[125:126], v[129:130]
	s_waitcnt vmcnt(0)
	s_delay_alu instid0(VALU_DEP_1) | instskip(SKIP_4) | instid1(VALU_DEP_1)
	v_add_f64 v[125:126], v[125:126], v[127:128]
	v_mov_b32_e32 v128, 0x100
	scratch_store_b64 v124, v[125:126], off
	scratch_load_b64 v[126:127], v123, off
	v_max_f64 v[124:125], v[10:11], v[10:11]
	v_min_f64 v[124:125], v[124:125], v[129:130]
	s_waitcnt vmcnt(0)
	s_delay_alu instid0(VALU_DEP_1) | instskip(SKIP_4) | instid1(VALU_DEP_1)
	v_add_f64 v[124:125], v[124:125], v[126:127]
	v_mov_b32_e32 v127, 0x108
	;; [unrolled: 8-line block ×27, first 2 shown]
	scratch_store_b64 v98, v[99:100], off
	scratch_load_b64 v[100:101], v97, off
	v_max_f64 v[98:99], v[62:63], v[62:63]
	v_min_f64 v[98:99], v[98:99], v[129:130]
	s_waitcnt vmcnt(0)
	s_delay_alu instid0(VALU_DEP_1)
	v_add_f64 v[98:99], v[98:99], v[100:101]
	v_mov_b32_e32 v101, 0x1d8
	v_mov_b32_e32 v100, 0x1e0
	scratch_store_b64 v97, v[98:99], off
	v_mov_b32_e32 v99, 0x1e8
	v_mov_b32_e32 v98, 0x1f0
	;; [unrolled: 1-line block ×3, first 2 shown]
	s_cbranch_vccnz .LBB132_41
; %bb.42:                               ;   in Loop: Header=BB132_32 Depth=1
	ds_load_2addr_b64 v[0:3], v93 offset0:1 offset1:17
	ds_load_2addr_b64 v[4:7], v93 offset0:33 offset1:49
	;; [unrolled: 1-line block ×12, first 2 shown]
	v_dual_mov_b32 v127, 8 :: v_dual_add_nc_u32 v64, 8, v94
	ds_load_2addr_b64 v[48:51], v95 offset0:129 offset1:145
	ds_load_2addr_b64 v[52:55], v95 offset0:161 offset1:177
	;; [unrolled: 1-line block ×4, first 2 shown]
	ds_load_2addr_stride64_b64 v[64:67], v64 offset1:4
	v_dual_mov_b32 v128, 0 :: v_dual_mov_b32 v125, 24
	v_dual_mov_b32 v126, 16 :: v_dual_mov_b32 v123, 40
	;; [unrolled: 1-line block ×5, first 2 shown]
	v_mov_b32_e32 v118, 0x50
	v_mov_b32_e32 v116, 0x60
	;; [unrolled: 1-line block ×21, first 2 shown]
	s_mov_b64 s[6:7], 0
	s_mov_b32 s24, -1
.LBB132_43:                             ;   Parent Loop BB132_32 Depth=1
                                        ; =>  This Inner Loop Header: Depth=2
	scratch_load_b64 v[133:134], v128, off
	s_cmp_eq_u32 s6, 1
	s_waitcnt lgkmcnt(16)
	v_max_f64 v[131:132], v[0:1], v[0:1]
	s_cselect_b32 vcc_lo, -1, 0
	s_mov_b64 s[6:7], 1
	s_waitcnt lgkmcnt(0)
	v_dual_cndmask_b32 v130, v65, v67 :: v_dual_cndmask_b32 v129, v64, v66
	s_and_b32 vcc_lo, exec_lo, s24
	s_mov_b32 s24, 0
	s_delay_alu instid0(VALU_DEP_1) | instskip(NEXT) | instid1(VALU_DEP_1)
	v_max_f64 v[129:130], v[129:130], v[129:130]
	v_min_f64 v[131:132], v[131:132], v[129:130]
	s_waitcnt vmcnt(0)
	s_delay_alu instid0(VALU_DEP_1) | instskip(SKIP_3) | instid1(VALU_DEP_1)
	v_add_f64 v[131:132], v[133:134], v[131:132]
	scratch_load_b64 v[133:134], v127, off
	scratch_store_b64 v128, v[131:132], off
	v_max_f64 v[131:132], v[2:3], v[2:3]
	v_min_f64 v[131:132], v[131:132], v[129:130]
	s_waitcnt vmcnt(0)
	s_delay_alu instid0(VALU_DEP_1) | instskip(SKIP_3) | instid1(VALU_DEP_1)
	v_add_f64 v[131:132], v[131:132], v[133:134]
	scratch_store_b64 v127, v[131:132], off
	scratch_load_b64 v[131:132], v126, off
	v_max_f64 v[127:128], v[4:5], v[4:5]
	v_min_f64 v[127:128], v[127:128], v[129:130]
	s_waitcnt vmcnt(0)
	s_delay_alu instid0(VALU_DEP_1) | instskip(SKIP_3) | instid1(VALU_DEP_1)
	v_add_f64 v[127:128], v[127:128], v[131:132]
	scratch_load_b64 v[131:132], v125, off
	scratch_store_b64 v126, v[127:128], off
	v_max_f64 v[126:127], v[6:7], v[6:7]
	v_min_f64 v[126:127], v[126:127], v[129:130]
	s_waitcnt vmcnt(0)
	s_delay_alu instid0(VALU_DEP_1) | instskip(SKIP_3) | instid1(VALU_DEP_1)
	v_add_f64 v[126:127], v[126:127], v[131:132]
	scratch_store_b64 v125, v[126:127], off
	scratch_load_b64 v[127:128], v124, off
	v_max_f64 v[125:126], v[8:9], v[8:9]
	v_min_f64 v[125:126], v[125:126], v[129:130]
	s_waitcnt vmcnt(0)
	s_delay_alu instid0(VALU_DEP_1) | instskip(SKIP_4) | instid1(VALU_DEP_1)
	v_add_f64 v[125:126], v[125:126], v[127:128]
	v_mov_b32_e32 v128, 0x100
	scratch_store_b64 v124, v[125:126], off
	scratch_load_b64 v[126:127], v123, off
	v_max_f64 v[124:125], v[10:11], v[10:11]
	v_min_f64 v[124:125], v[124:125], v[129:130]
	s_waitcnt vmcnt(0)
	s_delay_alu instid0(VALU_DEP_1) | instskip(SKIP_4) | instid1(VALU_DEP_1)
	v_add_f64 v[124:125], v[124:125], v[126:127]
	v_mov_b32_e32 v127, 0x108
	;; [unrolled: 8-line block ×27, first 2 shown]
	scratch_store_b64 v98, v[99:100], off
	scratch_load_b64 v[100:101], v97, off
	v_max_f64 v[98:99], v[62:63], v[62:63]
	v_min_f64 v[98:99], v[98:99], v[129:130]
	s_waitcnt vmcnt(0)
	s_delay_alu instid0(VALU_DEP_1)
	v_add_f64 v[98:99], v[98:99], v[100:101]
	v_mov_b32_e32 v101, 0x1d8
	v_mov_b32_e32 v100, 0x1e0
	scratch_store_b64 v97, v[98:99], off
	v_mov_b32_e32 v99, 0x1e8
	v_mov_b32_e32 v98, 0x1f0
	;; [unrolled: 1-line block ×3, first 2 shown]
	s_cbranch_vccnz .LBB132_43
; %bb.44:                               ;   in Loop: Header=BB132_32 Depth=1
	ds_load_2addr_b64 v[0:3], v93 offset0:2 offset1:18
	ds_load_2addr_b64 v[4:7], v93 offset0:34 offset1:50
	;; [unrolled: 1-line block ×12, first 2 shown]
	v_dual_mov_b32 v127, 8 :: v_dual_add_nc_u32 v64, 16, v94
	ds_load_2addr_b64 v[48:51], v95 offset0:130 offset1:146
	ds_load_2addr_b64 v[52:55], v95 offset0:162 offset1:178
	ds_load_2addr_b64 v[56:59], v95 offset0:194 offset1:210
	ds_load_2addr_b64 v[60:63], v95 offset0:226 offset1:242
	ds_load_2addr_stride64_b64 v[64:67], v64 offset1:4
	v_dual_mov_b32 v128, 0 :: v_dual_mov_b32 v125, 24
	v_dual_mov_b32 v126, 16 :: v_dual_mov_b32 v123, 40
	;; [unrolled: 1-line block ×5, first 2 shown]
	v_mov_b32_e32 v118, 0x50
	v_mov_b32_e32 v116, 0x60
	;; [unrolled: 1-line block ×21, first 2 shown]
	s_mov_b64 s[6:7], 0
	s_mov_b32 s24, -1
.LBB132_45:                             ;   Parent Loop BB132_32 Depth=1
                                        ; =>  This Inner Loop Header: Depth=2
	scratch_load_b64 v[133:134], v128, off
	s_cmp_eq_u32 s6, 1
	s_waitcnt lgkmcnt(16)
	v_max_f64 v[131:132], v[0:1], v[0:1]
	s_cselect_b32 vcc_lo, -1, 0
	s_mov_b64 s[6:7], 1
	s_waitcnt lgkmcnt(0)
	v_dual_cndmask_b32 v130, v65, v67 :: v_dual_cndmask_b32 v129, v64, v66
	s_and_b32 vcc_lo, exec_lo, s24
	s_mov_b32 s24, 0
	s_delay_alu instid0(VALU_DEP_1) | instskip(NEXT) | instid1(VALU_DEP_1)
	v_max_f64 v[129:130], v[129:130], v[129:130]
	v_min_f64 v[131:132], v[131:132], v[129:130]
	s_waitcnt vmcnt(0)
	s_delay_alu instid0(VALU_DEP_1) | instskip(SKIP_3) | instid1(VALU_DEP_1)
	v_add_f64 v[131:132], v[133:134], v[131:132]
	scratch_load_b64 v[133:134], v127, off
	scratch_store_b64 v128, v[131:132], off
	v_max_f64 v[131:132], v[2:3], v[2:3]
	v_min_f64 v[131:132], v[131:132], v[129:130]
	s_waitcnt vmcnt(0)
	s_delay_alu instid0(VALU_DEP_1) | instskip(SKIP_3) | instid1(VALU_DEP_1)
	v_add_f64 v[131:132], v[131:132], v[133:134]
	scratch_store_b64 v127, v[131:132], off
	scratch_load_b64 v[131:132], v126, off
	v_max_f64 v[127:128], v[4:5], v[4:5]
	v_min_f64 v[127:128], v[127:128], v[129:130]
	s_waitcnt vmcnt(0)
	s_delay_alu instid0(VALU_DEP_1) | instskip(SKIP_3) | instid1(VALU_DEP_1)
	v_add_f64 v[127:128], v[127:128], v[131:132]
	scratch_load_b64 v[131:132], v125, off
	scratch_store_b64 v126, v[127:128], off
	v_max_f64 v[126:127], v[6:7], v[6:7]
	v_min_f64 v[126:127], v[126:127], v[129:130]
	s_waitcnt vmcnt(0)
	s_delay_alu instid0(VALU_DEP_1) | instskip(SKIP_3) | instid1(VALU_DEP_1)
	v_add_f64 v[126:127], v[126:127], v[131:132]
	scratch_store_b64 v125, v[126:127], off
	scratch_load_b64 v[127:128], v124, off
	v_max_f64 v[125:126], v[8:9], v[8:9]
	v_min_f64 v[125:126], v[125:126], v[129:130]
	s_waitcnt vmcnt(0)
	s_delay_alu instid0(VALU_DEP_1) | instskip(SKIP_4) | instid1(VALU_DEP_1)
	v_add_f64 v[125:126], v[125:126], v[127:128]
	v_mov_b32_e32 v128, 0x100
	scratch_store_b64 v124, v[125:126], off
	scratch_load_b64 v[126:127], v123, off
	v_max_f64 v[124:125], v[10:11], v[10:11]
	v_min_f64 v[124:125], v[124:125], v[129:130]
	s_waitcnt vmcnt(0)
	s_delay_alu instid0(VALU_DEP_1) | instskip(SKIP_4) | instid1(VALU_DEP_1)
	v_add_f64 v[124:125], v[124:125], v[126:127]
	v_mov_b32_e32 v127, 0x108
	;; [unrolled: 8-line block ×27, first 2 shown]
	scratch_store_b64 v98, v[99:100], off
	scratch_load_b64 v[100:101], v97, off
	v_max_f64 v[98:99], v[62:63], v[62:63]
	v_min_f64 v[98:99], v[98:99], v[129:130]
	s_waitcnt vmcnt(0)
	s_delay_alu instid0(VALU_DEP_1)
	v_add_f64 v[98:99], v[98:99], v[100:101]
	v_mov_b32_e32 v101, 0x1d8
	v_mov_b32_e32 v100, 0x1e0
	scratch_store_b64 v97, v[98:99], off
	v_mov_b32_e32 v99, 0x1e8
	v_mov_b32_e32 v98, 0x1f0
	;; [unrolled: 1-line block ×3, first 2 shown]
	s_cbranch_vccnz .LBB132_45
; %bb.46:                               ;   in Loop: Header=BB132_32 Depth=1
	ds_load_2addr_b64 v[0:3], v93 offset0:3 offset1:19
	ds_load_2addr_b64 v[4:7], v93 offset0:35 offset1:51
	;; [unrolled: 1-line block ×12, first 2 shown]
	v_dual_mov_b32 v127, 8 :: v_dual_add_nc_u32 v64, 24, v94
	ds_load_2addr_b64 v[48:51], v95 offset0:131 offset1:147
	ds_load_2addr_b64 v[52:55], v95 offset0:163 offset1:179
	;; [unrolled: 1-line block ×4, first 2 shown]
	ds_load_2addr_stride64_b64 v[64:67], v64 offset1:4
	v_dual_mov_b32 v128, 0 :: v_dual_mov_b32 v125, 24
	v_dual_mov_b32 v126, 16 :: v_dual_mov_b32 v123, 40
	;; [unrolled: 1-line block ×5, first 2 shown]
	v_mov_b32_e32 v118, 0x50
	v_mov_b32_e32 v116, 0x60
	;; [unrolled: 1-line block ×21, first 2 shown]
	s_mov_b64 s[6:7], 0
	s_mov_b32 s24, -1
.LBB132_47:                             ;   Parent Loop BB132_32 Depth=1
                                        ; =>  This Inner Loop Header: Depth=2
	scratch_load_b64 v[133:134], v128, off
	s_cmp_eq_u32 s6, 1
	s_waitcnt lgkmcnt(16)
	v_max_f64 v[131:132], v[0:1], v[0:1]
	s_cselect_b32 vcc_lo, -1, 0
	s_mov_b64 s[6:7], 1
	s_waitcnt lgkmcnt(0)
	v_dual_cndmask_b32 v130, v65, v67 :: v_dual_cndmask_b32 v129, v64, v66
	s_and_b32 vcc_lo, exec_lo, s24
	s_mov_b32 s24, 0
	s_delay_alu instid0(VALU_DEP_1) | instskip(NEXT) | instid1(VALU_DEP_1)
	v_max_f64 v[129:130], v[129:130], v[129:130]
	v_min_f64 v[131:132], v[131:132], v[129:130]
	s_waitcnt vmcnt(0)
	s_delay_alu instid0(VALU_DEP_1) | instskip(SKIP_3) | instid1(VALU_DEP_1)
	v_add_f64 v[131:132], v[133:134], v[131:132]
	scratch_load_b64 v[133:134], v127, off
	scratch_store_b64 v128, v[131:132], off
	v_max_f64 v[131:132], v[2:3], v[2:3]
	v_min_f64 v[131:132], v[131:132], v[129:130]
	s_waitcnt vmcnt(0)
	s_delay_alu instid0(VALU_DEP_1) | instskip(SKIP_3) | instid1(VALU_DEP_1)
	v_add_f64 v[131:132], v[131:132], v[133:134]
	scratch_store_b64 v127, v[131:132], off
	scratch_load_b64 v[131:132], v126, off
	v_max_f64 v[127:128], v[4:5], v[4:5]
	v_min_f64 v[127:128], v[127:128], v[129:130]
	s_waitcnt vmcnt(0)
	s_delay_alu instid0(VALU_DEP_1) | instskip(SKIP_3) | instid1(VALU_DEP_1)
	v_add_f64 v[127:128], v[127:128], v[131:132]
	scratch_load_b64 v[131:132], v125, off
	scratch_store_b64 v126, v[127:128], off
	v_max_f64 v[126:127], v[6:7], v[6:7]
	v_min_f64 v[126:127], v[126:127], v[129:130]
	s_waitcnt vmcnt(0)
	s_delay_alu instid0(VALU_DEP_1) | instskip(SKIP_3) | instid1(VALU_DEP_1)
	v_add_f64 v[126:127], v[126:127], v[131:132]
	scratch_store_b64 v125, v[126:127], off
	scratch_load_b64 v[127:128], v124, off
	v_max_f64 v[125:126], v[8:9], v[8:9]
	v_min_f64 v[125:126], v[125:126], v[129:130]
	s_waitcnt vmcnt(0)
	s_delay_alu instid0(VALU_DEP_1) | instskip(SKIP_4) | instid1(VALU_DEP_1)
	v_add_f64 v[125:126], v[125:126], v[127:128]
	v_mov_b32_e32 v128, 0x100
	scratch_store_b64 v124, v[125:126], off
	scratch_load_b64 v[126:127], v123, off
	v_max_f64 v[124:125], v[10:11], v[10:11]
	v_min_f64 v[124:125], v[124:125], v[129:130]
	s_waitcnt vmcnt(0)
	s_delay_alu instid0(VALU_DEP_1) | instskip(SKIP_4) | instid1(VALU_DEP_1)
	v_add_f64 v[124:125], v[124:125], v[126:127]
	v_mov_b32_e32 v127, 0x108
	;; [unrolled: 8-line block ×27, first 2 shown]
	scratch_store_b64 v98, v[99:100], off
	scratch_load_b64 v[100:101], v97, off
	v_max_f64 v[98:99], v[62:63], v[62:63]
	v_min_f64 v[98:99], v[98:99], v[129:130]
	s_waitcnt vmcnt(0)
	s_delay_alu instid0(VALU_DEP_1)
	v_add_f64 v[98:99], v[98:99], v[100:101]
	v_mov_b32_e32 v101, 0x1d8
	v_mov_b32_e32 v100, 0x1e0
	scratch_store_b64 v97, v[98:99], off
	v_mov_b32_e32 v99, 0x1e8
	v_mov_b32_e32 v98, 0x1f0
	v_mov_b32_e32 v97, 0x1f8
	s_cbranch_vccnz .LBB132_47
; %bb.48:                               ;   in Loop: Header=BB132_32 Depth=1
	v_add3_u32 v2, v84, s21, 4
	ds_store_2addr_stride64_b64 v87, v[76:77], v[74:75] offset1:4
	v_mov_b32_e32 v74, 0
	v_mov_b32_e32 v75, 0
	ds_store_2addr_stride64_b64 v89, v[80:81], v[78:79] offset1:4
	v_min_i32_e32 v3, s20, v2
	v_cmp_le_i32_e32 vcc_lo, s38, v2
	s_waitcnt lgkmcnt(0)
	s_waitcnt_vscnt null, 0x0
	v_dual_mov_b32 v77, v75 :: v_dual_mov_b32 v76, v74
	v_mad_i64_i32 v[0:1], null, v3, s18, 0
	s_or_b32 s7, s2, vcc_lo
	s_barrier
	buffer_gl0_inv
	v_lshlrev_b64 v[0:1], 3, v[0:1]
	s_delay_alu instid0(VALU_DEP_1) | instskip(NEXT) | instid1(VALU_DEP_1)
	v_add_co_u32 v0, s6, s16, v0
	v_add_co_ci_u32_e64 v1, s6, s17, v1, s6
	s_or_b32 s6, s19, s7
	s_delay_alu instid0(SALU_CYCLE_1) | instskip(NEXT) | instid1(SALU_CYCLE_1)
	s_xor_b32 s6, s6, -1
	s_and_saveexec_b32 s7, s6
	s_delay_alu instid0(SALU_CYCLE_1)
	s_xor_b32 s7, exec_lo, s7
	s_cbranch_execz .LBB132_50
; %bb.49:                               ;   in Loop: Header=BB132_32 Depth=1
	v_add_co_u32 v2, s6, v0, v68
	s_delay_alu instid0(VALU_DEP_1)
	v_add_co_ci_u32_e64 v3, s6, v1, v69, s6
	flat_load_b64 v[2:3], v[2:3]
	s_waitcnt vmcnt(0) lgkmcnt(0)
	v_mul_f64 v[76:77], s[12:13], v[2:3]
.LBB132_50:                             ;   in Loop: Header=BB132_32 Depth=1
	s_or_b32 exec_lo, exec_lo, s7
	s_or_b32 s6, s3, vcc_lo
	s_delay_alu instid0(SALU_CYCLE_1) | instskip(NEXT) | instid1(SALU_CYCLE_1)
	s_or_b32 s6, s19, s6
	s_xor_b32 s7, s6, -1
	s_delay_alu instid0(SALU_CYCLE_1)
	s_and_saveexec_b32 s6, s7
	s_cbranch_execz .LBB132_52
; %bb.51:                               ;   in Loop: Header=BB132_32 Depth=1
	v_add_co_u32 v0, vcc_lo, v0, v68
	v_add_co_ci_u32_e32 v1, vcc_lo, v1, v69, vcc_lo
	flat_load_b64 v[0:1], v[0:1] offset:512
	s_waitcnt vmcnt(0) lgkmcnt(0)
	v_mul_f64 v[74:75], s[12:13], v[0:1]
.LBB132_52:                             ;   in Loop: Header=BB132_32 Depth=1
	s_or_b32 exec_lo, exec_lo, s6
	v_or_b32_e32 v2, 4, v96
	v_mov_b32_e32 v78, 0
	v_mov_b32_e32 v79, 0
	s_delay_alu instid0(VALU_DEP_3) | instskip(SKIP_1) | instid1(VALU_DEP_3)
	v_min_i32_e32 v0, s20, v2
	v_cmp_le_i32_e32 vcc_lo, s38, v2
	v_dual_mov_b32 v81, v79 :: v_dual_mov_b32 v80, v78
	s_delay_alu instid0(VALU_DEP_3) | instskip(SKIP_1) | instid1(VALU_DEP_1)
	v_ashrrev_i32_e32 v1, 31, v0
	s_or_b32 s7, s4, vcc_lo
	v_lshlrev_b64 v[0:1], 3, v[0:1]
	s_delay_alu instid0(VALU_DEP_1) | instskip(NEXT) | instid1(VALU_DEP_1)
	v_add_co_u32 v0, s6, s10, v0
	v_add_co_ci_u32_e64 v1, s6, s11, v1, s6
	s_or_b32 s6, s19, s7
	s_delay_alu instid0(SALU_CYCLE_1) | instskip(NEXT) | instid1(SALU_CYCLE_1)
	s_xor_b32 s6, s6, -1
	s_and_saveexec_b32 s7, s6
	s_cbranch_execz .LBB132_54
; %bb.53:                               ;   in Loop: Header=BB132_32 Depth=1
	v_add_co_u32 v2, s6, v0, v70
	s_delay_alu instid0(VALU_DEP_1)
	v_add_co_ci_u32_e64 v3, s6, v1, v71, s6
	flat_load_b64 v[2:3], v[2:3]
	s_waitcnt vmcnt(0) lgkmcnt(0)
	v_mul_f64 v[80:81], s[12:13], v[2:3]
.LBB132_54:                             ;   in Loop: Header=BB132_32 Depth=1
	s_or_b32 exec_lo, exec_lo, s7
	s_or_b32 s6, s5, vcc_lo
	s_delay_alu instid0(SALU_CYCLE_1) | instskip(NEXT) | instid1(SALU_CYCLE_1)
	s_or_b32 s6, s19, s6
	s_xor_b32 s7, s6, -1
	s_delay_alu instid0(SALU_CYCLE_1)
	s_and_saveexec_b32 s6, s7
	s_cbranch_execz .LBB132_56
; %bb.55:                               ;   in Loop: Header=BB132_32 Depth=1
	v_add_co_u32 v0, vcc_lo, v0, v72
	v_add_co_ci_u32_e32 v1, vcc_lo, v1, v73, vcc_lo
	flat_load_b64 v[0:1], v[0:1]
	s_waitcnt vmcnt(0) lgkmcnt(0)
	v_mul_f64 v[78:79], s[12:13], v[0:1]
.LBB132_56:                             ;   in Loop: Header=BB132_32 Depth=1
	s_or_b32 exec_lo, exec_lo, s6
	v_dual_mov_b32 v127, 8 :: v_dual_add_nc_u32 v96, 0x800, v86
	ds_load_2addr_b64 v[0:3], v86 offset1:16
	ds_load_2addr_b64 v[4:7], v86 offset0:32 offset1:48
	ds_load_2addr_b64 v[8:11], v86 offset0:64 offset1:80
	;; [unrolled: 1-line block ×7, first 2 shown]
	ds_load_2addr_b64 v[32:35], v96 offset1:16
	ds_load_2addr_b64 v[36:39], v96 offset0:32 offset1:48
	ds_load_2addr_b64 v[40:43], v96 offset0:64 offset1:80
	;; [unrolled: 1-line block ×7, first 2 shown]
	ds_load_2addr_stride64_b64 v[64:67], v90 offset1:4
	v_dual_mov_b32 v128, 0 :: v_dual_mov_b32 v125, 24
	v_dual_mov_b32 v126, 16 :: v_dual_mov_b32 v123, 40
	v_dual_mov_b32 v124, 32 :: v_dual_mov_b32 v121, 56
	v_dual_mov_b32 v122, 48 :: v_dual_mov_b32 v119, 0x48
	v_dual_mov_b32 v120, 64 :: v_dual_mov_b32 v117, 0x58
	v_mov_b32_e32 v118, 0x50
	v_mov_b32_e32 v116, 0x60
	;; [unrolled: 1-line block ×21, first 2 shown]
	s_mov_b64 s[6:7], 0
	s_mov_b32 s24, -1
.LBB132_57:                             ;   Parent Loop BB132_32 Depth=1
                                        ; =>  This Inner Loop Header: Depth=2
	scratch_load_b64 v[133:134], v128, off
	s_cmp_eq_u32 s6, 1
	s_waitcnt lgkmcnt(16)
	v_max_f64 v[131:132], v[0:1], v[0:1]
	s_cselect_b32 vcc_lo, -1, 0
	s_mov_b64 s[6:7], 1
	s_waitcnt lgkmcnt(0)
	v_dual_cndmask_b32 v130, v65, v67 :: v_dual_cndmask_b32 v129, v64, v66
	s_and_b32 vcc_lo, exec_lo, s24
	s_mov_b32 s24, 0
	s_delay_alu instid0(VALU_DEP_1) | instskip(NEXT) | instid1(VALU_DEP_1)
	v_max_f64 v[129:130], v[129:130], v[129:130]
	v_min_f64 v[131:132], v[131:132], v[129:130]
	s_waitcnt vmcnt(0)
	s_delay_alu instid0(VALU_DEP_1) | instskip(SKIP_3) | instid1(VALU_DEP_1)
	v_add_f64 v[131:132], v[133:134], v[131:132]
	scratch_load_b64 v[133:134], v127, off
	scratch_store_b64 v128, v[131:132], off
	v_max_f64 v[131:132], v[2:3], v[2:3]
	v_min_f64 v[131:132], v[131:132], v[129:130]
	s_waitcnt vmcnt(0)
	s_delay_alu instid0(VALU_DEP_1) | instskip(SKIP_3) | instid1(VALU_DEP_1)
	v_add_f64 v[131:132], v[131:132], v[133:134]
	scratch_store_b64 v127, v[131:132], off
	scratch_load_b64 v[131:132], v126, off
	v_max_f64 v[127:128], v[4:5], v[4:5]
	v_min_f64 v[127:128], v[127:128], v[129:130]
	s_waitcnt vmcnt(0)
	s_delay_alu instid0(VALU_DEP_1) | instskip(SKIP_3) | instid1(VALU_DEP_1)
	v_add_f64 v[127:128], v[127:128], v[131:132]
	scratch_load_b64 v[131:132], v125, off
	scratch_store_b64 v126, v[127:128], off
	v_max_f64 v[126:127], v[6:7], v[6:7]
	v_min_f64 v[126:127], v[126:127], v[129:130]
	s_waitcnt vmcnt(0)
	s_delay_alu instid0(VALU_DEP_1) | instskip(SKIP_3) | instid1(VALU_DEP_1)
	v_add_f64 v[126:127], v[126:127], v[131:132]
	scratch_store_b64 v125, v[126:127], off
	scratch_load_b64 v[127:128], v124, off
	v_max_f64 v[125:126], v[8:9], v[8:9]
	v_min_f64 v[125:126], v[125:126], v[129:130]
	s_waitcnt vmcnt(0)
	s_delay_alu instid0(VALU_DEP_1) | instskip(SKIP_4) | instid1(VALU_DEP_1)
	v_add_f64 v[125:126], v[125:126], v[127:128]
	v_mov_b32_e32 v128, 0x100
	scratch_store_b64 v124, v[125:126], off
	scratch_load_b64 v[126:127], v123, off
	v_max_f64 v[124:125], v[10:11], v[10:11]
	v_min_f64 v[124:125], v[124:125], v[129:130]
	s_waitcnt vmcnt(0)
	s_delay_alu instid0(VALU_DEP_1) | instskip(SKIP_4) | instid1(VALU_DEP_1)
	v_add_f64 v[124:125], v[124:125], v[126:127]
	v_mov_b32_e32 v127, 0x108
	;; [unrolled: 8-line block ×27, first 2 shown]
	scratch_store_b64 v98, v[99:100], off
	scratch_load_b64 v[100:101], v97, off
	v_max_f64 v[98:99], v[62:63], v[62:63]
	v_min_f64 v[98:99], v[98:99], v[129:130]
	s_waitcnt vmcnt(0)
	s_delay_alu instid0(VALU_DEP_1)
	v_add_f64 v[98:99], v[98:99], v[100:101]
	v_mov_b32_e32 v101, 0x1d8
	v_mov_b32_e32 v100, 0x1e0
	scratch_store_b64 v97, v[98:99], off
	v_mov_b32_e32 v99, 0x1e8
	v_mov_b32_e32 v98, 0x1f0
	;; [unrolled: 1-line block ×3, first 2 shown]
	s_cbranch_vccnz .LBB132_57
; %bb.58:                               ;   in Loop: Header=BB132_32 Depth=1
	ds_load_2addr_b64 v[0:3], v86 offset0:1 offset1:17
	ds_load_2addr_b64 v[4:7], v86 offset0:33 offset1:49
	;; [unrolled: 1-line block ×12, first 2 shown]
	v_dual_mov_b32 v127, 8 :: v_dual_add_nc_u32 v64, 8, v90
	ds_load_2addr_b64 v[48:51], v96 offset0:129 offset1:145
	ds_load_2addr_b64 v[52:55], v96 offset0:161 offset1:177
	;; [unrolled: 1-line block ×4, first 2 shown]
	ds_load_2addr_stride64_b64 v[64:67], v64 offset1:4
	v_dual_mov_b32 v128, 0 :: v_dual_mov_b32 v125, 24
	v_dual_mov_b32 v126, 16 :: v_dual_mov_b32 v123, 40
	;; [unrolled: 1-line block ×5, first 2 shown]
	v_mov_b32_e32 v118, 0x50
	v_mov_b32_e32 v116, 0x60
	;; [unrolled: 1-line block ×21, first 2 shown]
	s_mov_b64 s[6:7], 0
	s_mov_b32 s24, -1
.LBB132_59:                             ;   Parent Loop BB132_32 Depth=1
                                        ; =>  This Inner Loop Header: Depth=2
	scratch_load_b64 v[133:134], v128, off
	s_cmp_eq_u32 s6, 1
	s_waitcnt lgkmcnt(16)
	v_max_f64 v[131:132], v[0:1], v[0:1]
	s_cselect_b32 vcc_lo, -1, 0
	s_mov_b64 s[6:7], 1
	s_waitcnt lgkmcnt(0)
	v_dual_cndmask_b32 v130, v65, v67 :: v_dual_cndmask_b32 v129, v64, v66
	s_and_b32 vcc_lo, exec_lo, s24
	s_mov_b32 s24, 0
	s_delay_alu instid0(VALU_DEP_1) | instskip(NEXT) | instid1(VALU_DEP_1)
	v_max_f64 v[129:130], v[129:130], v[129:130]
	v_min_f64 v[131:132], v[131:132], v[129:130]
	s_waitcnt vmcnt(0)
	s_delay_alu instid0(VALU_DEP_1) | instskip(SKIP_3) | instid1(VALU_DEP_1)
	v_add_f64 v[131:132], v[133:134], v[131:132]
	scratch_load_b64 v[133:134], v127, off
	scratch_store_b64 v128, v[131:132], off
	v_max_f64 v[131:132], v[2:3], v[2:3]
	v_min_f64 v[131:132], v[131:132], v[129:130]
	s_waitcnt vmcnt(0)
	s_delay_alu instid0(VALU_DEP_1) | instskip(SKIP_3) | instid1(VALU_DEP_1)
	v_add_f64 v[131:132], v[131:132], v[133:134]
	scratch_store_b64 v127, v[131:132], off
	scratch_load_b64 v[131:132], v126, off
	v_max_f64 v[127:128], v[4:5], v[4:5]
	v_min_f64 v[127:128], v[127:128], v[129:130]
	s_waitcnt vmcnt(0)
	s_delay_alu instid0(VALU_DEP_1) | instskip(SKIP_3) | instid1(VALU_DEP_1)
	v_add_f64 v[127:128], v[127:128], v[131:132]
	scratch_load_b64 v[131:132], v125, off
	scratch_store_b64 v126, v[127:128], off
	v_max_f64 v[126:127], v[6:7], v[6:7]
	v_min_f64 v[126:127], v[126:127], v[129:130]
	s_waitcnt vmcnt(0)
	s_delay_alu instid0(VALU_DEP_1) | instskip(SKIP_3) | instid1(VALU_DEP_1)
	v_add_f64 v[126:127], v[126:127], v[131:132]
	scratch_store_b64 v125, v[126:127], off
	scratch_load_b64 v[127:128], v124, off
	v_max_f64 v[125:126], v[8:9], v[8:9]
	v_min_f64 v[125:126], v[125:126], v[129:130]
	s_waitcnt vmcnt(0)
	s_delay_alu instid0(VALU_DEP_1) | instskip(SKIP_4) | instid1(VALU_DEP_1)
	v_add_f64 v[125:126], v[125:126], v[127:128]
	v_mov_b32_e32 v128, 0x100
	scratch_store_b64 v124, v[125:126], off
	scratch_load_b64 v[126:127], v123, off
	v_max_f64 v[124:125], v[10:11], v[10:11]
	v_min_f64 v[124:125], v[124:125], v[129:130]
	s_waitcnt vmcnt(0)
	s_delay_alu instid0(VALU_DEP_1) | instskip(SKIP_4) | instid1(VALU_DEP_1)
	v_add_f64 v[124:125], v[124:125], v[126:127]
	v_mov_b32_e32 v127, 0x108
	;; [unrolled: 8-line block ×27, first 2 shown]
	scratch_store_b64 v98, v[99:100], off
	scratch_load_b64 v[100:101], v97, off
	v_max_f64 v[98:99], v[62:63], v[62:63]
	v_min_f64 v[98:99], v[98:99], v[129:130]
	s_waitcnt vmcnt(0)
	s_delay_alu instid0(VALU_DEP_1)
	v_add_f64 v[98:99], v[98:99], v[100:101]
	v_mov_b32_e32 v101, 0x1d8
	v_mov_b32_e32 v100, 0x1e0
	scratch_store_b64 v97, v[98:99], off
	v_mov_b32_e32 v99, 0x1e8
	v_mov_b32_e32 v98, 0x1f0
	;; [unrolled: 1-line block ×3, first 2 shown]
	s_cbranch_vccnz .LBB132_59
; %bb.60:                               ;   in Loop: Header=BB132_32 Depth=1
	ds_load_2addr_b64 v[0:3], v86 offset0:2 offset1:18
	ds_load_2addr_b64 v[4:7], v86 offset0:34 offset1:50
	;; [unrolled: 1-line block ×12, first 2 shown]
	v_dual_mov_b32 v127, 8 :: v_dual_add_nc_u32 v64, 16, v90
	ds_load_2addr_b64 v[48:51], v96 offset0:130 offset1:146
	ds_load_2addr_b64 v[52:55], v96 offset0:162 offset1:178
	;; [unrolled: 1-line block ×4, first 2 shown]
	ds_load_2addr_stride64_b64 v[64:67], v64 offset1:4
	v_dual_mov_b32 v128, 0 :: v_dual_mov_b32 v125, 24
	v_dual_mov_b32 v126, 16 :: v_dual_mov_b32 v123, 40
	;; [unrolled: 1-line block ×5, first 2 shown]
	v_mov_b32_e32 v118, 0x50
	v_mov_b32_e32 v116, 0x60
	;; [unrolled: 1-line block ×21, first 2 shown]
	s_mov_b64 s[6:7], 0
	s_mov_b32 s24, -1
.LBB132_61:                             ;   Parent Loop BB132_32 Depth=1
                                        ; =>  This Inner Loop Header: Depth=2
	scratch_load_b64 v[133:134], v128, off
	s_cmp_eq_u32 s6, 1
	s_waitcnt lgkmcnt(16)
	v_max_f64 v[131:132], v[0:1], v[0:1]
	s_cselect_b32 vcc_lo, -1, 0
	s_mov_b64 s[6:7], 1
	s_waitcnt lgkmcnt(0)
	v_dual_cndmask_b32 v130, v65, v67 :: v_dual_cndmask_b32 v129, v64, v66
	s_and_b32 vcc_lo, exec_lo, s24
	s_mov_b32 s24, 0
	s_delay_alu instid0(VALU_DEP_1) | instskip(NEXT) | instid1(VALU_DEP_1)
	v_max_f64 v[129:130], v[129:130], v[129:130]
	v_min_f64 v[131:132], v[131:132], v[129:130]
	s_waitcnt vmcnt(0)
	s_delay_alu instid0(VALU_DEP_1) | instskip(SKIP_3) | instid1(VALU_DEP_1)
	v_add_f64 v[131:132], v[133:134], v[131:132]
	scratch_load_b64 v[133:134], v127, off
	scratch_store_b64 v128, v[131:132], off
	v_max_f64 v[131:132], v[2:3], v[2:3]
	v_min_f64 v[131:132], v[131:132], v[129:130]
	s_waitcnt vmcnt(0)
	s_delay_alu instid0(VALU_DEP_1) | instskip(SKIP_3) | instid1(VALU_DEP_1)
	v_add_f64 v[131:132], v[131:132], v[133:134]
	scratch_store_b64 v127, v[131:132], off
	scratch_load_b64 v[131:132], v126, off
	v_max_f64 v[127:128], v[4:5], v[4:5]
	v_min_f64 v[127:128], v[127:128], v[129:130]
	s_waitcnt vmcnt(0)
	s_delay_alu instid0(VALU_DEP_1) | instskip(SKIP_3) | instid1(VALU_DEP_1)
	v_add_f64 v[127:128], v[127:128], v[131:132]
	scratch_load_b64 v[131:132], v125, off
	scratch_store_b64 v126, v[127:128], off
	v_max_f64 v[126:127], v[6:7], v[6:7]
	v_min_f64 v[126:127], v[126:127], v[129:130]
	s_waitcnt vmcnt(0)
	s_delay_alu instid0(VALU_DEP_1) | instskip(SKIP_3) | instid1(VALU_DEP_1)
	v_add_f64 v[126:127], v[126:127], v[131:132]
	scratch_store_b64 v125, v[126:127], off
	scratch_load_b64 v[127:128], v124, off
	v_max_f64 v[125:126], v[8:9], v[8:9]
	v_min_f64 v[125:126], v[125:126], v[129:130]
	s_waitcnt vmcnt(0)
	s_delay_alu instid0(VALU_DEP_1) | instskip(SKIP_4) | instid1(VALU_DEP_1)
	v_add_f64 v[125:126], v[125:126], v[127:128]
	v_mov_b32_e32 v128, 0x100
	scratch_store_b64 v124, v[125:126], off
	scratch_load_b64 v[126:127], v123, off
	v_max_f64 v[124:125], v[10:11], v[10:11]
	v_min_f64 v[124:125], v[124:125], v[129:130]
	s_waitcnt vmcnt(0)
	s_delay_alu instid0(VALU_DEP_1) | instskip(SKIP_4) | instid1(VALU_DEP_1)
	v_add_f64 v[124:125], v[124:125], v[126:127]
	v_mov_b32_e32 v127, 0x108
	;; [unrolled: 8-line block ×27, first 2 shown]
	scratch_store_b64 v98, v[99:100], off
	scratch_load_b64 v[100:101], v97, off
	v_max_f64 v[98:99], v[62:63], v[62:63]
	v_min_f64 v[98:99], v[98:99], v[129:130]
	s_waitcnt vmcnt(0)
	s_delay_alu instid0(VALU_DEP_1)
	v_add_f64 v[98:99], v[98:99], v[100:101]
	v_mov_b32_e32 v101, 0x1d8
	v_mov_b32_e32 v100, 0x1e0
	scratch_store_b64 v97, v[98:99], off
	v_mov_b32_e32 v99, 0x1e8
	v_mov_b32_e32 v98, 0x1f0
	;; [unrolled: 1-line block ×3, first 2 shown]
	s_cbranch_vccnz .LBB132_61
; %bb.62:                               ;   in Loop: Header=BB132_32 Depth=1
	ds_load_2addr_b64 v[0:3], v86 offset0:3 offset1:19
	ds_load_2addr_b64 v[4:7], v86 offset0:35 offset1:51
	;; [unrolled: 1-line block ×12, first 2 shown]
	v_dual_mov_b32 v127, 0 :: v_dual_add_nc_u32 v64, 24, v90
	ds_load_2addr_b64 v[48:51], v96 offset0:131 offset1:147
	ds_load_2addr_b64 v[52:55], v96 offset0:163 offset1:179
	;; [unrolled: 1-line block ×4, first 2 shown]
	ds_load_2addr_stride64_b64 v[64:67], v64 offset1:4
	v_dual_mov_b32 v126, 8 :: v_dual_mov_b32 v125, 16
	v_dual_mov_b32 v124, 24 :: v_dual_mov_b32 v123, 32
	;; [unrolled: 1-line block ×4, first 2 shown]
	v_mov_b32_e32 v118, 0x48
	v_mov_b32_e32 v117, 0x50
	;; [unrolled: 1-line block ×23, first 2 shown]
	s_mov_b64 s[6:7], 0
	s_mov_b32 s24, -1
.LBB132_63:                             ;   Parent Loop BB132_32 Depth=1
                                        ; =>  This Inner Loop Header: Depth=2
	scratch_load_b64 v[132:133], v127, off
	s_cmp_eq_u32 s6, 1
	s_waitcnt lgkmcnt(16)
	v_max_f64 v[130:131], v[0:1], v[0:1]
	s_cselect_b32 vcc_lo, -1, 0
	s_mov_b64 s[6:7], 1
	s_waitcnt lgkmcnt(0)
	v_dual_cndmask_b32 v129, v65, v67 :: v_dual_cndmask_b32 v128, v64, v66
	s_and_b32 vcc_lo, exec_lo, s24
	s_mov_b32 s24, 0
	s_delay_alu instid0(VALU_DEP_1) | instskip(NEXT) | instid1(VALU_DEP_1)
	v_max_f64 v[128:129], v[128:129], v[128:129]
	v_min_f64 v[130:131], v[130:131], v[128:129]
	s_waitcnt vmcnt(0)
	s_delay_alu instid0(VALU_DEP_1) | instskip(SKIP_3) | instid1(VALU_DEP_1)
	v_add_f64 v[130:131], v[132:133], v[130:131]
	scratch_load_b64 v[132:133], v126, off
	scratch_store_b64 v127, v[130:131], off
	v_max_f64 v[130:131], v[2:3], v[2:3]
	v_min_f64 v[130:131], v[130:131], v[128:129]
	s_waitcnt vmcnt(0)
	s_delay_alu instid0(VALU_DEP_1) | instskip(SKIP_3) | instid1(VALU_DEP_1)
	v_add_f64 v[130:131], v[130:131], v[132:133]
	scratch_store_b64 v126, v[130:131], off
	scratch_load_b64 v[130:131], v125, off
	v_max_f64 v[126:127], v[4:5], v[4:5]
	v_min_f64 v[126:127], v[126:127], v[128:129]
	s_waitcnt vmcnt(0)
	s_delay_alu instid0(VALU_DEP_1) | instskip(SKIP_3) | instid1(VALU_DEP_1)
	v_add_f64 v[126:127], v[126:127], v[130:131]
	scratch_load_b64 v[130:131], v124, off
	scratch_store_b64 v125, v[126:127], off
	v_max_f64 v[125:126], v[6:7], v[6:7]
	v_min_f64 v[125:126], v[125:126], v[128:129]
	s_waitcnt vmcnt(0)
	s_delay_alu instid0(VALU_DEP_1) | instskip(SKIP_3) | instid1(VALU_DEP_1)
	v_add_f64 v[125:126], v[125:126], v[130:131]
	scratch_store_b64 v124, v[125:126], off
	scratch_load_b64 v[126:127], v123, off
	v_max_f64 v[124:125], v[8:9], v[8:9]
	v_min_f64 v[124:125], v[124:125], v[128:129]
	s_waitcnt vmcnt(0)
	s_delay_alu instid0(VALU_DEP_1) | instskip(SKIP_4) | instid1(VALU_DEP_1)
	v_add_f64 v[124:125], v[124:125], v[126:127]
	v_mov_b32_e32 v127, 0x100
	scratch_store_b64 v123, v[124:125], off
	scratch_load_b64 v[125:126], v122, off
	v_max_f64 v[123:124], v[10:11], v[10:11]
	v_min_f64 v[123:124], v[123:124], v[128:129]
	s_waitcnt vmcnt(0)
	s_delay_alu instid0(VALU_DEP_1) | instskip(SKIP_4) | instid1(VALU_DEP_1)
	v_add_f64 v[123:124], v[123:124], v[125:126]
	v_mov_b32_e32 v126, 0x108
	;; [unrolled: 8-line block ×27, first 2 shown]
	scratch_store_b64 v97, v[98:99], off
	scratch_load_b64 v[99:100], v96, off
	v_max_f64 v[97:98], v[62:63], v[62:63]
	v_min_f64 v[97:98], v[97:98], v[128:129]
	s_waitcnt vmcnt(0)
	s_delay_alu instid0(VALU_DEP_1)
	v_add_f64 v[97:98], v[97:98], v[99:100]
	v_mov_b32_e32 v100, 0x1d8
	v_mov_b32_e32 v99, 0x1e0
	scratch_store_b64 v96, v[97:98], off
	v_mov_b32_e32 v98, 0x1e8
	v_mov_b32_e32 v97, 0x1f0
	;; [unrolled: 1-line block ×3, first 2 shown]
	s_cbranch_vccnz .LBB132_63
; %bb.64:                               ;   in Loop: Header=BB132_32 Depth=1
	s_add_i32 s23, s23, 8
	s_add_i32 s21, s21, 8
	s_cmp_ge_i32 s23, s22
	ds_store_2addr_stride64_b64 v91, v[76:77], v[74:75] offset1:4
	ds_store_2addr_stride64_b64 v92, v[80:81], v[78:79] offset1:4
	s_waitcnt lgkmcnt(0)
	s_waitcnt_vscnt null, 0x0
	s_barrier
	buffer_gl0_inv
	s_cbranch_scc0 .LBB132_32
.LBB132_65:
	v_dual_mov_b32 v71, 8 :: v_dual_add_nc_u32 v28, 0x1000, v86
	v_dual_mov_b32 v75, 40 :: v_dual_add_nc_u32 v60, 0x1800, v86
	;; [unrolled: 1-line block ×3, first 2 shown]
	ds_load_2addr_b64 v[0:3], v28 offset1:16
	ds_load_2addr_b64 v[4:7], v28 offset0:32 offset1:48
	ds_load_2addr_b64 v[8:11], v28 offset0:64 offset1:80
	;; [unrolled: 1-line block ×7, first 2 shown]
	ds_load_2addr_b64 v[32:35], v60 offset1:16
	ds_load_2addr_b64 v[36:39], v60 offset0:32 offset1:48
	ds_load_2addr_b64 v[40:43], v60 offset0:64 offset1:80
	;; [unrolled: 1-line block ×7, first 2 shown]
	ds_load_2addr_stride64_b64 v[64:67], v88 offset0:24 offset1:28
	v_dual_mov_b32 v70, 0 :: v_dual_add_nc_u32 v69, 0x3000, v88
	v_dual_mov_b32 v72, 16 :: v_dual_mov_b32 v77, 56
	v_dual_mov_b32 v74, 32 :: v_dual_mov_b32 v79, 0x48
	;; [unrolled: 1-line block ×4, first 2 shown]
	v_mov_b32_e32 v80, 0x50
	v_mov_b32_e32 v84, 0x60
	v_mov_b32_e32 v86, 0x70
	v_mov_b32_e32 v87, 0x78
	v_mov_b32_e32 v88, 0x80
	v_mov_b32_e32 v89, 0x88
	v_mov_b32_e32 v90, 0x90
	v_mov_b32_e32 v91, 0x98
	v_mov_b32_e32 v92, 0xa0
	v_mov_b32_e32 v93, 0xa8
	v_mov_b32_e32 v94, 0xb0
	v_mov_b32_e32 v95, 0xb8
	v_mov_b32_e32 v96, 0xc0
	v_mov_b32_e32 v97, 0xc8
	v_mov_b32_e32 v98, 0xd0
	v_mov_b32_e32 v99, 0xd8
	v_mov_b32_e32 v100, 0xe0
	v_mov_b32_e32 v101, 0xe8
	v_mov_b32_e32 v102, 0xf0
	v_mov_b32_e32 v103, 0xf8
	s_mov_b64 s[2:3], 0
	s_mov_b32 s4, -1
.LBB132_66:                             ; =>This Inner Loop Header: Depth=1
	scratch_load_b64 v[104:105], v70, off
	scratch_load_b64 v[106:107], v71, off
	;; [unrolled: 1-line block ×32, first 2 shown]
	s_cmp_eq_u32 s2, 1
	s_waitcnt lgkmcnt(16)
	v_max_f64 v[170:171], v[0:1], v[0:1]
	s_cselect_b32 vcc_lo, -1, 0
	v_max_f64 v[172:173], v[2:3], v[2:3]
	s_waitcnt lgkmcnt(0)
	v_dual_cndmask_b32 v169, v65, v67 :: v_dual_cndmask_b32 v168, v64, v66
	v_max_f64 v[174:175], v[4:5], v[4:5]
	v_max_f64 v[176:177], v[6:7], v[6:7]
	;; [unrolled: 1-line block ×31, first 2 shown]
	s_mov_b64 s[2:3], 1
	s_and_b32 vcc_lo, exec_lo, s4
	s_mov_b32 s4, 0
	v_min_f64 v[170:171], v[170:171], v[168:169]
	v_min_f64 v[172:173], v[172:173], v[168:169]
	v_min_f64 v[174:175], v[174:175], v[168:169]
	v_min_f64 v[176:177], v[176:177], v[168:169]
	v_min_f64 v[178:179], v[178:179], v[168:169]
	v_min_f64 v[180:181], v[180:181], v[168:169]
	v_min_f64 v[182:183], v[182:183], v[168:169]
	v_min_f64 v[184:185], v[184:185], v[168:169]
	v_min_f64 v[186:187], v[186:187], v[168:169]
	v_min_f64 v[188:189], v[188:189], v[168:169]
	v_min_f64 v[190:191], v[190:191], v[168:169]
	v_min_f64 v[192:193], v[192:193], v[168:169]
	v_min_f64 v[194:195], v[194:195], v[168:169]
	v_min_f64 v[196:197], v[196:197], v[168:169]
	v_min_f64 v[198:199], v[198:199], v[168:169]
	v_min_f64 v[200:201], v[200:201], v[168:169]
	v_min_f64 v[202:203], v[202:203], v[168:169]
	v_min_f64 v[204:205], v[204:205], v[168:169]
	v_min_f64 v[206:207], v[206:207], v[168:169]
	v_min_f64 v[208:209], v[208:209], v[168:169]
	v_min_f64 v[210:211], v[210:211], v[168:169]
	v_min_f64 v[212:213], v[212:213], v[168:169]
	v_min_f64 v[214:215], v[214:215], v[168:169]
	v_min_f64 v[216:217], v[216:217], v[168:169]
	v_min_f64 v[218:219], v[218:219], v[168:169]
	v_min_f64 v[220:221], v[220:221], v[168:169]
	v_min_f64 v[222:223], v[222:223], v[168:169]
	v_min_f64 v[224:225], v[224:225], v[168:169]
	v_min_f64 v[226:227], v[226:227], v[168:169]
	v_min_f64 v[228:229], v[228:229], v[168:169]
	v_min_f64 v[230:231], v[230:231], v[168:169]
	v_min_f64 v[168:169], v[232:233], v[168:169]
	s_waitcnt vmcnt(31)
	v_add_f64 v[104:105], v[104:105], v[170:171]
	s_waitcnt vmcnt(30)
	v_add_f64 v[106:107], v[172:173], v[106:107]
	;; [unrolled: 2-line block ×32, first 2 shown]
	scratch_store_b64 v70, v[104:105], off
	scratch_store_b64 v71, v[106:107], off
	;; [unrolled: 1-line block ×32, first 2 shown]
	v_mov_b32_e32 v70, 0x100
	v_mov_b32_e32 v71, 0x108
	;; [unrolled: 1-line block ×32, first 2 shown]
	s_cbranch_vccnz .LBB132_66
; %bb.67:
	v_dual_mov_b32 v71, 8 :: v_dual_add_nc_u32 v60, 0x800, v68
	ds_load_2addr_b64 v[0:3], v68 offset0:1 offset1:17
	ds_load_2addr_b64 v[4:7], v68 offset0:33 offset1:49
	;; [unrolled: 1-line block ×12, first 2 shown]
	v_dual_mov_b32 v73, 24 :: v_dual_add_nc_u32 v64, 8, v69
	ds_load_2addr_b64 v[48:51], v60 offset0:129 offset1:145
	ds_load_2addr_b64 v[52:55], v60 offset0:161 offset1:177
	;; [unrolled: 1-line block ×4, first 2 shown]
	ds_load_2addr_stride64_b64 v[64:67], v64 offset1:4
	v_dual_mov_b32 v70, 0 :: v_dual_mov_b32 v75, 40
	v_dual_mov_b32 v72, 16 :: v_dual_mov_b32 v77, 56
	;; [unrolled: 1-line block ×5, first 2 shown]
	v_mov_b32_e32 v80, 0x50
	v_mov_b32_e32 v84, 0x60
	;; [unrolled: 1-line block ×20, first 2 shown]
	s_mov_b64 s[2:3], 0
	s_mov_b32 s4, -1
.LBB132_68:                             ; =>This Inner Loop Header: Depth=1
	scratch_load_b64 v[104:105], v70, off
	scratch_load_b64 v[106:107], v71, off
	;; [unrolled: 1-line block ×32, first 2 shown]
	s_cmp_eq_u32 s2, 1
	s_waitcnt lgkmcnt(16)
	v_max_f64 v[170:171], v[0:1], v[0:1]
	s_cselect_b32 vcc_lo, -1, 0
	v_max_f64 v[172:173], v[2:3], v[2:3]
	s_waitcnt lgkmcnt(0)
	v_dual_cndmask_b32 v169, v65, v67 :: v_dual_cndmask_b32 v168, v64, v66
	v_max_f64 v[174:175], v[4:5], v[4:5]
	v_max_f64 v[176:177], v[6:7], v[6:7]
	;; [unrolled: 1-line block ×31, first 2 shown]
	s_mov_b64 s[2:3], 1
	s_and_b32 vcc_lo, exec_lo, s4
	s_mov_b32 s4, 0
	v_min_f64 v[170:171], v[170:171], v[168:169]
	v_min_f64 v[172:173], v[172:173], v[168:169]
	;; [unrolled: 1-line block ×32, first 2 shown]
	s_waitcnt vmcnt(31)
	v_add_f64 v[104:105], v[104:105], v[170:171]
	s_waitcnt vmcnt(30)
	v_add_f64 v[106:107], v[172:173], v[106:107]
	;; [unrolled: 2-line block ×32, first 2 shown]
	scratch_store_b64 v70, v[104:105], off
	scratch_store_b64 v71, v[106:107], off
	;; [unrolled: 1-line block ×32, first 2 shown]
	v_mov_b32_e32 v70, 0x100
	v_mov_b32_e32 v71, 0x108
	;; [unrolled: 1-line block ×32, first 2 shown]
	s_cbranch_vccnz .LBB132_68
; %bb.69:
	v_dual_mov_b32 v71, 8 :: v_dual_add_nc_u32 v60, 0x800, v68
	ds_load_2addr_b64 v[0:3], v68 offset0:2 offset1:18
	ds_load_2addr_b64 v[4:7], v68 offset0:34 offset1:50
	ds_load_2addr_b64 v[8:11], v68 offset0:66 offset1:82
	ds_load_2addr_b64 v[12:15], v68 offset0:98 offset1:114
	ds_load_2addr_b64 v[16:19], v68 offset0:130 offset1:146
	ds_load_2addr_b64 v[20:23], v68 offset0:162 offset1:178
	ds_load_2addr_b64 v[24:27], v68 offset0:194 offset1:210
	ds_load_2addr_b64 v[28:31], v68 offset0:226 offset1:242
	ds_load_2addr_b64 v[32:35], v60 offset0:2 offset1:18
	ds_load_2addr_b64 v[36:39], v60 offset0:34 offset1:50
	ds_load_2addr_b64 v[40:43], v60 offset0:66 offset1:82
	ds_load_2addr_b64 v[44:47], v60 offset0:98 offset1:114
	v_dual_mov_b32 v73, 24 :: v_dual_add_nc_u32 v64, 16, v69
	ds_load_2addr_b64 v[48:51], v60 offset0:130 offset1:146
	ds_load_2addr_b64 v[52:55], v60 offset0:162 offset1:178
	;; [unrolled: 1-line block ×4, first 2 shown]
	ds_load_2addr_stride64_b64 v[64:67], v64 offset1:4
	v_dual_mov_b32 v70, 0 :: v_dual_mov_b32 v75, 40
	v_dual_mov_b32 v72, 16 :: v_dual_mov_b32 v77, 56
	;; [unrolled: 1-line block ×5, first 2 shown]
	v_mov_b32_e32 v80, 0x50
	v_mov_b32_e32 v84, 0x60
	;; [unrolled: 1-line block ×20, first 2 shown]
	s_mov_b64 s[2:3], 0
	s_mov_b32 s4, -1
.LBB132_70:                             ; =>This Inner Loop Header: Depth=1
	scratch_load_b64 v[104:105], v70, off
	scratch_load_b64 v[106:107], v71, off
	;; [unrolled: 1-line block ×32, first 2 shown]
	s_cmp_eq_u32 s2, 1
	s_waitcnt lgkmcnt(16)
	v_max_f64 v[170:171], v[0:1], v[0:1]
	s_cselect_b32 vcc_lo, -1, 0
	v_max_f64 v[172:173], v[2:3], v[2:3]
	s_waitcnt lgkmcnt(0)
	v_dual_cndmask_b32 v169, v65, v67 :: v_dual_cndmask_b32 v168, v64, v66
	v_max_f64 v[174:175], v[4:5], v[4:5]
	v_max_f64 v[176:177], v[6:7], v[6:7]
	;; [unrolled: 1-line block ×31, first 2 shown]
	s_mov_b64 s[2:3], 1
	s_and_b32 vcc_lo, exec_lo, s4
	s_mov_b32 s4, 0
	v_min_f64 v[170:171], v[170:171], v[168:169]
	v_min_f64 v[172:173], v[172:173], v[168:169]
	v_min_f64 v[174:175], v[174:175], v[168:169]
	v_min_f64 v[176:177], v[176:177], v[168:169]
	v_min_f64 v[178:179], v[178:179], v[168:169]
	v_min_f64 v[180:181], v[180:181], v[168:169]
	v_min_f64 v[182:183], v[182:183], v[168:169]
	v_min_f64 v[184:185], v[184:185], v[168:169]
	v_min_f64 v[186:187], v[186:187], v[168:169]
	v_min_f64 v[188:189], v[188:189], v[168:169]
	v_min_f64 v[190:191], v[190:191], v[168:169]
	v_min_f64 v[192:193], v[192:193], v[168:169]
	v_min_f64 v[194:195], v[194:195], v[168:169]
	v_min_f64 v[196:197], v[196:197], v[168:169]
	v_min_f64 v[198:199], v[198:199], v[168:169]
	v_min_f64 v[200:201], v[200:201], v[168:169]
	v_min_f64 v[202:203], v[202:203], v[168:169]
	v_min_f64 v[204:205], v[204:205], v[168:169]
	v_min_f64 v[206:207], v[206:207], v[168:169]
	v_min_f64 v[208:209], v[208:209], v[168:169]
	v_min_f64 v[210:211], v[210:211], v[168:169]
	v_min_f64 v[212:213], v[212:213], v[168:169]
	v_min_f64 v[214:215], v[214:215], v[168:169]
	v_min_f64 v[216:217], v[216:217], v[168:169]
	v_min_f64 v[218:219], v[218:219], v[168:169]
	v_min_f64 v[220:221], v[220:221], v[168:169]
	v_min_f64 v[222:223], v[222:223], v[168:169]
	v_min_f64 v[224:225], v[224:225], v[168:169]
	v_min_f64 v[226:227], v[226:227], v[168:169]
	v_min_f64 v[228:229], v[228:229], v[168:169]
	v_min_f64 v[230:231], v[230:231], v[168:169]
	v_min_f64 v[168:169], v[232:233], v[168:169]
	s_waitcnt vmcnt(31)
	v_add_f64 v[104:105], v[104:105], v[170:171]
	s_waitcnt vmcnt(30)
	v_add_f64 v[106:107], v[172:173], v[106:107]
	;; [unrolled: 2-line block ×32, first 2 shown]
	scratch_store_b64 v70, v[104:105], off
	scratch_store_b64 v71, v[106:107], off
	;; [unrolled: 1-line block ×32, first 2 shown]
	v_mov_b32_e32 v70, 0x100
	v_mov_b32_e32 v71, 0x108
	v_mov_b32_e32 v72, 0x110
	v_mov_b32_e32 v73, 0x118
	v_mov_b32_e32 v74, 0x120
	v_mov_b32_e32 v75, 0x128
	v_mov_b32_e32 v76, 0x130
	v_mov_b32_e32 v77, 0x138
	v_mov_b32_e32 v78, 0x140
	v_mov_b32_e32 v79, 0x148
	v_mov_b32_e32 v80, 0x150
	v_mov_b32_e32 v81, 0x158
	v_mov_b32_e32 v84, 0x160
	v_mov_b32_e32 v85, 0x168
	v_mov_b32_e32 v86, 0x170
	v_mov_b32_e32 v87, 0x178
	v_mov_b32_e32 v88, 0x180
	v_mov_b32_e32 v89, 0x188
	v_mov_b32_e32 v90, 0x190
	v_mov_b32_e32 v91, 0x198
	v_mov_b32_e32 v92, 0x1a0
	v_mov_b32_e32 v93, 0x1a8
	v_mov_b32_e32 v94, 0x1b0
	v_mov_b32_e32 v95, 0x1b8
	v_mov_b32_e32 v96, 0x1c0
	v_mov_b32_e32 v97, 0x1c8
	v_mov_b32_e32 v98, 0x1d0
	v_mov_b32_e32 v99, 0x1d8
	v_mov_b32_e32 v100, 0x1e0
	v_mov_b32_e32 v101, 0x1e8
	v_mov_b32_e32 v102, 0x1f0
	v_mov_b32_e32 v103, 0x1f8
	s_cbranch_vccnz .LBB132_70
; %bb.71:
	v_add_nc_u32_e32 v60, 0x800, v68
	ds_load_2addr_b64 v[0:3], v68 offset0:3 offset1:19
	ds_load_2addr_b64 v[4:7], v68 offset0:35 offset1:51
	;; [unrolled: 1-line block ×4, first 2 shown]
	v_dual_mov_b32 v71, 24 :: v_dual_add_nc_u32 v64, 24, v69
	v_mov_b32_e32 v69, 8
	ds_load_2addr_b64 v[16:19], v68 offset0:131 offset1:147
	ds_load_2addr_b64 v[20:23], v68 offset0:163 offset1:179
	;; [unrolled: 1-line block ×12, first 2 shown]
	ds_load_2addr_stride64_b64 v[64:67], v64 offset1:4
	v_dual_mov_b32 v68, 0 :: v_dual_mov_b32 v73, 40
	v_dual_mov_b32 v70, 16 :: v_dual_mov_b32 v75, 56
	;; [unrolled: 1-line block ×5, first 2 shown]
	v_mov_b32_e32 v78, 0x50
	v_mov_b32_e32 v80, 0x60
	;; [unrolled: 1-line block ×20, first 2 shown]
	s_mov_b64 s[2:3], 0
	s_mov_b32 s4, -1
.LBB132_72:                             ; =>This Inner Loop Header: Depth=1
	scratch_load_b64 v[102:103], v68, off
	scratch_load_b64 v[104:105], v69, off
	;; [unrolled: 1-line block ×32, first 2 shown]
	s_cmp_eq_u32 s2, 1
	s_waitcnt lgkmcnt(16)
	v_max_f64 v[168:169], v[0:1], v[0:1]
	s_cselect_b32 vcc_lo, -1, 0
	v_max_f64 v[170:171], v[2:3], v[2:3]
	s_waitcnt lgkmcnt(0)
	v_dual_cndmask_b32 v167, v65, v67 :: v_dual_cndmask_b32 v166, v64, v66
	v_max_f64 v[172:173], v[4:5], v[4:5]
	v_max_f64 v[174:175], v[6:7], v[6:7]
	;; [unrolled: 1-line block ×31, first 2 shown]
	s_mov_b64 s[2:3], 1
	s_and_b32 vcc_lo, exec_lo, s4
	s_mov_b32 s4, 0
	v_min_f64 v[168:169], v[168:169], v[166:167]
	v_min_f64 v[170:171], v[170:171], v[166:167]
	;; [unrolled: 1-line block ×32, first 2 shown]
	s_waitcnt vmcnt(31)
	v_add_f64 v[102:103], v[102:103], v[168:169]
	s_waitcnt vmcnt(30)
	v_add_f64 v[104:105], v[170:171], v[104:105]
	;; [unrolled: 2-line block ×32, first 2 shown]
	scratch_store_b64 v68, v[102:103], off
	scratch_store_b64 v69, v[104:105], off
	;; [unrolled: 1-line block ×32, first 2 shown]
	v_mov_b32_e32 v68, 0x100
	v_mov_b32_e32 v69, 0x108
	;; [unrolled: 1-line block ×32, first 2 shown]
	s_cbranch_vccnz .LBB132_72
; %bb.73:
	s_clause 0x2
	s_load_b32 s39, s[0:1], 0x58
	s_load_b32 s38, s[0:1], 0x70
	s_load_b64 s[2:3], s[0:1], 0x78
	v_add_nc_u32_e32 v71, s15, v83
	v_add_nc_u32_e32 v0, s14, v82
	v_cndmask_b32_e64 v70, 0, 1, s42
	s_delay_alu instid0(VALU_DEP_3) | instskip(NEXT) | instid1(VALU_DEP_3)
	v_cmp_gt_i32_e64 s11, s37, v71
	v_cmp_gt_i32_e64 s0, s36, v0
	s_waitcnt lgkmcnt(0)
	v_mad_i64_i32 v[1:2], null, v71, s39, 0
	v_mad_i64_i32 v[3:4], null, v71, s38, 0
	s_lshl_b64 s[2:3], s[2:3], 3
	s_delay_alu instid0(SALU_CYCLE_1) | instskip(SKIP_1) | instid1(VALU_DEP_2)
	s_add_u32 s43, s8, s2
	s_addc_u32 s44, s9, s3
	v_lshlrev_b64 v[5:6], 3, v[1:2]
	v_ashrrev_i32_e32 v1, 31, v0
	s_delay_alu instid0(VALU_DEP_3) | instskip(SKIP_1) | instid1(VALU_DEP_3)
	v_lshlrev_b64 v[2:3], 3, v[3:4]
	s_and_b32 s1, s11, s0
	v_add_co_u32 v68, vcc_lo, s40, v5
	s_delay_alu instid0(VALU_DEP_4) | instskip(NEXT) | instid1(VALU_DEP_3)
	v_add_co_ci_u32_e32 v69, vcc_lo, s41, v6, vcc_lo
	v_add_co_u32 v72, vcc_lo, s43, v2
	s_delay_alu instid0(VALU_DEP_4) | instskip(SKIP_1) | instid1(SALU_CYCLE_1)
	v_add_co_ci_u32_e32 v73, vcc_lo, s44, v3, vcc_lo
	s_and_saveexec_b32 s2, s1
	s_xor_b32 s1, exec_lo, s2
	s_cbranch_execz .LBB132_78
; %bb.74:
	scratch_load_b64 v[2:3], off, off
	v_lshlrev_b64 v[4:5], 3, v[0:1]
	s_and_not1_b32 vcc_lo, exec_lo, s42
	s_cbranch_vccnz .LBB132_76
; %bb.75:
	s_delay_alu instid0(VALU_DEP_1) | instskip(NEXT) | instid1(VALU_DEP_2)
	v_add_co_u32 v6, vcc_lo, v68, v4
	v_add_co_ci_u32_e32 v7, vcc_lo, v69, v5, vcc_lo
	flat_load_b64 v[6:7], v[6:7]
	s_waitcnt vmcnt(0) lgkmcnt(0)
	v_mul_f64 v[6:7], s[34:35], v[6:7]
	s_branch .LBB132_77
.LBB132_76:
	v_mov_b32_e32 v6, 0
	v_mov_b32_e32 v7, 0
.LBB132_77:
	s_waitcnt vmcnt(0)
	s_delay_alu instid0(VALU_DEP_1)
	v_add_f64 v[2:3], v[2:3], v[6:7]
	v_add_co_u32 v4, vcc_lo, v72, v4
	v_add_co_ci_u32_e32 v5, vcc_lo, v73, v5, vcc_lo
	global_store_b64 v[4:5], v[2:3], off
.LBB132_78:
	s_or_b32 exec_lo, exec_lo, s1
	v_add_nc_u32_e32 v2, 4, v0
	s_delay_alu instid0(VALU_DEP_1) | instskip(SKIP_1) | instid1(VALU_DEP_2)
	v_cmp_gt_i32_e64 s1, s36, v2
	v_ashrrev_i32_e32 v3, 31, v2
	s_and_b32 s3, s11, s1
	s_delay_alu instid0(SALU_CYCLE_1)
	s_and_saveexec_b32 s2, s3
	s_cbranch_execz .LBB132_83
; %bb.79:
	scratch_load_b64 v[4:5], off, off offset:8
	v_lshlrev_b64 v[6:7], 3, v[2:3]
	s_and_not1_b32 vcc_lo, exec_lo, s42
	s_cbranch_vccnz .LBB132_81
; %bb.80:
	s_delay_alu instid0(VALU_DEP_1) | instskip(NEXT) | instid1(VALU_DEP_2)
	v_add_co_u32 v8, vcc_lo, v68, v6
	v_add_co_ci_u32_e32 v9, vcc_lo, v69, v7, vcc_lo
	flat_load_b64 v[8:9], v[8:9]
	s_waitcnt vmcnt(0) lgkmcnt(0)
	v_mul_f64 v[8:9], s[34:35], v[8:9]
	s_branch .LBB132_82
.LBB132_81:
	v_mov_b32_e32 v8, 0
	v_mov_b32_e32 v9, 0
.LBB132_82:
	s_waitcnt vmcnt(0)
	s_delay_alu instid0(VALU_DEP_1)
	v_add_f64 v[4:5], v[4:5], v[8:9]
	v_add_co_u32 v6, vcc_lo, v72, v6
	v_add_co_ci_u32_e32 v7, vcc_lo, v73, v7, vcc_lo
	global_store_b64 v[6:7], v[4:5], off
.LBB132_83:
	s_or_b32 exec_lo, exec_lo, s2
	v_add_nc_u32_e32 v4, 8, v0
	s_delay_alu instid0(VALU_DEP_1) | instskip(SKIP_1) | instid1(VALU_DEP_2)
	v_cmp_gt_i32_e64 s2, s36, v4
	v_ashrrev_i32_e32 v5, 31, v4
	s_and_b32 s4, s11, s2
	s_delay_alu instid0(SALU_CYCLE_1)
	s_and_saveexec_b32 s3, s4
	s_cbranch_execz .LBB132_88
; %bb.84:
	scratch_load_b64 v[6:7], off, off offset:16
	v_lshlrev_b64 v[8:9], 3, v[4:5]
	s_and_not1_b32 vcc_lo, exec_lo, s42
	s_cbranch_vccnz .LBB132_86
; %bb.85:
	s_delay_alu instid0(VALU_DEP_1) | instskip(NEXT) | instid1(VALU_DEP_2)
	v_add_co_u32 v10, vcc_lo, v68, v8
	v_add_co_ci_u32_e32 v11, vcc_lo, v69, v9, vcc_lo
	flat_load_b64 v[10:11], v[10:11]
	s_waitcnt vmcnt(0) lgkmcnt(0)
	v_mul_f64 v[10:11], s[34:35], v[10:11]
	s_branch .LBB132_87
.LBB132_86:
	v_mov_b32_e32 v10, 0
	v_mov_b32_e32 v11, 0
.LBB132_87:
	s_waitcnt vmcnt(0)
	s_delay_alu instid0(VALU_DEP_1)
	v_add_f64 v[6:7], v[6:7], v[10:11]
	v_add_co_u32 v8, vcc_lo, v72, v8
	v_add_co_ci_u32_e32 v9, vcc_lo, v73, v9, vcc_lo
	global_store_b64 v[8:9], v[6:7], off
.LBB132_88:
	;; [unrolled: 33-line block ×31, first 2 shown]
	s_or_b32 exec_lo, exec_lo, s11
	v_add_nc_u32_e32 v68, 64, v71
	s_delay_alu instid0(VALU_DEP_1) | instskip(SKIP_2) | instid1(VALU_DEP_3)
	v_mad_i64_i32 v[64:65], null, v68, s39, 0
	v_mad_i64_i32 v[66:67], null, v68, s38, 0
	v_cmp_gt_i32_e64 s11, s37, v68
	v_lshlrev_b64 v[64:65], 3, v[64:65]
	s_delay_alu instid0(VALU_DEP_2) | instskip(NEXT) | instid1(VALU_DEP_3)
	s_and_b32 s0, s11, s0
	v_lshlrev_b64 v[66:67], 3, v[66:67]
	s_delay_alu instid0(VALU_DEP_2) | instskip(NEXT) | instid1(VALU_DEP_3)
	v_add_co_u32 v71, vcc_lo, s40, v64
	v_add_co_ci_u32_e32 v72, vcc_lo, s41, v65, vcc_lo
	s_delay_alu instid0(VALU_DEP_3) | instskip(NEXT) | instid1(VALU_DEP_4)
	v_add_co_u32 v68, vcc_lo, s43, v66
	v_add_co_ci_u32_e32 v69, vcc_lo, s44, v67, vcc_lo
	s_and_saveexec_b32 s36, s0
	s_delay_alu instid0(SALU_CYCLE_1)
	s_xor_b32 s0, exec_lo, s36
	s_cbranch_execnz .LBB132_266
; %bb.234:
	s_or_b32 exec_lo, exec_lo, s0
	s_and_b32 s1, s11, s1
	s_delay_alu instid0(SALU_CYCLE_1)
	s_and_saveexec_b32 s0, s1
	s_cbranch_execnz .LBB132_270
.LBB132_235:
	s_or_b32 exec_lo, exec_lo, s0
	s_and_b32 s1, s11, s2
	s_delay_alu instid0(SALU_CYCLE_1)
	s_and_saveexec_b32 s0, s1
	s_cbranch_execnz .LBB132_274
.LBB132_236:
	s_or_b32 exec_lo, exec_lo, s0
	s_and_b32 s1, s11, s3
	s_delay_alu instid0(SALU_CYCLE_1)
	s_and_saveexec_b32 s0, s1
	s_cbranch_execnz .LBB132_278
.LBB132_237:
	s_or_b32 exec_lo, exec_lo, s0
	s_and_b32 s1, s11, s4
	s_delay_alu instid0(SALU_CYCLE_1)
	s_and_saveexec_b32 s0, s1
	s_cbranch_execnz .LBB132_282
.LBB132_238:
	s_or_b32 exec_lo, exec_lo, s0
	s_and_b32 s1, s11, s5
	s_delay_alu instid0(SALU_CYCLE_1)
	s_and_saveexec_b32 s0, s1
	s_cbranch_execnz .LBB132_286
.LBB132_239:
	s_or_b32 exec_lo, exec_lo, s0
	s_and_b32 s1, s11, s6
	s_delay_alu instid0(SALU_CYCLE_1)
	s_and_saveexec_b32 s0, s1
	s_cbranch_execnz .LBB132_290
.LBB132_240:
	s_or_b32 exec_lo, exec_lo, s0
	s_and_b32 s1, s11, s7
	s_delay_alu instid0(SALU_CYCLE_1)
	s_and_saveexec_b32 s0, s1
	s_cbranch_execnz .LBB132_294
.LBB132_241:
	s_or_b32 exec_lo, exec_lo, s0
	s_and_b32 s1, s11, s8
	s_delay_alu instid0(SALU_CYCLE_1)
	s_and_saveexec_b32 s0, s1
	s_cbranch_execnz .LBB132_298
.LBB132_242:
	s_or_b32 exec_lo, exec_lo, s0
	s_and_b32 s1, s11, s9
	s_delay_alu instid0(SALU_CYCLE_1)
	s_and_saveexec_b32 s0, s1
	s_cbranch_execnz .LBB132_302
.LBB132_243:
	s_or_b32 exec_lo, exec_lo, s0
	s_and_b32 s1, s11, s10
	s_delay_alu instid0(SALU_CYCLE_1)
	s_and_saveexec_b32 s0, s1
	s_cbranch_execnz .LBB132_306
.LBB132_244:
	s_or_b32 exec_lo, exec_lo, s0
	s_and_b32 s1, s11, s12
	s_delay_alu instid0(SALU_CYCLE_1)
	s_and_saveexec_b32 s0, s1
	s_cbranch_execnz .LBB132_310
.LBB132_245:
	s_or_b32 exec_lo, exec_lo, s0
	s_and_b32 s1, s11, s13
	s_delay_alu instid0(SALU_CYCLE_1)
	s_and_saveexec_b32 s0, s1
	s_cbranch_execnz .LBB132_314
.LBB132_246:
	s_or_b32 exec_lo, exec_lo, s0
	s_and_b32 s1, s11, s14
	s_delay_alu instid0(SALU_CYCLE_1)
	s_and_saveexec_b32 s0, s1
	s_cbranch_execnz .LBB132_318
.LBB132_247:
	s_or_b32 exec_lo, exec_lo, s0
	s_and_b32 s1, s11, s15
	s_delay_alu instid0(SALU_CYCLE_1)
	s_and_saveexec_b32 s0, s1
	s_cbranch_execnz .LBB132_322
.LBB132_248:
	s_or_b32 exec_lo, exec_lo, s0
	s_and_b32 s1, s11, s16
	s_delay_alu instid0(SALU_CYCLE_1)
	s_and_saveexec_b32 s0, s1
	s_cbranch_execnz .LBB132_326
.LBB132_249:
	s_or_b32 exec_lo, exec_lo, s0
	s_and_b32 s1, s11, s17
	s_delay_alu instid0(SALU_CYCLE_1)
	s_and_saveexec_b32 s0, s1
	s_cbranch_execnz .LBB132_330
.LBB132_250:
	s_or_b32 exec_lo, exec_lo, s0
	s_and_b32 s1, s11, s18
	s_delay_alu instid0(SALU_CYCLE_1)
	s_and_saveexec_b32 s0, s1
	s_cbranch_execnz .LBB132_334
.LBB132_251:
	s_or_b32 exec_lo, exec_lo, s0
	s_and_b32 s1, s11, s19
	s_delay_alu instid0(SALU_CYCLE_1)
	s_and_saveexec_b32 s0, s1
	s_cbranch_execnz .LBB132_338
.LBB132_252:
	s_or_b32 exec_lo, exec_lo, s0
	s_and_b32 s1, s11, s20
	s_delay_alu instid0(SALU_CYCLE_1)
	s_and_saveexec_b32 s0, s1
	s_cbranch_execnz .LBB132_342
.LBB132_253:
	s_or_b32 exec_lo, exec_lo, s0
	s_and_b32 s1, s11, s21
	s_delay_alu instid0(SALU_CYCLE_1)
	s_and_saveexec_b32 s0, s1
	s_cbranch_execnz .LBB132_346
.LBB132_254:
	s_or_b32 exec_lo, exec_lo, s0
	s_and_b32 s1, s11, s22
	s_delay_alu instid0(SALU_CYCLE_1)
	s_and_saveexec_b32 s0, s1
	s_cbranch_execnz .LBB132_350
.LBB132_255:
	s_or_b32 exec_lo, exec_lo, s0
	s_and_b32 s1, s11, s23
	s_delay_alu instid0(SALU_CYCLE_1)
	s_and_saveexec_b32 s0, s1
	s_cbranch_execnz .LBB132_354
.LBB132_256:
	s_or_b32 exec_lo, exec_lo, s0
	s_and_b32 s1, s11, s24
	s_delay_alu instid0(SALU_CYCLE_1)
	s_and_saveexec_b32 s0, s1
	s_cbranch_execnz .LBB132_358
.LBB132_257:
	s_or_b32 exec_lo, exec_lo, s0
	s_and_b32 s1, s11, s25
	s_delay_alu instid0(SALU_CYCLE_1)
	s_and_saveexec_b32 s0, s1
	s_cbranch_execnz .LBB132_362
.LBB132_258:
	s_or_b32 exec_lo, exec_lo, s0
	s_and_b32 s1, s11, s26
	s_delay_alu instid0(SALU_CYCLE_1)
	s_and_saveexec_b32 s0, s1
	s_cbranch_execnz .LBB132_366
.LBB132_259:
	s_or_b32 exec_lo, exec_lo, s0
	s_and_b32 s1, s11, s27
	s_delay_alu instid0(SALU_CYCLE_1)
	s_and_saveexec_b32 s0, s1
	s_cbranch_execnz .LBB132_370
.LBB132_260:
	s_or_b32 exec_lo, exec_lo, s0
	s_and_b32 s1, s11, s28
	s_delay_alu instid0(SALU_CYCLE_1)
	s_and_saveexec_b32 s0, s1
	s_cbranch_execnz .LBB132_374
.LBB132_261:
	s_or_b32 exec_lo, exec_lo, s0
	s_and_b32 s1, s11, s29
	s_delay_alu instid0(SALU_CYCLE_1)
	s_and_saveexec_b32 s0, s1
	s_cbranch_execnz .LBB132_378
.LBB132_262:
	s_or_b32 exec_lo, exec_lo, s0
	s_and_b32 s1, s11, s30
	s_delay_alu instid0(SALU_CYCLE_1)
	s_and_saveexec_b32 s0, s1
	s_cbranch_execnz .LBB132_382
.LBB132_263:
	s_or_b32 exec_lo, exec_lo, s0
	s_and_b32 s1, s11, s31
	s_delay_alu instid0(SALU_CYCLE_1)
	s_and_saveexec_b32 s0, s1
	s_cbranch_execnz .LBB132_386
.LBB132_264:
	s_or_b32 exec_lo, exec_lo, s0
	s_and_b32 s0, s11, s33
	s_delay_alu instid0(SALU_CYCLE_1)
	s_and_saveexec_b32 s1, s0
	s_cbranch_execnz .LBB132_390
.LBB132_265:
	s_endpgm
.LBB132_266:
	scratch_load_b64 v[64:65], off, off offset:256
	v_lshlrev_b64 v[0:1], 3, v[0:1]
	s_and_not1_b32 vcc_lo, exec_lo, s42
	s_cbranch_vccnz .LBB132_268
; %bb.267:
	s_delay_alu instid0(VALU_DEP_1) | instskip(NEXT) | instid1(VALU_DEP_2)
	v_add_co_u32 v66, vcc_lo, v71, v0
	v_add_co_ci_u32_e32 v67, vcc_lo, v72, v1, vcc_lo
	flat_load_b64 v[66:67], v[66:67]
	s_waitcnt vmcnt(0) lgkmcnt(0)
	v_mul_f64 v[66:67], s[34:35], v[66:67]
	s_branch .LBB132_269
.LBB132_268:
	v_mov_b32_e32 v66, 0
	v_mov_b32_e32 v67, 0
.LBB132_269:
	s_waitcnt vmcnt(0)
	s_delay_alu instid0(VALU_DEP_1)
	v_add_f64 v[64:65], v[64:65], v[66:67]
	v_add_co_u32 v0, vcc_lo, v68, v0
	v_add_co_ci_u32_e32 v1, vcc_lo, v69, v1, vcc_lo
	global_store_b64 v[0:1], v[64:65], off
	s_or_b32 exec_lo, exec_lo, s0
	s_and_b32 s1, s11, s1
	s_delay_alu instid0(SALU_CYCLE_1)
	s_and_saveexec_b32 s0, s1
	s_cbranch_execz .LBB132_235
.LBB132_270:
	scratch_load_b64 v[0:1], off, off offset:264
	v_cmp_ne_u32_e32 vcc_lo, 1, v70
	v_lshlrev_b64 v[2:3], 3, v[2:3]
	s_cbranch_vccnz .LBB132_272
; %bb.271:
	s_delay_alu instid0(VALU_DEP_1) | instskip(NEXT) | instid1(VALU_DEP_2)
	v_add_co_u32 v64, vcc_lo, v71, v2
	v_add_co_ci_u32_e32 v65, vcc_lo, v72, v3, vcc_lo
	flat_load_b64 v[64:65], v[64:65]
	s_waitcnt vmcnt(0) lgkmcnt(0)
	v_mul_f64 v[64:65], s[34:35], v[64:65]
	s_branch .LBB132_273
.LBB132_272:
	v_mov_b32_e32 v64, 0
	v_mov_b32_e32 v65, 0
.LBB132_273:
	s_waitcnt vmcnt(0)
	s_delay_alu instid0(VALU_DEP_1)
	v_add_f64 v[0:1], v[0:1], v[64:65]
	v_add_co_u32 v2, vcc_lo, v68, v2
	v_add_co_ci_u32_e32 v3, vcc_lo, v69, v3, vcc_lo
	global_store_b64 v[2:3], v[0:1], off
	s_or_b32 exec_lo, exec_lo, s0
	s_and_b32 s1, s11, s2
	s_delay_alu instid0(SALU_CYCLE_1)
	s_and_saveexec_b32 s0, s1
	s_cbranch_execz .LBB132_236
.LBB132_274:
	scratch_load_b64 v[0:1], off, off offset:272
	v_cmp_ne_u32_e32 vcc_lo, 1, v70
	v_lshlrev_b64 v[2:3], 3, v[4:5]
	s_cbranch_vccnz .LBB132_276
; %bb.275:
	s_delay_alu instid0(VALU_DEP_1) | instskip(NEXT) | instid1(VALU_DEP_2)
	v_add_co_u32 v4, vcc_lo, v71, v2
	v_add_co_ci_u32_e32 v5, vcc_lo, v72, v3, vcc_lo
	flat_load_b64 v[4:5], v[4:5]
	s_waitcnt vmcnt(0) lgkmcnt(0)
	v_mul_f64 v[4:5], s[34:35], v[4:5]
	s_branch .LBB132_277
.LBB132_276:
	v_mov_b32_e32 v4, 0
	v_mov_b32_e32 v5, 0
.LBB132_277:
	s_waitcnt vmcnt(0)
	s_delay_alu instid0(VALU_DEP_1)
	v_add_f64 v[0:1], v[0:1], v[4:5]
	v_add_co_u32 v2, vcc_lo, v68, v2
	v_add_co_ci_u32_e32 v3, vcc_lo, v69, v3, vcc_lo
	global_store_b64 v[2:3], v[0:1], off
	s_or_b32 exec_lo, exec_lo, s0
	s_and_b32 s1, s11, s3
	s_delay_alu instid0(SALU_CYCLE_1)
	s_and_saveexec_b32 s0, s1
	s_cbranch_execz .LBB132_237
.LBB132_278:
	scratch_load_b64 v[0:1], off, off offset:280
	v_cmp_ne_u32_e32 vcc_lo, 1, v70
	v_lshlrev_b64 v[2:3], 3, v[6:7]
	s_cbranch_vccnz .LBB132_280
; %bb.279:
	s_delay_alu instid0(VALU_DEP_1) | instskip(NEXT) | instid1(VALU_DEP_2)
	v_add_co_u32 v4, vcc_lo, v71, v2
	v_add_co_ci_u32_e32 v5, vcc_lo, v72, v3, vcc_lo
	flat_load_b64 v[4:5], v[4:5]
	s_waitcnt vmcnt(0) lgkmcnt(0)
	v_mul_f64 v[4:5], s[34:35], v[4:5]
	s_branch .LBB132_281
.LBB132_280:
	v_mov_b32_e32 v4, 0
	v_mov_b32_e32 v5, 0
.LBB132_281:
	s_waitcnt vmcnt(0)
	s_delay_alu instid0(VALU_DEP_1)
	v_add_f64 v[0:1], v[0:1], v[4:5]
	v_add_co_u32 v2, vcc_lo, v68, v2
	v_add_co_ci_u32_e32 v3, vcc_lo, v69, v3, vcc_lo
	global_store_b64 v[2:3], v[0:1], off
	s_or_b32 exec_lo, exec_lo, s0
	s_and_b32 s1, s11, s4
	s_delay_alu instid0(SALU_CYCLE_1)
	s_and_saveexec_b32 s0, s1
	s_cbranch_execz .LBB132_238
.LBB132_282:
	scratch_load_b64 v[0:1], off, off offset:288
	v_cmp_ne_u32_e32 vcc_lo, 1, v70
	v_lshlrev_b64 v[2:3], 3, v[8:9]
	s_cbranch_vccnz .LBB132_284
; %bb.283:
	s_delay_alu instid0(VALU_DEP_1) | instskip(NEXT) | instid1(VALU_DEP_2)
	v_add_co_u32 v4, vcc_lo, v71, v2
	v_add_co_ci_u32_e32 v5, vcc_lo, v72, v3, vcc_lo
	flat_load_b64 v[4:5], v[4:5]
	s_waitcnt vmcnt(0) lgkmcnt(0)
	v_mul_f64 v[4:5], s[34:35], v[4:5]
	s_branch .LBB132_285
.LBB132_284:
	v_mov_b32_e32 v4, 0
	v_mov_b32_e32 v5, 0
.LBB132_285:
	s_waitcnt vmcnt(0)
	s_delay_alu instid0(VALU_DEP_1)
	v_add_f64 v[0:1], v[0:1], v[4:5]
	v_add_co_u32 v2, vcc_lo, v68, v2
	v_add_co_ci_u32_e32 v3, vcc_lo, v69, v3, vcc_lo
	global_store_b64 v[2:3], v[0:1], off
	s_or_b32 exec_lo, exec_lo, s0
	s_and_b32 s1, s11, s5
	s_delay_alu instid0(SALU_CYCLE_1)
	s_and_saveexec_b32 s0, s1
	s_cbranch_execz .LBB132_239
.LBB132_286:
	scratch_load_b64 v[0:1], off, off offset:296
	v_cmp_ne_u32_e32 vcc_lo, 1, v70
	v_lshlrev_b64 v[2:3], 3, v[10:11]
	s_cbranch_vccnz .LBB132_288
; %bb.287:
	s_delay_alu instid0(VALU_DEP_1) | instskip(NEXT) | instid1(VALU_DEP_2)
	v_add_co_u32 v4, vcc_lo, v71, v2
	v_add_co_ci_u32_e32 v5, vcc_lo, v72, v3, vcc_lo
	flat_load_b64 v[4:5], v[4:5]
	s_waitcnt vmcnt(0) lgkmcnt(0)
	v_mul_f64 v[4:5], s[34:35], v[4:5]
	s_branch .LBB132_289
.LBB132_288:
	v_mov_b32_e32 v4, 0
	v_mov_b32_e32 v5, 0
.LBB132_289:
	s_waitcnt vmcnt(0)
	s_delay_alu instid0(VALU_DEP_1)
	v_add_f64 v[0:1], v[0:1], v[4:5]
	v_add_co_u32 v2, vcc_lo, v68, v2
	v_add_co_ci_u32_e32 v3, vcc_lo, v69, v3, vcc_lo
	global_store_b64 v[2:3], v[0:1], off
	s_or_b32 exec_lo, exec_lo, s0
	s_and_b32 s1, s11, s6
	s_delay_alu instid0(SALU_CYCLE_1)
	s_and_saveexec_b32 s0, s1
	s_cbranch_execz .LBB132_240
.LBB132_290:
	scratch_load_b64 v[0:1], off, off offset:304
	v_cmp_ne_u32_e32 vcc_lo, 1, v70
	v_lshlrev_b64 v[2:3], 3, v[12:13]
	s_cbranch_vccnz .LBB132_292
; %bb.291:
	s_delay_alu instid0(VALU_DEP_1) | instskip(NEXT) | instid1(VALU_DEP_2)
	v_add_co_u32 v4, vcc_lo, v71, v2
	v_add_co_ci_u32_e32 v5, vcc_lo, v72, v3, vcc_lo
	flat_load_b64 v[4:5], v[4:5]
	s_waitcnt vmcnt(0) lgkmcnt(0)
	v_mul_f64 v[4:5], s[34:35], v[4:5]
	s_branch .LBB132_293
.LBB132_292:
	v_mov_b32_e32 v4, 0
	v_mov_b32_e32 v5, 0
.LBB132_293:
	s_waitcnt vmcnt(0)
	s_delay_alu instid0(VALU_DEP_1)
	v_add_f64 v[0:1], v[0:1], v[4:5]
	v_add_co_u32 v2, vcc_lo, v68, v2
	v_add_co_ci_u32_e32 v3, vcc_lo, v69, v3, vcc_lo
	global_store_b64 v[2:3], v[0:1], off
	s_or_b32 exec_lo, exec_lo, s0
	s_and_b32 s1, s11, s7
	s_delay_alu instid0(SALU_CYCLE_1)
	s_and_saveexec_b32 s0, s1
	s_cbranch_execz .LBB132_241
.LBB132_294:
	scratch_load_b64 v[0:1], off, off offset:312
	v_cmp_ne_u32_e32 vcc_lo, 1, v70
	v_lshlrev_b64 v[2:3], 3, v[14:15]
	s_cbranch_vccnz .LBB132_296
; %bb.295:
	s_delay_alu instid0(VALU_DEP_1) | instskip(NEXT) | instid1(VALU_DEP_2)
	v_add_co_u32 v4, vcc_lo, v71, v2
	v_add_co_ci_u32_e32 v5, vcc_lo, v72, v3, vcc_lo
	flat_load_b64 v[4:5], v[4:5]
	s_waitcnt vmcnt(0) lgkmcnt(0)
	v_mul_f64 v[4:5], s[34:35], v[4:5]
	s_branch .LBB132_297
.LBB132_296:
	v_mov_b32_e32 v4, 0
	v_mov_b32_e32 v5, 0
.LBB132_297:
	s_waitcnt vmcnt(0)
	s_delay_alu instid0(VALU_DEP_1)
	v_add_f64 v[0:1], v[0:1], v[4:5]
	v_add_co_u32 v2, vcc_lo, v68, v2
	v_add_co_ci_u32_e32 v3, vcc_lo, v69, v3, vcc_lo
	global_store_b64 v[2:3], v[0:1], off
	s_or_b32 exec_lo, exec_lo, s0
	s_and_b32 s1, s11, s8
	s_delay_alu instid0(SALU_CYCLE_1)
	s_and_saveexec_b32 s0, s1
	s_cbranch_execz .LBB132_242
.LBB132_298:
	scratch_load_b64 v[0:1], off, off offset:320
	v_cmp_ne_u32_e32 vcc_lo, 1, v70
	v_lshlrev_b64 v[2:3], 3, v[16:17]
	s_cbranch_vccnz .LBB132_300
; %bb.299:
	s_delay_alu instid0(VALU_DEP_1) | instskip(NEXT) | instid1(VALU_DEP_2)
	v_add_co_u32 v4, vcc_lo, v71, v2
	v_add_co_ci_u32_e32 v5, vcc_lo, v72, v3, vcc_lo
	flat_load_b64 v[4:5], v[4:5]
	s_waitcnt vmcnt(0) lgkmcnt(0)
	v_mul_f64 v[4:5], s[34:35], v[4:5]
	s_branch .LBB132_301
.LBB132_300:
	v_mov_b32_e32 v4, 0
	v_mov_b32_e32 v5, 0
.LBB132_301:
	s_waitcnt vmcnt(0)
	s_delay_alu instid0(VALU_DEP_1)
	v_add_f64 v[0:1], v[0:1], v[4:5]
	v_add_co_u32 v2, vcc_lo, v68, v2
	v_add_co_ci_u32_e32 v3, vcc_lo, v69, v3, vcc_lo
	global_store_b64 v[2:3], v[0:1], off
	s_or_b32 exec_lo, exec_lo, s0
	s_and_b32 s1, s11, s9
	s_delay_alu instid0(SALU_CYCLE_1)
	s_and_saveexec_b32 s0, s1
	s_cbranch_execz .LBB132_243
.LBB132_302:
	scratch_load_b64 v[0:1], off, off offset:328
	v_cmp_ne_u32_e32 vcc_lo, 1, v70
	v_lshlrev_b64 v[2:3], 3, v[18:19]
	s_cbranch_vccnz .LBB132_304
; %bb.303:
	s_delay_alu instid0(VALU_DEP_1) | instskip(NEXT) | instid1(VALU_DEP_2)
	v_add_co_u32 v4, vcc_lo, v71, v2
	v_add_co_ci_u32_e32 v5, vcc_lo, v72, v3, vcc_lo
	flat_load_b64 v[4:5], v[4:5]
	s_waitcnt vmcnt(0) lgkmcnt(0)
	v_mul_f64 v[4:5], s[34:35], v[4:5]
	s_branch .LBB132_305
.LBB132_304:
	v_mov_b32_e32 v4, 0
	v_mov_b32_e32 v5, 0
.LBB132_305:
	s_waitcnt vmcnt(0)
	s_delay_alu instid0(VALU_DEP_1)
	v_add_f64 v[0:1], v[0:1], v[4:5]
	v_add_co_u32 v2, vcc_lo, v68, v2
	v_add_co_ci_u32_e32 v3, vcc_lo, v69, v3, vcc_lo
	global_store_b64 v[2:3], v[0:1], off
	s_or_b32 exec_lo, exec_lo, s0
	s_and_b32 s1, s11, s10
	s_delay_alu instid0(SALU_CYCLE_1)
	s_and_saveexec_b32 s0, s1
	s_cbranch_execz .LBB132_244
.LBB132_306:
	scratch_load_b64 v[0:1], off, off offset:336
	v_cmp_ne_u32_e32 vcc_lo, 1, v70
	v_lshlrev_b64 v[2:3], 3, v[20:21]
	s_cbranch_vccnz .LBB132_308
; %bb.307:
	s_delay_alu instid0(VALU_DEP_1) | instskip(NEXT) | instid1(VALU_DEP_2)
	v_add_co_u32 v4, vcc_lo, v71, v2
	v_add_co_ci_u32_e32 v5, vcc_lo, v72, v3, vcc_lo
	flat_load_b64 v[4:5], v[4:5]
	s_waitcnt vmcnt(0) lgkmcnt(0)
	v_mul_f64 v[4:5], s[34:35], v[4:5]
	s_branch .LBB132_309
.LBB132_308:
	v_mov_b32_e32 v4, 0
	v_mov_b32_e32 v5, 0
.LBB132_309:
	s_waitcnt vmcnt(0)
	s_delay_alu instid0(VALU_DEP_1)
	v_add_f64 v[0:1], v[0:1], v[4:5]
	v_add_co_u32 v2, vcc_lo, v68, v2
	v_add_co_ci_u32_e32 v3, vcc_lo, v69, v3, vcc_lo
	global_store_b64 v[2:3], v[0:1], off
	s_or_b32 exec_lo, exec_lo, s0
	s_and_b32 s1, s11, s12
	s_delay_alu instid0(SALU_CYCLE_1)
	s_and_saveexec_b32 s0, s1
	s_cbranch_execz .LBB132_245
.LBB132_310:
	scratch_load_b64 v[0:1], off, off offset:344
	v_cmp_ne_u32_e32 vcc_lo, 1, v70
	v_lshlrev_b64 v[2:3], 3, v[22:23]
	s_cbranch_vccnz .LBB132_312
; %bb.311:
	s_delay_alu instid0(VALU_DEP_1) | instskip(NEXT) | instid1(VALU_DEP_2)
	v_add_co_u32 v4, vcc_lo, v71, v2
	v_add_co_ci_u32_e32 v5, vcc_lo, v72, v3, vcc_lo
	flat_load_b64 v[4:5], v[4:5]
	s_waitcnt vmcnt(0) lgkmcnt(0)
	v_mul_f64 v[4:5], s[34:35], v[4:5]
	s_branch .LBB132_313
.LBB132_312:
	v_mov_b32_e32 v4, 0
	v_mov_b32_e32 v5, 0
.LBB132_313:
	s_waitcnt vmcnt(0)
	s_delay_alu instid0(VALU_DEP_1)
	v_add_f64 v[0:1], v[0:1], v[4:5]
	v_add_co_u32 v2, vcc_lo, v68, v2
	v_add_co_ci_u32_e32 v3, vcc_lo, v69, v3, vcc_lo
	global_store_b64 v[2:3], v[0:1], off
	s_or_b32 exec_lo, exec_lo, s0
	s_and_b32 s1, s11, s13
	s_delay_alu instid0(SALU_CYCLE_1)
	s_and_saveexec_b32 s0, s1
	s_cbranch_execz .LBB132_246
.LBB132_314:
	scratch_load_b64 v[0:1], off, off offset:352
	v_cmp_ne_u32_e32 vcc_lo, 1, v70
	v_lshlrev_b64 v[2:3], 3, v[24:25]
	s_cbranch_vccnz .LBB132_316
; %bb.315:
	s_delay_alu instid0(VALU_DEP_1) | instskip(NEXT) | instid1(VALU_DEP_2)
	v_add_co_u32 v4, vcc_lo, v71, v2
	v_add_co_ci_u32_e32 v5, vcc_lo, v72, v3, vcc_lo
	flat_load_b64 v[4:5], v[4:5]
	s_waitcnt vmcnt(0) lgkmcnt(0)
	v_mul_f64 v[4:5], s[34:35], v[4:5]
	s_branch .LBB132_317
.LBB132_316:
	v_mov_b32_e32 v4, 0
	v_mov_b32_e32 v5, 0
.LBB132_317:
	s_waitcnt vmcnt(0)
	s_delay_alu instid0(VALU_DEP_1)
	v_add_f64 v[0:1], v[0:1], v[4:5]
	v_add_co_u32 v2, vcc_lo, v68, v2
	v_add_co_ci_u32_e32 v3, vcc_lo, v69, v3, vcc_lo
	global_store_b64 v[2:3], v[0:1], off
	s_or_b32 exec_lo, exec_lo, s0
	s_and_b32 s1, s11, s14
	s_delay_alu instid0(SALU_CYCLE_1)
	s_and_saveexec_b32 s0, s1
	s_cbranch_execz .LBB132_247
.LBB132_318:
	scratch_load_b64 v[0:1], off, off offset:360
	v_cmp_ne_u32_e32 vcc_lo, 1, v70
	v_lshlrev_b64 v[2:3], 3, v[26:27]
	s_cbranch_vccnz .LBB132_320
; %bb.319:
	s_delay_alu instid0(VALU_DEP_1) | instskip(NEXT) | instid1(VALU_DEP_2)
	v_add_co_u32 v4, vcc_lo, v71, v2
	v_add_co_ci_u32_e32 v5, vcc_lo, v72, v3, vcc_lo
	flat_load_b64 v[4:5], v[4:5]
	s_waitcnt vmcnt(0) lgkmcnt(0)
	v_mul_f64 v[4:5], s[34:35], v[4:5]
	s_branch .LBB132_321
.LBB132_320:
	v_mov_b32_e32 v4, 0
	v_mov_b32_e32 v5, 0
.LBB132_321:
	s_waitcnt vmcnt(0)
	s_delay_alu instid0(VALU_DEP_1)
	v_add_f64 v[0:1], v[0:1], v[4:5]
	v_add_co_u32 v2, vcc_lo, v68, v2
	v_add_co_ci_u32_e32 v3, vcc_lo, v69, v3, vcc_lo
	global_store_b64 v[2:3], v[0:1], off
	s_or_b32 exec_lo, exec_lo, s0
	s_and_b32 s1, s11, s15
	s_delay_alu instid0(SALU_CYCLE_1)
	s_and_saveexec_b32 s0, s1
	s_cbranch_execz .LBB132_248
.LBB132_322:
	scratch_load_b64 v[0:1], off, off offset:368
	v_cmp_ne_u32_e32 vcc_lo, 1, v70
	v_lshlrev_b64 v[2:3], 3, v[28:29]
	s_cbranch_vccnz .LBB132_324
; %bb.323:
	s_delay_alu instid0(VALU_DEP_1) | instskip(NEXT) | instid1(VALU_DEP_2)
	v_add_co_u32 v4, vcc_lo, v71, v2
	v_add_co_ci_u32_e32 v5, vcc_lo, v72, v3, vcc_lo
	flat_load_b64 v[4:5], v[4:5]
	s_waitcnt vmcnt(0) lgkmcnt(0)
	v_mul_f64 v[4:5], s[34:35], v[4:5]
	s_branch .LBB132_325
.LBB132_324:
	v_mov_b32_e32 v4, 0
	v_mov_b32_e32 v5, 0
.LBB132_325:
	s_waitcnt vmcnt(0)
	s_delay_alu instid0(VALU_DEP_1)
	v_add_f64 v[0:1], v[0:1], v[4:5]
	v_add_co_u32 v2, vcc_lo, v68, v2
	v_add_co_ci_u32_e32 v3, vcc_lo, v69, v3, vcc_lo
	global_store_b64 v[2:3], v[0:1], off
	s_or_b32 exec_lo, exec_lo, s0
	s_and_b32 s1, s11, s16
	s_delay_alu instid0(SALU_CYCLE_1)
	s_and_saveexec_b32 s0, s1
	s_cbranch_execz .LBB132_249
.LBB132_326:
	scratch_load_b64 v[0:1], off, off offset:376
	v_cmp_ne_u32_e32 vcc_lo, 1, v70
	v_lshlrev_b64 v[2:3], 3, v[30:31]
	s_cbranch_vccnz .LBB132_328
; %bb.327:
	s_delay_alu instid0(VALU_DEP_1) | instskip(NEXT) | instid1(VALU_DEP_2)
	v_add_co_u32 v4, vcc_lo, v71, v2
	v_add_co_ci_u32_e32 v5, vcc_lo, v72, v3, vcc_lo
	flat_load_b64 v[4:5], v[4:5]
	s_waitcnt vmcnt(0) lgkmcnt(0)
	v_mul_f64 v[4:5], s[34:35], v[4:5]
	s_branch .LBB132_329
.LBB132_328:
	v_mov_b32_e32 v4, 0
	v_mov_b32_e32 v5, 0
.LBB132_329:
	s_waitcnt vmcnt(0)
	s_delay_alu instid0(VALU_DEP_1)
	v_add_f64 v[0:1], v[0:1], v[4:5]
	v_add_co_u32 v2, vcc_lo, v68, v2
	v_add_co_ci_u32_e32 v3, vcc_lo, v69, v3, vcc_lo
	global_store_b64 v[2:3], v[0:1], off
	s_or_b32 exec_lo, exec_lo, s0
	s_and_b32 s1, s11, s17
	s_delay_alu instid0(SALU_CYCLE_1)
	s_and_saveexec_b32 s0, s1
	s_cbranch_execz .LBB132_250
.LBB132_330:
	scratch_load_b64 v[0:1], off, off offset:384
	v_cmp_ne_u32_e32 vcc_lo, 1, v70
	v_lshlrev_b64 v[2:3], 3, v[32:33]
	s_cbranch_vccnz .LBB132_332
; %bb.331:
	s_delay_alu instid0(VALU_DEP_1) | instskip(NEXT) | instid1(VALU_DEP_2)
	v_add_co_u32 v4, vcc_lo, v71, v2
	v_add_co_ci_u32_e32 v5, vcc_lo, v72, v3, vcc_lo
	flat_load_b64 v[4:5], v[4:5]
	s_waitcnt vmcnt(0) lgkmcnt(0)
	v_mul_f64 v[4:5], s[34:35], v[4:5]
	s_branch .LBB132_333
.LBB132_332:
	v_mov_b32_e32 v4, 0
	v_mov_b32_e32 v5, 0
.LBB132_333:
	s_waitcnt vmcnt(0)
	s_delay_alu instid0(VALU_DEP_1)
	v_add_f64 v[0:1], v[0:1], v[4:5]
	v_add_co_u32 v2, vcc_lo, v68, v2
	v_add_co_ci_u32_e32 v3, vcc_lo, v69, v3, vcc_lo
	global_store_b64 v[2:3], v[0:1], off
	s_or_b32 exec_lo, exec_lo, s0
	s_and_b32 s1, s11, s18
	s_delay_alu instid0(SALU_CYCLE_1)
	s_and_saveexec_b32 s0, s1
	s_cbranch_execz .LBB132_251
.LBB132_334:
	scratch_load_b64 v[0:1], off, off offset:392
	v_cmp_ne_u32_e32 vcc_lo, 1, v70
	v_lshlrev_b64 v[2:3], 3, v[34:35]
	s_cbranch_vccnz .LBB132_336
; %bb.335:
	s_delay_alu instid0(VALU_DEP_1) | instskip(NEXT) | instid1(VALU_DEP_2)
	v_add_co_u32 v4, vcc_lo, v71, v2
	v_add_co_ci_u32_e32 v5, vcc_lo, v72, v3, vcc_lo
	flat_load_b64 v[4:5], v[4:5]
	s_waitcnt vmcnt(0) lgkmcnt(0)
	v_mul_f64 v[4:5], s[34:35], v[4:5]
	s_branch .LBB132_337
.LBB132_336:
	v_mov_b32_e32 v4, 0
	v_mov_b32_e32 v5, 0
.LBB132_337:
	s_waitcnt vmcnt(0)
	s_delay_alu instid0(VALU_DEP_1)
	v_add_f64 v[0:1], v[0:1], v[4:5]
	v_add_co_u32 v2, vcc_lo, v68, v2
	v_add_co_ci_u32_e32 v3, vcc_lo, v69, v3, vcc_lo
	global_store_b64 v[2:3], v[0:1], off
	s_or_b32 exec_lo, exec_lo, s0
	s_and_b32 s1, s11, s19
	s_delay_alu instid0(SALU_CYCLE_1)
	s_and_saveexec_b32 s0, s1
	s_cbranch_execz .LBB132_252
.LBB132_338:
	scratch_load_b64 v[0:1], off, off offset:400
	v_cmp_ne_u32_e32 vcc_lo, 1, v70
	v_lshlrev_b64 v[2:3], 3, v[36:37]
	s_cbranch_vccnz .LBB132_340
; %bb.339:
	s_delay_alu instid0(VALU_DEP_1) | instskip(NEXT) | instid1(VALU_DEP_2)
	v_add_co_u32 v4, vcc_lo, v71, v2
	v_add_co_ci_u32_e32 v5, vcc_lo, v72, v3, vcc_lo
	flat_load_b64 v[4:5], v[4:5]
	s_waitcnt vmcnt(0) lgkmcnt(0)
	v_mul_f64 v[4:5], s[34:35], v[4:5]
	s_branch .LBB132_341
.LBB132_340:
	v_mov_b32_e32 v4, 0
	v_mov_b32_e32 v5, 0
.LBB132_341:
	s_waitcnt vmcnt(0)
	s_delay_alu instid0(VALU_DEP_1)
	v_add_f64 v[0:1], v[0:1], v[4:5]
	v_add_co_u32 v2, vcc_lo, v68, v2
	v_add_co_ci_u32_e32 v3, vcc_lo, v69, v3, vcc_lo
	global_store_b64 v[2:3], v[0:1], off
	s_or_b32 exec_lo, exec_lo, s0
	s_and_b32 s1, s11, s20
	s_delay_alu instid0(SALU_CYCLE_1)
	s_and_saveexec_b32 s0, s1
	s_cbranch_execz .LBB132_253
.LBB132_342:
	scratch_load_b64 v[0:1], off, off offset:408
	v_cmp_ne_u32_e32 vcc_lo, 1, v70
	v_lshlrev_b64 v[2:3], 3, v[38:39]
	s_cbranch_vccnz .LBB132_344
; %bb.343:
	s_delay_alu instid0(VALU_DEP_1) | instskip(NEXT) | instid1(VALU_DEP_2)
	v_add_co_u32 v4, vcc_lo, v71, v2
	v_add_co_ci_u32_e32 v5, vcc_lo, v72, v3, vcc_lo
	flat_load_b64 v[4:5], v[4:5]
	s_waitcnt vmcnt(0) lgkmcnt(0)
	v_mul_f64 v[4:5], s[34:35], v[4:5]
	s_branch .LBB132_345
.LBB132_344:
	v_mov_b32_e32 v4, 0
	v_mov_b32_e32 v5, 0
.LBB132_345:
	s_waitcnt vmcnt(0)
	s_delay_alu instid0(VALU_DEP_1)
	v_add_f64 v[0:1], v[0:1], v[4:5]
	v_add_co_u32 v2, vcc_lo, v68, v2
	v_add_co_ci_u32_e32 v3, vcc_lo, v69, v3, vcc_lo
	global_store_b64 v[2:3], v[0:1], off
	s_or_b32 exec_lo, exec_lo, s0
	s_and_b32 s1, s11, s21
	s_delay_alu instid0(SALU_CYCLE_1)
	s_and_saveexec_b32 s0, s1
	s_cbranch_execz .LBB132_254
.LBB132_346:
	scratch_load_b64 v[0:1], off, off offset:416
	v_cmp_ne_u32_e32 vcc_lo, 1, v70
	v_lshlrev_b64 v[2:3], 3, v[40:41]
	s_cbranch_vccnz .LBB132_348
; %bb.347:
	s_delay_alu instid0(VALU_DEP_1) | instskip(NEXT) | instid1(VALU_DEP_2)
	v_add_co_u32 v4, vcc_lo, v71, v2
	v_add_co_ci_u32_e32 v5, vcc_lo, v72, v3, vcc_lo
	flat_load_b64 v[4:5], v[4:5]
	s_waitcnt vmcnt(0) lgkmcnt(0)
	v_mul_f64 v[4:5], s[34:35], v[4:5]
	s_branch .LBB132_349
.LBB132_348:
	v_mov_b32_e32 v4, 0
	v_mov_b32_e32 v5, 0
.LBB132_349:
	s_waitcnt vmcnt(0)
	s_delay_alu instid0(VALU_DEP_1)
	v_add_f64 v[0:1], v[0:1], v[4:5]
	v_add_co_u32 v2, vcc_lo, v68, v2
	v_add_co_ci_u32_e32 v3, vcc_lo, v69, v3, vcc_lo
	global_store_b64 v[2:3], v[0:1], off
	s_or_b32 exec_lo, exec_lo, s0
	s_and_b32 s1, s11, s22
	s_delay_alu instid0(SALU_CYCLE_1)
	s_and_saveexec_b32 s0, s1
	s_cbranch_execz .LBB132_255
.LBB132_350:
	scratch_load_b64 v[0:1], off, off offset:424
	v_cmp_ne_u32_e32 vcc_lo, 1, v70
	v_lshlrev_b64 v[2:3], 3, v[42:43]
	s_cbranch_vccnz .LBB132_352
; %bb.351:
	s_delay_alu instid0(VALU_DEP_1) | instskip(NEXT) | instid1(VALU_DEP_2)
	v_add_co_u32 v4, vcc_lo, v71, v2
	v_add_co_ci_u32_e32 v5, vcc_lo, v72, v3, vcc_lo
	flat_load_b64 v[4:5], v[4:5]
	s_waitcnt vmcnt(0) lgkmcnt(0)
	v_mul_f64 v[4:5], s[34:35], v[4:5]
	s_branch .LBB132_353
.LBB132_352:
	v_mov_b32_e32 v4, 0
	v_mov_b32_e32 v5, 0
.LBB132_353:
	s_waitcnt vmcnt(0)
	s_delay_alu instid0(VALU_DEP_1)
	v_add_f64 v[0:1], v[0:1], v[4:5]
	v_add_co_u32 v2, vcc_lo, v68, v2
	v_add_co_ci_u32_e32 v3, vcc_lo, v69, v3, vcc_lo
	global_store_b64 v[2:3], v[0:1], off
	s_or_b32 exec_lo, exec_lo, s0
	s_and_b32 s1, s11, s23
	s_delay_alu instid0(SALU_CYCLE_1)
	s_and_saveexec_b32 s0, s1
	s_cbranch_execz .LBB132_256
.LBB132_354:
	scratch_load_b64 v[0:1], off, off offset:432
	v_cmp_ne_u32_e32 vcc_lo, 1, v70
	v_lshlrev_b64 v[2:3], 3, v[44:45]
	s_cbranch_vccnz .LBB132_356
; %bb.355:
	s_delay_alu instid0(VALU_DEP_1) | instskip(NEXT) | instid1(VALU_DEP_2)
	v_add_co_u32 v4, vcc_lo, v71, v2
	v_add_co_ci_u32_e32 v5, vcc_lo, v72, v3, vcc_lo
	flat_load_b64 v[4:5], v[4:5]
	s_waitcnt vmcnt(0) lgkmcnt(0)
	v_mul_f64 v[4:5], s[34:35], v[4:5]
	s_branch .LBB132_357
.LBB132_356:
	v_mov_b32_e32 v4, 0
	v_mov_b32_e32 v5, 0
.LBB132_357:
	s_waitcnt vmcnt(0)
	s_delay_alu instid0(VALU_DEP_1)
	v_add_f64 v[0:1], v[0:1], v[4:5]
	v_add_co_u32 v2, vcc_lo, v68, v2
	v_add_co_ci_u32_e32 v3, vcc_lo, v69, v3, vcc_lo
	global_store_b64 v[2:3], v[0:1], off
	s_or_b32 exec_lo, exec_lo, s0
	s_and_b32 s1, s11, s24
	s_delay_alu instid0(SALU_CYCLE_1)
	s_and_saveexec_b32 s0, s1
	s_cbranch_execz .LBB132_257
.LBB132_358:
	scratch_load_b64 v[0:1], off, off offset:440
	v_cmp_ne_u32_e32 vcc_lo, 1, v70
	v_lshlrev_b64 v[2:3], 3, v[46:47]
	s_cbranch_vccnz .LBB132_360
; %bb.359:
	s_delay_alu instid0(VALU_DEP_1) | instskip(NEXT) | instid1(VALU_DEP_2)
	v_add_co_u32 v4, vcc_lo, v71, v2
	v_add_co_ci_u32_e32 v5, vcc_lo, v72, v3, vcc_lo
	flat_load_b64 v[4:5], v[4:5]
	s_waitcnt vmcnt(0) lgkmcnt(0)
	v_mul_f64 v[4:5], s[34:35], v[4:5]
	s_branch .LBB132_361
.LBB132_360:
	v_mov_b32_e32 v4, 0
	v_mov_b32_e32 v5, 0
.LBB132_361:
	s_waitcnt vmcnt(0)
	s_delay_alu instid0(VALU_DEP_1)
	v_add_f64 v[0:1], v[0:1], v[4:5]
	v_add_co_u32 v2, vcc_lo, v68, v2
	v_add_co_ci_u32_e32 v3, vcc_lo, v69, v3, vcc_lo
	global_store_b64 v[2:3], v[0:1], off
	s_or_b32 exec_lo, exec_lo, s0
	s_and_b32 s1, s11, s25
	s_delay_alu instid0(SALU_CYCLE_1)
	s_and_saveexec_b32 s0, s1
	s_cbranch_execz .LBB132_258
.LBB132_362:
	scratch_load_b64 v[0:1], off, off offset:448
	v_cmp_ne_u32_e32 vcc_lo, 1, v70
	v_lshlrev_b64 v[2:3], 3, v[48:49]
	s_cbranch_vccnz .LBB132_364
; %bb.363:
	s_delay_alu instid0(VALU_DEP_1) | instskip(NEXT) | instid1(VALU_DEP_2)
	v_add_co_u32 v4, vcc_lo, v71, v2
	v_add_co_ci_u32_e32 v5, vcc_lo, v72, v3, vcc_lo
	flat_load_b64 v[4:5], v[4:5]
	s_waitcnt vmcnt(0) lgkmcnt(0)
	v_mul_f64 v[4:5], s[34:35], v[4:5]
	s_branch .LBB132_365
.LBB132_364:
	v_mov_b32_e32 v4, 0
	v_mov_b32_e32 v5, 0
.LBB132_365:
	s_waitcnt vmcnt(0)
	s_delay_alu instid0(VALU_DEP_1)
	v_add_f64 v[0:1], v[0:1], v[4:5]
	v_add_co_u32 v2, vcc_lo, v68, v2
	v_add_co_ci_u32_e32 v3, vcc_lo, v69, v3, vcc_lo
	global_store_b64 v[2:3], v[0:1], off
	s_or_b32 exec_lo, exec_lo, s0
	s_and_b32 s1, s11, s26
	s_delay_alu instid0(SALU_CYCLE_1)
	s_and_saveexec_b32 s0, s1
	s_cbranch_execz .LBB132_259
.LBB132_366:
	scratch_load_b64 v[0:1], off, off offset:456
	v_cmp_ne_u32_e32 vcc_lo, 1, v70
	v_lshlrev_b64 v[2:3], 3, v[50:51]
	s_cbranch_vccnz .LBB132_368
; %bb.367:
	s_delay_alu instid0(VALU_DEP_1) | instskip(NEXT) | instid1(VALU_DEP_2)
	v_add_co_u32 v4, vcc_lo, v71, v2
	v_add_co_ci_u32_e32 v5, vcc_lo, v72, v3, vcc_lo
	flat_load_b64 v[4:5], v[4:5]
	s_waitcnt vmcnt(0) lgkmcnt(0)
	v_mul_f64 v[4:5], s[34:35], v[4:5]
	s_branch .LBB132_369
.LBB132_368:
	v_mov_b32_e32 v4, 0
	v_mov_b32_e32 v5, 0
.LBB132_369:
	s_waitcnt vmcnt(0)
	s_delay_alu instid0(VALU_DEP_1)
	v_add_f64 v[0:1], v[0:1], v[4:5]
	v_add_co_u32 v2, vcc_lo, v68, v2
	v_add_co_ci_u32_e32 v3, vcc_lo, v69, v3, vcc_lo
	global_store_b64 v[2:3], v[0:1], off
	s_or_b32 exec_lo, exec_lo, s0
	s_and_b32 s1, s11, s27
	s_delay_alu instid0(SALU_CYCLE_1)
	s_and_saveexec_b32 s0, s1
	s_cbranch_execz .LBB132_260
.LBB132_370:
	scratch_load_b64 v[0:1], off, off offset:464
	v_cmp_ne_u32_e32 vcc_lo, 1, v70
	v_lshlrev_b64 v[2:3], 3, v[52:53]
	s_cbranch_vccnz .LBB132_372
; %bb.371:
	s_delay_alu instid0(VALU_DEP_1) | instskip(NEXT) | instid1(VALU_DEP_2)
	v_add_co_u32 v4, vcc_lo, v71, v2
	v_add_co_ci_u32_e32 v5, vcc_lo, v72, v3, vcc_lo
	flat_load_b64 v[4:5], v[4:5]
	s_waitcnt vmcnt(0) lgkmcnt(0)
	v_mul_f64 v[4:5], s[34:35], v[4:5]
	s_branch .LBB132_373
.LBB132_372:
	v_mov_b32_e32 v4, 0
	v_mov_b32_e32 v5, 0
.LBB132_373:
	s_waitcnt vmcnt(0)
	s_delay_alu instid0(VALU_DEP_1)
	v_add_f64 v[0:1], v[0:1], v[4:5]
	v_add_co_u32 v2, vcc_lo, v68, v2
	v_add_co_ci_u32_e32 v3, vcc_lo, v69, v3, vcc_lo
	global_store_b64 v[2:3], v[0:1], off
	s_or_b32 exec_lo, exec_lo, s0
	s_and_b32 s1, s11, s28
	s_delay_alu instid0(SALU_CYCLE_1)
	s_and_saveexec_b32 s0, s1
	s_cbranch_execz .LBB132_261
.LBB132_374:
	scratch_load_b64 v[0:1], off, off offset:472
	v_cmp_ne_u32_e32 vcc_lo, 1, v70
	v_lshlrev_b64 v[2:3], 3, v[54:55]
	s_cbranch_vccnz .LBB132_376
; %bb.375:
	s_delay_alu instid0(VALU_DEP_1) | instskip(NEXT) | instid1(VALU_DEP_2)
	v_add_co_u32 v4, vcc_lo, v71, v2
	v_add_co_ci_u32_e32 v5, vcc_lo, v72, v3, vcc_lo
	flat_load_b64 v[4:5], v[4:5]
	s_waitcnt vmcnt(0) lgkmcnt(0)
	v_mul_f64 v[4:5], s[34:35], v[4:5]
	s_branch .LBB132_377
.LBB132_376:
	v_mov_b32_e32 v4, 0
	v_mov_b32_e32 v5, 0
.LBB132_377:
	s_waitcnt vmcnt(0)
	s_delay_alu instid0(VALU_DEP_1)
	v_add_f64 v[0:1], v[0:1], v[4:5]
	v_add_co_u32 v2, vcc_lo, v68, v2
	v_add_co_ci_u32_e32 v3, vcc_lo, v69, v3, vcc_lo
	global_store_b64 v[2:3], v[0:1], off
	s_or_b32 exec_lo, exec_lo, s0
	s_and_b32 s1, s11, s29
	s_delay_alu instid0(SALU_CYCLE_1)
	s_and_saveexec_b32 s0, s1
	s_cbranch_execz .LBB132_262
.LBB132_378:
	scratch_load_b64 v[0:1], off, off offset:480
	v_cmp_ne_u32_e32 vcc_lo, 1, v70
	v_lshlrev_b64 v[2:3], 3, v[56:57]
	s_cbranch_vccnz .LBB132_380
; %bb.379:
	s_delay_alu instid0(VALU_DEP_1) | instskip(NEXT) | instid1(VALU_DEP_2)
	v_add_co_u32 v4, vcc_lo, v71, v2
	v_add_co_ci_u32_e32 v5, vcc_lo, v72, v3, vcc_lo
	flat_load_b64 v[4:5], v[4:5]
	s_waitcnt vmcnt(0) lgkmcnt(0)
	v_mul_f64 v[4:5], s[34:35], v[4:5]
	s_branch .LBB132_381
.LBB132_380:
	v_mov_b32_e32 v4, 0
	v_mov_b32_e32 v5, 0
.LBB132_381:
	s_waitcnt vmcnt(0)
	s_delay_alu instid0(VALU_DEP_1)
	v_add_f64 v[0:1], v[0:1], v[4:5]
	v_add_co_u32 v2, vcc_lo, v68, v2
	v_add_co_ci_u32_e32 v3, vcc_lo, v69, v3, vcc_lo
	global_store_b64 v[2:3], v[0:1], off
	s_or_b32 exec_lo, exec_lo, s0
	s_and_b32 s1, s11, s30
	s_delay_alu instid0(SALU_CYCLE_1)
	s_and_saveexec_b32 s0, s1
	s_cbranch_execz .LBB132_263
.LBB132_382:
	scratch_load_b64 v[0:1], off, off offset:488
	v_cmp_ne_u32_e32 vcc_lo, 1, v70
	v_lshlrev_b64 v[2:3], 3, v[58:59]
	s_cbranch_vccnz .LBB132_384
; %bb.383:
	s_delay_alu instid0(VALU_DEP_1) | instskip(NEXT) | instid1(VALU_DEP_2)
	v_add_co_u32 v4, vcc_lo, v71, v2
	v_add_co_ci_u32_e32 v5, vcc_lo, v72, v3, vcc_lo
	flat_load_b64 v[4:5], v[4:5]
	s_waitcnt vmcnt(0) lgkmcnt(0)
	v_mul_f64 v[4:5], s[34:35], v[4:5]
	s_branch .LBB132_385
.LBB132_384:
	v_mov_b32_e32 v4, 0
	v_mov_b32_e32 v5, 0
.LBB132_385:
	s_waitcnt vmcnt(0)
	s_delay_alu instid0(VALU_DEP_1)
	v_add_f64 v[0:1], v[0:1], v[4:5]
	v_add_co_u32 v2, vcc_lo, v68, v2
	v_add_co_ci_u32_e32 v3, vcc_lo, v69, v3, vcc_lo
	global_store_b64 v[2:3], v[0:1], off
	s_or_b32 exec_lo, exec_lo, s0
	s_and_b32 s1, s11, s31
	s_delay_alu instid0(SALU_CYCLE_1)
	s_and_saveexec_b32 s0, s1
	s_cbranch_execz .LBB132_264
.LBB132_386:
	scratch_load_b64 v[0:1], off, off offset:496
	v_cmp_ne_u32_e32 vcc_lo, 1, v70
	v_lshlrev_b64 v[2:3], 3, v[60:61]
	s_cbranch_vccnz .LBB132_388
; %bb.387:
	s_delay_alu instid0(VALU_DEP_1) | instskip(NEXT) | instid1(VALU_DEP_2)
	v_add_co_u32 v4, vcc_lo, v71, v2
	v_add_co_ci_u32_e32 v5, vcc_lo, v72, v3, vcc_lo
	flat_load_b64 v[4:5], v[4:5]
	s_waitcnt vmcnt(0) lgkmcnt(0)
	v_mul_f64 v[4:5], s[34:35], v[4:5]
	s_branch .LBB132_389
.LBB132_388:
	v_mov_b32_e32 v4, 0
	v_mov_b32_e32 v5, 0
.LBB132_389:
	s_waitcnt vmcnt(0)
	s_delay_alu instid0(VALU_DEP_1)
	v_add_f64 v[0:1], v[0:1], v[4:5]
	v_add_co_u32 v2, vcc_lo, v68, v2
	v_add_co_ci_u32_e32 v3, vcc_lo, v69, v3, vcc_lo
	global_store_b64 v[2:3], v[0:1], off
	s_or_b32 exec_lo, exec_lo, s0
	s_and_b32 s0, s11, s33
	s_delay_alu instid0(SALU_CYCLE_1)
	s_and_saveexec_b32 s1, s0
	s_cbranch_execz .LBB132_265
.LBB132_390:
	scratch_load_b64 v[0:1], off, off offset:504
	v_cmp_ne_u32_e32 vcc_lo, 1, v70
	v_lshlrev_b64 v[2:3], 3, v[62:63]
	s_cbranch_vccnz .LBB132_392
; %bb.391:
	s_delay_alu instid0(VALU_DEP_1) | instskip(NEXT) | instid1(VALU_DEP_2)
	v_add_co_u32 v4, vcc_lo, v71, v2
	v_add_co_ci_u32_e32 v5, vcc_lo, v72, v3, vcc_lo
	flat_load_b64 v[4:5], v[4:5]
	s_waitcnt vmcnt(0) lgkmcnt(0)
	v_mul_f64 v[4:5], s[34:35], v[4:5]
	s_branch .LBB132_393
.LBB132_392:
	v_mov_b32_e32 v4, 0
	v_mov_b32_e32 v5, 0
.LBB132_393:
	s_waitcnt vmcnt(0)
	s_delay_alu instid0(VALU_DEP_1)
	v_add_f64 v[0:1], v[0:1], v[4:5]
	v_add_co_u32 v2, vcc_lo, v68, v2
	v_add_co_ci_u32_e32 v3, vcc_lo, v69, v3, vcc_lo
	global_store_b64 v[2:3], v[0:1], off
	s_endpgm
	.section	.rodata,"a",@progbits
	.p2align	6, 0x0
	.amdhsa_kernel _ZN12_GLOBAL__N_120geam_min_plus_kernelIdddLi4ELi64ELi128ELi128ELi4ELi64ELi4ELi4ELi64ELc78ELc78ELb0ELb1ELb0EPKdKS2_KPdEEviiiT16_PT17_ilS8_ilS6_S8_ilPT18_ili26rocblas_geam_ex_operation_
		.amdhsa_group_segment_fixed_size 16384
		.amdhsa_private_segment_fixed_size 528
		.amdhsa_kernarg_size 136
		.amdhsa_user_sgpr_count 14
		.amdhsa_user_sgpr_dispatch_ptr 0
		.amdhsa_user_sgpr_queue_ptr 0
		.amdhsa_user_sgpr_kernarg_segment_ptr 1
		.amdhsa_user_sgpr_dispatch_id 0
		.amdhsa_user_sgpr_private_segment_size 0
		.amdhsa_wavefront_size32 1
		.amdhsa_uses_dynamic_stack 0
		.amdhsa_enable_private_segment 1
		.amdhsa_system_sgpr_workgroup_id_x 1
		.amdhsa_system_sgpr_workgroup_id_y 0
		.amdhsa_system_sgpr_workgroup_id_z 1
		.amdhsa_system_sgpr_workgroup_info 0
		.amdhsa_system_vgpr_workitem_id 1
		.amdhsa_next_free_vgpr 253
		.amdhsa_next_free_sgpr 46
		.amdhsa_reserve_vcc 1
		.amdhsa_float_round_mode_32 0
		.amdhsa_float_round_mode_16_64 0
		.amdhsa_float_denorm_mode_32 3
		.amdhsa_float_denorm_mode_16_64 3
		.amdhsa_dx10_clamp 1
		.amdhsa_ieee_mode 1
		.amdhsa_fp16_overflow 0
		.amdhsa_workgroup_processor_mode 1
		.amdhsa_memory_ordered 1
		.amdhsa_forward_progress 0
		.amdhsa_shared_vgpr_count 0
		.amdhsa_exception_fp_ieee_invalid_op 0
		.amdhsa_exception_fp_denorm_src 0
		.amdhsa_exception_fp_ieee_div_zero 0
		.amdhsa_exception_fp_ieee_overflow 0
		.amdhsa_exception_fp_ieee_underflow 0
		.amdhsa_exception_fp_ieee_inexact 0
		.amdhsa_exception_int_div_zero 0
	.end_amdhsa_kernel
	.section	.text._ZN12_GLOBAL__N_120geam_min_plus_kernelIdddLi4ELi64ELi128ELi128ELi4ELi64ELi4ELi4ELi64ELc78ELc78ELb0ELb1ELb0EPKdKS2_KPdEEviiiT16_PT17_ilS8_ilS6_S8_ilPT18_ili26rocblas_geam_ex_operation_,"axG",@progbits,_ZN12_GLOBAL__N_120geam_min_plus_kernelIdddLi4ELi64ELi128ELi128ELi4ELi64ELi4ELi4ELi64ELc78ELc78ELb0ELb1ELb0EPKdKS2_KPdEEviiiT16_PT17_ilS8_ilS6_S8_ilPT18_ili26rocblas_geam_ex_operation_,comdat
.Lfunc_end132:
	.size	_ZN12_GLOBAL__N_120geam_min_plus_kernelIdddLi4ELi64ELi128ELi128ELi4ELi64ELi4ELi4ELi64ELc78ELc78ELb0ELb1ELb0EPKdKS2_KPdEEviiiT16_PT17_ilS8_ilS6_S8_ilPT18_ili26rocblas_geam_ex_operation_, .Lfunc_end132-_ZN12_GLOBAL__N_120geam_min_plus_kernelIdddLi4ELi64ELi128ELi128ELi4ELi64ELi4ELi4ELi64ELc78ELc78ELb0ELb1ELb0EPKdKS2_KPdEEviiiT16_PT17_ilS8_ilS6_S8_ilPT18_ili26rocblas_geam_ex_operation_
                                        ; -- End function
	.section	.AMDGPU.csdata,"",@progbits
; Kernel info:
; codeLenInByte = 47408
; NumSgprs: 48
; NumVgprs: 253
; ScratchSize: 528
; MemoryBound: 1
; FloatMode: 240
; IeeeMode: 1
; LDSByteSize: 16384 bytes/workgroup (compile time only)
; SGPRBlocks: 5
; VGPRBlocks: 31
; NumSGPRsForWavesPerEU: 48
; NumVGPRsForWavesPerEU: 253
; Occupancy: 5
; WaveLimiterHint : 1
; COMPUTE_PGM_RSRC2:SCRATCH_EN: 1
; COMPUTE_PGM_RSRC2:USER_SGPR: 14
; COMPUTE_PGM_RSRC2:TRAP_HANDLER: 0
; COMPUTE_PGM_RSRC2:TGID_X_EN: 1
; COMPUTE_PGM_RSRC2:TGID_Y_EN: 0
; COMPUTE_PGM_RSRC2:TGID_Z_EN: 1
; COMPUTE_PGM_RSRC2:TIDIG_COMP_CNT: 1
	.section	.text._ZN12_GLOBAL__N_120geam_min_plus_kernelIdddLi4ELi64ELi128ELi128ELi4ELi64ELi4ELi4ELi64ELc78ELc78ELb1ELb1ELb0EdKPKdKPdEEviiiT16_PT17_ilS8_ilS6_S8_ilPT18_ili26rocblas_geam_ex_operation_,"axG",@progbits,_ZN12_GLOBAL__N_120geam_min_plus_kernelIdddLi4ELi64ELi128ELi128ELi4ELi64ELi4ELi4ELi64ELc78ELc78ELb1ELb1ELb0EdKPKdKPdEEviiiT16_PT17_ilS8_ilS6_S8_ilPT18_ili26rocblas_geam_ex_operation_,comdat
	.globl	_ZN12_GLOBAL__N_120geam_min_plus_kernelIdddLi4ELi64ELi128ELi128ELi4ELi64ELi4ELi4ELi64ELc78ELc78ELb1ELb1ELb0EdKPKdKPdEEviiiT16_PT17_ilS8_ilS6_S8_ilPT18_ili26rocblas_geam_ex_operation_ ; -- Begin function _ZN12_GLOBAL__N_120geam_min_plus_kernelIdddLi4ELi64ELi128ELi128ELi4ELi64ELi4ELi4ELi64ELc78ELc78ELb1ELb1ELb0EdKPKdKPdEEviiiT16_PT17_ilS8_ilS6_S8_ilPT18_ili26rocblas_geam_ex_operation_
	.p2align	8
	.type	_ZN12_GLOBAL__N_120geam_min_plus_kernelIdddLi4ELi64ELi128ELi128ELi4ELi64ELi4ELi4ELi64ELc78ELc78ELb1ELb1ELb0EdKPKdKPdEEviiiT16_PT17_ilS8_ilS6_S8_ilPT18_ili26rocblas_geam_ex_operation_,@function
_ZN12_GLOBAL__N_120geam_min_plus_kernelIdddLi4ELi64ELi128ELi128ELi4ELi64ELi4ELi4ELi64ELc78ELc78ELb1ELb1ELb0EdKPKdKPdEEviiiT16_PT17_ilS8_ilS6_S8_ilPT18_ili26rocblas_geam_ex_operation_: ; @_ZN12_GLOBAL__N_120geam_min_plus_kernelIdddLi4ELi64ELi128ELi128ELi4ELi64ELi4ELi4ELi64ELc78ELc78ELb1ELb1ELb0EdKPKdKPdEEviiiT16_PT17_ilS8_ilS6_S8_ilPT18_ili26rocblas_geam_ex_operation_
; %bb.0:
	s_clause 0x1
	s_load_b128 s[8:11], s[0:1], 0x10
	s_load_b128 s[4:7], s[0:1], 0x28
	s_mov_b32 s2, s15
	s_mov_b64 s[12:13], 0
	s_waitcnt lgkmcnt(0)
	v_cmp_eq_f64_e64 s15, s[8:9], 0
	s_delay_alu instid0(VALU_DEP_1)
	s_and_b32 vcc_lo, exec_lo, s15
	s_cbranch_vccnz .LBB133_2
; %bb.1:
	s_mov_b32 s3, 0
	s_delay_alu instid0(SALU_CYCLE_1) | instskip(NEXT) | instid1(SALU_CYCLE_1)
	s_lshl_b64 s[8:9], s[2:3], 3
	s_add_u32 s8, s10, s8
	s_addc_u32 s9, s11, s9
	s_lshl_b64 s[4:5], s[4:5], 3
	s_load_b64 s[8:9], s[8:9], 0x0
	s_waitcnt lgkmcnt(0)
	s_add_u32 s12, s8, s4
	s_addc_u32 s13, s9, s5
.LBB133_2:
	s_clause 0x1
	s_load_b128 s[36:39], s[0:1], 0x40
	s_load_b64 s[8:9], s[0:1], 0x50
	s_and_not1_b32 vcc_lo, exec_lo, s15
	s_cbranch_vccnz .LBB133_4
; %bb.3:
	s_mov_b32 s3, 0
	s_mov_b64 s[10:11], 0
	s_cbranch_execz .LBB133_5
	s_branch .LBB133_6
.LBB133_4:
	s_mov_b32 s3, -1
                                        ; implicit-def: $sgpr10_sgpr11
.LBB133_5:
	s_mov_b32 s3, 0
	s_delay_alu instid0(SALU_CYCLE_1) | instskip(NEXT) | instid1(SALU_CYCLE_1)
	s_lshl_b64 s[4:5], s[2:3], 3
	s_add_u32 s4, s6, s4
	s_addc_u32 s5, s7, s5
	s_waitcnt lgkmcnt(0)
	s_lshl_b64 s[6:7], s[36:37], 3
	s_load_b64 s[4:5], s[4:5], 0x0
	s_waitcnt lgkmcnt(0)
	s_add_u32 s10, s4, s6
	s_addc_u32 s11, s5, s7
.LBB133_6:
	s_waitcnt lgkmcnt(0)
	v_cmp_eq_f64_e64 s15, s[38:39], 0
	v_cmp_neq_f64_e64 s36, s[38:39], 0
	s_load_b128 s[4:7], s[0:1], 0x60
	s_mov_b64 s[34:35], 0
	s_delay_alu instid0(VALU_DEP_2)
	s_and_b32 vcc_lo, exec_lo, s15
	s_cbranch_vccnz .LBB133_8
; %bb.7:
	s_lshl_b64 s[16:17], s[2:3], 3
	s_delay_alu instid0(SALU_CYCLE_1)
	s_add_u32 s8, s8, s16
	s_addc_u32 s9, s9, s17
	s_waitcnt lgkmcnt(0)
	s_lshl_b64 s[4:5], s[4:5], 3
	s_load_b64 s[8:9], s[8:9], 0x0
	s_waitcnt lgkmcnt(0)
	s_add_u32 s34, s8, s4
	s_addc_u32 s35, s9, s5
.LBB133_8:
	s_load_b128 s[40:43], s[0:1], 0x0
	s_lshl_b64 s[2:3], s[2:3], 3
	s_waitcnt lgkmcnt(0)
	s_mov_b32 s4, 0
	s_add_u32 s2, s6, s2
	s_addc_u32 s3, s7, s3
	s_load_b32 s16, s[0:1], 0x20
	s_load_b64 s[8:9], s[2:3], 0x0
	v_bfe_u32 v85, v0, 10, 10
	s_mov_b32 s5, s4
	v_and_b32_e32 v84, 0x3ff, v0
	v_dual_mov_b32 v8, s5 :: v_dual_mov_b32 v7, s4
	s_delay_alu instid0(VALU_DEP_2) | instskip(NEXT) | instid1(VALU_DEP_1)
	v_lshl_add_u32 v4, v85, 2, v84
	v_lshrrev_b32_e32 v86, 6, v4
	s_add_i32 s2, s40, -1
	s_delay_alu instid0(SALU_CYCLE_1) | instskip(NEXT) | instid1(VALU_DEP_1)
	s_ashr_i32 s3, s2, 31
	v_cmp_le_i32_e32 vcc_lo, s42, v86
	s_lshr_b32 s3, s3, 25
	s_delay_alu instid0(SALU_CYCLE_1) | instskip(NEXT) | instid1(SALU_CYCLE_1)
	s_add_i32 s2, s2, s3
	s_ashr_i32 s2, s2, 7
	s_delay_alu instid0(SALU_CYCLE_1) | instskip(SKIP_2) | instid1(VALU_DEP_1)
	s_add_i32 s3, s2, 1
	s_not_b32 s2, s2
	v_cvt_f32_u32_e32 v0, s3
	v_rcp_iflag_f32_e32 v0, v0
	s_waitcnt_depctr 0xfff
	v_mul_f32_e32 v0, 0x4f7ffffe, v0
	s_delay_alu instid0(VALU_DEP_1) | instskip(NEXT) | instid1(VALU_DEP_1)
	v_cvt_u32_f32_e32 v0, v0
	v_readfirstlane_b32 s4, v0
	s_waitcnt lgkmcnt(0)
	v_mad_i64_i32 v[0:1], null, s16, v86, 0
	s_delay_alu instid0(VALU_DEP_2) | instskip(NEXT) | instid1(SALU_CYCLE_1)
	s_mul_i32 s2, s2, s4
	s_mul_hi_u32 s2, s4, s2
	s_delay_alu instid0(VALU_DEP_1)
	v_lshlrev_b64 v[2:3], 3, v[0:1]
	s_add_i32 s4, s4, s2
	v_mov_b32_e32 v0, 0
	v_mov_b32_e32 v1, 0
	s_mul_hi_u32 s2, s14, s4
	v_and_b32_e32 v78, 63, v4
	s_mul_i32 s4, s2, s3
	s_add_i32 s5, s2, 1
	s_sub_i32 s4, s14, s4
	s_clause 0x7
	scratch_store_b64 off, v[7:8], off
	scratch_store_b64 off, v[7:8], off offset:8
	scratch_store_b64 off, v[7:8], off offset:16
	;; [unrolled: 1-line block ×7, first 2 shown]
	s_sub_i32 s6, s4, s3
	s_cmp_ge_u32 s4, s3
	s_clause 0x3
	scratch_store_b64 off, v[7:8], off offset:64
	scratch_store_b64 off, v[7:8], off offset:72
	;; [unrolled: 1-line block ×4, first 2 shown]
	s_cselect_b32 s2, s5, s2
	s_cselect_b32 s4, s6, s4
	s_add_i32 s5, s2, 1
	s_cmp_ge_u32 s4, s3
	s_clause 0x1
	scratch_store_b64 off, v[7:8], off offset:96
	scratch_store_b64 off, v[7:8], off offset:104
	s_cselect_b32 s4, s5, s2
	s_clause 0x3
	scratch_store_b64 off, v[7:8], off offset:112
	scratch_store_b64 off, v[7:8], off offset:120
	;; [unrolled: 1-line block ×4, first 2 shown]
	s_mul_i32 s2, s4, s3
	v_add_co_u32 v5, s3, s12, v2
	s_sub_i32 s2, s14, s2
	v_add_co_ci_u32_e64 v6, s3, s13, v3, s3
	s_lshl_b32 s14, s2, 7
	v_mov_b32_e32 v3, v1
	v_or_b32_e32 v68, s14, v78
	v_mov_b32_e32 v2, v0
	s_clause 0x10
	scratch_store_b64 off, v[7:8], off offset:144
	scratch_store_b64 off, v[7:8], off offset:152
	;; [unrolled: 1-line block ×17, first 2 shown]
	v_cmp_le_i32_e64 s2, s40, v68
	v_ashrrev_i32_e32 v69, 31, v68
	s_clause 0x5
	scratch_store_b64 off, v[7:8], off offset:280
	scratch_store_b64 off, v[7:8], off offset:288
	;; [unrolled: 1-line block ×6, first 2 shown]
	s_or_b32 s3, s2, vcc_lo
	s_clause 0x3
	scratch_store_b64 off, v[7:8], off offset:328
	scratch_store_b64 off, v[7:8], off offset:336
	;; [unrolled: 1-line block ×4, first 2 shown]
	s_xor_b32 s3, s3, -1
	s_clause 0x12
	scratch_store_b64 off, v[7:8], off offset:360
	scratch_store_b64 off, v[7:8], off offset:368
	;; [unrolled: 1-line block ×19, first 2 shown]
	s_and_saveexec_b32 s5, s3
	s_cbranch_execz .LBB133_10
; %bb.9:
	v_lshlrev_b64 v[2:3], 3, v[68:69]
	s_delay_alu instid0(VALU_DEP_1) | instskip(NEXT) | instid1(VALU_DEP_1)
	v_add_co_u32 v2, s3, v5, v2
	v_add_co_ci_u32_e64 v3, s3, v6, v3, s3
	flat_load_b64 v[2:3], v[2:3]
.LBB133_10:
	s_or_b32 exec_lo, exec_lo, s5
	v_or_b32_e32 v7, 64, v68
	s_ashr_i32 s17, s16, 31
	s_delay_alu instid0(VALU_DEP_1) | instskip(NEXT) | instid1(VALU_DEP_1)
	v_cmp_le_i32_e64 s3, s40, v7
	s_or_b32 s5, s3, vcc_lo
	s_delay_alu instid0(SALU_CYCLE_1) | instskip(NEXT) | instid1(SALU_CYCLE_1)
	s_xor_b32 s6, s5, -1
	s_and_saveexec_b32 s5, s6
	s_cbranch_execz .LBB133_12
; %bb.11:
	v_lshlrev_b64 v[0:1], 3, v[68:69]
	s_delay_alu instid0(VALU_DEP_1) | instskip(NEXT) | instid1(VALU_DEP_2)
	v_add_co_u32 v0, vcc_lo, v5, v0
	v_add_co_ci_u32_e32 v1, vcc_lo, v6, v1, vcc_lo
	flat_load_b64 v[0:1], v[0:1] offset:512
.LBB133_12:
	s_or_b32 exec_lo, exec_lo, s5
	s_load_b32 s19, s[0:1], 0x38
	v_lshrrev_b32_e32 v8, 2, v4
	v_dual_mov_b32 v4, 0 :: v_dual_and_b32 v87, 3, v84
	s_lshl_b32 s15, s4, 7
	v_mov_b32_e32 v5, 0
	s_delay_alu instid0(VALU_DEP_3) | instskip(NEXT) | instid1(VALU_DEP_3)
	v_add_nc_u32_e32 v79, s15, v8
	v_lshlrev_b32_e32 v9, 3, v87
	v_cmp_le_i32_e32 vcc_lo, s42, v87
	s_delay_alu instid0(VALU_DEP_4) | instskip(NEXT) | instid1(VALU_DEP_4)
	v_dual_mov_b32 v7, v5 :: v_dual_mov_b32 v6, v4
	v_cmp_le_i32_e64 s4, s41, v79
	s_delay_alu instid0(VALU_DEP_4) | instskip(NEXT) | instid1(VALU_DEP_1)
	v_add_co_u32 v10, s5, s10, v9
	v_add_co_ci_u32_e64 v11, null, s11, 0, s5
	s_delay_alu instid0(VALU_DEP_3) | instskip(NEXT) | instid1(SALU_CYCLE_1)
	s_or_b32 s5, vcc_lo, s4
	s_xor_b32 s5, s5, -1
	s_delay_alu instid0(SALU_CYCLE_1)
	s_and_saveexec_b32 s6, s5
	s_cbranch_execz .LBB133_14
; %bb.13:
	s_waitcnt lgkmcnt(0)
	v_mad_i64_i32 v[6:7], null, v79, s19, 0
	s_delay_alu instid0(VALU_DEP_1) | instskip(NEXT) | instid1(VALU_DEP_1)
	v_lshlrev_b64 v[6:7], 3, v[6:7]
	v_add_co_u32 v6, s5, v10, v6
	s_delay_alu instid0(VALU_DEP_1)
	v_add_co_ci_u32_e64 v7, s5, v11, v7, s5
	flat_load_b64 v[6:7], v[6:7]
.LBB133_14:
	s_or_b32 exec_lo, exec_lo, s6
	v_add_nc_u32_e32 v80, 64, v79
	s_delay_alu instid0(VALU_DEP_1) | instskip(NEXT) | instid1(VALU_DEP_1)
	v_cmp_le_i32_e64 s5, s41, v80
	s_or_b32 s6, vcc_lo, s5
	s_delay_alu instid0(SALU_CYCLE_1) | instskip(NEXT) | instid1(SALU_CYCLE_1)
	s_xor_b32 s7, s6, -1
	s_and_saveexec_b32 s6, s7
	s_cbranch_execz .LBB133_16
; %bb.15:
	s_waitcnt lgkmcnt(0)
	v_mad_i64_i32 v[4:5], null, v80, s19, 0
	s_delay_alu instid0(VALU_DEP_1) | instskip(NEXT) | instid1(VALU_DEP_1)
	v_lshlrev_b64 v[4:5], 3, v[4:5]
	v_add_co_u32 v4, vcc_lo, v10, v4
	s_delay_alu instid0(VALU_DEP_2)
	v_add_co_ci_u32_e32 v5, vcc_lo, v11, v5, vcc_lo
	flat_load_b64 v[4:5], v[4:5]
.LBB133_16:
	s_or_b32 exec_lo, exec_lo, s6
	v_add_nc_u32_e32 v14, 4, v86
	v_mov_b32_e32 v70, 0
	v_mov_b32_e32 v71, 0
	s_delay_alu instid0(VALU_DEP_3) | instskip(SKIP_1) | instid1(VALU_DEP_3)
	v_mad_i64_i32 v[12:13], null, s16, v14, 0
	v_cmp_le_i32_e32 vcc_lo, s42, v14
	v_dual_mov_b32 v73, v71 :: v_dual_mov_b32 v72, v70
	s_delay_alu instid0(VALU_DEP_3) | instskip(NEXT) | instid1(VALU_DEP_1)
	v_lshlrev_b64 v[12:13], 3, v[12:13]
	v_add_co_u32 v12, s6, s12, v12
	s_delay_alu instid0(VALU_DEP_1) | instskip(SKIP_1) | instid1(SALU_CYCLE_1)
	v_add_co_ci_u32_e64 v13, s6, s13, v13, s6
	s_or_b32 s6, s2, vcc_lo
	s_xor_b32 s6, s6, -1
	s_delay_alu instid0(SALU_CYCLE_1)
	s_and_saveexec_b32 s7, s6
	s_cbranch_execz .LBB133_18
; %bb.17:
	v_lshlrev_b64 v[14:15], 3, v[68:69]
	s_delay_alu instid0(VALU_DEP_1) | instskip(NEXT) | instid1(VALU_DEP_1)
	v_add_co_u32 v14, s6, v12, v14
	v_add_co_ci_u32_e64 v15, s6, v13, v15, s6
	flat_load_b64 v[72:73], v[14:15]
.LBB133_18:
	s_or_b32 exec_lo, exec_lo, s7
	s_or_b32 s6, s3, vcc_lo
	s_delay_alu instid0(SALU_CYCLE_1) | instskip(NEXT) | instid1(SALU_CYCLE_1)
	s_xor_b32 s7, s6, -1
	s_and_saveexec_b32 s6, s7
	s_cbranch_execz .LBB133_20
; %bb.19:
	v_lshlrev_b64 v[14:15], 3, v[68:69]
	s_delay_alu instid0(VALU_DEP_1) | instskip(NEXT) | instid1(VALU_DEP_2)
	v_add_co_u32 v12, vcc_lo, v12, v14
	v_add_co_ci_u32_e32 v13, vcc_lo, v13, v15, vcc_lo
	flat_load_b64 v[70:71], v[12:13] offset:512
.LBB133_20:
	s_or_b32 exec_lo, exec_lo, s6
	v_or_b32_e32 v12, 4, v87
	v_mov_b32_e32 v74, 0
	v_mov_b32_e32 v75, 0
	s_delay_alu instid0(VALU_DEP_3) | instskip(NEXT) | instid1(VALU_DEP_2)
	v_cmp_le_i32_e32 vcc_lo, s42, v12
	v_dual_mov_b32 v77, v75 :: v_dual_mov_b32 v76, v74
	s_or_b32 s6, vcc_lo, s4
	s_delay_alu instid0(SALU_CYCLE_1) | instskip(NEXT) | instid1(SALU_CYCLE_1)
	s_xor_b32 s6, s6, -1
	s_and_saveexec_b32 s7, s6
	s_cbranch_execz .LBB133_22
; %bb.21:
	s_waitcnt lgkmcnt(0)
	v_mad_i64_i32 v[12:13], null, v79, s19, 0
	s_delay_alu instid0(VALU_DEP_1) | instskip(NEXT) | instid1(VALU_DEP_1)
	v_lshlrev_b64 v[12:13], 3, v[12:13]
	v_add_co_u32 v12, s6, v10, v12
	s_delay_alu instid0(VALU_DEP_1)
	v_add_co_ci_u32_e64 v13, s6, v11, v13, s6
	flat_load_b64 v[76:77], v[12:13] offset:32
.LBB133_22:
	s_or_b32 exec_lo, exec_lo, s7
	s_or_b32 s6, vcc_lo, s5
	s_delay_alu instid0(SALU_CYCLE_1) | instskip(NEXT) | instid1(SALU_CYCLE_1)
	s_xor_b32 s7, s6, -1
	s_and_saveexec_b32 s6, s7
	s_cbranch_execz .LBB133_24
; %bb.23:
	s_waitcnt lgkmcnt(0)
	v_mad_i64_i32 v[12:13], null, v80, s19, 0
	s_delay_alu instid0(VALU_DEP_1) | instskip(NEXT) | instid1(VALU_DEP_1)
	v_lshlrev_b64 v[12:13], 3, v[12:13]
	v_add_co_u32 v10, vcc_lo, v10, v12
	s_delay_alu instid0(VALU_DEP_2)
	v_add_co_ci_u32_e32 v11, vcc_lo, v11, v13, vcc_lo
	flat_load_b64 v[74:75], v[10:11] offset:32
.LBB133_24:
	s_or_b32 exec_lo, exec_lo, s6
	v_dual_mov_b32 v83, 8 :: v_dual_lshlrev_b32 v10, 3, v86
	v_dual_mov_b32 v93, 16 :: v_dual_lshlrev_b32 v88, 5, v84
	v_lshl_or_b32 v81, v8, 5, v9
	s_delay_alu instid0(VALU_DEP_3) | instskip(NEXT) | instid1(VALU_DEP_3)
	v_lshl_add_u32 v89, v78, 5, v10
	v_dual_mov_b32 v97, 48 :: v_dual_add_nc_u32 v48, 0x800, v88
	v_dual_mov_b32 v82, 0 :: v_dual_lshlrev_b32 v91, 5, v85
	s_waitcnt vmcnt(0) lgkmcnt(0)
	ds_store_2addr_stride64_b64 v81, v[6:7], v[4:5] offset0:16 offset1:20
	ds_store_2addr_stride64_b64 v89, v[2:3], v[0:1] offset1:4
	s_waitcnt lgkmcnt(0)
	s_waitcnt_vscnt null, 0x0
	s_barrier
	buffer_gl0_inv
	ds_load_2addr_b64 v[0:3], v88 offset1:16
	ds_load_2addr_b64 v[4:7], v88 offset0:32 offset1:48
	ds_load_2addr_b64 v[8:11], v88 offset0:64 offset1:80
	;; [unrolled: 1-line block ×4, first 2 shown]
	ds_load_2addr_b64 v[20:23], v48 offset1:16
	ds_load_2addr_b64 v[24:27], v48 offset0:32 offset1:48
	ds_load_2addr_b64 v[28:31], v48 offset0:64 offset1:80
	;; [unrolled: 1-line block ×10, first 2 shown]
	ds_load_2addr_stride64_b64 v[64:67], v91 offset0:16 offset1:20
	v_dual_mov_b32 v95, 32 :: v_dual_add_nc_u32 v90, 0x2000, v81
	v_dual_mov_b32 v99, 64 :: v_dual_add_nc_u32 v92, 0x2000, v91
	v_dual_mov_b32 v94, 24 :: v_dual_mov_b32 v101, 0x50
	v_dual_mov_b32 v96, 40 :: v_dual_mov_b32 v103, 0x60
	;; [unrolled: 1-line block ×3, first 2 shown]
	v_mov_b32_e32 v100, 0x48
	v_mov_b32_e32 v102, 0x58
	;; [unrolled: 1-line block ×20, first 2 shown]
	s_mov_b64 s[6:7], 0
	s_mov_b32 s18, -1
.LBB133_25:                             ; =>This Inner Loop Header: Depth=1
	scratch_load_b64 v[123:124], v82, off
	scratch_load_b64 v[125:126], v83, off
	;; [unrolled: 1-line block ×32, first 2 shown]
	s_cmp_eq_u32 s6, 1
	s_waitcnt lgkmcnt(16)
	v_max_f64 v[189:190], v[0:1], v[0:1]
	s_cselect_b32 vcc_lo, -1, 0
	v_max_f64 v[191:192], v[2:3], v[2:3]
	s_waitcnt lgkmcnt(0)
	v_dual_cndmask_b32 v188, v65, v67 :: v_dual_cndmask_b32 v187, v64, v66
	v_max_f64 v[193:194], v[4:5], v[4:5]
	v_max_f64 v[195:196], v[6:7], v[6:7]
	;; [unrolled: 1-line block ×31, first 2 shown]
	s_mov_b64 s[6:7], 1
	s_and_b32 vcc_lo, exec_lo, s18
	s_mov_b32 s18, 0
	v_min_f64 v[189:190], v[189:190], v[187:188]
	v_min_f64 v[191:192], v[191:192], v[187:188]
	;; [unrolled: 1-line block ×32, first 2 shown]
	s_waitcnt vmcnt(31)
	v_add_f64 v[123:124], v[123:124], v[189:190]
	s_waitcnt vmcnt(30)
	v_add_f64 v[125:126], v[191:192], v[125:126]
	;; [unrolled: 2-line block ×32, first 2 shown]
	scratch_store_b64 v82, v[123:124], off
	scratch_store_b64 v83, v[125:126], off
	;; [unrolled: 1-line block ×32, first 2 shown]
	v_mov_b32_e32 v82, 0x100
	v_mov_b32_e32 v83, 0x108
	;; [unrolled: 1-line block ×32, first 2 shown]
	s_cbranch_vccnz .LBB133_25
; %bb.26:
	v_dual_mov_b32 v83, 8 :: v_dual_add_nc_u32 v60, 0x800, v88
	ds_load_2addr_b64 v[0:3], v88 offset0:1 offset1:17
	ds_load_2addr_b64 v[4:7], v88 offset0:33 offset1:49
	;; [unrolled: 1-line block ×12, first 2 shown]
	v_dual_mov_b32 v93, 16 :: v_dual_add_nc_u32 v64, 8, v92
	ds_load_2addr_b64 v[48:51], v60 offset0:129 offset1:145
	ds_load_2addr_b64 v[52:55], v60 offset0:161 offset1:177
	;; [unrolled: 1-line block ×4, first 2 shown]
	ds_load_2addr_stride64_b64 v[64:67], v64 offset1:4
	v_dual_mov_b32 v82, 0 :: v_dual_mov_b32 v95, 32
	v_dual_mov_b32 v94, 24 :: v_dual_mov_b32 v97, 48
	;; [unrolled: 1-line block ×4, first 2 shown]
	v_mov_b32_e32 v100, 0x48
	v_mov_b32_e32 v102, 0x58
	;; [unrolled: 1-line block ×22, first 2 shown]
	s_mov_b64 s[6:7], 0
	s_mov_b32 s18, -1
.LBB133_27:                             ; =>This Inner Loop Header: Depth=1
	scratch_load_b64 v[123:124], v82, off
	scratch_load_b64 v[125:126], v83, off
	;; [unrolled: 1-line block ×32, first 2 shown]
	s_cmp_eq_u32 s6, 1
	s_waitcnt lgkmcnt(16)
	v_max_f64 v[189:190], v[0:1], v[0:1]
	s_cselect_b32 vcc_lo, -1, 0
	v_max_f64 v[191:192], v[2:3], v[2:3]
	s_waitcnt lgkmcnt(0)
	v_dual_cndmask_b32 v188, v65, v67 :: v_dual_cndmask_b32 v187, v64, v66
	v_max_f64 v[193:194], v[4:5], v[4:5]
	v_max_f64 v[195:196], v[6:7], v[6:7]
	;; [unrolled: 1-line block ×31, first 2 shown]
	s_mov_b64 s[6:7], 1
	s_and_b32 vcc_lo, exec_lo, s18
	s_mov_b32 s18, 0
	v_min_f64 v[189:190], v[189:190], v[187:188]
	v_min_f64 v[191:192], v[191:192], v[187:188]
	;; [unrolled: 1-line block ×32, first 2 shown]
	s_waitcnt vmcnt(31)
	v_add_f64 v[123:124], v[123:124], v[189:190]
	s_waitcnt vmcnt(30)
	v_add_f64 v[125:126], v[191:192], v[125:126]
	;; [unrolled: 2-line block ×32, first 2 shown]
	scratch_store_b64 v82, v[123:124], off
	scratch_store_b64 v83, v[125:126], off
	;; [unrolled: 1-line block ×32, first 2 shown]
	v_mov_b32_e32 v82, 0x100
	v_mov_b32_e32 v83, 0x108
	;; [unrolled: 1-line block ×32, first 2 shown]
	s_cbranch_vccnz .LBB133_27
; %bb.28:
	v_dual_mov_b32 v83, 8 :: v_dual_add_nc_u32 v60, 0x800, v88
	ds_load_2addr_b64 v[0:3], v88 offset0:2 offset1:18
	ds_load_2addr_b64 v[4:7], v88 offset0:34 offset1:50
	;; [unrolled: 1-line block ×12, first 2 shown]
	v_dual_mov_b32 v93, 16 :: v_dual_add_nc_u32 v64, 16, v92
	ds_load_2addr_b64 v[48:51], v60 offset0:130 offset1:146
	ds_load_2addr_b64 v[52:55], v60 offset0:162 offset1:178
	;; [unrolled: 1-line block ×4, first 2 shown]
	ds_load_2addr_stride64_b64 v[64:67], v64 offset1:4
	v_dual_mov_b32 v82, 0 :: v_dual_mov_b32 v95, 32
	v_dual_mov_b32 v94, 24 :: v_dual_mov_b32 v97, 48
	;; [unrolled: 1-line block ×4, first 2 shown]
	v_mov_b32_e32 v100, 0x48
	v_mov_b32_e32 v102, 0x58
	v_mov_b32_e32 v103, 0x60
	v_mov_b32_e32 v104, 0x68
	v_mov_b32_e32 v105, 0x70
	v_mov_b32_e32 v106, 0x78
	v_mov_b32_e32 v107, 0x80
	v_mov_b32_e32 v108, 0x88
	v_mov_b32_e32 v109, 0x90
	v_mov_b32_e32 v110, 0x98
	v_mov_b32_e32 v111, 0xa0
	v_mov_b32_e32 v112, 0xa8
	v_mov_b32_e32 v113, 0xb0
	v_mov_b32_e32 v114, 0xb8
	v_mov_b32_e32 v115, 0xc0
	v_mov_b32_e32 v116, 0xc8
	v_mov_b32_e32 v117, 0xd0
	v_mov_b32_e32 v118, 0xd8
	v_mov_b32_e32 v119, 0xe0
	v_mov_b32_e32 v120, 0xe8
	v_mov_b32_e32 v121, 0xf0
	v_mov_b32_e32 v122, 0xf8
	s_mov_b64 s[6:7], 0
	s_mov_b32 s18, -1
.LBB133_29:                             ; =>This Inner Loop Header: Depth=1
	scratch_load_b64 v[123:124], v82, off
	scratch_load_b64 v[125:126], v83, off
	scratch_load_b64 v[127:128], v93, off
	scratch_load_b64 v[129:130], v94, off
	scratch_load_b64 v[131:132], v95, off
	scratch_load_b64 v[133:134], v96, off
	scratch_load_b64 v[135:136], v97, off
	scratch_load_b64 v[137:138], v98, off
	scratch_load_b64 v[139:140], v99, off
	scratch_load_b64 v[141:142], v100, off
	scratch_load_b64 v[143:144], v101, off
	scratch_load_b64 v[145:146], v102, off
	scratch_load_b64 v[147:148], v103, off
	scratch_load_b64 v[149:150], v104, off
	scratch_load_b64 v[151:152], v105, off
	scratch_load_b64 v[153:154], v106, off
	scratch_load_b64 v[155:156], v107, off
	scratch_load_b64 v[157:158], v108, off
	scratch_load_b64 v[159:160], v109, off
	scratch_load_b64 v[161:162], v110, off
	scratch_load_b64 v[163:164], v111, off
	scratch_load_b64 v[165:166], v112, off
	scratch_load_b64 v[167:168], v113, off
	scratch_load_b64 v[169:170], v114, off
	scratch_load_b64 v[171:172], v115, off
	scratch_load_b64 v[173:174], v116, off
	scratch_load_b64 v[175:176], v117, off
	scratch_load_b64 v[177:178], v118, off
	scratch_load_b64 v[179:180], v119, off
	scratch_load_b64 v[181:182], v120, off
	scratch_load_b64 v[183:184], v121, off
	scratch_load_b64 v[185:186], v122, off
	s_cmp_eq_u32 s6, 1
	s_waitcnt lgkmcnt(16)
	v_max_f64 v[189:190], v[0:1], v[0:1]
	s_cselect_b32 vcc_lo, -1, 0
	v_max_f64 v[191:192], v[2:3], v[2:3]
	s_waitcnt lgkmcnt(0)
	v_dual_cndmask_b32 v188, v65, v67 :: v_dual_cndmask_b32 v187, v64, v66
	v_max_f64 v[193:194], v[4:5], v[4:5]
	v_max_f64 v[195:196], v[6:7], v[6:7]
	;; [unrolled: 1-line block ×31, first 2 shown]
	s_mov_b64 s[6:7], 1
	s_and_b32 vcc_lo, exec_lo, s18
	s_mov_b32 s18, 0
	v_min_f64 v[189:190], v[189:190], v[187:188]
	v_min_f64 v[191:192], v[191:192], v[187:188]
	;; [unrolled: 1-line block ×32, first 2 shown]
	s_waitcnt vmcnt(31)
	v_add_f64 v[123:124], v[123:124], v[189:190]
	s_waitcnt vmcnt(30)
	v_add_f64 v[125:126], v[191:192], v[125:126]
	;; [unrolled: 2-line block ×32, first 2 shown]
	scratch_store_b64 v82, v[123:124], off
	scratch_store_b64 v83, v[125:126], off
	;; [unrolled: 1-line block ×32, first 2 shown]
	v_mov_b32_e32 v82, 0x100
	v_mov_b32_e32 v83, 0x108
	;; [unrolled: 1-line block ×32, first 2 shown]
	s_cbranch_vccnz .LBB133_29
; %bb.30:
	v_dual_mov_b32 v83, 8 :: v_dual_add_nc_u32 v60, 0x800, v88
	ds_load_2addr_b64 v[0:3], v88 offset0:3 offset1:19
	ds_load_2addr_b64 v[4:7], v88 offset0:35 offset1:51
	;; [unrolled: 1-line block ×12, first 2 shown]
	v_dual_mov_b32 v93, 16 :: v_dual_add_nc_u32 v64, 24, v92
	ds_load_2addr_b64 v[48:51], v60 offset0:131 offset1:147
	ds_load_2addr_b64 v[52:55], v60 offset0:163 offset1:179
	;; [unrolled: 1-line block ×4, first 2 shown]
	ds_load_2addr_stride64_b64 v[64:67], v64 offset1:4
	v_dual_mov_b32 v82, 0 :: v_dual_mov_b32 v95, 32
	v_dual_mov_b32 v94, 24 :: v_dual_mov_b32 v97, 48
	;; [unrolled: 1-line block ×4, first 2 shown]
	v_mov_b32_e32 v100, 0x48
	v_mov_b32_e32 v102, 0x58
	;; [unrolled: 1-line block ×22, first 2 shown]
	s_mov_b64 s[6:7], 0
	s_mov_b32 s18, -1
.LBB133_31:                             ; =>This Inner Loop Header: Depth=1
	scratch_load_b64 v[123:124], v82, off
	scratch_load_b64 v[125:126], v83, off
	;; [unrolled: 1-line block ×32, first 2 shown]
	s_cmp_eq_u32 s6, 1
	s_waitcnt lgkmcnt(16)
	v_max_f64 v[189:190], v[0:1], v[0:1]
	s_cselect_b32 vcc_lo, -1, 0
	v_max_f64 v[191:192], v[2:3], v[2:3]
	s_waitcnt lgkmcnt(0)
	v_dual_cndmask_b32 v188, v65, v67 :: v_dual_cndmask_b32 v187, v64, v66
	v_max_f64 v[193:194], v[4:5], v[4:5]
	v_max_f64 v[195:196], v[6:7], v[6:7]
	;; [unrolled: 1-line block ×31, first 2 shown]
	s_mov_b64 s[6:7], 1
	s_and_b32 vcc_lo, exec_lo, s18
	s_mov_b32 s18, 0
	v_min_f64 v[189:190], v[189:190], v[187:188]
	v_min_f64 v[191:192], v[191:192], v[187:188]
	;; [unrolled: 1-line block ×32, first 2 shown]
	s_waitcnt vmcnt(31)
	v_add_f64 v[123:124], v[123:124], v[189:190]
	s_waitcnt vmcnt(30)
	v_add_f64 v[125:126], v[191:192], v[125:126]
	;; [unrolled: 2-line block ×32, first 2 shown]
	scratch_store_b64 v82, v[123:124], off
	scratch_store_b64 v83, v[125:126], off
	;; [unrolled: 1-line block ×32, first 2 shown]
	v_mov_b32_e32 v82, 0x100
	v_mov_b32_e32 v83, 0x108
	;; [unrolled: 1-line block ×32, first 2 shown]
	s_cbranch_vccnz .LBB133_31
; %bb.32:
	v_lshlrev_b32_e32 v0, 5, v78
	s_mov_b32 s18, 8
	s_cmp_gt_i32 s42, 8
	ds_store_2addr_stride64_b64 v81, v[76:77], v[74:75] offset0:24 offset1:28
	v_lshl_add_u32 v0, v86, 3, v0
	ds_store_2addr_stride64_b64 v0, v[72:73], v[70:71] offset0:8 offset1:12
	s_waitcnt lgkmcnt(0)
	s_waitcnt_vscnt null, 0x0
	s_barrier
	buffer_gl0_inv
	s_cbranch_scc0 .LBB133_67
; %bb.33:
	v_mad_i64_i32 v[1:2], null, v79, s19, 0
	v_mad_i64_i32 v[3:4], null, v80, s19, 0
	v_lshl_add_u32 v95, v84, 5, 0x1000
	v_lshlrev_b64 v[68:69], 3, v[68:69]
	v_or_b32_e32 v93, 0x1000, v0
	v_dual_mov_b32 v71, 0 :: v_dual_add_nc_u32 v94, 0x3000, v81
	v_lshlrev_b64 v[72:73], 3, v[1:2]
	v_lshlrev_b64 v[74:75], 3, v[3:4]
	v_lshl_add_u32 v96, v85, 5, 0x3000
	v_add_nc_u32_e32 v97, 0x800, v95
	s_add_i32 s19, s42, -8
	s_mov_b32 s20, 0
.LBB133_34:                             ; =>This Loop Header: Depth=1
                                        ;     Child Loop BB133_43 Depth 2
                                        ;     Child Loop BB133_45 Depth 2
	;; [unrolled: 1-line block ×8, first 2 shown]
	v_add_nc_u32_e32 v4, s18, v86
	v_mov_b32_e32 v76, 0
	v_mov_b32_e32 v77, 0
	s_delay_alu instid0(VALU_DEP_3) | instskip(NEXT) | instid1(VALU_DEP_2)
	v_mad_u64_u32 v[0:1], null, v4, s16, 0
	v_dual_mov_b32 v79, v77 :: v_dual_mov_b32 v78, v76
	s_delay_alu instid0(VALU_DEP_2) | instskip(NEXT) | instid1(VALU_DEP_1)
	v_mad_u64_u32 v[2:3], null, v4, s17, v[1:2]
	v_mov_b32_e32 v1, v2
	v_cmp_le_i32_e32 vcc_lo, s42, v4
	s_delay_alu instid0(VALU_DEP_2) | instskip(NEXT) | instid1(VALU_DEP_1)
	v_lshlrev_b64 v[0:1], 3, v[0:1]
	v_add_co_u32 v0, s6, s12, v0
	s_delay_alu instid0(VALU_DEP_1) | instskip(SKIP_1) | instid1(SALU_CYCLE_1)
	v_add_co_ci_u32_e64 v1, s6, s13, v1, s6
	s_or_b32 s6, s2, vcc_lo
	s_xor_b32 s6, s6, -1
	s_delay_alu instid0(SALU_CYCLE_1)
	s_and_saveexec_b32 s7, s6
	s_cbranch_execz .LBB133_36
; %bb.35:                               ;   in Loop: Header=BB133_34 Depth=1
	v_add_co_u32 v2, s6, v0, v68
	s_delay_alu instid0(VALU_DEP_1)
	v_add_co_ci_u32_e64 v3, s6, v1, v69, s6
	flat_load_b64 v[78:79], v[2:3]
.LBB133_36:                             ;   in Loop: Header=BB133_34 Depth=1
	s_or_b32 exec_lo, exec_lo, s7
	s_or_b32 s6, s3, vcc_lo
	s_delay_alu instid0(SALU_CYCLE_1) | instskip(NEXT) | instid1(SALU_CYCLE_1)
	s_xor_b32 s7, s6, -1
	s_and_saveexec_b32 s6, s7
	s_cbranch_execz .LBB133_38
; %bb.37:                               ;   in Loop: Header=BB133_34 Depth=1
	v_add_co_u32 v0, vcc_lo, v0, v68
	v_add_co_ci_u32_e32 v1, vcc_lo, v1, v69, vcc_lo
	flat_load_b64 v[76:77], v[0:1] offset:512
.LBB133_38:                             ;   in Loop: Header=BB133_34 Depth=1
	s_or_b32 exec_lo, exec_lo, s6
	v_or_b32_e32 v70, s18, v87
	v_mov_b32_e32 v80, 0
	v_mov_b32_e32 v81, 0
	s_delay_alu instid0(VALU_DEP_3) | instskip(SKIP_1) | instid1(VALU_DEP_3)
	v_lshlrev_b64 v[0:1], 3, v[70:71]
	v_cmp_le_i32_e32 vcc_lo, s42, v70
	v_dual_mov_b32 v83, v81 :: v_dual_mov_b32 v82, v80
	s_delay_alu instid0(VALU_DEP_3) | instskip(NEXT) | instid1(VALU_DEP_1)
	v_add_co_u32 v98, s6, s10, v0
	v_add_co_ci_u32_e64 v99, s6, s11, v1, s6
	s_or_b32 s6, s4, vcc_lo
	s_delay_alu instid0(SALU_CYCLE_1) | instskip(NEXT) | instid1(SALU_CYCLE_1)
	s_xor_b32 s6, s6, -1
	s_and_saveexec_b32 s7, s6
	s_cbranch_execz .LBB133_40
; %bb.39:                               ;   in Loop: Header=BB133_34 Depth=1
	v_add_co_u32 v0, s6, v98, v72
	s_delay_alu instid0(VALU_DEP_1)
	v_add_co_ci_u32_e64 v1, s6, v99, v73, s6
	flat_load_b64 v[82:83], v[0:1]
.LBB133_40:                             ;   in Loop: Header=BB133_34 Depth=1
	s_or_b32 exec_lo, exec_lo, s7
	s_or_b32 s6, s5, vcc_lo
	s_delay_alu instid0(SALU_CYCLE_1) | instskip(NEXT) | instid1(SALU_CYCLE_1)
	s_xor_b32 s7, s6, -1
	s_and_saveexec_b32 s6, s7
	s_cbranch_execz .LBB133_42
; %bb.41:                               ;   in Loop: Header=BB133_34 Depth=1
	v_add_co_u32 v0, vcc_lo, v98, v74
	v_add_co_ci_u32_e32 v1, vcc_lo, v99, v75, vcc_lo
	flat_load_b64 v[80:81], v[0:1]
.LBB133_42:                             ;   in Loop: Header=BB133_34 Depth=1
	s_or_b32 exec_lo, exec_lo, s6
	ds_load_2addr_b64 v[0:3], v95 offset1:16
	ds_load_2addr_b64 v[4:7], v95 offset0:32 offset1:48
	ds_load_2addr_b64 v[8:11], v95 offset0:64 offset1:80
	;; [unrolled: 1-line block ×7, first 2 shown]
	ds_load_2addr_b64 v[32:35], v97 offset1:16
	ds_load_2addr_b64 v[36:39], v97 offset0:32 offset1:48
	ds_load_2addr_b64 v[40:43], v97 offset0:64 offset1:80
	;; [unrolled: 1-line block ×7, first 2 shown]
	ds_load_2addr_stride64_b64 v[64:67], v96 offset1:4
	v_dual_mov_b32 v131, 0 :: v_dual_mov_b32 v130, 8
	v_dual_mov_b32 v129, 16 :: v_dual_mov_b32 v128, 24
	;; [unrolled: 1-line block ×5, first 2 shown]
	v_mov_b32_e32 v121, 0x50
	v_mov_b32_e32 v120, 0x58
	;; [unrolled: 1-line block ×22, first 2 shown]
	s_mov_b64 s[6:7], 0
	s_mov_b32 s21, -1
.LBB133_43:                             ;   Parent Loop BB133_34 Depth=1
                                        ; =>  This Inner Loop Header: Depth=2
	scratch_load_b64 v[136:137], v131, off
	s_cmp_eq_u32 s6, 1
	s_waitcnt lgkmcnt(16)
	v_max_f64 v[134:135], v[0:1], v[0:1]
	s_cselect_b32 vcc_lo, -1, 0
	s_mov_b64 s[6:7], 1
	s_waitcnt lgkmcnt(0)
	v_dual_cndmask_b32 v133, v65, v67 :: v_dual_cndmask_b32 v132, v64, v66
	s_and_b32 vcc_lo, exec_lo, s21
	s_mov_b32 s21, 0
	s_delay_alu instid0(VALU_DEP_1) | instskip(NEXT) | instid1(VALU_DEP_1)
	v_max_f64 v[132:133], v[132:133], v[132:133]
	v_min_f64 v[134:135], v[134:135], v[132:133]
	s_waitcnt vmcnt(0)
	s_delay_alu instid0(VALU_DEP_1) | instskip(SKIP_3) | instid1(VALU_DEP_1)
	v_add_f64 v[134:135], v[136:137], v[134:135]
	scratch_load_b64 v[136:137], v130, off
	scratch_store_b64 v131, v[134:135], off
	v_max_f64 v[134:135], v[2:3], v[2:3]
	v_min_f64 v[134:135], v[134:135], v[132:133]
	s_waitcnt vmcnt(0)
	s_delay_alu instid0(VALU_DEP_1) | instskip(SKIP_3) | instid1(VALU_DEP_1)
	v_add_f64 v[134:135], v[134:135], v[136:137]
	scratch_store_b64 v130, v[134:135], off
	scratch_load_b64 v[134:135], v129, off
	v_max_f64 v[130:131], v[4:5], v[4:5]
	v_min_f64 v[130:131], v[130:131], v[132:133]
	s_waitcnt vmcnt(0)
	s_delay_alu instid0(VALU_DEP_1) | instskip(SKIP_3) | instid1(VALU_DEP_1)
	v_add_f64 v[130:131], v[130:131], v[134:135]
	scratch_load_b64 v[134:135], v128, off
	scratch_store_b64 v129, v[130:131], off
	v_max_f64 v[129:130], v[6:7], v[6:7]
	v_min_f64 v[129:130], v[129:130], v[132:133]
	s_waitcnt vmcnt(0)
	s_delay_alu instid0(VALU_DEP_1) | instskip(SKIP_3) | instid1(VALU_DEP_1)
	v_add_f64 v[129:130], v[129:130], v[134:135]
	scratch_store_b64 v128, v[129:130], off
	scratch_load_b64 v[130:131], v127, off
	v_max_f64 v[128:129], v[8:9], v[8:9]
	v_min_f64 v[128:129], v[128:129], v[132:133]
	s_waitcnt vmcnt(0)
	s_delay_alu instid0(VALU_DEP_1) | instskip(SKIP_4) | instid1(VALU_DEP_1)
	v_add_f64 v[128:129], v[128:129], v[130:131]
	v_mov_b32_e32 v131, 0x100
	scratch_store_b64 v127, v[128:129], off
	scratch_load_b64 v[129:130], v126, off
	v_max_f64 v[127:128], v[10:11], v[10:11]
	v_min_f64 v[127:128], v[127:128], v[132:133]
	s_waitcnt vmcnt(0)
	s_delay_alu instid0(VALU_DEP_1) | instskip(SKIP_4) | instid1(VALU_DEP_1)
	v_add_f64 v[127:128], v[127:128], v[129:130]
	v_mov_b32_e32 v130, 0x108
	;; [unrolled: 8-line block ×27, first 2 shown]
	scratch_store_b64 v101, v[102:103], off
	scratch_load_b64 v[103:104], v100, off
	v_max_f64 v[101:102], v[62:63], v[62:63]
	v_min_f64 v[101:102], v[101:102], v[132:133]
	s_waitcnt vmcnt(0)
	s_delay_alu instid0(VALU_DEP_1)
	v_add_f64 v[101:102], v[101:102], v[103:104]
	v_mov_b32_e32 v104, 0x1d8
	v_mov_b32_e32 v103, 0x1e0
	scratch_store_b64 v100, v[101:102], off
	v_mov_b32_e32 v102, 0x1e8
	v_mov_b32_e32 v101, 0x1f0
	;; [unrolled: 1-line block ×3, first 2 shown]
	s_cbranch_vccnz .LBB133_43
; %bb.44:                               ;   in Loop: Header=BB133_34 Depth=1
	ds_load_2addr_b64 v[0:3], v95 offset0:1 offset1:17
	ds_load_2addr_b64 v[4:7], v95 offset0:33 offset1:49
	;; [unrolled: 1-line block ×12, first 2 shown]
	v_dual_mov_b32 v131, 0 :: v_dual_add_nc_u32 v64, 8, v96
	ds_load_2addr_b64 v[48:51], v97 offset0:129 offset1:145
	ds_load_2addr_b64 v[52:55], v97 offset0:161 offset1:177
	;; [unrolled: 1-line block ×4, first 2 shown]
	ds_load_2addr_stride64_b64 v[64:67], v64 offset1:4
	v_dual_mov_b32 v130, 8 :: v_dual_mov_b32 v129, 16
	v_dual_mov_b32 v128, 24 :: v_dual_mov_b32 v127, 32
	;; [unrolled: 1-line block ×4, first 2 shown]
	v_mov_b32_e32 v122, 0x48
	v_mov_b32_e32 v121, 0x50
	;; [unrolled: 1-line block ×23, first 2 shown]
	s_mov_b64 s[6:7], 0
	s_mov_b32 s21, -1
.LBB133_45:                             ;   Parent Loop BB133_34 Depth=1
                                        ; =>  This Inner Loop Header: Depth=2
	scratch_load_b64 v[136:137], v131, off
	s_cmp_eq_u32 s6, 1
	s_waitcnt lgkmcnt(16)
	v_max_f64 v[134:135], v[0:1], v[0:1]
	s_cselect_b32 vcc_lo, -1, 0
	s_mov_b64 s[6:7], 1
	s_waitcnt lgkmcnt(0)
	v_dual_cndmask_b32 v133, v65, v67 :: v_dual_cndmask_b32 v132, v64, v66
	s_and_b32 vcc_lo, exec_lo, s21
	s_mov_b32 s21, 0
	s_delay_alu instid0(VALU_DEP_1) | instskip(NEXT) | instid1(VALU_DEP_1)
	v_max_f64 v[132:133], v[132:133], v[132:133]
	v_min_f64 v[134:135], v[134:135], v[132:133]
	s_waitcnt vmcnt(0)
	s_delay_alu instid0(VALU_DEP_1) | instskip(SKIP_3) | instid1(VALU_DEP_1)
	v_add_f64 v[134:135], v[136:137], v[134:135]
	scratch_load_b64 v[136:137], v130, off
	scratch_store_b64 v131, v[134:135], off
	v_max_f64 v[134:135], v[2:3], v[2:3]
	v_min_f64 v[134:135], v[134:135], v[132:133]
	s_waitcnt vmcnt(0)
	s_delay_alu instid0(VALU_DEP_1) | instskip(SKIP_3) | instid1(VALU_DEP_1)
	v_add_f64 v[134:135], v[134:135], v[136:137]
	scratch_store_b64 v130, v[134:135], off
	scratch_load_b64 v[134:135], v129, off
	v_max_f64 v[130:131], v[4:5], v[4:5]
	v_min_f64 v[130:131], v[130:131], v[132:133]
	s_waitcnt vmcnt(0)
	s_delay_alu instid0(VALU_DEP_1) | instskip(SKIP_3) | instid1(VALU_DEP_1)
	v_add_f64 v[130:131], v[130:131], v[134:135]
	scratch_load_b64 v[134:135], v128, off
	scratch_store_b64 v129, v[130:131], off
	v_max_f64 v[129:130], v[6:7], v[6:7]
	v_min_f64 v[129:130], v[129:130], v[132:133]
	s_waitcnt vmcnt(0)
	s_delay_alu instid0(VALU_DEP_1) | instskip(SKIP_3) | instid1(VALU_DEP_1)
	v_add_f64 v[129:130], v[129:130], v[134:135]
	scratch_store_b64 v128, v[129:130], off
	scratch_load_b64 v[130:131], v127, off
	v_max_f64 v[128:129], v[8:9], v[8:9]
	v_min_f64 v[128:129], v[128:129], v[132:133]
	s_waitcnt vmcnt(0)
	s_delay_alu instid0(VALU_DEP_1) | instskip(SKIP_4) | instid1(VALU_DEP_1)
	v_add_f64 v[128:129], v[128:129], v[130:131]
	v_mov_b32_e32 v131, 0x100
	scratch_store_b64 v127, v[128:129], off
	scratch_load_b64 v[129:130], v126, off
	v_max_f64 v[127:128], v[10:11], v[10:11]
	v_min_f64 v[127:128], v[127:128], v[132:133]
	s_waitcnt vmcnt(0)
	s_delay_alu instid0(VALU_DEP_1) | instskip(SKIP_4) | instid1(VALU_DEP_1)
	v_add_f64 v[127:128], v[127:128], v[129:130]
	v_mov_b32_e32 v130, 0x108
	;; [unrolled: 8-line block ×27, first 2 shown]
	scratch_store_b64 v101, v[102:103], off
	scratch_load_b64 v[103:104], v100, off
	v_max_f64 v[101:102], v[62:63], v[62:63]
	v_min_f64 v[101:102], v[101:102], v[132:133]
	s_waitcnt vmcnt(0)
	s_delay_alu instid0(VALU_DEP_1)
	v_add_f64 v[101:102], v[101:102], v[103:104]
	v_mov_b32_e32 v104, 0x1d8
	v_mov_b32_e32 v103, 0x1e0
	scratch_store_b64 v100, v[101:102], off
	v_mov_b32_e32 v102, 0x1e8
	v_mov_b32_e32 v101, 0x1f0
	v_mov_b32_e32 v100, 0x1f8
	s_cbranch_vccnz .LBB133_45
; %bb.46:                               ;   in Loop: Header=BB133_34 Depth=1
	ds_load_2addr_b64 v[0:3], v95 offset0:2 offset1:18
	ds_load_2addr_b64 v[4:7], v95 offset0:34 offset1:50
	;; [unrolled: 1-line block ×12, first 2 shown]
	v_dual_mov_b32 v131, 0 :: v_dual_add_nc_u32 v64, 16, v96
	ds_load_2addr_b64 v[48:51], v97 offset0:130 offset1:146
	ds_load_2addr_b64 v[52:55], v97 offset0:162 offset1:178
	ds_load_2addr_b64 v[56:59], v97 offset0:194 offset1:210
	ds_load_2addr_b64 v[60:63], v97 offset0:226 offset1:242
	ds_load_2addr_stride64_b64 v[64:67], v64 offset1:4
	v_dual_mov_b32 v130, 8 :: v_dual_mov_b32 v129, 16
	v_dual_mov_b32 v128, 24 :: v_dual_mov_b32 v127, 32
	v_dual_mov_b32 v126, 40 :: v_dual_mov_b32 v125, 48
	v_dual_mov_b32 v124, 56 :: v_dual_mov_b32 v123, 64
	v_mov_b32_e32 v122, 0x48
	v_mov_b32_e32 v121, 0x50
	;; [unrolled: 1-line block ×23, first 2 shown]
	s_mov_b64 s[6:7], 0
	s_mov_b32 s21, -1
.LBB133_47:                             ;   Parent Loop BB133_34 Depth=1
                                        ; =>  This Inner Loop Header: Depth=2
	scratch_load_b64 v[136:137], v131, off
	s_cmp_eq_u32 s6, 1
	s_waitcnt lgkmcnt(16)
	v_max_f64 v[134:135], v[0:1], v[0:1]
	s_cselect_b32 vcc_lo, -1, 0
	s_mov_b64 s[6:7], 1
	s_waitcnt lgkmcnt(0)
	v_dual_cndmask_b32 v133, v65, v67 :: v_dual_cndmask_b32 v132, v64, v66
	s_and_b32 vcc_lo, exec_lo, s21
	s_mov_b32 s21, 0
	s_delay_alu instid0(VALU_DEP_1) | instskip(NEXT) | instid1(VALU_DEP_1)
	v_max_f64 v[132:133], v[132:133], v[132:133]
	v_min_f64 v[134:135], v[134:135], v[132:133]
	s_waitcnt vmcnt(0)
	s_delay_alu instid0(VALU_DEP_1) | instskip(SKIP_3) | instid1(VALU_DEP_1)
	v_add_f64 v[134:135], v[136:137], v[134:135]
	scratch_load_b64 v[136:137], v130, off
	scratch_store_b64 v131, v[134:135], off
	v_max_f64 v[134:135], v[2:3], v[2:3]
	v_min_f64 v[134:135], v[134:135], v[132:133]
	s_waitcnt vmcnt(0)
	s_delay_alu instid0(VALU_DEP_1) | instskip(SKIP_3) | instid1(VALU_DEP_1)
	v_add_f64 v[134:135], v[134:135], v[136:137]
	scratch_store_b64 v130, v[134:135], off
	scratch_load_b64 v[134:135], v129, off
	v_max_f64 v[130:131], v[4:5], v[4:5]
	v_min_f64 v[130:131], v[130:131], v[132:133]
	s_waitcnt vmcnt(0)
	s_delay_alu instid0(VALU_DEP_1) | instskip(SKIP_3) | instid1(VALU_DEP_1)
	v_add_f64 v[130:131], v[130:131], v[134:135]
	scratch_load_b64 v[134:135], v128, off
	scratch_store_b64 v129, v[130:131], off
	v_max_f64 v[129:130], v[6:7], v[6:7]
	v_min_f64 v[129:130], v[129:130], v[132:133]
	s_waitcnt vmcnt(0)
	s_delay_alu instid0(VALU_DEP_1) | instskip(SKIP_3) | instid1(VALU_DEP_1)
	v_add_f64 v[129:130], v[129:130], v[134:135]
	scratch_store_b64 v128, v[129:130], off
	scratch_load_b64 v[130:131], v127, off
	v_max_f64 v[128:129], v[8:9], v[8:9]
	v_min_f64 v[128:129], v[128:129], v[132:133]
	s_waitcnt vmcnt(0)
	s_delay_alu instid0(VALU_DEP_1) | instskip(SKIP_4) | instid1(VALU_DEP_1)
	v_add_f64 v[128:129], v[128:129], v[130:131]
	v_mov_b32_e32 v131, 0x100
	scratch_store_b64 v127, v[128:129], off
	scratch_load_b64 v[129:130], v126, off
	v_max_f64 v[127:128], v[10:11], v[10:11]
	v_min_f64 v[127:128], v[127:128], v[132:133]
	s_waitcnt vmcnt(0)
	s_delay_alu instid0(VALU_DEP_1) | instskip(SKIP_4) | instid1(VALU_DEP_1)
	v_add_f64 v[127:128], v[127:128], v[129:130]
	v_mov_b32_e32 v130, 0x108
	;; [unrolled: 8-line block ×27, first 2 shown]
	scratch_store_b64 v101, v[102:103], off
	scratch_load_b64 v[103:104], v100, off
	v_max_f64 v[101:102], v[62:63], v[62:63]
	v_min_f64 v[101:102], v[101:102], v[132:133]
	s_waitcnt vmcnt(0)
	s_delay_alu instid0(VALU_DEP_1)
	v_add_f64 v[101:102], v[101:102], v[103:104]
	v_mov_b32_e32 v104, 0x1d8
	v_mov_b32_e32 v103, 0x1e0
	scratch_store_b64 v100, v[101:102], off
	v_mov_b32_e32 v102, 0x1e8
	v_mov_b32_e32 v101, 0x1f0
	;; [unrolled: 1-line block ×3, first 2 shown]
	s_cbranch_vccnz .LBB133_47
; %bb.48:                               ;   in Loop: Header=BB133_34 Depth=1
	ds_load_2addr_b64 v[0:3], v95 offset0:3 offset1:19
	ds_load_2addr_b64 v[4:7], v95 offset0:35 offset1:51
	;; [unrolled: 1-line block ×12, first 2 shown]
	v_dual_mov_b32 v131, 0 :: v_dual_add_nc_u32 v64, 24, v96
	ds_load_2addr_b64 v[48:51], v97 offset0:131 offset1:147
	ds_load_2addr_b64 v[52:55], v97 offset0:163 offset1:179
	ds_load_2addr_b64 v[56:59], v97 offset0:195 offset1:211
	ds_load_2addr_b64 v[60:63], v97 offset0:227 offset1:243
	ds_load_2addr_stride64_b64 v[64:67], v64 offset1:4
	v_dual_mov_b32 v130, 8 :: v_dual_mov_b32 v129, 16
	v_dual_mov_b32 v128, 24 :: v_dual_mov_b32 v127, 32
	;; [unrolled: 1-line block ×4, first 2 shown]
	v_mov_b32_e32 v122, 0x48
	v_mov_b32_e32 v121, 0x50
	;; [unrolled: 1-line block ×23, first 2 shown]
	s_mov_b64 s[6:7], 0
	s_mov_b32 s21, -1
.LBB133_49:                             ;   Parent Loop BB133_34 Depth=1
                                        ; =>  This Inner Loop Header: Depth=2
	scratch_load_b64 v[136:137], v131, off
	s_cmp_eq_u32 s6, 1
	s_waitcnt lgkmcnt(16)
	v_max_f64 v[134:135], v[0:1], v[0:1]
	s_cselect_b32 vcc_lo, -1, 0
	s_mov_b64 s[6:7], 1
	s_waitcnt lgkmcnt(0)
	v_dual_cndmask_b32 v133, v65, v67 :: v_dual_cndmask_b32 v132, v64, v66
	s_and_b32 vcc_lo, exec_lo, s21
	s_mov_b32 s21, 0
	s_delay_alu instid0(VALU_DEP_1) | instskip(NEXT) | instid1(VALU_DEP_1)
	v_max_f64 v[132:133], v[132:133], v[132:133]
	v_min_f64 v[134:135], v[134:135], v[132:133]
	s_waitcnt vmcnt(0)
	s_delay_alu instid0(VALU_DEP_1) | instskip(SKIP_3) | instid1(VALU_DEP_1)
	v_add_f64 v[134:135], v[136:137], v[134:135]
	scratch_load_b64 v[136:137], v130, off
	scratch_store_b64 v131, v[134:135], off
	v_max_f64 v[134:135], v[2:3], v[2:3]
	v_min_f64 v[134:135], v[134:135], v[132:133]
	s_waitcnt vmcnt(0)
	s_delay_alu instid0(VALU_DEP_1) | instskip(SKIP_3) | instid1(VALU_DEP_1)
	v_add_f64 v[134:135], v[134:135], v[136:137]
	scratch_store_b64 v130, v[134:135], off
	scratch_load_b64 v[134:135], v129, off
	v_max_f64 v[130:131], v[4:5], v[4:5]
	v_min_f64 v[130:131], v[130:131], v[132:133]
	s_waitcnt vmcnt(0)
	s_delay_alu instid0(VALU_DEP_1) | instskip(SKIP_3) | instid1(VALU_DEP_1)
	v_add_f64 v[130:131], v[130:131], v[134:135]
	scratch_load_b64 v[134:135], v128, off
	scratch_store_b64 v129, v[130:131], off
	v_max_f64 v[129:130], v[6:7], v[6:7]
	v_min_f64 v[129:130], v[129:130], v[132:133]
	s_waitcnt vmcnt(0)
	s_delay_alu instid0(VALU_DEP_1) | instskip(SKIP_3) | instid1(VALU_DEP_1)
	v_add_f64 v[129:130], v[129:130], v[134:135]
	scratch_store_b64 v128, v[129:130], off
	scratch_load_b64 v[130:131], v127, off
	v_max_f64 v[128:129], v[8:9], v[8:9]
	v_min_f64 v[128:129], v[128:129], v[132:133]
	s_waitcnt vmcnt(0)
	s_delay_alu instid0(VALU_DEP_1) | instskip(SKIP_4) | instid1(VALU_DEP_1)
	v_add_f64 v[128:129], v[128:129], v[130:131]
	v_mov_b32_e32 v131, 0x100
	scratch_store_b64 v127, v[128:129], off
	scratch_load_b64 v[129:130], v126, off
	v_max_f64 v[127:128], v[10:11], v[10:11]
	v_min_f64 v[127:128], v[127:128], v[132:133]
	s_waitcnt vmcnt(0)
	s_delay_alu instid0(VALU_DEP_1) | instskip(SKIP_4) | instid1(VALU_DEP_1)
	v_add_f64 v[127:128], v[127:128], v[129:130]
	v_mov_b32_e32 v130, 0x108
	;; [unrolled: 8-line block ×27, first 2 shown]
	scratch_store_b64 v101, v[102:103], off
	scratch_load_b64 v[103:104], v100, off
	v_max_f64 v[101:102], v[62:63], v[62:63]
	v_min_f64 v[101:102], v[101:102], v[132:133]
	s_waitcnt vmcnt(0)
	s_delay_alu instid0(VALU_DEP_1)
	v_add_f64 v[101:102], v[101:102], v[103:104]
	v_mov_b32_e32 v104, 0x1d8
	v_mov_b32_e32 v103, 0x1e0
	scratch_store_b64 v100, v[101:102], off
	v_mov_b32_e32 v102, 0x1e8
	v_mov_b32_e32 v101, 0x1f0
	;; [unrolled: 1-line block ×3, first 2 shown]
	s_cbranch_vccnz .LBB133_49
; %bb.50:                               ;   in Loop: Header=BB133_34 Depth=1
	v_add3_u32 v4, v86, s18, 4
	ds_store_2addr_stride64_b64 v89, v[78:79], v[76:77] offset1:4
	ds_store_2addr_stride64_b64 v90, v[82:83], v[80:81] offset1:4
	s_waitcnt lgkmcnt(0)
	s_waitcnt_vscnt null, 0x0
	s_barrier
	v_mad_u64_u32 v[0:1], null, v4, s16, 0
	v_cmp_le_i32_e32 vcc_lo, s42, v4
	buffer_gl0_inv
	v_mov_b32_e32 v76, 0
	v_mov_b32_e32 v77, 0
	v_mad_u64_u32 v[2:3], null, v4, s17, v[1:2]
	s_delay_alu instid0(VALU_DEP_2) | instskip(NEXT) | instid1(VALU_DEP_2)
	v_dual_mov_b32 v79, v77 :: v_dual_mov_b32 v78, v76
	v_mov_b32_e32 v1, v2
	s_delay_alu instid0(VALU_DEP_1) | instskip(NEXT) | instid1(VALU_DEP_1)
	v_lshlrev_b64 v[0:1], 3, v[0:1]
	v_add_co_u32 v0, s6, s12, v0
	s_delay_alu instid0(VALU_DEP_1) | instskip(SKIP_1) | instid1(SALU_CYCLE_1)
	v_add_co_ci_u32_e64 v1, s6, s13, v1, s6
	s_or_b32 s6, s2, vcc_lo
	s_xor_b32 s6, s6, -1
	s_delay_alu instid0(SALU_CYCLE_1) | instskip(NEXT) | instid1(SALU_CYCLE_1)
	s_and_saveexec_b32 s7, s6
	s_xor_b32 s7, exec_lo, s7
	s_cbranch_execz .LBB133_52
; %bb.51:                               ;   in Loop: Header=BB133_34 Depth=1
	v_add_co_u32 v2, s6, v0, v68
	s_delay_alu instid0(VALU_DEP_1)
	v_add_co_ci_u32_e64 v3, s6, v1, v69, s6
	flat_load_b64 v[78:79], v[2:3]
.LBB133_52:                             ;   in Loop: Header=BB133_34 Depth=1
	s_or_b32 exec_lo, exec_lo, s7
	s_or_b32 s6, s3, vcc_lo
	s_delay_alu instid0(SALU_CYCLE_1) | instskip(NEXT) | instid1(SALU_CYCLE_1)
	s_xor_b32 s7, s6, -1
	s_and_saveexec_b32 s6, s7
	s_cbranch_execz .LBB133_54
; %bb.53:                               ;   in Loop: Header=BB133_34 Depth=1
	v_add_co_u32 v0, vcc_lo, v0, v68
	v_add_co_ci_u32_e32 v1, vcc_lo, v1, v69, vcc_lo
	flat_load_b64 v[76:77], v[0:1] offset:512
.LBB133_54:                             ;   in Loop: Header=BB133_34 Depth=1
	s_or_b32 exec_lo, exec_lo, s6
	v_or_b32_e32 v0, 4, v70
	v_mov_b32_e32 v80, 0
	v_mov_b32_e32 v81, 0
	s_delay_alu instid0(VALU_DEP_3) | instskip(NEXT) | instid1(VALU_DEP_2)
	v_cmp_le_i32_e32 vcc_lo, s42, v0
	v_dual_mov_b32 v83, v81 :: v_dual_mov_b32 v82, v80
	s_or_b32 s6, s4, vcc_lo
	s_delay_alu instid0(SALU_CYCLE_1) | instskip(NEXT) | instid1(SALU_CYCLE_1)
	s_xor_b32 s6, s6, -1
	s_and_saveexec_b32 s7, s6
	s_cbranch_execz .LBB133_56
; %bb.55:                               ;   in Loop: Header=BB133_34 Depth=1
	v_add_co_u32 v0, s6, v98, v72
	s_delay_alu instid0(VALU_DEP_1)
	v_add_co_ci_u32_e64 v1, s6, v99, v73, s6
	flat_load_b64 v[82:83], v[0:1] offset:32
.LBB133_56:                             ;   in Loop: Header=BB133_34 Depth=1
	s_or_b32 exec_lo, exec_lo, s7
	s_or_b32 s6, s5, vcc_lo
	s_delay_alu instid0(SALU_CYCLE_1) | instskip(NEXT) | instid1(SALU_CYCLE_1)
	s_xor_b32 s7, s6, -1
	s_and_saveexec_b32 s6, s7
	s_cbranch_execz .LBB133_58
; %bb.57:                               ;   in Loop: Header=BB133_34 Depth=1
	v_add_co_u32 v0, vcc_lo, v98, v74
	v_add_co_ci_u32_e32 v1, vcc_lo, v99, v75, vcc_lo
	flat_load_b64 v[80:81], v[0:1] offset:32
.LBB133_58:                             ;   in Loop: Header=BB133_34 Depth=1
	s_or_b32 exec_lo, exec_lo, s6
	v_dual_mov_b32 v129, 0 :: v_dual_add_nc_u32 v70, 0x800, v88
	ds_load_2addr_b64 v[0:3], v88 offset1:16
	ds_load_2addr_b64 v[4:7], v88 offset0:32 offset1:48
	ds_load_2addr_b64 v[8:11], v88 offset0:64 offset1:80
	;; [unrolled: 1-line block ×7, first 2 shown]
	ds_load_2addr_b64 v[32:35], v70 offset1:16
	ds_load_2addr_b64 v[36:39], v70 offset0:32 offset1:48
	ds_load_2addr_b64 v[40:43], v70 offset0:64 offset1:80
	;; [unrolled: 1-line block ×7, first 2 shown]
	ds_load_2addr_stride64_b64 v[64:67], v92 offset1:4
	v_dual_mov_b32 v128, 8 :: v_dual_mov_b32 v127, 16
	v_dual_mov_b32 v126, 24 :: v_dual_mov_b32 v125, 32
	;; [unrolled: 1-line block ×4, first 2 shown]
	v_mov_b32_e32 v120, 0x48
	v_mov_b32_e32 v119, 0x50
	;; [unrolled: 1-line block ×23, first 2 shown]
	s_mov_b64 s[6:7], 0
	s_mov_b32 s21, -1
.LBB133_59:                             ;   Parent Loop BB133_34 Depth=1
                                        ; =>  This Inner Loop Header: Depth=2
	scratch_load_b64 v[134:135], v129, off
	s_cmp_eq_u32 s6, 1
	s_waitcnt lgkmcnt(16)
	v_max_f64 v[132:133], v[0:1], v[0:1]
	s_cselect_b32 vcc_lo, -1, 0
	s_mov_b64 s[6:7], 1
	s_waitcnt lgkmcnt(0)
	v_dual_cndmask_b32 v131, v65, v67 :: v_dual_cndmask_b32 v130, v64, v66
	s_and_b32 vcc_lo, exec_lo, s21
	s_mov_b32 s21, 0
	s_delay_alu instid0(VALU_DEP_1) | instskip(NEXT) | instid1(VALU_DEP_1)
	v_max_f64 v[130:131], v[130:131], v[130:131]
	v_min_f64 v[132:133], v[132:133], v[130:131]
	s_waitcnt vmcnt(0)
	s_delay_alu instid0(VALU_DEP_1) | instskip(SKIP_3) | instid1(VALU_DEP_1)
	v_add_f64 v[132:133], v[134:135], v[132:133]
	scratch_load_b64 v[134:135], v128, off
	scratch_store_b64 v129, v[132:133], off
	v_max_f64 v[132:133], v[2:3], v[2:3]
	v_min_f64 v[132:133], v[132:133], v[130:131]
	s_waitcnt vmcnt(0)
	s_delay_alu instid0(VALU_DEP_1) | instskip(SKIP_3) | instid1(VALU_DEP_1)
	v_add_f64 v[132:133], v[132:133], v[134:135]
	scratch_store_b64 v128, v[132:133], off
	scratch_load_b64 v[132:133], v127, off
	v_max_f64 v[128:129], v[4:5], v[4:5]
	v_min_f64 v[128:129], v[128:129], v[130:131]
	s_waitcnt vmcnt(0)
	s_delay_alu instid0(VALU_DEP_1) | instskip(SKIP_3) | instid1(VALU_DEP_1)
	v_add_f64 v[128:129], v[128:129], v[132:133]
	scratch_load_b64 v[132:133], v126, off
	scratch_store_b64 v127, v[128:129], off
	v_max_f64 v[127:128], v[6:7], v[6:7]
	v_min_f64 v[127:128], v[127:128], v[130:131]
	s_waitcnt vmcnt(0)
	s_delay_alu instid0(VALU_DEP_1) | instskip(SKIP_3) | instid1(VALU_DEP_1)
	v_add_f64 v[127:128], v[127:128], v[132:133]
	scratch_store_b64 v126, v[127:128], off
	scratch_load_b64 v[128:129], v125, off
	v_max_f64 v[126:127], v[8:9], v[8:9]
	v_min_f64 v[126:127], v[126:127], v[130:131]
	s_waitcnt vmcnt(0)
	s_delay_alu instid0(VALU_DEP_1) | instskip(SKIP_4) | instid1(VALU_DEP_1)
	v_add_f64 v[126:127], v[126:127], v[128:129]
	v_mov_b32_e32 v129, 0x100
	scratch_store_b64 v125, v[126:127], off
	scratch_load_b64 v[127:128], v124, off
	v_max_f64 v[125:126], v[10:11], v[10:11]
	v_min_f64 v[125:126], v[125:126], v[130:131]
	s_waitcnt vmcnt(0)
	s_delay_alu instid0(VALU_DEP_1) | instskip(SKIP_4) | instid1(VALU_DEP_1)
	v_add_f64 v[125:126], v[125:126], v[127:128]
	v_mov_b32_e32 v128, 0x108
	;; [unrolled: 8-line block ×27, first 2 shown]
	scratch_store_b64 v99, v[100:101], off
	scratch_load_b64 v[101:102], v98, off
	v_max_f64 v[99:100], v[62:63], v[62:63]
	v_min_f64 v[99:100], v[99:100], v[130:131]
	s_waitcnt vmcnt(0)
	s_delay_alu instid0(VALU_DEP_1)
	v_add_f64 v[99:100], v[99:100], v[101:102]
	v_mov_b32_e32 v102, 0x1d8
	v_mov_b32_e32 v101, 0x1e0
	scratch_store_b64 v98, v[99:100], off
	v_mov_b32_e32 v100, 0x1e8
	v_mov_b32_e32 v99, 0x1f0
	;; [unrolled: 1-line block ×3, first 2 shown]
	s_cbranch_vccnz .LBB133_59
; %bb.60:                               ;   in Loop: Header=BB133_34 Depth=1
	ds_load_2addr_b64 v[0:3], v88 offset0:1 offset1:17
	ds_load_2addr_b64 v[4:7], v88 offset0:33 offset1:49
	ds_load_2addr_b64 v[8:11], v88 offset0:65 offset1:81
	ds_load_2addr_b64 v[12:15], v88 offset0:97 offset1:113
	ds_load_2addr_b64 v[16:19], v88 offset0:129 offset1:145
	ds_load_2addr_b64 v[20:23], v88 offset0:161 offset1:177
	ds_load_2addr_b64 v[24:27], v88 offset0:193 offset1:209
	ds_load_2addr_b64 v[28:31], v88 offset0:225 offset1:241
	ds_load_2addr_b64 v[32:35], v70 offset0:1 offset1:17
	ds_load_2addr_b64 v[36:39], v70 offset0:33 offset1:49
	ds_load_2addr_b64 v[40:43], v70 offset0:65 offset1:81
	ds_load_2addr_b64 v[44:47], v70 offset0:97 offset1:113
	v_dual_mov_b32 v129, 0 :: v_dual_add_nc_u32 v64, 8, v92
	ds_load_2addr_b64 v[48:51], v70 offset0:129 offset1:145
	ds_load_2addr_b64 v[52:55], v70 offset0:161 offset1:177
	ds_load_2addr_b64 v[56:59], v70 offset0:193 offset1:209
	ds_load_2addr_b64 v[60:63], v70 offset0:225 offset1:241
	ds_load_2addr_stride64_b64 v[64:67], v64 offset1:4
	v_dual_mov_b32 v128, 8 :: v_dual_mov_b32 v127, 16
	v_dual_mov_b32 v126, 24 :: v_dual_mov_b32 v125, 32
	;; [unrolled: 1-line block ×4, first 2 shown]
	v_mov_b32_e32 v120, 0x48
	v_mov_b32_e32 v119, 0x50
	;; [unrolled: 1-line block ×23, first 2 shown]
	s_mov_b64 s[6:7], 0
	s_mov_b32 s21, -1
.LBB133_61:                             ;   Parent Loop BB133_34 Depth=1
                                        ; =>  This Inner Loop Header: Depth=2
	scratch_load_b64 v[134:135], v129, off
	s_cmp_eq_u32 s6, 1
	s_waitcnt lgkmcnt(16)
	v_max_f64 v[132:133], v[0:1], v[0:1]
	s_cselect_b32 vcc_lo, -1, 0
	s_mov_b64 s[6:7], 1
	s_waitcnt lgkmcnt(0)
	v_dual_cndmask_b32 v131, v65, v67 :: v_dual_cndmask_b32 v130, v64, v66
	s_and_b32 vcc_lo, exec_lo, s21
	s_mov_b32 s21, 0
	s_delay_alu instid0(VALU_DEP_1) | instskip(NEXT) | instid1(VALU_DEP_1)
	v_max_f64 v[130:131], v[130:131], v[130:131]
	v_min_f64 v[132:133], v[132:133], v[130:131]
	s_waitcnt vmcnt(0)
	s_delay_alu instid0(VALU_DEP_1) | instskip(SKIP_3) | instid1(VALU_DEP_1)
	v_add_f64 v[132:133], v[134:135], v[132:133]
	scratch_load_b64 v[134:135], v128, off
	scratch_store_b64 v129, v[132:133], off
	v_max_f64 v[132:133], v[2:3], v[2:3]
	v_min_f64 v[132:133], v[132:133], v[130:131]
	s_waitcnt vmcnt(0)
	s_delay_alu instid0(VALU_DEP_1) | instskip(SKIP_3) | instid1(VALU_DEP_1)
	v_add_f64 v[132:133], v[132:133], v[134:135]
	scratch_store_b64 v128, v[132:133], off
	scratch_load_b64 v[132:133], v127, off
	v_max_f64 v[128:129], v[4:5], v[4:5]
	v_min_f64 v[128:129], v[128:129], v[130:131]
	s_waitcnt vmcnt(0)
	s_delay_alu instid0(VALU_DEP_1) | instskip(SKIP_3) | instid1(VALU_DEP_1)
	v_add_f64 v[128:129], v[128:129], v[132:133]
	scratch_load_b64 v[132:133], v126, off
	scratch_store_b64 v127, v[128:129], off
	v_max_f64 v[127:128], v[6:7], v[6:7]
	v_min_f64 v[127:128], v[127:128], v[130:131]
	s_waitcnt vmcnt(0)
	s_delay_alu instid0(VALU_DEP_1) | instskip(SKIP_3) | instid1(VALU_DEP_1)
	v_add_f64 v[127:128], v[127:128], v[132:133]
	scratch_store_b64 v126, v[127:128], off
	scratch_load_b64 v[128:129], v125, off
	v_max_f64 v[126:127], v[8:9], v[8:9]
	v_min_f64 v[126:127], v[126:127], v[130:131]
	s_waitcnt vmcnt(0)
	s_delay_alu instid0(VALU_DEP_1) | instskip(SKIP_4) | instid1(VALU_DEP_1)
	v_add_f64 v[126:127], v[126:127], v[128:129]
	v_mov_b32_e32 v129, 0x100
	scratch_store_b64 v125, v[126:127], off
	scratch_load_b64 v[127:128], v124, off
	v_max_f64 v[125:126], v[10:11], v[10:11]
	v_min_f64 v[125:126], v[125:126], v[130:131]
	s_waitcnt vmcnt(0)
	s_delay_alu instid0(VALU_DEP_1) | instskip(SKIP_4) | instid1(VALU_DEP_1)
	v_add_f64 v[125:126], v[125:126], v[127:128]
	v_mov_b32_e32 v128, 0x108
	;; [unrolled: 8-line block ×27, first 2 shown]
	scratch_store_b64 v99, v[100:101], off
	scratch_load_b64 v[101:102], v98, off
	v_max_f64 v[99:100], v[62:63], v[62:63]
	v_min_f64 v[99:100], v[99:100], v[130:131]
	s_waitcnt vmcnt(0)
	s_delay_alu instid0(VALU_DEP_1)
	v_add_f64 v[99:100], v[99:100], v[101:102]
	v_mov_b32_e32 v102, 0x1d8
	v_mov_b32_e32 v101, 0x1e0
	scratch_store_b64 v98, v[99:100], off
	v_mov_b32_e32 v100, 0x1e8
	v_mov_b32_e32 v99, 0x1f0
	;; [unrolled: 1-line block ×3, first 2 shown]
	s_cbranch_vccnz .LBB133_61
; %bb.62:                               ;   in Loop: Header=BB133_34 Depth=1
	ds_load_2addr_b64 v[0:3], v88 offset0:2 offset1:18
	ds_load_2addr_b64 v[4:7], v88 offset0:34 offset1:50
	;; [unrolled: 1-line block ×12, first 2 shown]
	v_dual_mov_b32 v129, 0 :: v_dual_add_nc_u32 v64, 16, v92
	ds_load_2addr_b64 v[48:51], v70 offset0:130 offset1:146
	ds_load_2addr_b64 v[52:55], v70 offset0:162 offset1:178
	;; [unrolled: 1-line block ×4, first 2 shown]
	ds_load_2addr_stride64_b64 v[64:67], v64 offset1:4
	v_dual_mov_b32 v128, 8 :: v_dual_mov_b32 v127, 16
	v_dual_mov_b32 v126, 24 :: v_dual_mov_b32 v125, 32
	;; [unrolled: 1-line block ×4, first 2 shown]
	v_mov_b32_e32 v120, 0x48
	v_mov_b32_e32 v119, 0x50
	v_mov_b32_e32 v118, 0x58
	v_mov_b32_e32 v117, 0x60
	v_mov_b32_e32 v116, 0x68
	v_mov_b32_e32 v115, 0x70
	v_mov_b32_e32 v114, 0x78
	v_mov_b32_e32 v113, 0x80
	v_mov_b32_e32 v112, 0x88
	v_mov_b32_e32 v111, 0x90
	v_mov_b32_e32 v110, 0x98
	v_mov_b32_e32 v109, 0xa0
	v_mov_b32_e32 v108, 0xa8
	v_mov_b32_e32 v107, 0xb0
	v_mov_b32_e32 v106, 0xb8
	v_mov_b32_e32 v105, 0xc0
	v_mov_b32_e32 v104, 0xc8
	v_mov_b32_e32 v103, 0xd0
	v_mov_b32_e32 v102, 0xd8
	v_mov_b32_e32 v101, 0xe0
	v_mov_b32_e32 v100, 0xe8
	v_mov_b32_e32 v99, 0xf0
	v_mov_b32_e32 v98, 0xf8
	s_mov_b64 s[6:7], 0
	s_mov_b32 s21, -1
.LBB133_63:                             ;   Parent Loop BB133_34 Depth=1
                                        ; =>  This Inner Loop Header: Depth=2
	scratch_load_b64 v[134:135], v129, off
	s_cmp_eq_u32 s6, 1
	s_waitcnt lgkmcnt(16)
	v_max_f64 v[132:133], v[0:1], v[0:1]
	s_cselect_b32 vcc_lo, -1, 0
	s_mov_b64 s[6:7], 1
	s_waitcnt lgkmcnt(0)
	v_dual_cndmask_b32 v131, v65, v67 :: v_dual_cndmask_b32 v130, v64, v66
	s_and_b32 vcc_lo, exec_lo, s21
	s_mov_b32 s21, 0
	s_delay_alu instid0(VALU_DEP_1) | instskip(NEXT) | instid1(VALU_DEP_1)
	v_max_f64 v[130:131], v[130:131], v[130:131]
	v_min_f64 v[132:133], v[132:133], v[130:131]
	s_waitcnt vmcnt(0)
	s_delay_alu instid0(VALU_DEP_1) | instskip(SKIP_3) | instid1(VALU_DEP_1)
	v_add_f64 v[132:133], v[134:135], v[132:133]
	scratch_load_b64 v[134:135], v128, off
	scratch_store_b64 v129, v[132:133], off
	v_max_f64 v[132:133], v[2:3], v[2:3]
	v_min_f64 v[132:133], v[132:133], v[130:131]
	s_waitcnt vmcnt(0)
	s_delay_alu instid0(VALU_DEP_1) | instskip(SKIP_3) | instid1(VALU_DEP_1)
	v_add_f64 v[132:133], v[132:133], v[134:135]
	scratch_store_b64 v128, v[132:133], off
	scratch_load_b64 v[132:133], v127, off
	v_max_f64 v[128:129], v[4:5], v[4:5]
	v_min_f64 v[128:129], v[128:129], v[130:131]
	s_waitcnt vmcnt(0)
	s_delay_alu instid0(VALU_DEP_1) | instskip(SKIP_3) | instid1(VALU_DEP_1)
	v_add_f64 v[128:129], v[128:129], v[132:133]
	scratch_load_b64 v[132:133], v126, off
	scratch_store_b64 v127, v[128:129], off
	v_max_f64 v[127:128], v[6:7], v[6:7]
	v_min_f64 v[127:128], v[127:128], v[130:131]
	s_waitcnt vmcnt(0)
	s_delay_alu instid0(VALU_DEP_1) | instskip(SKIP_3) | instid1(VALU_DEP_1)
	v_add_f64 v[127:128], v[127:128], v[132:133]
	scratch_store_b64 v126, v[127:128], off
	scratch_load_b64 v[128:129], v125, off
	v_max_f64 v[126:127], v[8:9], v[8:9]
	v_min_f64 v[126:127], v[126:127], v[130:131]
	s_waitcnt vmcnt(0)
	s_delay_alu instid0(VALU_DEP_1) | instskip(SKIP_4) | instid1(VALU_DEP_1)
	v_add_f64 v[126:127], v[126:127], v[128:129]
	v_mov_b32_e32 v129, 0x100
	scratch_store_b64 v125, v[126:127], off
	scratch_load_b64 v[127:128], v124, off
	v_max_f64 v[125:126], v[10:11], v[10:11]
	v_min_f64 v[125:126], v[125:126], v[130:131]
	s_waitcnt vmcnt(0)
	s_delay_alu instid0(VALU_DEP_1) | instskip(SKIP_4) | instid1(VALU_DEP_1)
	v_add_f64 v[125:126], v[125:126], v[127:128]
	v_mov_b32_e32 v128, 0x108
	;; [unrolled: 8-line block ×27, first 2 shown]
	scratch_store_b64 v99, v[100:101], off
	scratch_load_b64 v[101:102], v98, off
	v_max_f64 v[99:100], v[62:63], v[62:63]
	v_min_f64 v[99:100], v[99:100], v[130:131]
	s_waitcnt vmcnt(0)
	s_delay_alu instid0(VALU_DEP_1)
	v_add_f64 v[99:100], v[99:100], v[101:102]
	v_mov_b32_e32 v102, 0x1d8
	v_mov_b32_e32 v101, 0x1e0
	scratch_store_b64 v98, v[99:100], off
	v_mov_b32_e32 v100, 0x1e8
	v_mov_b32_e32 v99, 0x1f0
	;; [unrolled: 1-line block ×3, first 2 shown]
	s_cbranch_vccnz .LBB133_63
; %bb.64:                               ;   in Loop: Header=BB133_34 Depth=1
	ds_load_2addr_b64 v[0:3], v88 offset0:3 offset1:19
	ds_load_2addr_b64 v[4:7], v88 offset0:35 offset1:51
	;; [unrolled: 1-line block ×12, first 2 shown]
	v_dual_mov_b32 v127, 8 :: v_dual_add_nc_u32 v64, 24, v92
	ds_load_2addr_b64 v[48:51], v70 offset0:131 offset1:147
	ds_load_2addr_b64 v[52:55], v70 offset0:163 offset1:179
	;; [unrolled: 1-line block ×4, first 2 shown]
	ds_load_2addr_stride64_b64 v[64:67], v64 offset1:4
	v_dual_mov_b32 v128, 0 :: v_dual_mov_b32 v125, 24
	v_dual_mov_b32 v126, 16 :: v_dual_mov_b32 v123, 40
	;; [unrolled: 1-line block ×5, first 2 shown]
	v_mov_b32_e32 v118, 0x50
	v_mov_b32_e32 v116, 0x60
	;; [unrolled: 1-line block ×21, first 2 shown]
	s_mov_b64 s[6:7], 0
	s_mov_b32 s21, -1
.LBB133_65:                             ;   Parent Loop BB133_34 Depth=1
                                        ; =>  This Inner Loop Header: Depth=2
	scratch_load_b64 v[133:134], v128, off
	s_cmp_eq_u32 s6, 1
	s_waitcnt lgkmcnt(16)
	v_max_f64 v[131:132], v[0:1], v[0:1]
	s_cselect_b32 vcc_lo, -1, 0
	s_mov_b64 s[6:7], 1
	s_waitcnt lgkmcnt(0)
	v_dual_cndmask_b32 v130, v65, v67 :: v_dual_cndmask_b32 v129, v64, v66
	s_and_b32 vcc_lo, exec_lo, s21
	s_mov_b32 s21, 0
	s_delay_alu instid0(VALU_DEP_1) | instskip(NEXT) | instid1(VALU_DEP_1)
	v_max_f64 v[129:130], v[129:130], v[129:130]
	v_min_f64 v[131:132], v[131:132], v[129:130]
	s_waitcnt vmcnt(0)
	s_delay_alu instid0(VALU_DEP_1) | instskip(SKIP_3) | instid1(VALU_DEP_1)
	v_add_f64 v[131:132], v[133:134], v[131:132]
	scratch_load_b64 v[133:134], v127, off
	scratch_store_b64 v128, v[131:132], off
	v_max_f64 v[131:132], v[2:3], v[2:3]
	v_min_f64 v[131:132], v[131:132], v[129:130]
	s_waitcnt vmcnt(0)
	s_delay_alu instid0(VALU_DEP_1) | instskip(SKIP_3) | instid1(VALU_DEP_1)
	v_add_f64 v[131:132], v[131:132], v[133:134]
	scratch_store_b64 v127, v[131:132], off
	scratch_load_b64 v[131:132], v126, off
	v_max_f64 v[127:128], v[4:5], v[4:5]
	v_min_f64 v[127:128], v[127:128], v[129:130]
	s_waitcnt vmcnt(0)
	s_delay_alu instid0(VALU_DEP_1) | instskip(SKIP_3) | instid1(VALU_DEP_1)
	v_add_f64 v[127:128], v[127:128], v[131:132]
	scratch_load_b64 v[131:132], v125, off
	scratch_store_b64 v126, v[127:128], off
	v_max_f64 v[126:127], v[6:7], v[6:7]
	v_min_f64 v[126:127], v[126:127], v[129:130]
	s_waitcnt vmcnt(0)
	s_delay_alu instid0(VALU_DEP_1) | instskip(SKIP_3) | instid1(VALU_DEP_1)
	v_add_f64 v[126:127], v[126:127], v[131:132]
	scratch_store_b64 v125, v[126:127], off
	scratch_load_b64 v[127:128], v124, off
	v_max_f64 v[125:126], v[8:9], v[8:9]
	v_min_f64 v[125:126], v[125:126], v[129:130]
	s_waitcnt vmcnt(0)
	s_delay_alu instid0(VALU_DEP_1) | instskip(SKIP_4) | instid1(VALU_DEP_1)
	v_add_f64 v[125:126], v[125:126], v[127:128]
	v_mov_b32_e32 v128, 0x100
	scratch_store_b64 v124, v[125:126], off
	scratch_load_b64 v[126:127], v123, off
	v_max_f64 v[124:125], v[10:11], v[10:11]
	v_min_f64 v[124:125], v[124:125], v[129:130]
	s_waitcnt vmcnt(0)
	s_delay_alu instid0(VALU_DEP_1) | instskip(SKIP_4) | instid1(VALU_DEP_1)
	v_add_f64 v[124:125], v[124:125], v[126:127]
	v_mov_b32_e32 v127, 0x108
	;; [unrolled: 8-line block ×27, first 2 shown]
	scratch_store_b64 v98, v[99:100], off
	scratch_load_b64 v[100:101], v70, off
	v_max_f64 v[98:99], v[62:63], v[62:63]
	v_min_f64 v[98:99], v[98:99], v[129:130]
	s_waitcnt vmcnt(0)
	s_delay_alu instid0(VALU_DEP_1)
	v_add_f64 v[98:99], v[98:99], v[100:101]
	v_mov_b32_e32 v101, 0x1d8
	v_mov_b32_e32 v100, 0x1e0
	scratch_store_b64 v70, v[98:99], off
	v_mov_b32_e32 v99, 0x1e8
	v_mov_b32_e32 v98, 0x1f0
	;; [unrolled: 1-line block ×3, first 2 shown]
	s_cbranch_vccnz .LBB133_65
; %bb.66:                               ;   in Loop: Header=BB133_34 Depth=1
	s_add_i32 s20, s20, 8
	s_add_i32 s18, s18, 8
	s_cmp_ge_i32 s20, s19
	ds_store_2addr_stride64_b64 v93, v[78:79], v[76:77] offset1:4
	ds_store_2addr_stride64_b64 v94, v[82:83], v[80:81] offset1:4
	s_waitcnt lgkmcnt(0)
	s_waitcnt_vscnt null, 0x0
	s_barrier
	buffer_gl0_inv
	s_cbranch_scc0 .LBB133_34
.LBB133_67:
	v_dual_mov_b32 v71, 8 :: v_dual_add_nc_u32 v28, 0x1000, v88
	v_dual_mov_b32 v75, 40 :: v_dual_add_nc_u32 v60, 0x1800, v88
	;; [unrolled: 1-line block ×3, first 2 shown]
	ds_load_2addr_b64 v[0:3], v28 offset1:16
	ds_load_2addr_b64 v[4:7], v28 offset0:32 offset1:48
	ds_load_2addr_b64 v[8:11], v28 offset0:64 offset1:80
	;; [unrolled: 1-line block ×7, first 2 shown]
	ds_load_2addr_b64 v[32:35], v60 offset1:16
	ds_load_2addr_b64 v[36:39], v60 offset0:32 offset1:48
	ds_load_2addr_b64 v[40:43], v60 offset0:64 offset1:80
	;; [unrolled: 1-line block ×7, first 2 shown]
	ds_load_2addr_stride64_b64 v[64:67], v91 offset0:24 offset1:28
	v_dual_mov_b32 v70, 0 :: v_dual_add_nc_u32 v69, 0x3000, v91
	v_dual_mov_b32 v72, 16 :: v_dual_mov_b32 v77, 56
	v_dual_mov_b32 v74, 32 :: v_dual_mov_b32 v79, 0x48
	;; [unrolled: 1-line block ×4, first 2 shown]
	v_mov_b32_e32 v80, 0x50
	v_mov_b32_e32 v82, 0x60
	;; [unrolled: 1-line block ×20, first 2 shown]
	s_mov_b64 s[2:3], 0
	s_mov_b32 s4, -1
.LBB133_68:                             ; =>This Inner Loop Header: Depth=1
	scratch_load_b64 v[104:105], v70, off
	scratch_load_b64 v[106:107], v71, off
	;; [unrolled: 1-line block ×32, first 2 shown]
	s_cmp_eq_u32 s2, 1
	s_waitcnt lgkmcnt(16)
	v_max_f64 v[170:171], v[0:1], v[0:1]
	s_cselect_b32 vcc_lo, -1, 0
	v_max_f64 v[172:173], v[2:3], v[2:3]
	s_waitcnt lgkmcnt(0)
	v_dual_cndmask_b32 v169, v65, v67 :: v_dual_cndmask_b32 v168, v64, v66
	v_max_f64 v[174:175], v[4:5], v[4:5]
	v_max_f64 v[176:177], v[6:7], v[6:7]
	;; [unrolled: 1-line block ×31, first 2 shown]
	s_mov_b64 s[2:3], 1
	s_and_b32 vcc_lo, exec_lo, s4
	s_mov_b32 s4, 0
	v_min_f64 v[170:171], v[170:171], v[168:169]
	v_min_f64 v[172:173], v[172:173], v[168:169]
	;; [unrolled: 1-line block ×32, first 2 shown]
	s_waitcnt vmcnt(31)
	v_add_f64 v[104:105], v[104:105], v[170:171]
	s_waitcnt vmcnt(30)
	v_add_f64 v[106:107], v[172:173], v[106:107]
	;; [unrolled: 2-line block ×32, first 2 shown]
	scratch_store_b64 v70, v[104:105], off
	scratch_store_b64 v71, v[106:107], off
	;; [unrolled: 1-line block ×32, first 2 shown]
	v_mov_b32_e32 v70, 0x100
	v_mov_b32_e32 v71, 0x108
	;; [unrolled: 1-line block ×32, first 2 shown]
	s_cbranch_vccnz .LBB133_68
; %bb.69:
	v_dual_mov_b32 v71, 8 :: v_dual_add_nc_u32 v60, 0x800, v68
	ds_load_2addr_b64 v[0:3], v68 offset0:1 offset1:17
	ds_load_2addr_b64 v[4:7], v68 offset0:33 offset1:49
	ds_load_2addr_b64 v[8:11], v68 offset0:65 offset1:81
	ds_load_2addr_b64 v[12:15], v68 offset0:97 offset1:113
	ds_load_2addr_b64 v[16:19], v68 offset0:129 offset1:145
	ds_load_2addr_b64 v[20:23], v68 offset0:161 offset1:177
	ds_load_2addr_b64 v[24:27], v68 offset0:193 offset1:209
	ds_load_2addr_b64 v[28:31], v68 offset0:225 offset1:241
	ds_load_2addr_b64 v[32:35], v60 offset0:1 offset1:17
	ds_load_2addr_b64 v[36:39], v60 offset0:33 offset1:49
	ds_load_2addr_b64 v[40:43], v60 offset0:65 offset1:81
	ds_load_2addr_b64 v[44:47], v60 offset0:97 offset1:113
	v_dual_mov_b32 v73, 24 :: v_dual_add_nc_u32 v64, 8, v69
	ds_load_2addr_b64 v[48:51], v60 offset0:129 offset1:145
	ds_load_2addr_b64 v[52:55], v60 offset0:161 offset1:177
	;; [unrolled: 1-line block ×4, first 2 shown]
	ds_load_2addr_stride64_b64 v[64:67], v64 offset1:4
	v_dual_mov_b32 v70, 0 :: v_dual_mov_b32 v75, 40
	v_dual_mov_b32 v72, 16 :: v_dual_mov_b32 v77, 56
	;; [unrolled: 1-line block ×5, first 2 shown]
	v_mov_b32_e32 v80, 0x50
	v_mov_b32_e32 v82, 0x60
	;; [unrolled: 1-line block ×20, first 2 shown]
	s_mov_b64 s[2:3], 0
	s_mov_b32 s4, -1
.LBB133_70:                             ; =>This Inner Loop Header: Depth=1
	scratch_load_b64 v[104:105], v70, off
	scratch_load_b64 v[106:107], v71, off
	;; [unrolled: 1-line block ×32, first 2 shown]
	s_cmp_eq_u32 s2, 1
	s_waitcnt lgkmcnt(16)
	v_max_f64 v[170:171], v[0:1], v[0:1]
	s_cselect_b32 vcc_lo, -1, 0
	v_max_f64 v[172:173], v[2:3], v[2:3]
	s_waitcnt lgkmcnt(0)
	v_dual_cndmask_b32 v169, v65, v67 :: v_dual_cndmask_b32 v168, v64, v66
	v_max_f64 v[174:175], v[4:5], v[4:5]
	v_max_f64 v[176:177], v[6:7], v[6:7]
	;; [unrolled: 1-line block ×31, first 2 shown]
	s_mov_b64 s[2:3], 1
	s_and_b32 vcc_lo, exec_lo, s4
	s_mov_b32 s4, 0
	v_min_f64 v[170:171], v[170:171], v[168:169]
	v_min_f64 v[172:173], v[172:173], v[168:169]
	;; [unrolled: 1-line block ×32, first 2 shown]
	s_waitcnt vmcnt(31)
	v_add_f64 v[104:105], v[104:105], v[170:171]
	s_waitcnt vmcnt(30)
	v_add_f64 v[106:107], v[172:173], v[106:107]
	;; [unrolled: 2-line block ×32, first 2 shown]
	scratch_store_b64 v70, v[104:105], off
	scratch_store_b64 v71, v[106:107], off
	;; [unrolled: 1-line block ×32, first 2 shown]
	v_mov_b32_e32 v70, 0x100
	v_mov_b32_e32 v71, 0x108
	;; [unrolled: 1-line block ×32, first 2 shown]
	s_cbranch_vccnz .LBB133_70
; %bb.71:
	v_dual_mov_b32 v71, 8 :: v_dual_add_nc_u32 v60, 0x800, v68
	ds_load_2addr_b64 v[0:3], v68 offset0:2 offset1:18
	ds_load_2addr_b64 v[4:7], v68 offset0:34 offset1:50
	;; [unrolled: 1-line block ×12, first 2 shown]
	v_dual_mov_b32 v73, 24 :: v_dual_add_nc_u32 v64, 16, v69
	ds_load_2addr_b64 v[48:51], v60 offset0:130 offset1:146
	ds_load_2addr_b64 v[52:55], v60 offset0:162 offset1:178
	;; [unrolled: 1-line block ×4, first 2 shown]
	ds_load_2addr_stride64_b64 v[64:67], v64 offset1:4
	v_dual_mov_b32 v70, 0 :: v_dual_mov_b32 v75, 40
	v_dual_mov_b32 v72, 16 :: v_dual_mov_b32 v77, 56
	;; [unrolled: 1-line block ×5, first 2 shown]
	v_mov_b32_e32 v80, 0x50
	v_mov_b32_e32 v82, 0x60
	;; [unrolled: 1-line block ×20, first 2 shown]
	s_mov_b64 s[2:3], 0
	s_mov_b32 s4, -1
.LBB133_72:                             ; =>This Inner Loop Header: Depth=1
	scratch_load_b64 v[104:105], v70, off
	scratch_load_b64 v[106:107], v71, off
	;; [unrolled: 1-line block ×32, first 2 shown]
	s_cmp_eq_u32 s2, 1
	s_waitcnt lgkmcnt(16)
	v_max_f64 v[170:171], v[0:1], v[0:1]
	s_cselect_b32 vcc_lo, -1, 0
	v_max_f64 v[172:173], v[2:3], v[2:3]
	s_waitcnt lgkmcnt(0)
	v_dual_cndmask_b32 v169, v65, v67 :: v_dual_cndmask_b32 v168, v64, v66
	v_max_f64 v[174:175], v[4:5], v[4:5]
	v_max_f64 v[176:177], v[6:7], v[6:7]
	;; [unrolled: 1-line block ×31, first 2 shown]
	s_mov_b64 s[2:3], 1
	s_and_b32 vcc_lo, exec_lo, s4
	s_mov_b32 s4, 0
	v_min_f64 v[170:171], v[170:171], v[168:169]
	v_min_f64 v[172:173], v[172:173], v[168:169]
	;; [unrolled: 1-line block ×32, first 2 shown]
	s_waitcnt vmcnt(31)
	v_add_f64 v[104:105], v[104:105], v[170:171]
	s_waitcnt vmcnt(30)
	v_add_f64 v[106:107], v[172:173], v[106:107]
	;; [unrolled: 2-line block ×32, first 2 shown]
	scratch_store_b64 v70, v[104:105], off
	scratch_store_b64 v71, v[106:107], off
	;; [unrolled: 1-line block ×32, first 2 shown]
	v_mov_b32_e32 v70, 0x100
	v_mov_b32_e32 v71, 0x108
	;; [unrolled: 1-line block ×32, first 2 shown]
	s_cbranch_vccnz .LBB133_72
; %bb.73:
	v_add_nc_u32_e32 v60, 0x800, v68
	ds_load_2addr_b64 v[0:3], v68 offset0:3 offset1:19
	ds_load_2addr_b64 v[4:7], v68 offset0:35 offset1:51
	;; [unrolled: 1-line block ×4, first 2 shown]
	v_dual_mov_b32 v71, 24 :: v_dual_add_nc_u32 v64, 24, v69
	v_mov_b32_e32 v69, 8
	ds_load_2addr_b64 v[16:19], v68 offset0:131 offset1:147
	ds_load_2addr_b64 v[20:23], v68 offset0:163 offset1:179
	;; [unrolled: 1-line block ×12, first 2 shown]
	ds_load_2addr_stride64_b64 v[64:67], v64 offset1:4
	v_dual_mov_b32 v68, 0 :: v_dual_mov_b32 v73, 40
	v_dual_mov_b32 v70, 16 :: v_dual_mov_b32 v75, 56
	;; [unrolled: 1-line block ×5, first 2 shown]
	v_mov_b32_e32 v78, 0x50
	v_mov_b32_e32 v80, 0x60
	;; [unrolled: 1-line block ×20, first 2 shown]
	s_mov_b64 s[2:3], 0
	s_mov_b32 s4, -1
.LBB133_74:                             ; =>This Inner Loop Header: Depth=1
	scratch_load_b64 v[102:103], v68, off
	scratch_load_b64 v[104:105], v69, off
	;; [unrolled: 1-line block ×32, first 2 shown]
	s_cmp_eq_u32 s2, 1
	s_waitcnt lgkmcnt(16)
	v_max_f64 v[168:169], v[0:1], v[0:1]
	s_cselect_b32 vcc_lo, -1, 0
	v_max_f64 v[170:171], v[2:3], v[2:3]
	s_waitcnt lgkmcnt(0)
	v_dual_cndmask_b32 v167, v65, v67 :: v_dual_cndmask_b32 v166, v64, v66
	v_max_f64 v[172:173], v[4:5], v[4:5]
	v_max_f64 v[174:175], v[6:7], v[6:7]
	v_max_f64 v[176:177], v[8:9], v[8:9]
	v_max_f64 v[178:179], v[10:11], v[10:11]
	v_max_f64 v[166:167], v[166:167], v[166:167]
	v_max_f64 v[180:181], v[12:13], v[12:13]
	v_max_f64 v[182:183], v[14:15], v[14:15]
	v_max_f64 v[184:185], v[16:17], v[16:17]
	v_max_f64 v[186:187], v[18:19], v[18:19]
	v_max_f64 v[188:189], v[20:21], v[20:21]
	v_max_f64 v[190:191], v[22:23], v[22:23]
	v_max_f64 v[192:193], v[24:25], v[24:25]
	v_max_f64 v[194:195], v[26:27], v[26:27]
	v_max_f64 v[196:197], v[28:29], v[28:29]
	v_max_f64 v[198:199], v[30:31], v[30:31]
	v_max_f64 v[200:201], v[32:33], v[32:33]
	v_max_f64 v[202:203], v[34:35], v[34:35]
	v_max_f64 v[204:205], v[36:37], v[36:37]
	v_max_f64 v[206:207], v[38:39], v[38:39]
	v_max_f64 v[208:209], v[40:41], v[40:41]
	v_max_f64 v[210:211], v[42:43], v[42:43]
	v_max_f64 v[212:213], v[44:45], v[44:45]
	v_max_f64 v[214:215], v[46:47], v[46:47]
	v_max_f64 v[216:217], v[48:49], v[48:49]
	v_max_f64 v[218:219], v[50:51], v[50:51]
	v_max_f64 v[220:221], v[52:53], v[52:53]
	v_max_f64 v[222:223], v[54:55], v[54:55]
	v_max_f64 v[224:225], v[56:57], v[56:57]
	v_max_f64 v[226:227], v[58:59], v[58:59]
	v_max_f64 v[228:229], v[60:61], v[60:61]
	v_max_f64 v[230:231], v[62:63], v[62:63]
	s_mov_b64 s[2:3], 1
	s_and_b32 vcc_lo, exec_lo, s4
	s_mov_b32 s4, 0
	v_min_f64 v[168:169], v[168:169], v[166:167]
	v_min_f64 v[170:171], v[170:171], v[166:167]
	v_min_f64 v[172:173], v[172:173], v[166:167]
	v_min_f64 v[174:175], v[174:175], v[166:167]
	v_min_f64 v[176:177], v[176:177], v[166:167]
	v_min_f64 v[178:179], v[178:179], v[166:167]
	v_min_f64 v[180:181], v[180:181], v[166:167]
	v_min_f64 v[182:183], v[182:183], v[166:167]
	v_min_f64 v[184:185], v[184:185], v[166:167]
	v_min_f64 v[186:187], v[186:187], v[166:167]
	v_min_f64 v[188:189], v[188:189], v[166:167]
	v_min_f64 v[190:191], v[190:191], v[166:167]
	v_min_f64 v[192:193], v[192:193], v[166:167]
	v_min_f64 v[194:195], v[194:195], v[166:167]
	v_min_f64 v[196:197], v[196:197], v[166:167]
	v_min_f64 v[198:199], v[198:199], v[166:167]
	v_min_f64 v[200:201], v[200:201], v[166:167]
	v_min_f64 v[202:203], v[202:203], v[166:167]
	v_min_f64 v[204:205], v[204:205], v[166:167]
	v_min_f64 v[206:207], v[206:207], v[166:167]
	v_min_f64 v[208:209], v[208:209], v[166:167]
	v_min_f64 v[210:211], v[210:211], v[166:167]
	v_min_f64 v[212:213], v[212:213], v[166:167]
	v_min_f64 v[214:215], v[214:215], v[166:167]
	v_min_f64 v[216:217], v[216:217], v[166:167]
	v_min_f64 v[218:219], v[218:219], v[166:167]
	v_min_f64 v[220:221], v[220:221], v[166:167]
	v_min_f64 v[222:223], v[222:223], v[166:167]
	v_min_f64 v[224:225], v[224:225], v[166:167]
	v_min_f64 v[226:227], v[226:227], v[166:167]
	v_min_f64 v[228:229], v[228:229], v[166:167]
	v_min_f64 v[166:167], v[230:231], v[166:167]
	s_waitcnt vmcnt(31)
	v_add_f64 v[102:103], v[102:103], v[168:169]
	s_waitcnt vmcnt(30)
	v_add_f64 v[104:105], v[170:171], v[104:105]
	;; [unrolled: 2-line block ×32, first 2 shown]
	scratch_store_b64 v68, v[102:103], off
	scratch_store_b64 v69, v[104:105], off
	scratch_store_b64 v70, v[106:107], off
	scratch_store_b64 v71, v[108:109], off
	scratch_store_b64 v72, v[110:111], off
	scratch_store_b64 v73, v[112:113], off
	scratch_store_b64 v74, v[114:115], off
	scratch_store_b64 v75, v[116:117], off
	scratch_store_b64 v76, v[118:119], off
	scratch_store_b64 v77, v[120:121], off
	scratch_store_b64 v78, v[122:123], off
	scratch_store_b64 v79, v[124:125], off
	scratch_store_b64 v80, v[126:127], off
	scratch_store_b64 v81, v[128:129], off
	scratch_store_b64 v82, v[130:131], off
	scratch_store_b64 v83, v[132:133], off
	scratch_store_b64 v86, v[134:135], off
	scratch_store_b64 v87, v[136:137], off
	scratch_store_b64 v88, v[138:139], off
	scratch_store_b64 v89, v[140:141], off
	scratch_store_b64 v90, v[142:143], off
	scratch_store_b64 v91, v[144:145], off
	scratch_store_b64 v92, v[146:147], off
	scratch_store_b64 v93, v[148:149], off
	scratch_store_b64 v94, v[150:151], off
	scratch_store_b64 v95, v[152:153], off
	scratch_store_b64 v96, v[154:155], off
	scratch_store_b64 v97, v[156:157], off
	scratch_store_b64 v98, v[158:159], off
	scratch_store_b64 v99, v[160:161], off
	scratch_store_b64 v100, v[162:163], off
	scratch_store_b64 v101, v[164:165], off
	v_mov_b32_e32 v68, 0x100
	v_mov_b32_e32 v69, 0x108
	;; [unrolled: 1-line block ×32, first 2 shown]
	s_cbranch_vccnz .LBB133_74
; %bb.75:
	s_clause 0x2
	s_load_b32 s42, s[0:1], 0x58
	s_load_b32 s37, s[0:1], 0x70
	s_load_b64 s[2:3], s[0:1], 0x78
	v_add_nc_u32_e32 v71, s15, v85
	v_add_nc_u32_e32 v0, s14, v84
	v_cndmask_b32_e64 v70, 0, 1, s36
	s_delay_alu instid0(VALU_DEP_3) | instskip(NEXT) | instid1(VALU_DEP_3)
	v_cmp_gt_i32_e64 s11, s41, v71
	v_cmp_gt_i32_e64 s0, s40, v0
	s_waitcnt lgkmcnt(0)
	v_mad_i64_i32 v[1:2], null, v71, s42, 0
	v_mad_i64_i32 v[3:4], null, v71, s37, 0
	s_lshl_b64 s[2:3], s[2:3], 3
	s_delay_alu instid0(SALU_CYCLE_1) | instskip(SKIP_1) | instid1(VALU_DEP_2)
	s_add_u32 s43, s8, s2
	s_addc_u32 s44, s9, s3
	v_lshlrev_b64 v[5:6], 3, v[1:2]
	v_ashrrev_i32_e32 v1, 31, v0
	s_delay_alu instid0(VALU_DEP_3) | instskip(SKIP_1) | instid1(VALU_DEP_3)
	v_lshlrev_b64 v[2:3], 3, v[3:4]
	s_and_b32 s1, s11, s0
	v_add_co_u32 v68, vcc_lo, s34, v5
	s_delay_alu instid0(VALU_DEP_4) | instskip(NEXT) | instid1(VALU_DEP_3)
	v_add_co_ci_u32_e32 v69, vcc_lo, s35, v6, vcc_lo
	v_add_co_u32 v72, vcc_lo, s43, v2
	s_delay_alu instid0(VALU_DEP_4) | instskip(SKIP_1) | instid1(SALU_CYCLE_1)
	v_add_co_ci_u32_e32 v73, vcc_lo, s44, v3, vcc_lo
	s_and_saveexec_b32 s2, s1
	s_xor_b32 s1, exec_lo, s2
	s_cbranch_execz .LBB133_80
; %bb.76:
	scratch_load_b64 v[2:3], off, off
	v_lshlrev_b64 v[4:5], 3, v[0:1]
	s_and_not1_b32 vcc_lo, exec_lo, s36
	s_cbranch_vccnz .LBB133_78
; %bb.77:
	s_delay_alu instid0(VALU_DEP_1) | instskip(NEXT) | instid1(VALU_DEP_2)
	v_add_co_u32 v6, vcc_lo, v68, v4
	v_add_co_ci_u32_e32 v7, vcc_lo, v69, v5, vcc_lo
	flat_load_b64 v[6:7], v[6:7]
	s_waitcnt vmcnt(0) lgkmcnt(0)
	v_mul_f64 v[6:7], v[6:7], s[38:39]
	s_branch .LBB133_79
.LBB133_78:
	v_mov_b32_e32 v6, 0
	v_mov_b32_e32 v7, 0
.LBB133_79:
	s_waitcnt vmcnt(0)
	s_delay_alu instid0(VALU_DEP_1)
	v_add_f64 v[2:3], v[2:3], v[6:7]
	v_add_co_u32 v4, vcc_lo, v72, v4
	v_add_co_ci_u32_e32 v5, vcc_lo, v73, v5, vcc_lo
	global_store_b64 v[4:5], v[2:3], off
.LBB133_80:
	s_or_b32 exec_lo, exec_lo, s1
	v_add_nc_u32_e32 v2, 4, v0
	s_delay_alu instid0(VALU_DEP_1) | instskip(SKIP_1) | instid1(VALU_DEP_2)
	v_cmp_gt_i32_e64 s1, s40, v2
	v_ashrrev_i32_e32 v3, 31, v2
	s_and_b32 s3, s11, s1
	s_delay_alu instid0(SALU_CYCLE_1)
	s_and_saveexec_b32 s2, s3
	s_cbranch_execz .LBB133_85
; %bb.81:
	scratch_load_b64 v[4:5], off, off offset:8
	v_lshlrev_b64 v[6:7], 3, v[2:3]
	s_and_not1_b32 vcc_lo, exec_lo, s36
	s_cbranch_vccnz .LBB133_83
; %bb.82:
	s_delay_alu instid0(VALU_DEP_1) | instskip(NEXT) | instid1(VALU_DEP_2)
	v_add_co_u32 v8, vcc_lo, v68, v6
	v_add_co_ci_u32_e32 v9, vcc_lo, v69, v7, vcc_lo
	flat_load_b64 v[8:9], v[8:9]
	s_waitcnt vmcnt(0) lgkmcnt(0)
	v_mul_f64 v[8:9], v[8:9], s[38:39]
	s_branch .LBB133_84
.LBB133_83:
	v_mov_b32_e32 v8, 0
	v_mov_b32_e32 v9, 0
.LBB133_84:
	s_waitcnt vmcnt(0)
	s_delay_alu instid0(VALU_DEP_1)
	v_add_f64 v[4:5], v[4:5], v[8:9]
	v_add_co_u32 v6, vcc_lo, v72, v6
	v_add_co_ci_u32_e32 v7, vcc_lo, v73, v7, vcc_lo
	global_store_b64 v[6:7], v[4:5], off
.LBB133_85:
	s_or_b32 exec_lo, exec_lo, s2
	v_add_nc_u32_e32 v4, 8, v0
	s_delay_alu instid0(VALU_DEP_1) | instskip(SKIP_1) | instid1(VALU_DEP_2)
	v_cmp_gt_i32_e64 s2, s40, v4
	v_ashrrev_i32_e32 v5, 31, v4
	s_and_b32 s4, s11, s2
	s_delay_alu instid0(SALU_CYCLE_1)
	s_and_saveexec_b32 s3, s4
	s_cbranch_execz .LBB133_90
; %bb.86:
	scratch_load_b64 v[6:7], off, off offset:16
	v_lshlrev_b64 v[8:9], 3, v[4:5]
	s_and_not1_b32 vcc_lo, exec_lo, s36
	s_cbranch_vccnz .LBB133_88
; %bb.87:
	s_delay_alu instid0(VALU_DEP_1) | instskip(NEXT) | instid1(VALU_DEP_2)
	v_add_co_u32 v10, vcc_lo, v68, v8
	v_add_co_ci_u32_e32 v11, vcc_lo, v69, v9, vcc_lo
	flat_load_b64 v[10:11], v[10:11]
	s_waitcnt vmcnt(0) lgkmcnt(0)
	v_mul_f64 v[10:11], v[10:11], s[38:39]
	s_branch .LBB133_89
.LBB133_88:
	v_mov_b32_e32 v10, 0
	v_mov_b32_e32 v11, 0
.LBB133_89:
	s_waitcnt vmcnt(0)
	s_delay_alu instid0(VALU_DEP_1)
	v_add_f64 v[6:7], v[6:7], v[10:11]
	v_add_co_u32 v8, vcc_lo, v72, v8
	v_add_co_ci_u32_e32 v9, vcc_lo, v73, v9, vcc_lo
	global_store_b64 v[8:9], v[6:7], off
.LBB133_90:
	s_or_b32 exec_lo, exec_lo, s3
	v_add_nc_u32_e32 v6, 12, v0
	s_delay_alu instid0(VALU_DEP_1) | instskip(SKIP_1) | instid1(VALU_DEP_2)
	v_cmp_gt_i32_e64 s3, s40, v6
	v_ashrrev_i32_e32 v7, 31, v6
	s_and_b32 s5, s11, s3
	s_delay_alu instid0(SALU_CYCLE_1)
	s_and_saveexec_b32 s4, s5
	s_cbranch_execz .LBB133_95
; %bb.91:
	scratch_load_b64 v[8:9], off, off offset:24
	v_lshlrev_b64 v[10:11], 3, v[6:7]
	s_and_not1_b32 vcc_lo, exec_lo, s36
	s_cbranch_vccnz .LBB133_93
; %bb.92:
	s_delay_alu instid0(VALU_DEP_1) | instskip(NEXT) | instid1(VALU_DEP_2)
	v_add_co_u32 v12, vcc_lo, v68, v10
	v_add_co_ci_u32_e32 v13, vcc_lo, v69, v11, vcc_lo
	flat_load_b64 v[12:13], v[12:13]
	s_waitcnt vmcnt(0) lgkmcnt(0)
	v_mul_f64 v[12:13], v[12:13], s[38:39]
	s_branch .LBB133_94
.LBB133_93:
	v_mov_b32_e32 v12, 0
	v_mov_b32_e32 v13, 0
.LBB133_94:
	s_waitcnt vmcnt(0)
	s_delay_alu instid0(VALU_DEP_1)
	v_add_f64 v[8:9], v[8:9], v[12:13]
	v_add_co_u32 v10, vcc_lo, v72, v10
	v_add_co_ci_u32_e32 v11, vcc_lo, v73, v11, vcc_lo
	global_store_b64 v[10:11], v[8:9], off
.LBB133_95:
	s_or_b32 exec_lo, exec_lo, s4
	v_add_nc_u32_e32 v8, 16, v0
	s_delay_alu instid0(VALU_DEP_1) | instskip(SKIP_1) | instid1(VALU_DEP_2)
	v_cmp_gt_i32_e64 s4, s40, v8
	v_ashrrev_i32_e32 v9, 31, v8
	s_and_b32 s6, s11, s4
	s_delay_alu instid0(SALU_CYCLE_1)
	s_and_saveexec_b32 s5, s6
	s_cbranch_execz .LBB133_100
; %bb.96:
	scratch_load_b64 v[10:11], off, off offset:32
	v_lshlrev_b64 v[12:13], 3, v[8:9]
	s_and_not1_b32 vcc_lo, exec_lo, s36
	s_cbranch_vccnz .LBB133_98
; %bb.97:
	s_delay_alu instid0(VALU_DEP_1) | instskip(NEXT) | instid1(VALU_DEP_2)
	v_add_co_u32 v14, vcc_lo, v68, v12
	v_add_co_ci_u32_e32 v15, vcc_lo, v69, v13, vcc_lo
	flat_load_b64 v[14:15], v[14:15]
	s_waitcnt vmcnt(0) lgkmcnt(0)
	v_mul_f64 v[14:15], v[14:15], s[38:39]
	s_branch .LBB133_99
.LBB133_98:
	v_mov_b32_e32 v14, 0
	v_mov_b32_e32 v15, 0
.LBB133_99:
	s_waitcnt vmcnt(0)
	s_delay_alu instid0(VALU_DEP_1)
	v_add_f64 v[10:11], v[10:11], v[14:15]
	v_add_co_u32 v12, vcc_lo, v72, v12
	v_add_co_ci_u32_e32 v13, vcc_lo, v73, v13, vcc_lo
	global_store_b64 v[12:13], v[10:11], off
.LBB133_100:
	s_or_b32 exec_lo, exec_lo, s5
	v_add_nc_u32_e32 v10, 20, v0
	s_delay_alu instid0(VALU_DEP_1) | instskip(SKIP_1) | instid1(VALU_DEP_2)
	v_cmp_gt_i32_e64 s5, s40, v10
	v_ashrrev_i32_e32 v11, 31, v10
	s_and_b32 s7, s11, s5
	s_delay_alu instid0(SALU_CYCLE_1)
	s_and_saveexec_b32 s6, s7
	s_cbranch_execz .LBB133_105
; %bb.101:
	scratch_load_b64 v[12:13], off, off offset:40
	v_lshlrev_b64 v[14:15], 3, v[10:11]
	s_and_not1_b32 vcc_lo, exec_lo, s36
	s_cbranch_vccnz .LBB133_103
; %bb.102:
	s_delay_alu instid0(VALU_DEP_1) | instskip(NEXT) | instid1(VALU_DEP_2)
	v_add_co_u32 v16, vcc_lo, v68, v14
	v_add_co_ci_u32_e32 v17, vcc_lo, v69, v15, vcc_lo
	flat_load_b64 v[16:17], v[16:17]
	s_waitcnt vmcnt(0) lgkmcnt(0)
	v_mul_f64 v[16:17], v[16:17], s[38:39]
	s_branch .LBB133_104
.LBB133_103:
	v_mov_b32_e32 v16, 0
	v_mov_b32_e32 v17, 0
.LBB133_104:
	s_waitcnt vmcnt(0)
	s_delay_alu instid0(VALU_DEP_1)
	v_add_f64 v[12:13], v[12:13], v[16:17]
	v_add_co_u32 v14, vcc_lo, v72, v14
	v_add_co_ci_u32_e32 v15, vcc_lo, v73, v15, vcc_lo
	global_store_b64 v[14:15], v[12:13], off
.LBB133_105:
	s_or_b32 exec_lo, exec_lo, s6
	v_add_nc_u32_e32 v12, 24, v0
	s_delay_alu instid0(VALU_DEP_1) | instskip(SKIP_1) | instid1(VALU_DEP_2)
	v_cmp_gt_i32_e64 s6, s40, v12
	v_ashrrev_i32_e32 v13, 31, v12
	s_and_b32 s8, s11, s6
	s_delay_alu instid0(SALU_CYCLE_1)
	s_and_saveexec_b32 s7, s8
	s_cbranch_execz .LBB133_110
; %bb.106:
	scratch_load_b64 v[14:15], off, off offset:48
	v_lshlrev_b64 v[16:17], 3, v[12:13]
	s_and_not1_b32 vcc_lo, exec_lo, s36
	s_cbranch_vccnz .LBB133_108
; %bb.107:
	s_delay_alu instid0(VALU_DEP_1) | instskip(NEXT) | instid1(VALU_DEP_2)
	v_add_co_u32 v18, vcc_lo, v68, v16
	v_add_co_ci_u32_e32 v19, vcc_lo, v69, v17, vcc_lo
	flat_load_b64 v[18:19], v[18:19]
	s_waitcnt vmcnt(0) lgkmcnt(0)
	v_mul_f64 v[18:19], v[18:19], s[38:39]
	s_branch .LBB133_109
.LBB133_108:
	v_mov_b32_e32 v18, 0
	v_mov_b32_e32 v19, 0
.LBB133_109:
	s_waitcnt vmcnt(0)
	s_delay_alu instid0(VALU_DEP_1)
	v_add_f64 v[14:15], v[14:15], v[18:19]
	v_add_co_u32 v16, vcc_lo, v72, v16
	v_add_co_ci_u32_e32 v17, vcc_lo, v73, v17, vcc_lo
	global_store_b64 v[16:17], v[14:15], off
.LBB133_110:
	s_or_b32 exec_lo, exec_lo, s7
	v_add_nc_u32_e32 v14, 28, v0
	s_delay_alu instid0(VALU_DEP_1) | instskip(SKIP_1) | instid1(VALU_DEP_2)
	v_cmp_gt_i32_e64 s7, s40, v14
	v_ashrrev_i32_e32 v15, 31, v14
	s_and_b32 s9, s11, s7
	s_delay_alu instid0(SALU_CYCLE_1)
	s_and_saveexec_b32 s8, s9
	s_cbranch_execz .LBB133_115
; %bb.111:
	scratch_load_b64 v[16:17], off, off offset:56
	v_lshlrev_b64 v[18:19], 3, v[14:15]
	s_and_not1_b32 vcc_lo, exec_lo, s36
	s_cbranch_vccnz .LBB133_113
; %bb.112:
	s_delay_alu instid0(VALU_DEP_1) | instskip(NEXT) | instid1(VALU_DEP_2)
	v_add_co_u32 v20, vcc_lo, v68, v18
	v_add_co_ci_u32_e32 v21, vcc_lo, v69, v19, vcc_lo
	flat_load_b64 v[20:21], v[20:21]
	s_waitcnt vmcnt(0) lgkmcnt(0)
	v_mul_f64 v[20:21], v[20:21], s[38:39]
	s_branch .LBB133_114
.LBB133_113:
	v_mov_b32_e32 v20, 0
	v_mov_b32_e32 v21, 0
.LBB133_114:
	s_waitcnt vmcnt(0)
	s_delay_alu instid0(VALU_DEP_1)
	v_add_f64 v[16:17], v[16:17], v[20:21]
	v_add_co_u32 v18, vcc_lo, v72, v18
	v_add_co_ci_u32_e32 v19, vcc_lo, v73, v19, vcc_lo
	global_store_b64 v[18:19], v[16:17], off
.LBB133_115:
	s_or_b32 exec_lo, exec_lo, s8
	v_add_nc_u32_e32 v16, 32, v0
	s_delay_alu instid0(VALU_DEP_1) | instskip(SKIP_1) | instid1(VALU_DEP_2)
	v_cmp_gt_i32_e64 s8, s40, v16
	v_ashrrev_i32_e32 v17, 31, v16
	s_and_b32 s10, s11, s8
	s_delay_alu instid0(SALU_CYCLE_1)
	s_and_saveexec_b32 s9, s10
	s_cbranch_execz .LBB133_120
; %bb.116:
	scratch_load_b64 v[18:19], off, off offset:64
	v_lshlrev_b64 v[20:21], 3, v[16:17]
	s_and_not1_b32 vcc_lo, exec_lo, s36
	s_cbranch_vccnz .LBB133_118
; %bb.117:
	s_delay_alu instid0(VALU_DEP_1) | instskip(NEXT) | instid1(VALU_DEP_2)
	v_add_co_u32 v22, vcc_lo, v68, v20
	v_add_co_ci_u32_e32 v23, vcc_lo, v69, v21, vcc_lo
	flat_load_b64 v[22:23], v[22:23]
	s_waitcnt vmcnt(0) lgkmcnt(0)
	v_mul_f64 v[22:23], v[22:23], s[38:39]
	s_branch .LBB133_119
.LBB133_118:
	v_mov_b32_e32 v22, 0
	v_mov_b32_e32 v23, 0
.LBB133_119:
	s_waitcnt vmcnt(0)
	s_delay_alu instid0(VALU_DEP_1)
	v_add_f64 v[18:19], v[18:19], v[22:23]
	v_add_co_u32 v20, vcc_lo, v72, v20
	v_add_co_ci_u32_e32 v21, vcc_lo, v73, v21, vcc_lo
	global_store_b64 v[20:21], v[18:19], off
.LBB133_120:
	s_or_b32 exec_lo, exec_lo, s9
	v_add_nc_u32_e32 v18, 36, v0
	s_delay_alu instid0(VALU_DEP_1) | instskip(SKIP_1) | instid1(VALU_DEP_2)
	v_cmp_gt_i32_e64 s9, s40, v18
	v_ashrrev_i32_e32 v19, 31, v18
	s_and_b32 s12, s11, s9
	s_delay_alu instid0(SALU_CYCLE_1)
	s_and_saveexec_b32 s10, s12
	s_cbranch_execz .LBB133_125
; %bb.121:
	scratch_load_b64 v[20:21], off, off offset:72
	v_lshlrev_b64 v[22:23], 3, v[18:19]
	s_and_not1_b32 vcc_lo, exec_lo, s36
	s_cbranch_vccnz .LBB133_123
; %bb.122:
	s_delay_alu instid0(VALU_DEP_1) | instskip(NEXT) | instid1(VALU_DEP_2)
	v_add_co_u32 v24, vcc_lo, v68, v22
	v_add_co_ci_u32_e32 v25, vcc_lo, v69, v23, vcc_lo
	flat_load_b64 v[24:25], v[24:25]
	s_waitcnt vmcnt(0) lgkmcnt(0)
	v_mul_f64 v[24:25], v[24:25], s[38:39]
	s_branch .LBB133_124
.LBB133_123:
	v_mov_b32_e32 v24, 0
	v_mov_b32_e32 v25, 0
.LBB133_124:
	s_waitcnt vmcnt(0)
	s_delay_alu instid0(VALU_DEP_1)
	v_add_f64 v[20:21], v[20:21], v[24:25]
	v_add_co_u32 v22, vcc_lo, v72, v22
	v_add_co_ci_u32_e32 v23, vcc_lo, v73, v23, vcc_lo
	global_store_b64 v[22:23], v[20:21], off
.LBB133_125:
	s_or_b32 exec_lo, exec_lo, s10
	v_add_nc_u32_e32 v20, 40, v0
	s_delay_alu instid0(VALU_DEP_1) | instskip(SKIP_1) | instid1(VALU_DEP_2)
	v_cmp_gt_i32_e64 s10, s40, v20
	v_ashrrev_i32_e32 v21, 31, v20
	s_and_b32 s13, s11, s10
	s_delay_alu instid0(SALU_CYCLE_1)
	s_and_saveexec_b32 s12, s13
	s_cbranch_execz .LBB133_130
; %bb.126:
	scratch_load_b64 v[22:23], off, off offset:80
	v_lshlrev_b64 v[24:25], 3, v[20:21]
	s_and_not1_b32 vcc_lo, exec_lo, s36
	s_cbranch_vccnz .LBB133_128
; %bb.127:
	s_delay_alu instid0(VALU_DEP_1) | instskip(NEXT) | instid1(VALU_DEP_2)
	v_add_co_u32 v26, vcc_lo, v68, v24
	v_add_co_ci_u32_e32 v27, vcc_lo, v69, v25, vcc_lo
	flat_load_b64 v[26:27], v[26:27]
	s_waitcnt vmcnt(0) lgkmcnt(0)
	v_mul_f64 v[26:27], v[26:27], s[38:39]
	s_branch .LBB133_129
.LBB133_128:
	v_mov_b32_e32 v26, 0
	v_mov_b32_e32 v27, 0
.LBB133_129:
	s_waitcnt vmcnt(0)
	s_delay_alu instid0(VALU_DEP_1)
	v_add_f64 v[22:23], v[22:23], v[26:27]
	v_add_co_u32 v24, vcc_lo, v72, v24
	v_add_co_ci_u32_e32 v25, vcc_lo, v73, v25, vcc_lo
	global_store_b64 v[24:25], v[22:23], off
.LBB133_130:
	s_or_b32 exec_lo, exec_lo, s12
	v_add_nc_u32_e32 v22, 44, v0
	s_delay_alu instid0(VALU_DEP_1) | instskip(SKIP_1) | instid1(VALU_DEP_2)
	v_cmp_gt_i32_e64 s12, s40, v22
	v_ashrrev_i32_e32 v23, 31, v22
	s_and_b32 s14, s11, s12
	s_delay_alu instid0(SALU_CYCLE_1)
	s_and_saveexec_b32 s13, s14
	s_cbranch_execz .LBB133_135
; %bb.131:
	scratch_load_b64 v[24:25], off, off offset:88
	v_lshlrev_b64 v[26:27], 3, v[22:23]
	s_and_not1_b32 vcc_lo, exec_lo, s36
	s_cbranch_vccnz .LBB133_133
; %bb.132:
	s_delay_alu instid0(VALU_DEP_1) | instskip(NEXT) | instid1(VALU_DEP_2)
	v_add_co_u32 v28, vcc_lo, v68, v26
	v_add_co_ci_u32_e32 v29, vcc_lo, v69, v27, vcc_lo
	flat_load_b64 v[28:29], v[28:29]
	s_waitcnt vmcnt(0) lgkmcnt(0)
	v_mul_f64 v[28:29], v[28:29], s[38:39]
	s_branch .LBB133_134
.LBB133_133:
	v_mov_b32_e32 v28, 0
	v_mov_b32_e32 v29, 0
.LBB133_134:
	s_waitcnt vmcnt(0)
	s_delay_alu instid0(VALU_DEP_1)
	v_add_f64 v[24:25], v[24:25], v[28:29]
	v_add_co_u32 v26, vcc_lo, v72, v26
	v_add_co_ci_u32_e32 v27, vcc_lo, v73, v27, vcc_lo
	global_store_b64 v[26:27], v[24:25], off
.LBB133_135:
	s_or_b32 exec_lo, exec_lo, s13
	v_add_nc_u32_e32 v24, 48, v0
	s_delay_alu instid0(VALU_DEP_1) | instskip(SKIP_1) | instid1(VALU_DEP_2)
	v_cmp_gt_i32_e64 s13, s40, v24
	v_ashrrev_i32_e32 v25, 31, v24
	s_and_b32 s15, s11, s13
	s_delay_alu instid0(SALU_CYCLE_1)
	s_and_saveexec_b32 s14, s15
	s_cbranch_execz .LBB133_140
; %bb.136:
	scratch_load_b64 v[26:27], off, off offset:96
	v_lshlrev_b64 v[28:29], 3, v[24:25]
	s_and_not1_b32 vcc_lo, exec_lo, s36
	s_cbranch_vccnz .LBB133_138
; %bb.137:
	s_delay_alu instid0(VALU_DEP_1) | instskip(NEXT) | instid1(VALU_DEP_2)
	v_add_co_u32 v30, vcc_lo, v68, v28
	v_add_co_ci_u32_e32 v31, vcc_lo, v69, v29, vcc_lo
	flat_load_b64 v[30:31], v[30:31]
	s_waitcnt vmcnt(0) lgkmcnt(0)
	v_mul_f64 v[30:31], v[30:31], s[38:39]
	s_branch .LBB133_139
.LBB133_138:
	v_mov_b32_e32 v30, 0
	v_mov_b32_e32 v31, 0
.LBB133_139:
	s_waitcnt vmcnt(0)
	s_delay_alu instid0(VALU_DEP_1)
	v_add_f64 v[26:27], v[26:27], v[30:31]
	v_add_co_u32 v28, vcc_lo, v72, v28
	v_add_co_ci_u32_e32 v29, vcc_lo, v73, v29, vcc_lo
	global_store_b64 v[28:29], v[26:27], off
.LBB133_140:
	s_or_b32 exec_lo, exec_lo, s14
	v_add_nc_u32_e32 v26, 52, v0
	s_delay_alu instid0(VALU_DEP_1) | instskip(SKIP_1) | instid1(VALU_DEP_2)
	v_cmp_gt_i32_e64 s14, s40, v26
	v_ashrrev_i32_e32 v27, 31, v26
	s_and_b32 s16, s11, s14
	s_delay_alu instid0(SALU_CYCLE_1)
	s_and_saveexec_b32 s15, s16
	s_cbranch_execz .LBB133_145
; %bb.141:
	scratch_load_b64 v[28:29], off, off offset:104
	v_lshlrev_b64 v[30:31], 3, v[26:27]
	s_and_not1_b32 vcc_lo, exec_lo, s36
	s_cbranch_vccnz .LBB133_143
; %bb.142:
	s_delay_alu instid0(VALU_DEP_1) | instskip(NEXT) | instid1(VALU_DEP_2)
	v_add_co_u32 v32, vcc_lo, v68, v30
	v_add_co_ci_u32_e32 v33, vcc_lo, v69, v31, vcc_lo
	flat_load_b64 v[32:33], v[32:33]
	s_waitcnt vmcnt(0) lgkmcnt(0)
	v_mul_f64 v[32:33], v[32:33], s[38:39]
	s_branch .LBB133_144
.LBB133_143:
	v_mov_b32_e32 v32, 0
	v_mov_b32_e32 v33, 0
.LBB133_144:
	s_waitcnt vmcnt(0)
	s_delay_alu instid0(VALU_DEP_1)
	v_add_f64 v[28:29], v[28:29], v[32:33]
	v_add_co_u32 v30, vcc_lo, v72, v30
	v_add_co_ci_u32_e32 v31, vcc_lo, v73, v31, vcc_lo
	global_store_b64 v[30:31], v[28:29], off
.LBB133_145:
	s_or_b32 exec_lo, exec_lo, s15
	v_add_nc_u32_e32 v28, 56, v0
	s_delay_alu instid0(VALU_DEP_1) | instskip(SKIP_1) | instid1(VALU_DEP_2)
	v_cmp_gt_i32_e64 s15, s40, v28
	v_ashrrev_i32_e32 v29, 31, v28
	s_and_b32 s17, s11, s15
	s_delay_alu instid0(SALU_CYCLE_1)
	s_and_saveexec_b32 s16, s17
	s_cbranch_execz .LBB133_150
; %bb.146:
	scratch_load_b64 v[30:31], off, off offset:112
	v_lshlrev_b64 v[32:33], 3, v[28:29]
	s_and_not1_b32 vcc_lo, exec_lo, s36
	s_cbranch_vccnz .LBB133_148
; %bb.147:
	s_delay_alu instid0(VALU_DEP_1) | instskip(NEXT) | instid1(VALU_DEP_2)
	v_add_co_u32 v34, vcc_lo, v68, v32
	v_add_co_ci_u32_e32 v35, vcc_lo, v69, v33, vcc_lo
	flat_load_b64 v[34:35], v[34:35]
	s_waitcnt vmcnt(0) lgkmcnt(0)
	v_mul_f64 v[34:35], v[34:35], s[38:39]
	s_branch .LBB133_149
.LBB133_148:
	v_mov_b32_e32 v34, 0
	v_mov_b32_e32 v35, 0
.LBB133_149:
	s_waitcnt vmcnt(0)
	s_delay_alu instid0(VALU_DEP_1)
	v_add_f64 v[30:31], v[30:31], v[34:35]
	v_add_co_u32 v32, vcc_lo, v72, v32
	v_add_co_ci_u32_e32 v33, vcc_lo, v73, v33, vcc_lo
	global_store_b64 v[32:33], v[30:31], off
.LBB133_150:
	s_or_b32 exec_lo, exec_lo, s16
	v_add_nc_u32_e32 v30, 60, v0
	s_delay_alu instid0(VALU_DEP_1) | instskip(SKIP_1) | instid1(VALU_DEP_2)
	v_cmp_gt_i32_e64 s16, s40, v30
	v_ashrrev_i32_e32 v31, 31, v30
	s_and_b32 s18, s11, s16
	s_delay_alu instid0(SALU_CYCLE_1)
	s_and_saveexec_b32 s17, s18
	s_cbranch_execz .LBB133_155
; %bb.151:
	scratch_load_b64 v[32:33], off, off offset:120
	v_lshlrev_b64 v[34:35], 3, v[30:31]
	s_and_not1_b32 vcc_lo, exec_lo, s36
	s_cbranch_vccnz .LBB133_153
; %bb.152:
	s_delay_alu instid0(VALU_DEP_1) | instskip(NEXT) | instid1(VALU_DEP_2)
	v_add_co_u32 v36, vcc_lo, v68, v34
	v_add_co_ci_u32_e32 v37, vcc_lo, v69, v35, vcc_lo
	flat_load_b64 v[36:37], v[36:37]
	s_waitcnt vmcnt(0) lgkmcnt(0)
	v_mul_f64 v[36:37], v[36:37], s[38:39]
	s_branch .LBB133_154
.LBB133_153:
	v_mov_b32_e32 v36, 0
	v_mov_b32_e32 v37, 0
.LBB133_154:
	s_waitcnt vmcnt(0)
	s_delay_alu instid0(VALU_DEP_1)
	v_add_f64 v[32:33], v[32:33], v[36:37]
	v_add_co_u32 v34, vcc_lo, v72, v34
	v_add_co_ci_u32_e32 v35, vcc_lo, v73, v35, vcc_lo
	global_store_b64 v[34:35], v[32:33], off
.LBB133_155:
	s_or_b32 exec_lo, exec_lo, s17
	v_add_nc_u32_e32 v32, 64, v0
	s_delay_alu instid0(VALU_DEP_1) | instskip(SKIP_1) | instid1(VALU_DEP_2)
	v_cmp_gt_i32_e64 s17, s40, v32
	v_ashrrev_i32_e32 v33, 31, v32
	s_and_b32 s19, s11, s17
	s_delay_alu instid0(SALU_CYCLE_1)
	s_and_saveexec_b32 s18, s19
	s_cbranch_execz .LBB133_160
; %bb.156:
	scratch_load_b64 v[34:35], off, off offset:128
	v_lshlrev_b64 v[36:37], 3, v[32:33]
	s_and_not1_b32 vcc_lo, exec_lo, s36
	s_cbranch_vccnz .LBB133_158
; %bb.157:
	s_delay_alu instid0(VALU_DEP_1) | instskip(NEXT) | instid1(VALU_DEP_2)
	v_add_co_u32 v38, vcc_lo, v68, v36
	v_add_co_ci_u32_e32 v39, vcc_lo, v69, v37, vcc_lo
	flat_load_b64 v[38:39], v[38:39]
	s_waitcnt vmcnt(0) lgkmcnt(0)
	v_mul_f64 v[38:39], v[38:39], s[38:39]
	s_branch .LBB133_159
.LBB133_158:
	v_mov_b32_e32 v38, 0
	v_mov_b32_e32 v39, 0
.LBB133_159:
	s_waitcnt vmcnt(0)
	s_delay_alu instid0(VALU_DEP_1)
	v_add_f64 v[34:35], v[34:35], v[38:39]
	v_add_co_u32 v36, vcc_lo, v72, v36
	v_add_co_ci_u32_e32 v37, vcc_lo, v73, v37, vcc_lo
	global_store_b64 v[36:37], v[34:35], off
.LBB133_160:
	s_or_b32 exec_lo, exec_lo, s18
	v_add_nc_u32_e32 v34, 0x44, v0
	s_delay_alu instid0(VALU_DEP_1) | instskip(SKIP_1) | instid1(VALU_DEP_2)
	v_cmp_gt_i32_e64 s18, s40, v34
	v_ashrrev_i32_e32 v35, 31, v34
	s_and_b32 s20, s11, s18
	s_delay_alu instid0(SALU_CYCLE_1)
	s_and_saveexec_b32 s19, s20
	s_cbranch_execz .LBB133_165
; %bb.161:
	scratch_load_b64 v[36:37], off, off offset:136
	v_lshlrev_b64 v[38:39], 3, v[34:35]
	s_and_not1_b32 vcc_lo, exec_lo, s36
	s_cbranch_vccnz .LBB133_163
; %bb.162:
	s_delay_alu instid0(VALU_DEP_1) | instskip(NEXT) | instid1(VALU_DEP_2)
	v_add_co_u32 v40, vcc_lo, v68, v38
	v_add_co_ci_u32_e32 v41, vcc_lo, v69, v39, vcc_lo
	flat_load_b64 v[40:41], v[40:41]
	s_waitcnt vmcnt(0) lgkmcnt(0)
	v_mul_f64 v[40:41], v[40:41], s[38:39]
	s_branch .LBB133_164
.LBB133_163:
	v_mov_b32_e32 v40, 0
	v_mov_b32_e32 v41, 0
.LBB133_164:
	s_waitcnt vmcnt(0)
	s_delay_alu instid0(VALU_DEP_1)
	v_add_f64 v[36:37], v[36:37], v[40:41]
	v_add_co_u32 v38, vcc_lo, v72, v38
	v_add_co_ci_u32_e32 v39, vcc_lo, v73, v39, vcc_lo
	global_store_b64 v[38:39], v[36:37], off
.LBB133_165:
	s_or_b32 exec_lo, exec_lo, s19
	v_add_nc_u32_e32 v36, 0x48, v0
	s_delay_alu instid0(VALU_DEP_1) | instskip(SKIP_1) | instid1(VALU_DEP_2)
	v_cmp_gt_i32_e64 s19, s40, v36
	v_ashrrev_i32_e32 v37, 31, v36
	s_and_b32 s21, s11, s19
	s_delay_alu instid0(SALU_CYCLE_1)
	s_and_saveexec_b32 s20, s21
	s_cbranch_execz .LBB133_170
; %bb.166:
	scratch_load_b64 v[38:39], off, off offset:144
	v_lshlrev_b64 v[40:41], 3, v[36:37]
	s_and_not1_b32 vcc_lo, exec_lo, s36
	s_cbranch_vccnz .LBB133_168
; %bb.167:
	s_delay_alu instid0(VALU_DEP_1) | instskip(NEXT) | instid1(VALU_DEP_2)
	v_add_co_u32 v42, vcc_lo, v68, v40
	v_add_co_ci_u32_e32 v43, vcc_lo, v69, v41, vcc_lo
	flat_load_b64 v[42:43], v[42:43]
	s_waitcnt vmcnt(0) lgkmcnt(0)
	v_mul_f64 v[42:43], v[42:43], s[38:39]
	s_branch .LBB133_169
.LBB133_168:
	v_mov_b32_e32 v42, 0
	v_mov_b32_e32 v43, 0
.LBB133_169:
	s_waitcnt vmcnt(0)
	s_delay_alu instid0(VALU_DEP_1)
	v_add_f64 v[38:39], v[38:39], v[42:43]
	v_add_co_u32 v40, vcc_lo, v72, v40
	v_add_co_ci_u32_e32 v41, vcc_lo, v73, v41, vcc_lo
	global_store_b64 v[40:41], v[38:39], off
.LBB133_170:
	s_or_b32 exec_lo, exec_lo, s20
	v_add_nc_u32_e32 v38, 0x4c, v0
	s_delay_alu instid0(VALU_DEP_1) | instskip(SKIP_1) | instid1(VALU_DEP_2)
	v_cmp_gt_i32_e64 s20, s40, v38
	v_ashrrev_i32_e32 v39, 31, v38
	s_and_b32 s22, s11, s20
	s_delay_alu instid0(SALU_CYCLE_1)
	s_and_saveexec_b32 s21, s22
	s_cbranch_execz .LBB133_175
; %bb.171:
	scratch_load_b64 v[40:41], off, off offset:152
	v_lshlrev_b64 v[42:43], 3, v[38:39]
	s_and_not1_b32 vcc_lo, exec_lo, s36
	s_cbranch_vccnz .LBB133_173
; %bb.172:
	s_delay_alu instid0(VALU_DEP_1) | instskip(NEXT) | instid1(VALU_DEP_2)
	v_add_co_u32 v44, vcc_lo, v68, v42
	v_add_co_ci_u32_e32 v45, vcc_lo, v69, v43, vcc_lo
	flat_load_b64 v[44:45], v[44:45]
	s_waitcnt vmcnt(0) lgkmcnt(0)
	v_mul_f64 v[44:45], v[44:45], s[38:39]
	s_branch .LBB133_174
.LBB133_173:
	v_mov_b32_e32 v44, 0
	v_mov_b32_e32 v45, 0
.LBB133_174:
	s_waitcnt vmcnt(0)
	s_delay_alu instid0(VALU_DEP_1)
	v_add_f64 v[40:41], v[40:41], v[44:45]
	v_add_co_u32 v42, vcc_lo, v72, v42
	v_add_co_ci_u32_e32 v43, vcc_lo, v73, v43, vcc_lo
	global_store_b64 v[42:43], v[40:41], off
.LBB133_175:
	s_or_b32 exec_lo, exec_lo, s21
	v_add_nc_u32_e32 v40, 0x50, v0
	s_delay_alu instid0(VALU_DEP_1) | instskip(SKIP_1) | instid1(VALU_DEP_2)
	v_cmp_gt_i32_e64 s21, s40, v40
	v_ashrrev_i32_e32 v41, 31, v40
	s_and_b32 s23, s11, s21
	s_delay_alu instid0(SALU_CYCLE_1)
	s_and_saveexec_b32 s22, s23
	s_cbranch_execz .LBB133_180
; %bb.176:
	scratch_load_b64 v[42:43], off, off offset:160
	v_lshlrev_b64 v[44:45], 3, v[40:41]
	s_and_not1_b32 vcc_lo, exec_lo, s36
	s_cbranch_vccnz .LBB133_178
; %bb.177:
	s_delay_alu instid0(VALU_DEP_1) | instskip(NEXT) | instid1(VALU_DEP_2)
	v_add_co_u32 v46, vcc_lo, v68, v44
	v_add_co_ci_u32_e32 v47, vcc_lo, v69, v45, vcc_lo
	flat_load_b64 v[46:47], v[46:47]
	s_waitcnt vmcnt(0) lgkmcnt(0)
	v_mul_f64 v[46:47], v[46:47], s[38:39]
	s_branch .LBB133_179
.LBB133_178:
	v_mov_b32_e32 v46, 0
	v_mov_b32_e32 v47, 0
.LBB133_179:
	s_waitcnt vmcnt(0)
	s_delay_alu instid0(VALU_DEP_1)
	v_add_f64 v[42:43], v[42:43], v[46:47]
	v_add_co_u32 v44, vcc_lo, v72, v44
	v_add_co_ci_u32_e32 v45, vcc_lo, v73, v45, vcc_lo
	global_store_b64 v[44:45], v[42:43], off
.LBB133_180:
	s_or_b32 exec_lo, exec_lo, s22
	v_add_nc_u32_e32 v42, 0x54, v0
	s_delay_alu instid0(VALU_DEP_1) | instskip(SKIP_1) | instid1(VALU_DEP_2)
	v_cmp_gt_i32_e64 s22, s40, v42
	v_ashrrev_i32_e32 v43, 31, v42
	s_and_b32 s24, s11, s22
	s_delay_alu instid0(SALU_CYCLE_1)
	s_and_saveexec_b32 s23, s24
	s_cbranch_execz .LBB133_185
; %bb.181:
	scratch_load_b64 v[44:45], off, off offset:168
	v_lshlrev_b64 v[46:47], 3, v[42:43]
	s_and_not1_b32 vcc_lo, exec_lo, s36
	s_cbranch_vccnz .LBB133_183
; %bb.182:
	s_delay_alu instid0(VALU_DEP_1) | instskip(NEXT) | instid1(VALU_DEP_2)
	v_add_co_u32 v48, vcc_lo, v68, v46
	v_add_co_ci_u32_e32 v49, vcc_lo, v69, v47, vcc_lo
	flat_load_b64 v[48:49], v[48:49]
	s_waitcnt vmcnt(0) lgkmcnt(0)
	v_mul_f64 v[48:49], v[48:49], s[38:39]
	s_branch .LBB133_184
.LBB133_183:
	v_mov_b32_e32 v48, 0
	v_mov_b32_e32 v49, 0
.LBB133_184:
	s_waitcnt vmcnt(0)
	s_delay_alu instid0(VALU_DEP_1)
	v_add_f64 v[44:45], v[44:45], v[48:49]
	v_add_co_u32 v46, vcc_lo, v72, v46
	v_add_co_ci_u32_e32 v47, vcc_lo, v73, v47, vcc_lo
	global_store_b64 v[46:47], v[44:45], off
.LBB133_185:
	s_or_b32 exec_lo, exec_lo, s23
	v_add_nc_u32_e32 v44, 0x58, v0
	s_delay_alu instid0(VALU_DEP_1) | instskip(SKIP_1) | instid1(VALU_DEP_2)
	v_cmp_gt_i32_e64 s23, s40, v44
	v_ashrrev_i32_e32 v45, 31, v44
	s_and_b32 s25, s11, s23
	s_delay_alu instid0(SALU_CYCLE_1)
	s_and_saveexec_b32 s24, s25
	s_cbranch_execz .LBB133_190
; %bb.186:
	scratch_load_b64 v[46:47], off, off offset:176
	v_lshlrev_b64 v[48:49], 3, v[44:45]
	s_and_not1_b32 vcc_lo, exec_lo, s36
	s_cbranch_vccnz .LBB133_188
; %bb.187:
	s_delay_alu instid0(VALU_DEP_1) | instskip(NEXT) | instid1(VALU_DEP_2)
	v_add_co_u32 v50, vcc_lo, v68, v48
	v_add_co_ci_u32_e32 v51, vcc_lo, v69, v49, vcc_lo
	flat_load_b64 v[50:51], v[50:51]
	s_waitcnt vmcnt(0) lgkmcnt(0)
	v_mul_f64 v[50:51], v[50:51], s[38:39]
	s_branch .LBB133_189
.LBB133_188:
	v_mov_b32_e32 v50, 0
	v_mov_b32_e32 v51, 0
.LBB133_189:
	s_waitcnt vmcnt(0)
	s_delay_alu instid0(VALU_DEP_1)
	v_add_f64 v[46:47], v[46:47], v[50:51]
	v_add_co_u32 v48, vcc_lo, v72, v48
	v_add_co_ci_u32_e32 v49, vcc_lo, v73, v49, vcc_lo
	global_store_b64 v[48:49], v[46:47], off
.LBB133_190:
	s_or_b32 exec_lo, exec_lo, s24
	v_add_nc_u32_e32 v46, 0x5c, v0
	s_delay_alu instid0(VALU_DEP_1) | instskip(SKIP_1) | instid1(VALU_DEP_2)
	v_cmp_gt_i32_e64 s24, s40, v46
	v_ashrrev_i32_e32 v47, 31, v46
	s_and_b32 s26, s11, s24
	s_delay_alu instid0(SALU_CYCLE_1)
	s_and_saveexec_b32 s25, s26
	s_cbranch_execz .LBB133_195
; %bb.191:
	scratch_load_b64 v[48:49], off, off offset:184
	v_lshlrev_b64 v[50:51], 3, v[46:47]
	s_and_not1_b32 vcc_lo, exec_lo, s36
	s_cbranch_vccnz .LBB133_193
; %bb.192:
	s_delay_alu instid0(VALU_DEP_1) | instskip(NEXT) | instid1(VALU_DEP_2)
	v_add_co_u32 v52, vcc_lo, v68, v50
	v_add_co_ci_u32_e32 v53, vcc_lo, v69, v51, vcc_lo
	flat_load_b64 v[52:53], v[52:53]
	s_waitcnt vmcnt(0) lgkmcnt(0)
	v_mul_f64 v[52:53], v[52:53], s[38:39]
	s_branch .LBB133_194
.LBB133_193:
	v_mov_b32_e32 v52, 0
	v_mov_b32_e32 v53, 0
.LBB133_194:
	s_waitcnt vmcnt(0)
	s_delay_alu instid0(VALU_DEP_1)
	v_add_f64 v[48:49], v[48:49], v[52:53]
	v_add_co_u32 v50, vcc_lo, v72, v50
	v_add_co_ci_u32_e32 v51, vcc_lo, v73, v51, vcc_lo
	global_store_b64 v[50:51], v[48:49], off
.LBB133_195:
	s_or_b32 exec_lo, exec_lo, s25
	v_add_nc_u32_e32 v48, 0x60, v0
	s_delay_alu instid0(VALU_DEP_1) | instskip(SKIP_1) | instid1(VALU_DEP_2)
	v_cmp_gt_i32_e64 s25, s40, v48
	v_ashrrev_i32_e32 v49, 31, v48
	s_and_b32 s27, s11, s25
	s_delay_alu instid0(SALU_CYCLE_1)
	s_and_saveexec_b32 s26, s27
	s_cbranch_execz .LBB133_200
; %bb.196:
	scratch_load_b64 v[50:51], off, off offset:192
	v_lshlrev_b64 v[52:53], 3, v[48:49]
	s_and_not1_b32 vcc_lo, exec_lo, s36
	s_cbranch_vccnz .LBB133_198
; %bb.197:
	s_delay_alu instid0(VALU_DEP_1) | instskip(NEXT) | instid1(VALU_DEP_2)
	v_add_co_u32 v54, vcc_lo, v68, v52
	v_add_co_ci_u32_e32 v55, vcc_lo, v69, v53, vcc_lo
	flat_load_b64 v[54:55], v[54:55]
	s_waitcnt vmcnt(0) lgkmcnt(0)
	v_mul_f64 v[54:55], v[54:55], s[38:39]
	s_branch .LBB133_199
.LBB133_198:
	v_mov_b32_e32 v54, 0
	v_mov_b32_e32 v55, 0
.LBB133_199:
	s_waitcnt vmcnt(0)
	s_delay_alu instid0(VALU_DEP_1)
	v_add_f64 v[50:51], v[50:51], v[54:55]
	v_add_co_u32 v52, vcc_lo, v72, v52
	v_add_co_ci_u32_e32 v53, vcc_lo, v73, v53, vcc_lo
	global_store_b64 v[52:53], v[50:51], off
.LBB133_200:
	s_or_b32 exec_lo, exec_lo, s26
	v_add_nc_u32_e32 v50, 0x64, v0
	s_delay_alu instid0(VALU_DEP_1) | instskip(SKIP_1) | instid1(VALU_DEP_2)
	v_cmp_gt_i32_e64 s26, s40, v50
	v_ashrrev_i32_e32 v51, 31, v50
	s_and_b32 s28, s11, s26
	s_delay_alu instid0(SALU_CYCLE_1)
	s_and_saveexec_b32 s27, s28
	s_cbranch_execz .LBB133_205
; %bb.201:
	scratch_load_b64 v[52:53], off, off offset:200
	v_lshlrev_b64 v[54:55], 3, v[50:51]
	s_and_not1_b32 vcc_lo, exec_lo, s36
	s_cbranch_vccnz .LBB133_203
; %bb.202:
	s_delay_alu instid0(VALU_DEP_1) | instskip(NEXT) | instid1(VALU_DEP_2)
	v_add_co_u32 v56, vcc_lo, v68, v54
	v_add_co_ci_u32_e32 v57, vcc_lo, v69, v55, vcc_lo
	flat_load_b64 v[56:57], v[56:57]
	s_waitcnt vmcnt(0) lgkmcnt(0)
	v_mul_f64 v[56:57], v[56:57], s[38:39]
	s_branch .LBB133_204
.LBB133_203:
	v_mov_b32_e32 v56, 0
	v_mov_b32_e32 v57, 0
.LBB133_204:
	s_waitcnt vmcnt(0)
	s_delay_alu instid0(VALU_DEP_1)
	v_add_f64 v[52:53], v[52:53], v[56:57]
	v_add_co_u32 v54, vcc_lo, v72, v54
	v_add_co_ci_u32_e32 v55, vcc_lo, v73, v55, vcc_lo
	global_store_b64 v[54:55], v[52:53], off
.LBB133_205:
	s_or_b32 exec_lo, exec_lo, s27
	v_add_nc_u32_e32 v52, 0x68, v0
	s_delay_alu instid0(VALU_DEP_1) | instskip(SKIP_1) | instid1(VALU_DEP_2)
	v_cmp_gt_i32_e64 s27, s40, v52
	v_ashrrev_i32_e32 v53, 31, v52
	s_and_b32 s29, s11, s27
	s_delay_alu instid0(SALU_CYCLE_1)
	s_and_saveexec_b32 s28, s29
	s_cbranch_execz .LBB133_210
; %bb.206:
	scratch_load_b64 v[54:55], off, off offset:208
	v_lshlrev_b64 v[56:57], 3, v[52:53]
	s_and_not1_b32 vcc_lo, exec_lo, s36
	s_cbranch_vccnz .LBB133_208
; %bb.207:
	s_delay_alu instid0(VALU_DEP_1) | instskip(NEXT) | instid1(VALU_DEP_2)
	v_add_co_u32 v58, vcc_lo, v68, v56
	v_add_co_ci_u32_e32 v59, vcc_lo, v69, v57, vcc_lo
	flat_load_b64 v[58:59], v[58:59]
	s_waitcnt vmcnt(0) lgkmcnt(0)
	v_mul_f64 v[58:59], v[58:59], s[38:39]
	s_branch .LBB133_209
.LBB133_208:
	v_mov_b32_e32 v58, 0
	v_mov_b32_e32 v59, 0
.LBB133_209:
	s_waitcnt vmcnt(0)
	s_delay_alu instid0(VALU_DEP_1)
	v_add_f64 v[54:55], v[54:55], v[58:59]
	v_add_co_u32 v56, vcc_lo, v72, v56
	v_add_co_ci_u32_e32 v57, vcc_lo, v73, v57, vcc_lo
	global_store_b64 v[56:57], v[54:55], off
.LBB133_210:
	s_or_b32 exec_lo, exec_lo, s28
	v_add_nc_u32_e32 v54, 0x6c, v0
	s_delay_alu instid0(VALU_DEP_1) | instskip(SKIP_1) | instid1(VALU_DEP_2)
	v_cmp_gt_i32_e64 s28, s40, v54
	v_ashrrev_i32_e32 v55, 31, v54
	s_and_b32 s30, s11, s28
	s_delay_alu instid0(SALU_CYCLE_1)
	s_and_saveexec_b32 s29, s30
	s_cbranch_execz .LBB133_215
; %bb.211:
	scratch_load_b64 v[56:57], off, off offset:216
	v_lshlrev_b64 v[58:59], 3, v[54:55]
	s_and_not1_b32 vcc_lo, exec_lo, s36
	s_cbranch_vccnz .LBB133_213
; %bb.212:
	s_delay_alu instid0(VALU_DEP_1) | instskip(NEXT) | instid1(VALU_DEP_2)
	v_add_co_u32 v60, vcc_lo, v68, v58
	v_add_co_ci_u32_e32 v61, vcc_lo, v69, v59, vcc_lo
	flat_load_b64 v[60:61], v[60:61]
	s_waitcnt vmcnt(0) lgkmcnt(0)
	v_mul_f64 v[60:61], v[60:61], s[38:39]
	s_branch .LBB133_214
.LBB133_213:
	v_mov_b32_e32 v60, 0
	v_mov_b32_e32 v61, 0
.LBB133_214:
	s_waitcnt vmcnt(0)
	s_delay_alu instid0(VALU_DEP_1)
	v_add_f64 v[56:57], v[56:57], v[60:61]
	v_add_co_u32 v58, vcc_lo, v72, v58
	v_add_co_ci_u32_e32 v59, vcc_lo, v73, v59, vcc_lo
	global_store_b64 v[58:59], v[56:57], off
.LBB133_215:
	s_or_b32 exec_lo, exec_lo, s29
	v_add_nc_u32_e32 v56, 0x70, v0
	s_delay_alu instid0(VALU_DEP_1) | instskip(SKIP_1) | instid1(VALU_DEP_2)
	v_cmp_gt_i32_e64 s29, s40, v56
	v_ashrrev_i32_e32 v57, 31, v56
	s_and_b32 s31, s11, s29
	s_delay_alu instid0(SALU_CYCLE_1)
	s_and_saveexec_b32 s30, s31
	s_cbranch_execz .LBB133_220
; %bb.216:
	scratch_load_b64 v[58:59], off, off offset:224
	v_lshlrev_b64 v[60:61], 3, v[56:57]
	s_and_not1_b32 vcc_lo, exec_lo, s36
	s_cbranch_vccnz .LBB133_218
; %bb.217:
	s_delay_alu instid0(VALU_DEP_1) | instskip(NEXT) | instid1(VALU_DEP_2)
	v_add_co_u32 v62, vcc_lo, v68, v60
	v_add_co_ci_u32_e32 v63, vcc_lo, v69, v61, vcc_lo
	flat_load_b64 v[62:63], v[62:63]
	s_waitcnt vmcnt(0) lgkmcnt(0)
	v_mul_f64 v[62:63], v[62:63], s[38:39]
	s_branch .LBB133_219
.LBB133_218:
	v_mov_b32_e32 v62, 0
	v_mov_b32_e32 v63, 0
.LBB133_219:
	s_waitcnt vmcnt(0)
	s_delay_alu instid0(VALU_DEP_1)
	v_add_f64 v[58:59], v[58:59], v[62:63]
	v_add_co_u32 v60, vcc_lo, v72, v60
	v_add_co_ci_u32_e32 v61, vcc_lo, v73, v61, vcc_lo
	global_store_b64 v[60:61], v[58:59], off
.LBB133_220:
	s_or_b32 exec_lo, exec_lo, s30
	v_add_nc_u32_e32 v58, 0x74, v0
	s_delay_alu instid0(VALU_DEP_1) | instskip(SKIP_1) | instid1(VALU_DEP_2)
	v_cmp_gt_i32_e64 s30, s40, v58
	v_ashrrev_i32_e32 v59, 31, v58
	s_and_b32 s33, s11, s30
	s_delay_alu instid0(SALU_CYCLE_1)
	s_and_saveexec_b32 s31, s33
	s_cbranch_execz .LBB133_225
; %bb.221:
	scratch_load_b64 v[60:61], off, off offset:232
	v_lshlrev_b64 v[62:63], 3, v[58:59]
	s_and_not1_b32 vcc_lo, exec_lo, s36
	s_cbranch_vccnz .LBB133_223
; %bb.222:
	s_delay_alu instid0(VALU_DEP_1) | instskip(NEXT) | instid1(VALU_DEP_2)
	v_add_co_u32 v64, vcc_lo, v68, v62
	v_add_co_ci_u32_e32 v65, vcc_lo, v69, v63, vcc_lo
	flat_load_b64 v[64:65], v[64:65]
	s_waitcnt vmcnt(0) lgkmcnt(0)
	v_mul_f64 v[64:65], v[64:65], s[38:39]
	s_branch .LBB133_224
.LBB133_223:
	v_mov_b32_e32 v64, 0
	v_mov_b32_e32 v65, 0
.LBB133_224:
	s_waitcnt vmcnt(0)
	s_delay_alu instid0(VALU_DEP_1)
	v_add_f64 v[60:61], v[60:61], v[64:65]
	v_add_co_u32 v62, vcc_lo, v72, v62
	v_add_co_ci_u32_e32 v63, vcc_lo, v73, v63, vcc_lo
	global_store_b64 v[62:63], v[60:61], off
.LBB133_225:
	s_or_b32 exec_lo, exec_lo, s31
	v_add_nc_u32_e32 v60, 0x78, v0
	s_delay_alu instid0(VALU_DEP_1) | instskip(SKIP_1) | instid1(VALU_DEP_2)
	v_cmp_gt_i32_e64 s31, s40, v60
	v_ashrrev_i32_e32 v61, 31, v60
	s_and_b32 s45, s11, s31
	s_delay_alu instid0(SALU_CYCLE_1)
	s_and_saveexec_b32 s33, s45
	s_cbranch_execz .LBB133_230
; %bb.226:
	scratch_load_b64 v[62:63], off, off offset:240
	v_lshlrev_b64 v[64:65], 3, v[60:61]
	s_and_not1_b32 vcc_lo, exec_lo, s36
	s_cbranch_vccnz .LBB133_228
; %bb.227:
	s_delay_alu instid0(VALU_DEP_1) | instskip(NEXT) | instid1(VALU_DEP_2)
	v_add_co_u32 v66, vcc_lo, v68, v64
	v_add_co_ci_u32_e32 v67, vcc_lo, v69, v65, vcc_lo
	flat_load_b64 v[66:67], v[66:67]
	s_waitcnt vmcnt(0) lgkmcnt(0)
	v_mul_f64 v[66:67], v[66:67], s[38:39]
	s_branch .LBB133_229
.LBB133_228:
	v_mov_b32_e32 v66, 0
	v_mov_b32_e32 v67, 0
.LBB133_229:
	s_waitcnt vmcnt(0)
	s_delay_alu instid0(VALU_DEP_1)
	v_add_f64 v[62:63], v[62:63], v[66:67]
	v_add_co_u32 v64, vcc_lo, v72, v64
	v_add_co_ci_u32_e32 v65, vcc_lo, v73, v65, vcc_lo
	global_store_b64 v[64:65], v[62:63], off
.LBB133_230:
	s_or_b32 exec_lo, exec_lo, s33
	v_add_nc_u32_e32 v62, 0x7c, v0
	s_delay_alu instid0(VALU_DEP_1) | instskip(SKIP_1) | instid1(VALU_DEP_2)
	v_cmp_gt_i32_e64 s33, s40, v62
	v_ashrrev_i32_e32 v63, 31, v62
	s_and_b32 s40, s11, s33
	s_delay_alu instid0(SALU_CYCLE_1)
	s_and_saveexec_b32 s11, s40
	s_cbranch_execz .LBB133_235
; %bb.231:
	scratch_load_b64 v[64:65], off, off offset:248
	v_lshlrev_b64 v[66:67], 3, v[62:63]
	s_and_not1_b32 vcc_lo, exec_lo, s36
	s_cbranch_vccnz .LBB133_233
; %bb.232:
	s_delay_alu instid0(VALU_DEP_1) | instskip(NEXT) | instid1(VALU_DEP_2)
	v_add_co_u32 v68, vcc_lo, v68, v66
	v_add_co_ci_u32_e32 v69, vcc_lo, v69, v67, vcc_lo
	flat_load_b64 v[68:69], v[68:69]
	s_waitcnt vmcnt(0) lgkmcnt(0)
	v_mul_f64 v[68:69], v[68:69], s[38:39]
	s_branch .LBB133_234
.LBB133_233:
	v_mov_b32_e32 v68, 0
	v_mov_b32_e32 v69, 0
.LBB133_234:
	s_waitcnt vmcnt(0)
	s_delay_alu instid0(VALU_DEP_1)
	v_add_f64 v[64:65], v[64:65], v[68:69]
	v_add_co_u32 v66, vcc_lo, v72, v66
	v_add_co_ci_u32_e32 v67, vcc_lo, v73, v67, vcc_lo
	global_store_b64 v[66:67], v[64:65], off
.LBB133_235:
	s_or_b32 exec_lo, exec_lo, s11
	v_add_nc_u32_e32 v68, 64, v71
	s_delay_alu instid0(VALU_DEP_1) | instskip(SKIP_2) | instid1(VALU_DEP_3)
	v_mad_i64_i32 v[64:65], null, v68, s42, 0
	v_mad_i64_i32 v[66:67], null, v68, s37, 0
	v_cmp_gt_i32_e64 s11, s41, v68
	v_lshlrev_b64 v[64:65], 3, v[64:65]
	s_delay_alu instid0(VALU_DEP_2) | instskip(NEXT) | instid1(VALU_DEP_3)
	s_and_b32 s0, s11, s0
	v_lshlrev_b64 v[66:67], 3, v[66:67]
	s_delay_alu instid0(VALU_DEP_2) | instskip(NEXT) | instid1(VALU_DEP_3)
	v_add_co_u32 v71, vcc_lo, s34, v64
	v_add_co_ci_u32_e32 v72, vcc_lo, s35, v65, vcc_lo
	s_delay_alu instid0(VALU_DEP_3) | instskip(NEXT) | instid1(VALU_DEP_4)
	v_add_co_u32 v68, vcc_lo, s43, v66
	v_add_co_ci_u32_e32 v69, vcc_lo, s44, v67, vcc_lo
	s_and_saveexec_b32 s34, s0
	s_delay_alu instid0(SALU_CYCLE_1)
	s_xor_b32 s0, exec_lo, s34
	s_cbranch_execnz .LBB133_268
; %bb.236:
	s_or_b32 exec_lo, exec_lo, s0
	s_and_b32 s1, s11, s1
	s_delay_alu instid0(SALU_CYCLE_1)
	s_and_saveexec_b32 s0, s1
	s_cbranch_execnz .LBB133_272
.LBB133_237:
	s_or_b32 exec_lo, exec_lo, s0
	s_and_b32 s1, s11, s2
	s_delay_alu instid0(SALU_CYCLE_1)
	s_and_saveexec_b32 s0, s1
	s_cbranch_execnz .LBB133_276
.LBB133_238:
	s_or_b32 exec_lo, exec_lo, s0
	s_and_b32 s1, s11, s3
	s_delay_alu instid0(SALU_CYCLE_1)
	s_and_saveexec_b32 s0, s1
	s_cbranch_execnz .LBB133_280
.LBB133_239:
	s_or_b32 exec_lo, exec_lo, s0
	s_and_b32 s1, s11, s4
	s_delay_alu instid0(SALU_CYCLE_1)
	s_and_saveexec_b32 s0, s1
	s_cbranch_execnz .LBB133_284
.LBB133_240:
	s_or_b32 exec_lo, exec_lo, s0
	s_and_b32 s1, s11, s5
	s_delay_alu instid0(SALU_CYCLE_1)
	s_and_saveexec_b32 s0, s1
	s_cbranch_execnz .LBB133_288
.LBB133_241:
	s_or_b32 exec_lo, exec_lo, s0
	s_and_b32 s1, s11, s6
	s_delay_alu instid0(SALU_CYCLE_1)
	s_and_saveexec_b32 s0, s1
	s_cbranch_execnz .LBB133_292
.LBB133_242:
	s_or_b32 exec_lo, exec_lo, s0
	s_and_b32 s1, s11, s7
	s_delay_alu instid0(SALU_CYCLE_1)
	s_and_saveexec_b32 s0, s1
	s_cbranch_execnz .LBB133_296
.LBB133_243:
	s_or_b32 exec_lo, exec_lo, s0
	s_and_b32 s1, s11, s8
	s_delay_alu instid0(SALU_CYCLE_1)
	s_and_saveexec_b32 s0, s1
	s_cbranch_execnz .LBB133_300
.LBB133_244:
	s_or_b32 exec_lo, exec_lo, s0
	s_and_b32 s1, s11, s9
	s_delay_alu instid0(SALU_CYCLE_1)
	s_and_saveexec_b32 s0, s1
	s_cbranch_execnz .LBB133_304
.LBB133_245:
	s_or_b32 exec_lo, exec_lo, s0
	s_and_b32 s1, s11, s10
	s_delay_alu instid0(SALU_CYCLE_1)
	s_and_saveexec_b32 s0, s1
	s_cbranch_execnz .LBB133_308
.LBB133_246:
	s_or_b32 exec_lo, exec_lo, s0
	s_and_b32 s1, s11, s12
	s_delay_alu instid0(SALU_CYCLE_1)
	s_and_saveexec_b32 s0, s1
	s_cbranch_execnz .LBB133_312
.LBB133_247:
	s_or_b32 exec_lo, exec_lo, s0
	s_and_b32 s1, s11, s13
	s_delay_alu instid0(SALU_CYCLE_1)
	s_and_saveexec_b32 s0, s1
	s_cbranch_execnz .LBB133_316
.LBB133_248:
	s_or_b32 exec_lo, exec_lo, s0
	s_and_b32 s1, s11, s14
	s_delay_alu instid0(SALU_CYCLE_1)
	s_and_saveexec_b32 s0, s1
	s_cbranch_execnz .LBB133_320
.LBB133_249:
	s_or_b32 exec_lo, exec_lo, s0
	s_and_b32 s1, s11, s15
	s_delay_alu instid0(SALU_CYCLE_1)
	s_and_saveexec_b32 s0, s1
	s_cbranch_execnz .LBB133_324
.LBB133_250:
	s_or_b32 exec_lo, exec_lo, s0
	s_and_b32 s1, s11, s16
	s_delay_alu instid0(SALU_CYCLE_1)
	s_and_saveexec_b32 s0, s1
	s_cbranch_execnz .LBB133_328
.LBB133_251:
	s_or_b32 exec_lo, exec_lo, s0
	s_and_b32 s1, s11, s17
	s_delay_alu instid0(SALU_CYCLE_1)
	s_and_saveexec_b32 s0, s1
	s_cbranch_execnz .LBB133_332
.LBB133_252:
	s_or_b32 exec_lo, exec_lo, s0
	s_and_b32 s1, s11, s18
	s_delay_alu instid0(SALU_CYCLE_1)
	s_and_saveexec_b32 s0, s1
	s_cbranch_execnz .LBB133_336
.LBB133_253:
	s_or_b32 exec_lo, exec_lo, s0
	s_and_b32 s1, s11, s19
	s_delay_alu instid0(SALU_CYCLE_1)
	s_and_saveexec_b32 s0, s1
	s_cbranch_execnz .LBB133_340
.LBB133_254:
	s_or_b32 exec_lo, exec_lo, s0
	s_and_b32 s1, s11, s20
	s_delay_alu instid0(SALU_CYCLE_1)
	s_and_saveexec_b32 s0, s1
	s_cbranch_execnz .LBB133_344
.LBB133_255:
	s_or_b32 exec_lo, exec_lo, s0
	s_and_b32 s1, s11, s21
	s_delay_alu instid0(SALU_CYCLE_1)
	s_and_saveexec_b32 s0, s1
	s_cbranch_execnz .LBB133_348
.LBB133_256:
	s_or_b32 exec_lo, exec_lo, s0
	s_and_b32 s1, s11, s22
	s_delay_alu instid0(SALU_CYCLE_1)
	s_and_saveexec_b32 s0, s1
	s_cbranch_execnz .LBB133_352
.LBB133_257:
	s_or_b32 exec_lo, exec_lo, s0
	s_and_b32 s1, s11, s23
	s_delay_alu instid0(SALU_CYCLE_1)
	s_and_saveexec_b32 s0, s1
	s_cbranch_execnz .LBB133_356
.LBB133_258:
	s_or_b32 exec_lo, exec_lo, s0
	s_and_b32 s1, s11, s24
	s_delay_alu instid0(SALU_CYCLE_1)
	s_and_saveexec_b32 s0, s1
	s_cbranch_execnz .LBB133_360
.LBB133_259:
	s_or_b32 exec_lo, exec_lo, s0
	s_and_b32 s1, s11, s25
	s_delay_alu instid0(SALU_CYCLE_1)
	s_and_saveexec_b32 s0, s1
	s_cbranch_execnz .LBB133_364
.LBB133_260:
	s_or_b32 exec_lo, exec_lo, s0
	s_and_b32 s1, s11, s26
	s_delay_alu instid0(SALU_CYCLE_1)
	s_and_saveexec_b32 s0, s1
	s_cbranch_execnz .LBB133_368
.LBB133_261:
	s_or_b32 exec_lo, exec_lo, s0
	s_and_b32 s1, s11, s27
	s_delay_alu instid0(SALU_CYCLE_1)
	s_and_saveexec_b32 s0, s1
	s_cbranch_execnz .LBB133_372
.LBB133_262:
	s_or_b32 exec_lo, exec_lo, s0
	s_and_b32 s1, s11, s28
	s_delay_alu instid0(SALU_CYCLE_1)
	s_and_saveexec_b32 s0, s1
	s_cbranch_execnz .LBB133_376
.LBB133_263:
	s_or_b32 exec_lo, exec_lo, s0
	s_and_b32 s1, s11, s29
	s_delay_alu instid0(SALU_CYCLE_1)
	s_and_saveexec_b32 s0, s1
	s_cbranch_execnz .LBB133_380
.LBB133_264:
	s_or_b32 exec_lo, exec_lo, s0
	s_and_b32 s1, s11, s30
	s_delay_alu instid0(SALU_CYCLE_1)
	s_and_saveexec_b32 s0, s1
	s_cbranch_execnz .LBB133_384
.LBB133_265:
	s_or_b32 exec_lo, exec_lo, s0
	s_and_b32 s1, s11, s31
	s_delay_alu instid0(SALU_CYCLE_1)
	s_and_saveexec_b32 s0, s1
	s_cbranch_execnz .LBB133_388
.LBB133_266:
	s_or_b32 exec_lo, exec_lo, s0
	s_and_b32 s0, s11, s33
	s_delay_alu instid0(SALU_CYCLE_1)
	s_and_saveexec_b32 s1, s0
	s_cbranch_execnz .LBB133_392
.LBB133_267:
	s_endpgm
.LBB133_268:
	scratch_load_b64 v[64:65], off, off offset:256
	v_lshlrev_b64 v[0:1], 3, v[0:1]
	s_and_not1_b32 vcc_lo, exec_lo, s36
	s_cbranch_vccnz .LBB133_270
; %bb.269:
	s_delay_alu instid0(VALU_DEP_1) | instskip(NEXT) | instid1(VALU_DEP_2)
	v_add_co_u32 v66, vcc_lo, v71, v0
	v_add_co_ci_u32_e32 v67, vcc_lo, v72, v1, vcc_lo
	flat_load_b64 v[66:67], v[66:67]
	s_waitcnt vmcnt(0) lgkmcnt(0)
	v_mul_f64 v[66:67], v[66:67], s[38:39]
	s_branch .LBB133_271
.LBB133_270:
	v_mov_b32_e32 v66, 0
	v_mov_b32_e32 v67, 0
.LBB133_271:
	s_waitcnt vmcnt(0)
	s_delay_alu instid0(VALU_DEP_1)
	v_add_f64 v[64:65], v[64:65], v[66:67]
	v_add_co_u32 v0, vcc_lo, v68, v0
	v_add_co_ci_u32_e32 v1, vcc_lo, v69, v1, vcc_lo
	global_store_b64 v[0:1], v[64:65], off
	s_or_b32 exec_lo, exec_lo, s0
	s_and_b32 s1, s11, s1
	s_delay_alu instid0(SALU_CYCLE_1)
	s_and_saveexec_b32 s0, s1
	s_cbranch_execz .LBB133_237
.LBB133_272:
	scratch_load_b64 v[0:1], off, off offset:264
	v_cmp_ne_u32_e32 vcc_lo, 1, v70
	v_lshlrev_b64 v[2:3], 3, v[2:3]
	s_cbranch_vccnz .LBB133_274
; %bb.273:
	s_delay_alu instid0(VALU_DEP_1) | instskip(NEXT) | instid1(VALU_DEP_2)
	v_add_co_u32 v64, vcc_lo, v71, v2
	v_add_co_ci_u32_e32 v65, vcc_lo, v72, v3, vcc_lo
	flat_load_b64 v[64:65], v[64:65]
	s_waitcnt vmcnt(0) lgkmcnt(0)
	v_mul_f64 v[64:65], v[64:65], s[38:39]
	s_branch .LBB133_275
.LBB133_274:
	v_mov_b32_e32 v64, 0
	v_mov_b32_e32 v65, 0
.LBB133_275:
	s_waitcnt vmcnt(0)
	s_delay_alu instid0(VALU_DEP_1)
	v_add_f64 v[0:1], v[0:1], v[64:65]
	v_add_co_u32 v2, vcc_lo, v68, v2
	v_add_co_ci_u32_e32 v3, vcc_lo, v69, v3, vcc_lo
	global_store_b64 v[2:3], v[0:1], off
	s_or_b32 exec_lo, exec_lo, s0
	s_and_b32 s1, s11, s2
	s_delay_alu instid0(SALU_CYCLE_1)
	s_and_saveexec_b32 s0, s1
	s_cbranch_execz .LBB133_238
.LBB133_276:
	scratch_load_b64 v[0:1], off, off offset:272
	v_cmp_ne_u32_e32 vcc_lo, 1, v70
	v_lshlrev_b64 v[2:3], 3, v[4:5]
	s_cbranch_vccnz .LBB133_278
; %bb.277:
	s_delay_alu instid0(VALU_DEP_1) | instskip(NEXT) | instid1(VALU_DEP_2)
	v_add_co_u32 v4, vcc_lo, v71, v2
	v_add_co_ci_u32_e32 v5, vcc_lo, v72, v3, vcc_lo
	flat_load_b64 v[4:5], v[4:5]
	s_waitcnt vmcnt(0) lgkmcnt(0)
	v_mul_f64 v[4:5], v[4:5], s[38:39]
	s_branch .LBB133_279
.LBB133_278:
	v_mov_b32_e32 v4, 0
	v_mov_b32_e32 v5, 0
.LBB133_279:
	s_waitcnt vmcnt(0)
	s_delay_alu instid0(VALU_DEP_1)
	v_add_f64 v[0:1], v[0:1], v[4:5]
	v_add_co_u32 v2, vcc_lo, v68, v2
	v_add_co_ci_u32_e32 v3, vcc_lo, v69, v3, vcc_lo
	global_store_b64 v[2:3], v[0:1], off
	s_or_b32 exec_lo, exec_lo, s0
	s_and_b32 s1, s11, s3
	s_delay_alu instid0(SALU_CYCLE_1)
	s_and_saveexec_b32 s0, s1
	s_cbranch_execz .LBB133_239
.LBB133_280:
	scratch_load_b64 v[0:1], off, off offset:280
	v_cmp_ne_u32_e32 vcc_lo, 1, v70
	v_lshlrev_b64 v[2:3], 3, v[6:7]
	s_cbranch_vccnz .LBB133_282
; %bb.281:
	s_delay_alu instid0(VALU_DEP_1) | instskip(NEXT) | instid1(VALU_DEP_2)
	v_add_co_u32 v4, vcc_lo, v71, v2
	v_add_co_ci_u32_e32 v5, vcc_lo, v72, v3, vcc_lo
	flat_load_b64 v[4:5], v[4:5]
	s_waitcnt vmcnt(0) lgkmcnt(0)
	v_mul_f64 v[4:5], v[4:5], s[38:39]
	s_branch .LBB133_283
.LBB133_282:
	v_mov_b32_e32 v4, 0
	v_mov_b32_e32 v5, 0
.LBB133_283:
	s_waitcnt vmcnt(0)
	s_delay_alu instid0(VALU_DEP_1)
	v_add_f64 v[0:1], v[0:1], v[4:5]
	v_add_co_u32 v2, vcc_lo, v68, v2
	v_add_co_ci_u32_e32 v3, vcc_lo, v69, v3, vcc_lo
	global_store_b64 v[2:3], v[0:1], off
	s_or_b32 exec_lo, exec_lo, s0
	s_and_b32 s1, s11, s4
	s_delay_alu instid0(SALU_CYCLE_1)
	s_and_saveexec_b32 s0, s1
	s_cbranch_execz .LBB133_240
.LBB133_284:
	scratch_load_b64 v[0:1], off, off offset:288
	v_cmp_ne_u32_e32 vcc_lo, 1, v70
	v_lshlrev_b64 v[2:3], 3, v[8:9]
	s_cbranch_vccnz .LBB133_286
; %bb.285:
	s_delay_alu instid0(VALU_DEP_1) | instskip(NEXT) | instid1(VALU_DEP_2)
	v_add_co_u32 v4, vcc_lo, v71, v2
	v_add_co_ci_u32_e32 v5, vcc_lo, v72, v3, vcc_lo
	flat_load_b64 v[4:5], v[4:5]
	s_waitcnt vmcnt(0) lgkmcnt(0)
	v_mul_f64 v[4:5], v[4:5], s[38:39]
	s_branch .LBB133_287
.LBB133_286:
	v_mov_b32_e32 v4, 0
	v_mov_b32_e32 v5, 0
.LBB133_287:
	s_waitcnt vmcnt(0)
	s_delay_alu instid0(VALU_DEP_1)
	v_add_f64 v[0:1], v[0:1], v[4:5]
	v_add_co_u32 v2, vcc_lo, v68, v2
	v_add_co_ci_u32_e32 v3, vcc_lo, v69, v3, vcc_lo
	global_store_b64 v[2:3], v[0:1], off
	s_or_b32 exec_lo, exec_lo, s0
	s_and_b32 s1, s11, s5
	s_delay_alu instid0(SALU_CYCLE_1)
	s_and_saveexec_b32 s0, s1
	s_cbranch_execz .LBB133_241
.LBB133_288:
	scratch_load_b64 v[0:1], off, off offset:296
	v_cmp_ne_u32_e32 vcc_lo, 1, v70
	v_lshlrev_b64 v[2:3], 3, v[10:11]
	s_cbranch_vccnz .LBB133_290
; %bb.289:
	s_delay_alu instid0(VALU_DEP_1) | instskip(NEXT) | instid1(VALU_DEP_2)
	v_add_co_u32 v4, vcc_lo, v71, v2
	v_add_co_ci_u32_e32 v5, vcc_lo, v72, v3, vcc_lo
	flat_load_b64 v[4:5], v[4:5]
	s_waitcnt vmcnt(0) lgkmcnt(0)
	v_mul_f64 v[4:5], v[4:5], s[38:39]
	s_branch .LBB133_291
.LBB133_290:
	v_mov_b32_e32 v4, 0
	v_mov_b32_e32 v5, 0
.LBB133_291:
	s_waitcnt vmcnt(0)
	s_delay_alu instid0(VALU_DEP_1)
	v_add_f64 v[0:1], v[0:1], v[4:5]
	v_add_co_u32 v2, vcc_lo, v68, v2
	v_add_co_ci_u32_e32 v3, vcc_lo, v69, v3, vcc_lo
	global_store_b64 v[2:3], v[0:1], off
	s_or_b32 exec_lo, exec_lo, s0
	s_and_b32 s1, s11, s6
	s_delay_alu instid0(SALU_CYCLE_1)
	s_and_saveexec_b32 s0, s1
	s_cbranch_execz .LBB133_242
.LBB133_292:
	scratch_load_b64 v[0:1], off, off offset:304
	v_cmp_ne_u32_e32 vcc_lo, 1, v70
	v_lshlrev_b64 v[2:3], 3, v[12:13]
	s_cbranch_vccnz .LBB133_294
; %bb.293:
	s_delay_alu instid0(VALU_DEP_1) | instskip(NEXT) | instid1(VALU_DEP_2)
	v_add_co_u32 v4, vcc_lo, v71, v2
	v_add_co_ci_u32_e32 v5, vcc_lo, v72, v3, vcc_lo
	flat_load_b64 v[4:5], v[4:5]
	s_waitcnt vmcnt(0) lgkmcnt(0)
	v_mul_f64 v[4:5], v[4:5], s[38:39]
	s_branch .LBB133_295
.LBB133_294:
	v_mov_b32_e32 v4, 0
	v_mov_b32_e32 v5, 0
.LBB133_295:
	s_waitcnt vmcnt(0)
	s_delay_alu instid0(VALU_DEP_1)
	v_add_f64 v[0:1], v[0:1], v[4:5]
	v_add_co_u32 v2, vcc_lo, v68, v2
	v_add_co_ci_u32_e32 v3, vcc_lo, v69, v3, vcc_lo
	global_store_b64 v[2:3], v[0:1], off
	s_or_b32 exec_lo, exec_lo, s0
	s_and_b32 s1, s11, s7
	s_delay_alu instid0(SALU_CYCLE_1)
	s_and_saveexec_b32 s0, s1
	s_cbranch_execz .LBB133_243
.LBB133_296:
	scratch_load_b64 v[0:1], off, off offset:312
	v_cmp_ne_u32_e32 vcc_lo, 1, v70
	v_lshlrev_b64 v[2:3], 3, v[14:15]
	s_cbranch_vccnz .LBB133_298
; %bb.297:
	s_delay_alu instid0(VALU_DEP_1) | instskip(NEXT) | instid1(VALU_DEP_2)
	v_add_co_u32 v4, vcc_lo, v71, v2
	v_add_co_ci_u32_e32 v5, vcc_lo, v72, v3, vcc_lo
	flat_load_b64 v[4:5], v[4:5]
	s_waitcnt vmcnt(0) lgkmcnt(0)
	v_mul_f64 v[4:5], v[4:5], s[38:39]
	s_branch .LBB133_299
.LBB133_298:
	v_mov_b32_e32 v4, 0
	v_mov_b32_e32 v5, 0
.LBB133_299:
	s_waitcnt vmcnt(0)
	s_delay_alu instid0(VALU_DEP_1)
	v_add_f64 v[0:1], v[0:1], v[4:5]
	v_add_co_u32 v2, vcc_lo, v68, v2
	v_add_co_ci_u32_e32 v3, vcc_lo, v69, v3, vcc_lo
	global_store_b64 v[2:3], v[0:1], off
	s_or_b32 exec_lo, exec_lo, s0
	s_and_b32 s1, s11, s8
	s_delay_alu instid0(SALU_CYCLE_1)
	s_and_saveexec_b32 s0, s1
	s_cbranch_execz .LBB133_244
.LBB133_300:
	scratch_load_b64 v[0:1], off, off offset:320
	v_cmp_ne_u32_e32 vcc_lo, 1, v70
	v_lshlrev_b64 v[2:3], 3, v[16:17]
	s_cbranch_vccnz .LBB133_302
; %bb.301:
	s_delay_alu instid0(VALU_DEP_1) | instskip(NEXT) | instid1(VALU_DEP_2)
	v_add_co_u32 v4, vcc_lo, v71, v2
	v_add_co_ci_u32_e32 v5, vcc_lo, v72, v3, vcc_lo
	flat_load_b64 v[4:5], v[4:5]
	s_waitcnt vmcnt(0) lgkmcnt(0)
	v_mul_f64 v[4:5], v[4:5], s[38:39]
	s_branch .LBB133_303
.LBB133_302:
	v_mov_b32_e32 v4, 0
	v_mov_b32_e32 v5, 0
.LBB133_303:
	s_waitcnt vmcnt(0)
	s_delay_alu instid0(VALU_DEP_1)
	v_add_f64 v[0:1], v[0:1], v[4:5]
	v_add_co_u32 v2, vcc_lo, v68, v2
	v_add_co_ci_u32_e32 v3, vcc_lo, v69, v3, vcc_lo
	global_store_b64 v[2:3], v[0:1], off
	s_or_b32 exec_lo, exec_lo, s0
	s_and_b32 s1, s11, s9
	s_delay_alu instid0(SALU_CYCLE_1)
	s_and_saveexec_b32 s0, s1
	s_cbranch_execz .LBB133_245
.LBB133_304:
	scratch_load_b64 v[0:1], off, off offset:328
	v_cmp_ne_u32_e32 vcc_lo, 1, v70
	v_lshlrev_b64 v[2:3], 3, v[18:19]
	s_cbranch_vccnz .LBB133_306
; %bb.305:
	s_delay_alu instid0(VALU_DEP_1) | instskip(NEXT) | instid1(VALU_DEP_2)
	v_add_co_u32 v4, vcc_lo, v71, v2
	v_add_co_ci_u32_e32 v5, vcc_lo, v72, v3, vcc_lo
	flat_load_b64 v[4:5], v[4:5]
	s_waitcnt vmcnt(0) lgkmcnt(0)
	v_mul_f64 v[4:5], v[4:5], s[38:39]
	s_branch .LBB133_307
.LBB133_306:
	v_mov_b32_e32 v4, 0
	v_mov_b32_e32 v5, 0
.LBB133_307:
	s_waitcnt vmcnt(0)
	s_delay_alu instid0(VALU_DEP_1)
	v_add_f64 v[0:1], v[0:1], v[4:5]
	v_add_co_u32 v2, vcc_lo, v68, v2
	v_add_co_ci_u32_e32 v3, vcc_lo, v69, v3, vcc_lo
	global_store_b64 v[2:3], v[0:1], off
	s_or_b32 exec_lo, exec_lo, s0
	s_and_b32 s1, s11, s10
	s_delay_alu instid0(SALU_CYCLE_1)
	s_and_saveexec_b32 s0, s1
	s_cbranch_execz .LBB133_246
.LBB133_308:
	scratch_load_b64 v[0:1], off, off offset:336
	v_cmp_ne_u32_e32 vcc_lo, 1, v70
	v_lshlrev_b64 v[2:3], 3, v[20:21]
	s_cbranch_vccnz .LBB133_310
; %bb.309:
	s_delay_alu instid0(VALU_DEP_1) | instskip(NEXT) | instid1(VALU_DEP_2)
	v_add_co_u32 v4, vcc_lo, v71, v2
	v_add_co_ci_u32_e32 v5, vcc_lo, v72, v3, vcc_lo
	flat_load_b64 v[4:5], v[4:5]
	s_waitcnt vmcnt(0) lgkmcnt(0)
	v_mul_f64 v[4:5], v[4:5], s[38:39]
	s_branch .LBB133_311
.LBB133_310:
	v_mov_b32_e32 v4, 0
	v_mov_b32_e32 v5, 0
.LBB133_311:
	s_waitcnt vmcnt(0)
	s_delay_alu instid0(VALU_DEP_1)
	v_add_f64 v[0:1], v[0:1], v[4:5]
	v_add_co_u32 v2, vcc_lo, v68, v2
	v_add_co_ci_u32_e32 v3, vcc_lo, v69, v3, vcc_lo
	global_store_b64 v[2:3], v[0:1], off
	s_or_b32 exec_lo, exec_lo, s0
	s_and_b32 s1, s11, s12
	s_delay_alu instid0(SALU_CYCLE_1)
	s_and_saveexec_b32 s0, s1
	s_cbranch_execz .LBB133_247
.LBB133_312:
	scratch_load_b64 v[0:1], off, off offset:344
	v_cmp_ne_u32_e32 vcc_lo, 1, v70
	v_lshlrev_b64 v[2:3], 3, v[22:23]
	s_cbranch_vccnz .LBB133_314
; %bb.313:
	s_delay_alu instid0(VALU_DEP_1) | instskip(NEXT) | instid1(VALU_DEP_2)
	v_add_co_u32 v4, vcc_lo, v71, v2
	v_add_co_ci_u32_e32 v5, vcc_lo, v72, v3, vcc_lo
	flat_load_b64 v[4:5], v[4:5]
	s_waitcnt vmcnt(0) lgkmcnt(0)
	v_mul_f64 v[4:5], v[4:5], s[38:39]
	s_branch .LBB133_315
.LBB133_314:
	v_mov_b32_e32 v4, 0
	v_mov_b32_e32 v5, 0
.LBB133_315:
	s_waitcnt vmcnt(0)
	s_delay_alu instid0(VALU_DEP_1)
	v_add_f64 v[0:1], v[0:1], v[4:5]
	v_add_co_u32 v2, vcc_lo, v68, v2
	v_add_co_ci_u32_e32 v3, vcc_lo, v69, v3, vcc_lo
	global_store_b64 v[2:3], v[0:1], off
	s_or_b32 exec_lo, exec_lo, s0
	s_and_b32 s1, s11, s13
	s_delay_alu instid0(SALU_CYCLE_1)
	s_and_saveexec_b32 s0, s1
	s_cbranch_execz .LBB133_248
.LBB133_316:
	scratch_load_b64 v[0:1], off, off offset:352
	v_cmp_ne_u32_e32 vcc_lo, 1, v70
	v_lshlrev_b64 v[2:3], 3, v[24:25]
	s_cbranch_vccnz .LBB133_318
; %bb.317:
	s_delay_alu instid0(VALU_DEP_1) | instskip(NEXT) | instid1(VALU_DEP_2)
	v_add_co_u32 v4, vcc_lo, v71, v2
	v_add_co_ci_u32_e32 v5, vcc_lo, v72, v3, vcc_lo
	flat_load_b64 v[4:5], v[4:5]
	s_waitcnt vmcnt(0) lgkmcnt(0)
	v_mul_f64 v[4:5], v[4:5], s[38:39]
	s_branch .LBB133_319
.LBB133_318:
	v_mov_b32_e32 v4, 0
	v_mov_b32_e32 v5, 0
.LBB133_319:
	s_waitcnt vmcnt(0)
	s_delay_alu instid0(VALU_DEP_1)
	v_add_f64 v[0:1], v[0:1], v[4:5]
	v_add_co_u32 v2, vcc_lo, v68, v2
	v_add_co_ci_u32_e32 v3, vcc_lo, v69, v3, vcc_lo
	global_store_b64 v[2:3], v[0:1], off
	s_or_b32 exec_lo, exec_lo, s0
	s_and_b32 s1, s11, s14
	s_delay_alu instid0(SALU_CYCLE_1)
	s_and_saveexec_b32 s0, s1
	s_cbranch_execz .LBB133_249
.LBB133_320:
	scratch_load_b64 v[0:1], off, off offset:360
	v_cmp_ne_u32_e32 vcc_lo, 1, v70
	v_lshlrev_b64 v[2:3], 3, v[26:27]
	s_cbranch_vccnz .LBB133_322
; %bb.321:
	s_delay_alu instid0(VALU_DEP_1) | instskip(NEXT) | instid1(VALU_DEP_2)
	v_add_co_u32 v4, vcc_lo, v71, v2
	v_add_co_ci_u32_e32 v5, vcc_lo, v72, v3, vcc_lo
	flat_load_b64 v[4:5], v[4:5]
	s_waitcnt vmcnt(0) lgkmcnt(0)
	v_mul_f64 v[4:5], v[4:5], s[38:39]
	s_branch .LBB133_323
.LBB133_322:
	v_mov_b32_e32 v4, 0
	v_mov_b32_e32 v5, 0
.LBB133_323:
	s_waitcnt vmcnt(0)
	s_delay_alu instid0(VALU_DEP_1)
	v_add_f64 v[0:1], v[0:1], v[4:5]
	v_add_co_u32 v2, vcc_lo, v68, v2
	v_add_co_ci_u32_e32 v3, vcc_lo, v69, v3, vcc_lo
	global_store_b64 v[2:3], v[0:1], off
	s_or_b32 exec_lo, exec_lo, s0
	s_and_b32 s1, s11, s15
	s_delay_alu instid0(SALU_CYCLE_1)
	s_and_saveexec_b32 s0, s1
	s_cbranch_execz .LBB133_250
.LBB133_324:
	scratch_load_b64 v[0:1], off, off offset:368
	v_cmp_ne_u32_e32 vcc_lo, 1, v70
	v_lshlrev_b64 v[2:3], 3, v[28:29]
	s_cbranch_vccnz .LBB133_326
; %bb.325:
	s_delay_alu instid0(VALU_DEP_1) | instskip(NEXT) | instid1(VALU_DEP_2)
	v_add_co_u32 v4, vcc_lo, v71, v2
	v_add_co_ci_u32_e32 v5, vcc_lo, v72, v3, vcc_lo
	flat_load_b64 v[4:5], v[4:5]
	s_waitcnt vmcnt(0) lgkmcnt(0)
	v_mul_f64 v[4:5], v[4:5], s[38:39]
	s_branch .LBB133_327
.LBB133_326:
	v_mov_b32_e32 v4, 0
	v_mov_b32_e32 v5, 0
.LBB133_327:
	s_waitcnt vmcnt(0)
	s_delay_alu instid0(VALU_DEP_1)
	v_add_f64 v[0:1], v[0:1], v[4:5]
	v_add_co_u32 v2, vcc_lo, v68, v2
	v_add_co_ci_u32_e32 v3, vcc_lo, v69, v3, vcc_lo
	global_store_b64 v[2:3], v[0:1], off
	s_or_b32 exec_lo, exec_lo, s0
	s_and_b32 s1, s11, s16
	s_delay_alu instid0(SALU_CYCLE_1)
	s_and_saveexec_b32 s0, s1
	s_cbranch_execz .LBB133_251
.LBB133_328:
	scratch_load_b64 v[0:1], off, off offset:376
	v_cmp_ne_u32_e32 vcc_lo, 1, v70
	v_lshlrev_b64 v[2:3], 3, v[30:31]
	s_cbranch_vccnz .LBB133_330
; %bb.329:
	s_delay_alu instid0(VALU_DEP_1) | instskip(NEXT) | instid1(VALU_DEP_2)
	v_add_co_u32 v4, vcc_lo, v71, v2
	v_add_co_ci_u32_e32 v5, vcc_lo, v72, v3, vcc_lo
	flat_load_b64 v[4:5], v[4:5]
	s_waitcnt vmcnt(0) lgkmcnt(0)
	v_mul_f64 v[4:5], v[4:5], s[38:39]
	s_branch .LBB133_331
.LBB133_330:
	v_mov_b32_e32 v4, 0
	v_mov_b32_e32 v5, 0
.LBB133_331:
	s_waitcnt vmcnt(0)
	s_delay_alu instid0(VALU_DEP_1)
	v_add_f64 v[0:1], v[0:1], v[4:5]
	v_add_co_u32 v2, vcc_lo, v68, v2
	v_add_co_ci_u32_e32 v3, vcc_lo, v69, v3, vcc_lo
	global_store_b64 v[2:3], v[0:1], off
	s_or_b32 exec_lo, exec_lo, s0
	s_and_b32 s1, s11, s17
	s_delay_alu instid0(SALU_CYCLE_1)
	s_and_saveexec_b32 s0, s1
	s_cbranch_execz .LBB133_252
.LBB133_332:
	scratch_load_b64 v[0:1], off, off offset:384
	v_cmp_ne_u32_e32 vcc_lo, 1, v70
	v_lshlrev_b64 v[2:3], 3, v[32:33]
	s_cbranch_vccnz .LBB133_334
; %bb.333:
	s_delay_alu instid0(VALU_DEP_1) | instskip(NEXT) | instid1(VALU_DEP_2)
	v_add_co_u32 v4, vcc_lo, v71, v2
	v_add_co_ci_u32_e32 v5, vcc_lo, v72, v3, vcc_lo
	flat_load_b64 v[4:5], v[4:5]
	s_waitcnt vmcnt(0) lgkmcnt(0)
	v_mul_f64 v[4:5], v[4:5], s[38:39]
	s_branch .LBB133_335
.LBB133_334:
	v_mov_b32_e32 v4, 0
	v_mov_b32_e32 v5, 0
.LBB133_335:
	s_waitcnt vmcnt(0)
	s_delay_alu instid0(VALU_DEP_1)
	v_add_f64 v[0:1], v[0:1], v[4:5]
	v_add_co_u32 v2, vcc_lo, v68, v2
	v_add_co_ci_u32_e32 v3, vcc_lo, v69, v3, vcc_lo
	global_store_b64 v[2:3], v[0:1], off
	s_or_b32 exec_lo, exec_lo, s0
	s_and_b32 s1, s11, s18
	s_delay_alu instid0(SALU_CYCLE_1)
	s_and_saveexec_b32 s0, s1
	s_cbranch_execz .LBB133_253
.LBB133_336:
	scratch_load_b64 v[0:1], off, off offset:392
	v_cmp_ne_u32_e32 vcc_lo, 1, v70
	v_lshlrev_b64 v[2:3], 3, v[34:35]
	s_cbranch_vccnz .LBB133_338
; %bb.337:
	s_delay_alu instid0(VALU_DEP_1) | instskip(NEXT) | instid1(VALU_DEP_2)
	v_add_co_u32 v4, vcc_lo, v71, v2
	v_add_co_ci_u32_e32 v5, vcc_lo, v72, v3, vcc_lo
	flat_load_b64 v[4:5], v[4:5]
	s_waitcnt vmcnt(0) lgkmcnt(0)
	v_mul_f64 v[4:5], v[4:5], s[38:39]
	s_branch .LBB133_339
.LBB133_338:
	v_mov_b32_e32 v4, 0
	v_mov_b32_e32 v5, 0
.LBB133_339:
	s_waitcnt vmcnt(0)
	s_delay_alu instid0(VALU_DEP_1)
	v_add_f64 v[0:1], v[0:1], v[4:5]
	v_add_co_u32 v2, vcc_lo, v68, v2
	v_add_co_ci_u32_e32 v3, vcc_lo, v69, v3, vcc_lo
	global_store_b64 v[2:3], v[0:1], off
	s_or_b32 exec_lo, exec_lo, s0
	s_and_b32 s1, s11, s19
	s_delay_alu instid0(SALU_CYCLE_1)
	s_and_saveexec_b32 s0, s1
	s_cbranch_execz .LBB133_254
.LBB133_340:
	scratch_load_b64 v[0:1], off, off offset:400
	v_cmp_ne_u32_e32 vcc_lo, 1, v70
	v_lshlrev_b64 v[2:3], 3, v[36:37]
	s_cbranch_vccnz .LBB133_342
; %bb.341:
	s_delay_alu instid0(VALU_DEP_1) | instskip(NEXT) | instid1(VALU_DEP_2)
	v_add_co_u32 v4, vcc_lo, v71, v2
	v_add_co_ci_u32_e32 v5, vcc_lo, v72, v3, vcc_lo
	flat_load_b64 v[4:5], v[4:5]
	s_waitcnt vmcnt(0) lgkmcnt(0)
	v_mul_f64 v[4:5], v[4:5], s[38:39]
	s_branch .LBB133_343
.LBB133_342:
	v_mov_b32_e32 v4, 0
	v_mov_b32_e32 v5, 0
.LBB133_343:
	s_waitcnt vmcnt(0)
	s_delay_alu instid0(VALU_DEP_1)
	v_add_f64 v[0:1], v[0:1], v[4:5]
	v_add_co_u32 v2, vcc_lo, v68, v2
	v_add_co_ci_u32_e32 v3, vcc_lo, v69, v3, vcc_lo
	global_store_b64 v[2:3], v[0:1], off
	s_or_b32 exec_lo, exec_lo, s0
	s_and_b32 s1, s11, s20
	s_delay_alu instid0(SALU_CYCLE_1)
	s_and_saveexec_b32 s0, s1
	s_cbranch_execz .LBB133_255
.LBB133_344:
	scratch_load_b64 v[0:1], off, off offset:408
	v_cmp_ne_u32_e32 vcc_lo, 1, v70
	v_lshlrev_b64 v[2:3], 3, v[38:39]
	s_cbranch_vccnz .LBB133_346
; %bb.345:
	s_delay_alu instid0(VALU_DEP_1) | instskip(NEXT) | instid1(VALU_DEP_2)
	v_add_co_u32 v4, vcc_lo, v71, v2
	v_add_co_ci_u32_e32 v5, vcc_lo, v72, v3, vcc_lo
	flat_load_b64 v[4:5], v[4:5]
	s_waitcnt vmcnt(0) lgkmcnt(0)
	v_mul_f64 v[4:5], v[4:5], s[38:39]
	s_branch .LBB133_347
.LBB133_346:
	v_mov_b32_e32 v4, 0
	v_mov_b32_e32 v5, 0
.LBB133_347:
	s_waitcnt vmcnt(0)
	s_delay_alu instid0(VALU_DEP_1)
	v_add_f64 v[0:1], v[0:1], v[4:5]
	v_add_co_u32 v2, vcc_lo, v68, v2
	v_add_co_ci_u32_e32 v3, vcc_lo, v69, v3, vcc_lo
	global_store_b64 v[2:3], v[0:1], off
	s_or_b32 exec_lo, exec_lo, s0
	s_and_b32 s1, s11, s21
	s_delay_alu instid0(SALU_CYCLE_1)
	s_and_saveexec_b32 s0, s1
	s_cbranch_execz .LBB133_256
.LBB133_348:
	scratch_load_b64 v[0:1], off, off offset:416
	v_cmp_ne_u32_e32 vcc_lo, 1, v70
	v_lshlrev_b64 v[2:3], 3, v[40:41]
	s_cbranch_vccnz .LBB133_350
; %bb.349:
	s_delay_alu instid0(VALU_DEP_1) | instskip(NEXT) | instid1(VALU_DEP_2)
	v_add_co_u32 v4, vcc_lo, v71, v2
	v_add_co_ci_u32_e32 v5, vcc_lo, v72, v3, vcc_lo
	flat_load_b64 v[4:5], v[4:5]
	s_waitcnt vmcnt(0) lgkmcnt(0)
	v_mul_f64 v[4:5], v[4:5], s[38:39]
	s_branch .LBB133_351
.LBB133_350:
	v_mov_b32_e32 v4, 0
	v_mov_b32_e32 v5, 0
.LBB133_351:
	s_waitcnt vmcnt(0)
	s_delay_alu instid0(VALU_DEP_1)
	v_add_f64 v[0:1], v[0:1], v[4:5]
	v_add_co_u32 v2, vcc_lo, v68, v2
	v_add_co_ci_u32_e32 v3, vcc_lo, v69, v3, vcc_lo
	global_store_b64 v[2:3], v[0:1], off
	s_or_b32 exec_lo, exec_lo, s0
	s_and_b32 s1, s11, s22
	s_delay_alu instid0(SALU_CYCLE_1)
	s_and_saveexec_b32 s0, s1
	s_cbranch_execz .LBB133_257
.LBB133_352:
	scratch_load_b64 v[0:1], off, off offset:424
	v_cmp_ne_u32_e32 vcc_lo, 1, v70
	v_lshlrev_b64 v[2:3], 3, v[42:43]
	s_cbranch_vccnz .LBB133_354
; %bb.353:
	s_delay_alu instid0(VALU_DEP_1) | instskip(NEXT) | instid1(VALU_DEP_2)
	v_add_co_u32 v4, vcc_lo, v71, v2
	v_add_co_ci_u32_e32 v5, vcc_lo, v72, v3, vcc_lo
	flat_load_b64 v[4:5], v[4:5]
	s_waitcnt vmcnt(0) lgkmcnt(0)
	v_mul_f64 v[4:5], v[4:5], s[38:39]
	s_branch .LBB133_355
.LBB133_354:
	v_mov_b32_e32 v4, 0
	v_mov_b32_e32 v5, 0
.LBB133_355:
	s_waitcnt vmcnt(0)
	s_delay_alu instid0(VALU_DEP_1)
	v_add_f64 v[0:1], v[0:1], v[4:5]
	v_add_co_u32 v2, vcc_lo, v68, v2
	v_add_co_ci_u32_e32 v3, vcc_lo, v69, v3, vcc_lo
	global_store_b64 v[2:3], v[0:1], off
	s_or_b32 exec_lo, exec_lo, s0
	s_and_b32 s1, s11, s23
	s_delay_alu instid0(SALU_CYCLE_1)
	s_and_saveexec_b32 s0, s1
	s_cbranch_execz .LBB133_258
.LBB133_356:
	scratch_load_b64 v[0:1], off, off offset:432
	v_cmp_ne_u32_e32 vcc_lo, 1, v70
	v_lshlrev_b64 v[2:3], 3, v[44:45]
	s_cbranch_vccnz .LBB133_358
; %bb.357:
	s_delay_alu instid0(VALU_DEP_1) | instskip(NEXT) | instid1(VALU_DEP_2)
	v_add_co_u32 v4, vcc_lo, v71, v2
	v_add_co_ci_u32_e32 v5, vcc_lo, v72, v3, vcc_lo
	flat_load_b64 v[4:5], v[4:5]
	s_waitcnt vmcnt(0) lgkmcnt(0)
	v_mul_f64 v[4:5], v[4:5], s[38:39]
	s_branch .LBB133_359
.LBB133_358:
	v_mov_b32_e32 v4, 0
	v_mov_b32_e32 v5, 0
.LBB133_359:
	s_waitcnt vmcnt(0)
	s_delay_alu instid0(VALU_DEP_1)
	v_add_f64 v[0:1], v[0:1], v[4:5]
	v_add_co_u32 v2, vcc_lo, v68, v2
	v_add_co_ci_u32_e32 v3, vcc_lo, v69, v3, vcc_lo
	global_store_b64 v[2:3], v[0:1], off
	s_or_b32 exec_lo, exec_lo, s0
	s_and_b32 s1, s11, s24
	s_delay_alu instid0(SALU_CYCLE_1)
	s_and_saveexec_b32 s0, s1
	s_cbranch_execz .LBB133_259
.LBB133_360:
	scratch_load_b64 v[0:1], off, off offset:440
	v_cmp_ne_u32_e32 vcc_lo, 1, v70
	v_lshlrev_b64 v[2:3], 3, v[46:47]
	s_cbranch_vccnz .LBB133_362
; %bb.361:
	s_delay_alu instid0(VALU_DEP_1) | instskip(NEXT) | instid1(VALU_DEP_2)
	v_add_co_u32 v4, vcc_lo, v71, v2
	v_add_co_ci_u32_e32 v5, vcc_lo, v72, v3, vcc_lo
	flat_load_b64 v[4:5], v[4:5]
	s_waitcnt vmcnt(0) lgkmcnt(0)
	v_mul_f64 v[4:5], v[4:5], s[38:39]
	s_branch .LBB133_363
.LBB133_362:
	v_mov_b32_e32 v4, 0
	v_mov_b32_e32 v5, 0
.LBB133_363:
	s_waitcnt vmcnt(0)
	s_delay_alu instid0(VALU_DEP_1)
	v_add_f64 v[0:1], v[0:1], v[4:5]
	v_add_co_u32 v2, vcc_lo, v68, v2
	v_add_co_ci_u32_e32 v3, vcc_lo, v69, v3, vcc_lo
	global_store_b64 v[2:3], v[0:1], off
	s_or_b32 exec_lo, exec_lo, s0
	s_and_b32 s1, s11, s25
	s_delay_alu instid0(SALU_CYCLE_1)
	s_and_saveexec_b32 s0, s1
	s_cbranch_execz .LBB133_260
.LBB133_364:
	scratch_load_b64 v[0:1], off, off offset:448
	v_cmp_ne_u32_e32 vcc_lo, 1, v70
	v_lshlrev_b64 v[2:3], 3, v[48:49]
	s_cbranch_vccnz .LBB133_366
; %bb.365:
	s_delay_alu instid0(VALU_DEP_1) | instskip(NEXT) | instid1(VALU_DEP_2)
	v_add_co_u32 v4, vcc_lo, v71, v2
	v_add_co_ci_u32_e32 v5, vcc_lo, v72, v3, vcc_lo
	flat_load_b64 v[4:5], v[4:5]
	s_waitcnt vmcnt(0) lgkmcnt(0)
	v_mul_f64 v[4:5], v[4:5], s[38:39]
	s_branch .LBB133_367
.LBB133_366:
	v_mov_b32_e32 v4, 0
	v_mov_b32_e32 v5, 0
.LBB133_367:
	s_waitcnt vmcnt(0)
	s_delay_alu instid0(VALU_DEP_1)
	v_add_f64 v[0:1], v[0:1], v[4:5]
	v_add_co_u32 v2, vcc_lo, v68, v2
	v_add_co_ci_u32_e32 v3, vcc_lo, v69, v3, vcc_lo
	global_store_b64 v[2:3], v[0:1], off
	s_or_b32 exec_lo, exec_lo, s0
	s_and_b32 s1, s11, s26
	s_delay_alu instid0(SALU_CYCLE_1)
	s_and_saveexec_b32 s0, s1
	s_cbranch_execz .LBB133_261
.LBB133_368:
	scratch_load_b64 v[0:1], off, off offset:456
	v_cmp_ne_u32_e32 vcc_lo, 1, v70
	v_lshlrev_b64 v[2:3], 3, v[50:51]
	s_cbranch_vccnz .LBB133_370
; %bb.369:
	s_delay_alu instid0(VALU_DEP_1) | instskip(NEXT) | instid1(VALU_DEP_2)
	v_add_co_u32 v4, vcc_lo, v71, v2
	v_add_co_ci_u32_e32 v5, vcc_lo, v72, v3, vcc_lo
	flat_load_b64 v[4:5], v[4:5]
	s_waitcnt vmcnt(0) lgkmcnt(0)
	v_mul_f64 v[4:5], v[4:5], s[38:39]
	s_branch .LBB133_371
.LBB133_370:
	v_mov_b32_e32 v4, 0
	v_mov_b32_e32 v5, 0
.LBB133_371:
	s_waitcnt vmcnt(0)
	s_delay_alu instid0(VALU_DEP_1)
	v_add_f64 v[0:1], v[0:1], v[4:5]
	v_add_co_u32 v2, vcc_lo, v68, v2
	v_add_co_ci_u32_e32 v3, vcc_lo, v69, v3, vcc_lo
	global_store_b64 v[2:3], v[0:1], off
	s_or_b32 exec_lo, exec_lo, s0
	s_and_b32 s1, s11, s27
	s_delay_alu instid0(SALU_CYCLE_1)
	s_and_saveexec_b32 s0, s1
	s_cbranch_execz .LBB133_262
.LBB133_372:
	scratch_load_b64 v[0:1], off, off offset:464
	v_cmp_ne_u32_e32 vcc_lo, 1, v70
	v_lshlrev_b64 v[2:3], 3, v[52:53]
	s_cbranch_vccnz .LBB133_374
; %bb.373:
	s_delay_alu instid0(VALU_DEP_1) | instskip(NEXT) | instid1(VALU_DEP_2)
	v_add_co_u32 v4, vcc_lo, v71, v2
	v_add_co_ci_u32_e32 v5, vcc_lo, v72, v3, vcc_lo
	flat_load_b64 v[4:5], v[4:5]
	s_waitcnt vmcnt(0) lgkmcnt(0)
	v_mul_f64 v[4:5], v[4:5], s[38:39]
	s_branch .LBB133_375
.LBB133_374:
	v_mov_b32_e32 v4, 0
	v_mov_b32_e32 v5, 0
.LBB133_375:
	s_waitcnt vmcnt(0)
	s_delay_alu instid0(VALU_DEP_1)
	v_add_f64 v[0:1], v[0:1], v[4:5]
	v_add_co_u32 v2, vcc_lo, v68, v2
	v_add_co_ci_u32_e32 v3, vcc_lo, v69, v3, vcc_lo
	global_store_b64 v[2:3], v[0:1], off
	s_or_b32 exec_lo, exec_lo, s0
	s_and_b32 s1, s11, s28
	s_delay_alu instid0(SALU_CYCLE_1)
	s_and_saveexec_b32 s0, s1
	s_cbranch_execz .LBB133_263
.LBB133_376:
	scratch_load_b64 v[0:1], off, off offset:472
	v_cmp_ne_u32_e32 vcc_lo, 1, v70
	v_lshlrev_b64 v[2:3], 3, v[54:55]
	s_cbranch_vccnz .LBB133_378
; %bb.377:
	s_delay_alu instid0(VALU_DEP_1) | instskip(NEXT) | instid1(VALU_DEP_2)
	v_add_co_u32 v4, vcc_lo, v71, v2
	v_add_co_ci_u32_e32 v5, vcc_lo, v72, v3, vcc_lo
	flat_load_b64 v[4:5], v[4:5]
	s_waitcnt vmcnt(0) lgkmcnt(0)
	v_mul_f64 v[4:5], v[4:5], s[38:39]
	s_branch .LBB133_379
.LBB133_378:
	v_mov_b32_e32 v4, 0
	v_mov_b32_e32 v5, 0
.LBB133_379:
	s_waitcnt vmcnt(0)
	s_delay_alu instid0(VALU_DEP_1)
	v_add_f64 v[0:1], v[0:1], v[4:5]
	v_add_co_u32 v2, vcc_lo, v68, v2
	v_add_co_ci_u32_e32 v3, vcc_lo, v69, v3, vcc_lo
	global_store_b64 v[2:3], v[0:1], off
	s_or_b32 exec_lo, exec_lo, s0
	s_and_b32 s1, s11, s29
	s_delay_alu instid0(SALU_CYCLE_1)
	s_and_saveexec_b32 s0, s1
	s_cbranch_execz .LBB133_264
.LBB133_380:
	scratch_load_b64 v[0:1], off, off offset:480
	v_cmp_ne_u32_e32 vcc_lo, 1, v70
	v_lshlrev_b64 v[2:3], 3, v[56:57]
	s_cbranch_vccnz .LBB133_382
; %bb.381:
	s_delay_alu instid0(VALU_DEP_1) | instskip(NEXT) | instid1(VALU_DEP_2)
	v_add_co_u32 v4, vcc_lo, v71, v2
	v_add_co_ci_u32_e32 v5, vcc_lo, v72, v3, vcc_lo
	flat_load_b64 v[4:5], v[4:5]
	s_waitcnt vmcnt(0) lgkmcnt(0)
	v_mul_f64 v[4:5], v[4:5], s[38:39]
	s_branch .LBB133_383
.LBB133_382:
	v_mov_b32_e32 v4, 0
	v_mov_b32_e32 v5, 0
.LBB133_383:
	s_waitcnt vmcnt(0)
	s_delay_alu instid0(VALU_DEP_1)
	v_add_f64 v[0:1], v[0:1], v[4:5]
	v_add_co_u32 v2, vcc_lo, v68, v2
	v_add_co_ci_u32_e32 v3, vcc_lo, v69, v3, vcc_lo
	global_store_b64 v[2:3], v[0:1], off
	s_or_b32 exec_lo, exec_lo, s0
	s_and_b32 s1, s11, s30
	s_delay_alu instid0(SALU_CYCLE_1)
	s_and_saveexec_b32 s0, s1
	s_cbranch_execz .LBB133_265
.LBB133_384:
	scratch_load_b64 v[0:1], off, off offset:488
	v_cmp_ne_u32_e32 vcc_lo, 1, v70
	v_lshlrev_b64 v[2:3], 3, v[58:59]
	s_cbranch_vccnz .LBB133_386
; %bb.385:
	s_delay_alu instid0(VALU_DEP_1) | instskip(NEXT) | instid1(VALU_DEP_2)
	v_add_co_u32 v4, vcc_lo, v71, v2
	v_add_co_ci_u32_e32 v5, vcc_lo, v72, v3, vcc_lo
	flat_load_b64 v[4:5], v[4:5]
	s_waitcnt vmcnt(0) lgkmcnt(0)
	v_mul_f64 v[4:5], v[4:5], s[38:39]
	s_branch .LBB133_387
.LBB133_386:
	v_mov_b32_e32 v4, 0
	v_mov_b32_e32 v5, 0
.LBB133_387:
	s_waitcnt vmcnt(0)
	s_delay_alu instid0(VALU_DEP_1)
	v_add_f64 v[0:1], v[0:1], v[4:5]
	v_add_co_u32 v2, vcc_lo, v68, v2
	v_add_co_ci_u32_e32 v3, vcc_lo, v69, v3, vcc_lo
	global_store_b64 v[2:3], v[0:1], off
	s_or_b32 exec_lo, exec_lo, s0
	s_and_b32 s1, s11, s31
	s_delay_alu instid0(SALU_CYCLE_1)
	s_and_saveexec_b32 s0, s1
	s_cbranch_execz .LBB133_266
.LBB133_388:
	scratch_load_b64 v[0:1], off, off offset:496
	v_cmp_ne_u32_e32 vcc_lo, 1, v70
	v_lshlrev_b64 v[2:3], 3, v[60:61]
	s_cbranch_vccnz .LBB133_390
; %bb.389:
	s_delay_alu instid0(VALU_DEP_1) | instskip(NEXT) | instid1(VALU_DEP_2)
	v_add_co_u32 v4, vcc_lo, v71, v2
	v_add_co_ci_u32_e32 v5, vcc_lo, v72, v3, vcc_lo
	flat_load_b64 v[4:5], v[4:5]
	s_waitcnt vmcnt(0) lgkmcnt(0)
	v_mul_f64 v[4:5], v[4:5], s[38:39]
	s_branch .LBB133_391
.LBB133_390:
	v_mov_b32_e32 v4, 0
	v_mov_b32_e32 v5, 0
.LBB133_391:
	s_waitcnt vmcnt(0)
	s_delay_alu instid0(VALU_DEP_1)
	v_add_f64 v[0:1], v[0:1], v[4:5]
	v_add_co_u32 v2, vcc_lo, v68, v2
	v_add_co_ci_u32_e32 v3, vcc_lo, v69, v3, vcc_lo
	global_store_b64 v[2:3], v[0:1], off
	s_or_b32 exec_lo, exec_lo, s0
	s_and_b32 s0, s11, s33
	s_delay_alu instid0(SALU_CYCLE_1)
	s_and_saveexec_b32 s1, s0
	s_cbranch_execz .LBB133_267
.LBB133_392:
	scratch_load_b64 v[0:1], off, off offset:504
	v_cmp_ne_u32_e32 vcc_lo, 1, v70
	v_lshlrev_b64 v[2:3], 3, v[62:63]
	s_cbranch_vccnz .LBB133_394
; %bb.393:
	s_delay_alu instid0(VALU_DEP_1) | instskip(NEXT) | instid1(VALU_DEP_2)
	v_add_co_u32 v4, vcc_lo, v71, v2
	v_add_co_ci_u32_e32 v5, vcc_lo, v72, v3, vcc_lo
	flat_load_b64 v[4:5], v[4:5]
	s_waitcnt vmcnt(0) lgkmcnt(0)
	v_mul_f64 v[4:5], v[4:5], s[38:39]
	s_branch .LBB133_395
.LBB133_394:
	v_mov_b32_e32 v4, 0
	v_mov_b32_e32 v5, 0
.LBB133_395:
	s_waitcnt vmcnt(0)
	s_delay_alu instid0(VALU_DEP_1)
	v_add_f64 v[0:1], v[0:1], v[4:5]
	v_add_co_u32 v2, vcc_lo, v68, v2
	v_add_co_ci_u32_e32 v3, vcc_lo, v69, v3, vcc_lo
	global_store_b64 v[2:3], v[0:1], off
	s_endpgm
	.section	.rodata,"a",@progbits
	.p2align	6, 0x0
	.amdhsa_kernel _ZN12_GLOBAL__N_120geam_min_plus_kernelIdddLi4ELi64ELi128ELi128ELi4ELi64ELi4ELi4ELi64ELc78ELc78ELb1ELb1ELb0EdKPKdKPdEEviiiT16_PT17_ilS8_ilS6_S8_ilPT18_ili26rocblas_geam_ex_operation_
		.amdhsa_group_segment_fixed_size 16384
		.amdhsa_private_segment_fixed_size 528
		.amdhsa_kernarg_size 136
		.amdhsa_user_sgpr_count 14
		.amdhsa_user_sgpr_dispatch_ptr 0
		.amdhsa_user_sgpr_queue_ptr 0
		.amdhsa_user_sgpr_kernarg_segment_ptr 1
		.amdhsa_user_sgpr_dispatch_id 0
		.amdhsa_user_sgpr_private_segment_size 0
		.amdhsa_wavefront_size32 1
		.amdhsa_uses_dynamic_stack 0
		.amdhsa_enable_private_segment 1
		.amdhsa_system_sgpr_workgroup_id_x 1
		.amdhsa_system_sgpr_workgroup_id_y 0
		.amdhsa_system_sgpr_workgroup_id_z 1
		.amdhsa_system_sgpr_workgroup_info 0
		.amdhsa_system_vgpr_workitem_id 1
		.amdhsa_next_free_vgpr 253
		.amdhsa_next_free_sgpr 46
		.amdhsa_reserve_vcc 1
		.amdhsa_float_round_mode_32 0
		.amdhsa_float_round_mode_16_64 0
		.amdhsa_float_denorm_mode_32 3
		.amdhsa_float_denorm_mode_16_64 3
		.amdhsa_dx10_clamp 1
		.amdhsa_ieee_mode 1
		.amdhsa_fp16_overflow 0
		.amdhsa_workgroup_processor_mode 1
		.amdhsa_memory_ordered 1
		.amdhsa_forward_progress 0
		.amdhsa_shared_vgpr_count 0
		.amdhsa_exception_fp_ieee_invalid_op 0
		.amdhsa_exception_fp_denorm_src 0
		.amdhsa_exception_fp_ieee_div_zero 0
		.amdhsa_exception_fp_ieee_overflow 0
		.amdhsa_exception_fp_ieee_underflow 0
		.amdhsa_exception_fp_ieee_inexact 0
		.amdhsa_exception_int_div_zero 0
	.end_amdhsa_kernel
	.section	.text._ZN12_GLOBAL__N_120geam_min_plus_kernelIdddLi4ELi64ELi128ELi128ELi4ELi64ELi4ELi4ELi64ELc78ELc78ELb1ELb1ELb0EdKPKdKPdEEviiiT16_PT17_ilS8_ilS6_S8_ilPT18_ili26rocblas_geam_ex_operation_,"axG",@progbits,_ZN12_GLOBAL__N_120geam_min_plus_kernelIdddLi4ELi64ELi128ELi128ELi4ELi64ELi4ELi4ELi64ELc78ELc78ELb1ELb1ELb0EdKPKdKPdEEviiiT16_PT17_ilS8_ilS6_S8_ilPT18_ili26rocblas_geam_ex_operation_,comdat
.Lfunc_end133:
	.size	_ZN12_GLOBAL__N_120geam_min_plus_kernelIdddLi4ELi64ELi128ELi128ELi4ELi64ELi4ELi4ELi64ELc78ELc78ELb1ELb1ELb0EdKPKdKPdEEviiiT16_PT17_ilS8_ilS6_S8_ilPT18_ili26rocblas_geam_ex_operation_, .Lfunc_end133-_ZN12_GLOBAL__N_120geam_min_plus_kernelIdddLi4ELi64ELi128ELi128ELi4ELi64ELi4ELi4ELi64ELc78ELc78ELb1ELb1ELb0EdKPKdKPdEEviiiT16_PT17_ilS8_ilS6_S8_ilPT18_ili26rocblas_geam_ex_operation_
                                        ; -- End function
	.section	.AMDGPU.csdata,"",@progbits
; Kernel info:
; codeLenInByte = 47012
; NumSgprs: 48
; NumVgprs: 253
; ScratchSize: 528
; MemoryBound: 1
; FloatMode: 240
; IeeeMode: 1
; LDSByteSize: 16384 bytes/workgroup (compile time only)
; SGPRBlocks: 5
; VGPRBlocks: 31
; NumSGPRsForWavesPerEU: 48
; NumVGPRsForWavesPerEU: 253
; Occupancy: 5
; WaveLimiterHint : 1
; COMPUTE_PGM_RSRC2:SCRATCH_EN: 1
; COMPUTE_PGM_RSRC2:USER_SGPR: 14
; COMPUTE_PGM_RSRC2:TRAP_HANDLER: 0
; COMPUTE_PGM_RSRC2:TGID_X_EN: 1
; COMPUTE_PGM_RSRC2:TGID_Y_EN: 0
; COMPUTE_PGM_RSRC2:TGID_Z_EN: 1
; COMPUTE_PGM_RSRC2:TIDIG_COMP_CNT: 1
	.section	.text._ZN12_GLOBAL__N_120geam_min_plus_kernelIdddLi4ELi64ELi128ELi128ELi4ELi64ELi4ELi4ELi64ELc78ELc78ELb0ELb1ELb0EdKPKdKPdEEviiiT16_PT17_ilS8_ilS6_S8_ilPT18_ili26rocblas_geam_ex_operation_,"axG",@progbits,_ZN12_GLOBAL__N_120geam_min_plus_kernelIdddLi4ELi64ELi128ELi128ELi4ELi64ELi4ELi4ELi64ELc78ELc78ELb0ELb1ELb0EdKPKdKPdEEviiiT16_PT17_ilS8_ilS6_S8_ilPT18_ili26rocblas_geam_ex_operation_,comdat
	.globl	_ZN12_GLOBAL__N_120geam_min_plus_kernelIdddLi4ELi64ELi128ELi128ELi4ELi64ELi4ELi4ELi64ELc78ELc78ELb0ELb1ELb0EdKPKdKPdEEviiiT16_PT17_ilS8_ilS6_S8_ilPT18_ili26rocblas_geam_ex_operation_ ; -- Begin function _ZN12_GLOBAL__N_120geam_min_plus_kernelIdddLi4ELi64ELi128ELi128ELi4ELi64ELi4ELi4ELi64ELc78ELc78ELb0ELb1ELb0EdKPKdKPdEEviiiT16_PT17_ilS8_ilS6_S8_ilPT18_ili26rocblas_geam_ex_operation_
	.p2align	8
	.type	_ZN12_GLOBAL__N_120geam_min_plus_kernelIdddLi4ELi64ELi128ELi128ELi4ELi64ELi4ELi4ELi64ELc78ELc78ELb0ELb1ELb0EdKPKdKPdEEviiiT16_PT17_ilS8_ilS6_S8_ilPT18_ili26rocblas_geam_ex_operation_,@function
_ZN12_GLOBAL__N_120geam_min_plus_kernelIdddLi4ELi64ELi128ELi128ELi4ELi64ELi4ELi4ELi64ELc78ELc78ELb0ELb1ELb0EdKPKdKPdEEviiiT16_PT17_ilS8_ilS6_S8_ilPT18_ili26rocblas_geam_ex_operation_: ; @_ZN12_GLOBAL__N_120geam_min_plus_kernelIdddLi4ELi64ELi128ELi128ELi4ELi64ELi4ELi4ELi64ELc78ELc78ELb0ELb1ELb0EdKPKdKPdEEviiiT16_PT17_ilS8_ilS6_S8_ilPT18_ili26rocblas_geam_ex_operation_
; %bb.0:
	s_clause 0x1
	s_load_b128 s[8:11], s[0:1], 0x10
	s_load_b128 s[4:7], s[0:1], 0x28
	s_mov_b32 s2, s15
	s_mov_b64 s[16:17], 0
	s_waitcnt lgkmcnt(0)
	v_cmp_eq_f64_e64 s15, s[8:9], 0
	s_delay_alu instid0(VALU_DEP_1)
	s_and_b32 vcc_lo, exec_lo, s15
	s_cbranch_vccnz .LBB134_2
; %bb.1:
	s_mov_b32 s3, 0
	s_delay_alu instid0(SALU_CYCLE_1) | instskip(NEXT) | instid1(SALU_CYCLE_1)
	s_lshl_b64 s[12:13], s[2:3], 3
	s_add_u32 s10, s10, s12
	s_addc_u32 s11, s11, s13
	s_lshl_b64 s[4:5], s[4:5], 3
	s_load_b64 s[10:11], s[10:11], 0x0
	s_waitcnt lgkmcnt(0)
	s_add_u32 s16, s10, s4
	s_addc_u32 s17, s11, s5
.LBB134_2:
	s_clause 0x1
	s_load_b128 s[36:39], s[0:1], 0x40
	s_load_b64 s[12:13], s[0:1], 0x50
	s_and_not1_b32 vcc_lo, exec_lo, s15
	s_cbranch_vccnz .LBB134_4
; %bb.3:
	s_mov_b32 s3, 0
	s_mov_b64 s[10:11], 0
	s_cbranch_execz .LBB134_5
	s_branch .LBB134_6
.LBB134_4:
	s_mov_b32 s3, -1
                                        ; implicit-def: $sgpr10_sgpr11
.LBB134_5:
	s_mov_b32 s3, 0
	s_delay_alu instid0(SALU_CYCLE_1) | instskip(NEXT) | instid1(SALU_CYCLE_1)
	s_lshl_b64 s[4:5], s[2:3], 3
	s_add_u32 s4, s6, s4
	s_addc_u32 s5, s7, s5
	s_waitcnt lgkmcnt(0)
	s_lshl_b64 s[6:7], s[36:37], 3
	s_load_b64 s[4:5], s[4:5], 0x0
	s_waitcnt lgkmcnt(0)
	s_add_u32 s10, s4, s6
	s_addc_u32 s11, s5, s7
.LBB134_6:
	s_waitcnt lgkmcnt(0)
	v_cmp_eq_f64_e64 s15, s[38:39], 0
	v_cmp_neq_f64_e64 s36, s[38:39], 0
	s_load_b128 s[4:7], s[0:1], 0x60
	s_mov_b64 s[34:35], 0
	s_delay_alu instid0(VALU_DEP_2)
	s_and_b32 vcc_lo, exec_lo, s15
	s_cbranch_vccnz .LBB134_8
; %bb.7:
	s_lshl_b64 s[18:19], s[2:3], 3
	s_delay_alu instid0(SALU_CYCLE_1)
	s_add_u32 s12, s12, s18
	s_addc_u32 s13, s13, s19
	s_waitcnt lgkmcnt(0)
	s_lshl_b64 s[4:5], s[4:5], 3
	s_load_b64 s[12:13], s[12:13], 0x0
	s_waitcnt lgkmcnt(0)
	s_add_u32 s34, s12, s4
	s_addc_u32 s35, s13, s5
.LBB134_8:
	s_clause 0x1
	s_load_b128 s[40:43], s[0:1], 0x0
	s_load_b32 s18, s[0:1], 0x20
	s_lshl_b64 s[2:3], s[2:3], 3
	s_waitcnt lgkmcnt(0)
	s_mov_b32 s4, 0
	s_add_u32 s2, s6, s2
	s_addc_u32 s3, s7, s3
	v_bfe_u32 v83, v0, 10, 10
	s_load_b64 s[12:13], s[2:3], 0x0
	s_mov_b32 s5, s4
	v_and_b32_e32 v82, 0x3ff, v0
	v_dual_mov_b32 v4, s4 :: v_dual_mov_b32 v5, s5
	v_cmp_eq_f64_e64 s19, s[8:9], 0
	s_delay_alu instid0(VALU_DEP_3) | instskip(NEXT) | instid1(VALU_DEP_1)
	v_lshl_add_u32 v6, v83, 2, v82
	v_lshrrev_b32_e32 v84, 6, v6
	s_add_i32 s2, s40, -1
	s_delay_alu instid0(SALU_CYCLE_1) | instskip(NEXT) | instid1(VALU_DEP_1)
	s_ashr_i32 s3, s2, 31
	v_cmp_le_i32_e32 vcc_lo, s42, v84
	s_lshr_b32 s3, s3, 25
	s_delay_alu instid0(SALU_CYCLE_1) | instskip(NEXT) | instid1(SALU_CYCLE_1)
	s_add_i32 s2, s2, s3
	s_ashr_i32 s2, s2, 7
	s_delay_alu instid0(SALU_CYCLE_1) | instskip(SKIP_2) | instid1(VALU_DEP_1)
	s_add_i32 s3, s2, 1
	s_not_b32 s2, s2
	v_cvt_f32_u32_e32 v0, s3
	v_rcp_iflag_f32_e32 v0, v0
	s_waitcnt_depctr 0xfff
	v_mul_f32_e32 v0, 0x4f7ffffe, v0
	s_delay_alu instid0(VALU_DEP_1) | instskip(NEXT) | instid1(VALU_DEP_1)
	v_cvt_u32_f32_e32 v0, v0
	v_readfirstlane_b32 s4, v0
	s_delay_alu instid0(VALU_DEP_1) | instskip(NEXT) | instid1(SALU_CYCLE_1)
	s_mul_i32 s2, s2, s4
	s_mul_hi_u32 s2, s4, s2
	s_delay_alu instid0(SALU_CYCLE_1) | instskip(NEXT) | instid1(SALU_CYCLE_1)
	s_add_i32 s4, s4, s2
	s_mul_hi_u32 s2, s14, s4
	s_delay_alu instid0(SALU_CYCLE_1) | instskip(SKIP_2) | instid1(SALU_CYCLE_1)
	s_mul_i32 s4, s2, s3
	s_add_i32 s5, s2, 1
	s_sub_i32 s4, s14, s4
	s_sub_i32 s6, s4, s3
	s_cmp_ge_u32 s4, s3
	s_cselect_b32 s2, s5, s2
	s_cselect_b32 s4, s6, s4
	s_add_i32 s5, s2, 1
	s_cmp_ge_u32 s4, s3
	s_cselect_b32 s4, s5, s2
	s_add_i32 s20, s42, -1
	s_mul_i32 s2, s4, s3
	v_min_i32_e32 v2, s20, v84
	s_sub_i32 s2, s14, s2
	s_delay_alu instid0(SALU_CYCLE_1) | instskip(NEXT) | instid1(VALU_DEP_1)
	s_lshl_b32 s14, s2, 7
	v_mad_i64_i32 v[0:1], null, s18, v2, 0
	s_delay_alu instid0(VALU_DEP_1)
	v_lshlrev_b64 v[2:3], 3, v[0:1]
	v_mov_b32_e32 v0, 0
	v_dual_mov_b32 v1, 0 :: v_dual_and_b32 v78, 63, v6
	s_clause 0xa
	scratch_store_b64 off, v[4:5], off
	scratch_store_b64 off, v[4:5], off offset:8
	scratch_store_b64 off, v[4:5], off offset:16
	;; [unrolled: 1-line block ×10, first 2 shown]
	v_add_co_u32 v7, s3, s16, v2
	s_delay_alu instid0(VALU_DEP_1)
	v_add_co_ci_u32_e64 v8, s3, s17, v3, s3
	v_mov_b32_e32 v3, v1
	v_or_b32_e32 v68, s14, v78
	v_mov_b32_e32 v2, v0
	s_clause 0x5
	scratch_store_b64 off, v[4:5], off offset:88
	scratch_store_b64 off, v[4:5], off offset:96
	;; [unrolled: 1-line block ×6, first 2 shown]
	v_cmp_le_i32_e64 s2, s40, v68
	v_ashrrev_i32_e32 v69, 31, v68
	s_clause 0x10
	scratch_store_b64 off, v[4:5], off offset:136
	scratch_store_b64 off, v[4:5], off offset:144
	;; [unrolled: 1-line block ×17, first 2 shown]
	s_or_b32 s3, s2, vcc_lo
	s_clause 0x1
	scratch_store_b64 off, v[4:5], off offset:272
	scratch_store_b64 off, v[4:5], off offset:280
	s_or_b32 s3, s19, s3
	s_clause 0x3
	scratch_store_b64 off, v[4:5], off offset:288
	scratch_store_b64 off, v[4:5], off offset:296
	;; [unrolled: 1-line block ×4, first 2 shown]
	s_xor_b32 s3, s3, -1
	s_clause 0x17
	scratch_store_b64 off, v[4:5], off offset:320
	scratch_store_b64 off, v[4:5], off offset:328
	;; [unrolled: 1-line block ×24, first 2 shown]
	s_and_saveexec_b32 s5, s3
	s_cbranch_execz .LBB134_10
; %bb.9:
	v_lshlrev_b64 v[2:3], 3, v[68:69]
	s_delay_alu instid0(VALU_DEP_1) | instskip(NEXT) | instid1(VALU_DEP_1)
	v_add_co_u32 v2, s3, v7, v2
	v_add_co_ci_u32_e64 v3, s3, v8, v3, s3
	flat_load_b64 v[2:3], v[2:3]
	s_waitcnt vmcnt(0) lgkmcnt(0)
	v_mul_f64 v[2:3], v[2:3], s[8:9]
.LBB134_10:
	s_or_b32 exec_lo, exec_lo, s5
	v_or_b32_e32 v4, 64, v68
	s_delay_alu instid0(VALU_DEP_1) | instskip(SKIP_1) | instid1(VALU_DEP_2)
	v_cmp_le_i32_e64 s3, s40, v4
	v_dual_mov_b32 v5, v1 :: v_dual_mov_b32 v4, v0
	s_or_b32 s5, s3, vcc_lo
	s_delay_alu instid0(SALU_CYCLE_1) | instskip(NEXT) | instid1(SALU_CYCLE_1)
	s_or_b32 s5, s19, s5
	s_xor_b32 s6, s5, -1
	s_delay_alu instid0(SALU_CYCLE_1)
	s_and_saveexec_b32 s5, s6
	s_cbranch_execz .LBB134_12
; %bb.11:
	v_lshlrev_b64 v[4:5], 3, v[68:69]
	s_delay_alu instid0(VALU_DEP_1) | instskip(NEXT) | instid1(VALU_DEP_2)
	v_add_co_u32 v4, vcc_lo, v7, v4
	v_add_co_ci_u32_e32 v5, vcc_lo, v8, v5, vcc_lo
	flat_load_b64 v[4:5], v[4:5] offset:512
	s_waitcnt vmcnt(0) lgkmcnt(0)
	v_mul_f64 v[4:5], v[4:5], s[8:9]
.LBB134_12:
	s_or_b32 exec_lo, exec_lo, s5
	v_and_b32_e32 v85, 3, v82
	v_lshrrev_b32_e32 v8, 2, v6
	s_load_b32 s22, s[0:1], 0x38
	s_lshl_b32 s15, s4, 7
	s_delay_alu instid0(VALU_DEP_2) | instskip(NEXT) | instid1(VALU_DEP_2)
	v_min_i32_e32 v6, s20, v85
	v_add_nc_u32_e32 v79, s15, v8
	v_cmp_le_i32_e32 vcc_lo, s42, v85
	s_delay_alu instid0(VALU_DEP_3) | instskip(NEXT) | instid1(VALU_DEP_3)
	v_ashrrev_i32_e32 v7, 31, v6
	v_cmp_le_i32_e64 s4, s41, v79
	s_delay_alu instid0(VALU_DEP_2) | instskip(NEXT) | instid1(VALU_DEP_2)
	v_lshlrev_b64 v[6:7], 3, v[6:7]
	s_or_b32 s6, vcc_lo, s4
	s_delay_alu instid0(VALU_DEP_1) | instskip(NEXT) | instid1(VALU_DEP_1)
	v_add_co_u32 v9, s5, s10, v6
	v_add_co_ci_u32_e64 v10, s5, s11, v7, s5
	s_or_b32 s5, s19, s6
	s_delay_alu instid0(SALU_CYCLE_1) | instskip(NEXT) | instid1(SALU_CYCLE_1)
	s_xor_b32 s5, s5, -1
	s_and_saveexec_b32 s6, s5
	s_cbranch_execz .LBB134_14
; %bb.13:
	s_waitcnt lgkmcnt(0)
	v_mad_i64_i32 v[0:1], null, v79, s22, 0
	s_delay_alu instid0(VALU_DEP_1) | instskip(NEXT) | instid1(VALU_DEP_1)
	v_lshlrev_b64 v[0:1], 3, v[0:1]
	v_add_co_u32 v0, s5, v9, v0
	s_delay_alu instid0(VALU_DEP_1)
	v_add_co_ci_u32_e64 v1, s5, v10, v1, s5
	flat_load_b64 v[0:1], v[0:1]
	s_waitcnt vmcnt(0) lgkmcnt(0)
	v_mul_f64 v[0:1], v[0:1], s[8:9]
.LBB134_14:
	s_or_b32 exec_lo, exec_lo, s6
	v_add_nc_u32_e32 v80, 64, v79
	v_mov_b32_e32 v70, 0
	v_mov_b32_e32 v71, 0
	s_delay_alu instid0(VALU_DEP_2) | instskip(NEXT) | instid1(VALU_DEP_4)
	v_mov_b32_e32 v6, v70
	v_cmp_le_i32_e64 s5, s41, v80
	s_delay_alu instid0(VALU_DEP_3) | instskip(NEXT) | instid1(VALU_DEP_2)
	v_mov_b32_e32 v7, v71
	s_or_b32 s6, vcc_lo, s5
	s_delay_alu instid0(SALU_CYCLE_1) | instskip(NEXT) | instid1(SALU_CYCLE_1)
	s_or_b32 s6, s19, s6
	s_xor_b32 s7, s6, -1
	s_delay_alu instid0(SALU_CYCLE_1)
	s_and_saveexec_b32 s6, s7
	s_cbranch_execz .LBB134_16
; %bb.15:
	s_waitcnt lgkmcnt(0)
	v_mad_i64_i32 v[6:7], null, v80, s22, 0
	s_delay_alu instid0(VALU_DEP_1) | instskip(NEXT) | instid1(VALU_DEP_1)
	v_lshlrev_b64 v[6:7], 3, v[6:7]
	v_add_co_u32 v6, vcc_lo, v9, v6
	s_delay_alu instid0(VALU_DEP_2)
	v_add_co_ci_u32_e32 v7, vcc_lo, v10, v7, vcc_lo
	flat_load_b64 v[6:7], v[6:7]
	s_waitcnt vmcnt(0) lgkmcnt(0)
	v_mul_f64 v[6:7], v[6:7], s[8:9]
.LBB134_16:
	s_or_b32 exec_lo, exec_lo, s6
	v_add_nc_u32_e32 v11, 4, v84
	s_delay_alu instid0(VALU_DEP_1) | instskip(SKIP_1) | instid1(VALU_DEP_2)
	v_min_i32_e32 v12, s20, v11
	v_cmp_le_i32_e32 vcc_lo, s42, v11
	v_mad_i64_i32 v[9:10], null, s18, v12, 0
	s_or_b32 s7, s2, vcc_lo
	s_delay_alu instid0(VALU_DEP_1) | instskip(NEXT) | instid1(VALU_DEP_1)
	v_lshlrev_b64 v[9:10], 3, v[9:10]
	v_add_co_u32 v9, s6, s16, v9
	s_delay_alu instid0(VALU_DEP_1) | instskip(SKIP_1) | instid1(SALU_CYCLE_1)
	v_add_co_ci_u32_e64 v10, s6, s17, v10, s6
	s_or_b32 s6, s19, s7
	s_xor_b32 s6, s6, -1
	s_delay_alu instid0(SALU_CYCLE_1)
	s_and_saveexec_b32 s7, s6
	s_cbranch_execz .LBB134_18
; %bb.17:
	v_lshlrev_b64 v[11:12], 3, v[68:69]
	s_delay_alu instid0(VALU_DEP_1) | instskip(NEXT) | instid1(VALU_DEP_1)
	v_add_co_u32 v11, s6, v9, v11
	v_add_co_ci_u32_e64 v12, s6, v10, v12, s6
	flat_load_b64 v[11:12], v[11:12]
	s_waitcnt vmcnt(0) lgkmcnt(0)
	v_mul_f64 v[70:71], v[11:12], s[8:9]
.LBB134_18:
	s_or_b32 exec_lo, exec_lo, s7
	v_mov_b32_e32 v74, 0
	v_mov_b32_e32 v75, 0
	s_or_b32 s6, s3, vcc_lo
	s_delay_alu instid0(VALU_DEP_2) | instskip(SKIP_1) | instid1(VALU_DEP_2)
	v_mov_b32_e32 v72, v74
	s_or_b32 s6, s19, s6
	v_mov_b32_e32 v73, v75
	s_xor_b32 s7, s6, -1
	s_delay_alu instid0(SALU_CYCLE_1)
	s_and_saveexec_b32 s6, s7
	s_cbranch_execz .LBB134_20
; %bb.19:
	v_lshlrev_b64 v[11:12], 3, v[68:69]
	s_delay_alu instid0(VALU_DEP_1) | instskip(NEXT) | instid1(VALU_DEP_2)
	v_add_co_u32 v9, vcc_lo, v9, v11
	v_add_co_ci_u32_e32 v10, vcc_lo, v10, v12, vcc_lo
	flat_load_b64 v[9:10], v[9:10] offset:512
	s_waitcnt vmcnt(0) lgkmcnt(0)
	v_mul_f64 v[72:73], v[9:10], s[8:9]
.LBB134_20:
	s_or_b32 exec_lo, exec_lo, s6
	v_or_b32_e32 v11, 4, v85
	s_delay_alu instid0(VALU_DEP_1) | instskip(SKIP_1) | instid1(VALU_DEP_2)
	v_min_i32_e32 v9, s20, v11
	v_cmp_le_i32_e32 vcc_lo, s42, v11
	v_ashrrev_i32_e32 v10, 31, v9
	s_or_b32 s7, vcc_lo, s4
	s_delay_alu instid0(VALU_DEP_1) | instskip(NEXT) | instid1(VALU_DEP_1)
	v_lshlrev_b64 v[9:10], 3, v[9:10]
	v_add_co_u32 v9, s6, s10, v9
	s_delay_alu instid0(VALU_DEP_1) | instskip(SKIP_1) | instid1(SALU_CYCLE_1)
	v_add_co_ci_u32_e64 v10, s6, s11, v10, s6
	s_or_b32 s6, s19, s7
	s_xor_b32 s6, s6, -1
	s_delay_alu instid0(SALU_CYCLE_1)
	s_and_saveexec_b32 s7, s6
	s_cbranch_execz .LBB134_22
; %bb.21:
	s_waitcnt lgkmcnt(0)
	v_mad_i64_i32 v[11:12], null, v79, s22, 0
	s_delay_alu instid0(VALU_DEP_1) | instskip(NEXT) | instid1(VALU_DEP_1)
	v_lshlrev_b64 v[11:12], 3, v[11:12]
	v_add_co_u32 v11, s6, v9, v11
	s_delay_alu instid0(VALU_DEP_1)
	v_add_co_ci_u32_e64 v12, s6, v10, v12, s6
	flat_load_b64 v[11:12], v[11:12]
	s_waitcnt vmcnt(0) lgkmcnt(0)
	v_mul_f64 v[74:75], v[11:12], s[8:9]
.LBB134_22:
	s_or_b32 exec_lo, exec_lo, s7
	s_or_b32 s6, vcc_lo, s5
	v_mov_b32_e32 v76, 0
	v_mov_b32_e32 v77, 0
	s_or_b32 s6, s19, s6
	s_delay_alu instid0(SALU_CYCLE_1) | instskip(NEXT) | instid1(SALU_CYCLE_1)
	s_xor_b32 s7, s6, -1
	s_and_saveexec_b32 s6, s7
	s_cbranch_execz .LBB134_24
; %bb.23:
	s_waitcnt lgkmcnt(0)
	v_mad_i64_i32 v[11:12], null, v80, s22, 0
	s_delay_alu instid0(VALU_DEP_1) | instskip(NEXT) | instid1(VALU_DEP_1)
	v_lshlrev_b64 v[11:12], 3, v[11:12]
	v_add_co_u32 v9, vcc_lo, v9, v11
	s_delay_alu instid0(VALU_DEP_2)
	v_add_co_ci_u32_e32 v10, vcc_lo, v10, v12, vcc_lo
	flat_load_b64 v[9:10], v[9:10]
	s_waitcnt vmcnt(0) lgkmcnt(0)
	v_mul_f64 v[76:77], v[9:10], s[8:9]
.LBB134_24:
	s_or_b32 exec_lo, exec_lo, s6
	v_dual_mov_b32 v92, 8 :: v_dual_lshlrev_b32 v9, 3, v84
	v_dual_mov_b32 v91, 0 :: v_dual_lshlrev_b32 v10, 3, v85
	;; [unrolled: 1-line block ×3, first 2 shown]
	s_delay_alu instid0(VALU_DEP_3) | instskip(NEXT) | instid1(VALU_DEP_3)
	v_lshl_add_u32 v87, v78, 5, v9
	v_lshl_or_b32 v81, v8, 5, v10
	s_delay_alu instid0(VALU_DEP_3)
	v_dual_mov_b32 v95, 32 :: v_dual_add_nc_u32 v48, 0x800, v86
	v_dual_mov_b32 v97, 48 :: v_dual_lshlrev_b32 v88, 5, v83
	ds_store_2addr_stride64_b64 v87, v[2:3], v[4:5] offset1:4
	ds_store_2addr_stride64_b64 v81, v[0:1], v[6:7] offset0:16 offset1:20
	s_waitcnt lgkmcnt(0)
	s_waitcnt_vscnt null, 0x0
	s_barrier
	buffer_gl0_inv
	ds_load_2addr_b64 v[0:3], v86 offset1:16
	ds_load_2addr_b64 v[4:7], v86 offset0:32 offset1:48
	ds_load_2addr_b64 v[8:11], v86 offset0:64 offset1:80
	;; [unrolled: 1-line block ×4, first 2 shown]
	ds_load_2addr_b64 v[20:23], v48 offset1:16
	ds_load_2addr_b64 v[24:27], v48 offset0:32 offset1:48
	ds_load_2addr_b64 v[28:31], v48 offset0:64 offset1:80
	;; [unrolled: 1-line block ×10, first 2 shown]
	ds_load_2addr_stride64_b64 v[64:67], v88 offset0:16 offset1:20
	v_dual_mov_b32 v94, 24 :: v_dual_add_nc_u32 v89, 0x2000, v81
	v_dual_mov_b32 v99, 64 :: v_dual_add_nc_u32 v90, 0x2000, v88
	v_dual_mov_b32 v96, 40 :: v_dual_mov_b32 v101, 0x50
	v_dual_mov_b32 v98, 56 :: v_dual_mov_b32 v103, 0x60
	v_mov_b32_e32 v100, 0x48
	v_mov_b32_e32 v102, 0x58
	;; [unrolled: 1-line block ×21, first 2 shown]
	s_mov_b64 s[6:7], 0
	s_mov_b32 s21, -1
.LBB134_25:                             ; =>This Inner Loop Header: Depth=1
	scratch_load_b64 v[123:124], v91, off
	scratch_load_b64 v[125:126], v92, off
	;; [unrolled: 1-line block ×32, first 2 shown]
	s_cmp_eq_u32 s6, 1
	s_waitcnt lgkmcnt(16)
	v_max_f64 v[189:190], v[0:1], v[0:1]
	s_cselect_b32 vcc_lo, -1, 0
	v_max_f64 v[191:192], v[2:3], v[2:3]
	s_waitcnt lgkmcnt(0)
	v_dual_cndmask_b32 v188, v65, v67 :: v_dual_cndmask_b32 v187, v64, v66
	v_max_f64 v[193:194], v[4:5], v[4:5]
	v_max_f64 v[195:196], v[6:7], v[6:7]
	;; [unrolled: 1-line block ×31, first 2 shown]
	s_mov_b64 s[6:7], 1
	s_and_b32 vcc_lo, exec_lo, s21
	s_mov_b32 s21, 0
	v_min_f64 v[189:190], v[189:190], v[187:188]
	v_min_f64 v[191:192], v[191:192], v[187:188]
	;; [unrolled: 1-line block ×32, first 2 shown]
	s_waitcnt vmcnt(31)
	v_add_f64 v[123:124], v[123:124], v[189:190]
	s_waitcnt vmcnt(30)
	v_add_f64 v[125:126], v[191:192], v[125:126]
	;; [unrolled: 2-line block ×32, first 2 shown]
	scratch_store_b64 v91, v[123:124], off
	scratch_store_b64 v92, v[125:126], off
	;; [unrolled: 1-line block ×32, first 2 shown]
	v_mov_b32_e32 v91, 0x100
	v_mov_b32_e32 v92, 0x108
	;; [unrolled: 1-line block ×32, first 2 shown]
	s_cbranch_vccnz .LBB134_25
; %bb.26:
	v_dual_mov_b32 v91, 0 :: v_dual_add_nc_u32 v60, 0x800, v86
	ds_load_2addr_b64 v[0:3], v86 offset0:1 offset1:17
	ds_load_2addr_b64 v[4:7], v86 offset0:33 offset1:49
	;; [unrolled: 1-line block ×12, first 2 shown]
	v_dual_mov_b32 v93, 16 :: v_dual_add_nc_u32 v64, 8, v90
	ds_load_2addr_b64 v[48:51], v60 offset0:129 offset1:145
	ds_load_2addr_b64 v[52:55], v60 offset0:161 offset1:177
	;; [unrolled: 1-line block ×4, first 2 shown]
	ds_load_2addr_stride64_b64 v[64:67], v64 offset1:4
	v_dual_mov_b32 v92, 8 :: v_dual_mov_b32 v95, 32
	v_dual_mov_b32 v94, 24 :: v_dual_mov_b32 v97, 48
	;; [unrolled: 1-line block ×4, first 2 shown]
	v_mov_b32_e32 v100, 0x48
	v_mov_b32_e32 v102, 0x58
	;; [unrolled: 1-line block ×22, first 2 shown]
	s_mov_b64 s[6:7], 0
	s_mov_b32 s21, -1
.LBB134_27:                             ; =>This Inner Loop Header: Depth=1
	scratch_load_b64 v[123:124], v91, off
	scratch_load_b64 v[125:126], v92, off
	;; [unrolled: 1-line block ×32, first 2 shown]
	s_cmp_eq_u32 s6, 1
	s_waitcnt lgkmcnt(16)
	v_max_f64 v[189:190], v[0:1], v[0:1]
	s_cselect_b32 vcc_lo, -1, 0
	v_max_f64 v[191:192], v[2:3], v[2:3]
	s_waitcnt lgkmcnt(0)
	v_dual_cndmask_b32 v188, v65, v67 :: v_dual_cndmask_b32 v187, v64, v66
	v_max_f64 v[193:194], v[4:5], v[4:5]
	v_max_f64 v[195:196], v[6:7], v[6:7]
	;; [unrolled: 1-line block ×31, first 2 shown]
	s_mov_b64 s[6:7], 1
	s_and_b32 vcc_lo, exec_lo, s21
	s_mov_b32 s21, 0
	v_min_f64 v[189:190], v[189:190], v[187:188]
	v_min_f64 v[191:192], v[191:192], v[187:188]
	v_min_f64 v[193:194], v[193:194], v[187:188]
	v_min_f64 v[195:196], v[195:196], v[187:188]
	v_min_f64 v[197:198], v[197:198], v[187:188]
	v_min_f64 v[199:200], v[199:200], v[187:188]
	v_min_f64 v[201:202], v[201:202], v[187:188]
	v_min_f64 v[203:204], v[203:204], v[187:188]
	v_min_f64 v[205:206], v[205:206], v[187:188]
	v_min_f64 v[207:208], v[207:208], v[187:188]
	v_min_f64 v[209:210], v[209:210], v[187:188]
	v_min_f64 v[211:212], v[211:212], v[187:188]
	v_min_f64 v[213:214], v[213:214], v[187:188]
	v_min_f64 v[215:216], v[215:216], v[187:188]
	v_min_f64 v[217:218], v[217:218], v[187:188]
	v_min_f64 v[219:220], v[219:220], v[187:188]
	v_min_f64 v[221:222], v[221:222], v[187:188]
	v_min_f64 v[223:224], v[223:224], v[187:188]
	v_min_f64 v[225:226], v[225:226], v[187:188]
	v_min_f64 v[227:228], v[227:228], v[187:188]
	v_min_f64 v[229:230], v[229:230], v[187:188]
	v_min_f64 v[231:232], v[231:232], v[187:188]
	v_min_f64 v[233:234], v[233:234], v[187:188]
	v_min_f64 v[235:236], v[235:236], v[187:188]
	v_min_f64 v[237:238], v[237:238], v[187:188]
	v_min_f64 v[239:240], v[239:240], v[187:188]
	v_min_f64 v[241:242], v[241:242], v[187:188]
	v_min_f64 v[243:244], v[243:244], v[187:188]
	v_min_f64 v[245:246], v[245:246], v[187:188]
	v_min_f64 v[247:248], v[247:248], v[187:188]
	v_min_f64 v[249:250], v[249:250], v[187:188]
	v_min_f64 v[187:188], v[251:252], v[187:188]
	s_waitcnt vmcnt(31)
	v_add_f64 v[123:124], v[123:124], v[189:190]
	s_waitcnt vmcnt(30)
	v_add_f64 v[125:126], v[191:192], v[125:126]
	s_waitcnt vmcnt(29)
	v_add_f64 v[127:128], v[193:194], v[127:128]
	s_waitcnt vmcnt(28)
	v_add_f64 v[129:130], v[195:196], v[129:130]
	s_waitcnt vmcnt(27)
	v_add_f64 v[131:132], v[197:198], v[131:132]
	s_waitcnt vmcnt(26)
	v_add_f64 v[133:134], v[199:200], v[133:134]
	s_waitcnt vmcnt(25)
	v_add_f64 v[135:136], v[201:202], v[135:136]
	s_waitcnt vmcnt(24)
	v_add_f64 v[137:138], v[203:204], v[137:138]
	s_waitcnt vmcnt(23)
	v_add_f64 v[139:140], v[205:206], v[139:140]
	s_waitcnt vmcnt(22)
	v_add_f64 v[141:142], v[207:208], v[141:142]
	s_waitcnt vmcnt(21)
	v_add_f64 v[143:144], v[209:210], v[143:144]
	s_waitcnt vmcnt(20)
	v_add_f64 v[145:146], v[211:212], v[145:146]
	s_waitcnt vmcnt(19)
	v_add_f64 v[147:148], v[213:214], v[147:148]
	s_waitcnt vmcnt(18)
	v_add_f64 v[149:150], v[215:216], v[149:150]
	s_waitcnt vmcnt(17)
	v_add_f64 v[151:152], v[217:218], v[151:152]
	s_waitcnt vmcnt(16)
	v_add_f64 v[153:154], v[219:220], v[153:154]
	s_waitcnt vmcnt(15)
	v_add_f64 v[155:156], v[221:222], v[155:156]
	s_waitcnt vmcnt(14)
	v_add_f64 v[157:158], v[223:224], v[157:158]
	s_waitcnt vmcnt(13)
	v_add_f64 v[159:160], v[225:226], v[159:160]
	s_waitcnt vmcnt(12)
	v_add_f64 v[161:162], v[227:228], v[161:162]
	s_waitcnt vmcnt(11)
	v_add_f64 v[163:164], v[229:230], v[163:164]
	s_waitcnt vmcnt(10)
	v_add_f64 v[165:166], v[231:232], v[165:166]
	s_waitcnt vmcnt(9)
	v_add_f64 v[167:168], v[233:234], v[167:168]
	s_waitcnt vmcnt(8)
	v_add_f64 v[169:170], v[235:236], v[169:170]
	s_waitcnt vmcnt(7)
	v_add_f64 v[171:172], v[237:238], v[171:172]
	s_waitcnt vmcnt(6)
	v_add_f64 v[173:174], v[239:240], v[173:174]
	s_waitcnt vmcnt(5)
	v_add_f64 v[175:176], v[241:242], v[175:176]
	s_waitcnt vmcnt(4)
	v_add_f64 v[177:178], v[243:244], v[177:178]
	s_waitcnt vmcnt(3)
	v_add_f64 v[179:180], v[245:246], v[179:180]
	s_waitcnt vmcnt(2)
	v_add_f64 v[181:182], v[247:248], v[181:182]
	s_waitcnt vmcnt(1)
	v_add_f64 v[183:184], v[249:250], v[183:184]
	s_waitcnt vmcnt(0)
	v_add_f64 v[185:186], v[187:188], v[185:186]
	scratch_store_b64 v91, v[123:124], off
	scratch_store_b64 v92, v[125:126], off
	;; [unrolled: 1-line block ×32, first 2 shown]
	v_mov_b32_e32 v91, 0x100
	v_mov_b32_e32 v92, 0x108
	;; [unrolled: 1-line block ×32, first 2 shown]
	s_cbranch_vccnz .LBB134_27
; %bb.28:
	v_dual_mov_b32 v91, 0 :: v_dual_add_nc_u32 v60, 0x800, v86
	ds_load_2addr_b64 v[0:3], v86 offset0:2 offset1:18
	ds_load_2addr_b64 v[4:7], v86 offset0:34 offset1:50
	;; [unrolled: 1-line block ×12, first 2 shown]
	v_dual_mov_b32 v93, 16 :: v_dual_add_nc_u32 v64, 16, v90
	ds_load_2addr_b64 v[48:51], v60 offset0:130 offset1:146
	ds_load_2addr_b64 v[52:55], v60 offset0:162 offset1:178
	;; [unrolled: 1-line block ×4, first 2 shown]
	ds_load_2addr_stride64_b64 v[64:67], v64 offset1:4
	v_dual_mov_b32 v92, 8 :: v_dual_mov_b32 v95, 32
	v_dual_mov_b32 v94, 24 :: v_dual_mov_b32 v97, 48
	v_dual_mov_b32 v96, 40 :: v_dual_mov_b32 v99, 64
	v_dual_mov_b32 v98, 56 :: v_dual_mov_b32 v101, 0x50
	v_mov_b32_e32 v100, 0x48
	v_mov_b32_e32 v102, 0x58
	;; [unrolled: 1-line block ×22, first 2 shown]
	s_mov_b64 s[6:7], 0
	s_mov_b32 s21, -1
.LBB134_29:                             ; =>This Inner Loop Header: Depth=1
	scratch_load_b64 v[123:124], v91, off
	scratch_load_b64 v[125:126], v92, off
	scratch_load_b64 v[127:128], v93, off
	scratch_load_b64 v[129:130], v94, off
	scratch_load_b64 v[131:132], v95, off
	scratch_load_b64 v[133:134], v96, off
	scratch_load_b64 v[135:136], v97, off
	scratch_load_b64 v[137:138], v98, off
	scratch_load_b64 v[139:140], v99, off
	scratch_load_b64 v[141:142], v100, off
	scratch_load_b64 v[143:144], v101, off
	scratch_load_b64 v[145:146], v102, off
	scratch_load_b64 v[147:148], v103, off
	scratch_load_b64 v[149:150], v104, off
	scratch_load_b64 v[151:152], v105, off
	scratch_load_b64 v[153:154], v106, off
	scratch_load_b64 v[155:156], v107, off
	scratch_load_b64 v[157:158], v108, off
	scratch_load_b64 v[159:160], v109, off
	scratch_load_b64 v[161:162], v110, off
	scratch_load_b64 v[163:164], v111, off
	scratch_load_b64 v[165:166], v112, off
	scratch_load_b64 v[167:168], v113, off
	scratch_load_b64 v[169:170], v114, off
	scratch_load_b64 v[171:172], v115, off
	scratch_load_b64 v[173:174], v116, off
	scratch_load_b64 v[175:176], v117, off
	scratch_load_b64 v[177:178], v118, off
	scratch_load_b64 v[179:180], v119, off
	scratch_load_b64 v[181:182], v120, off
	scratch_load_b64 v[183:184], v121, off
	scratch_load_b64 v[185:186], v122, off
	s_cmp_eq_u32 s6, 1
	s_waitcnt lgkmcnt(16)
	v_max_f64 v[189:190], v[0:1], v[0:1]
	s_cselect_b32 vcc_lo, -1, 0
	v_max_f64 v[191:192], v[2:3], v[2:3]
	s_waitcnt lgkmcnt(0)
	v_dual_cndmask_b32 v188, v65, v67 :: v_dual_cndmask_b32 v187, v64, v66
	v_max_f64 v[193:194], v[4:5], v[4:5]
	v_max_f64 v[195:196], v[6:7], v[6:7]
	v_max_f64 v[197:198], v[8:9], v[8:9]
	v_max_f64 v[199:200], v[10:11], v[10:11]
	v_max_f64 v[187:188], v[187:188], v[187:188]
	v_max_f64 v[201:202], v[12:13], v[12:13]
	v_max_f64 v[203:204], v[14:15], v[14:15]
	v_max_f64 v[205:206], v[16:17], v[16:17]
	v_max_f64 v[207:208], v[18:19], v[18:19]
	v_max_f64 v[209:210], v[20:21], v[20:21]
	v_max_f64 v[211:212], v[22:23], v[22:23]
	v_max_f64 v[213:214], v[24:25], v[24:25]
	v_max_f64 v[215:216], v[26:27], v[26:27]
	v_max_f64 v[217:218], v[28:29], v[28:29]
	v_max_f64 v[219:220], v[30:31], v[30:31]
	v_max_f64 v[221:222], v[32:33], v[32:33]
	v_max_f64 v[223:224], v[34:35], v[34:35]
	v_max_f64 v[225:226], v[36:37], v[36:37]
	v_max_f64 v[227:228], v[38:39], v[38:39]
	v_max_f64 v[229:230], v[40:41], v[40:41]
	v_max_f64 v[231:232], v[42:43], v[42:43]
	v_max_f64 v[233:234], v[44:45], v[44:45]
	v_max_f64 v[235:236], v[46:47], v[46:47]
	v_max_f64 v[237:238], v[48:49], v[48:49]
	v_max_f64 v[239:240], v[50:51], v[50:51]
	v_max_f64 v[241:242], v[52:53], v[52:53]
	v_max_f64 v[243:244], v[54:55], v[54:55]
	v_max_f64 v[245:246], v[56:57], v[56:57]
	v_max_f64 v[247:248], v[58:59], v[58:59]
	v_max_f64 v[249:250], v[60:61], v[60:61]
	v_max_f64 v[251:252], v[62:63], v[62:63]
	s_mov_b64 s[6:7], 1
	s_and_b32 vcc_lo, exec_lo, s21
	s_mov_b32 s21, 0
	v_min_f64 v[189:190], v[189:190], v[187:188]
	v_min_f64 v[191:192], v[191:192], v[187:188]
	;; [unrolled: 1-line block ×32, first 2 shown]
	s_waitcnt vmcnt(31)
	v_add_f64 v[123:124], v[123:124], v[189:190]
	s_waitcnt vmcnt(30)
	v_add_f64 v[125:126], v[191:192], v[125:126]
	s_waitcnt vmcnt(29)
	v_add_f64 v[127:128], v[193:194], v[127:128]
	s_waitcnt vmcnt(28)
	v_add_f64 v[129:130], v[195:196], v[129:130]
	s_waitcnt vmcnt(27)
	v_add_f64 v[131:132], v[197:198], v[131:132]
	s_waitcnt vmcnt(26)
	v_add_f64 v[133:134], v[199:200], v[133:134]
	s_waitcnt vmcnt(25)
	v_add_f64 v[135:136], v[201:202], v[135:136]
	s_waitcnt vmcnt(24)
	v_add_f64 v[137:138], v[203:204], v[137:138]
	s_waitcnt vmcnt(23)
	v_add_f64 v[139:140], v[205:206], v[139:140]
	s_waitcnt vmcnt(22)
	v_add_f64 v[141:142], v[207:208], v[141:142]
	s_waitcnt vmcnt(21)
	v_add_f64 v[143:144], v[209:210], v[143:144]
	s_waitcnt vmcnt(20)
	v_add_f64 v[145:146], v[211:212], v[145:146]
	s_waitcnt vmcnt(19)
	v_add_f64 v[147:148], v[213:214], v[147:148]
	s_waitcnt vmcnt(18)
	v_add_f64 v[149:150], v[215:216], v[149:150]
	s_waitcnt vmcnt(17)
	v_add_f64 v[151:152], v[217:218], v[151:152]
	s_waitcnt vmcnt(16)
	v_add_f64 v[153:154], v[219:220], v[153:154]
	s_waitcnt vmcnt(15)
	v_add_f64 v[155:156], v[221:222], v[155:156]
	s_waitcnt vmcnt(14)
	v_add_f64 v[157:158], v[223:224], v[157:158]
	s_waitcnt vmcnt(13)
	v_add_f64 v[159:160], v[225:226], v[159:160]
	s_waitcnt vmcnt(12)
	v_add_f64 v[161:162], v[227:228], v[161:162]
	s_waitcnt vmcnt(11)
	v_add_f64 v[163:164], v[229:230], v[163:164]
	s_waitcnt vmcnt(10)
	v_add_f64 v[165:166], v[231:232], v[165:166]
	s_waitcnt vmcnt(9)
	v_add_f64 v[167:168], v[233:234], v[167:168]
	s_waitcnt vmcnt(8)
	v_add_f64 v[169:170], v[235:236], v[169:170]
	s_waitcnt vmcnt(7)
	v_add_f64 v[171:172], v[237:238], v[171:172]
	s_waitcnt vmcnt(6)
	v_add_f64 v[173:174], v[239:240], v[173:174]
	s_waitcnt vmcnt(5)
	v_add_f64 v[175:176], v[241:242], v[175:176]
	s_waitcnt vmcnt(4)
	v_add_f64 v[177:178], v[243:244], v[177:178]
	s_waitcnt vmcnt(3)
	v_add_f64 v[179:180], v[245:246], v[179:180]
	s_waitcnt vmcnt(2)
	v_add_f64 v[181:182], v[247:248], v[181:182]
	s_waitcnt vmcnt(1)
	v_add_f64 v[183:184], v[249:250], v[183:184]
	s_waitcnt vmcnt(0)
	v_add_f64 v[185:186], v[187:188], v[185:186]
	scratch_store_b64 v91, v[123:124], off
	scratch_store_b64 v92, v[125:126], off
	;; [unrolled: 1-line block ×32, first 2 shown]
	v_mov_b32_e32 v91, 0x100
	v_mov_b32_e32 v92, 0x108
	;; [unrolled: 1-line block ×32, first 2 shown]
	s_cbranch_vccnz .LBB134_29
; %bb.30:
	v_dual_mov_b32 v91, 0 :: v_dual_add_nc_u32 v60, 0x800, v86
	ds_load_2addr_b64 v[0:3], v86 offset0:3 offset1:19
	ds_load_2addr_b64 v[4:7], v86 offset0:35 offset1:51
	;; [unrolled: 1-line block ×12, first 2 shown]
	v_dual_mov_b32 v93, 16 :: v_dual_add_nc_u32 v64, 24, v90
	ds_load_2addr_b64 v[48:51], v60 offset0:131 offset1:147
	ds_load_2addr_b64 v[52:55], v60 offset0:163 offset1:179
	;; [unrolled: 1-line block ×4, first 2 shown]
	ds_load_2addr_stride64_b64 v[64:67], v64 offset1:4
	v_dual_mov_b32 v92, 8 :: v_dual_mov_b32 v95, 32
	v_dual_mov_b32 v94, 24 :: v_dual_mov_b32 v97, 48
	;; [unrolled: 1-line block ×4, first 2 shown]
	v_mov_b32_e32 v100, 0x48
	v_mov_b32_e32 v102, 0x58
	;; [unrolled: 1-line block ×22, first 2 shown]
	s_mov_b64 s[6:7], 0
	s_mov_b32 s21, -1
.LBB134_31:                             ; =>This Inner Loop Header: Depth=1
	scratch_load_b64 v[123:124], v91, off
	scratch_load_b64 v[125:126], v92, off
	;; [unrolled: 1-line block ×32, first 2 shown]
	s_cmp_eq_u32 s6, 1
	s_waitcnt lgkmcnt(16)
	v_max_f64 v[189:190], v[0:1], v[0:1]
	s_cselect_b32 vcc_lo, -1, 0
	v_max_f64 v[191:192], v[2:3], v[2:3]
	s_waitcnt lgkmcnt(0)
	v_dual_cndmask_b32 v188, v65, v67 :: v_dual_cndmask_b32 v187, v64, v66
	v_max_f64 v[193:194], v[4:5], v[4:5]
	v_max_f64 v[195:196], v[6:7], v[6:7]
	;; [unrolled: 1-line block ×31, first 2 shown]
	s_mov_b64 s[6:7], 1
	s_and_b32 vcc_lo, exec_lo, s21
	s_mov_b32 s21, 0
	v_min_f64 v[189:190], v[189:190], v[187:188]
	v_min_f64 v[191:192], v[191:192], v[187:188]
	;; [unrolled: 1-line block ×32, first 2 shown]
	s_waitcnt vmcnt(31)
	v_add_f64 v[123:124], v[123:124], v[189:190]
	s_waitcnt vmcnt(30)
	v_add_f64 v[125:126], v[191:192], v[125:126]
	;; [unrolled: 2-line block ×32, first 2 shown]
	scratch_store_b64 v91, v[123:124], off
	scratch_store_b64 v92, v[125:126], off
	;; [unrolled: 1-line block ×32, first 2 shown]
	v_mov_b32_e32 v91, 0x100
	v_mov_b32_e32 v92, 0x108
	;; [unrolled: 1-line block ×32, first 2 shown]
	s_cbranch_vccnz .LBB134_31
; %bb.32:
	v_lshlrev_b32_e32 v0, 5, v78
	s_mov_b32 s21, 8
	s_cmp_gt_i32 s42, 8
	ds_store_2addr_stride64_b64 v81, v[74:75], v[76:77] offset0:24 offset1:28
	v_lshl_add_u32 v0, v84, 3, v0
	ds_store_2addr_stride64_b64 v0, v[70:71], v[72:73] offset0:8 offset1:12
	s_waitcnt lgkmcnt(0)
	s_waitcnt_vscnt null, 0x0
	s_barrier
	buffer_gl0_inv
	s_cbranch_scc0 .LBB134_67
; %bb.33:
	v_mad_i64_i32 v[1:2], null, v79, s22, 0
	v_mad_i64_i32 v[3:4], null, v80, s22, 0
	v_lshl_add_u32 v93, v82, 5, 0x1000
	v_lshlrev_b64 v[68:69], 3, v[68:69]
	v_or_b32_e32 v91, 0x1000, v0
	v_add_nc_u32_e32 v92, 0x3000, v81
	v_lshlrev_b64 v[70:71], 3, v[1:2]
	v_lshl_add_u32 v94, v83, 5, 0x3000
	v_lshlrev_b64 v[72:73], 3, v[3:4]
	v_add_nc_u32_e32 v95, 0x800, v93
	s_add_i32 s22, s42, -8
	s_mov_b32 s23, 0
.LBB134_34:                             ; =>This Loop Header: Depth=1
                                        ;     Child Loop BB134_43 Depth 2
                                        ;     Child Loop BB134_45 Depth 2
	;; [unrolled: 1-line block ×8, first 2 shown]
	v_add_nc_u32_e32 v2, s21, v84
	v_mov_b32_e32 v74, 0
	v_mov_b32_e32 v75, 0
	s_delay_alu instid0(VALU_DEP_3) | instskip(SKIP_1) | instid1(VALU_DEP_3)
	v_min_i32_e32 v3, s20, v2
	v_cmp_le_i32_e32 vcc_lo, s42, v2
	v_dual_mov_b32 v77, v75 :: v_dual_mov_b32 v76, v74
	s_delay_alu instid0(VALU_DEP_3) | instskip(SKIP_1) | instid1(VALU_DEP_1)
	v_mad_i64_i32 v[0:1], null, v3, s18, 0
	s_or_b32 s7, s2, vcc_lo
	v_lshlrev_b64 v[0:1], 3, v[0:1]
	s_delay_alu instid0(VALU_DEP_1) | instskip(NEXT) | instid1(VALU_DEP_1)
	v_add_co_u32 v0, s6, s16, v0
	v_add_co_ci_u32_e64 v1, s6, s17, v1, s6
	s_or_b32 s6, s19, s7
	s_delay_alu instid0(SALU_CYCLE_1) | instskip(NEXT) | instid1(SALU_CYCLE_1)
	s_xor_b32 s6, s6, -1
	s_and_saveexec_b32 s7, s6
	s_cbranch_execz .LBB134_36
; %bb.35:                               ;   in Loop: Header=BB134_34 Depth=1
	v_add_co_u32 v2, s6, v0, v68
	s_delay_alu instid0(VALU_DEP_1)
	v_add_co_ci_u32_e64 v3, s6, v1, v69, s6
	flat_load_b64 v[2:3], v[2:3]
	s_waitcnt vmcnt(0) lgkmcnt(0)
	v_mul_f64 v[76:77], v[2:3], s[8:9]
.LBB134_36:                             ;   in Loop: Header=BB134_34 Depth=1
	s_or_b32 exec_lo, exec_lo, s7
	s_or_b32 s6, s3, vcc_lo
	s_delay_alu instid0(SALU_CYCLE_1) | instskip(NEXT) | instid1(SALU_CYCLE_1)
	s_or_b32 s6, s19, s6
	s_xor_b32 s7, s6, -1
	s_delay_alu instid0(SALU_CYCLE_1)
	s_and_saveexec_b32 s6, s7
	s_cbranch_execz .LBB134_38
; %bb.37:                               ;   in Loop: Header=BB134_34 Depth=1
	v_add_co_u32 v0, vcc_lo, v0, v68
	v_add_co_ci_u32_e32 v1, vcc_lo, v1, v69, vcc_lo
	flat_load_b64 v[0:1], v[0:1] offset:512
	s_waitcnt vmcnt(0) lgkmcnt(0)
	v_mul_f64 v[74:75], v[0:1], s[8:9]
.LBB134_38:                             ;   in Loop: Header=BB134_34 Depth=1
	s_or_b32 exec_lo, exec_lo, s6
	v_or_b32_e32 v96, s21, v85
	v_mov_b32_e32 v78, 0
	v_mov_b32_e32 v79, 0
	s_delay_alu instid0(VALU_DEP_3) | instskip(SKIP_1) | instid1(VALU_DEP_3)
	v_min_i32_e32 v0, s20, v96
	v_cmp_le_i32_e32 vcc_lo, s42, v96
	v_dual_mov_b32 v81, v79 :: v_dual_mov_b32 v80, v78
	s_delay_alu instid0(VALU_DEP_3) | instskip(SKIP_1) | instid1(VALU_DEP_1)
	v_ashrrev_i32_e32 v1, 31, v0
	s_or_b32 s7, s4, vcc_lo
	v_lshlrev_b64 v[0:1], 3, v[0:1]
	s_delay_alu instid0(VALU_DEP_1) | instskip(NEXT) | instid1(VALU_DEP_1)
	v_add_co_u32 v0, s6, s10, v0
	v_add_co_ci_u32_e64 v1, s6, s11, v1, s6
	s_or_b32 s6, s19, s7
	s_delay_alu instid0(SALU_CYCLE_1) | instskip(NEXT) | instid1(SALU_CYCLE_1)
	s_xor_b32 s6, s6, -1
	s_and_saveexec_b32 s7, s6
	s_cbranch_execz .LBB134_40
; %bb.39:                               ;   in Loop: Header=BB134_34 Depth=1
	v_add_co_u32 v2, s6, v0, v70
	s_delay_alu instid0(VALU_DEP_1)
	v_add_co_ci_u32_e64 v3, s6, v1, v71, s6
	flat_load_b64 v[2:3], v[2:3]
	s_waitcnt vmcnt(0) lgkmcnt(0)
	v_mul_f64 v[80:81], v[2:3], s[8:9]
.LBB134_40:                             ;   in Loop: Header=BB134_34 Depth=1
	s_or_b32 exec_lo, exec_lo, s7
	s_or_b32 s6, s5, vcc_lo
	s_delay_alu instid0(SALU_CYCLE_1) | instskip(NEXT) | instid1(SALU_CYCLE_1)
	s_or_b32 s6, s19, s6
	s_xor_b32 s7, s6, -1
	s_delay_alu instid0(SALU_CYCLE_1)
	s_and_saveexec_b32 s6, s7
	s_cbranch_execz .LBB134_42
; %bb.41:                               ;   in Loop: Header=BB134_34 Depth=1
	v_add_co_u32 v0, vcc_lo, v0, v72
	v_add_co_ci_u32_e32 v1, vcc_lo, v1, v73, vcc_lo
	flat_load_b64 v[0:1], v[0:1]
	s_waitcnt vmcnt(0) lgkmcnt(0)
	v_mul_f64 v[78:79], v[0:1], s[8:9]
.LBB134_42:                             ;   in Loop: Header=BB134_34 Depth=1
	s_or_b32 exec_lo, exec_lo, s6
	ds_load_2addr_b64 v[0:3], v93 offset1:16
	ds_load_2addr_b64 v[4:7], v93 offset0:32 offset1:48
	ds_load_2addr_b64 v[8:11], v93 offset0:64 offset1:80
	;; [unrolled: 1-line block ×7, first 2 shown]
	ds_load_2addr_b64 v[32:35], v95 offset1:16
	ds_load_2addr_b64 v[36:39], v95 offset0:32 offset1:48
	ds_load_2addr_b64 v[40:43], v95 offset0:64 offset1:80
	;; [unrolled: 1-line block ×7, first 2 shown]
	ds_load_2addr_stride64_b64 v[64:67], v94 offset1:4
	v_dual_mov_b32 v128, 0 :: v_dual_mov_b32 v127, 8
	v_dual_mov_b32 v126, 16 :: v_dual_mov_b32 v125, 24
	;; [unrolled: 1-line block ×5, first 2 shown]
	v_mov_b32_e32 v118, 0x50
	v_mov_b32_e32 v117, 0x58
	;; [unrolled: 1-line block ×22, first 2 shown]
	s_mov_b64 s[6:7], 0
	s_mov_b32 s24, -1
.LBB134_43:                             ;   Parent Loop BB134_34 Depth=1
                                        ; =>  This Inner Loop Header: Depth=2
	scratch_load_b64 v[133:134], v128, off
	s_cmp_eq_u32 s6, 1
	s_waitcnt lgkmcnt(16)
	v_max_f64 v[131:132], v[0:1], v[0:1]
	s_cselect_b32 vcc_lo, -1, 0
	s_mov_b64 s[6:7], 1
	s_waitcnt lgkmcnt(0)
	v_dual_cndmask_b32 v130, v65, v67 :: v_dual_cndmask_b32 v129, v64, v66
	s_and_b32 vcc_lo, exec_lo, s24
	s_mov_b32 s24, 0
	s_delay_alu instid0(VALU_DEP_1) | instskip(NEXT) | instid1(VALU_DEP_1)
	v_max_f64 v[129:130], v[129:130], v[129:130]
	v_min_f64 v[131:132], v[131:132], v[129:130]
	s_waitcnt vmcnt(0)
	s_delay_alu instid0(VALU_DEP_1) | instskip(SKIP_3) | instid1(VALU_DEP_1)
	v_add_f64 v[131:132], v[133:134], v[131:132]
	scratch_load_b64 v[133:134], v127, off
	scratch_store_b64 v128, v[131:132], off
	v_max_f64 v[131:132], v[2:3], v[2:3]
	v_min_f64 v[131:132], v[131:132], v[129:130]
	s_waitcnt vmcnt(0)
	s_delay_alu instid0(VALU_DEP_1) | instskip(SKIP_3) | instid1(VALU_DEP_1)
	v_add_f64 v[131:132], v[131:132], v[133:134]
	scratch_store_b64 v127, v[131:132], off
	scratch_load_b64 v[131:132], v126, off
	v_max_f64 v[127:128], v[4:5], v[4:5]
	v_min_f64 v[127:128], v[127:128], v[129:130]
	s_waitcnt vmcnt(0)
	s_delay_alu instid0(VALU_DEP_1) | instskip(SKIP_3) | instid1(VALU_DEP_1)
	v_add_f64 v[127:128], v[127:128], v[131:132]
	scratch_load_b64 v[131:132], v125, off
	scratch_store_b64 v126, v[127:128], off
	v_max_f64 v[126:127], v[6:7], v[6:7]
	v_min_f64 v[126:127], v[126:127], v[129:130]
	s_waitcnt vmcnt(0)
	s_delay_alu instid0(VALU_DEP_1) | instskip(SKIP_3) | instid1(VALU_DEP_1)
	v_add_f64 v[126:127], v[126:127], v[131:132]
	scratch_store_b64 v125, v[126:127], off
	scratch_load_b64 v[127:128], v124, off
	v_max_f64 v[125:126], v[8:9], v[8:9]
	v_min_f64 v[125:126], v[125:126], v[129:130]
	s_waitcnt vmcnt(0)
	s_delay_alu instid0(VALU_DEP_1) | instskip(SKIP_4) | instid1(VALU_DEP_1)
	v_add_f64 v[125:126], v[125:126], v[127:128]
	v_mov_b32_e32 v128, 0x100
	scratch_store_b64 v124, v[125:126], off
	scratch_load_b64 v[126:127], v123, off
	v_max_f64 v[124:125], v[10:11], v[10:11]
	v_min_f64 v[124:125], v[124:125], v[129:130]
	s_waitcnt vmcnt(0)
	s_delay_alu instid0(VALU_DEP_1) | instskip(SKIP_4) | instid1(VALU_DEP_1)
	v_add_f64 v[124:125], v[124:125], v[126:127]
	v_mov_b32_e32 v127, 0x108
	;; [unrolled: 8-line block ×27, first 2 shown]
	scratch_store_b64 v98, v[99:100], off
	scratch_load_b64 v[100:101], v97, off
	v_max_f64 v[98:99], v[62:63], v[62:63]
	v_min_f64 v[98:99], v[98:99], v[129:130]
	s_waitcnt vmcnt(0)
	s_delay_alu instid0(VALU_DEP_1)
	v_add_f64 v[98:99], v[98:99], v[100:101]
	v_mov_b32_e32 v101, 0x1d8
	v_mov_b32_e32 v100, 0x1e0
	scratch_store_b64 v97, v[98:99], off
	v_mov_b32_e32 v99, 0x1e8
	v_mov_b32_e32 v98, 0x1f0
	v_mov_b32_e32 v97, 0x1f8
	s_cbranch_vccnz .LBB134_43
; %bb.44:                               ;   in Loop: Header=BB134_34 Depth=1
	ds_load_2addr_b64 v[0:3], v93 offset0:1 offset1:17
	ds_load_2addr_b64 v[4:7], v93 offset0:33 offset1:49
	;; [unrolled: 1-line block ×12, first 2 shown]
	v_dual_mov_b32 v127, 8 :: v_dual_add_nc_u32 v64, 8, v94
	ds_load_2addr_b64 v[48:51], v95 offset0:129 offset1:145
	ds_load_2addr_b64 v[52:55], v95 offset0:161 offset1:177
	;; [unrolled: 1-line block ×4, first 2 shown]
	ds_load_2addr_stride64_b64 v[64:67], v64 offset1:4
	v_dual_mov_b32 v128, 0 :: v_dual_mov_b32 v125, 24
	v_dual_mov_b32 v126, 16 :: v_dual_mov_b32 v123, 40
	;; [unrolled: 1-line block ×5, first 2 shown]
	v_mov_b32_e32 v118, 0x50
	v_mov_b32_e32 v116, 0x60
	;; [unrolled: 1-line block ×21, first 2 shown]
	s_mov_b64 s[6:7], 0
	s_mov_b32 s24, -1
.LBB134_45:                             ;   Parent Loop BB134_34 Depth=1
                                        ; =>  This Inner Loop Header: Depth=2
	scratch_load_b64 v[133:134], v128, off
	s_cmp_eq_u32 s6, 1
	s_waitcnt lgkmcnt(16)
	v_max_f64 v[131:132], v[0:1], v[0:1]
	s_cselect_b32 vcc_lo, -1, 0
	s_mov_b64 s[6:7], 1
	s_waitcnt lgkmcnt(0)
	v_dual_cndmask_b32 v130, v65, v67 :: v_dual_cndmask_b32 v129, v64, v66
	s_and_b32 vcc_lo, exec_lo, s24
	s_mov_b32 s24, 0
	s_delay_alu instid0(VALU_DEP_1) | instskip(NEXT) | instid1(VALU_DEP_1)
	v_max_f64 v[129:130], v[129:130], v[129:130]
	v_min_f64 v[131:132], v[131:132], v[129:130]
	s_waitcnt vmcnt(0)
	s_delay_alu instid0(VALU_DEP_1) | instskip(SKIP_3) | instid1(VALU_DEP_1)
	v_add_f64 v[131:132], v[133:134], v[131:132]
	scratch_load_b64 v[133:134], v127, off
	scratch_store_b64 v128, v[131:132], off
	v_max_f64 v[131:132], v[2:3], v[2:3]
	v_min_f64 v[131:132], v[131:132], v[129:130]
	s_waitcnt vmcnt(0)
	s_delay_alu instid0(VALU_DEP_1) | instskip(SKIP_3) | instid1(VALU_DEP_1)
	v_add_f64 v[131:132], v[131:132], v[133:134]
	scratch_store_b64 v127, v[131:132], off
	scratch_load_b64 v[131:132], v126, off
	v_max_f64 v[127:128], v[4:5], v[4:5]
	v_min_f64 v[127:128], v[127:128], v[129:130]
	s_waitcnt vmcnt(0)
	s_delay_alu instid0(VALU_DEP_1) | instskip(SKIP_3) | instid1(VALU_DEP_1)
	v_add_f64 v[127:128], v[127:128], v[131:132]
	scratch_load_b64 v[131:132], v125, off
	scratch_store_b64 v126, v[127:128], off
	v_max_f64 v[126:127], v[6:7], v[6:7]
	v_min_f64 v[126:127], v[126:127], v[129:130]
	s_waitcnt vmcnt(0)
	s_delay_alu instid0(VALU_DEP_1) | instskip(SKIP_3) | instid1(VALU_DEP_1)
	v_add_f64 v[126:127], v[126:127], v[131:132]
	scratch_store_b64 v125, v[126:127], off
	scratch_load_b64 v[127:128], v124, off
	v_max_f64 v[125:126], v[8:9], v[8:9]
	v_min_f64 v[125:126], v[125:126], v[129:130]
	s_waitcnt vmcnt(0)
	s_delay_alu instid0(VALU_DEP_1) | instskip(SKIP_4) | instid1(VALU_DEP_1)
	v_add_f64 v[125:126], v[125:126], v[127:128]
	v_mov_b32_e32 v128, 0x100
	scratch_store_b64 v124, v[125:126], off
	scratch_load_b64 v[126:127], v123, off
	v_max_f64 v[124:125], v[10:11], v[10:11]
	v_min_f64 v[124:125], v[124:125], v[129:130]
	s_waitcnt vmcnt(0)
	s_delay_alu instid0(VALU_DEP_1) | instskip(SKIP_4) | instid1(VALU_DEP_1)
	v_add_f64 v[124:125], v[124:125], v[126:127]
	v_mov_b32_e32 v127, 0x108
	;; [unrolled: 8-line block ×27, first 2 shown]
	scratch_store_b64 v98, v[99:100], off
	scratch_load_b64 v[100:101], v97, off
	v_max_f64 v[98:99], v[62:63], v[62:63]
	v_min_f64 v[98:99], v[98:99], v[129:130]
	s_waitcnt vmcnt(0)
	s_delay_alu instid0(VALU_DEP_1)
	v_add_f64 v[98:99], v[98:99], v[100:101]
	v_mov_b32_e32 v101, 0x1d8
	v_mov_b32_e32 v100, 0x1e0
	scratch_store_b64 v97, v[98:99], off
	v_mov_b32_e32 v99, 0x1e8
	v_mov_b32_e32 v98, 0x1f0
	;; [unrolled: 1-line block ×3, first 2 shown]
	s_cbranch_vccnz .LBB134_45
; %bb.46:                               ;   in Loop: Header=BB134_34 Depth=1
	ds_load_2addr_b64 v[0:3], v93 offset0:2 offset1:18
	ds_load_2addr_b64 v[4:7], v93 offset0:34 offset1:50
	;; [unrolled: 1-line block ×12, first 2 shown]
	v_dual_mov_b32 v127, 8 :: v_dual_add_nc_u32 v64, 16, v94
	ds_load_2addr_b64 v[48:51], v95 offset0:130 offset1:146
	ds_load_2addr_b64 v[52:55], v95 offset0:162 offset1:178
	;; [unrolled: 1-line block ×4, first 2 shown]
	ds_load_2addr_stride64_b64 v[64:67], v64 offset1:4
	v_dual_mov_b32 v128, 0 :: v_dual_mov_b32 v125, 24
	v_dual_mov_b32 v126, 16 :: v_dual_mov_b32 v123, 40
	;; [unrolled: 1-line block ×5, first 2 shown]
	v_mov_b32_e32 v118, 0x50
	v_mov_b32_e32 v116, 0x60
	;; [unrolled: 1-line block ×21, first 2 shown]
	s_mov_b64 s[6:7], 0
	s_mov_b32 s24, -1
.LBB134_47:                             ;   Parent Loop BB134_34 Depth=1
                                        ; =>  This Inner Loop Header: Depth=2
	scratch_load_b64 v[133:134], v128, off
	s_cmp_eq_u32 s6, 1
	s_waitcnt lgkmcnt(16)
	v_max_f64 v[131:132], v[0:1], v[0:1]
	s_cselect_b32 vcc_lo, -1, 0
	s_mov_b64 s[6:7], 1
	s_waitcnt lgkmcnt(0)
	v_dual_cndmask_b32 v130, v65, v67 :: v_dual_cndmask_b32 v129, v64, v66
	s_and_b32 vcc_lo, exec_lo, s24
	s_mov_b32 s24, 0
	s_delay_alu instid0(VALU_DEP_1) | instskip(NEXT) | instid1(VALU_DEP_1)
	v_max_f64 v[129:130], v[129:130], v[129:130]
	v_min_f64 v[131:132], v[131:132], v[129:130]
	s_waitcnt vmcnt(0)
	s_delay_alu instid0(VALU_DEP_1) | instskip(SKIP_3) | instid1(VALU_DEP_1)
	v_add_f64 v[131:132], v[133:134], v[131:132]
	scratch_load_b64 v[133:134], v127, off
	scratch_store_b64 v128, v[131:132], off
	v_max_f64 v[131:132], v[2:3], v[2:3]
	v_min_f64 v[131:132], v[131:132], v[129:130]
	s_waitcnt vmcnt(0)
	s_delay_alu instid0(VALU_DEP_1) | instskip(SKIP_3) | instid1(VALU_DEP_1)
	v_add_f64 v[131:132], v[131:132], v[133:134]
	scratch_store_b64 v127, v[131:132], off
	scratch_load_b64 v[131:132], v126, off
	v_max_f64 v[127:128], v[4:5], v[4:5]
	v_min_f64 v[127:128], v[127:128], v[129:130]
	s_waitcnt vmcnt(0)
	s_delay_alu instid0(VALU_DEP_1) | instskip(SKIP_3) | instid1(VALU_DEP_1)
	v_add_f64 v[127:128], v[127:128], v[131:132]
	scratch_load_b64 v[131:132], v125, off
	scratch_store_b64 v126, v[127:128], off
	v_max_f64 v[126:127], v[6:7], v[6:7]
	v_min_f64 v[126:127], v[126:127], v[129:130]
	s_waitcnt vmcnt(0)
	s_delay_alu instid0(VALU_DEP_1) | instskip(SKIP_3) | instid1(VALU_DEP_1)
	v_add_f64 v[126:127], v[126:127], v[131:132]
	scratch_store_b64 v125, v[126:127], off
	scratch_load_b64 v[127:128], v124, off
	v_max_f64 v[125:126], v[8:9], v[8:9]
	v_min_f64 v[125:126], v[125:126], v[129:130]
	s_waitcnt vmcnt(0)
	s_delay_alu instid0(VALU_DEP_1) | instskip(SKIP_4) | instid1(VALU_DEP_1)
	v_add_f64 v[125:126], v[125:126], v[127:128]
	v_mov_b32_e32 v128, 0x100
	scratch_store_b64 v124, v[125:126], off
	scratch_load_b64 v[126:127], v123, off
	v_max_f64 v[124:125], v[10:11], v[10:11]
	v_min_f64 v[124:125], v[124:125], v[129:130]
	s_waitcnt vmcnt(0)
	s_delay_alu instid0(VALU_DEP_1) | instskip(SKIP_4) | instid1(VALU_DEP_1)
	v_add_f64 v[124:125], v[124:125], v[126:127]
	v_mov_b32_e32 v127, 0x108
	scratch_store_b64 v123, v[124:125], off
	scratch_load_b64 v[125:126], v122, off
	v_max_f64 v[123:124], v[12:13], v[12:13]
	v_min_f64 v[123:124], v[123:124], v[129:130]
	s_waitcnt vmcnt(0)
	s_delay_alu instid0(VALU_DEP_1) | instskip(SKIP_4) | instid1(VALU_DEP_1)
	v_add_f64 v[123:124], v[123:124], v[125:126]
	v_mov_b32_e32 v126, 0x110
	scratch_store_b64 v122, v[123:124], off
	scratch_load_b64 v[124:125], v121, off
	v_max_f64 v[122:123], v[14:15], v[14:15]
	v_min_f64 v[122:123], v[122:123], v[129:130]
	s_waitcnt vmcnt(0)
	s_delay_alu instid0(VALU_DEP_1) | instskip(SKIP_4) | instid1(VALU_DEP_1)
	v_add_f64 v[122:123], v[122:123], v[124:125]
	v_mov_b32_e32 v125, 0x118
	scratch_store_b64 v121, v[122:123], off
	scratch_load_b64 v[123:124], v120, off
	v_max_f64 v[121:122], v[16:17], v[16:17]
	v_min_f64 v[121:122], v[121:122], v[129:130]
	s_waitcnt vmcnt(0)
	s_delay_alu instid0(VALU_DEP_1) | instskip(SKIP_4) | instid1(VALU_DEP_1)
	v_add_f64 v[121:122], v[121:122], v[123:124]
	v_mov_b32_e32 v124, 0x120
	scratch_store_b64 v120, v[121:122], off
	scratch_load_b64 v[122:123], v119, off
	v_max_f64 v[120:121], v[18:19], v[18:19]
	v_min_f64 v[120:121], v[120:121], v[129:130]
	s_waitcnt vmcnt(0)
	s_delay_alu instid0(VALU_DEP_1) | instskip(SKIP_4) | instid1(VALU_DEP_1)
	v_add_f64 v[120:121], v[120:121], v[122:123]
	v_mov_b32_e32 v123, 0x128
	scratch_store_b64 v119, v[120:121], off
	scratch_load_b64 v[121:122], v118, off
	v_max_f64 v[119:120], v[20:21], v[20:21]
	v_min_f64 v[119:120], v[119:120], v[129:130]
	s_waitcnt vmcnt(0)
	s_delay_alu instid0(VALU_DEP_1) | instskip(SKIP_4) | instid1(VALU_DEP_1)
	v_add_f64 v[119:120], v[119:120], v[121:122]
	v_mov_b32_e32 v122, 0x130
	scratch_store_b64 v118, v[119:120], off
	scratch_load_b64 v[120:121], v117, off
	v_max_f64 v[118:119], v[22:23], v[22:23]
	v_min_f64 v[118:119], v[118:119], v[129:130]
	s_waitcnt vmcnt(0)
	s_delay_alu instid0(VALU_DEP_1) | instskip(SKIP_4) | instid1(VALU_DEP_1)
	v_add_f64 v[118:119], v[118:119], v[120:121]
	v_mov_b32_e32 v121, 0x138
	scratch_store_b64 v117, v[118:119], off
	scratch_load_b64 v[119:120], v116, off
	v_max_f64 v[117:118], v[24:25], v[24:25]
	v_min_f64 v[117:118], v[117:118], v[129:130]
	s_waitcnt vmcnt(0)
	s_delay_alu instid0(VALU_DEP_1) | instskip(SKIP_4) | instid1(VALU_DEP_1)
	v_add_f64 v[117:118], v[117:118], v[119:120]
	v_mov_b32_e32 v120, 0x140
	scratch_store_b64 v116, v[117:118], off
	scratch_load_b64 v[118:119], v115, off
	v_max_f64 v[116:117], v[26:27], v[26:27]
	v_min_f64 v[116:117], v[116:117], v[129:130]
	s_waitcnt vmcnt(0)
	s_delay_alu instid0(VALU_DEP_1) | instskip(SKIP_4) | instid1(VALU_DEP_1)
	v_add_f64 v[116:117], v[116:117], v[118:119]
	v_mov_b32_e32 v119, 0x148
	scratch_store_b64 v115, v[116:117], off
	scratch_load_b64 v[117:118], v114, off
	v_max_f64 v[115:116], v[28:29], v[28:29]
	v_min_f64 v[115:116], v[115:116], v[129:130]
	s_waitcnt vmcnt(0)
	s_delay_alu instid0(VALU_DEP_1) | instskip(SKIP_4) | instid1(VALU_DEP_1)
	v_add_f64 v[115:116], v[115:116], v[117:118]
	v_mov_b32_e32 v118, 0x150
	scratch_store_b64 v114, v[115:116], off
	scratch_load_b64 v[116:117], v113, off
	v_max_f64 v[114:115], v[30:31], v[30:31]
	v_min_f64 v[114:115], v[114:115], v[129:130]
	s_waitcnt vmcnt(0)
	s_delay_alu instid0(VALU_DEP_1) | instskip(SKIP_4) | instid1(VALU_DEP_1)
	v_add_f64 v[114:115], v[114:115], v[116:117]
	v_mov_b32_e32 v117, 0x158
	scratch_store_b64 v113, v[114:115], off
	scratch_load_b64 v[115:116], v112, off
	v_max_f64 v[113:114], v[32:33], v[32:33]
	v_min_f64 v[113:114], v[113:114], v[129:130]
	s_waitcnt vmcnt(0)
	s_delay_alu instid0(VALU_DEP_1) | instskip(SKIP_4) | instid1(VALU_DEP_1)
	v_add_f64 v[113:114], v[113:114], v[115:116]
	v_mov_b32_e32 v116, 0x160
	scratch_store_b64 v112, v[113:114], off
	scratch_load_b64 v[114:115], v111, off
	v_max_f64 v[112:113], v[34:35], v[34:35]
	v_min_f64 v[112:113], v[112:113], v[129:130]
	s_waitcnt vmcnt(0)
	s_delay_alu instid0(VALU_DEP_1) | instskip(SKIP_4) | instid1(VALU_DEP_1)
	v_add_f64 v[112:113], v[112:113], v[114:115]
	v_mov_b32_e32 v115, 0x168
	scratch_store_b64 v111, v[112:113], off
	scratch_load_b64 v[113:114], v110, off
	v_max_f64 v[111:112], v[36:37], v[36:37]
	v_min_f64 v[111:112], v[111:112], v[129:130]
	s_waitcnt vmcnt(0)
	s_delay_alu instid0(VALU_DEP_1) | instskip(SKIP_4) | instid1(VALU_DEP_1)
	v_add_f64 v[111:112], v[111:112], v[113:114]
	v_mov_b32_e32 v114, 0x170
	scratch_store_b64 v110, v[111:112], off
	scratch_load_b64 v[112:113], v109, off
	v_max_f64 v[110:111], v[38:39], v[38:39]
	v_min_f64 v[110:111], v[110:111], v[129:130]
	s_waitcnt vmcnt(0)
	s_delay_alu instid0(VALU_DEP_1) | instskip(SKIP_4) | instid1(VALU_DEP_1)
	v_add_f64 v[110:111], v[110:111], v[112:113]
	v_mov_b32_e32 v113, 0x178
	scratch_store_b64 v109, v[110:111], off
	scratch_load_b64 v[111:112], v108, off
	v_max_f64 v[109:110], v[40:41], v[40:41]
	v_min_f64 v[109:110], v[109:110], v[129:130]
	s_waitcnt vmcnt(0)
	s_delay_alu instid0(VALU_DEP_1) | instskip(SKIP_4) | instid1(VALU_DEP_1)
	v_add_f64 v[109:110], v[109:110], v[111:112]
	v_mov_b32_e32 v112, 0x180
	scratch_store_b64 v108, v[109:110], off
	scratch_load_b64 v[110:111], v107, off
	v_max_f64 v[108:109], v[42:43], v[42:43]
	v_min_f64 v[108:109], v[108:109], v[129:130]
	s_waitcnt vmcnt(0)
	s_delay_alu instid0(VALU_DEP_1) | instskip(SKIP_4) | instid1(VALU_DEP_1)
	v_add_f64 v[108:109], v[108:109], v[110:111]
	v_mov_b32_e32 v111, 0x188
	scratch_store_b64 v107, v[108:109], off
	scratch_load_b64 v[109:110], v106, off
	v_max_f64 v[107:108], v[44:45], v[44:45]
	v_min_f64 v[107:108], v[107:108], v[129:130]
	s_waitcnt vmcnt(0)
	s_delay_alu instid0(VALU_DEP_1) | instskip(SKIP_4) | instid1(VALU_DEP_1)
	v_add_f64 v[107:108], v[107:108], v[109:110]
	v_mov_b32_e32 v110, 0x190
	scratch_store_b64 v106, v[107:108], off
	scratch_load_b64 v[108:109], v105, off
	v_max_f64 v[106:107], v[46:47], v[46:47]
	v_min_f64 v[106:107], v[106:107], v[129:130]
	s_waitcnt vmcnt(0)
	s_delay_alu instid0(VALU_DEP_1) | instskip(SKIP_4) | instid1(VALU_DEP_1)
	v_add_f64 v[106:107], v[106:107], v[108:109]
	v_mov_b32_e32 v109, 0x198
	scratch_store_b64 v105, v[106:107], off
	scratch_load_b64 v[107:108], v104, off
	v_max_f64 v[105:106], v[48:49], v[48:49]
	v_min_f64 v[105:106], v[105:106], v[129:130]
	s_waitcnt vmcnt(0)
	s_delay_alu instid0(VALU_DEP_1) | instskip(SKIP_4) | instid1(VALU_DEP_1)
	v_add_f64 v[105:106], v[105:106], v[107:108]
	v_mov_b32_e32 v108, 0x1a0
	scratch_store_b64 v104, v[105:106], off
	scratch_load_b64 v[106:107], v103, off
	v_max_f64 v[104:105], v[50:51], v[50:51]
	v_min_f64 v[104:105], v[104:105], v[129:130]
	s_waitcnt vmcnt(0)
	s_delay_alu instid0(VALU_DEP_1) | instskip(SKIP_4) | instid1(VALU_DEP_1)
	v_add_f64 v[104:105], v[104:105], v[106:107]
	v_mov_b32_e32 v107, 0x1a8
	scratch_store_b64 v103, v[104:105], off
	scratch_load_b64 v[105:106], v102, off
	v_max_f64 v[103:104], v[52:53], v[52:53]
	v_min_f64 v[103:104], v[103:104], v[129:130]
	s_waitcnt vmcnt(0)
	s_delay_alu instid0(VALU_DEP_1) | instskip(SKIP_4) | instid1(VALU_DEP_1)
	v_add_f64 v[103:104], v[103:104], v[105:106]
	v_mov_b32_e32 v106, 0x1b0
	scratch_store_b64 v102, v[103:104], off
	scratch_load_b64 v[104:105], v101, off
	v_max_f64 v[102:103], v[54:55], v[54:55]
	v_min_f64 v[102:103], v[102:103], v[129:130]
	s_waitcnt vmcnt(0)
	s_delay_alu instid0(VALU_DEP_1) | instskip(SKIP_4) | instid1(VALU_DEP_1)
	v_add_f64 v[102:103], v[102:103], v[104:105]
	v_mov_b32_e32 v105, 0x1b8
	scratch_store_b64 v101, v[102:103], off
	scratch_load_b64 v[103:104], v100, off
	v_max_f64 v[101:102], v[56:57], v[56:57]
	v_min_f64 v[101:102], v[101:102], v[129:130]
	s_waitcnt vmcnt(0)
	s_delay_alu instid0(VALU_DEP_1) | instskip(SKIP_4) | instid1(VALU_DEP_1)
	v_add_f64 v[101:102], v[101:102], v[103:104]
	v_mov_b32_e32 v104, 0x1c0
	scratch_store_b64 v100, v[101:102], off
	scratch_load_b64 v[102:103], v99, off
	v_max_f64 v[100:101], v[58:59], v[58:59]
	v_min_f64 v[100:101], v[100:101], v[129:130]
	s_waitcnt vmcnt(0)
	s_delay_alu instid0(VALU_DEP_1) | instskip(SKIP_4) | instid1(VALU_DEP_1)
	v_add_f64 v[100:101], v[100:101], v[102:103]
	v_mov_b32_e32 v103, 0x1c8
	scratch_store_b64 v99, v[100:101], off
	scratch_load_b64 v[101:102], v98, off
	v_max_f64 v[99:100], v[60:61], v[60:61]
	v_min_f64 v[99:100], v[99:100], v[129:130]
	s_waitcnt vmcnt(0)
	s_delay_alu instid0(VALU_DEP_1) | instskip(SKIP_4) | instid1(VALU_DEP_1)
	v_add_f64 v[99:100], v[99:100], v[101:102]
	v_mov_b32_e32 v102, 0x1d0
	scratch_store_b64 v98, v[99:100], off
	scratch_load_b64 v[100:101], v97, off
	v_max_f64 v[98:99], v[62:63], v[62:63]
	v_min_f64 v[98:99], v[98:99], v[129:130]
	s_waitcnt vmcnt(0)
	s_delay_alu instid0(VALU_DEP_1)
	v_add_f64 v[98:99], v[98:99], v[100:101]
	v_mov_b32_e32 v101, 0x1d8
	v_mov_b32_e32 v100, 0x1e0
	scratch_store_b64 v97, v[98:99], off
	v_mov_b32_e32 v99, 0x1e8
	v_mov_b32_e32 v98, 0x1f0
	;; [unrolled: 1-line block ×3, first 2 shown]
	s_cbranch_vccnz .LBB134_47
; %bb.48:                               ;   in Loop: Header=BB134_34 Depth=1
	ds_load_2addr_b64 v[0:3], v93 offset0:3 offset1:19
	ds_load_2addr_b64 v[4:7], v93 offset0:35 offset1:51
	;; [unrolled: 1-line block ×12, first 2 shown]
	v_dual_mov_b32 v127, 8 :: v_dual_add_nc_u32 v64, 24, v94
	ds_load_2addr_b64 v[48:51], v95 offset0:131 offset1:147
	ds_load_2addr_b64 v[52:55], v95 offset0:163 offset1:179
	;; [unrolled: 1-line block ×4, first 2 shown]
	ds_load_2addr_stride64_b64 v[64:67], v64 offset1:4
	v_dual_mov_b32 v128, 0 :: v_dual_mov_b32 v125, 24
	v_dual_mov_b32 v126, 16 :: v_dual_mov_b32 v123, 40
	;; [unrolled: 1-line block ×5, first 2 shown]
	v_mov_b32_e32 v118, 0x50
	v_mov_b32_e32 v116, 0x60
	;; [unrolled: 1-line block ×21, first 2 shown]
	s_mov_b64 s[6:7], 0
	s_mov_b32 s24, -1
.LBB134_49:                             ;   Parent Loop BB134_34 Depth=1
                                        ; =>  This Inner Loop Header: Depth=2
	scratch_load_b64 v[133:134], v128, off
	s_cmp_eq_u32 s6, 1
	s_waitcnt lgkmcnt(16)
	v_max_f64 v[131:132], v[0:1], v[0:1]
	s_cselect_b32 vcc_lo, -1, 0
	s_mov_b64 s[6:7], 1
	s_waitcnt lgkmcnt(0)
	v_dual_cndmask_b32 v130, v65, v67 :: v_dual_cndmask_b32 v129, v64, v66
	s_and_b32 vcc_lo, exec_lo, s24
	s_mov_b32 s24, 0
	s_delay_alu instid0(VALU_DEP_1) | instskip(NEXT) | instid1(VALU_DEP_1)
	v_max_f64 v[129:130], v[129:130], v[129:130]
	v_min_f64 v[131:132], v[131:132], v[129:130]
	s_waitcnt vmcnt(0)
	s_delay_alu instid0(VALU_DEP_1) | instskip(SKIP_3) | instid1(VALU_DEP_1)
	v_add_f64 v[131:132], v[133:134], v[131:132]
	scratch_load_b64 v[133:134], v127, off
	scratch_store_b64 v128, v[131:132], off
	v_max_f64 v[131:132], v[2:3], v[2:3]
	v_min_f64 v[131:132], v[131:132], v[129:130]
	s_waitcnt vmcnt(0)
	s_delay_alu instid0(VALU_DEP_1) | instskip(SKIP_3) | instid1(VALU_DEP_1)
	v_add_f64 v[131:132], v[131:132], v[133:134]
	scratch_store_b64 v127, v[131:132], off
	scratch_load_b64 v[131:132], v126, off
	v_max_f64 v[127:128], v[4:5], v[4:5]
	v_min_f64 v[127:128], v[127:128], v[129:130]
	s_waitcnt vmcnt(0)
	s_delay_alu instid0(VALU_DEP_1) | instskip(SKIP_3) | instid1(VALU_DEP_1)
	v_add_f64 v[127:128], v[127:128], v[131:132]
	scratch_load_b64 v[131:132], v125, off
	scratch_store_b64 v126, v[127:128], off
	v_max_f64 v[126:127], v[6:7], v[6:7]
	v_min_f64 v[126:127], v[126:127], v[129:130]
	s_waitcnt vmcnt(0)
	s_delay_alu instid0(VALU_DEP_1) | instskip(SKIP_3) | instid1(VALU_DEP_1)
	v_add_f64 v[126:127], v[126:127], v[131:132]
	scratch_store_b64 v125, v[126:127], off
	scratch_load_b64 v[127:128], v124, off
	v_max_f64 v[125:126], v[8:9], v[8:9]
	v_min_f64 v[125:126], v[125:126], v[129:130]
	s_waitcnt vmcnt(0)
	s_delay_alu instid0(VALU_DEP_1) | instskip(SKIP_4) | instid1(VALU_DEP_1)
	v_add_f64 v[125:126], v[125:126], v[127:128]
	v_mov_b32_e32 v128, 0x100
	scratch_store_b64 v124, v[125:126], off
	scratch_load_b64 v[126:127], v123, off
	v_max_f64 v[124:125], v[10:11], v[10:11]
	v_min_f64 v[124:125], v[124:125], v[129:130]
	s_waitcnt vmcnt(0)
	s_delay_alu instid0(VALU_DEP_1) | instskip(SKIP_4) | instid1(VALU_DEP_1)
	v_add_f64 v[124:125], v[124:125], v[126:127]
	v_mov_b32_e32 v127, 0x108
	;; [unrolled: 8-line block ×27, first 2 shown]
	scratch_store_b64 v98, v[99:100], off
	scratch_load_b64 v[100:101], v97, off
	v_max_f64 v[98:99], v[62:63], v[62:63]
	v_min_f64 v[98:99], v[98:99], v[129:130]
	s_waitcnt vmcnt(0)
	s_delay_alu instid0(VALU_DEP_1)
	v_add_f64 v[98:99], v[98:99], v[100:101]
	v_mov_b32_e32 v101, 0x1d8
	v_mov_b32_e32 v100, 0x1e0
	scratch_store_b64 v97, v[98:99], off
	v_mov_b32_e32 v99, 0x1e8
	v_mov_b32_e32 v98, 0x1f0
	;; [unrolled: 1-line block ×3, first 2 shown]
	s_cbranch_vccnz .LBB134_49
; %bb.50:                               ;   in Loop: Header=BB134_34 Depth=1
	v_add3_u32 v2, v84, s21, 4
	ds_store_2addr_stride64_b64 v87, v[76:77], v[74:75] offset1:4
	v_mov_b32_e32 v74, 0
	v_mov_b32_e32 v75, 0
	ds_store_2addr_stride64_b64 v89, v[80:81], v[78:79] offset1:4
	v_min_i32_e32 v3, s20, v2
	v_cmp_le_i32_e32 vcc_lo, s42, v2
	s_waitcnt lgkmcnt(0)
	s_waitcnt_vscnt null, 0x0
	v_dual_mov_b32 v77, v75 :: v_dual_mov_b32 v76, v74
	v_mad_i64_i32 v[0:1], null, v3, s18, 0
	s_or_b32 s7, s2, vcc_lo
	s_barrier
	buffer_gl0_inv
	v_lshlrev_b64 v[0:1], 3, v[0:1]
	s_delay_alu instid0(VALU_DEP_1) | instskip(NEXT) | instid1(VALU_DEP_1)
	v_add_co_u32 v0, s6, s16, v0
	v_add_co_ci_u32_e64 v1, s6, s17, v1, s6
	s_or_b32 s6, s19, s7
	s_delay_alu instid0(SALU_CYCLE_1) | instskip(NEXT) | instid1(SALU_CYCLE_1)
	s_xor_b32 s6, s6, -1
	s_and_saveexec_b32 s7, s6
	s_delay_alu instid0(SALU_CYCLE_1)
	s_xor_b32 s7, exec_lo, s7
	s_cbranch_execz .LBB134_52
; %bb.51:                               ;   in Loop: Header=BB134_34 Depth=1
	v_add_co_u32 v2, s6, v0, v68
	s_delay_alu instid0(VALU_DEP_1)
	v_add_co_ci_u32_e64 v3, s6, v1, v69, s6
	flat_load_b64 v[2:3], v[2:3]
	s_waitcnt vmcnt(0) lgkmcnt(0)
	v_mul_f64 v[76:77], v[2:3], s[8:9]
.LBB134_52:                             ;   in Loop: Header=BB134_34 Depth=1
	s_or_b32 exec_lo, exec_lo, s7
	s_or_b32 s6, s3, vcc_lo
	s_delay_alu instid0(SALU_CYCLE_1) | instskip(NEXT) | instid1(SALU_CYCLE_1)
	s_or_b32 s6, s19, s6
	s_xor_b32 s7, s6, -1
	s_delay_alu instid0(SALU_CYCLE_1)
	s_and_saveexec_b32 s6, s7
	s_cbranch_execz .LBB134_54
; %bb.53:                               ;   in Loop: Header=BB134_34 Depth=1
	v_add_co_u32 v0, vcc_lo, v0, v68
	v_add_co_ci_u32_e32 v1, vcc_lo, v1, v69, vcc_lo
	flat_load_b64 v[0:1], v[0:1] offset:512
	s_waitcnt vmcnt(0) lgkmcnt(0)
	v_mul_f64 v[74:75], v[0:1], s[8:9]
.LBB134_54:                             ;   in Loop: Header=BB134_34 Depth=1
	s_or_b32 exec_lo, exec_lo, s6
	v_or_b32_e32 v2, 4, v96
	v_mov_b32_e32 v78, 0
	v_mov_b32_e32 v79, 0
	s_delay_alu instid0(VALU_DEP_3) | instskip(SKIP_1) | instid1(VALU_DEP_3)
	v_min_i32_e32 v0, s20, v2
	v_cmp_le_i32_e32 vcc_lo, s42, v2
	v_dual_mov_b32 v81, v79 :: v_dual_mov_b32 v80, v78
	s_delay_alu instid0(VALU_DEP_3) | instskip(SKIP_1) | instid1(VALU_DEP_1)
	v_ashrrev_i32_e32 v1, 31, v0
	s_or_b32 s7, s4, vcc_lo
	v_lshlrev_b64 v[0:1], 3, v[0:1]
	s_delay_alu instid0(VALU_DEP_1) | instskip(NEXT) | instid1(VALU_DEP_1)
	v_add_co_u32 v0, s6, s10, v0
	v_add_co_ci_u32_e64 v1, s6, s11, v1, s6
	s_or_b32 s6, s19, s7
	s_delay_alu instid0(SALU_CYCLE_1) | instskip(NEXT) | instid1(SALU_CYCLE_1)
	s_xor_b32 s6, s6, -1
	s_and_saveexec_b32 s7, s6
	s_cbranch_execz .LBB134_56
; %bb.55:                               ;   in Loop: Header=BB134_34 Depth=1
	v_add_co_u32 v2, s6, v0, v70
	s_delay_alu instid0(VALU_DEP_1)
	v_add_co_ci_u32_e64 v3, s6, v1, v71, s6
	flat_load_b64 v[2:3], v[2:3]
	s_waitcnt vmcnt(0) lgkmcnt(0)
	v_mul_f64 v[80:81], v[2:3], s[8:9]
.LBB134_56:                             ;   in Loop: Header=BB134_34 Depth=1
	s_or_b32 exec_lo, exec_lo, s7
	s_or_b32 s6, s5, vcc_lo
	s_delay_alu instid0(SALU_CYCLE_1) | instskip(NEXT) | instid1(SALU_CYCLE_1)
	s_or_b32 s6, s19, s6
	s_xor_b32 s7, s6, -1
	s_delay_alu instid0(SALU_CYCLE_1)
	s_and_saveexec_b32 s6, s7
	s_cbranch_execz .LBB134_58
; %bb.57:                               ;   in Loop: Header=BB134_34 Depth=1
	v_add_co_u32 v0, vcc_lo, v0, v72
	v_add_co_ci_u32_e32 v1, vcc_lo, v1, v73, vcc_lo
	flat_load_b64 v[0:1], v[0:1]
	s_waitcnt vmcnt(0) lgkmcnt(0)
	v_mul_f64 v[78:79], v[0:1], s[8:9]
.LBB134_58:                             ;   in Loop: Header=BB134_34 Depth=1
	s_or_b32 exec_lo, exec_lo, s6
	v_dual_mov_b32 v127, 8 :: v_dual_add_nc_u32 v96, 0x800, v86
	ds_load_2addr_b64 v[0:3], v86 offset1:16
	ds_load_2addr_b64 v[4:7], v86 offset0:32 offset1:48
	ds_load_2addr_b64 v[8:11], v86 offset0:64 offset1:80
	;; [unrolled: 1-line block ×7, first 2 shown]
	ds_load_2addr_b64 v[32:35], v96 offset1:16
	ds_load_2addr_b64 v[36:39], v96 offset0:32 offset1:48
	ds_load_2addr_b64 v[40:43], v96 offset0:64 offset1:80
	;; [unrolled: 1-line block ×7, first 2 shown]
	ds_load_2addr_stride64_b64 v[64:67], v90 offset1:4
	v_dual_mov_b32 v128, 0 :: v_dual_mov_b32 v125, 24
	v_dual_mov_b32 v126, 16 :: v_dual_mov_b32 v123, 40
	;; [unrolled: 1-line block ×5, first 2 shown]
	v_mov_b32_e32 v118, 0x50
	v_mov_b32_e32 v116, 0x60
	;; [unrolled: 1-line block ×21, first 2 shown]
	s_mov_b64 s[6:7], 0
	s_mov_b32 s24, -1
.LBB134_59:                             ;   Parent Loop BB134_34 Depth=1
                                        ; =>  This Inner Loop Header: Depth=2
	scratch_load_b64 v[133:134], v128, off
	s_cmp_eq_u32 s6, 1
	s_waitcnt lgkmcnt(16)
	v_max_f64 v[131:132], v[0:1], v[0:1]
	s_cselect_b32 vcc_lo, -1, 0
	s_mov_b64 s[6:7], 1
	s_waitcnt lgkmcnt(0)
	v_dual_cndmask_b32 v130, v65, v67 :: v_dual_cndmask_b32 v129, v64, v66
	s_and_b32 vcc_lo, exec_lo, s24
	s_mov_b32 s24, 0
	s_delay_alu instid0(VALU_DEP_1) | instskip(NEXT) | instid1(VALU_DEP_1)
	v_max_f64 v[129:130], v[129:130], v[129:130]
	v_min_f64 v[131:132], v[131:132], v[129:130]
	s_waitcnt vmcnt(0)
	s_delay_alu instid0(VALU_DEP_1) | instskip(SKIP_3) | instid1(VALU_DEP_1)
	v_add_f64 v[131:132], v[133:134], v[131:132]
	scratch_load_b64 v[133:134], v127, off
	scratch_store_b64 v128, v[131:132], off
	v_max_f64 v[131:132], v[2:3], v[2:3]
	v_min_f64 v[131:132], v[131:132], v[129:130]
	s_waitcnt vmcnt(0)
	s_delay_alu instid0(VALU_DEP_1) | instskip(SKIP_3) | instid1(VALU_DEP_1)
	v_add_f64 v[131:132], v[131:132], v[133:134]
	scratch_store_b64 v127, v[131:132], off
	scratch_load_b64 v[131:132], v126, off
	v_max_f64 v[127:128], v[4:5], v[4:5]
	v_min_f64 v[127:128], v[127:128], v[129:130]
	s_waitcnt vmcnt(0)
	s_delay_alu instid0(VALU_DEP_1) | instskip(SKIP_3) | instid1(VALU_DEP_1)
	v_add_f64 v[127:128], v[127:128], v[131:132]
	scratch_load_b64 v[131:132], v125, off
	scratch_store_b64 v126, v[127:128], off
	v_max_f64 v[126:127], v[6:7], v[6:7]
	v_min_f64 v[126:127], v[126:127], v[129:130]
	s_waitcnt vmcnt(0)
	s_delay_alu instid0(VALU_DEP_1) | instskip(SKIP_3) | instid1(VALU_DEP_1)
	v_add_f64 v[126:127], v[126:127], v[131:132]
	scratch_store_b64 v125, v[126:127], off
	scratch_load_b64 v[127:128], v124, off
	v_max_f64 v[125:126], v[8:9], v[8:9]
	v_min_f64 v[125:126], v[125:126], v[129:130]
	s_waitcnt vmcnt(0)
	s_delay_alu instid0(VALU_DEP_1) | instskip(SKIP_4) | instid1(VALU_DEP_1)
	v_add_f64 v[125:126], v[125:126], v[127:128]
	v_mov_b32_e32 v128, 0x100
	scratch_store_b64 v124, v[125:126], off
	scratch_load_b64 v[126:127], v123, off
	v_max_f64 v[124:125], v[10:11], v[10:11]
	v_min_f64 v[124:125], v[124:125], v[129:130]
	s_waitcnt vmcnt(0)
	s_delay_alu instid0(VALU_DEP_1) | instskip(SKIP_4) | instid1(VALU_DEP_1)
	v_add_f64 v[124:125], v[124:125], v[126:127]
	v_mov_b32_e32 v127, 0x108
	;; [unrolled: 8-line block ×27, first 2 shown]
	scratch_store_b64 v98, v[99:100], off
	scratch_load_b64 v[100:101], v97, off
	v_max_f64 v[98:99], v[62:63], v[62:63]
	v_min_f64 v[98:99], v[98:99], v[129:130]
	s_waitcnt vmcnt(0)
	s_delay_alu instid0(VALU_DEP_1)
	v_add_f64 v[98:99], v[98:99], v[100:101]
	v_mov_b32_e32 v101, 0x1d8
	v_mov_b32_e32 v100, 0x1e0
	scratch_store_b64 v97, v[98:99], off
	v_mov_b32_e32 v99, 0x1e8
	v_mov_b32_e32 v98, 0x1f0
	v_mov_b32_e32 v97, 0x1f8
	s_cbranch_vccnz .LBB134_59
; %bb.60:                               ;   in Loop: Header=BB134_34 Depth=1
	ds_load_2addr_b64 v[0:3], v86 offset0:1 offset1:17
	ds_load_2addr_b64 v[4:7], v86 offset0:33 offset1:49
	;; [unrolled: 1-line block ×12, first 2 shown]
	v_dual_mov_b32 v127, 8 :: v_dual_add_nc_u32 v64, 8, v90
	ds_load_2addr_b64 v[48:51], v96 offset0:129 offset1:145
	ds_load_2addr_b64 v[52:55], v96 offset0:161 offset1:177
	;; [unrolled: 1-line block ×4, first 2 shown]
	ds_load_2addr_stride64_b64 v[64:67], v64 offset1:4
	v_dual_mov_b32 v128, 0 :: v_dual_mov_b32 v125, 24
	v_dual_mov_b32 v126, 16 :: v_dual_mov_b32 v123, 40
	;; [unrolled: 1-line block ×5, first 2 shown]
	v_mov_b32_e32 v118, 0x50
	v_mov_b32_e32 v116, 0x60
	;; [unrolled: 1-line block ×21, first 2 shown]
	s_mov_b64 s[6:7], 0
	s_mov_b32 s24, -1
.LBB134_61:                             ;   Parent Loop BB134_34 Depth=1
                                        ; =>  This Inner Loop Header: Depth=2
	scratch_load_b64 v[133:134], v128, off
	s_cmp_eq_u32 s6, 1
	s_waitcnt lgkmcnt(16)
	v_max_f64 v[131:132], v[0:1], v[0:1]
	s_cselect_b32 vcc_lo, -1, 0
	s_mov_b64 s[6:7], 1
	s_waitcnt lgkmcnt(0)
	v_dual_cndmask_b32 v130, v65, v67 :: v_dual_cndmask_b32 v129, v64, v66
	s_and_b32 vcc_lo, exec_lo, s24
	s_mov_b32 s24, 0
	s_delay_alu instid0(VALU_DEP_1) | instskip(NEXT) | instid1(VALU_DEP_1)
	v_max_f64 v[129:130], v[129:130], v[129:130]
	v_min_f64 v[131:132], v[131:132], v[129:130]
	s_waitcnt vmcnt(0)
	s_delay_alu instid0(VALU_DEP_1) | instskip(SKIP_3) | instid1(VALU_DEP_1)
	v_add_f64 v[131:132], v[133:134], v[131:132]
	scratch_load_b64 v[133:134], v127, off
	scratch_store_b64 v128, v[131:132], off
	v_max_f64 v[131:132], v[2:3], v[2:3]
	v_min_f64 v[131:132], v[131:132], v[129:130]
	s_waitcnt vmcnt(0)
	s_delay_alu instid0(VALU_DEP_1) | instskip(SKIP_3) | instid1(VALU_DEP_1)
	v_add_f64 v[131:132], v[131:132], v[133:134]
	scratch_store_b64 v127, v[131:132], off
	scratch_load_b64 v[131:132], v126, off
	v_max_f64 v[127:128], v[4:5], v[4:5]
	v_min_f64 v[127:128], v[127:128], v[129:130]
	s_waitcnt vmcnt(0)
	s_delay_alu instid0(VALU_DEP_1) | instskip(SKIP_3) | instid1(VALU_DEP_1)
	v_add_f64 v[127:128], v[127:128], v[131:132]
	scratch_load_b64 v[131:132], v125, off
	scratch_store_b64 v126, v[127:128], off
	v_max_f64 v[126:127], v[6:7], v[6:7]
	v_min_f64 v[126:127], v[126:127], v[129:130]
	s_waitcnt vmcnt(0)
	s_delay_alu instid0(VALU_DEP_1) | instskip(SKIP_3) | instid1(VALU_DEP_1)
	v_add_f64 v[126:127], v[126:127], v[131:132]
	scratch_store_b64 v125, v[126:127], off
	scratch_load_b64 v[127:128], v124, off
	v_max_f64 v[125:126], v[8:9], v[8:9]
	v_min_f64 v[125:126], v[125:126], v[129:130]
	s_waitcnt vmcnt(0)
	s_delay_alu instid0(VALU_DEP_1) | instskip(SKIP_4) | instid1(VALU_DEP_1)
	v_add_f64 v[125:126], v[125:126], v[127:128]
	v_mov_b32_e32 v128, 0x100
	scratch_store_b64 v124, v[125:126], off
	scratch_load_b64 v[126:127], v123, off
	v_max_f64 v[124:125], v[10:11], v[10:11]
	v_min_f64 v[124:125], v[124:125], v[129:130]
	s_waitcnt vmcnt(0)
	s_delay_alu instid0(VALU_DEP_1) | instskip(SKIP_4) | instid1(VALU_DEP_1)
	v_add_f64 v[124:125], v[124:125], v[126:127]
	v_mov_b32_e32 v127, 0x108
	;; [unrolled: 8-line block ×27, first 2 shown]
	scratch_store_b64 v98, v[99:100], off
	scratch_load_b64 v[100:101], v97, off
	v_max_f64 v[98:99], v[62:63], v[62:63]
	v_min_f64 v[98:99], v[98:99], v[129:130]
	s_waitcnt vmcnt(0)
	s_delay_alu instid0(VALU_DEP_1)
	v_add_f64 v[98:99], v[98:99], v[100:101]
	v_mov_b32_e32 v101, 0x1d8
	v_mov_b32_e32 v100, 0x1e0
	scratch_store_b64 v97, v[98:99], off
	v_mov_b32_e32 v99, 0x1e8
	v_mov_b32_e32 v98, 0x1f0
	;; [unrolled: 1-line block ×3, first 2 shown]
	s_cbranch_vccnz .LBB134_61
; %bb.62:                               ;   in Loop: Header=BB134_34 Depth=1
	ds_load_2addr_b64 v[0:3], v86 offset0:2 offset1:18
	ds_load_2addr_b64 v[4:7], v86 offset0:34 offset1:50
	ds_load_2addr_b64 v[8:11], v86 offset0:66 offset1:82
	ds_load_2addr_b64 v[12:15], v86 offset0:98 offset1:114
	ds_load_2addr_b64 v[16:19], v86 offset0:130 offset1:146
	ds_load_2addr_b64 v[20:23], v86 offset0:162 offset1:178
	ds_load_2addr_b64 v[24:27], v86 offset0:194 offset1:210
	ds_load_2addr_b64 v[28:31], v86 offset0:226 offset1:242
	ds_load_2addr_b64 v[32:35], v96 offset0:2 offset1:18
	ds_load_2addr_b64 v[36:39], v96 offset0:34 offset1:50
	ds_load_2addr_b64 v[40:43], v96 offset0:66 offset1:82
	ds_load_2addr_b64 v[44:47], v96 offset0:98 offset1:114
	v_dual_mov_b32 v127, 8 :: v_dual_add_nc_u32 v64, 16, v90
	ds_load_2addr_b64 v[48:51], v96 offset0:130 offset1:146
	ds_load_2addr_b64 v[52:55], v96 offset0:162 offset1:178
	;; [unrolled: 1-line block ×4, first 2 shown]
	ds_load_2addr_stride64_b64 v[64:67], v64 offset1:4
	v_dual_mov_b32 v128, 0 :: v_dual_mov_b32 v125, 24
	v_dual_mov_b32 v126, 16 :: v_dual_mov_b32 v123, 40
	;; [unrolled: 1-line block ×5, first 2 shown]
	v_mov_b32_e32 v118, 0x50
	v_mov_b32_e32 v116, 0x60
	;; [unrolled: 1-line block ×21, first 2 shown]
	s_mov_b64 s[6:7], 0
	s_mov_b32 s24, -1
.LBB134_63:                             ;   Parent Loop BB134_34 Depth=1
                                        ; =>  This Inner Loop Header: Depth=2
	scratch_load_b64 v[133:134], v128, off
	s_cmp_eq_u32 s6, 1
	s_waitcnt lgkmcnt(16)
	v_max_f64 v[131:132], v[0:1], v[0:1]
	s_cselect_b32 vcc_lo, -1, 0
	s_mov_b64 s[6:7], 1
	s_waitcnt lgkmcnt(0)
	v_dual_cndmask_b32 v130, v65, v67 :: v_dual_cndmask_b32 v129, v64, v66
	s_and_b32 vcc_lo, exec_lo, s24
	s_mov_b32 s24, 0
	s_delay_alu instid0(VALU_DEP_1) | instskip(NEXT) | instid1(VALU_DEP_1)
	v_max_f64 v[129:130], v[129:130], v[129:130]
	v_min_f64 v[131:132], v[131:132], v[129:130]
	s_waitcnt vmcnt(0)
	s_delay_alu instid0(VALU_DEP_1) | instskip(SKIP_3) | instid1(VALU_DEP_1)
	v_add_f64 v[131:132], v[133:134], v[131:132]
	scratch_load_b64 v[133:134], v127, off
	scratch_store_b64 v128, v[131:132], off
	v_max_f64 v[131:132], v[2:3], v[2:3]
	v_min_f64 v[131:132], v[131:132], v[129:130]
	s_waitcnt vmcnt(0)
	s_delay_alu instid0(VALU_DEP_1) | instskip(SKIP_3) | instid1(VALU_DEP_1)
	v_add_f64 v[131:132], v[131:132], v[133:134]
	scratch_store_b64 v127, v[131:132], off
	scratch_load_b64 v[131:132], v126, off
	v_max_f64 v[127:128], v[4:5], v[4:5]
	v_min_f64 v[127:128], v[127:128], v[129:130]
	s_waitcnt vmcnt(0)
	s_delay_alu instid0(VALU_DEP_1) | instskip(SKIP_3) | instid1(VALU_DEP_1)
	v_add_f64 v[127:128], v[127:128], v[131:132]
	scratch_load_b64 v[131:132], v125, off
	scratch_store_b64 v126, v[127:128], off
	v_max_f64 v[126:127], v[6:7], v[6:7]
	v_min_f64 v[126:127], v[126:127], v[129:130]
	s_waitcnt vmcnt(0)
	s_delay_alu instid0(VALU_DEP_1) | instskip(SKIP_3) | instid1(VALU_DEP_1)
	v_add_f64 v[126:127], v[126:127], v[131:132]
	scratch_store_b64 v125, v[126:127], off
	scratch_load_b64 v[127:128], v124, off
	v_max_f64 v[125:126], v[8:9], v[8:9]
	v_min_f64 v[125:126], v[125:126], v[129:130]
	s_waitcnt vmcnt(0)
	s_delay_alu instid0(VALU_DEP_1) | instskip(SKIP_4) | instid1(VALU_DEP_1)
	v_add_f64 v[125:126], v[125:126], v[127:128]
	v_mov_b32_e32 v128, 0x100
	scratch_store_b64 v124, v[125:126], off
	scratch_load_b64 v[126:127], v123, off
	v_max_f64 v[124:125], v[10:11], v[10:11]
	v_min_f64 v[124:125], v[124:125], v[129:130]
	s_waitcnt vmcnt(0)
	s_delay_alu instid0(VALU_DEP_1) | instskip(SKIP_4) | instid1(VALU_DEP_1)
	v_add_f64 v[124:125], v[124:125], v[126:127]
	v_mov_b32_e32 v127, 0x108
	;; [unrolled: 8-line block ×27, first 2 shown]
	scratch_store_b64 v98, v[99:100], off
	scratch_load_b64 v[100:101], v97, off
	v_max_f64 v[98:99], v[62:63], v[62:63]
	v_min_f64 v[98:99], v[98:99], v[129:130]
	s_waitcnt vmcnt(0)
	s_delay_alu instid0(VALU_DEP_1)
	v_add_f64 v[98:99], v[98:99], v[100:101]
	v_mov_b32_e32 v101, 0x1d8
	v_mov_b32_e32 v100, 0x1e0
	scratch_store_b64 v97, v[98:99], off
	v_mov_b32_e32 v99, 0x1e8
	v_mov_b32_e32 v98, 0x1f0
	;; [unrolled: 1-line block ×3, first 2 shown]
	s_cbranch_vccnz .LBB134_63
; %bb.64:                               ;   in Loop: Header=BB134_34 Depth=1
	ds_load_2addr_b64 v[0:3], v86 offset0:3 offset1:19
	ds_load_2addr_b64 v[4:7], v86 offset0:35 offset1:51
	;; [unrolled: 1-line block ×12, first 2 shown]
	v_dual_mov_b32 v127, 0 :: v_dual_add_nc_u32 v64, 24, v90
	ds_load_2addr_b64 v[48:51], v96 offset0:131 offset1:147
	ds_load_2addr_b64 v[52:55], v96 offset0:163 offset1:179
	;; [unrolled: 1-line block ×4, first 2 shown]
	ds_load_2addr_stride64_b64 v[64:67], v64 offset1:4
	v_dual_mov_b32 v126, 8 :: v_dual_mov_b32 v125, 16
	v_dual_mov_b32 v124, 24 :: v_dual_mov_b32 v123, 32
	;; [unrolled: 1-line block ×4, first 2 shown]
	v_mov_b32_e32 v118, 0x48
	v_mov_b32_e32 v117, 0x50
	;; [unrolled: 1-line block ×23, first 2 shown]
	s_mov_b64 s[6:7], 0
	s_mov_b32 s24, -1
.LBB134_65:                             ;   Parent Loop BB134_34 Depth=1
                                        ; =>  This Inner Loop Header: Depth=2
	scratch_load_b64 v[132:133], v127, off
	s_cmp_eq_u32 s6, 1
	s_waitcnt lgkmcnt(16)
	v_max_f64 v[130:131], v[0:1], v[0:1]
	s_cselect_b32 vcc_lo, -1, 0
	s_mov_b64 s[6:7], 1
	s_waitcnt lgkmcnt(0)
	v_dual_cndmask_b32 v129, v65, v67 :: v_dual_cndmask_b32 v128, v64, v66
	s_and_b32 vcc_lo, exec_lo, s24
	s_mov_b32 s24, 0
	s_delay_alu instid0(VALU_DEP_1) | instskip(NEXT) | instid1(VALU_DEP_1)
	v_max_f64 v[128:129], v[128:129], v[128:129]
	v_min_f64 v[130:131], v[130:131], v[128:129]
	s_waitcnt vmcnt(0)
	s_delay_alu instid0(VALU_DEP_1) | instskip(SKIP_3) | instid1(VALU_DEP_1)
	v_add_f64 v[130:131], v[132:133], v[130:131]
	scratch_load_b64 v[132:133], v126, off
	scratch_store_b64 v127, v[130:131], off
	v_max_f64 v[130:131], v[2:3], v[2:3]
	v_min_f64 v[130:131], v[130:131], v[128:129]
	s_waitcnt vmcnt(0)
	s_delay_alu instid0(VALU_DEP_1) | instskip(SKIP_3) | instid1(VALU_DEP_1)
	v_add_f64 v[130:131], v[130:131], v[132:133]
	scratch_store_b64 v126, v[130:131], off
	scratch_load_b64 v[130:131], v125, off
	v_max_f64 v[126:127], v[4:5], v[4:5]
	v_min_f64 v[126:127], v[126:127], v[128:129]
	s_waitcnt vmcnt(0)
	s_delay_alu instid0(VALU_DEP_1) | instskip(SKIP_3) | instid1(VALU_DEP_1)
	v_add_f64 v[126:127], v[126:127], v[130:131]
	scratch_load_b64 v[130:131], v124, off
	scratch_store_b64 v125, v[126:127], off
	v_max_f64 v[125:126], v[6:7], v[6:7]
	v_min_f64 v[125:126], v[125:126], v[128:129]
	s_waitcnt vmcnt(0)
	s_delay_alu instid0(VALU_DEP_1) | instskip(SKIP_3) | instid1(VALU_DEP_1)
	v_add_f64 v[125:126], v[125:126], v[130:131]
	scratch_store_b64 v124, v[125:126], off
	scratch_load_b64 v[126:127], v123, off
	v_max_f64 v[124:125], v[8:9], v[8:9]
	v_min_f64 v[124:125], v[124:125], v[128:129]
	s_waitcnt vmcnt(0)
	s_delay_alu instid0(VALU_DEP_1) | instskip(SKIP_4) | instid1(VALU_DEP_1)
	v_add_f64 v[124:125], v[124:125], v[126:127]
	v_mov_b32_e32 v127, 0x100
	scratch_store_b64 v123, v[124:125], off
	scratch_load_b64 v[125:126], v122, off
	v_max_f64 v[123:124], v[10:11], v[10:11]
	v_min_f64 v[123:124], v[123:124], v[128:129]
	s_waitcnt vmcnt(0)
	s_delay_alu instid0(VALU_DEP_1) | instskip(SKIP_4) | instid1(VALU_DEP_1)
	v_add_f64 v[123:124], v[123:124], v[125:126]
	v_mov_b32_e32 v126, 0x108
	;; [unrolled: 8-line block ×27, first 2 shown]
	scratch_store_b64 v97, v[98:99], off
	scratch_load_b64 v[99:100], v96, off
	v_max_f64 v[97:98], v[62:63], v[62:63]
	v_min_f64 v[97:98], v[97:98], v[128:129]
	s_waitcnt vmcnt(0)
	s_delay_alu instid0(VALU_DEP_1)
	v_add_f64 v[97:98], v[97:98], v[99:100]
	v_mov_b32_e32 v100, 0x1d8
	v_mov_b32_e32 v99, 0x1e0
	scratch_store_b64 v96, v[97:98], off
	v_mov_b32_e32 v98, 0x1e8
	v_mov_b32_e32 v97, 0x1f0
	;; [unrolled: 1-line block ×3, first 2 shown]
	s_cbranch_vccnz .LBB134_65
; %bb.66:                               ;   in Loop: Header=BB134_34 Depth=1
	s_add_i32 s23, s23, 8
	s_add_i32 s21, s21, 8
	s_cmp_ge_i32 s23, s22
	ds_store_2addr_stride64_b64 v91, v[76:77], v[74:75] offset1:4
	ds_store_2addr_stride64_b64 v92, v[80:81], v[78:79] offset1:4
	s_waitcnt lgkmcnt(0)
	s_waitcnt_vscnt null, 0x0
	s_barrier
	buffer_gl0_inv
	s_cbranch_scc0 .LBB134_34
.LBB134_67:
	v_dual_mov_b32 v71, 8 :: v_dual_add_nc_u32 v28, 0x1000, v86
	v_dual_mov_b32 v75, 40 :: v_dual_add_nc_u32 v60, 0x1800, v86
	;; [unrolled: 1-line block ×3, first 2 shown]
	ds_load_2addr_b64 v[0:3], v28 offset1:16
	ds_load_2addr_b64 v[4:7], v28 offset0:32 offset1:48
	ds_load_2addr_b64 v[8:11], v28 offset0:64 offset1:80
	;; [unrolled: 1-line block ×7, first 2 shown]
	ds_load_2addr_b64 v[32:35], v60 offset1:16
	ds_load_2addr_b64 v[36:39], v60 offset0:32 offset1:48
	ds_load_2addr_b64 v[40:43], v60 offset0:64 offset1:80
	;; [unrolled: 1-line block ×7, first 2 shown]
	ds_load_2addr_stride64_b64 v[64:67], v88 offset0:24 offset1:28
	v_dual_mov_b32 v70, 0 :: v_dual_add_nc_u32 v69, 0x3000, v88
	v_dual_mov_b32 v72, 16 :: v_dual_mov_b32 v77, 56
	v_dual_mov_b32 v74, 32 :: v_dual_mov_b32 v79, 0x48
	;; [unrolled: 1-line block ×4, first 2 shown]
	v_mov_b32_e32 v80, 0x50
	v_mov_b32_e32 v84, 0x60
	;; [unrolled: 1-line block ×20, first 2 shown]
	s_mov_b64 s[2:3], 0
	s_mov_b32 s4, -1
.LBB134_68:                             ; =>This Inner Loop Header: Depth=1
	scratch_load_b64 v[104:105], v70, off
	scratch_load_b64 v[106:107], v71, off
	;; [unrolled: 1-line block ×32, first 2 shown]
	s_cmp_eq_u32 s2, 1
	s_waitcnt lgkmcnt(16)
	v_max_f64 v[170:171], v[0:1], v[0:1]
	s_cselect_b32 vcc_lo, -1, 0
	v_max_f64 v[172:173], v[2:3], v[2:3]
	s_waitcnt lgkmcnt(0)
	v_dual_cndmask_b32 v169, v65, v67 :: v_dual_cndmask_b32 v168, v64, v66
	v_max_f64 v[174:175], v[4:5], v[4:5]
	v_max_f64 v[176:177], v[6:7], v[6:7]
	;; [unrolled: 1-line block ×31, first 2 shown]
	s_mov_b64 s[2:3], 1
	s_and_b32 vcc_lo, exec_lo, s4
	s_mov_b32 s4, 0
	v_min_f64 v[170:171], v[170:171], v[168:169]
	v_min_f64 v[172:173], v[172:173], v[168:169]
	;; [unrolled: 1-line block ×32, first 2 shown]
	s_waitcnt vmcnt(31)
	v_add_f64 v[104:105], v[104:105], v[170:171]
	s_waitcnt vmcnt(30)
	v_add_f64 v[106:107], v[172:173], v[106:107]
	;; [unrolled: 2-line block ×32, first 2 shown]
	scratch_store_b64 v70, v[104:105], off
	scratch_store_b64 v71, v[106:107], off
	;; [unrolled: 1-line block ×32, first 2 shown]
	v_mov_b32_e32 v70, 0x100
	v_mov_b32_e32 v71, 0x108
	;; [unrolled: 1-line block ×32, first 2 shown]
	s_cbranch_vccnz .LBB134_68
; %bb.69:
	v_dual_mov_b32 v71, 8 :: v_dual_add_nc_u32 v60, 0x800, v68
	ds_load_2addr_b64 v[0:3], v68 offset0:1 offset1:17
	ds_load_2addr_b64 v[4:7], v68 offset0:33 offset1:49
	;; [unrolled: 1-line block ×12, first 2 shown]
	v_dual_mov_b32 v73, 24 :: v_dual_add_nc_u32 v64, 8, v69
	ds_load_2addr_b64 v[48:51], v60 offset0:129 offset1:145
	ds_load_2addr_b64 v[52:55], v60 offset0:161 offset1:177
	;; [unrolled: 1-line block ×4, first 2 shown]
	ds_load_2addr_stride64_b64 v[64:67], v64 offset1:4
	v_dual_mov_b32 v70, 0 :: v_dual_mov_b32 v75, 40
	v_dual_mov_b32 v72, 16 :: v_dual_mov_b32 v77, 56
	v_dual_mov_b32 v74, 32 :: v_dual_mov_b32 v79, 0x48
	v_dual_mov_b32 v76, 48 :: v_dual_mov_b32 v81, 0x58
	v_dual_mov_b32 v78, 64 :: v_dual_mov_b32 v85, 0x68
	v_mov_b32_e32 v80, 0x50
	v_mov_b32_e32 v84, 0x60
	;; [unrolled: 1-line block ×20, first 2 shown]
	s_mov_b64 s[2:3], 0
	s_mov_b32 s4, -1
.LBB134_70:                             ; =>This Inner Loop Header: Depth=1
	scratch_load_b64 v[104:105], v70, off
	scratch_load_b64 v[106:107], v71, off
	;; [unrolled: 1-line block ×32, first 2 shown]
	s_cmp_eq_u32 s2, 1
	s_waitcnt lgkmcnt(16)
	v_max_f64 v[170:171], v[0:1], v[0:1]
	s_cselect_b32 vcc_lo, -1, 0
	v_max_f64 v[172:173], v[2:3], v[2:3]
	s_waitcnt lgkmcnt(0)
	v_dual_cndmask_b32 v169, v65, v67 :: v_dual_cndmask_b32 v168, v64, v66
	v_max_f64 v[174:175], v[4:5], v[4:5]
	v_max_f64 v[176:177], v[6:7], v[6:7]
	;; [unrolled: 1-line block ×31, first 2 shown]
	s_mov_b64 s[2:3], 1
	s_and_b32 vcc_lo, exec_lo, s4
	s_mov_b32 s4, 0
	v_min_f64 v[170:171], v[170:171], v[168:169]
	v_min_f64 v[172:173], v[172:173], v[168:169]
	;; [unrolled: 1-line block ×32, first 2 shown]
	s_waitcnt vmcnt(31)
	v_add_f64 v[104:105], v[104:105], v[170:171]
	s_waitcnt vmcnt(30)
	v_add_f64 v[106:107], v[172:173], v[106:107]
	;; [unrolled: 2-line block ×32, first 2 shown]
	scratch_store_b64 v70, v[104:105], off
	scratch_store_b64 v71, v[106:107], off
	;; [unrolled: 1-line block ×32, first 2 shown]
	v_mov_b32_e32 v70, 0x100
	v_mov_b32_e32 v71, 0x108
	;; [unrolled: 1-line block ×32, first 2 shown]
	s_cbranch_vccnz .LBB134_70
; %bb.71:
	v_dual_mov_b32 v71, 8 :: v_dual_add_nc_u32 v60, 0x800, v68
	ds_load_2addr_b64 v[0:3], v68 offset0:2 offset1:18
	ds_load_2addr_b64 v[4:7], v68 offset0:34 offset1:50
	;; [unrolled: 1-line block ×12, first 2 shown]
	v_dual_mov_b32 v73, 24 :: v_dual_add_nc_u32 v64, 16, v69
	ds_load_2addr_b64 v[48:51], v60 offset0:130 offset1:146
	ds_load_2addr_b64 v[52:55], v60 offset0:162 offset1:178
	ds_load_2addr_b64 v[56:59], v60 offset0:194 offset1:210
	ds_load_2addr_b64 v[60:63], v60 offset0:226 offset1:242
	ds_load_2addr_stride64_b64 v[64:67], v64 offset1:4
	v_dual_mov_b32 v70, 0 :: v_dual_mov_b32 v75, 40
	v_dual_mov_b32 v72, 16 :: v_dual_mov_b32 v77, 56
	;; [unrolled: 1-line block ×5, first 2 shown]
	v_mov_b32_e32 v80, 0x50
	v_mov_b32_e32 v84, 0x60
	;; [unrolled: 1-line block ×20, first 2 shown]
	s_mov_b64 s[2:3], 0
	s_mov_b32 s4, -1
.LBB134_72:                             ; =>This Inner Loop Header: Depth=1
	scratch_load_b64 v[104:105], v70, off
	scratch_load_b64 v[106:107], v71, off
	;; [unrolled: 1-line block ×32, first 2 shown]
	s_cmp_eq_u32 s2, 1
	s_waitcnt lgkmcnt(16)
	v_max_f64 v[170:171], v[0:1], v[0:1]
	s_cselect_b32 vcc_lo, -1, 0
	v_max_f64 v[172:173], v[2:3], v[2:3]
	s_waitcnt lgkmcnt(0)
	v_dual_cndmask_b32 v169, v65, v67 :: v_dual_cndmask_b32 v168, v64, v66
	v_max_f64 v[174:175], v[4:5], v[4:5]
	v_max_f64 v[176:177], v[6:7], v[6:7]
	v_max_f64 v[178:179], v[8:9], v[8:9]
	v_max_f64 v[180:181], v[10:11], v[10:11]
	v_max_f64 v[168:169], v[168:169], v[168:169]
	v_max_f64 v[182:183], v[12:13], v[12:13]
	v_max_f64 v[184:185], v[14:15], v[14:15]
	v_max_f64 v[186:187], v[16:17], v[16:17]
	v_max_f64 v[188:189], v[18:19], v[18:19]
	v_max_f64 v[190:191], v[20:21], v[20:21]
	v_max_f64 v[192:193], v[22:23], v[22:23]
	v_max_f64 v[194:195], v[24:25], v[24:25]
	v_max_f64 v[196:197], v[26:27], v[26:27]
	v_max_f64 v[198:199], v[28:29], v[28:29]
	v_max_f64 v[200:201], v[30:31], v[30:31]
	v_max_f64 v[202:203], v[32:33], v[32:33]
	v_max_f64 v[204:205], v[34:35], v[34:35]
	v_max_f64 v[206:207], v[36:37], v[36:37]
	v_max_f64 v[208:209], v[38:39], v[38:39]
	v_max_f64 v[210:211], v[40:41], v[40:41]
	v_max_f64 v[212:213], v[42:43], v[42:43]
	v_max_f64 v[214:215], v[44:45], v[44:45]
	v_max_f64 v[216:217], v[46:47], v[46:47]
	v_max_f64 v[218:219], v[48:49], v[48:49]
	v_max_f64 v[220:221], v[50:51], v[50:51]
	v_max_f64 v[222:223], v[52:53], v[52:53]
	v_max_f64 v[224:225], v[54:55], v[54:55]
	v_max_f64 v[226:227], v[56:57], v[56:57]
	v_max_f64 v[228:229], v[58:59], v[58:59]
	v_max_f64 v[230:231], v[60:61], v[60:61]
	v_max_f64 v[232:233], v[62:63], v[62:63]
	s_mov_b64 s[2:3], 1
	s_and_b32 vcc_lo, exec_lo, s4
	s_mov_b32 s4, 0
	v_min_f64 v[170:171], v[170:171], v[168:169]
	v_min_f64 v[172:173], v[172:173], v[168:169]
	;; [unrolled: 1-line block ×32, first 2 shown]
	s_waitcnt vmcnt(31)
	v_add_f64 v[104:105], v[104:105], v[170:171]
	s_waitcnt vmcnt(30)
	v_add_f64 v[106:107], v[172:173], v[106:107]
	;; [unrolled: 2-line block ×32, first 2 shown]
	scratch_store_b64 v70, v[104:105], off
	scratch_store_b64 v71, v[106:107], off
	;; [unrolled: 1-line block ×32, first 2 shown]
	v_mov_b32_e32 v70, 0x100
	v_mov_b32_e32 v71, 0x108
	;; [unrolled: 1-line block ×32, first 2 shown]
	s_cbranch_vccnz .LBB134_72
; %bb.73:
	v_add_nc_u32_e32 v60, 0x800, v68
	ds_load_2addr_b64 v[0:3], v68 offset0:3 offset1:19
	ds_load_2addr_b64 v[4:7], v68 offset0:35 offset1:51
	;; [unrolled: 1-line block ×4, first 2 shown]
	v_dual_mov_b32 v71, 24 :: v_dual_add_nc_u32 v64, 24, v69
	v_mov_b32_e32 v69, 8
	ds_load_2addr_b64 v[16:19], v68 offset0:131 offset1:147
	ds_load_2addr_b64 v[20:23], v68 offset0:163 offset1:179
	;; [unrolled: 1-line block ×12, first 2 shown]
	ds_load_2addr_stride64_b64 v[64:67], v64 offset1:4
	v_dual_mov_b32 v68, 0 :: v_dual_mov_b32 v73, 40
	v_dual_mov_b32 v70, 16 :: v_dual_mov_b32 v75, 56
	;; [unrolled: 1-line block ×5, first 2 shown]
	v_mov_b32_e32 v78, 0x50
	v_mov_b32_e32 v80, 0x60
	v_mov_b32_e32 v84, 0x70
	v_mov_b32_e32 v85, 0x78
	v_mov_b32_e32 v86, 0x80
	v_mov_b32_e32 v87, 0x88
	v_mov_b32_e32 v88, 0x90
	v_mov_b32_e32 v89, 0x98
	v_mov_b32_e32 v90, 0xa0
	v_mov_b32_e32 v91, 0xa8
	v_mov_b32_e32 v92, 0xb0
	v_mov_b32_e32 v93, 0xb8
	v_mov_b32_e32 v94, 0xc0
	v_mov_b32_e32 v95, 0xc8
	v_mov_b32_e32 v96, 0xd0
	v_mov_b32_e32 v97, 0xd8
	v_mov_b32_e32 v98, 0xe0
	v_mov_b32_e32 v99, 0xe8
	v_mov_b32_e32 v100, 0xf0
	v_mov_b32_e32 v101, 0xf8
	s_mov_b64 s[2:3], 0
	s_mov_b32 s4, -1
.LBB134_74:                             ; =>This Inner Loop Header: Depth=1
	scratch_load_b64 v[102:103], v68, off
	scratch_load_b64 v[104:105], v69, off
	;; [unrolled: 1-line block ×32, first 2 shown]
	s_cmp_eq_u32 s2, 1
	s_waitcnt lgkmcnt(16)
	v_max_f64 v[168:169], v[0:1], v[0:1]
	s_cselect_b32 vcc_lo, -1, 0
	v_max_f64 v[170:171], v[2:3], v[2:3]
	s_waitcnt lgkmcnt(0)
	v_dual_cndmask_b32 v167, v65, v67 :: v_dual_cndmask_b32 v166, v64, v66
	v_max_f64 v[172:173], v[4:5], v[4:5]
	v_max_f64 v[174:175], v[6:7], v[6:7]
	;; [unrolled: 1-line block ×31, first 2 shown]
	s_mov_b64 s[2:3], 1
	s_and_b32 vcc_lo, exec_lo, s4
	s_mov_b32 s4, 0
	v_min_f64 v[168:169], v[168:169], v[166:167]
	v_min_f64 v[170:171], v[170:171], v[166:167]
	;; [unrolled: 1-line block ×32, first 2 shown]
	s_waitcnt vmcnt(31)
	v_add_f64 v[102:103], v[102:103], v[168:169]
	s_waitcnt vmcnt(30)
	v_add_f64 v[104:105], v[170:171], v[104:105]
	;; [unrolled: 2-line block ×32, first 2 shown]
	scratch_store_b64 v68, v[102:103], off
	scratch_store_b64 v69, v[104:105], off
	;; [unrolled: 1-line block ×32, first 2 shown]
	v_mov_b32_e32 v68, 0x100
	v_mov_b32_e32 v69, 0x108
	;; [unrolled: 1-line block ×32, first 2 shown]
	s_cbranch_vccnz .LBB134_74
; %bb.75:
	s_clause 0x2
	s_load_b32 s42, s[0:1], 0x58
	s_load_b32 s37, s[0:1], 0x70
	s_load_b64 s[2:3], s[0:1], 0x78
	v_add_nc_u32_e32 v71, s15, v83
	v_add_nc_u32_e32 v0, s14, v82
	v_cndmask_b32_e64 v70, 0, 1, s36
	s_delay_alu instid0(VALU_DEP_3) | instskip(NEXT) | instid1(VALU_DEP_3)
	v_cmp_gt_i32_e64 s11, s41, v71
	v_cmp_gt_i32_e64 s0, s40, v0
	s_waitcnt lgkmcnt(0)
	v_mad_i64_i32 v[1:2], null, v71, s42, 0
	v_mad_i64_i32 v[3:4], null, v71, s37, 0
	s_lshl_b64 s[2:3], s[2:3], 3
	s_delay_alu instid0(SALU_CYCLE_1) | instskip(SKIP_1) | instid1(VALU_DEP_2)
	s_add_u32 s43, s12, s2
	s_addc_u32 s44, s13, s3
	v_lshlrev_b64 v[5:6], 3, v[1:2]
	v_ashrrev_i32_e32 v1, 31, v0
	s_delay_alu instid0(VALU_DEP_3) | instskip(SKIP_1) | instid1(VALU_DEP_3)
	v_lshlrev_b64 v[2:3], 3, v[3:4]
	s_and_b32 s1, s11, s0
	v_add_co_u32 v68, vcc_lo, s34, v5
	s_delay_alu instid0(VALU_DEP_4) | instskip(NEXT) | instid1(VALU_DEP_3)
	v_add_co_ci_u32_e32 v69, vcc_lo, s35, v6, vcc_lo
	v_add_co_u32 v72, vcc_lo, s43, v2
	s_delay_alu instid0(VALU_DEP_4) | instskip(SKIP_1) | instid1(SALU_CYCLE_1)
	v_add_co_ci_u32_e32 v73, vcc_lo, s44, v3, vcc_lo
	s_and_saveexec_b32 s2, s1
	s_xor_b32 s1, exec_lo, s2
	s_cbranch_execz .LBB134_80
; %bb.76:
	scratch_load_b64 v[2:3], off, off
	v_lshlrev_b64 v[4:5], 3, v[0:1]
	s_and_not1_b32 vcc_lo, exec_lo, s36
	s_cbranch_vccnz .LBB134_78
; %bb.77:
	s_delay_alu instid0(VALU_DEP_1) | instskip(NEXT) | instid1(VALU_DEP_2)
	v_add_co_u32 v6, vcc_lo, v68, v4
	v_add_co_ci_u32_e32 v7, vcc_lo, v69, v5, vcc_lo
	flat_load_b64 v[6:7], v[6:7]
	s_waitcnt vmcnt(0) lgkmcnt(0)
	v_mul_f64 v[6:7], v[6:7], s[38:39]
	s_branch .LBB134_79
.LBB134_78:
	v_mov_b32_e32 v6, 0
	v_mov_b32_e32 v7, 0
.LBB134_79:
	s_waitcnt vmcnt(0)
	s_delay_alu instid0(VALU_DEP_1)
	v_add_f64 v[2:3], v[2:3], v[6:7]
	v_add_co_u32 v4, vcc_lo, v72, v4
	v_add_co_ci_u32_e32 v5, vcc_lo, v73, v5, vcc_lo
	global_store_b64 v[4:5], v[2:3], off
.LBB134_80:
	s_or_b32 exec_lo, exec_lo, s1
	v_add_nc_u32_e32 v2, 4, v0
	s_delay_alu instid0(VALU_DEP_1) | instskip(SKIP_1) | instid1(VALU_DEP_2)
	v_cmp_gt_i32_e64 s1, s40, v2
	v_ashrrev_i32_e32 v3, 31, v2
	s_and_b32 s3, s11, s1
	s_delay_alu instid0(SALU_CYCLE_1)
	s_and_saveexec_b32 s2, s3
	s_cbranch_execz .LBB134_85
; %bb.81:
	scratch_load_b64 v[4:5], off, off offset:8
	v_lshlrev_b64 v[6:7], 3, v[2:3]
	s_and_not1_b32 vcc_lo, exec_lo, s36
	s_cbranch_vccnz .LBB134_83
; %bb.82:
	s_delay_alu instid0(VALU_DEP_1) | instskip(NEXT) | instid1(VALU_DEP_2)
	v_add_co_u32 v8, vcc_lo, v68, v6
	v_add_co_ci_u32_e32 v9, vcc_lo, v69, v7, vcc_lo
	flat_load_b64 v[8:9], v[8:9]
	s_waitcnt vmcnt(0) lgkmcnt(0)
	v_mul_f64 v[8:9], v[8:9], s[38:39]
	s_branch .LBB134_84
.LBB134_83:
	v_mov_b32_e32 v8, 0
	v_mov_b32_e32 v9, 0
.LBB134_84:
	s_waitcnt vmcnt(0)
	s_delay_alu instid0(VALU_DEP_1)
	v_add_f64 v[4:5], v[4:5], v[8:9]
	v_add_co_u32 v6, vcc_lo, v72, v6
	v_add_co_ci_u32_e32 v7, vcc_lo, v73, v7, vcc_lo
	global_store_b64 v[6:7], v[4:5], off
.LBB134_85:
	s_or_b32 exec_lo, exec_lo, s2
	v_add_nc_u32_e32 v4, 8, v0
	s_delay_alu instid0(VALU_DEP_1) | instskip(SKIP_1) | instid1(VALU_DEP_2)
	v_cmp_gt_i32_e64 s2, s40, v4
	v_ashrrev_i32_e32 v5, 31, v4
	s_and_b32 s4, s11, s2
	s_delay_alu instid0(SALU_CYCLE_1)
	s_and_saveexec_b32 s3, s4
	s_cbranch_execz .LBB134_90
; %bb.86:
	scratch_load_b64 v[6:7], off, off offset:16
	v_lshlrev_b64 v[8:9], 3, v[4:5]
	s_and_not1_b32 vcc_lo, exec_lo, s36
	s_cbranch_vccnz .LBB134_88
; %bb.87:
	s_delay_alu instid0(VALU_DEP_1) | instskip(NEXT) | instid1(VALU_DEP_2)
	v_add_co_u32 v10, vcc_lo, v68, v8
	v_add_co_ci_u32_e32 v11, vcc_lo, v69, v9, vcc_lo
	flat_load_b64 v[10:11], v[10:11]
	s_waitcnt vmcnt(0) lgkmcnt(0)
	v_mul_f64 v[10:11], v[10:11], s[38:39]
	s_branch .LBB134_89
.LBB134_88:
	v_mov_b32_e32 v10, 0
	v_mov_b32_e32 v11, 0
.LBB134_89:
	s_waitcnt vmcnt(0)
	s_delay_alu instid0(VALU_DEP_1)
	v_add_f64 v[6:7], v[6:7], v[10:11]
	v_add_co_u32 v8, vcc_lo, v72, v8
	v_add_co_ci_u32_e32 v9, vcc_lo, v73, v9, vcc_lo
	global_store_b64 v[8:9], v[6:7], off
.LBB134_90:
	;; [unrolled: 33-line block ×31, first 2 shown]
	s_or_b32 exec_lo, exec_lo, s11
	v_add_nc_u32_e32 v68, 64, v71
	s_delay_alu instid0(VALU_DEP_1) | instskip(SKIP_2) | instid1(VALU_DEP_3)
	v_mad_i64_i32 v[64:65], null, v68, s42, 0
	v_mad_i64_i32 v[66:67], null, v68, s37, 0
	v_cmp_gt_i32_e64 s11, s41, v68
	v_lshlrev_b64 v[64:65], 3, v[64:65]
	s_delay_alu instid0(VALU_DEP_2) | instskip(NEXT) | instid1(VALU_DEP_3)
	s_and_b32 s0, s11, s0
	v_lshlrev_b64 v[66:67], 3, v[66:67]
	s_delay_alu instid0(VALU_DEP_2) | instskip(NEXT) | instid1(VALU_DEP_3)
	v_add_co_u32 v71, vcc_lo, s34, v64
	v_add_co_ci_u32_e32 v72, vcc_lo, s35, v65, vcc_lo
	s_delay_alu instid0(VALU_DEP_3) | instskip(NEXT) | instid1(VALU_DEP_4)
	v_add_co_u32 v68, vcc_lo, s43, v66
	v_add_co_ci_u32_e32 v69, vcc_lo, s44, v67, vcc_lo
	s_and_saveexec_b32 s34, s0
	s_delay_alu instid0(SALU_CYCLE_1)
	s_xor_b32 s0, exec_lo, s34
	s_cbranch_execnz .LBB134_268
; %bb.236:
	s_or_b32 exec_lo, exec_lo, s0
	s_and_b32 s1, s11, s1
	s_delay_alu instid0(SALU_CYCLE_1)
	s_and_saveexec_b32 s0, s1
	s_cbranch_execnz .LBB134_272
.LBB134_237:
	s_or_b32 exec_lo, exec_lo, s0
	s_and_b32 s1, s11, s2
	s_delay_alu instid0(SALU_CYCLE_1)
	s_and_saveexec_b32 s0, s1
	s_cbranch_execnz .LBB134_276
.LBB134_238:
	s_or_b32 exec_lo, exec_lo, s0
	s_and_b32 s1, s11, s3
	s_delay_alu instid0(SALU_CYCLE_1)
	s_and_saveexec_b32 s0, s1
	s_cbranch_execnz .LBB134_280
.LBB134_239:
	s_or_b32 exec_lo, exec_lo, s0
	s_and_b32 s1, s11, s4
	s_delay_alu instid0(SALU_CYCLE_1)
	s_and_saveexec_b32 s0, s1
	s_cbranch_execnz .LBB134_284
.LBB134_240:
	s_or_b32 exec_lo, exec_lo, s0
	s_and_b32 s1, s11, s5
	s_delay_alu instid0(SALU_CYCLE_1)
	s_and_saveexec_b32 s0, s1
	s_cbranch_execnz .LBB134_288
.LBB134_241:
	s_or_b32 exec_lo, exec_lo, s0
	s_and_b32 s1, s11, s6
	s_delay_alu instid0(SALU_CYCLE_1)
	s_and_saveexec_b32 s0, s1
	s_cbranch_execnz .LBB134_292
.LBB134_242:
	s_or_b32 exec_lo, exec_lo, s0
	s_and_b32 s1, s11, s7
	s_delay_alu instid0(SALU_CYCLE_1)
	s_and_saveexec_b32 s0, s1
	s_cbranch_execnz .LBB134_296
.LBB134_243:
	s_or_b32 exec_lo, exec_lo, s0
	s_and_b32 s1, s11, s8
	s_delay_alu instid0(SALU_CYCLE_1)
	s_and_saveexec_b32 s0, s1
	s_cbranch_execnz .LBB134_300
.LBB134_244:
	s_or_b32 exec_lo, exec_lo, s0
	s_and_b32 s1, s11, s9
	s_delay_alu instid0(SALU_CYCLE_1)
	s_and_saveexec_b32 s0, s1
	s_cbranch_execnz .LBB134_304
.LBB134_245:
	s_or_b32 exec_lo, exec_lo, s0
	s_and_b32 s1, s11, s10
	s_delay_alu instid0(SALU_CYCLE_1)
	s_and_saveexec_b32 s0, s1
	s_cbranch_execnz .LBB134_308
.LBB134_246:
	s_or_b32 exec_lo, exec_lo, s0
	s_and_b32 s1, s11, s12
	s_delay_alu instid0(SALU_CYCLE_1)
	s_and_saveexec_b32 s0, s1
	s_cbranch_execnz .LBB134_312
.LBB134_247:
	s_or_b32 exec_lo, exec_lo, s0
	s_and_b32 s1, s11, s13
	s_delay_alu instid0(SALU_CYCLE_1)
	s_and_saveexec_b32 s0, s1
	s_cbranch_execnz .LBB134_316
.LBB134_248:
	s_or_b32 exec_lo, exec_lo, s0
	s_and_b32 s1, s11, s14
	s_delay_alu instid0(SALU_CYCLE_1)
	s_and_saveexec_b32 s0, s1
	s_cbranch_execnz .LBB134_320
.LBB134_249:
	s_or_b32 exec_lo, exec_lo, s0
	s_and_b32 s1, s11, s15
	s_delay_alu instid0(SALU_CYCLE_1)
	s_and_saveexec_b32 s0, s1
	s_cbranch_execnz .LBB134_324
.LBB134_250:
	s_or_b32 exec_lo, exec_lo, s0
	s_and_b32 s1, s11, s16
	s_delay_alu instid0(SALU_CYCLE_1)
	s_and_saveexec_b32 s0, s1
	s_cbranch_execnz .LBB134_328
.LBB134_251:
	s_or_b32 exec_lo, exec_lo, s0
	s_and_b32 s1, s11, s17
	s_delay_alu instid0(SALU_CYCLE_1)
	s_and_saveexec_b32 s0, s1
	s_cbranch_execnz .LBB134_332
.LBB134_252:
	s_or_b32 exec_lo, exec_lo, s0
	s_and_b32 s1, s11, s18
	s_delay_alu instid0(SALU_CYCLE_1)
	s_and_saveexec_b32 s0, s1
	s_cbranch_execnz .LBB134_336
.LBB134_253:
	s_or_b32 exec_lo, exec_lo, s0
	s_and_b32 s1, s11, s19
	s_delay_alu instid0(SALU_CYCLE_1)
	s_and_saveexec_b32 s0, s1
	s_cbranch_execnz .LBB134_340
.LBB134_254:
	s_or_b32 exec_lo, exec_lo, s0
	s_and_b32 s1, s11, s20
	s_delay_alu instid0(SALU_CYCLE_1)
	s_and_saveexec_b32 s0, s1
	s_cbranch_execnz .LBB134_344
.LBB134_255:
	s_or_b32 exec_lo, exec_lo, s0
	s_and_b32 s1, s11, s21
	s_delay_alu instid0(SALU_CYCLE_1)
	s_and_saveexec_b32 s0, s1
	s_cbranch_execnz .LBB134_348
.LBB134_256:
	s_or_b32 exec_lo, exec_lo, s0
	s_and_b32 s1, s11, s22
	s_delay_alu instid0(SALU_CYCLE_1)
	s_and_saveexec_b32 s0, s1
	s_cbranch_execnz .LBB134_352
.LBB134_257:
	s_or_b32 exec_lo, exec_lo, s0
	s_and_b32 s1, s11, s23
	s_delay_alu instid0(SALU_CYCLE_1)
	s_and_saveexec_b32 s0, s1
	s_cbranch_execnz .LBB134_356
.LBB134_258:
	s_or_b32 exec_lo, exec_lo, s0
	s_and_b32 s1, s11, s24
	s_delay_alu instid0(SALU_CYCLE_1)
	s_and_saveexec_b32 s0, s1
	s_cbranch_execnz .LBB134_360
.LBB134_259:
	s_or_b32 exec_lo, exec_lo, s0
	s_and_b32 s1, s11, s25
	s_delay_alu instid0(SALU_CYCLE_1)
	s_and_saveexec_b32 s0, s1
	s_cbranch_execnz .LBB134_364
.LBB134_260:
	s_or_b32 exec_lo, exec_lo, s0
	s_and_b32 s1, s11, s26
	s_delay_alu instid0(SALU_CYCLE_1)
	s_and_saveexec_b32 s0, s1
	s_cbranch_execnz .LBB134_368
.LBB134_261:
	s_or_b32 exec_lo, exec_lo, s0
	s_and_b32 s1, s11, s27
	s_delay_alu instid0(SALU_CYCLE_1)
	s_and_saveexec_b32 s0, s1
	s_cbranch_execnz .LBB134_372
.LBB134_262:
	s_or_b32 exec_lo, exec_lo, s0
	s_and_b32 s1, s11, s28
	s_delay_alu instid0(SALU_CYCLE_1)
	s_and_saveexec_b32 s0, s1
	s_cbranch_execnz .LBB134_376
.LBB134_263:
	s_or_b32 exec_lo, exec_lo, s0
	s_and_b32 s1, s11, s29
	s_delay_alu instid0(SALU_CYCLE_1)
	s_and_saveexec_b32 s0, s1
	s_cbranch_execnz .LBB134_380
.LBB134_264:
	s_or_b32 exec_lo, exec_lo, s0
	s_and_b32 s1, s11, s30
	s_delay_alu instid0(SALU_CYCLE_1)
	s_and_saveexec_b32 s0, s1
	s_cbranch_execnz .LBB134_384
.LBB134_265:
	s_or_b32 exec_lo, exec_lo, s0
	s_and_b32 s1, s11, s31
	s_delay_alu instid0(SALU_CYCLE_1)
	s_and_saveexec_b32 s0, s1
	s_cbranch_execnz .LBB134_388
.LBB134_266:
	s_or_b32 exec_lo, exec_lo, s0
	s_and_b32 s0, s11, s33
	s_delay_alu instid0(SALU_CYCLE_1)
	s_and_saveexec_b32 s1, s0
	s_cbranch_execnz .LBB134_392
.LBB134_267:
	s_endpgm
.LBB134_268:
	scratch_load_b64 v[64:65], off, off offset:256
	v_lshlrev_b64 v[0:1], 3, v[0:1]
	s_and_not1_b32 vcc_lo, exec_lo, s36
	s_cbranch_vccnz .LBB134_270
; %bb.269:
	s_delay_alu instid0(VALU_DEP_1) | instskip(NEXT) | instid1(VALU_DEP_2)
	v_add_co_u32 v66, vcc_lo, v71, v0
	v_add_co_ci_u32_e32 v67, vcc_lo, v72, v1, vcc_lo
	flat_load_b64 v[66:67], v[66:67]
	s_waitcnt vmcnt(0) lgkmcnt(0)
	v_mul_f64 v[66:67], v[66:67], s[38:39]
	s_branch .LBB134_271
.LBB134_270:
	v_mov_b32_e32 v66, 0
	v_mov_b32_e32 v67, 0
.LBB134_271:
	s_waitcnt vmcnt(0)
	s_delay_alu instid0(VALU_DEP_1)
	v_add_f64 v[64:65], v[64:65], v[66:67]
	v_add_co_u32 v0, vcc_lo, v68, v0
	v_add_co_ci_u32_e32 v1, vcc_lo, v69, v1, vcc_lo
	global_store_b64 v[0:1], v[64:65], off
	s_or_b32 exec_lo, exec_lo, s0
	s_and_b32 s1, s11, s1
	s_delay_alu instid0(SALU_CYCLE_1)
	s_and_saveexec_b32 s0, s1
	s_cbranch_execz .LBB134_237
.LBB134_272:
	scratch_load_b64 v[0:1], off, off offset:264
	v_cmp_ne_u32_e32 vcc_lo, 1, v70
	v_lshlrev_b64 v[2:3], 3, v[2:3]
	s_cbranch_vccnz .LBB134_274
; %bb.273:
	s_delay_alu instid0(VALU_DEP_1) | instskip(NEXT) | instid1(VALU_DEP_2)
	v_add_co_u32 v64, vcc_lo, v71, v2
	v_add_co_ci_u32_e32 v65, vcc_lo, v72, v3, vcc_lo
	flat_load_b64 v[64:65], v[64:65]
	s_waitcnt vmcnt(0) lgkmcnt(0)
	v_mul_f64 v[64:65], v[64:65], s[38:39]
	s_branch .LBB134_275
.LBB134_274:
	v_mov_b32_e32 v64, 0
	v_mov_b32_e32 v65, 0
.LBB134_275:
	s_waitcnt vmcnt(0)
	s_delay_alu instid0(VALU_DEP_1)
	v_add_f64 v[0:1], v[0:1], v[64:65]
	v_add_co_u32 v2, vcc_lo, v68, v2
	v_add_co_ci_u32_e32 v3, vcc_lo, v69, v3, vcc_lo
	global_store_b64 v[2:3], v[0:1], off
	s_or_b32 exec_lo, exec_lo, s0
	s_and_b32 s1, s11, s2
	s_delay_alu instid0(SALU_CYCLE_1)
	s_and_saveexec_b32 s0, s1
	s_cbranch_execz .LBB134_238
.LBB134_276:
	scratch_load_b64 v[0:1], off, off offset:272
	v_cmp_ne_u32_e32 vcc_lo, 1, v70
	v_lshlrev_b64 v[2:3], 3, v[4:5]
	s_cbranch_vccnz .LBB134_278
; %bb.277:
	s_delay_alu instid0(VALU_DEP_1) | instskip(NEXT) | instid1(VALU_DEP_2)
	v_add_co_u32 v4, vcc_lo, v71, v2
	v_add_co_ci_u32_e32 v5, vcc_lo, v72, v3, vcc_lo
	flat_load_b64 v[4:5], v[4:5]
	s_waitcnt vmcnt(0) lgkmcnt(0)
	v_mul_f64 v[4:5], v[4:5], s[38:39]
	s_branch .LBB134_279
.LBB134_278:
	v_mov_b32_e32 v4, 0
	v_mov_b32_e32 v5, 0
.LBB134_279:
	s_waitcnt vmcnt(0)
	s_delay_alu instid0(VALU_DEP_1)
	v_add_f64 v[0:1], v[0:1], v[4:5]
	v_add_co_u32 v2, vcc_lo, v68, v2
	v_add_co_ci_u32_e32 v3, vcc_lo, v69, v3, vcc_lo
	global_store_b64 v[2:3], v[0:1], off
	s_or_b32 exec_lo, exec_lo, s0
	s_and_b32 s1, s11, s3
	s_delay_alu instid0(SALU_CYCLE_1)
	s_and_saveexec_b32 s0, s1
	s_cbranch_execz .LBB134_239
.LBB134_280:
	scratch_load_b64 v[0:1], off, off offset:280
	v_cmp_ne_u32_e32 vcc_lo, 1, v70
	v_lshlrev_b64 v[2:3], 3, v[6:7]
	s_cbranch_vccnz .LBB134_282
; %bb.281:
	s_delay_alu instid0(VALU_DEP_1) | instskip(NEXT) | instid1(VALU_DEP_2)
	v_add_co_u32 v4, vcc_lo, v71, v2
	v_add_co_ci_u32_e32 v5, vcc_lo, v72, v3, vcc_lo
	flat_load_b64 v[4:5], v[4:5]
	s_waitcnt vmcnt(0) lgkmcnt(0)
	v_mul_f64 v[4:5], v[4:5], s[38:39]
	s_branch .LBB134_283
.LBB134_282:
	v_mov_b32_e32 v4, 0
	v_mov_b32_e32 v5, 0
.LBB134_283:
	s_waitcnt vmcnt(0)
	s_delay_alu instid0(VALU_DEP_1)
	v_add_f64 v[0:1], v[0:1], v[4:5]
	v_add_co_u32 v2, vcc_lo, v68, v2
	v_add_co_ci_u32_e32 v3, vcc_lo, v69, v3, vcc_lo
	global_store_b64 v[2:3], v[0:1], off
	s_or_b32 exec_lo, exec_lo, s0
	s_and_b32 s1, s11, s4
	s_delay_alu instid0(SALU_CYCLE_1)
	s_and_saveexec_b32 s0, s1
	s_cbranch_execz .LBB134_240
.LBB134_284:
	scratch_load_b64 v[0:1], off, off offset:288
	v_cmp_ne_u32_e32 vcc_lo, 1, v70
	v_lshlrev_b64 v[2:3], 3, v[8:9]
	s_cbranch_vccnz .LBB134_286
; %bb.285:
	s_delay_alu instid0(VALU_DEP_1) | instskip(NEXT) | instid1(VALU_DEP_2)
	v_add_co_u32 v4, vcc_lo, v71, v2
	v_add_co_ci_u32_e32 v5, vcc_lo, v72, v3, vcc_lo
	flat_load_b64 v[4:5], v[4:5]
	s_waitcnt vmcnt(0) lgkmcnt(0)
	v_mul_f64 v[4:5], v[4:5], s[38:39]
	s_branch .LBB134_287
.LBB134_286:
	v_mov_b32_e32 v4, 0
	v_mov_b32_e32 v5, 0
.LBB134_287:
	s_waitcnt vmcnt(0)
	s_delay_alu instid0(VALU_DEP_1)
	v_add_f64 v[0:1], v[0:1], v[4:5]
	v_add_co_u32 v2, vcc_lo, v68, v2
	v_add_co_ci_u32_e32 v3, vcc_lo, v69, v3, vcc_lo
	global_store_b64 v[2:3], v[0:1], off
	s_or_b32 exec_lo, exec_lo, s0
	s_and_b32 s1, s11, s5
	s_delay_alu instid0(SALU_CYCLE_1)
	s_and_saveexec_b32 s0, s1
	s_cbranch_execz .LBB134_241
.LBB134_288:
	scratch_load_b64 v[0:1], off, off offset:296
	v_cmp_ne_u32_e32 vcc_lo, 1, v70
	v_lshlrev_b64 v[2:3], 3, v[10:11]
	s_cbranch_vccnz .LBB134_290
; %bb.289:
	s_delay_alu instid0(VALU_DEP_1) | instskip(NEXT) | instid1(VALU_DEP_2)
	v_add_co_u32 v4, vcc_lo, v71, v2
	v_add_co_ci_u32_e32 v5, vcc_lo, v72, v3, vcc_lo
	flat_load_b64 v[4:5], v[4:5]
	s_waitcnt vmcnt(0) lgkmcnt(0)
	v_mul_f64 v[4:5], v[4:5], s[38:39]
	s_branch .LBB134_291
.LBB134_290:
	v_mov_b32_e32 v4, 0
	v_mov_b32_e32 v5, 0
.LBB134_291:
	s_waitcnt vmcnt(0)
	s_delay_alu instid0(VALU_DEP_1)
	v_add_f64 v[0:1], v[0:1], v[4:5]
	v_add_co_u32 v2, vcc_lo, v68, v2
	v_add_co_ci_u32_e32 v3, vcc_lo, v69, v3, vcc_lo
	global_store_b64 v[2:3], v[0:1], off
	s_or_b32 exec_lo, exec_lo, s0
	s_and_b32 s1, s11, s6
	s_delay_alu instid0(SALU_CYCLE_1)
	s_and_saveexec_b32 s0, s1
	s_cbranch_execz .LBB134_242
.LBB134_292:
	scratch_load_b64 v[0:1], off, off offset:304
	v_cmp_ne_u32_e32 vcc_lo, 1, v70
	v_lshlrev_b64 v[2:3], 3, v[12:13]
	s_cbranch_vccnz .LBB134_294
; %bb.293:
	s_delay_alu instid0(VALU_DEP_1) | instskip(NEXT) | instid1(VALU_DEP_2)
	v_add_co_u32 v4, vcc_lo, v71, v2
	v_add_co_ci_u32_e32 v5, vcc_lo, v72, v3, vcc_lo
	flat_load_b64 v[4:5], v[4:5]
	s_waitcnt vmcnt(0) lgkmcnt(0)
	v_mul_f64 v[4:5], v[4:5], s[38:39]
	s_branch .LBB134_295
.LBB134_294:
	v_mov_b32_e32 v4, 0
	v_mov_b32_e32 v5, 0
.LBB134_295:
	s_waitcnt vmcnt(0)
	s_delay_alu instid0(VALU_DEP_1)
	v_add_f64 v[0:1], v[0:1], v[4:5]
	v_add_co_u32 v2, vcc_lo, v68, v2
	v_add_co_ci_u32_e32 v3, vcc_lo, v69, v3, vcc_lo
	global_store_b64 v[2:3], v[0:1], off
	s_or_b32 exec_lo, exec_lo, s0
	s_and_b32 s1, s11, s7
	s_delay_alu instid0(SALU_CYCLE_1)
	s_and_saveexec_b32 s0, s1
	s_cbranch_execz .LBB134_243
.LBB134_296:
	scratch_load_b64 v[0:1], off, off offset:312
	v_cmp_ne_u32_e32 vcc_lo, 1, v70
	v_lshlrev_b64 v[2:3], 3, v[14:15]
	s_cbranch_vccnz .LBB134_298
; %bb.297:
	s_delay_alu instid0(VALU_DEP_1) | instskip(NEXT) | instid1(VALU_DEP_2)
	v_add_co_u32 v4, vcc_lo, v71, v2
	v_add_co_ci_u32_e32 v5, vcc_lo, v72, v3, vcc_lo
	flat_load_b64 v[4:5], v[4:5]
	s_waitcnt vmcnt(0) lgkmcnt(0)
	v_mul_f64 v[4:5], v[4:5], s[38:39]
	s_branch .LBB134_299
.LBB134_298:
	v_mov_b32_e32 v4, 0
	v_mov_b32_e32 v5, 0
.LBB134_299:
	s_waitcnt vmcnt(0)
	s_delay_alu instid0(VALU_DEP_1)
	v_add_f64 v[0:1], v[0:1], v[4:5]
	v_add_co_u32 v2, vcc_lo, v68, v2
	v_add_co_ci_u32_e32 v3, vcc_lo, v69, v3, vcc_lo
	global_store_b64 v[2:3], v[0:1], off
	s_or_b32 exec_lo, exec_lo, s0
	s_and_b32 s1, s11, s8
	s_delay_alu instid0(SALU_CYCLE_1)
	s_and_saveexec_b32 s0, s1
	s_cbranch_execz .LBB134_244
.LBB134_300:
	scratch_load_b64 v[0:1], off, off offset:320
	v_cmp_ne_u32_e32 vcc_lo, 1, v70
	v_lshlrev_b64 v[2:3], 3, v[16:17]
	s_cbranch_vccnz .LBB134_302
; %bb.301:
	s_delay_alu instid0(VALU_DEP_1) | instskip(NEXT) | instid1(VALU_DEP_2)
	v_add_co_u32 v4, vcc_lo, v71, v2
	v_add_co_ci_u32_e32 v5, vcc_lo, v72, v3, vcc_lo
	flat_load_b64 v[4:5], v[4:5]
	s_waitcnt vmcnt(0) lgkmcnt(0)
	v_mul_f64 v[4:5], v[4:5], s[38:39]
	s_branch .LBB134_303
.LBB134_302:
	v_mov_b32_e32 v4, 0
	v_mov_b32_e32 v5, 0
.LBB134_303:
	s_waitcnt vmcnt(0)
	s_delay_alu instid0(VALU_DEP_1)
	v_add_f64 v[0:1], v[0:1], v[4:5]
	v_add_co_u32 v2, vcc_lo, v68, v2
	v_add_co_ci_u32_e32 v3, vcc_lo, v69, v3, vcc_lo
	global_store_b64 v[2:3], v[0:1], off
	s_or_b32 exec_lo, exec_lo, s0
	s_and_b32 s1, s11, s9
	s_delay_alu instid0(SALU_CYCLE_1)
	s_and_saveexec_b32 s0, s1
	s_cbranch_execz .LBB134_245
.LBB134_304:
	scratch_load_b64 v[0:1], off, off offset:328
	v_cmp_ne_u32_e32 vcc_lo, 1, v70
	v_lshlrev_b64 v[2:3], 3, v[18:19]
	s_cbranch_vccnz .LBB134_306
; %bb.305:
	s_delay_alu instid0(VALU_DEP_1) | instskip(NEXT) | instid1(VALU_DEP_2)
	v_add_co_u32 v4, vcc_lo, v71, v2
	v_add_co_ci_u32_e32 v5, vcc_lo, v72, v3, vcc_lo
	flat_load_b64 v[4:5], v[4:5]
	s_waitcnt vmcnt(0) lgkmcnt(0)
	v_mul_f64 v[4:5], v[4:5], s[38:39]
	s_branch .LBB134_307
.LBB134_306:
	v_mov_b32_e32 v4, 0
	v_mov_b32_e32 v5, 0
.LBB134_307:
	s_waitcnt vmcnt(0)
	s_delay_alu instid0(VALU_DEP_1)
	v_add_f64 v[0:1], v[0:1], v[4:5]
	v_add_co_u32 v2, vcc_lo, v68, v2
	v_add_co_ci_u32_e32 v3, vcc_lo, v69, v3, vcc_lo
	global_store_b64 v[2:3], v[0:1], off
	s_or_b32 exec_lo, exec_lo, s0
	s_and_b32 s1, s11, s10
	s_delay_alu instid0(SALU_CYCLE_1)
	s_and_saveexec_b32 s0, s1
	s_cbranch_execz .LBB134_246
.LBB134_308:
	scratch_load_b64 v[0:1], off, off offset:336
	v_cmp_ne_u32_e32 vcc_lo, 1, v70
	v_lshlrev_b64 v[2:3], 3, v[20:21]
	s_cbranch_vccnz .LBB134_310
; %bb.309:
	s_delay_alu instid0(VALU_DEP_1) | instskip(NEXT) | instid1(VALU_DEP_2)
	v_add_co_u32 v4, vcc_lo, v71, v2
	v_add_co_ci_u32_e32 v5, vcc_lo, v72, v3, vcc_lo
	flat_load_b64 v[4:5], v[4:5]
	s_waitcnt vmcnt(0) lgkmcnt(0)
	v_mul_f64 v[4:5], v[4:5], s[38:39]
	s_branch .LBB134_311
.LBB134_310:
	v_mov_b32_e32 v4, 0
	v_mov_b32_e32 v5, 0
.LBB134_311:
	s_waitcnt vmcnt(0)
	s_delay_alu instid0(VALU_DEP_1)
	v_add_f64 v[0:1], v[0:1], v[4:5]
	v_add_co_u32 v2, vcc_lo, v68, v2
	v_add_co_ci_u32_e32 v3, vcc_lo, v69, v3, vcc_lo
	global_store_b64 v[2:3], v[0:1], off
	s_or_b32 exec_lo, exec_lo, s0
	s_and_b32 s1, s11, s12
	s_delay_alu instid0(SALU_CYCLE_1)
	s_and_saveexec_b32 s0, s1
	s_cbranch_execz .LBB134_247
.LBB134_312:
	scratch_load_b64 v[0:1], off, off offset:344
	v_cmp_ne_u32_e32 vcc_lo, 1, v70
	v_lshlrev_b64 v[2:3], 3, v[22:23]
	s_cbranch_vccnz .LBB134_314
; %bb.313:
	s_delay_alu instid0(VALU_DEP_1) | instskip(NEXT) | instid1(VALU_DEP_2)
	v_add_co_u32 v4, vcc_lo, v71, v2
	v_add_co_ci_u32_e32 v5, vcc_lo, v72, v3, vcc_lo
	flat_load_b64 v[4:5], v[4:5]
	s_waitcnt vmcnt(0) lgkmcnt(0)
	v_mul_f64 v[4:5], v[4:5], s[38:39]
	s_branch .LBB134_315
.LBB134_314:
	v_mov_b32_e32 v4, 0
	v_mov_b32_e32 v5, 0
.LBB134_315:
	s_waitcnt vmcnt(0)
	s_delay_alu instid0(VALU_DEP_1)
	v_add_f64 v[0:1], v[0:1], v[4:5]
	v_add_co_u32 v2, vcc_lo, v68, v2
	v_add_co_ci_u32_e32 v3, vcc_lo, v69, v3, vcc_lo
	global_store_b64 v[2:3], v[0:1], off
	s_or_b32 exec_lo, exec_lo, s0
	s_and_b32 s1, s11, s13
	s_delay_alu instid0(SALU_CYCLE_1)
	s_and_saveexec_b32 s0, s1
	s_cbranch_execz .LBB134_248
.LBB134_316:
	scratch_load_b64 v[0:1], off, off offset:352
	v_cmp_ne_u32_e32 vcc_lo, 1, v70
	v_lshlrev_b64 v[2:3], 3, v[24:25]
	s_cbranch_vccnz .LBB134_318
; %bb.317:
	s_delay_alu instid0(VALU_DEP_1) | instskip(NEXT) | instid1(VALU_DEP_2)
	v_add_co_u32 v4, vcc_lo, v71, v2
	v_add_co_ci_u32_e32 v5, vcc_lo, v72, v3, vcc_lo
	flat_load_b64 v[4:5], v[4:5]
	s_waitcnt vmcnt(0) lgkmcnt(0)
	v_mul_f64 v[4:5], v[4:5], s[38:39]
	s_branch .LBB134_319
.LBB134_318:
	v_mov_b32_e32 v4, 0
	v_mov_b32_e32 v5, 0
.LBB134_319:
	s_waitcnt vmcnt(0)
	s_delay_alu instid0(VALU_DEP_1)
	v_add_f64 v[0:1], v[0:1], v[4:5]
	v_add_co_u32 v2, vcc_lo, v68, v2
	v_add_co_ci_u32_e32 v3, vcc_lo, v69, v3, vcc_lo
	global_store_b64 v[2:3], v[0:1], off
	s_or_b32 exec_lo, exec_lo, s0
	s_and_b32 s1, s11, s14
	s_delay_alu instid0(SALU_CYCLE_1)
	s_and_saveexec_b32 s0, s1
	s_cbranch_execz .LBB134_249
.LBB134_320:
	scratch_load_b64 v[0:1], off, off offset:360
	v_cmp_ne_u32_e32 vcc_lo, 1, v70
	v_lshlrev_b64 v[2:3], 3, v[26:27]
	s_cbranch_vccnz .LBB134_322
; %bb.321:
	s_delay_alu instid0(VALU_DEP_1) | instskip(NEXT) | instid1(VALU_DEP_2)
	v_add_co_u32 v4, vcc_lo, v71, v2
	v_add_co_ci_u32_e32 v5, vcc_lo, v72, v3, vcc_lo
	flat_load_b64 v[4:5], v[4:5]
	s_waitcnt vmcnt(0) lgkmcnt(0)
	v_mul_f64 v[4:5], v[4:5], s[38:39]
	s_branch .LBB134_323
.LBB134_322:
	v_mov_b32_e32 v4, 0
	v_mov_b32_e32 v5, 0
.LBB134_323:
	s_waitcnt vmcnt(0)
	s_delay_alu instid0(VALU_DEP_1)
	v_add_f64 v[0:1], v[0:1], v[4:5]
	v_add_co_u32 v2, vcc_lo, v68, v2
	v_add_co_ci_u32_e32 v3, vcc_lo, v69, v3, vcc_lo
	global_store_b64 v[2:3], v[0:1], off
	s_or_b32 exec_lo, exec_lo, s0
	s_and_b32 s1, s11, s15
	s_delay_alu instid0(SALU_CYCLE_1)
	s_and_saveexec_b32 s0, s1
	s_cbranch_execz .LBB134_250
.LBB134_324:
	scratch_load_b64 v[0:1], off, off offset:368
	v_cmp_ne_u32_e32 vcc_lo, 1, v70
	v_lshlrev_b64 v[2:3], 3, v[28:29]
	s_cbranch_vccnz .LBB134_326
; %bb.325:
	s_delay_alu instid0(VALU_DEP_1) | instskip(NEXT) | instid1(VALU_DEP_2)
	v_add_co_u32 v4, vcc_lo, v71, v2
	v_add_co_ci_u32_e32 v5, vcc_lo, v72, v3, vcc_lo
	flat_load_b64 v[4:5], v[4:5]
	s_waitcnt vmcnt(0) lgkmcnt(0)
	v_mul_f64 v[4:5], v[4:5], s[38:39]
	s_branch .LBB134_327
.LBB134_326:
	v_mov_b32_e32 v4, 0
	v_mov_b32_e32 v5, 0
.LBB134_327:
	s_waitcnt vmcnt(0)
	s_delay_alu instid0(VALU_DEP_1)
	v_add_f64 v[0:1], v[0:1], v[4:5]
	v_add_co_u32 v2, vcc_lo, v68, v2
	v_add_co_ci_u32_e32 v3, vcc_lo, v69, v3, vcc_lo
	global_store_b64 v[2:3], v[0:1], off
	s_or_b32 exec_lo, exec_lo, s0
	s_and_b32 s1, s11, s16
	s_delay_alu instid0(SALU_CYCLE_1)
	s_and_saveexec_b32 s0, s1
	s_cbranch_execz .LBB134_251
.LBB134_328:
	scratch_load_b64 v[0:1], off, off offset:376
	v_cmp_ne_u32_e32 vcc_lo, 1, v70
	v_lshlrev_b64 v[2:3], 3, v[30:31]
	s_cbranch_vccnz .LBB134_330
; %bb.329:
	s_delay_alu instid0(VALU_DEP_1) | instskip(NEXT) | instid1(VALU_DEP_2)
	v_add_co_u32 v4, vcc_lo, v71, v2
	v_add_co_ci_u32_e32 v5, vcc_lo, v72, v3, vcc_lo
	flat_load_b64 v[4:5], v[4:5]
	s_waitcnt vmcnt(0) lgkmcnt(0)
	v_mul_f64 v[4:5], v[4:5], s[38:39]
	s_branch .LBB134_331
.LBB134_330:
	v_mov_b32_e32 v4, 0
	v_mov_b32_e32 v5, 0
.LBB134_331:
	s_waitcnt vmcnt(0)
	s_delay_alu instid0(VALU_DEP_1)
	v_add_f64 v[0:1], v[0:1], v[4:5]
	v_add_co_u32 v2, vcc_lo, v68, v2
	v_add_co_ci_u32_e32 v3, vcc_lo, v69, v3, vcc_lo
	global_store_b64 v[2:3], v[0:1], off
	s_or_b32 exec_lo, exec_lo, s0
	s_and_b32 s1, s11, s17
	s_delay_alu instid0(SALU_CYCLE_1)
	s_and_saveexec_b32 s0, s1
	s_cbranch_execz .LBB134_252
.LBB134_332:
	scratch_load_b64 v[0:1], off, off offset:384
	v_cmp_ne_u32_e32 vcc_lo, 1, v70
	v_lshlrev_b64 v[2:3], 3, v[32:33]
	s_cbranch_vccnz .LBB134_334
; %bb.333:
	s_delay_alu instid0(VALU_DEP_1) | instskip(NEXT) | instid1(VALU_DEP_2)
	v_add_co_u32 v4, vcc_lo, v71, v2
	v_add_co_ci_u32_e32 v5, vcc_lo, v72, v3, vcc_lo
	flat_load_b64 v[4:5], v[4:5]
	s_waitcnt vmcnt(0) lgkmcnt(0)
	v_mul_f64 v[4:5], v[4:5], s[38:39]
	s_branch .LBB134_335
.LBB134_334:
	v_mov_b32_e32 v4, 0
	v_mov_b32_e32 v5, 0
.LBB134_335:
	s_waitcnt vmcnt(0)
	s_delay_alu instid0(VALU_DEP_1)
	v_add_f64 v[0:1], v[0:1], v[4:5]
	v_add_co_u32 v2, vcc_lo, v68, v2
	v_add_co_ci_u32_e32 v3, vcc_lo, v69, v3, vcc_lo
	global_store_b64 v[2:3], v[0:1], off
	s_or_b32 exec_lo, exec_lo, s0
	s_and_b32 s1, s11, s18
	s_delay_alu instid0(SALU_CYCLE_1)
	s_and_saveexec_b32 s0, s1
	s_cbranch_execz .LBB134_253
.LBB134_336:
	scratch_load_b64 v[0:1], off, off offset:392
	v_cmp_ne_u32_e32 vcc_lo, 1, v70
	v_lshlrev_b64 v[2:3], 3, v[34:35]
	s_cbranch_vccnz .LBB134_338
; %bb.337:
	s_delay_alu instid0(VALU_DEP_1) | instskip(NEXT) | instid1(VALU_DEP_2)
	v_add_co_u32 v4, vcc_lo, v71, v2
	v_add_co_ci_u32_e32 v5, vcc_lo, v72, v3, vcc_lo
	flat_load_b64 v[4:5], v[4:5]
	s_waitcnt vmcnt(0) lgkmcnt(0)
	v_mul_f64 v[4:5], v[4:5], s[38:39]
	s_branch .LBB134_339
.LBB134_338:
	v_mov_b32_e32 v4, 0
	v_mov_b32_e32 v5, 0
.LBB134_339:
	s_waitcnt vmcnt(0)
	s_delay_alu instid0(VALU_DEP_1)
	v_add_f64 v[0:1], v[0:1], v[4:5]
	v_add_co_u32 v2, vcc_lo, v68, v2
	v_add_co_ci_u32_e32 v3, vcc_lo, v69, v3, vcc_lo
	global_store_b64 v[2:3], v[0:1], off
	s_or_b32 exec_lo, exec_lo, s0
	s_and_b32 s1, s11, s19
	s_delay_alu instid0(SALU_CYCLE_1)
	s_and_saveexec_b32 s0, s1
	s_cbranch_execz .LBB134_254
.LBB134_340:
	scratch_load_b64 v[0:1], off, off offset:400
	v_cmp_ne_u32_e32 vcc_lo, 1, v70
	v_lshlrev_b64 v[2:3], 3, v[36:37]
	s_cbranch_vccnz .LBB134_342
; %bb.341:
	s_delay_alu instid0(VALU_DEP_1) | instskip(NEXT) | instid1(VALU_DEP_2)
	v_add_co_u32 v4, vcc_lo, v71, v2
	v_add_co_ci_u32_e32 v5, vcc_lo, v72, v3, vcc_lo
	flat_load_b64 v[4:5], v[4:5]
	s_waitcnt vmcnt(0) lgkmcnt(0)
	v_mul_f64 v[4:5], v[4:5], s[38:39]
	s_branch .LBB134_343
.LBB134_342:
	v_mov_b32_e32 v4, 0
	v_mov_b32_e32 v5, 0
.LBB134_343:
	s_waitcnt vmcnt(0)
	s_delay_alu instid0(VALU_DEP_1)
	v_add_f64 v[0:1], v[0:1], v[4:5]
	v_add_co_u32 v2, vcc_lo, v68, v2
	v_add_co_ci_u32_e32 v3, vcc_lo, v69, v3, vcc_lo
	global_store_b64 v[2:3], v[0:1], off
	s_or_b32 exec_lo, exec_lo, s0
	s_and_b32 s1, s11, s20
	s_delay_alu instid0(SALU_CYCLE_1)
	s_and_saveexec_b32 s0, s1
	s_cbranch_execz .LBB134_255
.LBB134_344:
	scratch_load_b64 v[0:1], off, off offset:408
	v_cmp_ne_u32_e32 vcc_lo, 1, v70
	v_lshlrev_b64 v[2:3], 3, v[38:39]
	s_cbranch_vccnz .LBB134_346
; %bb.345:
	s_delay_alu instid0(VALU_DEP_1) | instskip(NEXT) | instid1(VALU_DEP_2)
	v_add_co_u32 v4, vcc_lo, v71, v2
	v_add_co_ci_u32_e32 v5, vcc_lo, v72, v3, vcc_lo
	flat_load_b64 v[4:5], v[4:5]
	s_waitcnt vmcnt(0) lgkmcnt(0)
	v_mul_f64 v[4:5], v[4:5], s[38:39]
	s_branch .LBB134_347
.LBB134_346:
	v_mov_b32_e32 v4, 0
	v_mov_b32_e32 v5, 0
.LBB134_347:
	s_waitcnt vmcnt(0)
	s_delay_alu instid0(VALU_DEP_1)
	v_add_f64 v[0:1], v[0:1], v[4:5]
	v_add_co_u32 v2, vcc_lo, v68, v2
	v_add_co_ci_u32_e32 v3, vcc_lo, v69, v3, vcc_lo
	global_store_b64 v[2:3], v[0:1], off
	s_or_b32 exec_lo, exec_lo, s0
	s_and_b32 s1, s11, s21
	s_delay_alu instid0(SALU_CYCLE_1)
	s_and_saveexec_b32 s0, s1
	s_cbranch_execz .LBB134_256
.LBB134_348:
	scratch_load_b64 v[0:1], off, off offset:416
	v_cmp_ne_u32_e32 vcc_lo, 1, v70
	v_lshlrev_b64 v[2:3], 3, v[40:41]
	s_cbranch_vccnz .LBB134_350
; %bb.349:
	s_delay_alu instid0(VALU_DEP_1) | instskip(NEXT) | instid1(VALU_DEP_2)
	v_add_co_u32 v4, vcc_lo, v71, v2
	v_add_co_ci_u32_e32 v5, vcc_lo, v72, v3, vcc_lo
	flat_load_b64 v[4:5], v[4:5]
	s_waitcnt vmcnt(0) lgkmcnt(0)
	v_mul_f64 v[4:5], v[4:5], s[38:39]
	s_branch .LBB134_351
.LBB134_350:
	v_mov_b32_e32 v4, 0
	v_mov_b32_e32 v5, 0
.LBB134_351:
	s_waitcnt vmcnt(0)
	s_delay_alu instid0(VALU_DEP_1)
	v_add_f64 v[0:1], v[0:1], v[4:5]
	v_add_co_u32 v2, vcc_lo, v68, v2
	v_add_co_ci_u32_e32 v3, vcc_lo, v69, v3, vcc_lo
	global_store_b64 v[2:3], v[0:1], off
	s_or_b32 exec_lo, exec_lo, s0
	s_and_b32 s1, s11, s22
	s_delay_alu instid0(SALU_CYCLE_1)
	s_and_saveexec_b32 s0, s1
	s_cbranch_execz .LBB134_257
.LBB134_352:
	scratch_load_b64 v[0:1], off, off offset:424
	v_cmp_ne_u32_e32 vcc_lo, 1, v70
	v_lshlrev_b64 v[2:3], 3, v[42:43]
	s_cbranch_vccnz .LBB134_354
; %bb.353:
	s_delay_alu instid0(VALU_DEP_1) | instskip(NEXT) | instid1(VALU_DEP_2)
	v_add_co_u32 v4, vcc_lo, v71, v2
	v_add_co_ci_u32_e32 v5, vcc_lo, v72, v3, vcc_lo
	flat_load_b64 v[4:5], v[4:5]
	s_waitcnt vmcnt(0) lgkmcnt(0)
	v_mul_f64 v[4:5], v[4:5], s[38:39]
	s_branch .LBB134_355
.LBB134_354:
	v_mov_b32_e32 v4, 0
	v_mov_b32_e32 v5, 0
.LBB134_355:
	s_waitcnt vmcnt(0)
	s_delay_alu instid0(VALU_DEP_1)
	v_add_f64 v[0:1], v[0:1], v[4:5]
	v_add_co_u32 v2, vcc_lo, v68, v2
	v_add_co_ci_u32_e32 v3, vcc_lo, v69, v3, vcc_lo
	global_store_b64 v[2:3], v[0:1], off
	s_or_b32 exec_lo, exec_lo, s0
	s_and_b32 s1, s11, s23
	s_delay_alu instid0(SALU_CYCLE_1)
	s_and_saveexec_b32 s0, s1
	s_cbranch_execz .LBB134_258
.LBB134_356:
	scratch_load_b64 v[0:1], off, off offset:432
	v_cmp_ne_u32_e32 vcc_lo, 1, v70
	v_lshlrev_b64 v[2:3], 3, v[44:45]
	s_cbranch_vccnz .LBB134_358
; %bb.357:
	s_delay_alu instid0(VALU_DEP_1) | instskip(NEXT) | instid1(VALU_DEP_2)
	v_add_co_u32 v4, vcc_lo, v71, v2
	v_add_co_ci_u32_e32 v5, vcc_lo, v72, v3, vcc_lo
	flat_load_b64 v[4:5], v[4:5]
	s_waitcnt vmcnt(0) lgkmcnt(0)
	v_mul_f64 v[4:5], v[4:5], s[38:39]
	s_branch .LBB134_359
.LBB134_358:
	v_mov_b32_e32 v4, 0
	v_mov_b32_e32 v5, 0
.LBB134_359:
	s_waitcnt vmcnt(0)
	s_delay_alu instid0(VALU_DEP_1)
	v_add_f64 v[0:1], v[0:1], v[4:5]
	v_add_co_u32 v2, vcc_lo, v68, v2
	v_add_co_ci_u32_e32 v3, vcc_lo, v69, v3, vcc_lo
	global_store_b64 v[2:3], v[0:1], off
	s_or_b32 exec_lo, exec_lo, s0
	s_and_b32 s1, s11, s24
	s_delay_alu instid0(SALU_CYCLE_1)
	s_and_saveexec_b32 s0, s1
	s_cbranch_execz .LBB134_259
.LBB134_360:
	scratch_load_b64 v[0:1], off, off offset:440
	v_cmp_ne_u32_e32 vcc_lo, 1, v70
	v_lshlrev_b64 v[2:3], 3, v[46:47]
	s_cbranch_vccnz .LBB134_362
; %bb.361:
	s_delay_alu instid0(VALU_DEP_1) | instskip(NEXT) | instid1(VALU_DEP_2)
	v_add_co_u32 v4, vcc_lo, v71, v2
	v_add_co_ci_u32_e32 v5, vcc_lo, v72, v3, vcc_lo
	flat_load_b64 v[4:5], v[4:5]
	s_waitcnt vmcnt(0) lgkmcnt(0)
	v_mul_f64 v[4:5], v[4:5], s[38:39]
	s_branch .LBB134_363
.LBB134_362:
	v_mov_b32_e32 v4, 0
	v_mov_b32_e32 v5, 0
.LBB134_363:
	s_waitcnt vmcnt(0)
	s_delay_alu instid0(VALU_DEP_1)
	v_add_f64 v[0:1], v[0:1], v[4:5]
	v_add_co_u32 v2, vcc_lo, v68, v2
	v_add_co_ci_u32_e32 v3, vcc_lo, v69, v3, vcc_lo
	global_store_b64 v[2:3], v[0:1], off
	s_or_b32 exec_lo, exec_lo, s0
	s_and_b32 s1, s11, s25
	s_delay_alu instid0(SALU_CYCLE_1)
	s_and_saveexec_b32 s0, s1
	s_cbranch_execz .LBB134_260
.LBB134_364:
	scratch_load_b64 v[0:1], off, off offset:448
	v_cmp_ne_u32_e32 vcc_lo, 1, v70
	v_lshlrev_b64 v[2:3], 3, v[48:49]
	s_cbranch_vccnz .LBB134_366
; %bb.365:
	s_delay_alu instid0(VALU_DEP_1) | instskip(NEXT) | instid1(VALU_DEP_2)
	v_add_co_u32 v4, vcc_lo, v71, v2
	v_add_co_ci_u32_e32 v5, vcc_lo, v72, v3, vcc_lo
	flat_load_b64 v[4:5], v[4:5]
	s_waitcnt vmcnt(0) lgkmcnt(0)
	v_mul_f64 v[4:5], v[4:5], s[38:39]
	s_branch .LBB134_367
.LBB134_366:
	v_mov_b32_e32 v4, 0
	v_mov_b32_e32 v5, 0
.LBB134_367:
	s_waitcnt vmcnt(0)
	s_delay_alu instid0(VALU_DEP_1)
	v_add_f64 v[0:1], v[0:1], v[4:5]
	v_add_co_u32 v2, vcc_lo, v68, v2
	v_add_co_ci_u32_e32 v3, vcc_lo, v69, v3, vcc_lo
	global_store_b64 v[2:3], v[0:1], off
	s_or_b32 exec_lo, exec_lo, s0
	s_and_b32 s1, s11, s26
	s_delay_alu instid0(SALU_CYCLE_1)
	s_and_saveexec_b32 s0, s1
	s_cbranch_execz .LBB134_261
.LBB134_368:
	scratch_load_b64 v[0:1], off, off offset:456
	v_cmp_ne_u32_e32 vcc_lo, 1, v70
	v_lshlrev_b64 v[2:3], 3, v[50:51]
	s_cbranch_vccnz .LBB134_370
; %bb.369:
	s_delay_alu instid0(VALU_DEP_1) | instskip(NEXT) | instid1(VALU_DEP_2)
	v_add_co_u32 v4, vcc_lo, v71, v2
	v_add_co_ci_u32_e32 v5, vcc_lo, v72, v3, vcc_lo
	flat_load_b64 v[4:5], v[4:5]
	s_waitcnt vmcnt(0) lgkmcnt(0)
	v_mul_f64 v[4:5], v[4:5], s[38:39]
	s_branch .LBB134_371
.LBB134_370:
	v_mov_b32_e32 v4, 0
	v_mov_b32_e32 v5, 0
.LBB134_371:
	s_waitcnt vmcnt(0)
	s_delay_alu instid0(VALU_DEP_1)
	v_add_f64 v[0:1], v[0:1], v[4:5]
	v_add_co_u32 v2, vcc_lo, v68, v2
	v_add_co_ci_u32_e32 v3, vcc_lo, v69, v3, vcc_lo
	global_store_b64 v[2:3], v[0:1], off
	s_or_b32 exec_lo, exec_lo, s0
	s_and_b32 s1, s11, s27
	s_delay_alu instid0(SALU_CYCLE_1)
	s_and_saveexec_b32 s0, s1
	s_cbranch_execz .LBB134_262
.LBB134_372:
	scratch_load_b64 v[0:1], off, off offset:464
	v_cmp_ne_u32_e32 vcc_lo, 1, v70
	v_lshlrev_b64 v[2:3], 3, v[52:53]
	s_cbranch_vccnz .LBB134_374
; %bb.373:
	s_delay_alu instid0(VALU_DEP_1) | instskip(NEXT) | instid1(VALU_DEP_2)
	v_add_co_u32 v4, vcc_lo, v71, v2
	v_add_co_ci_u32_e32 v5, vcc_lo, v72, v3, vcc_lo
	flat_load_b64 v[4:5], v[4:5]
	s_waitcnt vmcnt(0) lgkmcnt(0)
	v_mul_f64 v[4:5], v[4:5], s[38:39]
	s_branch .LBB134_375
.LBB134_374:
	v_mov_b32_e32 v4, 0
	v_mov_b32_e32 v5, 0
.LBB134_375:
	s_waitcnt vmcnt(0)
	s_delay_alu instid0(VALU_DEP_1)
	v_add_f64 v[0:1], v[0:1], v[4:5]
	v_add_co_u32 v2, vcc_lo, v68, v2
	v_add_co_ci_u32_e32 v3, vcc_lo, v69, v3, vcc_lo
	global_store_b64 v[2:3], v[0:1], off
	s_or_b32 exec_lo, exec_lo, s0
	s_and_b32 s1, s11, s28
	s_delay_alu instid0(SALU_CYCLE_1)
	s_and_saveexec_b32 s0, s1
	s_cbranch_execz .LBB134_263
.LBB134_376:
	scratch_load_b64 v[0:1], off, off offset:472
	v_cmp_ne_u32_e32 vcc_lo, 1, v70
	v_lshlrev_b64 v[2:3], 3, v[54:55]
	s_cbranch_vccnz .LBB134_378
; %bb.377:
	s_delay_alu instid0(VALU_DEP_1) | instskip(NEXT) | instid1(VALU_DEP_2)
	v_add_co_u32 v4, vcc_lo, v71, v2
	v_add_co_ci_u32_e32 v5, vcc_lo, v72, v3, vcc_lo
	flat_load_b64 v[4:5], v[4:5]
	s_waitcnt vmcnt(0) lgkmcnt(0)
	v_mul_f64 v[4:5], v[4:5], s[38:39]
	s_branch .LBB134_379
.LBB134_378:
	v_mov_b32_e32 v4, 0
	v_mov_b32_e32 v5, 0
.LBB134_379:
	s_waitcnt vmcnt(0)
	s_delay_alu instid0(VALU_DEP_1)
	v_add_f64 v[0:1], v[0:1], v[4:5]
	v_add_co_u32 v2, vcc_lo, v68, v2
	v_add_co_ci_u32_e32 v3, vcc_lo, v69, v3, vcc_lo
	global_store_b64 v[2:3], v[0:1], off
	s_or_b32 exec_lo, exec_lo, s0
	s_and_b32 s1, s11, s29
	s_delay_alu instid0(SALU_CYCLE_1)
	s_and_saveexec_b32 s0, s1
	s_cbranch_execz .LBB134_264
.LBB134_380:
	scratch_load_b64 v[0:1], off, off offset:480
	v_cmp_ne_u32_e32 vcc_lo, 1, v70
	v_lshlrev_b64 v[2:3], 3, v[56:57]
	s_cbranch_vccnz .LBB134_382
; %bb.381:
	s_delay_alu instid0(VALU_DEP_1) | instskip(NEXT) | instid1(VALU_DEP_2)
	v_add_co_u32 v4, vcc_lo, v71, v2
	v_add_co_ci_u32_e32 v5, vcc_lo, v72, v3, vcc_lo
	flat_load_b64 v[4:5], v[4:5]
	s_waitcnt vmcnt(0) lgkmcnt(0)
	v_mul_f64 v[4:5], v[4:5], s[38:39]
	s_branch .LBB134_383
.LBB134_382:
	v_mov_b32_e32 v4, 0
	v_mov_b32_e32 v5, 0
.LBB134_383:
	s_waitcnt vmcnt(0)
	s_delay_alu instid0(VALU_DEP_1)
	v_add_f64 v[0:1], v[0:1], v[4:5]
	v_add_co_u32 v2, vcc_lo, v68, v2
	v_add_co_ci_u32_e32 v3, vcc_lo, v69, v3, vcc_lo
	global_store_b64 v[2:3], v[0:1], off
	s_or_b32 exec_lo, exec_lo, s0
	s_and_b32 s1, s11, s30
	s_delay_alu instid0(SALU_CYCLE_1)
	s_and_saveexec_b32 s0, s1
	s_cbranch_execz .LBB134_265
.LBB134_384:
	scratch_load_b64 v[0:1], off, off offset:488
	v_cmp_ne_u32_e32 vcc_lo, 1, v70
	v_lshlrev_b64 v[2:3], 3, v[58:59]
	s_cbranch_vccnz .LBB134_386
; %bb.385:
	s_delay_alu instid0(VALU_DEP_1) | instskip(NEXT) | instid1(VALU_DEP_2)
	v_add_co_u32 v4, vcc_lo, v71, v2
	v_add_co_ci_u32_e32 v5, vcc_lo, v72, v3, vcc_lo
	flat_load_b64 v[4:5], v[4:5]
	s_waitcnt vmcnt(0) lgkmcnt(0)
	v_mul_f64 v[4:5], v[4:5], s[38:39]
	s_branch .LBB134_387
.LBB134_386:
	v_mov_b32_e32 v4, 0
	v_mov_b32_e32 v5, 0
.LBB134_387:
	s_waitcnt vmcnt(0)
	s_delay_alu instid0(VALU_DEP_1)
	v_add_f64 v[0:1], v[0:1], v[4:5]
	v_add_co_u32 v2, vcc_lo, v68, v2
	v_add_co_ci_u32_e32 v3, vcc_lo, v69, v3, vcc_lo
	global_store_b64 v[2:3], v[0:1], off
	s_or_b32 exec_lo, exec_lo, s0
	s_and_b32 s1, s11, s31
	s_delay_alu instid0(SALU_CYCLE_1)
	s_and_saveexec_b32 s0, s1
	s_cbranch_execz .LBB134_266
.LBB134_388:
	scratch_load_b64 v[0:1], off, off offset:496
	v_cmp_ne_u32_e32 vcc_lo, 1, v70
	v_lshlrev_b64 v[2:3], 3, v[60:61]
	s_cbranch_vccnz .LBB134_390
; %bb.389:
	s_delay_alu instid0(VALU_DEP_1) | instskip(NEXT) | instid1(VALU_DEP_2)
	v_add_co_u32 v4, vcc_lo, v71, v2
	v_add_co_ci_u32_e32 v5, vcc_lo, v72, v3, vcc_lo
	flat_load_b64 v[4:5], v[4:5]
	s_waitcnt vmcnt(0) lgkmcnt(0)
	v_mul_f64 v[4:5], v[4:5], s[38:39]
	s_branch .LBB134_391
.LBB134_390:
	v_mov_b32_e32 v4, 0
	v_mov_b32_e32 v5, 0
.LBB134_391:
	s_waitcnt vmcnt(0)
	s_delay_alu instid0(VALU_DEP_1)
	v_add_f64 v[0:1], v[0:1], v[4:5]
	v_add_co_u32 v2, vcc_lo, v68, v2
	v_add_co_ci_u32_e32 v3, vcc_lo, v69, v3, vcc_lo
	global_store_b64 v[2:3], v[0:1], off
	s_or_b32 exec_lo, exec_lo, s0
	s_and_b32 s0, s11, s33
	s_delay_alu instid0(SALU_CYCLE_1)
	s_and_saveexec_b32 s1, s0
	s_cbranch_execz .LBB134_267
.LBB134_392:
	scratch_load_b64 v[0:1], off, off offset:504
	v_cmp_ne_u32_e32 vcc_lo, 1, v70
	v_lshlrev_b64 v[2:3], 3, v[62:63]
	s_cbranch_vccnz .LBB134_394
; %bb.393:
	s_delay_alu instid0(VALU_DEP_1) | instskip(NEXT) | instid1(VALU_DEP_2)
	v_add_co_u32 v4, vcc_lo, v71, v2
	v_add_co_ci_u32_e32 v5, vcc_lo, v72, v3, vcc_lo
	flat_load_b64 v[4:5], v[4:5]
	s_waitcnt vmcnt(0) lgkmcnt(0)
	v_mul_f64 v[4:5], v[4:5], s[38:39]
	s_branch .LBB134_395
.LBB134_394:
	v_mov_b32_e32 v4, 0
	v_mov_b32_e32 v5, 0
.LBB134_395:
	s_waitcnt vmcnt(0)
	s_delay_alu instid0(VALU_DEP_1)
	v_add_f64 v[0:1], v[0:1], v[4:5]
	v_add_co_u32 v2, vcc_lo, v68, v2
	v_add_co_ci_u32_e32 v3, vcc_lo, v69, v3, vcc_lo
	global_store_b64 v[2:3], v[0:1], off
	s_endpgm
	.section	.rodata,"a",@progbits
	.p2align	6, 0x0
	.amdhsa_kernel _ZN12_GLOBAL__N_120geam_min_plus_kernelIdddLi4ELi64ELi128ELi128ELi4ELi64ELi4ELi4ELi64ELc78ELc78ELb0ELb1ELb0EdKPKdKPdEEviiiT16_PT17_ilS8_ilS6_S8_ilPT18_ili26rocblas_geam_ex_operation_
		.amdhsa_group_segment_fixed_size 16384
		.amdhsa_private_segment_fixed_size 528
		.amdhsa_kernarg_size 136
		.amdhsa_user_sgpr_count 14
		.amdhsa_user_sgpr_dispatch_ptr 0
		.amdhsa_user_sgpr_queue_ptr 0
		.amdhsa_user_sgpr_kernarg_segment_ptr 1
		.amdhsa_user_sgpr_dispatch_id 0
		.amdhsa_user_sgpr_private_segment_size 0
		.amdhsa_wavefront_size32 1
		.amdhsa_uses_dynamic_stack 0
		.amdhsa_enable_private_segment 1
		.amdhsa_system_sgpr_workgroup_id_x 1
		.amdhsa_system_sgpr_workgroup_id_y 0
		.amdhsa_system_sgpr_workgroup_id_z 1
		.amdhsa_system_sgpr_workgroup_info 0
		.amdhsa_system_vgpr_workitem_id 1
		.amdhsa_next_free_vgpr 253
		.amdhsa_next_free_sgpr 46
		.amdhsa_reserve_vcc 1
		.amdhsa_float_round_mode_32 0
		.amdhsa_float_round_mode_16_64 0
		.amdhsa_float_denorm_mode_32 3
		.amdhsa_float_denorm_mode_16_64 3
		.amdhsa_dx10_clamp 1
		.amdhsa_ieee_mode 1
		.amdhsa_fp16_overflow 0
		.amdhsa_workgroup_processor_mode 1
		.amdhsa_memory_ordered 1
		.amdhsa_forward_progress 0
		.amdhsa_shared_vgpr_count 0
		.amdhsa_exception_fp_ieee_invalid_op 0
		.amdhsa_exception_fp_denorm_src 0
		.amdhsa_exception_fp_ieee_div_zero 0
		.amdhsa_exception_fp_ieee_overflow 0
		.amdhsa_exception_fp_ieee_underflow 0
		.amdhsa_exception_fp_ieee_inexact 0
		.amdhsa_exception_int_div_zero 0
	.end_amdhsa_kernel
	.section	.text._ZN12_GLOBAL__N_120geam_min_plus_kernelIdddLi4ELi64ELi128ELi128ELi4ELi64ELi4ELi4ELi64ELc78ELc78ELb0ELb1ELb0EdKPKdKPdEEviiiT16_PT17_ilS8_ilS6_S8_ilPT18_ili26rocblas_geam_ex_operation_,"axG",@progbits,_ZN12_GLOBAL__N_120geam_min_plus_kernelIdddLi4ELi64ELi128ELi128ELi4ELi64ELi4ELi4ELi64ELc78ELc78ELb0ELb1ELb0EdKPKdKPdEEviiiT16_PT17_ilS8_ilS6_S8_ilPT18_ili26rocblas_geam_ex_operation_,comdat
.Lfunc_end134:
	.size	_ZN12_GLOBAL__N_120geam_min_plus_kernelIdddLi4ELi64ELi128ELi128ELi4ELi64ELi4ELi4ELi64ELc78ELc78ELb0ELb1ELb0EdKPKdKPdEEviiiT16_PT17_ilS8_ilS6_S8_ilPT18_ili26rocblas_geam_ex_operation_, .Lfunc_end134-_ZN12_GLOBAL__N_120geam_min_plus_kernelIdddLi4ELi64ELi128ELi128ELi4ELi64ELi4ELi4ELi64ELc78ELc78ELb0ELb1ELb0EdKPKdKPdEEviiiT16_PT17_ilS8_ilS6_S8_ilPT18_ili26rocblas_geam_ex_operation_
                                        ; -- End function
	.section	.AMDGPU.csdata,"",@progbits
; Kernel info:
; codeLenInByte = 47404
; NumSgprs: 48
; NumVgprs: 253
; ScratchSize: 528
; MemoryBound: 1
; FloatMode: 240
; IeeeMode: 1
; LDSByteSize: 16384 bytes/workgroup (compile time only)
; SGPRBlocks: 5
; VGPRBlocks: 31
; NumSGPRsForWavesPerEU: 48
; NumVGPRsForWavesPerEU: 253
; Occupancy: 5
; WaveLimiterHint : 1
; COMPUTE_PGM_RSRC2:SCRATCH_EN: 1
; COMPUTE_PGM_RSRC2:USER_SGPR: 14
; COMPUTE_PGM_RSRC2:TRAP_HANDLER: 0
; COMPUTE_PGM_RSRC2:TGID_X_EN: 1
; COMPUTE_PGM_RSRC2:TGID_Y_EN: 0
; COMPUTE_PGM_RSRC2:TGID_Z_EN: 1
; COMPUTE_PGM_RSRC2:TIDIG_COMP_CNT: 1
	.section	.text._ZN12_GLOBAL__N_120geam_min_plus_kernelIdddLi4ELi64ELi128ELi128ELi4ELi4ELi64ELi4ELi64ELc84ELc78ELb0ELb0ELb0EPKdKS2_KPdEEviiiT16_PT17_ilS8_ilS6_S8_ilPT18_ili26rocblas_geam_ex_operation_,"axG",@progbits,_ZN12_GLOBAL__N_120geam_min_plus_kernelIdddLi4ELi64ELi128ELi128ELi4ELi4ELi64ELi4ELi64ELc84ELc78ELb0ELb0ELb0EPKdKS2_KPdEEviiiT16_PT17_ilS8_ilS6_S8_ilPT18_ili26rocblas_geam_ex_operation_,comdat
	.globl	_ZN12_GLOBAL__N_120geam_min_plus_kernelIdddLi4ELi64ELi128ELi128ELi4ELi4ELi64ELi4ELi64ELc84ELc78ELb0ELb0ELb0EPKdKS2_KPdEEviiiT16_PT17_ilS8_ilS6_S8_ilPT18_ili26rocblas_geam_ex_operation_ ; -- Begin function _ZN12_GLOBAL__N_120geam_min_plus_kernelIdddLi4ELi64ELi128ELi128ELi4ELi4ELi64ELi4ELi64ELc84ELc78ELb0ELb0ELb0EPKdKS2_KPdEEviiiT16_PT17_ilS8_ilS6_S8_ilPT18_ili26rocblas_geam_ex_operation_
	.p2align	8
	.type	_ZN12_GLOBAL__N_120geam_min_plus_kernelIdddLi4ELi64ELi128ELi128ELi4ELi4ELi64ELi4ELi64ELc84ELc78ELb0ELb0ELb0EPKdKS2_KPdEEviiiT16_PT17_ilS8_ilS6_S8_ilPT18_ili26rocblas_geam_ex_operation_,@function
_ZN12_GLOBAL__N_120geam_min_plus_kernelIdddLi4ELi64ELi128ELi128ELi4ELi4ELi64ELi4ELi64ELc84ELc78ELb0ELb0ELb0EPKdKS2_KPdEEviiiT16_PT17_ilS8_ilS6_S8_ilPT18_ili26rocblas_geam_ex_operation_: ; @_ZN12_GLOBAL__N_120geam_min_plus_kernelIdddLi4ELi64ELi128ELi128ELi4ELi4ELi64ELi4ELi64ELc84ELc78ELb0ELb0ELb0EPKdKS2_KPdEEviiiT16_PT17_ilS8_ilS6_S8_ilPT18_ili26rocblas_geam_ex_operation_
; %bb.0:
	s_clause 0x1
	s_load_b128 s[16:19], s[0:1], 0x10
	s_load_b128 s[4:7], s[0:1], 0x28
	s_mov_b32 s2, s15
	s_mov_b32 s3, 0
	s_mov_b64 s[20:21], 0
	s_lshl_b64 s[22:23], s[2:3], 3
	s_waitcnt lgkmcnt(0)
	s_add_u32 s2, s16, s22
	s_addc_u32 s3, s17, s23
	s_mov_b64 s[16:17], 0
	s_load_b64 s[12:13], s[2:3], 0x0
	s_clause 0x1
	s_load_b128 s[8:11], s[0:1], 0x40
	s_load_b64 s[24:25], s[0:1], 0x50
	s_waitcnt lgkmcnt(0)
	s_add_u32 s2, s10, s22
	v_cmp_eq_f64_e64 s15, s[12:13], 0
	v_cmp_neq_f64_e64 s26, s[12:13], 0
	s_addc_u32 s3, s11, s23
	s_delay_alu instid0(VALU_DEP_2)
	s_and_b32 vcc_lo, exec_lo, s15
	s_cbranch_vccnz .LBB135_2
; %bb.1:
	s_add_u32 s10, s18, s22
	s_addc_u32 s11, s19, s23
	s_lshl_b64 s[4:5], s[4:5], 3
	s_load_b64 s[10:11], s[10:11], 0x0
	s_waitcnt lgkmcnt(0)
	s_add_u32 s20, s10, s4
	s_addc_u32 s21, s11, s5
.LBB135_2:
	s_load_b64 s[10:11], s[2:3], 0x0
	s_delay_alu instid0(VALU_DEP_1) | instskip(SKIP_1) | instid1(VALU_DEP_1)
	v_cndmask_b32_e64 v1, 0, 1, s26
	s_and_not1_b32 vcc_lo, exec_lo, s26
	v_cmp_ne_u32_e64 s2, 1, v1
	s_cbranch_vccnz .LBB135_4
; %bb.3:
	s_add_u32 s4, s6, s22
	s_addc_u32 s5, s7, s23
	s_lshl_b64 s[6:7], s[8:9], 3
	s_load_b64 s[4:5], s[4:5], 0x0
	s_waitcnt lgkmcnt(0)
	s_add_u32 s16, s4, s6
	s_addc_u32 s17, s5, s7
.LBB135_4:
	s_waitcnt lgkmcnt(0)
	v_cmp_eq_f64_e64 s3, s[10:11], 0
	s_load_b128 s[4:7], s[0:1], 0x60
	s_mov_b64 s[8:9], 0
	s_delay_alu instid0(VALU_DEP_1)
	s_and_b32 vcc_lo, exec_lo, s3
	s_cbranch_vccnz .LBB135_6
; %bb.5:
	s_add_u32 s8, s24, s22
	s_addc_u32 s9, s25, s23
	s_waitcnt lgkmcnt(0)
	s_lshl_b64 s[4:5], s[4:5], 3
	s_load_b64 s[8:9], s[8:9], 0x0
	s_waitcnt lgkmcnt(0)
	s_add_u32 s8, s8, s4
	s_addc_u32 s9, s9, s5
.LBB135_6:
	s_clause 0x1
	s_load_b32 s15, s[0:1], 0x0
	s_load_b32 s3, s[0:1], 0x20
	s_waitcnt lgkmcnt(0)
	s_add_u32 s4, s6, s22
	s_addc_u32 s5, s7, s23
	s_mov_b32 s18, 0
	v_bfe_u32 v87, v0, 10, 10
	s_mov_b32 s19, s18
	v_dual_mov_b32 v1, s18 :: v_dual_and_b32 v86, 0x3ff, v0
	s_load_b64 s[4:5], s[4:5], 0x0
	s_delay_alu instid0(VALU_DEP_1) | instskip(SKIP_1) | instid1(VALU_DEP_2)
	v_lshrrev_b32_e32 v0, 2, v86
	v_and_b32_e32 v88, 3, v86
	v_add_nc_u32_e32 v8, v0, v87
	s_delay_alu instid0(VALU_DEP_2) | instskip(SKIP_1) | instid1(SALU_CYCLE_1)
	v_lshlrev_b32_e32 v9, 3, v88
	s_add_i32 s6, s15, -1
	s_ashr_i32 s7, s6, 31
	s_delay_alu instid0(SALU_CYCLE_1) | instskip(NEXT) | instid1(SALU_CYCLE_1)
	s_lshr_b32 s7, s7, 25
	s_add_i32 s6, s6, s7
	s_delay_alu instid0(SALU_CYCLE_1) | instskip(NEXT) | instid1(SALU_CYCLE_1)
	s_ashr_i32 s6, s6, 7
	s_add_i32 s7, s6, 1
	s_not_b32 s6, s6
	v_cvt_f32_u32_e32 v3, s7
	s_delay_alu instid0(VALU_DEP_1)
	v_rcp_iflag_f32_e32 v3, v3
	s_waitcnt_depctr 0xfff
	v_dual_mov_b32 v2, s19 :: v_dual_mul_f32 v3, 0x4f7ffffe, v3
	s_clause 0xb
	scratch_store_b64 off, v[1:2], off
	scratch_store_b64 off, v[1:2], off offset:8
	scratch_store_b64 off, v[1:2], off offset:16
	;; [unrolled: 1-line block ×11, first 2 shown]
	v_cvt_u32_f32_e32 v3, v3
	s_clause 0xe
	scratch_store_b64 off, v[1:2], off offset:96
	scratch_store_b64 off, v[1:2], off offset:104
	scratch_store_b64 off, v[1:2], off offset:112
	scratch_store_b64 off, v[1:2], off offset:120
	scratch_store_b64 off, v[1:2], off offset:128
	scratch_store_b64 off, v[1:2], off offset:136
	scratch_store_b64 off, v[1:2], off offset:144
	scratch_store_b64 off, v[1:2], off offset:152
	scratch_store_b64 off, v[1:2], off offset:160
	scratch_store_b64 off, v[1:2], off offset:168
	scratch_store_b64 off, v[1:2], off offset:176
	scratch_store_b64 off, v[1:2], off offset:184
	scratch_store_b64 off, v[1:2], off offset:192
	scratch_store_b64 off, v[1:2], off offset:200
	scratch_store_b64 off, v[1:2], off offset:208
	v_readfirstlane_b32 s15, v3
	s_clause 0xd
	scratch_store_b64 off, v[1:2], off offset:216
	scratch_store_b64 off, v[1:2], off offset:224
	scratch_store_b64 off, v[1:2], off offset:232
	scratch_store_b64 off, v[1:2], off offset:240
	scratch_store_b64 off, v[1:2], off offset:248
	scratch_store_b64 off, v[1:2], off offset:256
	scratch_store_b64 off, v[1:2], off offset:264
	scratch_store_b64 off, v[1:2], off offset:272
	scratch_store_b64 off, v[1:2], off offset:280
	scratch_store_b64 off, v[1:2], off offset:288
	scratch_store_b64 off, v[1:2], off offset:296
	scratch_store_b64 off, v[1:2], off offset:304
	scratch_store_b64 off, v[1:2], off offset:312
	scratch_store_b64 off, v[1:2], off offset:320
	s_mul_i32 s6, s6, s15
	s_clause 0x3
	scratch_store_b64 off, v[1:2], off offset:328
	scratch_store_b64 off, v[1:2], off offset:336
	;; [unrolled: 1-line block ×4, first 2 shown]
	s_mul_hi_u32 s6, s15, s6
	s_clause 0x1
	scratch_store_b64 off, v[1:2], off offset:360
	scratch_store_b64 off, v[1:2], off offset:368
	s_add_i32 s15, s15, s6
	s_clause 0xa
	scratch_store_b64 off, v[1:2], off offset:376
	scratch_store_b64 off, v[1:2], off offset:384
	;; [unrolled: 1-line block ×11, first 2 shown]
	s_mul_hi_u32 s6, s14, s15
	s_clause 0x2
	scratch_store_b64 off, v[1:2], off offset:464
	scratch_store_b64 off, v[1:2], off offset:472
	;; [unrolled: 1-line block ×3, first 2 shown]
	s_mul_i32 s15, s6, s7
	s_add_i32 s18, s6, 1
	s_sub_i32 s15, s14, s15
	scratch_store_b64 off, v[1:2], off offset:488
	s_sub_i32 s19, s15, s7
	s_cmp_ge_u32 s15, s7
	s_clause 0x1
	scratch_store_b64 off, v[1:2], off offset:496
	scratch_store_b64 off, v[1:2], off offset:504
	s_cselect_b32 s6, s18, s6
	s_cselect_b32 s15, s19, s15
	s_add_i32 s18, s6, 1
	s_cmp_ge_u32 s15, s7
	s_cselect_b32 s6, s18, s6
	s_and_b32 vcc_lo, exec_lo, s2
	s_mul_i32 s7, s6, s7
	s_delay_alu instid0(SALU_CYCLE_1) | instskip(NEXT) | instid1(SALU_CYCLE_1)
	s_sub_i32 s7, s14, s7
	s_lshl_b32 s14, s7, 7
	s_delay_alu instid0(SALU_CYCLE_1) | instskip(NEXT) | instid1(VALU_DEP_1)
	v_add_nc_u32_e32 v76, s14, v8
	v_add_nc_u32_e32 v77, 64, v76
	s_cbranch_vccnz .LBB135_8
; %bb.7:
	v_mad_i64_i32 v[0:1], null, v76, s3, 0
	s_delay_alu instid0(VALU_DEP_2) | instskip(SKIP_1) | instid1(VALU_DEP_1)
	v_mad_i64_i32 v[2:3], null, v77, s3, 0
	v_add_co_u32 v4, s7, s20, v9
	v_add_co_ci_u32_e64 v5, null, s21, 0, s7
	s_delay_alu instid0(VALU_DEP_4) | instskip(NEXT) | instid1(VALU_DEP_4)
	v_lshlrev_b64 v[0:1], 3, v[0:1]
	v_lshlrev_b64 v[2:3], 3, v[2:3]
	s_delay_alu instid0(VALU_DEP_2) | instskip(NEXT) | instid1(VALU_DEP_3)
	v_add_co_u32 v0, vcc_lo, v4, v0
	v_add_co_ci_u32_e32 v1, vcc_lo, v5, v1, vcc_lo
	s_delay_alu instid0(VALU_DEP_3) | instskip(NEXT) | instid1(VALU_DEP_4)
	v_add_co_u32 v2, vcc_lo, v4, v2
	v_add_co_ci_u32_e32 v3, vcc_lo, v5, v3, vcc_lo
	s_clause 0x1
	flat_load_b64 v[0:1], v[0:1]
	flat_load_b64 v[2:3], v[2:3]
	s_waitcnt vmcnt(1) lgkmcnt(0)
	v_mul_f64 v[0:1], s[12:13], v[0:1]
	s_waitcnt vmcnt(0)
	v_mul_f64 v[2:3], s[12:13], v[2:3]
	s_branch .LBB135_9
.LBB135_8:
	v_mov_b32_e32 v0, 0
	v_dual_mov_b32 v1, 0 :: v_dual_mov_b32 v2, 0
	v_mov_b32_e32 v3, 0
.LBB135_9:
	s_load_b32 s22, s[0:1], 0x38
	s_lshl_b32 s15, s6, 7
	s_and_b32 vcc_lo, exec_lo, s2
	v_add_nc_u32_e32 v79, s15, v8
	s_delay_alu instid0(VALU_DEP_1)
	v_add_nc_u32_e32 v78, 64, v79
	s_cbranch_vccnz .LBB135_13
; %bb.10:
	s_waitcnt lgkmcnt(0)
	v_mad_i64_i32 v[4:5], null, v79, s22, 0
	s_delay_alu instid0(VALU_DEP_2) | instskip(SKIP_1) | instid1(VALU_DEP_1)
	v_mad_i64_i32 v[6:7], null, v78, s22, 0
	v_add_co_u32 v10, s6, s16, v9
	v_add_co_ci_u32_e64 v11, null, s17, 0, s6
	s_delay_alu instid0(VALU_DEP_4) | instskip(NEXT) | instid1(VALU_DEP_4)
	v_lshlrev_b64 v[4:5], 3, v[4:5]
	v_lshlrev_b64 v[6:7], 3, v[6:7]
	s_delay_alu instid0(VALU_DEP_2) | instskip(NEXT) | instid1(VALU_DEP_3)
	v_add_co_u32 v4, vcc_lo, v10, v4
	v_add_co_ci_u32_e32 v5, vcc_lo, v11, v5, vcc_lo
	s_delay_alu instid0(VALU_DEP_3) | instskip(NEXT) | instid1(VALU_DEP_4)
	v_add_co_u32 v6, vcc_lo, v10, v6
	v_add_co_ci_u32_e32 v7, vcc_lo, v11, v7, vcc_lo
	s_clause 0x1
	flat_load_b64 v[4:5], v[4:5]
	flat_load_b64 v[6:7], v[6:7]
	s_waitcnt vmcnt(1) lgkmcnt(1)
	v_mul_f64 v[4:5], s[12:13], v[4:5]
	s_waitcnt vmcnt(0) lgkmcnt(0)
	v_mul_f64 v[6:7], s[12:13], v[6:7]
	s_and_b32 vcc_lo, exec_lo, s2
	s_cbranch_vccnz .LBB135_14
.LBB135_11:
	v_mad_i64_i32 v[10:11], null, v76, s3, 0
	v_mad_i64_i32 v[12:13], null, v77, s3, 0
	v_add_co_u32 v14, s6, s20, v9
	s_delay_alu instid0(VALU_DEP_1) | instskip(NEXT) | instid1(VALU_DEP_4)
	v_add_co_ci_u32_e64 v15, null, s21, 0, s6
	v_lshlrev_b64 v[10:11], 3, v[10:11]
	s_delay_alu instid0(VALU_DEP_4) | instskip(NEXT) | instid1(VALU_DEP_2)
	v_lshlrev_b64 v[12:13], 3, v[12:13]
	v_add_co_u32 v10, vcc_lo, v14, v10
	s_delay_alu instid0(VALU_DEP_3) | instskip(NEXT) | instid1(VALU_DEP_3)
	v_add_co_ci_u32_e32 v11, vcc_lo, v15, v11, vcc_lo
	v_add_co_u32 v12, vcc_lo, v14, v12
	s_delay_alu instid0(VALU_DEP_4)
	v_add_co_ci_u32_e32 v13, vcc_lo, v15, v13, vcc_lo
	s_clause 0x1
	flat_load_b64 v[10:11], v[10:11] offset:32
	flat_load_b64 v[12:13], v[12:13] offset:32
	s_waitcnt vmcnt(1) lgkmcnt(0)
	v_mul_f64 v[68:69], s[12:13], v[10:11]
	s_waitcnt vmcnt(0)
	v_mul_f64 v[70:71], s[12:13], v[12:13]
	s_and_b32 vcc_lo, exec_lo, s2
	s_mov_b64 s[6:7], 0
	s_cbranch_vccnz .LBB135_15
.LBB135_12:
	s_waitcnt lgkmcnt(0)
	v_mad_i64_i32 v[10:11], null, v79, s22, 0
	v_mad_i64_i32 v[12:13], null, v78, s22, 0
	v_add_co_u32 v14, s7, s16, v9
	s_delay_alu instid0(VALU_DEP_1) | instskip(NEXT) | instid1(VALU_DEP_4)
	v_add_co_ci_u32_e64 v15, null, s17, 0, s7
	v_lshlrev_b64 v[10:11], 3, v[10:11]
	s_delay_alu instid0(VALU_DEP_4) | instskip(NEXT) | instid1(VALU_DEP_2)
	v_lshlrev_b64 v[12:13], 3, v[12:13]
	v_add_co_u32 v10, vcc_lo, v14, v10
	s_delay_alu instid0(VALU_DEP_3) | instskip(NEXT) | instid1(VALU_DEP_3)
	v_add_co_ci_u32_e32 v11, vcc_lo, v15, v11, vcc_lo
	v_add_co_u32 v12, vcc_lo, v14, v12
	s_delay_alu instid0(VALU_DEP_4)
	v_add_co_ci_u32_e32 v13, vcc_lo, v15, v13, vcc_lo
	s_clause 0x1
	flat_load_b64 v[10:11], v[10:11] offset:32
	flat_load_b64 v[12:13], v[12:13] offset:32
	s_waitcnt vmcnt(1) lgkmcnt(1)
	v_mul_f64 v[72:73], s[12:13], v[10:11]
	s_waitcnt vmcnt(0) lgkmcnt(0)
	v_mul_f64 v[74:75], s[12:13], v[12:13]
	s_branch .LBB135_16
.LBB135_13:
	v_mov_b32_e32 v4, 0
	v_dual_mov_b32 v5, 0 :: v_dual_mov_b32 v6, 0
	v_mov_b32_e32 v7, 0
	s_and_b32 vcc_lo, exec_lo, s2
	s_cbranch_vccz .LBB135_11
.LBB135_14:
	v_mov_b32_e32 v68, 0
	v_dual_mov_b32 v69, 0 :: v_dual_mov_b32 v70, 0
	v_mov_b32_e32 v71, 0
	s_and_b32 vcc_lo, exec_lo, s2
	s_mov_b64 s[6:7], 0
	s_cbranch_vccz .LBB135_12
.LBB135_15:
	v_mov_b32_e32 v72, 0
	v_dual_mov_b32 v73, 0 :: v_dual_mov_b32 v74, 0
	v_mov_b32_e32 v75, 0
.LBB135_16:
	v_cmp_neq_f64_e64 s18, s[10:11], 0
	v_dual_mov_b32 v80, 0 :: v_dual_lshlrev_b32 v89, 5, v86
	v_lshl_or_b32 v90, v8, 5, v9
	v_dual_mov_b32 v82, 16 :: v_dual_lshlrev_b32 v91, 5, v87
	s_delay_alu instid0(VALU_DEP_3)
	v_dual_mov_b32 v83, 24 :: v_dual_add_nc_u32 v52, 0x800, v89
	ds_store_2addr_stride64_b64 v90, v[0:1], v[2:3] offset1:4
	ds_store_2addr_stride64_b64 v90, v[4:5], v[6:7] offset0:16 offset1:20
	s_waitcnt lgkmcnt(0)
	s_waitcnt_vscnt null, 0x0
	s_barrier
	buffer_gl0_inv
	ds_load_2addr_b64 v[0:3], v89 offset1:16
	ds_load_2addr_b64 v[4:7], v89 offset0:32 offset1:48
	ds_load_2addr_b64 v[8:11], v89 offset0:64 offset1:80
	;; [unrolled: 1-line block ×5, first 2 shown]
	ds_load_2addr_b64 v[24:27], v52 offset1:16
	ds_load_2addr_b64 v[28:31], v52 offset0:32 offset1:48
	ds_load_2addr_b64 v[32:35], v52 offset0:64 offset1:80
	;; [unrolled: 1-line block ×9, first 2 shown]
	ds_load_2addr_stride64_b64 v[64:67], v91 offset0:16 offset1:20
	v_dual_mov_b32 v81, 8 :: v_dual_add_nc_u32 v92, 0x2000, v90
	v_dual_mov_b32 v84, 32 :: v_dual_add_nc_u32 v93, 0x2000, v91
	v_dual_mov_b32 v85, 40 :: v_dual_mov_b32 v94, 48
	v_dual_mov_b32 v95, 56 :: v_dual_mov_b32 v96, 64
	v_mov_b32_e32 v97, 0x48
	v_mov_b32_e32 v98, 0x50
	;; [unrolled: 1-line block ×23, first 2 shown]
	s_mov_b32 s19, -1
.LBB135_17:                             ; =>This Inner Loop Header: Depth=1
	scratch_load_b64 v[120:121], v80, off
	scratch_load_b64 v[122:123], v81, off
	;; [unrolled: 1-line block ×32, first 2 shown]
	s_cmp_eq_u32 s6, 1
	s_waitcnt lgkmcnt(16)
	v_max_f64 v[186:187], v[0:1], v[0:1]
	s_cselect_b32 vcc_lo, -1, 0
	v_max_f64 v[188:189], v[2:3], v[2:3]
	s_waitcnt lgkmcnt(0)
	v_dual_cndmask_b32 v185, v65, v67 :: v_dual_cndmask_b32 v184, v64, v66
	v_max_f64 v[190:191], v[4:5], v[4:5]
	v_max_f64 v[192:193], v[6:7], v[6:7]
	v_max_f64 v[194:195], v[8:9], v[8:9]
	v_max_f64 v[196:197], v[10:11], v[10:11]
	v_max_f64 v[184:185], v[184:185], v[184:185]
	v_max_f64 v[198:199], v[12:13], v[12:13]
	v_max_f64 v[200:201], v[14:15], v[14:15]
	v_max_f64 v[202:203], v[16:17], v[16:17]
	v_max_f64 v[204:205], v[18:19], v[18:19]
	v_max_f64 v[206:207], v[20:21], v[20:21]
	v_max_f64 v[208:209], v[22:23], v[22:23]
	v_max_f64 v[210:211], v[56:57], v[56:57]
	v_max_f64 v[212:213], v[58:59], v[58:59]
	v_max_f64 v[214:215], v[60:61], v[60:61]
	v_max_f64 v[216:217], v[62:63], v[62:63]
	v_max_f64 v[218:219], v[24:25], v[24:25]
	v_max_f64 v[220:221], v[26:27], v[26:27]
	v_max_f64 v[222:223], v[28:29], v[28:29]
	v_max_f64 v[224:225], v[30:31], v[30:31]
	v_max_f64 v[226:227], v[32:33], v[32:33]
	v_max_f64 v[228:229], v[34:35], v[34:35]
	v_max_f64 v[230:231], v[36:37], v[36:37]
	v_max_f64 v[232:233], v[38:39], v[38:39]
	v_max_f64 v[234:235], v[40:41], v[40:41]
	v_max_f64 v[236:237], v[42:43], v[42:43]
	v_max_f64 v[238:239], v[44:45], v[44:45]
	v_max_f64 v[240:241], v[46:47], v[46:47]
	v_max_f64 v[242:243], v[48:49], v[48:49]
	v_max_f64 v[244:245], v[50:51], v[50:51]
	v_max_f64 v[246:247], v[52:53], v[52:53]
	v_max_f64 v[248:249], v[54:55], v[54:55]
	s_mov_b64 s[6:7], 1
	s_and_b32 vcc_lo, exec_lo, s19
	s_mov_b32 s19, 0
	v_min_f64 v[186:187], v[186:187], v[184:185]
	v_min_f64 v[188:189], v[188:189], v[184:185]
	;; [unrolled: 1-line block ×32, first 2 shown]
	s_waitcnt vmcnt(31)
	v_add_f64 v[120:121], v[120:121], v[186:187]
	s_waitcnt vmcnt(30)
	v_add_f64 v[122:123], v[188:189], v[122:123]
	s_waitcnt vmcnt(29)
	v_add_f64 v[124:125], v[190:191], v[124:125]
	s_waitcnt vmcnt(28)
	v_add_f64 v[126:127], v[192:193], v[126:127]
	s_waitcnt vmcnt(27)
	v_add_f64 v[128:129], v[194:195], v[128:129]
	s_waitcnt vmcnt(26)
	v_add_f64 v[130:131], v[196:197], v[130:131]
	s_waitcnt vmcnt(25)
	v_add_f64 v[132:133], v[198:199], v[132:133]
	s_waitcnt vmcnt(24)
	v_add_f64 v[134:135], v[200:201], v[134:135]
	s_waitcnt vmcnt(23)
	v_add_f64 v[136:137], v[202:203], v[136:137]
	s_waitcnt vmcnt(22)
	v_add_f64 v[138:139], v[204:205], v[138:139]
	s_waitcnt vmcnt(21)
	v_add_f64 v[140:141], v[206:207], v[140:141]
	s_waitcnt vmcnt(20)
	v_add_f64 v[142:143], v[208:209], v[142:143]
	s_waitcnt vmcnt(19)
	v_add_f64 v[144:145], v[210:211], v[144:145]
	s_waitcnt vmcnt(18)
	v_add_f64 v[146:147], v[212:213], v[146:147]
	s_waitcnt vmcnt(17)
	v_add_f64 v[148:149], v[214:215], v[148:149]
	s_waitcnt vmcnt(16)
	v_add_f64 v[150:151], v[216:217], v[150:151]
	s_waitcnt vmcnt(15)
	v_add_f64 v[152:153], v[218:219], v[152:153]
	s_waitcnt vmcnt(14)
	v_add_f64 v[154:155], v[220:221], v[154:155]
	s_waitcnt vmcnt(13)
	v_add_f64 v[156:157], v[222:223], v[156:157]
	s_waitcnt vmcnt(12)
	v_add_f64 v[158:159], v[224:225], v[158:159]
	s_waitcnt vmcnt(11)
	v_add_f64 v[160:161], v[226:227], v[160:161]
	s_waitcnt vmcnt(10)
	v_add_f64 v[162:163], v[228:229], v[162:163]
	s_waitcnt vmcnt(9)
	v_add_f64 v[164:165], v[230:231], v[164:165]
	s_waitcnt vmcnt(8)
	v_add_f64 v[166:167], v[232:233], v[166:167]
	s_waitcnt vmcnt(7)
	v_add_f64 v[168:169], v[234:235], v[168:169]
	s_waitcnt vmcnt(6)
	v_add_f64 v[170:171], v[236:237], v[170:171]
	s_waitcnt vmcnt(5)
	v_add_f64 v[172:173], v[238:239], v[172:173]
	s_waitcnt vmcnt(4)
	v_add_f64 v[174:175], v[240:241], v[174:175]
	s_waitcnt vmcnt(3)
	v_add_f64 v[176:177], v[242:243], v[176:177]
	s_waitcnt vmcnt(2)
	v_add_f64 v[178:179], v[244:245], v[178:179]
	s_waitcnt vmcnt(1)
	v_add_f64 v[180:181], v[246:247], v[180:181]
	s_waitcnt vmcnt(0)
	v_add_f64 v[182:183], v[184:185], v[182:183]
	scratch_store_b64 v80, v[120:121], off
	scratch_store_b64 v81, v[122:123], off
	;; [unrolled: 1-line block ×32, first 2 shown]
	v_mov_b32_e32 v80, 0x100
	v_mov_b32_e32 v81, 0x108
	;; [unrolled: 1-line block ×32, first 2 shown]
	s_cbranch_vccnz .LBB135_17
; %bb.18:
	v_dual_mov_b32 v81, 8 :: v_dual_add_nc_u32 v60, 0x800, v89
	ds_load_2addr_b64 v[0:3], v89 offset0:1 offset1:17
	ds_load_2addr_b64 v[4:7], v89 offset0:33 offset1:49
	;; [unrolled: 1-line block ×12, first 2 shown]
	v_dual_mov_b32 v83, 24 :: v_dual_add_nc_u32 v64, 8, v93
	ds_load_2addr_b64 v[48:51], v60 offset0:129 offset1:145
	ds_load_2addr_b64 v[52:55], v60 offset0:161 offset1:177
	;; [unrolled: 1-line block ×4, first 2 shown]
	ds_load_2addr_stride64_b64 v[64:67], v64 offset1:4
	v_dual_mov_b32 v80, 0 :: v_dual_mov_b32 v85, 40
	v_dual_mov_b32 v82, 16 :: v_dual_mov_b32 v95, 56
	;; [unrolled: 1-line block ×5, first 2 shown]
	v_mov_b32_e32 v98, 0x50
	v_mov_b32_e32 v100, 0x60
	v_mov_b32_e32 v102, 0x70
	v_mov_b32_e32 v103, 0x78
	v_mov_b32_e32 v104, 0x80
	v_mov_b32_e32 v105, 0x88
	v_mov_b32_e32 v106, 0x90
	v_mov_b32_e32 v107, 0x98
	v_mov_b32_e32 v108, 0xa0
	v_mov_b32_e32 v109, 0xa8
	v_mov_b32_e32 v110, 0xb0
	v_mov_b32_e32 v111, 0xb8
	v_mov_b32_e32 v112, 0xc0
	v_mov_b32_e32 v113, 0xc8
	v_mov_b32_e32 v114, 0xd0
	v_mov_b32_e32 v115, 0xd8
	v_mov_b32_e32 v116, 0xe0
	v_mov_b32_e32 v117, 0xe8
	v_mov_b32_e32 v118, 0xf0
	v_mov_b32_e32 v119, 0xf8
	s_mov_b64 s[6:7], 0
	s_mov_b32 s19, -1
.LBB135_19:                             ; =>This Inner Loop Header: Depth=1
	scratch_load_b64 v[120:121], v80, off
	scratch_load_b64 v[122:123], v81, off
	;; [unrolled: 1-line block ×32, first 2 shown]
	s_cmp_eq_u32 s6, 1
	s_waitcnt lgkmcnt(16)
	v_max_f64 v[186:187], v[0:1], v[0:1]
	s_cselect_b32 vcc_lo, -1, 0
	v_max_f64 v[188:189], v[2:3], v[2:3]
	s_waitcnt lgkmcnt(0)
	v_dual_cndmask_b32 v185, v65, v67 :: v_dual_cndmask_b32 v184, v64, v66
	v_max_f64 v[190:191], v[4:5], v[4:5]
	v_max_f64 v[192:193], v[6:7], v[6:7]
	;; [unrolled: 1-line block ×31, first 2 shown]
	s_mov_b64 s[6:7], 1
	s_and_b32 vcc_lo, exec_lo, s19
	s_mov_b32 s19, 0
	v_min_f64 v[186:187], v[186:187], v[184:185]
	v_min_f64 v[188:189], v[188:189], v[184:185]
	;; [unrolled: 1-line block ×32, first 2 shown]
	s_waitcnt vmcnt(31)
	v_add_f64 v[120:121], v[120:121], v[186:187]
	s_waitcnt vmcnt(30)
	v_add_f64 v[122:123], v[188:189], v[122:123]
	;; [unrolled: 2-line block ×32, first 2 shown]
	scratch_store_b64 v80, v[120:121], off
	scratch_store_b64 v81, v[122:123], off
	;; [unrolled: 1-line block ×32, first 2 shown]
	v_mov_b32_e32 v80, 0x100
	v_mov_b32_e32 v81, 0x108
	;; [unrolled: 1-line block ×32, first 2 shown]
	s_cbranch_vccnz .LBB135_19
; %bb.20:
	v_dual_mov_b32 v81, 8 :: v_dual_add_nc_u32 v60, 0x800, v89
	ds_load_2addr_b64 v[0:3], v89 offset0:2 offset1:18
	ds_load_2addr_b64 v[4:7], v89 offset0:34 offset1:50
	;; [unrolled: 1-line block ×12, first 2 shown]
	v_dual_mov_b32 v83, 24 :: v_dual_add_nc_u32 v64, 16, v93
	ds_load_2addr_b64 v[48:51], v60 offset0:130 offset1:146
	ds_load_2addr_b64 v[52:55], v60 offset0:162 offset1:178
	;; [unrolled: 1-line block ×4, first 2 shown]
	ds_load_2addr_stride64_b64 v[64:67], v64 offset1:4
	v_dual_mov_b32 v80, 0 :: v_dual_mov_b32 v85, 40
	v_dual_mov_b32 v82, 16 :: v_dual_mov_b32 v95, 56
	;; [unrolled: 1-line block ×5, first 2 shown]
	v_mov_b32_e32 v98, 0x50
	v_mov_b32_e32 v100, 0x60
	;; [unrolled: 1-line block ×20, first 2 shown]
	s_mov_b64 s[6:7], 0
	s_mov_b32 s19, -1
.LBB135_21:                             ; =>This Inner Loop Header: Depth=1
	scratch_load_b64 v[120:121], v80, off
	scratch_load_b64 v[122:123], v81, off
	;; [unrolled: 1-line block ×32, first 2 shown]
	s_cmp_eq_u32 s6, 1
	s_waitcnt lgkmcnt(16)
	v_max_f64 v[186:187], v[0:1], v[0:1]
	s_cselect_b32 vcc_lo, -1, 0
	v_max_f64 v[188:189], v[2:3], v[2:3]
	s_waitcnt lgkmcnt(0)
	v_dual_cndmask_b32 v185, v65, v67 :: v_dual_cndmask_b32 v184, v64, v66
	v_max_f64 v[190:191], v[4:5], v[4:5]
	v_max_f64 v[192:193], v[6:7], v[6:7]
	;; [unrolled: 1-line block ×31, first 2 shown]
	s_mov_b64 s[6:7], 1
	s_and_b32 vcc_lo, exec_lo, s19
	s_mov_b32 s19, 0
	v_min_f64 v[186:187], v[186:187], v[184:185]
	v_min_f64 v[188:189], v[188:189], v[184:185]
	;; [unrolled: 1-line block ×32, first 2 shown]
	s_waitcnt vmcnt(31)
	v_add_f64 v[120:121], v[120:121], v[186:187]
	s_waitcnt vmcnt(30)
	v_add_f64 v[122:123], v[188:189], v[122:123]
	;; [unrolled: 2-line block ×32, first 2 shown]
	scratch_store_b64 v80, v[120:121], off
	scratch_store_b64 v81, v[122:123], off
	;; [unrolled: 1-line block ×32, first 2 shown]
	v_mov_b32_e32 v80, 0x100
	v_mov_b32_e32 v81, 0x108
	;; [unrolled: 1-line block ×32, first 2 shown]
	s_cbranch_vccnz .LBB135_21
; %bb.22:
	v_dual_mov_b32 v81, 8 :: v_dual_add_nc_u32 v60, 0x800, v89
	ds_load_2addr_b64 v[0:3], v89 offset0:3 offset1:19
	ds_load_2addr_b64 v[4:7], v89 offset0:35 offset1:51
	;; [unrolled: 1-line block ×12, first 2 shown]
	v_dual_mov_b32 v83, 24 :: v_dual_add_nc_u32 v64, 24, v93
	ds_load_2addr_b64 v[48:51], v60 offset0:131 offset1:147
	ds_load_2addr_b64 v[52:55], v60 offset0:163 offset1:179
	;; [unrolled: 1-line block ×4, first 2 shown]
	ds_load_2addr_stride64_b64 v[64:67], v64 offset1:4
	v_dual_mov_b32 v80, 0 :: v_dual_mov_b32 v85, 40
	v_dual_mov_b32 v82, 16 :: v_dual_mov_b32 v95, 56
	;; [unrolled: 1-line block ×5, first 2 shown]
	v_mov_b32_e32 v98, 0x50
	v_mov_b32_e32 v100, 0x60
	;; [unrolled: 1-line block ×20, first 2 shown]
	s_mov_b64 s[6:7], 0
	s_mov_b32 s19, -1
.LBB135_23:                             ; =>This Inner Loop Header: Depth=1
	scratch_load_b64 v[120:121], v80, off
	scratch_load_b64 v[122:123], v81, off
	;; [unrolled: 1-line block ×32, first 2 shown]
	s_cmp_eq_u32 s6, 1
	s_waitcnt lgkmcnt(16)
	v_max_f64 v[186:187], v[0:1], v[0:1]
	s_cselect_b32 vcc_lo, -1, 0
	v_max_f64 v[188:189], v[2:3], v[2:3]
	s_waitcnt lgkmcnt(0)
	v_dual_cndmask_b32 v185, v65, v67 :: v_dual_cndmask_b32 v184, v64, v66
	v_max_f64 v[190:191], v[4:5], v[4:5]
	v_max_f64 v[192:193], v[6:7], v[6:7]
	;; [unrolled: 1-line block ×31, first 2 shown]
	s_mov_b64 s[6:7], 1
	s_and_b32 vcc_lo, exec_lo, s19
	s_mov_b32 s19, 0
	v_min_f64 v[186:187], v[186:187], v[184:185]
	v_min_f64 v[188:189], v[188:189], v[184:185]
	;; [unrolled: 1-line block ×32, first 2 shown]
	s_waitcnt vmcnt(31)
	v_add_f64 v[120:121], v[120:121], v[186:187]
	s_waitcnt vmcnt(30)
	v_add_f64 v[122:123], v[188:189], v[122:123]
	;; [unrolled: 2-line block ×32, first 2 shown]
	scratch_store_b64 v80, v[120:121], off
	scratch_store_b64 v81, v[122:123], off
	;; [unrolled: 1-line block ×32, first 2 shown]
	v_mov_b32_e32 v80, 0x100
	v_mov_b32_e32 v81, 0x108
	;; [unrolled: 1-line block ×32, first 2 shown]
	s_cbranch_vccnz .LBB135_23
; %bb.24:
	s_load_b32 s6, s[0:1], 0x8
	s_mov_b32 s19, 8
	ds_store_2addr_stride64_b64 v90, v[68:69], v[70:71] offset0:8 offset1:12
	ds_store_2addr_stride64_b64 v90, v[72:73], v[74:75] offset0:24 offset1:28
	s_waitcnt lgkmcnt(0)
	s_waitcnt_vscnt null, 0x0
	s_barrier
	buffer_gl0_inv
	s_cmp_gt_i32 s6, 8
	s_cbranch_scc0 .LBB135_53
; %bb.25:
	v_mad_i64_i32 v[0:1], null, v76, s3, 0
	v_mad_i64_i32 v[2:3], null, v77, s3, 0
	;; [unrolled: 1-line block ×4, first 2 shown]
	v_lshl_add_u32 v96, v86, 5, 0x1000
	v_lshlrev_b64 v[70:71], 3, v[0:1]
	v_lshlrev_b64 v[72:73], 3, v[2:3]
	v_dual_mov_b32 v69, 0 :: v_dual_add_nc_u32 v94, 0x1000, v90
	v_lshlrev_b64 v[74:75], 3, v[4:5]
	v_lshlrev_b64 v[76:77], 3, v[6:7]
	v_add_nc_u32_e32 v95, 0x3000, v90
	v_lshl_add_u32 v97, v87, 5, 0x3000
	v_add_nc_u32_e32 v98, 0x800, v96
	s_add_i32 s22, s6, -8
	s_mov_b32 s23, 0
	s_and_b32 s3, exec_lo, s26
.LBB135_26:                             ; =>This Loop Header: Depth=1
                                        ;     Child Loop BB135_32 Depth 2
                                        ;     Child Loop BB135_34 Depth 2
	;; [unrolled: 1-line block ×8, first 2 shown]
	v_or_b32_e32 v68, s19, v88
	s_and_b32 vcc_lo, exec_lo, s2
	s_cbranch_vccnz .LBB135_29
; %bb.27:                               ;   in Loop: Header=BB135_26 Depth=1
	s_delay_alu instid0(VALU_DEP_1) | instskip(NEXT) | instid1(VALU_DEP_1)
	v_lshlrev_b64 v[0:1], 3, v[68:69]
	v_add_co_u32 v2, vcc_lo, s20, v0
	s_delay_alu instid0(VALU_DEP_2) | instskip(NEXT) | instid1(VALU_DEP_2)
	v_add_co_ci_u32_e32 v3, vcc_lo, s21, v1, vcc_lo
	v_add_co_u32 v0, vcc_lo, v2, v70
	s_delay_alu instid0(VALU_DEP_2)
	v_add_co_ci_u32_e32 v1, vcc_lo, v3, v71, vcc_lo
	v_add_co_u32 v2, vcc_lo, v2, v72
	v_add_co_ci_u32_e32 v3, vcc_lo, v3, v73, vcc_lo
	s_clause 0x1
	flat_load_b64 v[0:1], v[0:1]
	flat_load_b64 v[2:3], v[2:3]
	s_waitcnt vmcnt(1) lgkmcnt(1)
	v_mul_f64 v[78:79], s[12:13], v[0:1]
	s_waitcnt vmcnt(0) lgkmcnt(0)
	v_mul_f64 v[80:81], s[12:13], v[2:3]
	s_and_b32 vcc_lo, exec_lo, s2
	s_mov_b64 s[6:7], 0
	s_cbranch_vccnz .LBB135_30
.LBB135_28:                             ;   in Loop: Header=BB135_26 Depth=1
	v_lshlrev_b64 v[0:1], 3, v[68:69]
	s_delay_alu instid0(VALU_DEP_1) | instskip(NEXT) | instid1(VALU_DEP_2)
	v_add_co_u32 v2, vcc_lo, s16, v0
	v_add_co_ci_u32_e32 v3, vcc_lo, s17, v1, vcc_lo
	s_delay_alu instid0(VALU_DEP_2) | instskip(NEXT) | instid1(VALU_DEP_2)
	v_add_co_u32 v0, vcc_lo, v2, v74
	v_add_co_ci_u32_e32 v1, vcc_lo, v3, v75, vcc_lo
	v_add_co_u32 v2, vcc_lo, v2, v76
	v_add_co_ci_u32_e32 v3, vcc_lo, v3, v77, vcc_lo
	s_clause 0x1
	flat_load_b64 v[0:1], v[0:1]
	flat_load_b64 v[2:3], v[2:3]
	s_waitcnt vmcnt(1) lgkmcnt(1)
	v_mul_f64 v[82:83], s[12:13], v[0:1]
	s_waitcnt vmcnt(0) lgkmcnt(0)
	v_mul_f64 v[84:85], s[12:13], v[2:3]
	s_branch .LBB135_31
.LBB135_29:                             ;   in Loop: Header=BB135_26 Depth=1
	v_mov_b32_e32 v78, 0
	v_dual_mov_b32 v79, 0 :: v_dual_mov_b32 v80, 0
	v_mov_b32_e32 v81, 0
	s_and_b32 vcc_lo, exec_lo, s2
	s_mov_b64 s[6:7], 0
	s_cbranch_vccz .LBB135_28
.LBB135_30:                             ;   in Loop: Header=BB135_26 Depth=1
	v_mov_b32_e32 v82, 0
	v_dual_mov_b32 v83, 0 :: v_dual_mov_b32 v84, 0
	v_mov_b32_e32 v85, 0
.LBB135_31:                             ;   in Loop: Header=BB135_26 Depth=1
	ds_load_2addr_b64 v[0:3], v96 offset1:16
	ds_load_2addr_b64 v[4:7], v96 offset0:32 offset1:48
	ds_load_2addr_b64 v[8:11], v96 offset0:64 offset1:80
	;; [unrolled: 1-line block ×7, first 2 shown]
	ds_load_2addr_b64 v[32:35], v98 offset1:16
	ds_load_2addr_b64 v[36:39], v98 offset0:32 offset1:48
	ds_load_2addr_b64 v[40:43], v98 offset0:64 offset1:80
	;; [unrolled: 1-line block ×7, first 2 shown]
	ds_load_2addr_stride64_b64 v[64:67], v97 offset1:4
	v_dual_mov_b32 v130, 0 :: v_dual_mov_b32 v129, 8
	v_dual_mov_b32 v128, 16 :: v_dual_mov_b32 v127, 24
	;; [unrolled: 1-line block ×5, first 2 shown]
	v_mov_b32_e32 v120, 0x50
	v_mov_b32_e32 v119, 0x58
	;; [unrolled: 1-line block ×22, first 2 shown]
	s_mov_b32 s24, -1
.LBB135_32:                             ;   Parent Loop BB135_26 Depth=1
                                        ; =>  This Inner Loop Header: Depth=2
	scratch_load_b64 v[135:136], v130, off
	s_cmp_eq_u32 s6, 1
	s_waitcnt lgkmcnt(16)
	v_max_f64 v[133:134], v[0:1], v[0:1]
	s_cselect_b32 vcc_lo, -1, 0
	s_mov_b64 s[6:7], 1
	s_waitcnt lgkmcnt(0)
	v_dual_cndmask_b32 v132, v65, v67 :: v_dual_cndmask_b32 v131, v64, v66
	s_and_b32 vcc_lo, exec_lo, s24
	s_mov_b32 s24, 0
	s_delay_alu instid0(VALU_DEP_1) | instskip(NEXT) | instid1(VALU_DEP_1)
	v_max_f64 v[131:132], v[131:132], v[131:132]
	v_min_f64 v[133:134], v[133:134], v[131:132]
	s_waitcnt vmcnt(0)
	s_delay_alu instid0(VALU_DEP_1) | instskip(SKIP_3) | instid1(VALU_DEP_1)
	v_add_f64 v[133:134], v[135:136], v[133:134]
	scratch_load_b64 v[135:136], v129, off
	scratch_store_b64 v130, v[133:134], off
	v_max_f64 v[133:134], v[2:3], v[2:3]
	v_min_f64 v[133:134], v[133:134], v[131:132]
	s_waitcnt vmcnt(0)
	s_delay_alu instid0(VALU_DEP_1) | instskip(SKIP_3) | instid1(VALU_DEP_1)
	v_add_f64 v[133:134], v[133:134], v[135:136]
	scratch_store_b64 v129, v[133:134], off
	scratch_load_b64 v[133:134], v128, off
	v_max_f64 v[129:130], v[4:5], v[4:5]
	v_min_f64 v[129:130], v[129:130], v[131:132]
	s_waitcnt vmcnt(0)
	s_delay_alu instid0(VALU_DEP_1) | instskip(SKIP_3) | instid1(VALU_DEP_1)
	v_add_f64 v[129:130], v[129:130], v[133:134]
	scratch_load_b64 v[133:134], v127, off
	scratch_store_b64 v128, v[129:130], off
	v_max_f64 v[128:129], v[6:7], v[6:7]
	v_min_f64 v[128:129], v[128:129], v[131:132]
	s_waitcnt vmcnt(0)
	s_delay_alu instid0(VALU_DEP_1) | instskip(SKIP_3) | instid1(VALU_DEP_1)
	v_add_f64 v[128:129], v[128:129], v[133:134]
	scratch_store_b64 v127, v[128:129], off
	scratch_load_b64 v[129:130], v126, off
	v_max_f64 v[127:128], v[8:9], v[8:9]
	v_min_f64 v[127:128], v[127:128], v[131:132]
	s_waitcnt vmcnt(0)
	s_delay_alu instid0(VALU_DEP_1) | instskip(SKIP_4) | instid1(VALU_DEP_1)
	v_add_f64 v[127:128], v[127:128], v[129:130]
	v_mov_b32_e32 v130, 0x100
	scratch_store_b64 v126, v[127:128], off
	scratch_load_b64 v[128:129], v125, off
	v_max_f64 v[126:127], v[10:11], v[10:11]
	v_min_f64 v[126:127], v[126:127], v[131:132]
	s_waitcnt vmcnt(0)
	s_delay_alu instid0(VALU_DEP_1) | instskip(SKIP_4) | instid1(VALU_DEP_1)
	v_add_f64 v[126:127], v[126:127], v[128:129]
	v_mov_b32_e32 v129, 0x108
	;; [unrolled: 8-line block ×27, first 2 shown]
	scratch_store_b64 v100, v[101:102], off
	scratch_load_b64 v[102:103], v99, off
	v_max_f64 v[100:101], v[62:63], v[62:63]
	v_min_f64 v[100:101], v[100:101], v[131:132]
	s_waitcnt vmcnt(0)
	s_delay_alu instid0(VALU_DEP_1)
	v_add_f64 v[100:101], v[100:101], v[102:103]
	v_mov_b32_e32 v103, 0x1d8
	v_mov_b32_e32 v102, 0x1e0
	scratch_store_b64 v99, v[100:101], off
	v_mov_b32_e32 v101, 0x1e8
	v_mov_b32_e32 v100, 0x1f0
	;; [unrolled: 1-line block ×3, first 2 shown]
	s_cbranch_vccnz .LBB135_32
; %bb.33:                               ;   in Loop: Header=BB135_26 Depth=1
	ds_load_2addr_b64 v[0:3], v96 offset0:1 offset1:17
	ds_load_2addr_b64 v[4:7], v96 offset0:33 offset1:49
	;; [unrolled: 1-line block ×12, first 2 shown]
	v_dual_mov_b32 v129, 8 :: v_dual_add_nc_u32 v64, 8, v97
	ds_load_2addr_b64 v[48:51], v98 offset0:129 offset1:145
	ds_load_2addr_b64 v[52:55], v98 offset0:161 offset1:177
	;; [unrolled: 1-line block ×4, first 2 shown]
	ds_load_2addr_stride64_b64 v[64:67], v64 offset1:4
	v_dual_mov_b32 v130, 0 :: v_dual_mov_b32 v127, 24
	v_dual_mov_b32 v128, 16 :: v_dual_mov_b32 v125, 40
	;; [unrolled: 1-line block ×5, first 2 shown]
	v_mov_b32_e32 v120, 0x50
	v_mov_b32_e32 v118, 0x60
	;; [unrolled: 1-line block ×21, first 2 shown]
	s_mov_b64 s[6:7], 0
	s_mov_b32 s24, -1
.LBB135_34:                             ;   Parent Loop BB135_26 Depth=1
                                        ; =>  This Inner Loop Header: Depth=2
	scratch_load_b64 v[135:136], v130, off
	s_cmp_eq_u32 s6, 1
	s_waitcnt lgkmcnt(16)
	v_max_f64 v[133:134], v[0:1], v[0:1]
	s_cselect_b32 vcc_lo, -1, 0
	s_mov_b64 s[6:7], 1
	s_waitcnt lgkmcnt(0)
	v_dual_cndmask_b32 v132, v65, v67 :: v_dual_cndmask_b32 v131, v64, v66
	s_and_b32 vcc_lo, exec_lo, s24
	s_mov_b32 s24, 0
	s_delay_alu instid0(VALU_DEP_1) | instskip(NEXT) | instid1(VALU_DEP_1)
	v_max_f64 v[131:132], v[131:132], v[131:132]
	v_min_f64 v[133:134], v[133:134], v[131:132]
	s_waitcnt vmcnt(0)
	s_delay_alu instid0(VALU_DEP_1) | instskip(SKIP_3) | instid1(VALU_DEP_1)
	v_add_f64 v[133:134], v[135:136], v[133:134]
	scratch_load_b64 v[135:136], v129, off
	scratch_store_b64 v130, v[133:134], off
	v_max_f64 v[133:134], v[2:3], v[2:3]
	v_min_f64 v[133:134], v[133:134], v[131:132]
	s_waitcnt vmcnt(0)
	s_delay_alu instid0(VALU_DEP_1) | instskip(SKIP_3) | instid1(VALU_DEP_1)
	v_add_f64 v[133:134], v[133:134], v[135:136]
	scratch_store_b64 v129, v[133:134], off
	scratch_load_b64 v[133:134], v128, off
	v_max_f64 v[129:130], v[4:5], v[4:5]
	v_min_f64 v[129:130], v[129:130], v[131:132]
	s_waitcnt vmcnt(0)
	s_delay_alu instid0(VALU_DEP_1) | instskip(SKIP_3) | instid1(VALU_DEP_1)
	v_add_f64 v[129:130], v[129:130], v[133:134]
	scratch_load_b64 v[133:134], v127, off
	scratch_store_b64 v128, v[129:130], off
	v_max_f64 v[128:129], v[6:7], v[6:7]
	v_min_f64 v[128:129], v[128:129], v[131:132]
	s_waitcnt vmcnt(0)
	s_delay_alu instid0(VALU_DEP_1) | instskip(SKIP_3) | instid1(VALU_DEP_1)
	v_add_f64 v[128:129], v[128:129], v[133:134]
	scratch_store_b64 v127, v[128:129], off
	scratch_load_b64 v[129:130], v126, off
	v_max_f64 v[127:128], v[8:9], v[8:9]
	v_min_f64 v[127:128], v[127:128], v[131:132]
	s_waitcnt vmcnt(0)
	s_delay_alu instid0(VALU_DEP_1) | instskip(SKIP_4) | instid1(VALU_DEP_1)
	v_add_f64 v[127:128], v[127:128], v[129:130]
	v_mov_b32_e32 v130, 0x100
	scratch_store_b64 v126, v[127:128], off
	scratch_load_b64 v[128:129], v125, off
	v_max_f64 v[126:127], v[10:11], v[10:11]
	v_min_f64 v[126:127], v[126:127], v[131:132]
	s_waitcnt vmcnt(0)
	s_delay_alu instid0(VALU_DEP_1) | instskip(SKIP_4) | instid1(VALU_DEP_1)
	v_add_f64 v[126:127], v[126:127], v[128:129]
	v_mov_b32_e32 v129, 0x108
	;; [unrolled: 8-line block ×27, first 2 shown]
	scratch_store_b64 v100, v[101:102], off
	scratch_load_b64 v[102:103], v99, off
	v_max_f64 v[100:101], v[62:63], v[62:63]
	v_min_f64 v[100:101], v[100:101], v[131:132]
	s_waitcnt vmcnt(0)
	s_delay_alu instid0(VALU_DEP_1)
	v_add_f64 v[100:101], v[100:101], v[102:103]
	v_mov_b32_e32 v103, 0x1d8
	v_mov_b32_e32 v102, 0x1e0
	scratch_store_b64 v99, v[100:101], off
	v_mov_b32_e32 v101, 0x1e8
	v_mov_b32_e32 v100, 0x1f0
	;; [unrolled: 1-line block ×3, first 2 shown]
	s_cbranch_vccnz .LBB135_34
; %bb.35:                               ;   in Loop: Header=BB135_26 Depth=1
	ds_load_2addr_b64 v[0:3], v96 offset0:2 offset1:18
	ds_load_2addr_b64 v[4:7], v96 offset0:34 offset1:50
	;; [unrolled: 1-line block ×12, first 2 shown]
	v_dual_mov_b32 v129, 8 :: v_dual_add_nc_u32 v64, 16, v97
	ds_load_2addr_b64 v[48:51], v98 offset0:130 offset1:146
	ds_load_2addr_b64 v[52:55], v98 offset0:162 offset1:178
	;; [unrolled: 1-line block ×4, first 2 shown]
	ds_load_2addr_stride64_b64 v[64:67], v64 offset1:4
	v_dual_mov_b32 v130, 0 :: v_dual_mov_b32 v127, 24
	v_dual_mov_b32 v128, 16 :: v_dual_mov_b32 v125, 40
	;; [unrolled: 1-line block ×5, first 2 shown]
	v_mov_b32_e32 v120, 0x50
	v_mov_b32_e32 v118, 0x60
	;; [unrolled: 1-line block ×21, first 2 shown]
	s_mov_b64 s[6:7], 0
	s_mov_b32 s24, -1
.LBB135_36:                             ;   Parent Loop BB135_26 Depth=1
                                        ; =>  This Inner Loop Header: Depth=2
	scratch_load_b64 v[135:136], v130, off
	s_cmp_eq_u32 s6, 1
	s_waitcnt lgkmcnt(16)
	v_max_f64 v[133:134], v[0:1], v[0:1]
	s_cselect_b32 vcc_lo, -1, 0
	s_mov_b64 s[6:7], 1
	s_waitcnt lgkmcnt(0)
	v_dual_cndmask_b32 v132, v65, v67 :: v_dual_cndmask_b32 v131, v64, v66
	s_and_b32 vcc_lo, exec_lo, s24
	s_mov_b32 s24, 0
	s_delay_alu instid0(VALU_DEP_1) | instskip(NEXT) | instid1(VALU_DEP_1)
	v_max_f64 v[131:132], v[131:132], v[131:132]
	v_min_f64 v[133:134], v[133:134], v[131:132]
	s_waitcnt vmcnt(0)
	s_delay_alu instid0(VALU_DEP_1) | instskip(SKIP_3) | instid1(VALU_DEP_1)
	v_add_f64 v[133:134], v[135:136], v[133:134]
	scratch_load_b64 v[135:136], v129, off
	scratch_store_b64 v130, v[133:134], off
	v_max_f64 v[133:134], v[2:3], v[2:3]
	v_min_f64 v[133:134], v[133:134], v[131:132]
	s_waitcnt vmcnt(0)
	s_delay_alu instid0(VALU_DEP_1) | instskip(SKIP_3) | instid1(VALU_DEP_1)
	v_add_f64 v[133:134], v[133:134], v[135:136]
	scratch_store_b64 v129, v[133:134], off
	scratch_load_b64 v[133:134], v128, off
	v_max_f64 v[129:130], v[4:5], v[4:5]
	v_min_f64 v[129:130], v[129:130], v[131:132]
	s_waitcnt vmcnt(0)
	s_delay_alu instid0(VALU_DEP_1) | instskip(SKIP_3) | instid1(VALU_DEP_1)
	v_add_f64 v[129:130], v[129:130], v[133:134]
	scratch_load_b64 v[133:134], v127, off
	scratch_store_b64 v128, v[129:130], off
	v_max_f64 v[128:129], v[6:7], v[6:7]
	v_min_f64 v[128:129], v[128:129], v[131:132]
	s_waitcnt vmcnt(0)
	s_delay_alu instid0(VALU_DEP_1) | instskip(SKIP_3) | instid1(VALU_DEP_1)
	v_add_f64 v[128:129], v[128:129], v[133:134]
	scratch_store_b64 v127, v[128:129], off
	scratch_load_b64 v[129:130], v126, off
	v_max_f64 v[127:128], v[8:9], v[8:9]
	v_min_f64 v[127:128], v[127:128], v[131:132]
	s_waitcnt vmcnt(0)
	s_delay_alu instid0(VALU_DEP_1) | instskip(SKIP_4) | instid1(VALU_DEP_1)
	v_add_f64 v[127:128], v[127:128], v[129:130]
	v_mov_b32_e32 v130, 0x100
	scratch_store_b64 v126, v[127:128], off
	scratch_load_b64 v[128:129], v125, off
	v_max_f64 v[126:127], v[10:11], v[10:11]
	v_min_f64 v[126:127], v[126:127], v[131:132]
	s_waitcnt vmcnt(0)
	s_delay_alu instid0(VALU_DEP_1) | instskip(SKIP_4) | instid1(VALU_DEP_1)
	v_add_f64 v[126:127], v[126:127], v[128:129]
	v_mov_b32_e32 v129, 0x108
	;; [unrolled: 8-line block ×27, first 2 shown]
	scratch_store_b64 v100, v[101:102], off
	scratch_load_b64 v[102:103], v99, off
	v_max_f64 v[100:101], v[62:63], v[62:63]
	v_min_f64 v[100:101], v[100:101], v[131:132]
	s_waitcnt vmcnt(0)
	s_delay_alu instid0(VALU_DEP_1)
	v_add_f64 v[100:101], v[100:101], v[102:103]
	v_mov_b32_e32 v103, 0x1d8
	v_mov_b32_e32 v102, 0x1e0
	scratch_store_b64 v99, v[100:101], off
	v_mov_b32_e32 v101, 0x1e8
	v_mov_b32_e32 v100, 0x1f0
	;; [unrolled: 1-line block ×3, first 2 shown]
	s_cbranch_vccnz .LBB135_36
; %bb.37:                               ;   in Loop: Header=BB135_26 Depth=1
	ds_load_2addr_b64 v[0:3], v96 offset0:3 offset1:19
	ds_load_2addr_b64 v[4:7], v96 offset0:35 offset1:51
	ds_load_2addr_b64 v[8:11], v96 offset0:67 offset1:83
	ds_load_2addr_b64 v[12:15], v96 offset0:99 offset1:115
	ds_load_2addr_b64 v[16:19], v96 offset0:131 offset1:147
	ds_load_2addr_b64 v[20:23], v96 offset0:163 offset1:179
	ds_load_2addr_b64 v[24:27], v96 offset0:195 offset1:211
	ds_load_2addr_b64 v[28:31], v96 offset0:227 offset1:243
	ds_load_2addr_b64 v[32:35], v98 offset0:3 offset1:19
	ds_load_2addr_b64 v[36:39], v98 offset0:35 offset1:51
	ds_load_2addr_b64 v[40:43], v98 offset0:67 offset1:83
	ds_load_2addr_b64 v[44:47], v98 offset0:99 offset1:115
	v_dual_mov_b32 v129, 8 :: v_dual_add_nc_u32 v64, 24, v97
	ds_load_2addr_b64 v[48:51], v98 offset0:131 offset1:147
	ds_load_2addr_b64 v[52:55], v98 offset0:163 offset1:179
	;; [unrolled: 1-line block ×4, first 2 shown]
	ds_load_2addr_stride64_b64 v[64:67], v64 offset1:4
	v_dual_mov_b32 v130, 0 :: v_dual_mov_b32 v127, 24
	v_dual_mov_b32 v128, 16 :: v_dual_mov_b32 v125, 40
	v_dual_mov_b32 v126, 32 :: v_dual_mov_b32 v123, 56
	v_dual_mov_b32 v124, 48 :: v_dual_mov_b32 v121, 0x48
	v_dual_mov_b32 v122, 64 :: v_dual_mov_b32 v119, 0x58
	v_mov_b32_e32 v120, 0x50
	v_mov_b32_e32 v118, 0x60
	;; [unrolled: 1-line block ×21, first 2 shown]
	s_mov_b64 s[6:7], 0
	s_mov_b32 s24, -1
.LBB135_38:                             ;   Parent Loop BB135_26 Depth=1
                                        ; =>  This Inner Loop Header: Depth=2
	scratch_load_b64 v[135:136], v130, off
	s_cmp_eq_u32 s6, 1
	s_waitcnt lgkmcnt(16)
	v_max_f64 v[133:134], v[0:1], v[0:1]
	s_cselect_b32 vcc_lo, -1, 0
	s_mov_b64 s[6:7], 1
	s_waitcnt lgkmcnt(0)
	v_dual_cndmask_b32 v132, v65, v67 :: v_dual_cndmask_b32 v131, v64, v66
	s_and_b32 vcc_lo, exec_lo, s24
	s_mov_b32 s24, 0
	s_delay_alu instid0(VALU_DEP_1) | instskip(NEXT) | instid1(VALU_DEP_1)
	v_max_f64 v[131:132], v[131:132], v[131:132]
	v_min_f64 v[133:134], v[133:134], v[131:132]
	s_waitcnt vmcnt(0)
	s_delay_alu instid0(VALU_DEP_1) | instskip(SKIP_3) | instid1(VALU_DEP_1)
	v_add_f64 v[133:134], v[135:136], v[133:134]
	scratch_load_b64 v[135:136], v129, off
	scratch_store_b64 v130, v[133:134], off
	v_max_f64 v[133:134], v[2:3], v[2:3]
	v_min_f64 v[133:134], v[133:134], v[131:132]
	s_waitcnt vmcnt(0)
	s_delay_alu instid0(VALU_DEP_1) | instskip(SKIP_3) | instid1(VALU_DEP_1)
	v_add_f64 v[133:134], v[133:134], v[135:136]
	scratch_store_b64 v129, v[133:134], off
	scratch_load_b64 v[133:134], v128, off
	v_max_f64 v[129:130], v[4:5], v[4:5]
	v_min_f64 v[129:130], v[129:130], v[131:132]
	s_waitcnt vmcnt(0)
	s_delay_alu instid0(VALU_DEP_1) | instskip(SKIP_3) | instid1(VALU_DEP_1)
	v_add_f64 v[129:130], v[129:130], v[133:134]
	scratch_load_b64 v[133:134], v127, off
	scratch_store_b64 v128, v[129:130], off
	v_max_f64 v[128:129], v[6:7], v[6:7]
	v_min_f64 v[128:129], v[128:129], v[131:132]
	s_waitcnt vmcnt(0)
	s_delay_alu instid0(VALU_DEP_1) | instskip(SKIP_3) | instid1(VALU_DEP_1)
	v_add_f64 v[128:129], v[128:129], v[133:134]
	scratch_store_b64 v127, v[128:129], off
	scratch_load_b64 v[129:130], v126, off
	v_max_f64 v[127:128], v[8:9], v[8:9]
	v_min_f64 v[127:128], v[127:128], v[131:132]
	s_waitcnt vmcnt(0)
	s_delay_alu instid0(VALU_DEP_1) | instskip(SKIP_4) | instid1(VALU_DEP_1)
	v_add_f64 v[127:128], v[127:128], v[129:130]
	v_mov_b32_e32 v130, 0x100
	scratch_store_b64 v126, v[127:128], off
	scratch_load_b64 v[128:129], v125, off
	v_max_f64 v[126:127], v[10:11], v[10:11]
	v_min_f64 v[126:127], v[126:127], v[131:132]
	s_waitcnt vmcnt(0)
	s_delay_alu instid0(VALU_DEP_1) | instskip(SKIP_4) | instid1(VALU_DEP_1)
	v_add_f64 v[126:127], v[126:127], v[128:129]
	v_mov_b32_e32 v129, 0x108
	;; [unrolled: 8-line block ×27, first 2 shown]
	scratch_store_b64 v100, v[101:102], off
	scratch_load_b64 v[102:103], v99, off
	v_max_f64 v[100:101], v[62:63], v[62:63]
	v_min_f64 v[100:101], v[100:101], v[131:132]
	s_waitcnt vmcnt(0)
	s_delay_alu instid0(VALU_DEP_1)
	v_add_f64 v[100:101], v[100:101], v[102:103]
	v_mov_b32_e32 v103, 0x1d8
	v_mov_b32_e32 v102, 0x1e0
	scratch_store_b64 v99, v[100:101], off
	v_mov_b32_e32 v101, 0x1e8
	v_mov_b32_e32 v100, 0x1f0
	v_mov_b32_e32 v99, 0x1f8
	s_cbranch_vccnz .LBB135_38
; %bb.39:                               ;   in Loop: Header=BB135_26 Depth=1
	s_mov_b32 vcc_lo, s3
	ds_store_2addr_stride64_b64 v90, v[78:79], v[80:81] offset1:4
	ds_store_2addr_stride64_b64 v92, v[82:83], v[84:85] offset1:4
	s_waitcnt lgkmcnt(0)
	s_waitcnt_vscnt null, 0x0
	s_barrier
	buffer_gl0_inv
	s_cbranch_vccz .LBB135_42
; %bb.40:                               ;   in Loop: Header=BB135_26 Depth=1
	v_lshlrev_b64 v[0:1], 3, v[68:69]
	s_delay_alu instid0(VALU_DEP_1) | instskip(NEXT) | instid1(VALU_DEP_2)
	v_add_co_u32 v2, vcc_lo, s20, v0
	v_add_co_ci_u32_e32 v3, vcc_lo, s21, v1, vcc_lo
	s_delay_alu instid0(VALU_DEP_2) | instskip(NEXT) | instid1(VALU_DEP_2)
	v_add_co_u32 v0, vcc_lo, v2, v70
	v_add_co_ci_u32_e32 v1, vcc_lo, v3, v71, vcc_lo
	v_add_co_u32 v2, vcc_lo, v2, v72
	v_add_co_ci_u32_e32 v3, vcc_lo, v3, v73, vcc_lo
	s_clause 0x1
	flat_load_b64 v[0:1], v[0:1] offset:32
	flat_load_b64 v[2:3], v[2:3] offset:32
	s_waitcnt vmcnt(1) lgkmcnt(1)
	v_mul_f64 v[78:79], s[12:13], v[0:1]
	s_waitcnt vmcnt(0) lgkmcnt(0)
	v_mul_f64 v[80:81], s[12:13], v[2:3]
	s_and_b32 vcc_lo, exec_lo, s2
	s_mov_b64 s[6:7], 0
	s_cbranch_vccnz .LBB135_43
.LBB135_41:                             ;   in Loop: Header=BB135_26 Depth=1
	v_lshlrev_b64 v[0:1], 3, v[68:69]
	s_delay_alu instid0(VALU_DEP_1) | instskip(NEXT) | instid1(VALU_DEP_2)
	v_add_co_u32 v2, vcc_lo, s16, v0
	v_add_co_ci_u32_e32 v3, vcc_lo, s17, v1, vcc_lo
	s_delay_alu instid0(VALU_DEP_2) | instskip(NEXT) | instid1(VALU_DEP_2)
	v_add_co_u32 v0, vcc_lo, v2, v74
	v_add_co_ci_u32_e32 v1, vcc_lo, v3, v75, vcc_lo
	v_add_co_u32 v2, vcc_lo, v2, v76
	v_add_co_ci_u32_e32 v3, vcc_lo, v3, v77, vcc_lo
	s_clause 0x1
	flat_load_b64 v[0:1], v[0:1] offset:32
	flat_load_b64 v[2:3], v[2:3] offset:32
	s_waitcnt vmcnt(1) lgkmcnt(1)
	v_mul_f64 v[82:83], s[12:13], v[0:1]
	s_waitcnt vmcnt(0) lgkmcnt(0)
	v_mul_f64 v[84:85], s[12:13], v[2:3]
	s_branch .LBB135_44
.LBB135_42:                             ;   in Loop: Header=BB135_26 Depth=1
	v_mov_b32_e32 v78, 0
	v_dual_mov_b32 v79, 0 :: v_dual_mov_b32 v80, 0
	v_mov_b32_e32 v81, 0
	s_and_b32 vcc_lo, exec_lo, s2
	s_mov_b64 s[6:7], 0
	s_cbranch_vccz .LBB135_41
.LBB135_43:                             ;   in Loop: Header=BB135_26 Depth=1
	v_mov_b32_e32 v82, 0
	v_dual_mov_b32 v83, 0 :: v_dual_mov_b32 v84, 0
	v_mov_b32_e32 v85, 0
.LBB135_44:                             ;   in Loop: Header=BB135_26 Depth=1
	v_dual_mov_b32 v129, 8 :: v_dual_add_nc_u32 v68, 0x800, v89
	ds_load_2addr_b64 v[0:3], v89 offset1:16
	ds_load_2addr_b64 v[4:7], v89 offset0:32 offset1:48
	ds_load_2addr_b64 v[8:11], v89 offset0:64 offset1:80
	ds_load_2addr_b64 v[12:15], v89 offset0:96 offset1:112
	ds_load_2addr_b64 v[16:19], v89 offset0:128 offset1:144
	ds_load_2addr_b64 v[20:23], v89 offset0:160 offset1:176
	ds_load_2addr_b64 v[24:27], v89 offset0:192 offset1:208
	ds_load_2addr_b64 v[28:31], v89 offset0:224 offset1:240
	ds_load_2addr_b64 v[32:35], v68 offset1:16
	ds_load_2addr_b64 v[36:39], v68 offset0:32 offset1:48
	ds_load_2addr_b64 v[40:43], v68 offset0:64 offset1:80
	;; [unrolled: 1-line block ×7, first 2 shown]
	ds_load_2addr_stride64_b64 v[64:67], v93 offset1:4
	v_dual_mov_b32 v130, 0 :: v_dual_mov_b32 v127, 24
	v_dual_mov_b32 v128, 16 :: v_dual_mov_b32 v125, 40
	;; [unrolled: 1-line block ×5, first 2 shown]
	v_mov_b32_e32 v120, 0x50
	v_mov_b32_e32 v118, 0x60
	v_mov_b32_e32 v117, 0x68
	v_mov_b32_e32 v116, 0x70
	v_mov_b32_e32 v115, 0x78
	v_mov_b32_e32 v114, 0x80
	v_mov_b32_e32 v113, 0x88
	v_mov_b32_e32 v112, 0x90
	v_mov_b32_e32 v111, 0x98
	v_mov_b32_e32 v110, 0xa0
	v_mov_b32_e32 v109, 0xa8
	v_mov_b32_e32 v108, 0xb0
	v_mov_b32_e32 v107, 0xb8
	v_mov_b32_e32 v106, 0xc0
	v_mov_b32_e32 v105, 0xc8
	v_mov_b32_e32 v104, 0xd0
	v_mov_b32_e32 v103, 0xd8
	v_mov_b32_e32 v102, 0xe0
	v_mov_b32_e32 v101, 0xe8
	v_mov_b32_e32 v100, 0xf0
	v_mov_b32_e32 v99, 0xf8
	s_mov_b32 s24, -1
.LBB135_45:                             ;   Parent Loop BB135_26 Depth=1
                                        ; =>  This Inner Loop Header: Depth=2
	scratch_load_b64 v[135:136], v130, off
	s_cmp_eq_u32 s6, 1
	s_waitcnt lgkmcnt(16)
	v_max_f64 v[133:134], v[0:1], v[0:1]
	s_cselect_b32 vcc_lo, -1, 0
	s_mov_b64 s[6:7], 1
	s_waitcnt lgkmcnt(0)
	v_dual_cndmask_b32 v132, v65, v67 :: v_dual_cndmask_b32 v131, v64, v66
	s_and_b32 vcc_lo, exec_lo, s24
	s_mov_b32 s24, 0
	s_delay_alu instid0(VALU_DEP_1) | instskip(NEXT) | instid1(VALU_DEP_1)
	v_max_f64 v[131:132], v[131:132], v[131:132]
	v_min_f64 v[133:134], v[133:134], v[131:132]
	s_waitcnt vmcnt(0)
	s_delay_alu instid0(VALU_DEP_1) | instskip(SKIP_3) | instid1(VALU_DEP_1)
	v_add_f64 v[133:134], v[135:136], v[133:134]
	scratch_load_b64 v[135:136], v129, off
	scratch_store_b64 v130, v[133:134], off
	v_max_f64 v[133:134], v[2:3], v[2:3]
	v_min_f64 v[133:134], v[133:134], v[131:132]
	s_waitcnt vmcnt(0)
	s_delay_alu instid0(VALU_DEP_1) | instskip(SKIP_3) | instid1(VALU_DEP_1)
	v_add_f64 v[133:134], v[133:134], v[135:136]
	scratch_store_b64 v129, v[133:134], off
	scratch_load_b64 v[133:134], v128, off
	v_max_f64 v[129:130], v[4:5], v[4:5]
	v_min_f64 v[129:130], v[129:130], v[131:132]
	s_waitcnt vmcnt(0)
	s_delay_alu instid0(VALU_DEP_1) | instskip(SKIP_3) | instid1(VALU_DEP_1)
	v_add_f64 v[129:130], v[129:130], v[133:134]
	scratch_load_b64 v[133:134], v127, off
	scratch_store_b64 v128, v[129:130], off
	v_max_f64 v[128:129], v[6:7], v[6:7]
	v_min_f64 v[128:129], v[128:129], v[131:132]
	s_waitcnt vmcnt(0)
	s_delay_alu instid0(VALU_DEP_1) | instskip(SKIP_3) | instid1(VALU_DEP_1)
	v_add_f64 v[128:129], v[128:129], v[133:134]
	scratch_store_b64 v127, v[128:129], off
	scratch_load_b64 v[129:130], v126, off
	v_max_f64 v[127:128], v[8:9], v[8:9]
	v_min_f64 v[127:128], v[127:128], v[131:132]
	s_waitcnt vmcnt(0)
	s_delay_alu instid0(VALU_DEP_1) | instskip(SKIP_4) | instid1(VALU_DEP_1)
	v_add_f64 v[127:128], v[127:128], v[129:130]
	v_mov_b32_e32 v130, 0x100
	scratch_store_b64 v126, v[127:128], off
	scratch_load_b64 v[128:129], v125, off
	v_max_f64 v[126:127], v[10:11], v[10:11]
	v_min_f64 v[126:127], v[126:127], v[131:132]
	s_waitcnt vmcnt(0)
	s_delay_alu instid0(VALU_DEP_1) | instskip(SKIP_4) | instid1(VALU_DEP_1)
	v_add_f64 v[126:127], v[126:127], v[128:129]
	v_mov_b32_e32 v129, 0x108
	;; [unrolled: 8-line block ×27, first 2 shown]
	scratch_store_b64 v100, v[101:102], off
	scratch_load_b64 v[102:103], v99, off
	v_max_f64 v[100:101], v[62:63], v[62:63]
	v_min_f64 v[100:101], v[100:101], v[131:132]
	s_waitcnt vmcnt(0)
	s_delay_alu instid0(VALU_DEP_1)
	v_add_f64 v[100:101], v[100:101], v[102:103]
	v_mov_b32_e32 v103, 0x1d8
	v_mov_b32_e32 v102, 0x1e0
	scratch_store_b64 v99, v[100:101], off
	v_mov_b32_e32 v101, 0x1e8
	v_mov_b32_e32 v100, 0x1f0
	v_mov_b32_e32 v99, 0x1f8
	s_cbranch_vccnz .LBB135_45
; %bb.46:                               ;   in Loop: Header=BB135_26 Depth=1
	ds_load_2addr_b64 v[0:3], v89 offset0:1 offset1:17
	ds_load_2addr_b64 v[4:7], v89 offset0:33 offset1:49
	;; [unrolled: 1-line block ×12, first 2 shown]
	v_dual_mov_b32 v129, 8 :: v_dual_add_nc_u32 v64, 8, v93
	ds_load_2addr_b64 v[48:51], v68 offset0:129 offset1:145
	ds_load_2addr_b64 v[52:55], v68 offset0:161 offset1:177
	ds_load_2addr_b64 v[56:59], v68 offset0:193 offset1:209
	ds_load_2addr_b64 v[60:63], v68 offset0:225 offset1:241
	ds_load_2addr_stride64_b64 v[64:67], v64 offset1:4
	v_dual_mov_b32 v130, 0 :: v_dual_mov_b32 v127, 24
	v_dual_mov_b32 v128, 16 :: v_dual_mov_b32 v125, 40
	;; [unrolled: 1-line block ×5, first 2 shown]
	v_mov_b32_e32 v120, 0x50
	v_mov_b32_e32 v118, 0x60
	;; [unrolled: 1-line block ×21, first 2 shown]
	s_mov_b64 s[6:7], 0
	s_mov_b32 s24, -1
.LBB135_47:                             ;   Parent Loop BB135_26 Depth=1
                                        ; =>  This Inner Loop Header: Depth=2
	scratch_load_b64 v[135:136], v130, off
	s_cmp_eq_u32 s6, 1
	s_waitcnt lgkmcnt(16)
	v_max_f64 v[133:134], v[0:1], v[0:1]
	s_cselect_b32 vcc_lo, -1, 0
	s_mov_b64 s[6:7], 1
	s_waitcnt lgkmcnt(0)
	v_dual_cndmask_b32 v132, v65, v67 :: v_dual_cndmask_b32 v131, v64, v66
	s_and_b32 vcc_lo, exec_lo, s24
	s_mov_b32 s24, 0
	s_delay_alu instid0(VALU_DEP_1) | instskip(NEXT) | instid1(VALU_DEP_1)
	v_max_f64 v[131:132], v[131:132], v[131:132]
	v_min_f64 v[133:134], v[133:134], v[131:132]
	s_waitcnt vmcnt(0)
	s_delay_alu instid0(VALU_DEP_1) | instskip(SKIP_3) | instid1(VALU_DEP_1)
	v_add_f64 v[133:134], v[135:136], v[133:134]
	scratch_load_b64 v[135:136], v129, off
	scratch_store_b64 v130, v[133:134], off
	v_max_f64 v[133:134], v[2:3], v[2:3]
	v_min_f64 v[133:134], v[133:134], v[131:132]
	s_waitcnt vmcnt(0)
	s_delay_alu instid0(VALU_DEP_1) | instskip(SKIP_3) | instid1(VALU_DEP_1)
	v_add_f64 v[133:134], v[133:134], v[135:136]
	scratch_store_b64 v129, v[133:134], off
	scratch_load_b64 v[133:134], v128, off
	v_max_f64 v[129:130], v[4:5], v[4:5]
	v_min_f64 v[129:130], v[129:130], v[131:132]
	s_waitcnt vmcnt(0)
	s_delay_alu instid0(VALU_DEP_1) | instskip(SKIP_3) | instid1(VALU_DEP_1)
	v_add_f64 v[129:130], v[129:130], v[133:134]
	scratch_load_b64 v[133:134], v127, off
	scratch_store_b64 v128, v[129:130], off
	v_max_f64 v[128:129], v[6:7], v[6:7]
	v_min_f64 v[128:129], v[128:129], v[131:132]
	s_waitcnt vmcnt(0)
	s_delay_alu instid0(VALU_DEP_1) | instskip(SKIP_3) | instid1(VALU_DEP_1)
	v_add_f64 v[128:129], v[128:129], v[133:134]
	scratch_store_b64 v127, v[128:129], off
	scratch_load_b64 v[129:130], v126, off
	v_max_f64 v[127:128], v[8:9], v[8:9]
	v_min_f64 v[127:128], v[127:128], v[131:132]
	s_waitcnt vmcnt(0)
	s_delay_alu instid0(VALU_DEP_1) | instskip(SKIP_4) | instid1(VALU_DEP_1)
	v_add_f64 v[127:128], v[127:128], v[129:130]
	v_mov_b32_e32 v130, 0x100
	scratch_store_b64 v126, v[127:128], off
	scratch_load_b64 v[128:129], v125, off
	v_max_f64 v[126:127], v[10:11], v[10:11]
	v_min_f64 v[126:127], v[126:127], v[131:132]
	s_waitcnt vmcnt(0)
	s_delay_alu instid0(VALU_DEP_1) | instskip(SKIP_4) | instid1(VALU_DEP_1)
	v_add_f64 v[126:127], v[126:127], v[128:129]
	v_mov_b32_e32 v129, 0x108
	;; [unrolled: 8-line block ×27, first 2 shown]
	scratch_store_b64 v100, v[101:102], off
	scratch_load_b64 v[102:103], v99, off
	v_max_f64 v[100:101], v[62:63], v[62:63]
	v_min_f64 v[100:101], v[100:101], v[131:132]
	s_waitcnt vmcnt(0)
	s_delay_alu instid0(VALU_DEP_1)
	v_add_f64 v[100:101], v[100:101], v[102:103]
	v_mov_b32_e32 v103, 0x1d8
	v_mov_b32_e32 v102, 0x1e0
	scratch_store_b64 v99, v[100:101], off
	v_mov_b32_e32 v101, 0x1e8
	v_mov_b32_e32 v100, 0x1f0
	;; [unrolled: 1-line block ×3, first 2 shown]
	s_cbranch_vccnz .LBB135_47
; %bb.48:                               ;   in Loop: Header=BB135_26 Depth=1
	ds_load_2addr_b64 v[0:3], v89 offset0:2 offset1:18
	ds_load_2addr_b64 v[4:7], v89 offset0:34 offset1:50
	;; [unrolled: 1-line block ×12, first 2 shown]
	v_dual_mov_b32 v129, 8 :: v_dual_add_nc_u32 v64, 16, v93
	ds_load_2addr_b64 v[48:51], v68 offset0:130 offset1:146
	ds_load_2addr_b64 v[52:55], v68 offset0:162 offset1:178
	ds_load_2addr_b64 v[56:59], v68 offset0:194 offset1:210
	ds_load_2addr_b64 v[60:63], v68 offset0:226 offset1:242
	ds_load_2addr_stride64_b64 v[64:67], v64 offset1:4
	v_dual_mov_b32 v130, 0 :: v_dual_mov_b32 v127, 24
	v_dual_mov_b32 v128, 16 :: v_dual_mov_b32 v125, 40
	;; [unrolled: 1-line block ×5, first 2 shown]
	v_mov_b32_e32 v120, 0x50
	v_mov_b32_e32 v118, 0x60
	;; [unrolled: 1-line block ×21, first 2 shown]
	s_mov_b64 s[6:7], 0
	s_mov_b32 s24, -1
.LBB135_49:                             ;   Parent Loop BB135_26 Depth=1
                                        ; =>  This Inner Loop Header: Depth=2
	scratch_load_b64 v[135:136], v130, off
	s_cmp_eq_u32 s6, 1
	s_waitcnt lgkmcnt(16)
	v_max_f64 v[133:134], v[0:1], v[0:1]
	s_cselect_b32 vcc_lo, -1, 0
	s_mov_b64 s[6:7], 1
	s_waitcnt lgkmcnt(0)
	v_dual_cndmask_b32 v132, v65, v67 :: v_dual_cndmask_b32 v131, v64, v66
	s_and_b32 vcc_lo, exec_lo, s24
	s_mov_b32 s24, 0
	s_delay_alu instid0(VALU_DEP_1) | instskip(NEXT) | instid1(VALU_DEP_1)
	v_max_f64 v[131:132], v[131:132], v[131:132]
	v_min_f64 v[133:134], v[133:134], v[131:132]
	s_waitcnt vmcnt(0)
	s_delay_alu instid0(VALU_DEP_1) | instskip(SKIP_3) | instid1(VALU_DEP_1)
	v_add_f64 v[133:134], v[135:136], v[133:134]
	scratch_load_b64 v[135:136], v129, off
	scratch_store_b64 v130, v[133:134], off
	v_max_f64 v[133:134], v[2:3], v[2:3]
	v_min_f64 v[133:134], v[133:134], v[131:132]
	s_waitcnt vmcnt(0)
	s_delay_alu instid0(VALU_DEP_1) | instskip(SKIP_3) | instid1(VALU_DEP_1)
	v_add_f64 v[133:134], v[133:134], v[135:136]
	scratch_store_b64 v129, v[133:134], off
	scratch_load_b64 v[133:134], v128, off
	v_max_f64 v[129:130], v[4:5], v[4:5]
	v_min_f64 v[129:130], v[129:130], v[131:132]
	s_waitcnt vmcnt(0)
	s_delay_alu instid0(VALU_DEP_1) | instskip(SKIP_3) | instid1(VALU_DEP_1)
	v_add_f64 v[129:130], v[129:130], v[133:134]
	scratch_load_b64 v[133:134], v127, off
	scratch_store_b64 v128, v[129:130], off
	v_max_f64 v[128:129], v[6:7], v[6:7]
	v_min_f64 v[128:129], v[128:129], v[131:132]
	s_waitcnt vmcnt(0)
	s_delay_alu instid0(VALU_DEP_1) | instskip(SKIP_3) | instid1(VALU_DEP_1)
	v_add_f64 v[128:129], v[128:129], v[133:134]
	scratch_store_b64 v127, v[128:129], off
	scratch_load_b64 v[129:130], v126, off
	v_max_f64 v[127:128], v[8:9], v[8:9]
	v_min_f64 v[127:128], v[127:128], v[131:132]
	s_waitcnt vmcnt(0)
	s_delay_alu instid0(VALU_DEP_1) | instskip(SKIP_4) | instid1(VALU_DEP_1)
	v_add_f64 v[127:128], v[127:128], v[129:130]
	v_mov_b32_e32 v130, 0x100
	scratch_store_b64 v126, v[127:128], off
	scratch_load_b64 v[128:129], v125, off
	v_max_f64 v[126:127], v[10:11], v[10:11]
	v_min_f64 v[126:127], v[126:127], v[131:132]
	s_waitcnt vmcnt(0)
	s_delay_alu instid0(VALU_DEP_1) | instskip(SKIP_4) | instid1(VALU_DEP_1)
	v_add_f64 v[126:127], v[126:127], v[128:129]
	v_mov_b32_e32 v129, 0x108
	;; [unrolled: 8-line block ×27, first 2 shown]
	scratch_store_b64 v100, v[101:102], off
	scratch_load_b64 v[102:103], v99, off
	v_max_f64 v[100:101], v[62:63], v[62:63]
	v_min_f64 v[100:101], v[100:101], v[131:132]
	s_waitcnt vmcnt(0)
	s_delay_alu instid0(VALU_DEP_1)
	v_add_f64 v[100:101], v[100:101], v[102:103]
	v_mov_b32_e32 v103, 0x1d8
	v_mov_b32_e32 v102, 0x1e0
	scratch_store_b64 v99, v[100:101], off
	v_mov_b32_e32 v101, 0x1e8
	v_mov_b32_e32 v100, 0x1f0
	;; [unrolled: 1-line block ×3, first 2 shown]
	s_cbranch_vccnz .LBB135_49
; %bb.50:                               ;   in Loop: Header=BB135_26 Depth=1
	ds_load_2addr_b64 v[0:3], v89 offset0:3 offset1:19
	ds_load_2addr_b64 v[4:7], v89 offset0:35 offset1:51
	;; [unrolled: 1-line block ×12, first 2 shown]
	v_dual_mov_b32 v129, 0 :: v_dual_add_nc_u32 v64, 24, v93
	ds_load_2addr_b64 v[48:51], v68 offset0:131 offset1:147
	ds_load_2addr_b64 v[52:55], v68 offset0:163 offset1:179
	;; [unrolled: 1-line block ×4, first 2 shown]
	ds_load_2addr_stride64_b64 v[64:67], v64 offset1:4
	v_dual_mov_b32 v128, 8 :: v_dual_mov_b32 v127, 16
	v_dual_mov_b32 v126, 24 :: v_dual_mov_b32 v125, 32
	;; [unrolled: 1-line block ×4, first 2 shown]
	v_mov_b32_e32 v120, 0x48
	v_mov_b32_e32 v119, 0x50
	;; [unrolled: 1-line block ×23, first 2 shown]
	s_mov_b64 s[6:7], 0
	s_mov_b32 s24, -1
.LBB135_51:                             ;   Parent Loop BB135_26 Depth=1
                                        ; =>  This Inner Loop Header: Depth=2
	scratch_load_b64 v[134:135], v129, off
	s_cmp_eq_u32 s6, 1
	s_waitcnt lgkmcnt(16)
	v_max_f64 v[132:133], v[0:1], v[0:1]
	s_cselect_b32 vcc_lo, -1, 0
	s_mov_b64 s[6:7], 1
	s_waitcnt lgkmcnt(0)
	v_dual_cndmask_b32 v131, v65, v67 :: v_dual_cndmask_b32 v130, v64, v66
	s_and_b32 vcc_lo, exec_lo, s24
	s_mov_b32 s24, 0
	s_delay_alu instid0(VALU_DEP_1) | instskip(NEXT) | instid1(VALU_DEP_1)
	v_max_f64 v[130:131], v[130:131], v[130:131]
	v_min_f64 v[132:133], v[132:133], v[130:131]
	s_waitcnt vmcnt(0)
	s_delay_alu instid0(VALU_DEP_1) | instskip(SKIP_3) | instid1(VALU_DEP_1)
	v_add_f64 v[132:133], v[134:135], v[132:133]
	scratch_load_b64 v[134:135], v128, off
	scratch_store_b64 v129, v[132:133], off
	v_max_f64 v[132:133], v[2:3], v[2:3]
	v_min_f64 v[132:133], v[132:133], v[130:131]
	s_waitcnt vmcnt(0)
	s_delay_alu instid0(VALU_DEP_1) | instskip(SKIP_3) | instid1(VALU_DEP_1)
	v_add_f64 v[132:133], v[132:133], v[134:135]
	scratch_store_b64 v128, v[132:133], off
	scratch_load_b64 v[132:133], v127, off
	v_max_f64 v[128:129], v[4:5], v[4:5]
	v_min_f64 v[128:129], v[128:129], v[130:131]
	s_waitcnt vmcnt(0)
	s_delay_alu instid0(VALU_DEP_1) | instskip(SKIP_3) | instid1(VALU_DEP_1)
	v_add_f64 v[128:129], v[128:129], v[132:133]
	scratch_load_b64 v[132:133], v126, off
	scratch_store_b64 v127, v[128:129], off
	v_max_f64 v[127:128], v[6:7], v[6:7]
	v_min_f64 v[127:128], v[127:128], v[130:131]
	s_waitcnt vmcnt(0)
	s_delay_alu instid0(VALU_DEP_1) | instskip(SKIP_3) | instid1(VALU_DEP_1)
	v_add_f64 v[127:128], v[127:128], v[132:133]
	scratch_store_b64 v126, v[127:128], off
	scratch_load_b64 v[128:129], v125, off
	v_max_f64 v[126:127], v[8:9], v[8:9]
	v_min_f64 v[126:127], v[126:127], v[130:131]
	s_waitcnt vmcnt(0)
	s_delay_alu instid0(VALU_DEP_1) | instskip(SKIP_4) | instid1(VALU_DEP_1)
	v_add_f64 v[126:127], v[126:127], v[128:129]
	v_mov_b32_e32 v129, 0x100
	scratch_store_b64 v125, v[126:127], off
	scratch_load_b64 v[127:128], v124, off
	v_max_f64 v[125:126], v[10:11], v[10:11]
	v_min_f64 v[125:126], v[125:126], v[130:131]
	s_waitcnt vmcnt(0)
	s_delay_alu instid0(VALU_DEP_1) | instskip(SKIP_4) | instid1(VALU_DEP_1)
	v_add_f64 v[125:126], v[125:126], v[127:128]
	v_mov_b32_e32 v128, 0x108
	;; [unrolled: 8-line block ×27, first 2 shown]
	scratch_store_b64 v99, v[100:101], off
	scratch_load_b64 v[101:102], v68, off
	v_max_f64 v[99:100], v[62:63], v[62:63]
	v_min_f64 v[99:100], v[99:100], v[130:131]
	s_waitcnt vmcnt(0)
	s_delay_alu instid0(VALU_DEP_1)
	v_add_f64 v[99:100], v[99:100], v[101:102]
	v_mov_b32_e32 v102, 0x1d8
	v_mov_b32_e32 v101, 0x1e0
	scratch_store_b64 v68, v[99:100], off
	v_mov_b32_e32 v100, 0x1e8
	v_mov_b32_e32 v99, 0x1f0
	;; [unrolled: 1-line block ×3, first 2 shown]
	s_cbranch_vccnz .LBB135_51
; %bb.52:                               ;   in Loop: Header=BB135_26 Depth=1
	s_add_i32 s23, s23, 8
	s_add_i32 s19, s19, 8
	s_cmp_ge_i32 s23, s22
	ds_store_2addr_stride64_b64 v94, v[78:79], v[80:81] offset1:4
	ds_store_2addr_stride64_b64 v95, v[82:83], v[84:85] offset1:4
	s_waitcnt lgkmcnt(0)
	s_waitcnt_vscnt null, 0x0
	s_barrier
	buffer_gl0_inv
	s_cbranch_scc0 .LBB135_26
.LBB135_53:
	v_dual_mov_b32 v71, 8 :: v_dual_add_nc_u32 v28, 0x1000, v89
	v_dual_mov_b32 v75, 40 :: v_dual_add_nc_u32 v60, 0x1800, v89
	;; [unrolled: 1-line block ×3, first 2 shown]
	ds_load_2addr_b64 v[0:3], v28 offset1:16
	ds_load_2addr_b64 v[4:7], v28 offset0:32 offset1:48
	ds_load_2addr_b64 v[8:11], v28 offset0:64 offset1:80
	;; [unrolled: 1-line block ×7, first 2 shown]
	ds_load_2addr_b64 v[32:35], v60 offset1:16
	ds_load_2addr_b64 v[36:39], v60 offset0:32 offset1:48
	ds_load_2addr_b64 v[40:43], v60 offset0:64 offset1:80
	;; [unrolled: 1-line block ×7, first 2 shown]
	ds_load_2addr_stride64_b64 v[64:67], v91 offset0:24 offset1:28
	v_dual_mov_b32 v70, 0 :: v_dual_add_nc_u32 v69, 0x3000, v91
	v_dual_mov_b32 v72, 16 :: v_dual_mov_b32 v77, 56
	v_dual_mov_b32 v74, 32 :: v_dual_mov_b32 v79, 0x48
	;; [unrolled: 1-line block ×4, first 2 shown]
	v_mov_b32_e32 v80, 0x50
	v_mov_b32_e32 v82, 0x60
	;; [unrolled: 1-line block ×20, first 2 shown]
	s_mov_b64 s[2:3], 0
	s_mov_b32 s6, -1
.LBB135_54:                             ; =>This Inner Loop Header: Depth=1
	scratch_load_b64 v[104:105], v70, off
	scratch_load_b64 v[106:107], v71, off
	;; [unrolled: 1-line block ×32, first 2 shown]
	s_cmp_eq_u32 s2, 1
	s_waitcnt lgkmcnt(16)
	v_max_f64 v[170:171], v[0:1], v[0:1]
	s_cselect_b32 vcc_lo, -1, 0
	v_max_f64 v[172:173], v[2:3], v[2:3]
	s_waitcnt lgkmcnt(0)
	v_dual_cndmask_b32 v169, v65, v67 :: v_dual_cndmask_b32 v168, v64, v66
	v_max_f64 v[174:175], v[4:5], v[4:5]
	v_max_f64 v[176:177], v[6:7], v[6:7]
	;; [unrolled: 1-line block ×31, first 2 shown]
	s_mov_b64 s[2:3], 1
	s_and_b32 vcc_lo, exec_lo, s6
	s_mov_b32 s6, 0
	v_min_f64 v[170:171], v[170:171], v[168:169]
	v_min_f64 v[172:173], v[172:173], v[168:169]
	v_min_f64 v[174:175], v[174:175], v[168:169]
	v_min_f64 v[176:177], v[176:177], v[168:169]
	v_min_f64 v[178:179], v[178:179], v[168:169]
	v_min_f64 v[180:181], v[180:181], v[168:169]
	v_min_f64 v[182:183], v[182:183], v[168:169]
	v_min_f64 v[184:185], v[184:185], v[168:169]
	v_min_f64 v[186:187], v[186:187], v[168:169]
	v_min_f64 v[188:189], v[188:189], v[168:169]
	v_min_f64 v[190:191], v[190:191], v[168:169]
	v_min_f64 v[192:193], v[192:193], v[168:169]
	v_min_f64 v[194:195], v[194:195], v[168:169]
	v_min_f64 v[196:197], v[196:197], v[168:169]
	v_min_f64 v[198:199], v[198:199], v[168:169]
	v_min_f64 v[200:201], v[200:201], v[168:169]
	v_min_f64 v[202:203], v[202:203], v[168:169]
	v_min_f64 v[204:205], v[204:205], v[168:169]
	v_min_f64 v[206:207], v[206:207], v[168:169]
	v_min_f64 v[208:209], v[208:209], v[168:169]
	v_min_f64 v[210:211], v[210:211], v[168:169]
	v_min_f64 v[212:213], v[212:213], v[168:169]
	v_min_f64 v[214:215], v[214:215], v[168:169]
	v_min_f64 v[216:217], v[216:217], v[168:169]
	v_min_f64 v[218:219], v[218:219], v[168:169]
	v_min_f64 v[220:221], v[220:221], v[168:169]
	v_min_f64 v[222:223], v[222:223], v[168:169]
	v_min_f64 v[224:225], v[224:225], v[168:169]
	v_min_f64 v[226:227], v[226:227], v[168:169]
	v_min_f64 v[228:229], v[228:229], v[168:169]
	v_min_f64 v[230:231], v[230:231], v[168:169]
	v_min_f64 v[168:169], v[232:233], v[168:169]
	s_waitcnt vmcnt(31)
	v_add_f64 v[104:105], v[104:105], v[170:171]
	s_waitcnt vmcnt(30)
	v_add_f64 v[106:107], v[172:173], v[106:107]
	;; [unrolled: 2-line block ×32, first 2 shown]
	scratch_store_b64 v70, v[104:105], off
	scratch_store_b64 v71, v[106:107], off
	;; [unrolled: 1-line block ×32, first 2 shown]
	v_mov_b32_e32 v70, 0x100
	v_mov_b32_e32 v71, 0x108
	;; [unrolled: 1-line block ×32, first 2 shown]
	s_cbranch_vccnz .LBB135_54
; %bb.55:
	v_dual_mov_b32 v71, 8 :: v_dual_add_nc_u32 v60, 0x800, v68
	ds_load_2addr_b64 v[0:3], v68 offset0:1 offset1:17
	ds_load_2addr_b64 v[4:7], v68 offset0:33 offset1:49
	;; [unrolled: 1-line block ×12, first 2 shown]
	v_dual_mov_b32 v73, 24 :: v_dual_add_nc_u32 v64, 8, v69
	ds_load_2addr_b64 v[48:51], v60 offset0:129 offset1:145
	ds_load_2addr_b64 v[52:55], v60 offset0:161 offset1:177
	;; [unrolled: 1-line block ×4, first 2 shown]
	ds_load_2addr_stride64_b64 v[64:67], v64 offset1:4
	v_dual_mov_b32 v70, 0 :: v_dual_mov_b32 v75, 40
	v_dual_mov_b32 v72, 16 :: v_dual_mov_b32 v77, 56
	;; [unrolled: 1-line block ×5, first 2 shown]
	v_mov_b32_e32 v80, 0x50
	v_mov_b32_e32 v82, 0x60
	;; [unrolled: 1-line block ×20, first 2 shown]
	s_mov_b64 s[2:3], 0
	s_mov_b32 s6, -1
.LBB135_56:                             ; =>This Inner Loop Header: Depth=1
	scratch_load_b64 v[104:105], v70, off
	scratch_load_b64 v[106:107], v71, off
	;; [unrolled: 1-line block ×32, first 2 shown]
	s_cmp_eq_u32 s2, 1
	s_waitcnt lgkmcnt(16)
	v_max_f64 v[170:171], v[0:1], v[0:1]
	s_cselect_b32 vcc_lo, -1, 0
	v_max_f64 v[172:173], v[2:3], v[2:3]
	s_waitcnt lgkmcnt(0)
	v_dual_cndmask_b32 v169, v65, v67 :: v_dual_cndmask_b32 v168, v64, v66
	v_max_f64 v[174:175], v[4:5], v[4:5]
	v_max_f64 v[176:177], v[6:7], v[6:7]
	;; [unrolled: 1-line block ×31, first 2 shown]
	s_mov_b64 s[2:3], 1
	s_and_b32 vcc_lo, exec_lo, s6
	s_mov_b32 s6, 0
	v_min_f64 v[170:171], v[170:171], v[168:169]
	v_min_f64 v[172:173], v[172:173], v[168:169]
	;; [unrolled: 1-line block ×32, first 2 shown]
	s_waitcnt vmcnt(31)
	v_add_f64 v[104:105], v[104:105], v[170:171]
	s_waitcnt vmcnt(30)
	v_add_f64 v[106:107], v[172:173], v[106:107]
	;; [unrolled: 2-line block ×32, first 2 shown]
	scratch_store_b64 v70, v[104:105], off
	scratch_store_b64 v71, v[106:107], off
	;; [unrolled: 1-line block ×32, first 2 shown]
	v_mov_b32_e32 v70, 0x100
	v_mov_b32_e32 v71, 0x108
	;; [unrolled: 1-line block ×32, first 2 shown]
	s_cbranch_vccnz .LBB135_56
; %bb.57:
	v_dual_mov_b32 v71, 8 :: v_dual_add_nc_u32 v60, 0x800, v68
	ds_load_2addr_b64 v[0:3], v68 offset0:2 offset1:18
	ds_load_2addr_b64 v[4:7], v68 offset0:34 offset1:50
	;; [unrolled: 1-line block ×12, first 2 shown]
	v_dual_mov_b32 v73, 24 :: v_dual_add_nc_u32 v64, 16, v69
	ds_load_2addr_b64 v[48:51], v60 offset0:130 offset1:146
	ds_load_2addr_b64 v[52:55], v60 offset0:162 offset1:178
	;; [unrolled: 1-line block ×4, first 2 shown]
	ds_load_2addr_stride64_b64 v[64:67], v64 offset1:4
	v_dual_mov_b32 v70, 0 :: v_dual_mov_b32 v75, 40
	v_dual_mov_b32 v72, 16 :: v_dual_mov_b32 v77, 56
	;; [unrolled: 1-line block ×5, first 2 shown]
	v_mov_b32_e32 v80, 0x50
	v_mov_b32_e32 v82, 0x60
	;; [unrolled: 1-line block ×20, first 2 shown]
	s_mov_b64 s[2:3], 0
	s_mov_b32 s6, -1
.LBB135_58:                             ; =>This Inner Loop Header: Depth=1
	scratch_load_b64 v[104:105], v70, off
	scratch_load_b64 v[106:107], v71, off
	scratch_load_b64 v[108:109], v72, off
	scratch_load_b64 v[110:111], v73, off
	scratch_load_b64 v[112:113], v74, off
	scratch_load_b64 v[114:115], v75, off
	scratch_load_b64 v[116:117], v76, off
	scratch_load_b64 v[118:119], v77, off
	scratch_load_b64 v[120:121], v78, off
	scratch_load_b64 v[122:123], v79, off
	scratch_load_b64 v[124:125], v80, off
	scratch_load_b64 v[126:127], v81, off
	scratch_load_b64 v[128:129], v82, off
	scratch_load_b64 v[130:131], v83, off
	scratch_load_b64 v[132:133], v84, off
	scratch_load_b64 v[134:135], v85, off
	scratch_load_b64 v[136:137], v88, off
	scratch_load_b64 v[138:139], v89, off
	scratch_load_b64 v[140:141], v90, off
	scratch_load_b64 v[142:143], v91, off
	scratch_load_b64 v[144:145], v92, off
	scratch_load_b64 v[146:147], v93, off
	scratch_load_b64 v[148:149], v94, off
	scratch_load_b64 v[150:151], v95, off
	scratch_load_b64 v[152:153], v96, off
	scratch_load_b64 v[154:155], v97, off
	scratch_load_b64 v[156:157], v98, off
	scratch_load_b64 v[158:159], v99, off
	scratch_load_b64 v[160:161], v100, off
	scratch_load_b64 v[162:163], v101, off
	scratch_load_b64 v[164:165], v102, off
	scratch_load_b64 v[166:167], v103, off
	s_cmp_eq_u32 s2, 1
	s_waitcnt lgkmcnt(16)
	v_max_f64 v[170:171], v[0:1], v[0:1]
	s_cselect_b32 vcc_lo, -1, 0
	v_max_f64 v[172:173], v[2:3], v[2:3]
	s_waitcnt lgkmcnt(0)
	v_dual_cndmask_b32 v169, v65, v67 :: v_dual_cndmask_b32 v168, v64, v66
	v_max_f64 v[174:175], v[4:5], v[4:5]
	v_max_f64 v[176:177], v[6:7], v[6:7]
	v_max_f64 v[178:179], v[8:9], v[8:9]
	v_max_f64 v[180:181], v[10:11], v[10:11]
	v_max_f64 v[168:169], v[168:169], v[168:169]
	v_max_f64 v[182:183], v[12:13], v[12:13]
	v_max_f64 v[184:185], v[14:15], v[14:15]
	v_max_f64 v[186:187], v[16:17], v[16:17]
	v_max_f64 v[188:189], v[18:19], v[18:19]
	v_max_f64 v[190:191], v[20:21], v[20:21]
	v_max_f64 v[192:193], v[22:23], v[22:23]
	v_max_f64 v[194:195], v[24:25], v[24:25]
	v_max_f64 v[196:197], v[26:27], v[26:27]
	v_max_f64 v[198:199], v[28:29], v[28:29]
	v_max_f64 v[200:201], v[30:31], v[30:31]
	v_max_f64 v[202:203], v[32:33], v[32:33]
	v_max_f64 v[204:205], v[34:35], v[34:35]
	v_max_f64 v[206:207], v[36:37], v[36:37]
	v_max_f64 v[208:209], v[38:39], v[38:39]
	v_max_f64 v[210:211], v[40:41], v[40:41]
	v_max_f64 v[212:213], v[42:43], v[42:43]
	v_max_f64 v[214:215], v[44:45], v[44:45]
	v_max_f64 v[216:217], v[46:47], v[46:47]
	v_max_f64 v[218:219], v[48:49], v[48:49]
	v_max_f64 v[220:221], v[50:51], v[50:51]
	v_max_f64 v[222:223], v[52:53], v[52:53]
	v_max_f64 v[224:225], v[54:55], v[54:55]
	v_max_f64 v[226:227], v[56:57], v[56:57]
	v_max_f64 v[228:229], v[58:59], v[58:59]
	v_max_f64 v[230:231], v[60:61], v[60:61]
	v_max_f64 v[232:233], v[62:63], v[62:63]
	s_mov_b64 s[2:3], 1
	s_and_b32 vcc_lo, exec_lo, s6
	s_mov_b32 s6, 0
	v_min_f64 v[170:171], v[170:171], v[168:169]
	v_min_f64 v[172:173], v[172:173], v[168:169]
	;; [unrolled: 1-line block ×32, first 2 shown]
	s_waitcnt vmcnt(31)
	v_add_f64 v[104:105], v[104:105], v[170:171]
	s_waitcnt vmcnt(30)
	v_add_f64 v[106:107], v[172:173], v[106:107]
	;; [unrolled: 2-line block ×32, first 2 shown]
	scratch_store_b64 v70, v[104:105], off
	scratch_store_b64 v71, v[106:107], off
	scratch_store_b64 v72, v[108:109], off
	scratch_store_b64 v73, v[110:111], off
	scratch_store_b64 v74, v[112:113], off
	scratch_store_b64 v75, v[114:115], off
	scratch_store_b64 v76, v[116:117], off
	scratch_store_b64 v77, v[118:119], off
	scratch_store_b64 v78, v[120:121], off
	scratch_store_b64 v79, v[122:123], off
	scratch_store_b64 v80, v[124:125], off
	scratch_store_b64 v81, v[126:127], off
	scratch_store_b64 v82, v[128:129], off
	scratch_store_b64 v83, v[130:131], off
	scratch_store_b64 v84, v[132:133], off
	scratch_store_b64 v85, v[134:135], off
	scratch_store_b64 v88, v[136:137], off
	scratch_store_b64 v89, v[138:139], off
	scratch_store_b64 v90, v[140:141], off
	scratch_store_b64 v91, v[142:143], off
	scratch_store_b64 v92, v[144:145], off
	scratch_store_b64 v93, v[146:147], off
	scratch_store_b64 v94, v[148:149], off
	scratch_store_b64 v95, v[150:151], off
	scratch_store_b64 v96, v[152:153], off
	scratch_store_b64 v97, v[154:155], off
	scratch_store_b64 v98, v[156:157], off
	scratch_store_b64 v99, v[158:159], off
	scratch_store_b64 v100, v[160:161], off
	scratch_store_b64 v101, v[162:163], off
	scratch_store_b64 v102, v[164:165], off
	scratch_store_b64 v103, v[166:167], off
	v_mov_b32_e32 v70, 0x100
	v_mov_b32_e32 v71, 0x108
	;; [unrolled: 1-line block ×32, first 2 shown]
	s_cbranch_vccnz .LBB135_58
; %bb.59:
	v_add_nc_u32_e32 v60, 0x800, v68
	ds_load_2addr_b64 v[0:3], v68 offset0:3 offset1:19
	ds_load_2addr_b64 v[4:7], v68 offset0:35 offset1:51
	;; [unrolled: 1-line block ×4, first 2 shown]
	v_dual_mov_b32 v71, 24 :: v_dual_add_nc_u32 v64, 24, v69
	v_mov_b32_e32 v69, 8
	ds_load_2addr_b64 v[16:19], v68 offset0:131 offset1:147
	ds_load_2addr_b64 v[20:23], v68 offset0:163 offset1:179
	;; [unrolled: 1-line block ×12, first 2 shown]
	ds_load_2addr_stride64_b64 v[64:67], v64 offset1:4
	v_dual_mov_b32 v68, 0 :: v_dual_mov_b32 v73, 40
	v_dual_mov_b32 v70, 16 :: v_dual_mov_b32 v75, 56
	;; [unrolled: 1-line block ×5, first 2 shown]
	v_mov_b32_e32 v78, 0x50
	v_mov_b32_e32 v80, 0x60
	;; [unrolled: 1-line block ×20, first 2 shown]
	s_mov_b64 s[2:3], 0
	s_mov_b32 s6, -1
.LBB135_60:                             ; =>This Inner Loop Header: Depth=1
	scratch_load_b64 v[102:103], v68, off
	scratch_load_b64 v[104:105], v69, off
	scratch_load_b64 v[106:107], v70, off
	scratch_load_b64 v[108:109], v71, off
	scratch_load_b64 v[110:111], v72, off
	scratch_load_b64 v[112:113], v73, off
	scratch_load_b64 v[114:115], v74, off
	scratch_load_b64 v[116:117], v75, off
	scratch_load_b64 v[118:119], v76, off
	scratch_load_b64 v[120:121], v77, off
	scratch_load_b64 v[122:123], v78, off
	scratch_load_b64 v[124:125], v79, off
	scratch_load_b64 v[126:127], v80, off
	scratch_load_b64 v[128:129], v81, off
	scratch_load_b64 v[130:131], v82, off
	scratch_load_b64 v[132:133], v83, off
	scratch_load_b64 v[134:135], v84, off
	scratch_load_b64 v[136:137], v85, off
	scratch_load_b64 v[138:139], v88, off
	scratch_load_b64 v[140:141], v89, off
	scratch_load_b64 v[142:143], v90, off
	scratch_load_b64 v[144:145], v91, off
	scratch_load_b64 v[146:147], v92, off
	scratch_load_b64 v[148:149], v93, off
	scratch_load_b64 v[150:151], v94, off
	scratch_load_b64 v[152:153], v95, off
	scratch_load_b64 v[154:155], v96, off
	scratch_load_b64 v[156:157], v97, off
	scratch_load_b64 v[158:159], v98, off
	scratch_load_b64 v[160:161], v99, off
	scratch_load_b64 v[162:163], v100, off
	scratch_load_b64 v[164:165], v101, off
	s_cmp_eq_u32 s2, 1
	s_waitcnt lgkmcnt(16)
	v_max_f64 v[168:169], v[0:1], v[0:1]
	s_cselect_b32 vcc_lo, -1, 0
	v_max_f64 v[170:171], v[2:3], v[2:3]
	s_waitcnt lgkmcnt(0)
	v_dual_cndmask_b32 v167, v65, v67 :: v_dual_cndmask_b32 v166, v64, v66
	v_max_f64 v[172:173], v[4:5], v[4:5]
	v_max_f64 v[174:175], v[6:7], v[6:7]
	;; [unrolled: 1-line block ×31, first 2 shown]
	s_mov_b64 s[2:3], 1
	s_and_b32 vcc_lo, exec_lo, s6
	s_mov_b32 s6, 0
	v_min_f64 v[168:169], v[168:169], v[166:167]
	v_min_f64 v[170:171], v[170:171], v[166:167]
	;; [unrolled: 1-line block ×32, first 2 shown]
	s_waitcnt vmcnt(31)
	v_add_f64 v[102:103], v[102:103], v[168:169]
	s_waitcnt vmcnt(30)
	v_add_f64 v[104:105], v[170:171], v[104:105]
	;; [unrolled: 2-line block ×32, first 2 shown]
	scratch_store_b64 v68, v[102:103], off
	scratch_store_b64 v69, v[104:105], off
	scratch_store_b64 v70, v[106:107], off
	scratch_store_b64 v71, v[108:109], off
	scratch_store_b64 v72, v[110:111], off
	scratch_store_b64 v73, v[112:113], off
	scratch_store_b64 v74, v[114:115], off
	scratch_store_b64 v75, v[116:117], off
	scratch_store_b64 v76, v[118:119], off
	scratch_store_b64 v77, v[120:121], off
	scratch_store_b64 v78, v[122:123], off
	scratch_store_b64 v79, v[124:125], off
	scratch_store_b64 v80, v[126:127], off
	scratch_store_b64 v81, v[128:129], off
	scratch_store_b64 v82, v[130:131], off
	scratch_store_b64 v83, v[132:133], off
	scratch_store_b64 v84, v[134:135], off
	scratch_store_b64 v85, v[136:137], off
	scratch_store_b64 v88, v[138:139], off
	scratch_store_b64 v89, v[140:141], off
	scratch_store_b64 v90, v[142:143], off
	scratch_store_b64 v91, v[144:145], off
	scratch_store_b64 v92, v[146:147], off
	scratch_store_b64 v93, v[148:149], off
	scratch_store_b64 v94, v[150:151], off
	scratch_store_b64 v95, v[152:153], off
	scratch_store_b64 v96, v[154:155], off
	scratch_store_b64 v97, v[156:157], off
	scratch_store_b64 v98, v[158:159], off
	scratch_store_b64 v99, v[160:161], off
	scratch_store_b64 v100, v[162:163], off
	scratch_store_b64 v101, v[164:165], off
	v_mov_b32_e32 v68, 0x100
	v_mov_b32_e32 v69, 0x108
	;; [unrolled: 1-line block ×32, first 2 shown]
	s_cbranch_vccnz .LBB135_60
; %bb.61:
	scratch_load_b64 v[2:3], off, off
	s_load_b32 s3, s[0:1], 0x58
	v_dual_mov_b32 v4, 0 :: v_dual_add_nc_u32 v71, s15, v87
	v_dual_mov_b32 v5, 0 :: v_dual_add_nc_u32 v16, s14, v86
	v_mov_b32_e32 v8, 0
	v_mov_b32_e32 v9, 0
	s_and_b32 s2, exec_lo, s18
	s_delay_alu instid0(VALU_DEP_3) | instskip(SKIP_2) | instid1(VALU_DEP_1)
	v_ashrrev_i32_e32 v17, 31, v16
	s_waitcnt lgkmcnt(0)
	v_mad_i64_i32 v[0:1], null, v71, s3, 0
	v_lshlrev_b64 v[0:1], 3, v[0:1]
	s_delay_alu instid0(VALU_DEP_1) | instskip(NEXT) | instid1(VALU_DEP_2)
	v_add_co_u32 v72, vcc_lo, s8, v0
	v_add_co_ci_u32_e32 v73, vcc_lo, s9, v1, vcc_lo
	v_lshlrev_b64 v[0:1], 3, v[16:17]
	s_mov_b32 vcc_lo, s2
	s_cbranch_vccz .LBB135_63
; %bb.62:
	s_delay_alu instid0(VALU_DEP_1) | instskip(NEXT) | instid1(VALU_DEP_2)
	v_add_co_u32 v6, vcc_lo, v72, v0
	v_add_co_ci_u32_e32 v7, vcc_lo, v73, v1, vcc_lo
	flat_load_b64 v[6:7], v[6:7]
	s_waitcnt vmcnt(0) lgkmcnt(0)
	v_mul_f64 v[8:9], s[10:11], v[6:7]
.LBB135_63:
	scratch_load_b64 v[6:7], off, off offset:8
	s_clause 0x1
	s_load_b32 s6, s[0:1], 0x70
	s_load_b64 s[0:1], s[0:1], 0x78
	s_waitcnt vmcnt(1)
	v_add_f64 v[8:9], v[2:3], v[8:9]
	v_add_nc_u32_e32 v10, 4, v16
	v_cndmask_b32_e64 v12, 0, 1, s18
	s_delay_alu instid0(VALU_DEP_2)
	v_ashrrev_i32_e32 v11, 31, v10
	s_waitcnt lgkmcnt(0)
	v_mad_i64_i32 v[2:3], null, v71, s6, 0
	s_lshl_b64 s[12:13], s[0:1], 3
	v_cmp_ne_u32_e64 s0, 1, v12
	s_add_u32 s1, s4, s12
	s_addc_u32 s4, s5, s13
	s_delay_alu instid0(VALU_DEP_2) | instskip(NEXT) | instid1(VALU_DEP_1)
	v_lshlrev_b64 v[2:3], 3, v[2:3]
	v_add_co_u32 v74, vcc_lo, s1, v2
	s_delay_alu instid0(VALU_DEP_2) | instskip(SKIP_1) | instid1(VALU_DEP_3)
	v_add_co_ci_u32_e32 v75, vcc_lo, s4, v3, vcc_lo
	v_lshlrev_b64 v[2:3], 3, v[10:11]
	v_add_co_u32 v12, vcc_lo, v74, v0
	s_delay_alu instid0(VALU_DEP_3)
	v_add_co_ci_u32_e32 v13, vcc_lo, v75, v1, vcc_lo
	s_and_not1_b32 vcc_lo, exec_lo, s18
	global_store_b64 v[12:13], v[8:9], off
	s_cbranch_vccnz .LBB135_65
; %bb.64:
	v_add_co_u32 v4, vcc_lo, v72, v2
	v_add_co_ci_u32_e32 v5, vcc_lo, v73, v3, vcc_lo
	flat_load_b64 v[4:5], v[4:5]
	s_waitcnt vmcnt(0) lgkmcnt(0)
	v_mul_f64 v[4:5], s[10:11], v[4:5]
.LBB135_65:
	scratch_load_b64 v[10:11], off, off offset:16
	s_waitcnt vmcnt(1)
	v_add_f64 v[12:13], v[6:7], v[4:5]
	v_add_nc_u32_e32 v4, 8, v16
	v_mov_b32_e32 v8, 0
	v_mov_b32_e32 v9, 0
	v_add_co_u32 v14, vcc_lo, v74, v2
	s_delay_alu instid0(VALU_DEP_4) | instskip(SKIP_3) | instid1(VALU_DEP_4)
	v_ashrrev_i32_e32 v5, 31, v4
	v_mov_b32_e32 v6, 0
	v_mov_b32_e32 v7, 0
	v_add_co_ci_u32_e32 v15, vcc_lo, v75, v3, vcc_lo
	v_lshlrev_b64 v[4:5], 3, v[4:5]
	s_and_b32 vcc_lo, exec_lo, s0
	global_store_b64 v[14:15], v[12:13], off
	s_cbranch_vccnz .LBB135_67
; %bb.66:
	v_add_co_u32 v6, vcc_lo, v72, v4
	v_add_co_ci_u32_e32 v7, vcc_lo, v73, v5, vcc_lo
	flat_load_b64 v[6:7], v[6:7]
	s_waitcnt vmcnt(0) lgkmcnt(0)
	v_mul_f64 v[6:7], s[10:11], v[6:7]
.LBB135_67:
	scratch_load_b64 v[12:13], off, off offset:24
	s_waitcnt vmcnt(1)
	v_add_f64 v[10:11], v[10:11], v[6:7]
	v_add_nc_u32_e32 v6, 12, v16
	v_add_co_u32 v14, vcc_lo, v74, v4
	v_add_co_ci_u32_e32 v15, vcc_lo, v75, v5, vcc_lo
	s_delay_alu instid0(VALU_DEP_3) | instskip(SKIP_1) | instid1(VALU_DEP_1)
	v_ashrrev_i32_e32 v7, 31, v6
	s_and_b32 vcc_lo, exec_lo, s0
	v_lshlrev_b64 v[6:7], 3, v[6:7]
	global_store_b64 v[14:15], v[10:11], off
	s_cbranch_vccnz .LBB135_69
; %bb.68:
	v_add_co_u32 v8, vcc_lo, v72, v6
	v_add_co_ci_u32_e32 v9, vcc_lo, v73, v7, vcc_lo
	flat_load_b64 v[8:9], v[8:9]
	s_waitcnt vmcnt(0) lgkmcnt(0)
	v_mul_f64 v[8:9], s[10:11], v[8:9]
.LBB135_69:
	scratch_load_b64 v[10:11], off, off offset:32
	s_waitcnt vmcnt(1)
	v_add_f64 v[17:18], v[12:13], v[8:9]
	v_add_nc_u32_e32 v8, 16, v16
	v_mov_b32_e32 v12, 0
	v_mov_b32_e32 v13, 0
	v_add_co_u32 v19, vcc_lo, v74, v6
	s_delay_alu instid0(VALU_DEP_4) | instskip(SKIP_3) | instid1(VALU_DEP_4)
	v_ashrrev_i32_e32 v9, 31, v8
	v_mov_b32_e32 v14, 0
	v_mov_b32_e32 v15, 0
	v_add_co_ci_u32_e32 v20, vcc_lo, v75, v7, vcc_lo
	v_lshlrev_b64 v[8:9], 3, v[8:9]
	s_and_b32 vcc_lo, exec_lo, s0
	global_store_b64 v[19:20], v[17:18], off
	s_cbranch_vccnz .LBB135_71
; %bb.70:
	v_add_co_u32 v14, vcc_lo, v72, v8
	v_add_co_ci_u32_e32 v15, vcc_lo, v73, v9, vcc_lo
	flat_load_b64 v[14:15], v[14:15]
	s_waitcnt vmcnt(0) lgkmcnt(0)
	v_mul_f64 v[14:15], s[10:11], v[14:15]
.LBB135_71:
	scratch_load_b64 v[17:18], off, off offset:40
	s_waitcnt vmcnt(1)
	v_add_f64 v[14:15], v[10:11], v[14:15]
	v_add_nc_u32_e32 v10, 20, v16
	v_add_co_u32 v19, vcc_lo, v74, v8
	v_add_co_ci_u32_e32 v20, vcc_lo, v75, v9, vcc_lo
	s_delay_alu instid0(VALU_DEP_3) | instskip(SKIP_1) | instid1(VALU_DEP_1)
	v_ashrrev_i32_e32 v11, 31, v10
	s_and_b32 vcc_lo, exec_lo, s0
	v_lshlrev_b64 v[10:11], 3, v[10:11]
	global_store_b64 v[19:20], v[14:15], off
	s_cbranch_vccnz .LBB135_73
; %bb.72:
	v_add_co_u32 v12, vcc_lo, v72, v10
	v_add_co_ci_u32_e32 v13, vcc_lo, v73, v11, vcc_lo
	flat_load_b64 v[12:13], v[12:13]
	s_waitcnt vmcnt(0) lgkmcnt(0)
	v_mul_f64 v[12:13], s[10:11], v[12:13]
.LBB135_73:
	scratch_load_b64 v[14:15], off, off offset:48
	s_waitcnt vmcnt(1)
	v_add_f64 v[21:22], v[17:18], v[12:13]
	v_dual_mov_b32 v17, 0 :: v_dual_add_nc_u32 v12, 24, v16
	v_add_co_u32 v23, vcc_lo, v74, v10
	v_dual_mov_b32 v18, 0 :: v_dual_mov_b32 v19, 0
	s_delay_alu instid0(VALU_DEP_3) | instskip(SKIP_3) | instid1(VALU_DEP_3)
	v_ashrrev_i32_e32 v13, 31, v12
	v_add_co_ci_u32_e32 v24, vcc_lo, v75, v11, vcc_lo
	v_mov_b32_e32 v20, 0
	s_and_b32 vcc_lo, exec_lo, s0
	v_lshlrev_b64 v[12:13], 3, v[12:13]
	global_store_b64 v[23:24], v[21:22], off
	s_cbranch_vccnz .LBB135_75
; %bb.74:
	v_add_co_u32 v19, vcc_lo, v72, v12
	v_add_co_ci_u32_e32 v20, vcc_lo, v73, v13, vcc_lo
	flat_load_b64 v[19:20], v[19:20]
	s_waitcnt vmcnt(0) lgkmcnt(0)
	v_mul_f64 v[19:20], s[10:11], v[19:20]
.LBB135_75:
	scratch_load_b64 v[21:22], off, off offset:56
	s_waitcnt vmcnt(1)
	v_add_f64 v[19:20], v[14:15], v[19:20]
	v_add_nc_u32_e32 v14, 28, v16
	v_add_co_u32 v23, vcc_lo, v74, v12
	v_add_co_ci_u32_e32 v24, vcc_lo, v75, v13, vcc_lo
	s_delay_alu instid0(VALU_DEP_3) | instskip(SKIP_1) | instid1(VALU_DEP_1)
	v_ashrrev_i32_e32 v15, 31, v14
	s_and_b32 vcc_lo, exec_lo, s0
	v_lshlrev_b64 v[14:15], 3, v[14:15]
	global_store_b64 v[23:24], v[19:20], off
	s_cbranch_vccnz .LBB135_77
; %bb.76:
	v_add_co_u32 v17, vcc_lo, v72, v14
	v_add_co_ci_u32_e32 v18, vcc_lo, v73, v15, vcc_lo
	flat_load_b64 v[17:18], v[17:18]
	s_waitcnt vmcnt(0) lgkmcnt(0)
	v_mul_f64 v[17:18], s[10:11], v[17:18]
.LBB135_77:
	scratch_load_b64 v[19:20], off, off offset:64
	s_waitcnt vmcnt(1)
	v_add_f64 v[25:26], v[21:22], v[17:18]
	v_add_nc_u32_e32 v17, 32, v16
	v_mov_b32_e32 v21, 0
	v_mov_b32_e32 v22, 0
	v_add_co_u32 v27, vcc_lo, v74, v14
	s_delay_alu instid0(VALU_DEP_4) | instskip(SKIP_3) | instid1(VALU_DEP_4)
	v_ashrrev_i32_e32 v18, 31, v17
	v_mov_b32_e32 v23, 0
	v_mov_b32_e32 v24, 0
	v_add_co_ci_u32_e32 v28, vcc_lo, v75, v15, vcc_lo
	v_lshlrev_b64 v[17:18], 3, v[17:18]
	s_and_b32 vcc_lo, exec_lo, s0
	global_store_b64 v[27:28], v[25:26], off
	s_cbranch_vccnz .LBB135_79
; %bb.78:
	v_add_co_u32 v23, vcc_lo, v72, v17
	v_add_co_ci_u32_e32 v24, vcc_lo, v73, v18, vcc_lo
	flat_load_b64 v[23:24], v[23:24]
	s_waitcnt vmcnt(0) lgkmcnt(0)
	v_mul_f64 v[23:24], s[10:11], v[23:24]
.LBB135_79:
	scratch_load_b64 v[25:26], off, off offset:72
	s_waitcnt vmcnt(1)
	v_add_f64 v[23:24], v[19:20], v[23:24]
	v_add_nc_u32_e32 v19, 36, v16
	v_add_co_u32 v27, vcc_lo, v74, v17
	v_add_co_ci_u32_e32 v28, vcc_lo, v75, v18, vcc_lo
	s_delay_alu instid0(VALU_DEP_3) | instskip(SKIP_1) | instid1(VALU_DEP_1)
	v_ashrrev_i32_e32 v20, 31, v19
	s_and_b32 vcc_lo, exec_lo, s0
	v_lshlrev_b64 v[19:20], 3, v[19:20]
	global_store_b64 v[27:28], v[23:24], off
	s_cbranch_vccnz .LBB135_81
; %bb.80:
	v_add_co_u32 v21, vcc_lo, v72, v19
	v_add_co_ci_u32_e32 v22, vcc_lo, v73, v20, vcc_lo
	flat_load_b64 v[21:22], v[21:22]
	s_waitcnt vmcnt(0) lgkmcnt(0)
	v_mul_f64 v[21:22], s[10:11], v[21:22]
.LBB135_81:
	scratch_load_b64 v[23:24], off, off offset:80
	s_waitcnt vmcnt(1)
	v_add_f64 v[29:30], v[25:26], v[21:22]
	v_add_nc_u32_e32 v21, 40, v16
	v_mov_b32_e32 v25, 0
	v_mov_b32_e32 v26, 0
	v_add_co_u32 v31, vcc_lo, v74, v19
	s_delay_alu instid0(VALU_DEP_4) | instskip(SKIP_3) | instid1(VALU_DEP_4)
	v_ashrrev_i32_e32 v22, 31, v21
	v_mov_b32_e32 v27, 0
	v_mov_b32_e32 v28, 0
	v_add_co_ci_u32_e32 v32, vcc_lo, v75, v20, vcc_lo
	v_lshlrev_b64 v[21:22], 3, v[21:22]
	s_and_b32 vcc_lo, exec_lo, s0
	;; [unrolled: 42-line block ×12, first 2 shown]
	global_store_b64 v[76:77], v[67:68], off
	s_cbranch_vccnz .LBB135_123
; %bb.122:
	v_add_co_u32 v67, vcc_lo, v72, v61
	v_add_co_ci_u32_e32 v68, vcc_lo, v73, v62, vcc_lo
	flat_load_b64 v[67:68], v[67:68]
	s_waitcnt vmcnt(0) lgkmcnt(0)
	v_mul_f64 v[69:70], s[10:11], v[67:68]
.LBB135_123:
	scratch_load_b64 v[67:68], off, off offset:248
	s_waitcnt vmcnt(1)
	v_add_f64 v[69:70], v[63:64], v[69:70]
	v_add_nc_u32_e32 v63, 0x7c, v16
	v_add_co_u32 v76, vcc_lo, v74, v61
	v_add_co_ci_u32_e32 v77, vcc_lo, v75, v62, vcc_lo
	s_delay_alu instid0(VALU_DEP_3) | instskip(SKIP_1) | instid1(VALU_DEP_1)
	v_ashrrev_i32_e32 v64, 31, v63
	s_and_b32 vcc_lo, exec_lo, s0
	v_lshlrev_b64 v[63:64], 3, v[63:64]
	global_store_b64 v[76:77], v[69:70], off
	s_cbranch_vccnz .LBB135_125
; %bb.124:
	v_add_co_u32 v65, vcc_lo, v72, v63
	v_add_co_ci_u32_e32 v66, vcc_lo, v73, v64, vcc_lo
	flat_load_b64 v[65:66], v[65:66]
	s_waitcnt vmcnt(0) lgkmcnt(0)
	v_mul_f64 v[65:66], s[10:11], v[65:66]
.LBB135_125:
	scratch_load_b64 v[69:70], off, off offset:256
	s_waitcnt vmcnt(1)
	v_add_f64 v[67:68], v[67:68], v[65:66]
	v_add_nc_u32_e32 v76, 64, v71
	v_add_co_u32 v74, vcc_lo, v74, v63
	v_add_co_ci_u32_e32 v75, vcc_lo, v75, v64, vcc_lo
	s_delay_alu instid0(VALU_DEP_3) | instskip(SKIP_2) | instid1(VALU_DEP_3)
	v_mad_i64_i32 v[65:66], null, v76, s3, 0
	v_mov_b32_e32 v71, 0
	v_mov_b32_e32 v72, 0
	v_lshlrev_b64 v[77:78], 3, v[65:66]
	v_mov_b32_e32 v65, 0
	v_mov_b32_e32 v66, 0
	s_delay_alu instid0(VALU_DEP_3) | instskip(NEXT) | instid1(VALU_DEP_4)
	v_add_co_u32 v16, vcc_lo, s8, v77
	v_add_co_ci_u32_e32 v73, vcc_lo, s9, v78, vcc_lo
	s_mov_b32 vcc_lo, s2
	global_store_b64 v[74:75], v[67:68], off
	s_cbranch_vccz .LBB135_127
; %bb.126:
	v_add_co_u32 v67, vcc_lo, v16, v0
	v_add_co_ci_u32_e32 v68, vcc_lo, v73, v1, vcc_lo
	flat_load_b64 v[67:68], v[67:68]
	s_waitcnt vmcnt(0) lgkmcnt(0)
	v_mul_f64 v[71:72], s[10:11], v[67:68]
.LBB135_127:
	scratch_load_b64 v[67:68], off, off offset:264
	s_waitcnt vmcnt(1)
	v_add_f64 v[69:70], v[69:70], v[71:72]
	v_mad_i64_i32 v[71:72], null, v76, s6, 0
	s_delay_alu instid0(VALU_DEP_1) | instskip(NEXT) | instid1(VALU_DEP_1)
	v_lshlrev_b64 v[71:72], 3, v[71:72]
	v_add_co_u32 v71, vcc_lo, s1, v71
	s_delay_alu instid0(VALU_DEP_2) | instskip(NEXT) | instid1(VALU_DEP_2)
	v_add_co_ci_u32_e32 v72, vcc_lo, s4, v72, vcc_lo
	v_add_co_u32 v0, vcc_lo, v71, v0
	s_delay_alu instid0(VALU_DEP_2)
	v_add_co_ci_u32_e32 v1, vcc_lo, v72, v1, vcc_lo
	s_and_b32 vcc_lo, exec_lo, s0
	global_store_b64 v[0:1], v[69:70], off
	s_cbranch_vccnz .LBB135_129
; %bb.128:
	v_add_co_u32 v0, vcc_lo, v16, v2
	v_add_co_ci_u32_e32 v1, vcc_lo, v73, v3, vcc_lo
	flat_load_b64 v[0:1], v[0:1]
	s_waitcnt vmcnt(0) lgkmcnt(0)
	v_mul_f64 v[65:66], s[10:11], v[0:1]
.LBB135_129:
	scratch_load_b64 v[69:70], off, off offset:272
	s_waitcnt vmcnt(1)
	v_add_f64 v[65:66], v[67:68], v[65:66]
	v_add_co_u32 v67, vcc_lo, v71, v2
	v_mov_b32_e32 v0, 0
	v_add_co_ci_u32_e32 v68, vcc_lo, v72, v3, vcc_lo
	v_dual_mov_b32 v1, 0 :: v_dual_mov_b32 v2, 0
	v_mov_b32_e32 v3, 0
	s_and_b32 vcc_lo, exec_lo, s0
	global_store_b64 v[67:68], v[65:66], off
	s_cbranch_vccnz .LBB135_131
; %bb.130:
	v_add_co_u32 v2, vcc_lo, v16, v4
	v_add_co_ci_u32_e32 v3, vcc_lo, v73, v5, vcc_lo
	flat_load_b64 v[2:3], v[2:3]
	s_waitcnt vmcnt(0) lgkmcnt(0)
	v_mul_f64 v[2:3], s[10:11], v[2:3]
.LBB135_131:
	scratch_load_b64 v[65:66], off, off offset:280
	s_waitcnt vmcnt(1)
	v_add_f64 v[2:3], v[69:70], v[2:3]
	v_add_co_u32 v4, vcc_lo, v71, v4
	v_add_co_ci_u32_e32 v5, vcc_lo, v72, v5, vcc_lo
	s_and_b32 vcc_lo, exec_lo, s0
	global_store_b64 v[4:5], v[2:3], off
	s_cbranch_vccnz .LBB135_133
; %bb.132:
	v_add_co_u32 v0, vcc_lo, v16, v6
	v_add_co_ci_u32_e32 v1, vcc_lo, v73, v7, vcc_lo
	flat_load_b64 v[0:1], v[0:1]
	s_waitcnt vmcnt(0) lgkmcnt(0)
	v_mul_f64 v[0:1], s[10:11], v[0:1]
.LBB135_133:
	scratch_load_b64 v[2:3], off, off offset:288
	s_waitcnt vmcnt(1)
	v_add_f64 v[4:5], v[65:66], v[0:1]
	v_add_co_u32 v65, vcc_lo, v71, v6
	v_mov_b32_e32 v0, 0
	v_add_co_ci_u32_e32 v66, vcc_lo, v72, v7, vcc_lo
	v_dual_mov_b32 v1, 0 :: v_dual_mov_b32 v6, 0
	v_mov_b32_e32 v7, 0
	s_and_b32 vcc_lo, exec_lo, s0
	global_store_b64 v[65:66], v[4:5], off
	s_cbranch_vccnz .LBB135_135
; %bb.134:
	v_add_co_u32 v4, vcc_lo, v16, v8
	v_add_co_ci_u32_e32 v5, vcc_lo, v73, v9, vcc_lo
	flat_load_b64 v[4:5], v[4:5]
	s_waitcnt vmcnt(0) lgkmcnt(0)
	v_mul_f64 v[6:7], s[10:11], v[4:5]
.LBB135_135:
	scratch_load_b64 v[4:5], off, off offset:296
	s_waitcnt vmcnt(1)
	v_add_f64 v[2:3], v[2:3], v[6:7]
	v_add_co_u32 v6, vcc_lo, v71, v8
	v_add_co_ci_u32_e32 v7, vcc_lo, v72, v9, vcc_lo
	s_and_b32 vcc_lo, exec_lo, s0
	global_store_b64 v[6:7], v[2:3], off
	s_cbranch_vccnz .LBB135_137
; %bb.136:
	v_add_co_u32 v0, vcc_lo, v16, v10
	v_add_co_ci_u32_e32 v1, vcc_lo, v73, v11, vcc_lo
	flat_load_b64 v[0:1], v[0:1]
	s_waitcnt vmcnt(0) lgkmcnt(0)
	v_mul_f64 v[0:1], s[10:11], v[0:1]
.LBB135_137:
	scratch_load_b64 v[2:3], off, off offset:304
	s_waitcnt vmcnt(1)
	v_add_f64 v[4:5], v[4:5], v[0:1]
	v_add_co_u32 v8, vcc_lo, v71, v10
	v_mov_b32_e32 v0, 0
	v_dual_mov_b32 v1, 0 :: v_dual_mov_b32 v6, 0
	v_add_co_ci_u32_e32 v9, vcc_lo, v72, v11, vcc_lo
	v_mov_b32_e32 v7, 0
	s_and_b32 vcc_lo, exec_lo, s0
	global_store_b64 v[8:9], v[4:5], off
	s_cbranch_vccnz .LBB135_139
; %bb.138:
	v_add_co_u32 v4, vcc_lo, v16, v12
	v_add_co_ci_u32_e32 v5, vcc_lo, v73, v13, vcc_lo
	flat_load_b64 v[4:5], v[4:5]
	s_waitcnt vmcnt(0) lgkmcnt(0)
	v_mul_f64 v[6:7], s[10:11], v[4:5]
.LBB135_139:
	scratch_load_b64 v[4:5], off, off offset:312
	s_waitcnt vmcnt(1)
	v_add_f64 v[2:3], v[2:3], v[6:7]
	v_add_co_u32 v6, vcc_lo, v71, v12
	v_add_co_ci_u32_e32 v7, vcc_lo, v72, v13, vcc_lo
	s_and_b32 vcc_lo, exec_lo, s0
	global_store_b64 v[6:7], v[2:3], off
	s_cbranch_vccnz .LBB135_141
; %bb.140:
	v_add_co_u32 v0, vcc_lo, v16, v14
	v_add_co_ci_u32_e32 v1, vcc_lo, v73, v15, vcc_lo
	flat_load_b64 v[0:1], v[0:1]
	s_waitcnt vmcnt(0) lgkmcnt(0)
	v_mul_f64 v[0:1], s[10:11], v[0:1]
.LBB135_141:
	scratch_load_b64 v[2:3], off, off offset:320
	s_waitcnt vmcnt(1)
	v_add_f64 v[4:5], v[4:5], v[0:1]
	v_add_co_u32 v8, vcc_lo, v71, v14
	v_mov_b32_e32 v0, 0
	v_dual_mov_b32 v1, 0 :: v_dual_mov_b32 v6, 0
	v_add_co_ci_u32_e32 v9, vcc_lo, v72, v15, vcc_lo
	;; [unrolled: 33-line block ×13, first 2 shown]
	v_mov_b32_e32 v7, 0
	s_and_b32 vcc_lo, exec_lo, s0
	global_store_b64 v[8:9], v[4:5], off
	s_cbranch_vccnz .LBB135_187
; %bb.186:
	v_add_co_u32 v4, vcc_lo, v16, v61
	v_add_co_ci_u32_e32 v5, vcc_lo, v73, v62, vcc_lo
	flat_load_b64 v[4:5], v[4:5]
	s_waitcnt vmcnt(0) lgkmcnt(0)
	v_mul_f64 v[6:7], s[10:11], v[4:5]
.LBB135_187:
	scratch_load_b64 v[4:5], off, off offset:504
	s_waitcnt vmcnt(1)
	v_add_f64 v[2:3], v[2:3], v[6:7]
	v_add_co_u32 v6, vcc_lo, v71, v61
	v_add_co_ci_u32_e32 v7, vcc_lo, v72, v62, vcc_lo
	s_and_b32 vcc_lo, exec_lo, s0
	global_store_b64 v[6:7], v[2:3], off
	s_cbranch_vccnz .LBB135_189
; %bb.188:
	v_add_co_u32 v0, vcc_lo, v16, v63
	v_add_co_ci_u32_e32 v1, vcc_lo, v73, v64, vcc_lo
	flat_load_b64 v[0:1], v[0:1]
	s_waitcnt vmcnt(0) lgkmcnt(0)
	v_mul_f64 v[0:1], s[10:11], v[0:1]
.LBB135_189:
	s_waitcnt vmcnt(0)
	s_delay_alu instid0(VALU_DEP_1)
	v_add_f64 v[0:1], v[4:5], v[0:1]
	v_add_co_u32 v2, vcc_lo, v71, v63
	v_add_co_ci_u32_e32 v3, vcc_lo, v72, v64, vcc_lo
	global_store_b64 v[2:3], v[0:1], off
	s_endpgm
	.section	.rodata,"a",@progbits
	.p2align	6, 0x0
	.amdhsa_kernel _ZN12_GLOBAL__N_120geam_min_plus_kernelIdddLi4ELi64ELi128ELi128ELi4ELi4ELi64ELi4ELi64ELc84ELc78ELb0ELb0ELb0EPKdKS2_KPdEEviiiT16_PT17_ilS8_ilS6_S8_ilPT18_ili26rocblas_geam_ex_operation_
		.amdhsa_group_segment_fixed_size 16384
		.amdhsa_private_segment_fixed_size 528
		.amdhsa_kernarg_size 136
		.amdhsa_user_sgpr_count 14
		.amdhsa_user_sgpr_dispatch_ptr 0
		.amdhsa_user_sgpr_queue_ptr 0
		.amdhsa_user_sgpr_kernarg_segment_ptr 1
		.amdhsa_user_sgpr_dispatch_id 0
		.amdhsa_user_sgpr_private_segment_size 0
		.amdhsa_wavefront_size32 1
		.amdhsa_uses_dynamic_stack 0
		.amdhsa_enable_private_segment 1
		.amdhsa_system_sgpr_workgroup_id_x 1
		.amdhsa_system_sgpr_workgroup_id_y 0
		.amdhsa_system_sgpr_workgroup_id_z 1
		.amdhsa_system_sgpr_workgroup_info 0
		.amdhsa_system_vgpr_workitem_id 1
		.amdhsa_next_free_vgpr 250
		.amdhsa_next_free_sgpr 27
		.amdhsa_reserve_vcc 1
		.amdhsa_float_round_mode_32 0
		.amdhsa_float_round_mode_16_64 0
		.amdhsa_float_denorm_mode_32 3
		.amdhsa_float_denorm_mode_16_64 3
		.amdhsa_dx10_clamp 1
		.amdhsa_ieee_mode 1
		.amdhsa_fp16_overflow 0
		.amdhsa_workgroup_processor_mode 1
		.amdhsa_memory_ordered 1
		.amdhsa_forward_progress 0
		.amdhsa_shared_vgpr_count 0
		.amdhsa_exception_fp_ieee_invalid_op 0
		.amdhsa_exception_fp_denorm_src 0
		.amdhsa_exception_fp_ieee_div_zero 0
		.amdhsa_exception_fp_ieee_overflow 0
		.amdhsa_exception_fp_ieee_underflow 0
		.amdhsa_exception_fp_ieee_inexact 0
		.amdhsa_exception_int_div_zero 0
	.end_amdhsa_kernel
	.section	.text._ZN12_GLOBAL__N_120geam_min_plus_kernelIdddLi4ELi64ELi128ELi128ELi4ELi4ELi64ELi4ELi64ELc84ELc78ELb0ELb0ELb0EPKdKS2_KPdEEviiiT16_PT17_ilS8_ilS6_S8_ilPT18_ili26rocblas_geam_ex_operation_,"axG",@progbits,_ZN12_GLOBAL__N_120geam_min_plus_kernelIdddLi4ELi64ELi128ELi128ELi4ELi4ELi64ELi4ELi64ELc84ELc78ELb0ELb0ELb0EPKdKS2_KPdEEviiiT16_PT17_ilS8_ilS6_S8_ilPT18_ili26rocblas_geam_ex_operation_,comdat
.Lfunc_end135:
	.size	_ZN12_GLOBAL__N_120geam_min_plus_kernelIdddLi4ELi64ELi128ELi128ELi4ELi4ELi64ELi4ELi64ELc84ELc78ELb0ELb0ELb0EPKdKS2_KPdEEviiiT16_PT17_ilS8_ilS6_S8_ilPT18_ili26rocblas_geam_ex_operation_, .Lfunc_end135-_ZN12_GLOBAL__N_120geam_min_plus_kernelIdddLi4ELi64ELi128ELi128ELi4ELi4ELi64ELi4ELi64ELc84ELc78ELb0ELb0ELb0EPKdKS2_KPdEEviiiT16_PT17_ilS8_ilS6_S8_ilPT18_ili26rocblas_geam_ex_operation_
                                        ; -- End function
	.section	.AMDGPU.csdata,"",@progbits
; Kernel info:
; codeLenInByte = 43624
; NumSgprs: 29
; NumVgprs: 250
; ScratchSize: 528
; MemoryBound: 1
; FloatMode: 240
; IeeeMode: 1
; LDSByteSize: 16384 bytes/workgroup (compile time only)
; SGPRBlocks: 3
; VGPRBlocks: 31
; NumSGPRsForWavesPerEU: 29
; NumVGPRsForWavesPerEU: 250
; Occupancy: 5
; WaveLimiterHint : 1
; COMPUTE_PGM_RSRC2:SCRATCH_EN: 1
; COMPUTE_PGM_RSRC2:USER_SGPR: 14
; COMPUTE_PGM_RSRC2:TRAP_HANDLER: 0
; COMPUTE_PGM_RSRC2:TGID_X_EN: 1
; COMPUTE_PGM_RSRC2:TGID_Y_EN: 0
; COMPUTE_PGM_RSRC2:TGID_Z_EN: 1
; COMPUTE_PGM_RSRC2:TIDIG_COMP_CNT: 1
	.section	.text._ZN12_GLOBAL__N_120geam_min_plus_kernelIdddLi4ELi64ELi128ELi128ELi4ELi4ELi64ELi4ELi64ELc84ELc78ELb1ELb0ELb0EdKPKdKPdEEviiiT16_PT17_ilS8_ilS6_S8_ilPT18_ili26rocblas_geam_ex_operation_,"axG",@progbits,_ZN12_GLOBAL__N_120geam_min_plus_kernelIdddLi4ELi64ELi128ELi128ELi4ELi4ELi64ELi4ELi64ELc84ELc78ELb1ELb0ELb0EdKPKdKPdEEviiiT16_PT17_ilS8_ilS6_S8_ilPT18_ili26rocblas_geam_ex_operation_,comdat
	.globl	_ZN12_GLOBAL__N_120geam_min_plus_kernelIdddLi4ELi64ELi128ELi128ELi4ELi4ELi64ELi4ELi64ELc84ELc78ELb1ELb0ELb0EdKPKdKPdEEviiiT16_PT17_ilS8_ilS6_S8_ilPT18_ili26rocblas_geam_ex_operation_ ; -- Begin function _ZN12_GLOBAL__N_120geam_min_plus_kernelIdddLi4ELi64ELi128ELi128ELi4ELi4ELi64ELi4ELi64ELc84ELc78ELb1ELb0ELb0EdKPKdKPdEEviiiT16_PT17_ilS8_ilS6_S8_ilPT18_ili26rocblas_geam_ex_operation_
	.p2align	8
	.type	_ZN12_GLOBAL__N_120geam_min_plus_kernelIdddLi4ELi64ELi128ELi128ELi4ELi4ELi64ELi4ELi64ELc84ELc78ELb1ELb0ELb0EdKPKdKPdEEviiiT16_PT17_ilS8_ilS6_S8_ilPT18_ili26rocblas_geam_ex_operation_,@function
_ZN12_GLOBAL__N_120geam_min_plus_kernelIdddLi4ELi64ELi128ELi128ELi4ELi4ELi64ELi4ELi64ELc84ELc78ELb1ELb0ELb0EdKPKdKPdEEviiiT16_PT17_ilS8_ilS6_S8_ilPT18_ili26rocblas_geam_ex_operation_: ; @_ZN12_GLOBAL__N_120geam_min_plus_kernelIdddLi4ELi64ELi128ELi128ELi4ELi4ELi64ELi4ELi64ELc84ELc78ELb1ELb0ELb0EdKPKdKPdEEviiiT16_PT17_ilS8_ilS6_S8_ilPT18_ili26rocblas_geam_ex_operation_
; %bb.0:
	s_clause 0x1
	s_load_b128 s[4:7], s[0:1], 0x10
	s_load_b128 s[8:11], s[0:1], 0x28
	s_mov_b32 s18, s15
	s_mov_b64 s[2:3], 0
	s_waitcnt lgkmcnt(0)
	v_cmp_eq_f64_e64 s12, s[4:5], 0
	s_delay_alu instid0(VALU_DEP_1)
	s_and_b32 vcc_lo, exec_lo, s12
	s_cbranch_vccnz .LBB136_2
; %bb.1:
	s_mov_b32 s19, 0
	s_delay_alu instid0(SALU_CYCLE_1) | instskip(NEXT) | instid1(SALU_CYCLE_1)
	s_lshl_b64 s[2:3], s[18:19], 3
	s_add_u32 s2, s6, s2
	s_addc_u32 s3, s7, s3
	s_lshl_b64 s[4:5], s[8:9], 3
	s_load_b64 s[2:3], s[2:3], 0x0
	s_waitcnt lgkmcnt(0)
	s_add_u32 s2, s2, s4
	s_addc_u32 s3, s3, s5
.LBB136_2:
	s_clause 0x1
	s_load_b128 s[4:7], s[0:1], 0x40
	s_load_b64 s[20:21], s[0:1], 0x50
	s_and_not1_b32 vcc_lo, exec_lo, s12
	s_cbranch_vccnz .LBB136_4
; %bb.3:
	s_mov_b32 s19, 0
	s_mov_b64 s[12:13], 0
	s_cbranch_execz .LBB136_5
	s_branch .LBB136_6
.LBB136_4:
	s_mov_b32 s19, -1
                                        ; implicit-def: $sgpr12_sgpr13
.LBB136_5:
	s_mov_b32 s19, 0
	s_delay_alu instid0(SALU_CYCLE_1) | instskip(NEXT) | instid1(SALU_CYCLE_1)
	s_lshl_b64 s[8:9], s[18:19], 3
	s_add_u32 s8, s10, s8
	s_addc_u32 s9, s11, s9
	s_waitcnt lgkmcnt(0)
	s_lshl_b64 s[4:5], s[4:5], 3
	s_load_b64 s[8:9], s[8:9], 0x0
	s_waitcnt lgkmcnt(0)
	s_add_u32 s12, s8, s4
	s_addc_u32 s13, s9, s5
.LBB136_6:
	s_waitcnt lgkmcnt(0)
	v_cmp_eq_f64_e64 s4, s[6:7], 0
	s_load_b128 s[8:11], s[0:1], 0x60
	s_mov_b64 s[16:17], 0
	s_delay_alu instid0(VALU_DEP_1)
	s_and_b32 vcc_lo, exec_lo, s4
	s_mov_b64 s[4:5], 0
	s_cbranch_vccnz .LBB136_8
; %bb.7:
	s_lshl_b64 s[4:5], s[18:19], 3
	s_delay_alu instid0(SALU_CYCLE_1)
	s_add_u32 s4, s20, s4
	s_addc_u32 s5, s21, s5
	s_waitcnt lgkmcnt(0)
	s_lshl_b64 s[8:9], s[8:9], 3
	s_load_b64 s[4:5], s[4:5], 0x0
	s_waitcnt lgkmcnt(0)
	s_add_u32 s4, s4, s8
	s_addc_u32 s5, s5, s9
.LBB136_8:
	s_clause 0x2
	s_load_b32 s15, s[0:1], 0x0
	s_load_b32 s17, s[0:1], 0x20
	;; [unrolled: 1-line block ×3, first 2 shown]
	s_waitcnt lgkmcnt(0)
	s_lshl_b64 s[8:9], s[18:19], 3
	s_mov_b32 s18, 0
	s_add_u32 s8, s10, s8
	s_addc_u32 s9, s11, s9
	s_mov_b32 s19, s18
	v_and_b32_e32 v94, 0x3ff, v0
	v_bfe_u32 v95, v0, 10, 10
	v_mov_b32_e32 v92, 64
	v_dual_mov_b32 v86, 16 :: v_dual_mov_b32 v105, 0x68
	v_dual_mov_b32 v88, 32 :: v_dual_mov_b32 v107, 0x78
	s_delay_alu instid0(VALU_DEP_4)
	v_dual_mov_b32 v90, 48 :: v_dual_lshlrev_b32 v97, 5, v95
	v_mov_b32_e32 v109, 0x88
	v_mov_b32_e32 v102, 0x50
	;; [unrolled: 1-line block ×3, first 2 shown]
	s_add_i32 s10, s15, -1
	v_mov_b32_e32 v106, 0x70
	s_ashr_i32 s11, s10, 31
	v_mov_b32_e32 v108, 0x80
	s_lshr_b32 s11, s11, 25
	v_mov_b32_e32 v110, 0x90
	s_add_i32 s10, s10, s11
	v_mov_b32_e32 v112, 0xa0
	s_ashr_i32 s10, s10, 7
	v_mov_b32_e32 v113, 0xa8
	s_add_i32 s11, s10, 1
	s_not_b32 s10, s10
	v_cvt_f32_u32_e32 v3, s11
	v_mov_b32_e32 v114, 0xb0
	v_mov_b32_e32 v115, 0xb8
	;; [unrolled: 1-line block ×4, first 2 shown]
	v_rcp_iflag_f32_e32 v3, v3
	v_dual_mov_b32 v0, s18 :: v_dual_mov_b32 v1, s19
	v_lshrrev_b32_e32 v2, 2, v94
	v_dual_mov_b32 v85, 8 :: v_dual_and_b32 v96, 3, v94
	v_dual_mov_b32 v87, 24 :: v_dual_mov_b32 v84, 0
	s_delay_alu instid0(VALU_DEP_3) | instskip(NEXT) | instid1(VALU_DEP_3)
	v_add_nc_u32_e32 v16, v2, v95
	v_lshlrev_b32_e32 v17, 3, v96
	s_delay_alu instid0(TRANS32_DEP_1)
	v_mul_f32_e32 v3, 0x4f7ffffe, v3
	s_clause 0xa
	scratch_store_b64 off, v[0:1], off
	scratch_store_b64 off, v[0:1], off offset:8
	scratch_store_b64 off, v[0:1], off offset:16
	;; [unrolled: 1-line block ×10, first 2 shown]
	v_cvt_u32_f32_e32 v3, v3
	s_clause 0xe
	scratch_store_b64 off, v[0:1], off offset:88
	scratch_store_b64 off, v[0:1], off offset:96
	;; [unrolled: 1-line block ×15, first 2 shown]
	v_readfirstlane_b32 s15, v3
	s_clause 0xd
	scratch_store_b64 off, v[0:1], off offset:208
	scratch_store_b64 off, v[0:1], off offset:216
	;; [unrolled: 1-line block ×14, first 2 shown]
	s_mul_i32 s10, s10, s15
	s_clause 0x3
	scratch_store_b64 off, v[0:1], off offset:320
	scratch_store_b64 off, v[0:1], off offset:328
	;; [unrolled: 1-line block ×4, first 2 shown]
	s_mul_hi_u32 s10, s15, s10
	scratch_store_b64 off, v[0:1], off offset:352
	s_add_i32 s15, s15, s10
	s_clause 0xe
	scratch_store_b64 off, v[0:1], off offset:360
	scratch_store_b64 off, v[0:1], off offset:368
	;; [unrolled: 1-line block ×15, first 2 shown]
	s_mul_hi_u32 s10, s14, s15
	s_clause 0x1
	scratch_store_b64 off, v[0:1], off offset:480
	scratch_store_b64 off, v[0:1], off offset:488
	s_mul_i32 s15, s10, s11
	s_add_i32 s18, s10, 1
	s_sub_i32 s15, s14, s15
	s_clause 0x1
	scratch_store_b64 off, v[0:1], off offset:496
	scratch_store_b64 off, v[0:1], off offset:504
	s_sub_i32 s19, s15, s11
	s_cmp_ge_u32 s15, s11
	v_dual_mov_b32 v111, 0x98 :: v_dual_lshlrev_b32 v98, 5, v94
	s_cselect_b32 s10, s18, s10
	s_cselect_b32 s15, s19, s15
	s_add_i32 s18, s10, 1
	s_cmp_ge_u32 s15, s11
	v_mov_b32_e32 v89, 40
	s_cselect_b32 s10, s18, s10
	v_mov_b32_e32 v93, 0x48
	s_mul_i32 s11, s10, s11
	s_lshl_b32 s15, s10, 7
	s_sub_i32 s11, s14, s11
	v_add_nc_u32_e32 v6, s15, v16
	s_lshl_b32 s14, s11, 7
	s_delay_alu instid0(SALU_CYCLE_1) | instskip(NEXT) | instid1(VALU_DEP_2)
	v_dual_mov_b32 v91, 56 :: v_dual_add_nc_u32 v4, s14, v16
	v_dual_mov_b32 v103, 0x58 :: v_dual_add_nc_u32 v8, 64, v6
	v_add_co_u32 v10, s10, s2, v17
	s_delay_alu instid0(VALU_DEP_3)
	v_mad_i64_i32 v[2:3], null, v4, s17, 0
	v_add_nc_u32_e32 v4, 64, v4
	v_add_co_ci_u32_e64 v11, null, s3, 0, s10
	v_lshl_or_b32 v99, v16, 5, v17
	v_add_nc_u32_e32 v32, 0x800, v98
	v_cmp_neq_f64_e64 s18, s[6:7], 0
	v_lshlrev_b64 v[68:69], 3, v[2:3]
	v_mad_i64_i32 v[2:3], null, v4, s17, 0
	v_mad_i64_i32 v[4:5], null, v6, s20, 0
	;; [unrolled: 1-line block ×3, first 2 shown]
	s_delay_alu instid0(VALU_DEP_4) | instskip(SKIP_1) | instid1(VALU_DEP_4)
	v_add_co_u32 v8, vcc_lo, v10, v68
	v_add_co_ci_u32_e32 v9, vcc_lo, v11, v69, vcc_lo
	v_lshlrev_b64 v[72:73], 3, v[4:5]
	v_add_co_u32 v4, s10, s12, v17
	s_delay_alu instid0(VALU_DEP_1) | instskip(SKIP_2) | instid1(VALU_DEP_4)
	v_add_co_ci_u32_e64 v5, null, s13, 0, s10
	v_lshlrev_b64 v[74:75], 3, v[6:7]
	v_lshlrev_b64 v[70:71], 3, v[2:3]
	v_add_co_u32 v2, vcc_lo, v4, v72
	s_delay_alu instid0(VALU_DEP_4) | instskip(NEXT) | instid1(VALU_DEP_4)
	v_add_co_ci_u32_e32 v3, vcc_lo, v5, v73, vcc_lo
	v_add_co_u32 v4, vcc_lo, v4, v74
	v_add_co_ci_u32_e32 v5, vcc_lo, v5, v75, vcc_lo
	v_add_co_u32 v6, vcc_lo, v10, v70
	v_add_co_ci_u32_e32 v7, vcc_lo, v11, v71, vcc_lo
	flat_load_b64 v[0:1], v[8:9]
	s_clause 0x1
	flat_load_b64 v[10:11], v[2:3]
	flat_load_b64 v[12:13], v[4:5]
	;; [unrolled: 1-line block ×3, first 2 shown]
	s_clause 0x1
	flat_load_b64 v[76:77], v[4:5] offset:32
	flat_load_b64 v[78:79], v[2:3] offset:32
	s_clause 0x1
	flat_load_b64 v[80:81], v[6:7] offset:32
	flat_load_b64 v[82:83], v[8:9] offset:32
	s_load_b64 s[8:9], s[8:9], 0x0
	v_mov_b32_e32 v118, 0xd0
	v_mov_b32_e32 v119, 0xd8
	;; [unrolled: 1-line block ×6, first 2 shown]
	v_add_nc_u32_e32 v100, 0x2000, v97
	v_add_nc_u32_e32 v101, 0x2000, v99
	s_mov_b32 s10, -1
	s_waitcnt vmcnt(5) lgkmcnt(0)
	ds_store_2addr_stride64_b64 v99, v[10:11], v[12:13] offset0:16 offset1:20
	s_waitcnt vmcnt(4)
	ds_store_2addr_stride64_b64 v99, v[0:1], v[14:15] offset1:4
	s_waitcnt vmcnt(0) lgkmcnt(0)
	s_waitcnt_vscnt null, 0x0
	s_barrier
	buffer_gl0_inv
	ds_load_2addr_b64 v[0:3], v98 offset1:16
	ds_load_2addr_b64 v[4:7], v32 offset1:16
	ds_load_2addr_b64 v[8:11], v32 offset0:32 offset1:48
	ds_load_2addr_b64 v[12:15], v32 offset0:64 offset1:80
	ds_load_2addr_b64 v[16:19], v32 offset0:96 offset1:112
	ds_load_2addr_b64 v[20:23], v32 offset0:128 offset1:144
	ds_load_2addr_b64 v[24:27], v32 offset0:160 offset1:176
	ds_load_2addr_b64 v[28:31], v32 offset0:192 offset1:208
	ds_load_2addr_b64 v[32:35], v32 offset0:224 offset1:240
	ds_load_2addr_b64 v[36:39], v98 offset0:32 offset1:48
	ds_load_2addr_b64 v[40:43], v98 offset0:64 offset1:80
	ds_load_2addr_b64 v[44:47], v98 offset0:96 offset1:112
	ds_load_2addr_b64 v[48:51], v98 offset0:128 offset1:144
	ds_load_2addr_b64 v[52:55], v98 offset0:160 offset1:176
	ds_load_2addr_b64 v[56:59], v98 offset0:192 offset1:208
	ds_load_2addr_b64 v[60:63], v98 offset0:224 offset1:240
	ds_load_2addr_stride64_b64 v[64:67], v97 offset0:16 offset1:20
.LBB136_9:                              ; =>This Inner Loop Header: Depth=1
	scratch_load_b64 v[124:125], v84, off
	scratch_load_b64 v[126:127], v85, off
	;; [unrolled: 1-line block ×32, first 2 shown]
	s_cmp_eq_u32 s16, 1
	s_waitcnt lgkmcnt(16)
	v_max_f64 v[190:191], v[0:1], v[0:1]
	s_cselect_b32 vcc_lo, -1, 0
	v_max_f64 v[192:193], v[2:3], v[2:3]
	s_waitcnt lgkmcnt(0)
	v_dual_cndmask_b32 v189, v65, v67 :: v_dual_cndmask_b32 v188, v64, v66
	v_max_f64 v[194:195], v[36:37], v[36:37]
	v_max_f64 v[196:197], v[38:39], v[38:39]
	;; [unrolled: 1-line block ×31, first 2 shown]
	s_mov_b64 s[16:17], 1
	s_and_b32 vcc_lo, exec_lo, s10
	s_mov_b32 s10, 0
	v_min_f64 v[190:191], v[190:191], v[188:189]
	v_min_f64 v[192:193], v[192:193], v[188:189]
	;; [unrolled: 1-line block ×32, first 2 shown]
	s_waitcnt vmcnt(31)
	v_add_f64 v[124:125], v[124:125], v[190:191]
	s_waitcnt vmcnt(30)
	v_add_f64 v[126:127], v[192:193], v[126:127]
	;; [unrolled: 2-line block ×32, first 2 shown]
	scratch_store_b64 v84, v[124:125], off
	scratch_store_b64 v85, v[126:127], off
	scratch_store_b64 v86, v[128:129], off
	scratch_store_b64 v87, v[130:131], off
	scratch_store_b64 v88, v[132:133], off
	scratch_store_b64 v89, v[134:135], off
	scratch_store_b64 v90, v[136:137], off
	scratch_store_b64 v91, v[138:139], off
	scratch_store_b64 v92, v[140:141], off
	scratch_store_b64 v93, v[142:143], off
	scratch_store_b64 v102, v[144:145], off
	scratch_store_b64 v103, v[146:147], off
	scratch_store_b64 v104, v[148:149], off
	scratch_store_b64 v105, v[150:151], off
	scratch_store_b64 v106, v[152:153], off
	scratch_store_b64 v107, v[154:155], off
	scratch_store_b64 v108, v[156:157], off
	scratch_store_b64 v109, v[158:159], off
	scratch_store_b64 v110, v[160:161], off
	scratch_store_b64 v111, v[162:163], off
	scratch_store_b64 v112, v[164:165], off
	scratch_store_b64 v113, v[166:167], off
	scratch_store_b64 v114, v[168:169], off
	scratch_store_b64 v115, v[170:171], off
	scratch_store_b64 v116, v[172:173], off
	scratch_store_b64 v117, v[174:175], off
	scratch_store_b64 v118, v[176:177], off
	scratch_store_b64 v119, v[178:179], off
	scratch_store_b64 v120, v[180:181], off
	scratch_store_b64 v121, v[182:183], off
	scratch_store_b64 v122, v[184:185], off
	scratch_store_b64 v123, v[186:187], off
	v_mov_b32_e32 v84, 0x100
	v_mov_b32_e32 v85, 0x108
	;; [unrolled: 1-line block ×32, first 2 shown]
	s_cbranch_vccnz .LBB136_9
; %bb.10:
	v_dual_mov_b32 v85, 8 :: v_dual_add_nc_u32 v60, 0x800, v98
	ds_load_2addr_b64 v[0:3], v98 offset0:1 offset1:17
	ds_load_2addr_b64 v[4:7], v98 offset0:33 offset1:49
	;; [unrolled: 1-line block ×12, first 2 shown]
	v_dual_mov_b32 v87, 24 :: v_dual_add_nc_u32 v64, 8, v100
	ds_load_2addr_b64 v[48:51], v60 offset0:129 offset1:145
	ds_load_2addr_b64 v[52:55], v60 offset0:161 offset1:177
	;; [unrolled: 1-line block ×4, first 2 shown]
	ds_load_2addr_stride64_b64 v[64:67], v64 offset1:4
	v_dual_mov_b32 v84, 0 :: v_dual_mov_b32 v89, 40
	v_dual_mov_b32 v86, 16 :: v_dual_mov_b32 v91, 56
	;; [unrolled: 1-line block ×5, first 2 shown]
	v_mov_b32_e32 v102, 0x50
	v_mov_b32_e32 v104, 0x60
	;; [unrolled: 1-line block ×20, first 2 shown]
	s_mov_b64 s[10:11], 0
	s_mov_b32 s16, -1
.LBB136_11:                             ; =>This Inner Loop Header: Depth=1
	scratch_load_b64 v[124:125], v84, off
	scratch_load_b64 v[126:127], v85, off
	;; [unrolled: 1-line block ×32, first 2 shown]
	s_cmp_eq_u32 s10, 1
	s_waitcnt lgkmcnt(16)
	v_max_f64 v[190:191], v[0:1], v[0:1]
	s_cselect_b32 vcc_lo, -1, 0
	v_max_f64 v[192:193], v[2:3], v[2:3]
	s_waitcnt lgkmcnt(0)
	v_dual_cndmask_b32 v189, v65, v67 :: v_dual_cndmask_b32 v188, v64, v66
	v_max_f64 v[194:195], v[4:5], v[4:5]
	v_max_f64 v[196:197], v[6:7], v[6:7]
	;; [unrolled: 1-line block ×31, first 2 shown]
	s_mov_b64 s[10:11], 1
	s_and_b32 vcc_lo, exec_lo, s16
	s_mov_b32 s16, 0
	v_min_f64 v[190:191], v[190:191], v[188:189]
	v_min_f64 v[192:193], v[192:193], v[188:189]
	;; [unrolled: 1-line block ×32, first 2 shown]
	s_waitcnt vmcnt(31)
	v_add_f64 v[124:125], v[124:125], v[190:191]
	s_waitcnt vmcnt(30)
	v_add_f64 v[126:127], v[192:193], v[126:127]
	;; [unrolled: 2-line block ×32, first 2 shown]
	scratch_store_b64 v84, v[124:125], off
	scratch_store_b64 v85, v[126:127], off
	;; [unrolled: 1-line block ×32, first 2 shown]
	v_mov_b32_e32 v84, 0x100
	v_mov_b32_e32 v85, 0x108
	;; [unrolled: 1-line block ×32, first 2 shown]
	s_cbranch_vccnz .LBB136_11
; %bb.12:
	v_dual_mov_b32 v85, 8 :: v_dual_add_nc_u32 v60, 0x800, v98
	ds_load_2addr_b64 v[0:3], v98 offset0:2 offset1:18
	ds_load_2addr_b64 v[4:7], v98 offset0:34 offset1:50
	;; [unrolled: 1-line block ×12, first 2 shown]
	v_dual_mov_b32 v87, 24 :: v_dual_add_nc_u32 v64, 16, v100
	ds_load_2addr_b64 v[48:51], v60 offset0:130 offset1:146
	ds_load_2addr_b64 v[52:55], v60 offset0:162 offset1:178
	;; [unrolled: 1-line block ×4, first 2 shown]
	ds_load_2addr_stride64_b64 v[64:67], v64 offset1:4
	v_dual_mov_b32 v84, 0 :: v_dual_mov_b32 v89, 40
	v_dual_mov_b32 v86, 16 :: v_dual_mov_b32 v91, 56
	;; [unrolled: 1-line block ×5, first 2 shown]
	v_mov_b32_e32 v102, 0x50
	v_mov_b32_e32 v104, 0x60
	;; [unrolled: 1-line block ×20, first 2 shown]
	s_mov_b64 s[10:11], 0
	s_mov_b32 s16, -1
.LBB136_13:                             ; =>This Inner Loop Header: Depth=1
	scratch_load_b64 v[124:125], v84, off
	scratch_load_b64 v[126:127], v85, off
	;; [unrolled: 1-line block ×32, first 2 shown]
	s_cmp_eq_u32 s10, 1
	s_waitcnt lgkmcnt(16)
	v_max_f64 v[190:191], v[0:1], v[0:1]
	s_cselect_b32 vcc_lo, -1, 0
	v_max_f64 v[192:193], v[2:3], v[2:3]
	s_waitcnt lgkmcnt(0)
	v_dual_cndmask_b32 v189, v65, v67 :: v_dual_cndmask_b32 v188, v64, v66
	v_max_f64 v[194:195], v[4:5], v[4:5]
	v_max_f64 v[196:197], v[6:7], v[6:7]
	;; [unrolled: 1-line block ×31, first 2 shown]
	s_mov_b64 s[10:11], 1
	s_and_b32 vcc_lo, exec_lo, s16
	s_mov_b32 s16, 0
	v_min_f64 v[190:191], v[190:191], v[188:189]
	v_min_f64 v[192:193], v[192:193], v[188:189]
	;; [unrolled: 1-line block ×32, first 2 shown]
	s_waitcnt vmcnt(31)
	v_add_f64 v[124:125], v[124:125], v[190:191]
	s_waitcnt vmcnt(30)
	v_add_f64 v[126:127], v[192:193], v[126:127]
	;; [unrolled: 2-line block ×32, first 2 shown]
	scratch_store_b64 v84, v[124:125], off
	scratch_store_b64 v85, v[126:127], off
	scratch_store_b64 v86, v[128:129], off
	scratch_store_b64 v87, v[130:131], off
	scratch_store_b64 v88, v[132:133], off
	scratch_store_b64 v89, v[134:135], off
	scratch_store_b64 v90, v[136:137], off
	scratch_store_b64 v91, v[138:139], off
	scratch_store_b64 v92, v[140:141], off
	scratch_store_b64 v93, v[142:143], off
	scratch_store_b64 v102, v[144:145], off
	scratch_store_b64 v103, v[146:147], off
	scratch_store_b64 v104, v[148:149], off
	scratch_store_b64 v105, v[150:151], off
	scratch_store_b64 v106, v[152:153], off
	scratch_store_b64 v107, v[154:155], off
	scratch_store_b64 v108, v[156:157], off
	scratch_store_b64 v109, v[158:159], off
	scratch_store_b64 v110, v[160:161], off
	scratch_store_b64 v111, v[162:163], off
	scratch_store_b64 v112, v[164:165], off
	scratch_store_b64 v113, v[166:167], off
	scratch_store_b64 v114, v[168:169], off
	scratch_store_b64 v115, v[170:171], off
	scratch_store_b64 v116, v[172:173], off
	scratch_store_b64 v117, v[174:175], off
	scratch_store_b64 v118, v[176:177], off
	scratch_store_b64 v119, v[178:179], off
	scratch_store_b64 v120, v[180:181], off
	scratch_store_b64 v121, v[182:183], off
	scratch_store_b64 v122, v[184:185], off
	scratch_store_b64 v123, v[186:187], off
	v_mov_b32_e32 v84, 0x100
	v_mov_b32_e32 v85, 0x108
	;; [unrolled: 1-line block ×32, first 2 shown]
	s_cbranch_vccnz .LBB136_13
; %bb.14:
	v_dual_mov_b32 v85, 8 :: v_dual_add_nc_u32 v60, 0x800, v98
	ds_load_2addr_b64 v[0:3], v98 offset0:3 offset1:19
	ds_load_2addr_b64 v[4:7], v98 offset0:35 offset1:51
	;; [unrolled: 1-line block ×12, first 2 shown]
	v_dual_mov_b32 v87, 24 :: v_dual_add_nc_u32 v64, 24, v100
	ds_load_2addr_b64 v[48:51], v60 offset0:131 offset1:147
	ds_load_2addr_b64 v[52:55], v60 offset0:163 offset1:179
	;; [unrolled: 1-line block ×4, first 2 shown]
	ds_load_2addr_stride64_b64 v[64:67], v64 offset1:4
	v_dual_mov_b32 v84, 0 :: v_dual_mov_b32 v89, 40
	v_dual_mov_b32 v86, 16 :: v_dual_mov_b32 v91, 56
	;; [unrolled: 1-line block ×5, first 2 shown]
	v_mov_b32_e32 v102, 0x50
	v_mov_b32_e32 v104, 0x60
	;; [unrolled: 1-line block ×20, first 2 shown]
	s_mov_b64 s[10:11], 0
	s_mov_b32 s16, -1
.LBB136_15:                             ; =>This Inner Loop Header: Depth=1
	scratch_load_b64 v[124:125], v84, off
	scratch_load_b64 v[126:127], v85, off
	;; [unrolled: 1-line block ×32, first 2 shown]
	s_cmp_eq_u32 s10, 1
	s_waitcnt lgkmcnt(16)
	v_max_f64 v[190:191], v[0:1], v[0:1]
	s_cselect_b32 vcc_lo, -1, 0
	v_max_f64 v[192:193], v[2:3], v[2:3]
	s_waitcnt lgkmcnt(0)
	v_dual_cndmask_b32 v189, v65, v67 :: v_dual_cndmask_b32 v188, v64, v66
	v_max_f64 v[194:195], v[4:5], v[4:5]
	v_max_f64 v[196:197], v[6:7], v[6:7]
	;; [unrolled: 1-line block ×31, first 2 shown]
	s_mov_b64 s[10:11], 1
	s_and_b32 vcc_lo, exec_lo, s16
	s_mov_b32 s16, 0
	v_min_f64 v[190:191], v[190:191], v[188:189]
	v_min_f64 v[192:193], v[192:193], v[188:189]
	;; [unrolled: 1-line block ×32, first 2 shown]
	s_waitcnt vmcnt(31)
	v_add_f64 v[124:125], v[124:125], v[190:191]
	s_waitcnt vmcnt(30)
	v_add_f64 v[126:127], v[192:193], v[126:127]
	;; [unrolled: 2-line block ×32, first 2 shown]
	scratch_store_b64 v84, v[124:125], off
	scratch_store_b64 v85, v[126:127], off
	;; [unrolled: 1-line block ×32, first 2 shown]
	v_mov_b32_e32 v84, 0x100
	v_mov_b32_e32 v85, 0x108
	;; [unrolled: 1-line block ×32, first 2 shown]
	s_cbranch_vccnz .LBB136_15
; %bb.16:
	s_load_b32 s17, s[0:1], 0x8
	s_mov_b32 s16, 8
	ds_store_2addr_stride64_b64 v99, v[82:83], v[80:81] offset0:8 offset1:12
	ds_store_2addr_stride64_b64 v99, v[78:79], v[76:77] offset0:24 offset1:28
	s_waitcnt lgkmcnt(0)
	s_waitcnt_vscnt null, 0x0
	s_barrier
	buffer_gl0_inv
	s_cmp_gt_i32 s17, 8
	s_cbranch_scc0 .LBB136_35
; %bb.17:
	v_lshl_add_u32 v102, v94, 5, 0x1000
	v_add_nc_u32_e32 v103, 0x1000, v99
	v_dual_mov_b32 v77, 0 :: v_dual_add_nc_u32 v104, 0x3000, v99
	v_lshl_add_u32 v105, v95, 5, 0x3000
	s_delay_alu instid0(VALU_DEP_4)
	v_add_nc_u32_e32 v106, 0x800, v102
	s_add_i32 s17, s17, -8
	s_mov_b32 s19, 0
.LBB136_18:                             ; =>This Loop Header: Depth=1
                                        ;     Child Loop BB136_19 Depth 2
                                        ;     Child Loop BB136_21 Depth 2
	;; [unrolled: 1-line block ×8, first 2 shown]
	v_or_b32_e32 v76, s16, v96
	v_dual_mov_b32 v137, 0 :: v_dual_mov_b32 v136, 8
	v_dual_mov_b32 v135, 16 :: v_dual_mov_b32 v134, 24
	s_delay_alu instid0(VALU_DEP_3) | instskip(SKIP_3) | instid1(VALU_DEP_4)
	v_lshlrev_b64 v[0:1], 3, v[76:77]
	v_dual_mov_b32 v133, 32 :: v_dual_mov_b32 v132, 40
	v_dual_mov_b32 v131, 48 :: v_dual_mov_b32 v130, 56
	;; [unrolled: 1-line block ×3, first 2 shown]
	v_add_co_u32 v2, vcc_lo, s2, v0
	v_add_co_ci_u32_e32 v3, vcc_lo, s3, v1, vcc_lo
	v_add_co_u32 v0, vcc_lo, s12, v0
	v_add_co_ci_u32_e32 v1, vcc_lo, s13, v1, vcc_lo
	s_delay_alu instid0(VALU_DEP_4) | instskip(NEXT) | instid1(VALU_DEP_4)
	v_add_co_u32 v78, vcc_lo, v2, v68
	v_add_co_ci_u32_e32 v79, vcc_lo, v3, v69, vcc_lo
	v_add_co_u32 v80, vcc_lo, v2, v70
	v_add_co_ci_u32_e32 v81, vcc_lo, v3, v71, vcc_lo
	;; [unrolled: 2-line block ×4, first 2 shown]
	s_clause 0x1
	flat_load_b64 v[86:87], v[78:79]
	flat_load_b64 v[88:89], v[80:81]
	s_clause 0x1
	flat_load_b64 v[90:91], v[82:83]
	flat_load_b64 v[92:93], v[84:85]
	ds_load_2addr_b64 v[0:3], v102 offset1:16
	ds_load_2addr_b64 v[4:7], v102 offset0:32 offset1:48
	ds_load_2addr_b64 v[8:11], v102 offset0:64 offset1:80
	ds_load_2addr_b64 v[12:15], v102 offset0:96 offset1:112
	ds_load_2addr_b64 v[16:19], v102 offset0:128 offset1:144
	ds_load_2addr_b64 v[20:23], v102 offset0:160 offset1:176
	ds_load_2addr_b64 v[24:27], v102 offset0:192 offset1:208
	ds_load_2addr_b64 v[28:31], v102 offset0:224 offset1:240
	ds_load_2addr_b64 v[32:35], v106 offset1:16
	ds_load_2addr_b64 v[36:39], v106 offset0:32 offset1:48
	ds_load_2addr_b64 v[40:43], v106 offset0:64 offset1:80
	;; [unrolled: 1-line block ×7, first 2 shown]
	ds_load_2addr_stride64_b64 v[64:67], v105 offset1:4
	v_mov_b32_e32 v127, 0x50
	v_mov_b32_e32 v126, 0x58
	;; [unrolled: 1-line block ×22, first 2 shown]
	s_mov_b64 s[10:11], 0
	s_mov_b32 s20, -1
.LBB136_19:                             ;   Parent Loop BB136_18 Depth=1
                                        ; =>  This Inner Loop Header: Depth=2
	scratch_load_b64 v[142:143], v137, off
	s_cmp_eq_u32 s10, 1
	s_waitcnt lgkmcnt(16)
	v_max_f64 v[140:141], v[0:1], v[0:1]
	s_cselect_b32 vcc_lo, -1, 0
	s_mov_b64 s[10:11], 1
	s_waitcnt lgkmcnt(0)
	v_dual_cndmask_b32 v139, v65, v67 :: v_dual_cndmask_b32 v138, v64, v66
	s_and_b32 vcc_lo, exec_lo, s20
	s_mov_b32 s20, 0
	s_delay_alu instid0(VALU_DEP_1) | instskip(NEXT) | instid1(VALU_DEP_1)
	v_max_f64 v[138:139], v[138:139], v[138:139]
	v_min_f64 v[140:141], v[140:141], v[138:139]
	s_waitcnt vmcnt(0)
	s_delay_alu instid0(VALU_DEP_1) | instskip(SKIP_3) | instid1(VALU_DEP_1)
	v_add_f64 v[140:141], v[142:143], v[140:141]
	scratch_load_b64 v[142:143], v136, off
	scratch_store_b64 v137, v[140:141], off
	v_max_f64 v[140:141], v[2:3], v[2:3]
	v_min_f64 v[140:141], v[140:141], v[138:139]
	s_waitcnt vmcnt(0)
	s_delay_alu instid0(VALU_DEP_1) | instskip(SKIP_3) | instid1(VALU_DEP_1)
	v_add_f64 v[140:141], v[140:141], v[142:143]
	scratch_store_b64 v136, v[140:141], off
	scratch_load_b64 v[140:141], v135, off
	v_max_f64 v[136:137], v[4:5], v[4:5]
	v_min_f64 v[136:137], v[136:137], v[138:139]
	s_waitcnt vmcnt(0)
	s_delay_alu instid0(VALU_DEP_1) | instskip(SKIP_3) | instid1(VALU_DEP_1)
	v_add_f64 v[136:137], v[136:137], v[140:141]
	scratch_load_b64 v[140:141], v134, off
	scratch_store_b64 v135, v[136:137], off
	v_max_f64 v[135:136], v[6:7], v[6:7]
	v_min_f64 v[135:136], v[135:136], v[138:139]
	s_waitcnt vmcnt(0)
	s_delay_alu instid0(VALU_DEP_1) | instskip(SKIP_3) | instid1(VALU_DEP_1)
	v_add_f64 v[135:136], v[135:136], v[140:141]
	scratch_store_b64 v134, v[135:136], off
	scratch_load_b64 v[136:137], v133, off
	v_max_f64 v[134:135], v[8:9], v[8:9]
	v_min_f64 v[134:135], v[134:135], v[138:139]
	s_waitcnt vmcnt(0)
	s_delay_alu instid0(VALU_DEP_1) | instskip(SKIP_4) | instid1(VALU_DEP_1)
	v_add_f64 v[134:135], v[134:135], v[136:137]
	v_mov_b32_e32 v137, 0x100
	scratch_store_b64 v133, v[134:135], off
	scratch_load_b64 v[135:136], v132, off
	v_max_f64 v[133:134], v[10:11], v[10:11]
	v_min_f64 v[133:134], v[133:134], v[138:139]
	s_waitcnt vmcnt(0)
	s_delay_alu instid0(VALU_DEP_1) | instskip(SKIP_4) | instid1(VALU_DEP_1)
	v_add_f64 v[133:134], v[133:134], v[135:136]
	v_mov_b32_e32 v136, 0x108
	;; [unrolled: 8-line block ×27, first 2 shown]
	scratch_store_b64 v107, v[108:109], off
	scratch_load_b64 v[109:110], v76, off
	v_max_f64 v[107:108], v[62:63], v[62:63]
	v_min_f64 v[107:108], v[107:108], v[138:139]
	s_waitcnt vmcnt(0)
	s_delay_alu instid0(VALU_DEP_1)
	v_add_f64 v[107:108], v[107:108], v[109:110]
	v_mov_b32_e32 v110, 0x1d8
	v_mov_b32_e32 v109, 0x1e0
	scratch_store_b64 v76, v[107:108], off
	v_mov_b32_e32 v108, 0x1e8
	v_mov_b32_e32 v107, 0x1f0
	v_mov_b32_e32 v76, 0x1f8
	s_cbranch_vccnz .LBB136_19
; %bb.20:                               ;   in Loop: Header=BB136_18 Depth=1
	ds_load_2addr_b64 v[0:3], v102 offset0:1 offset1:17
	ds_load_2addr_b64 v[4:7], v102 offset0:33 offset1:49
	;; [unrolled: 1-line block ×12, first 2 shown]
	v_dual_mov_b32 v137, 0 :: v_dual_add_nc_u32 v64, 8, v105
	ds_load_2addr_b64 v[48:51], v106 offset0:129 offset1:145
	ds_load_2addr_b64 v[52:55], v106 offset0:161 offset1:177
	;; [unrolled: 1-line block ×4, first 2 shown]
	ds_load_2addr_stride64_b64 v[64:67], v64 offset1:4
	v_dual_mov_b32 v136, 8 :: v_dual_mov_b32 v135, 16
	v_dual_mov_b32 v134, 24 :: v_dual_mov_b32 v133, 32
	;; [unrolled: 1-line block ×4, first 2 shown]
	v_mov_b32_e32 v128, 0x48
	v_mov_b32_e32 v127, 0x50
	;; [unrolled: 1-line block ×23, first 2 shown]
	s_mov_b64 s[10:11], 0
	s_mov_b32 s20, -1
.LBB136_21:                             ;   Parent Loop BB136_18 Depth=1
                                        ; =>  This Inner Loop Header: Depth=2
	scratch_load_b64 v[142:143], v137, off
	s_cmp_eq_u32 s10, 1
	s_waitcnt lgkmcnt(16)
	v_max_f64 v[140:141], v[0:1], v[0:1]
	s_cselect_b32 vcc_lo, -1, 0
	s_mov_b64 s[10:11], 1
	s_waitcnt lgkmcnt(0)
	v_dual_cndmask_b32 v139, v65, v67 :: v_dual_cndmask_b32 v138, v64, v66
	s_and_b32 vcc_lo, exec_lo, s20
	s_mov_b32 s20, 0
	s_delay_alu instid0(VALU_DEP_1) | instskip(NEXT) | instid1(VALU_DEP_1)
	v_max_f64 v[138:139], v[138:139], v[138:139]
	v_min_f64 v[140:141], v[140:141], v[138:139]
	s_waitcnt vmcnt(0)
	s_delay_alu instid0(VALU_DEP_1) | instskip(SKIP_3) | instid1(VALU_DEP_1)
	v_add_f64 v[140:141], v[142:143], v[140:141]
	scratch_load_b64 v[142:143], v136, off
	scratch_store_b64 v137, v[140:141], off
	v_max_f64 v[140:141], v[2:3], v[2:3]
	v_min_f64 v[140:141], v[140:141], v[138:139]
	s_waitcnt vmcnt(0)
	s_delay_alu instid0(VALU_DEP_1) | instskip(SKIP_3) | instid1(VALU_DEP_1)
	v_add_f64 v[140:141], v[140:141], v[142:143]
	scratch_store_b64 v136, v[140:141], off
	scratch_load_b64 v[140:141], v135, off
	v_max_f64 v[136:137], v[4:5], v[4:5]
	v_min_f64 v[136:137], v[136:137], v[138:139]
	s_waitcnt vmcnt(0)
	s_delay_alu instid0(VALU_DEP_1) | instskip(SKIP_3) | instid1(VALU_DEP_1)
	v_add_f64 v[136:137], v[136:137], v[140:141]
	scratch_load_b64 v[140:141], v134, off
	scratch_store_b64 v135, v[136:137], off
	v_max_f64 v[135:136], v[6:7], v[6:7]
	v_min_f64 v[135:136], v[135:136], v[138:139]
	s_waitcnt vmcnt(0)
	s_delay_alu instid0(VALU_DEP_1) | instskip(SKIP_3) | instid1(VALU_DEP_1)
	v_add_f64 v[135:136], v[135:136], v[140:141]
	scratch_store_b64 v134, v[135:136], off
	scratch_load_b64 v[136:137], v133, off
	v_max_f64 v[134:135], v[8:9], v[8:9]
	v_min_f64 v[134:135], v[134:135], v[138:139]
	s_waitcnt vmcnt(0)
	s_delay_alu instid0(VALU_DEP_1) | instskip(SKIP_4) | instid1(VALU_DEP_1)
	v_add_f64 v[134:135], v[134:135], v[136:137]
	v_mov_b32_e32 v137, 0x100
	scratch_store_b64 v133, v[134:135], off
	scratch_load_b64 v[135:136], v132, off
	v_max_f64 v[133:134], v[10:11], v[10:11]
	v_min_f64 v[133:134], v[133:134], v[138:139]
	s_waitcnt vmcnt(0)
	s_delay_alu instid0(VALU_DEP_1) | instskip(SKIP_4) | instid1(VALU_DEP_1)
	v_add_f64 v[133:134], v[133:134], v[135:136]
	v_mov_b32_e32 v136, 0x108
	;; [unrolled: 8-line block ×27, first 2 shown]
	scratch_store_b64 v107, v[108:109], off
	scratch_load_b64 v[109:110], v76, off
	v_max_f64 v[107:108], v[62:63], v[62:63]
	v_min_f64 v[107:108], v[107:108], v[138:139]
	s_waitcnt vmcnt(0)
	s_delay_alu instid0(VALU_DEP_1)
	v_add_f64 v[107:108], v[107:108], v[109:110]
	v_mov_b32_e32 v110, 0x1d8
	v_mov_b32_e32 v109, 0x1e0
	scratch_store_b64 v76, v[107:108], off
	v_mov_b32_e32 v108, 0x1e8
	v_mov_b32_e32 v107, 0x1f0
	;; [unrolled: 1-line block ×3, first 2 shown]
	s_cbranch_vccnz .LBB136_21
; %bb.22:                               ;   in Loop: Header=BB136_18 Depth=1
	ds_load_2addr_b64 v[0:3], v102 offset0:2 offset1:18
	ds_load_2addr_b64 v[4:7], v102 offset0:34 offset1:50
	;; [unrolled: 1-line block ×12, first 2 shown]
	v_dual_mov_b32 v137, 0 :: v_dual_add_nc_u32 v64, 16, v105
	ds_load_2addr_b64 v[48:51], v106 offset0:130 offset1:146
	ds_load_2addr_b64 v[52:55], v106 offset0:162 offset1:178
	;; [unrolled: 1-line block ×4, first 2 shown]
	ds_load_2addr_stride64_b64 v[64:67], v64 offset1:4
	v_dual_mov_b32 v136, 8 :: v_dual_mov_b32 v135, 16
	v_dual_mov_b32 v134, 24 :: v_dual_mov_b32 v133, 32
	;; [unrolled: 1-line block ×4, first 2 shown]
	v_mov_b32_e32 v128, 0x48
	v_mov_b32_e32 v127, 0x50
	;; [unrolled: 1-line block ×23, first 2 shown]
	s_mov_b64 s[10:11], 0
	s_mov_b32 s20, -1
.LBB136_23:                             ;   Parent Loop BB136_18 Depth=1
                                        ; =>  This Inner Loop Header: Depth=2
	scratch_load_b64 v[142:143], v137, off
	s_cmp_eq_u32 s10, 1
	s_waitcnt lgkmcnt(16)
	v_max_f64 v[140:141], v[0:1], v[0:1]
	s_cselect_b32 vcc_lo, -1, 0
	s_mov_b64 s[10:11], 1
	s_waitcnt lgkmcnt(0)
	v_dual_cndmask_b32 v139, v65, v67 :: v_dual_cndmask_b32 v138, v64, v66
	s_and_b32 vcc_lo, exec_lo, s20
	s_mov_b32 s20, 0
	s_delay_alu instid0(VALU_DEP_1) | instskip(NEXT) | instid1(VALU_DEP_1)
	v_max_f64 v[138:139], v[138:139], v[138:139]
	v_min_f64 v[140:141], v[140:141], v[138:139]
	s_waitcnt vmcnt(0)
	s_delay_alu instid0(VALU_DEP_1) | instskip(SKIP_3) | instid1(VALU_DEP_1)
	v_add_f64 v[140:141], v[142:143], v[140:141]
	scratch_load_b64 v[142:143], v136, off
	scratch_store_b64 v137, v[140:141], off
	v_max_f64 v[140:141], v[2:3], v[2:3]
	v_min_f64 v[140:141], v[140:141], v[138:139]
	s_waitcnt vmcnt(0)
	s_delay_alu instid0(VALU_DEP_1) | instskip(SKIP_3) | instid1(VALU_DEP_1)
	v_add_f64 v[140:141], v[140:141], v[142:143]
	scratch_store_b64 v136, v[140:141], off
	scratch_load_b64 v[140:141], v135, off
	v_max_f64 v[136:137], v[4:5], v[4:5]
	v_min_f64 v[136:137], v[136:137], v[138:139]
	s_waitcnt vmcnt(0)
	s_delay_alu instid0(VALU_DEP_1) | instskip(SKIP_3) | instid1(VALU_DEP_1)
	v_add_f64 v[136:137], v[136:137], v[140:141]
	scratch_load_b64 v[140:141], v134, off
	scratch_store_b64 v135, v[136:137], off
	v_max_f64 v[135:136], v[6:7], v[6:7]
	v_min_f64 v[135:136], v[135:136], v[138:139]
	s_waitcnt vmcnt(0)
	s_delay_alu instid0(VALU_DEP_1) | instskip(SKIP_3) | instid1(VALU_DEP_1)
	v_add_f64 v[135:136], v[135:136], v[140:141]
	scratch_store_b64 v134, v[135:136], off
	scratch_load_b64 v[136:137], v133, off
	v_max_f64 v[134:135], v[8:9], v[8:9]
	v_min_f64 v[134:135], v[134:135], v[138:139]
	s_waitcnt vmcnt(0)
	s_delay_alu instid0(VALU_DEP_1) | instskip(SKIP_4) | instid1(VALU_DEP_1)
	v_add_f64 v[134:135], v[134:135], v[136:137]
	v_mov_b32_e32 v137, 0x100
	scratch_store_b64 v133, v[134:135], off
	scratch_load_b64 v[135:136], v132, off
	v_max_f64 v[133:134], v[10:11], v[10:11]
	v_min_f64 v[133:134], v[133:134], v[138:139]
	s_waitcnt vmcnt(0)
	s_delay_alu instid0(VALU_DEP_1) | instskip(SKIP_4) | instid1(VALU_DEP_1)
	v_add_f64 v[133:134], v[133:134], v[135:136]
	v_mov_b32_e32 v136, 0x108
	;; [unrolled: 8-line block ×27, first 2 shown]
	scratch_store_b64 v107, v[108:109], off
	scratch_load_b64 v[109:110], v76, off
	v_max_f64 v[107:108], v[62:63], v[62:63]
	v_min_f64 v[107:108], v[107:108], v[138:139]
	s_waitcnt vmcnt(0)
	s_delay_alu instid0(VALU_DEP_1)
	v_add_f64 v[107:108], v[107:108], v[109:110]
	v_mov_b32_e32 v110, 0x1d8
	v_mov_b32_e32 v109, 0x1e0
	scratch_store_b64 v76, v[107:108], off
	v_mov_b32_e32 v108, 0x1e8
	v_mov_b32_e32 v107, 0x1f0
	;; [unrolled: 1-line block ×3, first 2 shown]
	s_cbranch_vccnz .LBB136_23
; %bb.24:                               ;   in Loop: Header=BB136_18 Depth=1
	ds_load_2addr_b64 v[0:3], v102 offset0:3 offset1:19
	ds_load_2addr_b64 v[4:7], v102 offset0:35 offset1:51
	;; [unrolled: 1-line block ×12, first 2 shown]
	v_dual_mov_b32 v137, 0 :: v_dual_add_nc_u32 v64, 24, v105
	ds_load_2addr_b64 v[48:51], v106 offset0:131 offset1:147
	ds_load_2addr_b64 v[52:55], v106 offset0:163 offset1:179
	ds_load_2addr_b64 v[56:59], v106 offset0:195 offset1:211
	ds_load_2addr_b64 v[60:63], v106 offset0:227 offset1:243
	ds_load_2addr_stride64_b64 v[64:67], v64 offset1:4
	v_dual_mov_b32 v136, 8 :: v_dual_mov_b32 v135, 16
	v_dual_mov_b32 v134, 24 :: v_dual_mov_b32 v133, 32
	;; [unrolled: 1-line block ×4, first 2 shown]
	v_mov_b32_e32 v128, 0x48
	v_mov_b32_e32 v127, 0x50
	;; [unrolled: 1-line block ×23, first 2 shown]
	s_mov_b64 s[10:11], 0
	s_mov_b32 s20, -1
.LBB136_25:                             ;   Parent Loop BB136_18 Depth=1
                                        ; =>  This Inner Loop Header: Depth=2
	scratch_load_b64 v[142:143], v137, off
	s_cmp_eq_u32 s10, 1
	s_waitcnt lgkmcnt(16)
	v_max_f64 v[140:141], v[0:1], v[0:1]
	s_cselect_b32 vcc_lo, -1, 0
	s_mov_b64 s[10:11], 1
	s_waitcnt lgkmcnt(0)
	v_dual_cndmask_b32 v139, v65, v67 :: v_dual_cndmask_b32 v138, v64, v66
	s_and_b32 vcc_lo, exec_lo, s20
	s_mov_b32 s20, 0
	s_delay_alu instid0(VALU_DEP_1) | instskip(NEXT) | instid1(VALU_DEP_1)
	v_max_f64 v[138:139], v[138:139], v[138:139]
	v_min_f64 v[140:141], v[140:141], v[138:139]
	s_waitcnt vmcnt(0)
	s_delay_alu instid0(VALU_DEP_1) | instskip(SKIP_3) | instid1(VALU_DEP_1)
	v_add_f64 v[140:141], v[142:143], v[140:141]
	scratch_load_b64 v[142:143], v136, off
	scratch_store_b64 v137, v[140:141], off
	v_max_f64 v[140:141], v[2:3], v[2:3]
	v_min_f64 v[140:141], v[140:141], v[138:139]
	s_waitcnt vmcnt(0)
	s_delay_alu instid0(VALU_DEP_1) | instskip(SKIP_3) | instid1(VALU_DEP_1)
	v_add_f64 v[140:141], v[140:141], v[142:143]
	scratch_store_b64 v136, v[140:141], off
	scratch_load_b64 v[140:141], v135, off
	v_max_f64 v[136:137], v[4:5], v[4:5]
	v_min_f64 v[136:137], v[136:137], v[138:139]
	s_waitcnt vmcnt(0)
	s_delay_alu instid0(VALU_DEP_1) | instskip(SKIP_3) | instid1(VALU_DEP_1)
	v_add_f64 v[136:137], v[136:137], v[140:141]
	scratch_load_b64 v[140:141], v134, off
	scratch_store_b64 v135, v[136:137], off
	v_max_f64 v[135:136], v[6:7], v[6:7]
	v_min_f64 v[135:136], v[135:136], v[138:139]
	s_waitcnt vmcnt(0)
	s_delay_alu instid0(VALU_DEP_1) | instskip(SKIP_3) | instid1(VALU_DEP_1)
	v_add_f64 v[135:136], v[135:136], v[140:141]
	scratch_store_b64 v134, v[135:136], off
	scratch_load_b64 v[136:137], v133, off
	v_max_f64 v[134:135], v[8:9], v[8:9]
	v_min_f64 v[134:135], v[134:135], v[138:139]
	s_waitcnt vmcnt(0)
	s_delay_alu instid0(VALU_DEP_1) | instskip(SKIP_4) | instid1(VALU_DEP_1)
	v_add_f64 v[134:135], v[134:135], v[136:137]
	v_mov_b32_e32 v137, 0x100
	scratch_store_b64 v133, v[134:135], off
	scratch_load_b64 v[135:136], v132, off
	v_max_f64 v[133:134], v[10:11], v[10:11]
	v_min_f64 v[133:134], v[133:134], v[138:139]
	s_waitcnt vmcnt(0)
	s_delay_alu instid0(VALU_DEP_1) | instskip(SKIP_4) | instid1(VALU_DEP_1)
	v_add_f64 v[133:134], v[133:134], v[135:136]
	v_mov_b32_e32 v136, 0x108
	;; [unrolled: 8-line block ×27, first 2 shown]
	scratch_store_b64 v107, v[108:109], off
	scratch_load_b64 v[109:110], v76, off
	v_max_f64 v[107:108], v[62:63], v[62:63]
	v_min_f64 v[107:108], v[107:108], v[138:139]
	s_waitcnt vmcnt(0)
	s_delay_alu instid0(VALU_DEP_1)
	v_add_f64 v[107:108], v[107:108], v[109:110]
	v_mov_b32_e32 v110, 0x1d8
	v_mov_b32_e32 v109, 0x1e0
	scratch_store_b64 v76, v[107:108], off
	v_mov_b32_e32 v108, 0x1e8
	v_mov_b32_e32 v107, 0x1f0
	;; [unrolled: 1-line block ×3, first 2 shown]
	s_cbranch_vccnz .LBB136_25
; %bb.26:                               ;   in Loop: Header=BB136_18 Depth=1
	ds_store_2addr_stride64_b64 v99, v[86:87], v[88:89] offset1:4
	ds_store_2addr_stride64_b64 v101, v[90:91], v[92:93] offset1:4
	s_waitcnt lgkmcnt(0)
	s_waitcnt_vscnt null, 0x0
	s_barrier
	buffer_gl0_inv
	s_clause 0x1
	flat_load_b64 v[78:79], v[78:79] offset:32
	flat_load_b64 v[80:81], v[80:81] offset:32
	s_clause 0x1
	flat_load_b64 v[82:83], v[82:83] offset:32
	flat_load_b64 v[84:85], v[84:85] offset:32
	v_dual_mov_b32 v129, 8 :: v_dual_add_nc_u32 v76, 0x800, v98
	ds_load_2addr_b64 v[0:3], v98 offset1:16
	ds_load_2addr_b64 v[4:7], v98 offset0:32 offset1:48
	ds_load_2addr_b64 v[8:11], v98 offset0:64 offset1:80
	;; [unrolled: 1-line block ×7, first 2 shown]
	ds_load_2addr_b64 v[32:35], v76 offset1:16
	ds_load_2addr_b64 v[36:39], v76 offset0:32 offset1:48
	ds_load_2addr_b64 v[40:43], v76 offset0:64 offset1:80
	;; [unrolled: 1-line block ×7, first 2 shown]
	ds_load_2addr_stride64_b64 v[64:67], v100 offset1:4
	v_dual_mov_b32 v130, 0 :: v_dual_mov_b32 v127, 24
	v_dual_mov_b32 v128, 16 :: v_dual_mov_b32 v125, 40
	;; [unrolled: 1-line block ×5, first 2 shown]
	v_mov_b32_e32 v120, 0x50
	v_mov_b32_e32 v118, 0x60
	;; [unrolled: 1-line block ×21, first 2 shown]
	s_mov_b64 s[10:11], 0
	s_mov_b32 s20, -1
.LBB136_27:                             ;   Parent Loop BB136_18 Depth=1
                                        ; =>  This Inner Loop Header: Depth=2
	scratch_load_b64 v[135:136], v130, off
	s_cmp_eq_u32 s10, 1
	s_waitcnt lgkmcnt(16)
	v_max_f64 v[133:134], v[0:1], v[0:1]
	s_cselect_b32 vcc_lo, -1, 0
	s_mov_b64 s[10:11], 1
	s_waitcnt lgkmcnt(0)
	v_dual_cndmask_b32 v132, v65, v67 :: v_dual_cndmask_b32 v131, v64, v66
	s_and_b32 vcc_lo, exec_lo, s20
	s_mov_b32 s20, 0
	s_delay_alu instid0(VALU_DEP_1) | instskip(NEXT) | instid1(VALU_DEP_1)
	v_max_f64 v[131:132], v[131:132], v[131:132]
	v_min_f64 v[133:134], v[133:134], v[131:132]
	s_waitcnt vmcnt(0)
	s_delay_alu instid0(VALU_DEP_1) | instskip(SKIP_3) | instid1(VALU_DEP_1)
	v_add_f64 v[133:134], v[135:136], v[133:134]
	scratch_load_b64 v[135:136], v129, off
	scratch_store_b64 v130, v[133:134], off
	v_max_f64 v[133:134], v[2:3], v[2:3]
	v_min_f64 v[133:134], v[133:134], v[131:132]
	s_waitcnt vmcnt(0)
	s_delay_alu instid0(VALU_DEP_1) | instskip(SKIP_3) | instid1(VALU_DEP_1)
	v_add_f64 v[133:134], v[133:134], v[135:136]
	scratch_store_b64 v129, v[133:134], off
	scratch_load_b64 v[133:134], v128, off
	v_max_f64 v[129:130], v[4:5], v[4:5]
	v_min_f64 v[129:130], v[129:130], v[131:132]
	s_waitcnt vmcnt(0)
	s_delay_alu instid0(VALU_DEP_1) | instskip(SKIP_3) | instid1(VALU_DEP_1)
	v_add_f64 v[129:130], v[129:130], v[133:134]
	scratch_load_b64 v[133:134], v127, off
	scratch_store_b64 v128, v[129:130], off
	v_max_f64 v[128:129], v[6:7], v[6:7]
	v_min_f64 v[128:129], v[128:129], v[131:132]
	s_waitcnt vmcnt(0)
	s_delay_alu instid0(VALU_DEP_1) | instskip(SKIP_3) | instid1(VALU_DEP_1)
	v_add_f64 v[128:129], v[128:129], v[133:134]
	scratch_store_b64 v127, v[128:129], off
	scratch_load_b64 v[129:130], v126, off
	v_max_f64 v[127:128], v[8:9], v[8:9]
	v_min_f64 v[127:128], v[127:128], v[131:132]
	s_waitcnt vmcnt(0)
	s_delay_alu instid0(VALU_DEP_1) | instskip(SKIP_4) | instid1(VALU_DEP_1)
	v_add_f64 v[127:128], v[127:128], v[129:130]
	v_mov_b32_e32 v130, 0x100
	scratch_store_b64 v126, v[127:128], off
	scratch_load_b64 v[128:129], v125, off
	v_max_f64 v[126:127], v[10:11], v[10:11]
	v_min_f64 v[126:127], v[126:127], v[131:132]
	s_waitcnt vmcnt(0)
	s_delay_alu instid0(VALU_DEP_1) | instskip(SKIP_4) | instid1(VALU_DEP_1)
	v_add_f64 v[126:127], v[126:127], v[128:129]
	v_mov_b32_e32 v129, 0x108
	;; [unrolled: 8-line block ×20, first 2 shown]
	scratch_store_b64 v107, v[108:109], off
	scratch_load_b64 v[109:110], v93, off
	v_max_f64 v[107:108], v[48:49], v[48:49]
	v_min_f64 v[107:108], v[107:108], v[131:132]
	s_waitcnt vmcnt(0)
	s_delay_alu instid0(VALU_DEP_1) | instskip(SKIP_3) | instid1(VALU_DEP_1)
	v_add_f64 v[107:108], v[107:108], v[109:110]
	scratch_load_b64 v[109:110], v92, off
	scratch_store_b64 v93, v[107:108], off
	v_max_f64 v[107:108], v[50:51], v[50:51]
	v_min_f64 v[107:108], v[107:108], v[131:132]
	s_waitcnt vmcnt(0)
	s_delay_alu instid0(VALU_DEP_1)
	v_add_f64 v[107:108], v[107:108], v[109:110]
	v_mov_b32_e32 v110, 0x1a0
	v_mov_b32_e32 v109, 0x1a8
	scratch_store_b64 v92, v[107:108], off
	scratch_load_b64 v[107:108], v91, off
	v_max_f64 v[92:93], v[52:53], v[52:53]
	s_delay_alu instid0(VALU_DEP_1) | instskip(SKIP_1) | instid1(VALU_DEP_1)
	v_min_f64 v[92:93], v[92:93], v[131:132]
	s_waitcnt vmcnt(0)
	v_add_f64 v[92:93], v[92:93], v[107:108]
	scratch_load_b64 v[107:108], v90, off
	scratch_store_b64 v91, v[92:93], off
	v_max_f64 v[91:92], v[54:55], v[54:55]
	s_delay_alu instid0(VALU_DEP_1) | instskip(SKIP_1) | instid1(VALU_DEP_1)
	v_min_f64 v[91:92], v[91:92], v[131:132]
	s_waitcnt vmcnt(0)
	v_add_f64 v[91:92], v[91:92], v[107:108]
	v_mov_b32_e32 v108, 0x1b0
	v_mov_b32_e32 v107, 0x1b8
	scratch_store_b64 v90, v[91:92], off
	scratch_load_b64 v[92:93], v89, off
	v_max_f64 v[90:91], v[56:57], v[56:57]
	s_delay_alu instid0(VALU_DEP_1) | instskip(SKIP_1) | instid1(VALU_DEP_1)
	v_min_f64 v[90:91], v[90:91], v[131:132]
	s_waitcnt vmcnt(0)
	v_add_f64 v[90:91], v[90:91], v[92:93]
	v_mov_b32_e32 v93, 0x1c0
	scratch_store_b64 v89, v[90:91], off
	scratch_load_b64 v[91:92], v88, off
	v_max_f64 v[89:90], v[58:59], v[58:59]
	s_delay_alu instid0(VALU_DEP_1) | instskip(SKIP_1) | instid1(VALU_DEP_1)
	v_min_f64 v[89:90], v[89:90], v[131:132]
	s_waitcnt vmcnt(0)
	v_add_f64 v[89:90], v[89:90], v[91:92]
	;; [unrolled: 8-line block ×4, first 2 shown]
	v_mov_b32_e32 v90, 0x1d8
	v_mov_b32_e32 v89, 0x1e0
	scratch_store_b64 v86, v[87:88], off
	v_mov_b32_e32 v88, 0x1e8
	v_mov_b32_e32 v87, 0x1f0
	;; [unrolled: 1-line block ×3, first 2 shown]
	s_cbranch_vccnz .LBB136_27
; %bb.28:                               ;   in Loop: Header=BB136_18 Depth=1
	ds_load_2addr_b64 v[0:3], v98 offset0:1 offset1:17
	ds_load_2addr_b64 v[4:7], v98 offset0:33 offset1:49
	;; [unrolled: 1-line block ×12, first 2 shown]
	v_dual_mov_b32 v129, 8 :: v_dual_add_nc_u32 v64, 8, v100
	ds_load_2addr_b64 v[48:51], v76 offset0:129 offset1:145
	ds_load_2addr_b64 v[52:55], v76 offset0:161 offset1:177
	;; [unrolled: 1-line block ×4, first 2 shown]
	ds_load_2addr_stride64_b64 v[64:67], v64 offset1:4
	v_dual_mov_b32 v130, 0 :: v_dual_mov_b32 v127, 24
	v_dual_mov_b32 v128, 16 :: v_dual_mov_b32 v125, 40
	;; [unrolled: 1-line block ×5, first 2 shown]
	v_mov_b32_e32 v120, 0x50
	v_mov_b32_e32 v118, 0x60
	;; [unrolled: 1-line block ×21, first 2 shown]
	s_mov_b64 s[10:11], 0
	s_mov_b32 s20, -1
.LBB136_29:                             ;   Parent Loop BB136_18 Depth=1
                                        ; =>  This Inner Loop Header: Depth=2
	scratch_load_b64 v[135:136], v130, off
	s_cmp_eq_u32 s10, 1
	s_waitcnt lgkmcnt(16)
	v_max_f64 v[133:134], v[0:1], v[0:1]
	s_cselect_b32 vcc_lo, -1, 0
	s_mov_b64 s[10:11], 1
	s_waitcnt lgkmcnt(0)
	v_dual_cndmask_b32 v132, v65, v67 :: v_dual_cndmask_b32 v131, v64, v66
	s_and_b32 vcc_lo, exec_lo, s20
	s_mov_b32 s20, 0
	s_delay_alu instid0(VALU_DEP_1) | instskip(NEXT) | instid1(VALU_DEP_1)
	v_max_f64 v[131:132], v[131:132], v[131:132]
	v_min_f64 v[133:134], v[133:134], v[131:132]
	s_waitcnt vmcnt(0)
	s_delay_alu instid0(VALU_DEP_1) | instskip(SKIP_3) | instid1(VALU_DEP_1)
	v_add_f64 v[133:134], v[135:136], v[133:134]
	scratch_load_b64 v[135:136], v129, off
	scratch_store_b64 v130, v[133:134], off
	v_max_f64 v[133:134], v[2:3], v[2:3]
	v_min_f64 v[133:134], v[133:134], v[131:132]
	s_waitcnt vmcnt(0)
	s_delay_alu instid0(VALU_DEP_1) | instskip(SKIP_3) | instid1(VALU_DEP_1)
	v_add_f64 v[133:134], v[133:134], v[135:136]
	scratch_store_b64 v129, v[133:134], off
	scratch_load_b64 v[133:134], v128, off
	v_max_f64 v[129:130], v[4:5], v[4:5]
	v_min_f64 v[129:130], v[129:130], v[131:132]
	s_waitcnt vmcnt(0)
	s_delay_alu instid0(VALU_DEP_1) | instskip(SKIP_3) | instid1(VALU_DEP_1)
	v_add_f64 v[129:130], v[129:130], v[133:134]
	scratch_load_b64 v[133:134], v127, off
	scratch_store_b64 v128, v[129:130], off
	v_max_f64 v[128:129], v[6:7], v[6:7]
	v_min_f64 v[128:129], v[128:129], v[131:132]
	s_waitcnt vmcnt(0)
	s_delay_alu instid0(VALU_DEP_1) | instskip(SKIP_3) | instid1(VALU_DEP_1)
	v_add_f64 v[128:129], v[128:129], v[133:134]
	scratch_store_b64 v127, v[128:129], off
	scratch_load_b64 v[129:130], v126, off
	v_max_f64 v[127:128], v[8:9], v[8:9]
	v_min_f64 v[127:128], v[127:128], v[131:132]
	s_waitcnt vmcnt(0)
	s_delay_alu instid0(VALU_DEP_1) | instskip(SKIP_4) | instid1(VALU_DEP_1)
	v_add_f64 v[127:128], v[127:128], v[129:130]
	v_mov_b32_e32 v130, 0x100
	scratch_store_b64 v126, v[127:128], off
	scratch_load_b64 v[128:129], v125, off
	v_max_f64 v[126:127], v[10:11], v[10:11]
	v_min_f64 v[126:127], v[126:127], v[131:132]
	s_waitcnt vmcnt(0)
	s_delay_alu instid0(VALU_DEP_1) | instskip(SKIP_4) | instid1(VALU_DEP_1)
	v_add_f64 v[126:127], v[126:127], v[128:129]
	v_mov_b32_e32 v129, 0x108
	;; [unrolled: 8-line block ×20, first 2 shown]
	scratch_store_b64 v107, v[108:109], off
	scratch_load_b64 v[109:110], v93, off
	v_max_f64 v[107:108], v[48:49], v[48:49]
	v_min_f64 v[107:108], v[107:108], v[131:132]
	s_waitcnt vmcnt(0)
	s_delay_alu instid0(VALU_DEP_1) | instskip(SKIP_3) | instid1(VALU_DEP_1)
	v_add_f64 v[107:108], v[107:108], v[109:110]
	scratch_load_b64 v[109:110], v92, off
	scratch_store_b64 v93, v[107:108], off
	v_max_f64 v[107:108], v[50:51], v[50:51]
	v_min_f64 v[107:108], v[107:108], v[131:132]
	s_waitcnt vmcnt(0)
	s_delay_alu instid0(VALU_DEP_1)
	v_add_f64 v[107:108], v[107:108], v[109:110]
	v_mov_b32_e32 v110, 0x1a0
	v_mov_b32_e32 v109, 0x1a8
	scratch_store_b64 v92, v[107:108], off
	scratch_load_b64 v[107:108], v91, off
	v_max_f64 v[92:93], v[52:53], v[52:53]
	s_delay_alu instid0(VALU_DEP_1) | instskip(SKIP_1) | instid1(VALU_DEP_1)
	v_min_f64 v[92:93], v[92:93], v[131:132]
	s_waitcnt vmcnt(0)
	v_add_f64 v[92:93], v[92:93], v[107:108]
	scratch_load_b64 v[107:108], v90, off
	scratch_store_b64 v91, v[92:93], off
	v_max_f64 v[91:92], v[54:55], v[54:55]
	s_delay_alu instid0(VALU_DEP_1) | instskip(SKIP_1) | instid1(VALU_DEP_1)
	v_min_f64 v[91:92], v[91:92], v[131:132]
	s_waitcnt vmcnt(0)
	v_add_f64 v[91:92], v[91:92], v[107:108]
	v_mov_b32_e32 v108, 0x1b0
	v_mov_b32_e32 v107, 0x1b8
	scratch_store_b64 v90, v[91:92], off
	scratch_load_b64 v[92:93], v89, off
	v_max_f64 v[90:91], v[56:57], v[56:57]
	s_delay_alu instid0(VALU_DEP_1) | instskip(SKIP_1) | instid1(VALU_DEP_1)
	v_min_f64 v[90:91], v[90:91], v[131:132]
	s_waitcnt vmcnt(0)
	v_add_f64 v[90:91], v[90:91], v[92:93]
	v_mov_b32_e32 v93, 0x1c0
	scratch_store_b64 v89, v[90:91], off
	scratch_load_b64 v[91:92], v88, off
	v_max_f64 v[89:90], v[58:59], v[58:59]
	s_delay_alu instid0(VALU_DEP_1) | instskip(SKIP_1) | instid1(VALU_DEP_1)
	v_min_f64 v[89:90], v[89:90], v[131:132]
	s_waitcnt vmcnt(0)
	v_add_f64 v[89:90], v[89:90], v[91:92]
	;; [unrolled: 8-line block ×4, first 2 shown]
	v_mov_b32_e32 v90, 0x1d8
	v_mov_b32_e32 v89, 0x1e0
	scratch_store_b64 v86, v[87:88], off
	v_mov_b32_e32 v88, 0x1e8
	v_mov_b32_e32 v87, 0x1f0
	;; [unrolled: 1-line block ×3, first 2 shown]
	s_cbranch_vccnz .LBB136_29
; %bb.30:                               ;   in Loop: Header=BB136_18 Depth=1
	ds_load_2addr_b64 v[0:3], v98 offset0:2 offset1:18
	ds_load_2addr_b64 v[4:7], v98 offset0:34 offset1:50
	;; [unrolled: 1-line block ×12, first 2 shown]
	v_dual_mov_b32 v129, 8 :: v_dual_add_nc_u32 v64, 16, v100
	ds_load_2addr_b64 v[48:51], v76 offset0:130 offset1:146
	ds_load_2addr_b64 v[52:55], v76 offset0:162 offset1:178
	;; [unrolled: 1-line block ×4, first 2 shown]
	ds_load_2addr_stride64_b64 v[64:67], v64 offset1:4
	v_dual_mov_b32 v130, 0 :: v_dual_mov_b32 v127, 24
	v_dual_mov_b32 v128, 16 :: v_dual_mov_b32 v125, 40
	;; [unrolled: 1-line block ×5, first 2 shown]
	v_mov_b32_e32 v120, 0x50
	v_mov_b32_e32 v118, 0x60
	;; [unrolled: 1-line block ×21, first 2 shown]
	s_mov_b64 s[10:11], 0
	s_mov_b32 s20, -1
.LBB136_31:                             ;   Parent Loop BB136_18 Depth=1
                                        ; =>  This Inner Loop Header: Depth=2
	scratch_load_b64 v[135:136], v130, off
	s_cmp_eq_u32 s10, 1
	s_waitcnt lgkmcnt(16)
	v_max_f64 v[133:134], v[0:1], v[0:1]
	s_cselect_b32 vcc_lo, -1, 0
	s_mov_b64 s[10:11], 1
	s_waitcnt lgkmcnt(0)
	v_dual_cndmask_b32 v132, v65, v67 :: v_dual_cndmask_b32 v131, v64, v66
	s_and_b32 vcc_lo, exec_lo, s20
	s_mov_b32 s20, 0
	s_delay_alu instid0(VALU_DEP_1) | instskip(NEXT) | instid1(VALU_DEP_1)
	v_max_f64 v[131:132], v[131:132], v[131:132]
	v_min_f64 v[133:134], v[133:134], v[131:132]
	s_waitcnt vmcnt(0)
	s_delay_alu instid0(VALU_DEP_1) | instskip(SKIP_3) | instid1(VALU_DEP_1)
	v_add_f64 v[133:134], v[135:136], v[133:134]
	scratch_load_b64 v[135:136], v129, off
	scratch_store_b64 v130, v[133:134], off
	v_max_f64 v[133:134], v[2:3], v[2:3]
	v_min_f64 v[133:134], v[133:134], v[131:132]
	s_waitcnt vmcnt(0)
	s_delay_alu instid0(VALU_DEP_1) | instskip(SKIP_3) | instid1(VALU_DEP_1)
	v_add_f64 v[133:134], v[133:134], v[135:136]
	scratch_store_b64 v129, v[133:134], off
	scratch_load_b64 v[133:134], v128, off
	v_max_f64 v[129:130], v[4:5], v[4:5]
	v_min_f64 v[129:130], v[129:130], v[131:132]
	s_waitcnt vmcnt(0)
	s_delay_alu instid0(VALU_DEP_1) | instskip(SKIP_3) | instid1(VALU_DEP_1)
	v_add_f64 v[129:130], v[129:130], v[133:134]
	scratch_load_b64 v[133:134], v127, off
	scratch_store_b64 v128, v[129:130], off
	v_max_f64 v[128:129], v[6:7], v[6:7]
	v_min_f64 v[128:129], v[128:129], v[131:132]
	s_waitcnt vmcnt(0)
	s_delay_alu instid0(VALU_DEP_1) | instskip(SKIP_3) | instid1(VALU_DEP_1)
	v_add_f64 v[128:129], v[128:129], v[133:134]
	scratch_store_b64 v127, v[128:129], off
	scratch_load_b64 v[129:130], v126, off
	v_max_f64 v[127:128], v[8:9], v[8:9]
	v_min_f64 v[127:128], v[127:128], v[131:132]
	s_waitcnt vmcnt(0)
	s_delay_alu instid0(VALU_DEP_1) | instskip(SKIP_4) | instid1(VALU_DEP_1)
	v_add_f64 v[127:128], v[127:128], v[129:130]
	v_mov_b32_e32 v130, 0x100
	scratch_store_b64 v126, v[127:128], off
	scratch_load_b64 v[128:129], v125, off
	v_max_f64 v[126:127], v[10:11], v[10:11]
	v_min_f64 v[126:127], v[126:127], v[131:132]
	s_waitcnt vmcnt(0)
	s_delay_alu instid0(VALU_DEP_1) | instskip(SKIP_4) | instid1(VALU_DEP_1)
	v_add_f64 v[126:127], v[126:127], v[128:129]
	v_mov_b32_e32 v129, 0x108
	;; [unrolled: 8-line block ×20, first 2 shown]
	scratch_store_b64 v107, v[108:109], off
	scratch_load_b64 v[109:110], v93, off
	v_max_f64 v[107:108], v[48:49], v[48:49]
	v_min_f64 v[107:108], v[107:108], v[131:132]
	s_waitcnt vmcnt(0)
	s_delay_alu instid0(VALU_DEP_1) | instskip(SKIP_3) | instid1(VALU_DEP_1)
	v_add_f64 v[107:108], v[107:108], v[109:110]
	scratch_load_b64 v[109:110], v92, off
	scratch_store_b64 v93, v[107:108], off
	v_max_f64 v[107:108], v[50:51], v[50:51]
	v_min_f64 v[107:108], v[107:108], v[131:132]
	s_waitcnt vmcnt(0)
	s_delay_alu instid0(VALU_DEP_1)
	v_add_f64 v[107:108], v[107:108], v[109:110]
	v_mov_b32_e32 v110, 0x1a0
	v_mov_b32_e32 v109, 0x1a8
	scratch_store_b64 v92, v[107:108], off
	scratch_load_b64 v[107:108], v91, off
	v_max_f64 v[92:93], v[52:53], v[52:53]
	s_delay_alu instid0(VALU_DEP_1) | instskip(SKIP_1) | instid1(VALU_DEP_1)
	v_min_f64 v[92:93], v[92:93], v[131:132]
	s_waitcnt vmcnt(0)
	v_add_f64 v[92:93], v[92:93], v[107:108]
	scratch_load_b64 v[107:108], v90, off
	scratch_store_b64 v91, v[92:93], off
	v_max_f64 v[91:92], v[54:55], v[54:55]
	s_delay_alu instid0(VALU_DEP_1) | instskip(SKIP_1) | instid1(VALU_DEP_1)
	v_min_f64 v[91:92], v[91:92], v[131:132]
	s_waitcnt vmcnt(0)
	v_add_f64 v[91:92], v[91:92], v[107:108]
	v_mov_b32_e32 v108, 0x1b0
	v_mov_b32_e32 v107, 0x1b8
	scratch_store_b64 v90, v[91:92], off
	scratch_load_b64 v[92:93], v89, off
	v_max_f64 v[90:91], v[56:57], v[56:57]
	s_delay_alu instid0(VALU_DEP_1) | instskip(SKIP_1) | instid1(VALU_DEP_1)
	v_min_f64 v[90:91], v[90:91], v[131:132]
	s_waitcnt vmcnt(0)
	v_add_f64 v[90:91], v[90:91], v[92:93]
	v_mov_b32_e32 v93, 0x1c0
	scratch_store_b64 v89, v[90:91], off
	scratch_load_b64 v[91:92], v88, off
	v_max_f64 v[89:90], v[58:59], v[58:59]
	s_delay_alu instid0(VALU_DEP_1) | instskip(SKIP_1) | instid1(VALU_DEP_1)
	v_min_f64 v[89:90], v[89:90], v[131:132]
	s_waitcnt vmcnt(0)
	v_add_f64 v[89:90], v[89:90], v[91:92]
	;; [unrolled: 8-line block ×4, first 2 shown]
	v_mov_b32_e32 v90, 0x1d8
	v_mov_b32_e32 v89, 0x1e0
	scratch_store_b64 v86, v[87:88], off
	v_mov_b32_e32 v88, 0x1e8
	v_mov_b32_e32 v87, 0x1f0
	;; [unrolled: 1-line block ×3, first 2 shown]
	s_cbranch_vccnz .LBB136_31
; %bb.32:                               ;   in Loop: Header=BB136_18 Depth=1
	ds_load_2addr_b64 v[0:3], v98 offset0:3 offset1:19
	ds_load_2addr_b64 v[4:7], v98 offset0:35 offset1:51
	;; [unrolled: 1-line block ×12, first 2 shown]
	v_dual_mov_b32 v129, 0 :: v_dual_add_nc_u32 v64, 24, v100
	ds_load_2addr_b64 v[48:51], v76 offset0:131 offset1:147
	ds_load_2addr_b64 v[52:55], v76 offset0:163 offset1:179
	;; [unrolled: 1-line block ×4, first 2 shown]
	ds_load_2addr_stride64_b64 v[64:67], v64 offset1:4
	v_dual_mov_b32 v128, 8 :: v_dual_mov_b32 v127, 16
	v_dual_mov_b32 v126, 24 :: v_dual_mov_b32 v125, 32
	;; [unrolled: 1-line block ×4, first 2 shown]
	v_mov_b32_e32 v120, 0x48
	v_mov_b32_e32 v119, 0x50
	;; [unrolled: 1-line block ×23, first 2 shown]
	s_mov_b64 s[10:11], 0
	s_mov_b32 s20, -1
.LBB136_33:                             ;   Parent Loop BB136_18 Depth=1
                                        ; =>  This Inner Loop Header: Depth=2
	scratch_load_b64 v[134:135], v129, off
	s_cmp_eq_u32 s10, 1
	s_waitcnt lgkmcnt(16)
	v_max_f64 v[132:133], v[0:1], v[0:1]
	s_cselect_b32 vcc_lo, -1, 0
	s_mov_b64 s[10:11], 1
	s_waitcnt lgkmcnt(0)
	v_dual_cndmask_b32 v131, v65, v67 :: v_dual_cndmask_b32 v130, v64, v66
	s_and_b32 vcc_lo, exec_lo, s20
	s_mov_b32 s20, 0
	s_delay_alu instid0(VALU_DEP_1) | instskip(NEXT) | instid1(VALU_DEP_1)
	v_max_f64 v[130:131], v[130:131], v[130:131]
	v_min_f64 v[132:133], v[132:133], v[130:131]
	s_waitcnt vmcnt(0)
	s_delay_alu instid0(VALU_DEP_1) | instskip(SKIP_3) | instid1(VALU_DEP_1)
	v_add_f64 v[132:133], v[134:135], v[132:133]
	scratch_load_b64 v[134:135], v128, off
	scratch_store_b64 v129, v[132:133], off
	v_max_f64 v[132:133], v[2:3], v[2:3]
	v_min_f64 v[132:133], v[132:133], v[130:131]
	s_waitcnt vmcnt(0)
	s_delay_alu instid0(VALU_DEP_1) | instskip(SKIP_3) | instid1(VALU_DEP_1)
	v_add_f64 v[132:133], v[132:133], v[134:135]
	scratch_store_b64 v128, v[132:133], off
	scratch_load_b64 v[132:133], v127, off
	v_max_f64 v[128:129], v[4:5], v[4:5]
	v_min_f64 v[128:129], v[128:129], v[130:131]
	s_waitcnt vmcnt(0)
	s_delay_alu instid0(VALU_DEP_1) | instskip(SKIP_3) | instid1(VALU_DEP_1)
	v_add_f64 v[128:129], v[128:129], v[132:133]
	scratch_load_b64 v[132:133], v126, off
	scratch_store_b64 v127, v[128:129], off
	v_max_f64 v[127:128], v[6:7], v[6:7]
	v_min_f64 v[127:128], v[127:128], v[130:131]
	s_waitcnt vmcnt(0)
	s_delay_alu instid0(VALU_DEP_1) | instskip(SKIP_3) | instid1(VALU_DEP_1)
	v_add_f64 v[127:128], v[127:128], v[132:133]
	scratch_store_b64 v126, v[127:128], off
	scratch_load_b64 v[128:129], v125, off
	v_max_f64 v[126:127], v[8:9], v[8:9]
	v_min_f64 v[126:127], v[126:127], v[130:131]
	s_waitcnt vmcnt(0)
	s_delay_alu instid0(VALU_DEP_1) | instskip(SKIP_4) | instid1(VALU_DEP_1)
	v_add_f64 v[126:127], v[126:127], v[128:129]
	v_mov_b32_e32 v129, 0x100
	scratch_store_b64 v125, v[126:127], off
	scratch_load_b64 v[127:128], v124, off
	v_max_f64 v[125:126], v[10:11], v[10:11]
	v_min_f64 v[125:126], v[125:126], v[130:131]
	s_waitcnt vmcnt(0)
	s_delay_alu instid0(VALU_DEP_1) | instskip(SKIP_4) | instid1(VALU_DEP_1)
	v_add_f64 v[125:126], v[125:126], v[127:128]
	v_mov_b32_e32 v128, 0x108
	;; [unrolled: 8-line block ×19, first 2 shown]
	scratch_store_b64 v107, v[108:109], off
	scratch_load_b64 v[109:110], v93, off
	v_max_f64 v[107:108], v[46:47], v[46:47]
	v_min_f64 v[107:108], v[107:108], v[130:131]
	s_waitcnt vmcnt(0)
	s_delay_alu instid0(VALU_DEP_1) | instskip(SKIP_3) | instid1(VALU_DEP_1)
	v_add_f64 v[107:108], v[107:108], v[109:110]
	scratch_load_b64 v[109:110], v92, off
	scratch_store_b64 v93, v[107:108], off
	v_max_f64 v[107:108], v[48:49], v[48:49]
	v_min_f64 v[107:108], v[107:108], v[130:131]
	s_waitcnt vmcnt(0)
	s_delay_alu instid0(VALU_DEP_1)
	v_add_f64 v[107:108], v[107:108], v[109:110]
	v_mov_b32_e32 v110, 0x198
	v_mov_b32_e32 v109, 0x1a0
	scratch_store_b64 v92, v[107:108], off
	scratch_load_b64 v[107:108], v91, off
	v_max_f64 v[92:93], v[50:51], v[50:51]
	s_delay_alu instid0(VALU_DEP_1) | instskip(SKIP_1) | instid1(VALU_DEP_1)
	v_min_f64 v[92:93], v[92:93], v[130:131]
	s_waitcnt vmcnt(0)
	v_add_f64 v[92:93], v[92:93], v[107:108]
	scratch_load_b64 v[107:108], v90, off
	scratch_store_b64 v91, v[92:93], off
	v_max_f64 v[91:92], v[52:53], v[52:53]
	s_delay_alu instid0(VALU_DEP_1) | instskip(SKIP_1) | instid1(VALU_DEP_1)
	v_min_f64 v[91:92], v[91:92], v[130:131]
	s_waitcnt vmcnt(0)
	v_add_f64 v[91:92], v[91:92], v[107:108]
	v_mov_b32_e32 v108, 0x1a8
	v_mov_b32_e32 v107, 0x1b0
	scratch_store_b64 v90, v[91:92], off
	scratch_load_b64 v[92:93], v89, off
	v_max_f64 v[90:91], v[54:55], v[54:55]
	s_delay_alu instid0(VALU_DEP_1) | instskip(SKIP_1) | instid1(VALU_DEP_1)
	v_min_f64 v[90:91], v[90:91], v[130:131]
	s_waitcnt vmcnt(0)
	v_add_f64 v[90:91], v[90:91], v[92:93]
	v_mov_b32_e32 v93, 0x1b8
	scratch_store_b64 v89, v[90:91], off
	scratch_load_b64 v[91:92], v88, off
	v_max_f64 v[89:90], v[56:57], v[56:57]
	s_delay_alu instid0(VALU_DEP_1) | instskip(SKIP_1) | instid1(VALU_DEP_1)
	v_min_f64 v[89:90], v[89:90], v[130:131]
	s_waitcnt vmcnt(0)
	v_add_f64 v[89:90], v[89:90], v[91:92]
	v_mov_b32_e32 v92, 0x1c0
	scratch_store_b64 v88, v[89:90], off
	scratch_load_b64 v[90:91], v87, off
	v_max_f64 v[88:89], v[58:59], v[58:59]
	s_delay_alu instid0(VALU_DEP_1) | instskip(SKIP_1) | instid1(VALU_DEP_1)
	v_min_f64 v[88:89], v[88:89], v[130:131]
	s_waitcnt vmcnt(0)
	v_add_f64 v[88:89], v[88:89], v[90:91]
	v_mov_b32_e32 v91, 0x1c8
	scratch_store_b64 v87, v[88:89], off
	scratch_load_b64 v[89:90], v86, off
	v_max_f64 v[87:88], v[60:61], v[60:61]
	s_delay_alu instid0(VALU_DEP_1) | instskip(SKIP_1) | instid1(VALU_DEP_1)
	v_min_f64 v[87:88], v[87:88], v[130:131]
	s_waitcnt vmcnt(0)
	v_add_f64 v[87:88], v[87:88], v[89:90]
	v_mov_b32_e32 v90, 0x1d0
	scratch_store_b64 v86, v[87:88], off
	scratch_load_b64 v[88:89], v76, off
	v_max_f64 v[86:87], v[62:63], v[62:63]
	s_delay_alu instid0(VALU_DEP_1) | instskip(SKIP_1) | instid1(VALU_DEP_1)
	v_min_f64 v[86:87], v[86:87], v[130:131]
	s_waitcnt vmcnt(0)
	v_add_f64 v[86:87], v[86:87], v[88:89]
	v_mov_b32_e32 v89, 0x1d8
	v_mov_b32_e32 v88, 0x1e0
	scratch_store_b64 v76, v[86:87], off
	v_mov_b32_e32 v87, 0x1e8
	v_mov_b32_e32 v86, 0x1f0
	;; [unrolled: 1-line block ×3, first 2 shown]
	s_cbranch_vccnz .LBB136_33
; %bb.34:                               ;   in Loop: Header=BB136_18 Depth=1
	s_add_i32 s19, s19, 8
	s_add_i32 s16, s16, 8
	s_cmp_ge_i32 s19, s17
	ds_store_2addr_stride64_b64 v103, v[78:79], v[80:81] offset1:4
	ds_store_2addr_stride64_b64 v104, v[82:83], v[84:85] offset1:4
	s_waitcnt lgkmcnt(0)
	s_waitcnt_vscnt null, 0x0
	s_barrier
	buffer_gl0_inv
	s_cbranch_scc0 .LBB136_18
.LBB136_35:
	v_dual_mov_b32 v71, 8 :: v_dual_add_nc_u32 v28, 0x1000, v98
	v_dual_mov_b32 v75, 40 :: v_dual_add_nc_u32 v60, 0x1800, v98
	;; [unrolled: 1-line block ×3, first 2 shown]
	ds_load_2addr_b64 v[0:3], v28 offset1:16
	ds_load_2addr_b64 v[4:7], v28 offset0:32 offset1:48
	ds_load_2addr_b64 v[8:11], v28 offset0:64 offset1:80
	;; [unrolled: 1-line block ×7, first 2 shown]
	ds_load_2addr_b64 v[32:35], v60 offset1:16
	ds_load_2addr_b64 v[36:39], v60 offset0:32 offset1:48
	ds_load_2addr_b64 v[40:43], v60 offset0:64 offset1:80
	;; [unrolled: 1-line block ×7, first 2 shown]
	ds_load_2addr_stride64_b64 v[64:67], v97 offset0:24 offset1:28
	v_dual_mov_b32 v70, 0 :: v_dual_add_nc_u32 v69, 0x3000, v97
	v_dual_mov_b32 v72, 16 :: v_dual_mov_b32 v77, 56
	v_dual_mov_b32 v74, 32 :: v_dual_mov_b32 v79, 0x48
	;; [unrolled: 1-line block ×4, first 2 shown]
	v_mov_b32_e32 v80, 0x50
	v_mov_b32_e32 v82, 0x60
	;; [unrolled: 1-line block ×20, first 2 shown]
	s_mov_b64 s[2:3], 0
	s_mov_b32 s10, -1
.LBB136_36:                             ; =>This Inner Loop Header: Depth=1
	scratch_load_b64 v[104:105], v70, off
	scratch_load_b64 v[106:107], v71, off
	;; [unrolled: 1-line block ×32, first 2 shown]
	s_cmp_eq_u32 s2, 1
	s_waitcnt lgkmcnt(16)
	v_max_f64 v[170:171], v[0:1], v[0:1]
	s_cselect_b32 vcc_lo, -1, 0
	v_max_f64 v[172:173], v[2:3], v[2:3]
	s_waitcnt lgkmcnt(0)
	v_dual_cndmask_b32 v169, v65, v67 :: v_dual_cndmask_b32 v168, v64, v66
	v_max_f64 v[174:175], v[4:5], v[4:5]
	v_max_f64 v[176:177], v[6:7], v[6:7]
	;; [unrolled: 1-line block ×31, first 2 shown]
	s_mov_b64 s[2:3], 1
	s_and_b32 vcc_lo, exec_lo, s10
	s_mov_b32 s10, 0
	v_min_f64 v[170:171], v[170:171], v[168:169]
	v_min_f64 v[172:173], v[172:173], v[168:169]
	;; [unrolled: 1-line block ×32, first 2 shown]
	s_waitcnt vmcnt(31)
	v_add_f64 v[104:105], v[104:105], v[170:171]
	s_waitcnt vmcnt(30)
	v_add_f64 v[106:107], v[172:173], v[106:107]
	;; [unrolled: 2-line block ×32, first 2 shown]
	scratch_store_b64 v70, v[104:105], off
	scratch_store_b64 v71, v[106:107], off
	;; [unrolled: 1-line block ×32, first 2 shown]
	v_mov_b32_e32 v70, 0x100
	v_mov_b32_e32 v71, 0x108
	;; [unrolled: 1-line block ×32, first 2 shown]
	s_cbranch_vccnz .LBB136_36
; %bb.37:
	v_dual_mov_b32 v71, 8 :: v_dual_add_nc_u32 v60, 0x800, v68
	ds_load_2addr_b64 v[0:3], v68 offset0:1 offset1:17
	ds_load_2addr_b64 v[4:7], v68 offset0:33 offset1:49
	;; [unrolled: 1-line block ×12, first 2 shown]
	v_dual_mov_b32 v73, 24 :: v_dual_add_nc_u32 v64, 8, v69
	ds_load_2addr_b64 v[48:51], v60 offset0:129 offset1:145
	ds_load_2addr_b64 v[52:55], v60 offset0:161 offset1:177
	;; [unrolled: 1-line block ×4, first 2 shown]
	ds_load_2addr_stride64_b64 v[64:67], v64 offset1:4
	v_dual_mov_b32 v70, 0 :: v_dual_mov_b32 v75, 40
	v_dual_mov_b32 v72, 16 :: v_dual_mov_b32 v77, 56
	v_dual_mov_b32 v74, 32 :: v_dual_mov_b32 v79, 0x48
	v_dual_mov_b32 v76, 48 :: v_dual_mov_b32 v81, 0x58
	v_dual_mov_b32 v78, 64 :: v_dual_mov_b32 v83, 0x68
	v_mov_b32_e32 v80, 0x50
	v_mov_b32_e32 v82, 0x60
	;; [unrolled: 1-line block ×20, first 2 shown]
	s_mov_b64 s[2:3], 0
	s_mov_b32 s10, -1
.LBB136_38:                             ; =>This Inner Loop Header: Depth=1
	scratch_load_b64 v[104:105], v70, off
	scratch_load_b64 v[106:107], v71, off
	;; [unrolled: 1-line block ×32, first 2 shown]
	s_cmp_eq_u32 s2, 1
	s_waitcnt lgkmcnt(16)
	v_max_f64 v[170:171], v[0:1], v[0:1]
	s_cselect_b32 vcc_lo, -1, 0
	v_max_f64 v[172:173], v[2:3], v[2:3]
	s_waitcnt lgkmcnt(0)
	v_dual_cndmask_b32 v169, v65, v67 :: v_dual_cndmask_b32 v168, v64, v66
	v_max_f64 v[174:175], v[4:5], v[4:5]
	v_max_f64 v[176:177], v[6:7], v[6:7]
	;; [unrolled: 1-line block ×31, first 2 shown]
	s_mov_b64 s[2:3], 1
	s_and_b32 vcc_lo, exec_lo, s10
	s_mov_b32 s10, 0
	v_min_f64 v[170:171], v[170:171], v[168:169]
	v_min_f64 v[172:173], v[172:173], v[168:169]
	;; [unrolled: 1-line block ×32, first 2 shown]
	s_waitcnt vmcnt(31)
	v_add_f64 v[104:105], v[104:105], v[170:171]
	s_waitcnt vmcnt(30)
	v_add_f64 v[106:107], v[172:173], v[106:107]
	;; [unrolled: 2-line block ×32, first 2 shown]
	scratch_store_b64 v70, v[104:105], off
	scratch_store_b64 v71, v[106:107], off
	;; [unrolled: 1-line block ×32, first 2 shown]
	v_mov_b32_e32 v70, 0x100
	v_mov_b32_e32 v71, 0x108
	;; [unrolled: 1-line block ×32, first 2 shown]
	s_cbranch_vccnz .LBB136_38
; %bb.39:
	v_dual_mov_b32 v71, 8 :: v_dual_add_nc_u32 v60, 0x800, v68
	ds_load_2addr_b64 v[0:3], v68 offset0:2 offset1:18
	ds_load_2addr_b64 v[4:7], v68 offset0:34 offset1:50
	;; [unrolled: 1-line block ×12, first 2 shown]
	v_dual_mov_b32 v73, 24 :: v_dual_add_nc_u32 v64, 16, v69
	ds_load_2addr_b64 v[48:51], v60 offset0:130 offset1:146
	ds_load_2addr_b64 v[52:55], v60 offset0:162 offset1:178
	;; [unrolled: 1-line block ×4, first 2 shown]
	ds_load_2addr_stride64_b64 v[64:67], v64 offset1:4
	v_dual_mov_b32 v70, 0 :: v_dual_mov_b32 v75, 40
	v_dual_mov_b32 v72, 16 :: v_dual_mov_b32 v77, 56
	;; [unrolled: 1-line block ×5, first 2 shown]
	v_mov_b32_e32 v80, 0x50
	v_mov_b32_e32 v82, 0x60
	v_mov_b32_e32 v84, 0x70
	v_mov_b32_e32 v85, 0x78
	v_mov_b32_e32 v86, 0x80
	v_mov_b32_e32 v87, 0x88
	v_mov_b32_e32 v88, 0x90
	v_mov_b32_e32 v89, 0x98
	v_mov_b32_e32 v90, 0xa0
	v_mov_b32_e32 v91, 0xa8
	v_mov_b32_e32 v92, 0xb0
	v_mov_b32_e32 v93, 0xb8
	v_mov_b32_e32 v96, 0xc0
	v_mov_b32_e32 v97, 0xc8
	v_mov_b32_e32 v98, 0xd0
	v_mov_b32_e32 v99, 0xd8
	v_mov_b32_e32 v100, 0xe0
	v_mov_b32_e32 v101, 0xe8
	v_mov_b32_e32 v102, 0xf0
	v_mov_b32_e32 v103, 0xf8
	s_mov_b64 s[2:3], 0
	s_mov_b32 s10, -1
.LBB136_40:                             ; =>This Inner Loop Header: Depth=1
	scratch_load_b64 v[104:105], v70, off
	scratch_load_b64 v[106:107], v71, off
	;; [unrolled: 1-line block ×32, first 2 shown]
	s_cmp_eq_u32 s2, 1
	s_waitcnt lgkmcnt(16)
	v_max_f64 v[170:171], v[0:1], v[0:1]
	s_cselect_b32 vcc_lo, -1, 0
	v_max_f64 v[172:173], v[2:3], v[2:3]
	s_waitcnt lgkmcnt(0)
	v_dual_cndmask_b32 v169, v65, v67 :: v_dual_cndmask_b32 v168, v64, v66
	v_max_f64 v[174:175], v[4:5], v[4:5]
	v_max_f64 v[176:177], v[6:7], v[6:7]
	v_max_f64 v[178:179], v[8:9], v[8:9]
	v_max_f64 v[180:181], v[10:11], v[10:11]
	v_max_f64 v[168:169], v[168:169], v[168:169]
	v_max_f64 v[182:183], v[12:13], v[12:13]
	v_max_f64 v[184:185], v[14:15], v[14:15]
	v_max_f64 v[186:187], v[16:17], v[16:17]
	v_max_f64 v[188:189], v[18:19], v[18:19]
	v_max_f64 v[190:191], v[20:21], v[20:21]
	v_max_f64 v[192:193], v[22:23], v[22:23]
	v_max_f64 v[194:195], v[24:25], v[24:25]
	v_max_f64 v[196:197], v[26:27], v[26:27]
	v_max_f64 v[198:199], v[28:29], v[28:29]
	v_max_f64 v[200:201], v[30:31], v[30:31]
	v_max_f64 v[202:203], v[32:33], v[32:33]
	v_max_f64 v[204:205], v[34:35], v[34:35]
	v_max_f64 v[206:207], v[36:37], v[36:37]
	v_max_f64 v[208:209], v[38:39], v[38:39]
	v_max_f64 v[210:211], v[40:41], v[40:41]
	v_max_f64 v[212:213], v[42:43], v[42:43]
	v_max_f64 v[214:215], v[44:45], v[44:45]
	v_max_f64 v[216:217], v[46:47], v[46:47]
	v_max_f64 v[218:219], v[48:49], v[48:49]
	v_max_f64 v[220:221], v[50:51], v[50:51]
	v_max_f64 v[222:223], v[52:53], v[52:53]
	v_max_f64 v[224:225], v[54:55], v[54:55]
	v_max_f64 v[226:227], v[56:57], v[56:57]
	v_max_f64 v[228:229], v[58:59], v[58:59]
	v_max_f64 v[230:231], v[60:61], v[60:61]
	v_max_f64 v[232:233], v[62:63], v[62:63]
	s_mov_b64 s[2:3], 1
	s_and_b32 vcc_lo, exec_lo, s10
	s_mov_b32 s10, 0
	v_min_f64 v[170:171], v[170:171], v[168:169]
	v_min_f64 v[172:173], v[172:173], v[168:169]
	;; [unrolled: 1-line block ×32, first 2 shown]
	s_waitcnt vmcnt(31)
	v_add_f64 v[104:105], v[104:105], v[170:171]
	s_waitcnt vmcnt(30)
	v_add_f64 v[106:107], v[172:173], v[106:107]
	;; [unrolled: 2-line block ×32, first 2 shown]
	scratch_store_b64 v70, v[104:105], off
	scratch_store_b64 v71, v[106:107], off
	;; [unrolled: 1-line block ×32, first 2 shown]
	v_mov_b32_e32 v70, 0x100
	v_mov_b32_e32 v71, 0x108
	v_mov_b32_e32 v72, 0x110
	v_mov_b32_e32 v73, 0x118
	v_mov_b32_e32 v74, 0x120
	v_mov_b32_e32 v75, 0x128
	v_mov_b32_e32 v76, 0x130
	v_mov_b32_e32 v77, 0x138
	v_mov_b32_e32 v78, 0x140
	v_mov_b32_e32 v79, 0x148
	v_mov_b32_e32 v80, 0x150
	v_mov_b32_e32 v81, 0x158
	v_mov_b32_e32 v82, 0x160
	v_mov_b32_e32 v83, 0x168
	v_mov_b32_e32 v84, 0x170
	v_mov_b32_e32 v85, 0x178
	v_mov_b32_e32 v86, 0x180
	v_mov_b32_e32 v87, 0x188
	v_mov_b32_e32 v88, 0x190
	v_mov_b32_e32 v89, 0x198
	v_mov_b32_e32 v90, 0x1a0
	v_mov_b32_e32 v91, 0x1a8
	v_mov_b32_e32 v92, 0x1b0
	v_mov_b32_e32 v93, 0x1b8
	v_mov_b32_e32 v96, 0x1c0
	v_mov_b32_e32 v97, 0x1c8
	v_mov_b32_e32 v98, 0x1d0
	v_mov_b32_e32 v99, 0x1d8
	v_mov_b32_e32 v100, 0x1e0
	v_mov_b32_e32 v101, 0x1e8
	v_mov_b32_e32 v102, 0x1f0
	v_mov_b32_e32 v103, 0x1f8
	s_cbranch_vccnz .LBB136_40
; %bb.41:
	v_add_nc_u32_e32 v60, 0x800, v68
	ds_load_2addr_b64 v[0:3], v68 offset0:3 offset1:19
	ds_load_2addr_b64 v[4:7], v68 offset0:35 offset1:51
	;; [unrolled: 1-line block ×4, first 2 shown]
	v_dual_mov_b32 v71, 24 :: v_dual_add_nc_u32 v64, 24, v69
	v_mov_b32_e32 v69, 8
	ds_load_2addr_b64 v[16:19], v68 offset0:131 offset1:147
	ds_load_2addr_b64 v[20:23], v68 offset0:163 offset1:179
	ds_load_2addr_b64 v[24:27], v68 offset0:195 offset1:211
	ds_load_2addr_b64 v[28:31], v68 offset0:227 offset1:243
	ds_load_2addr_b64 v[32:35], v60 offset0:3 offset1:19
	ds_load_2addr_b64 v[36:39], v60 offset0:35 offset1:51
	ds_load_2addr_b64 v[40:43], v60 offset0:67 offset1:83
	ds_load_2addr_b64 v[44:47], v60 offset0:99 offset1:115
	ds_load_2addr_b64 v[48:51], v60 offset0:131 offset1:147
	ds_load_2addr_b64 v[52:55], v60 offset0:163 offset1:179
	ds_load_2addr_b64 v[56:59], v60 offset0:195 offset1:211
	ds_load_2addr_b64 v[60:63], v60 offset0:227 offset1:243
	ds_load_2addr_stride64_b64 v[64:67], v64 offset1:4
	v_dual_mov_b32 v68, 0 :: v_dual_mov_b32 v73, 40
	v_dual_mov_b32 v70, 16 :: v_dual_mov_b32 v75, 56
	;; [unrolled: 1-line block ×5, first 2 shown]
	v_mov_b32_e32 v78, 0x50
	v_mov_b32_e32 v80, 0x60
	;; [unrolled: 1-line block ×20, first 2 shown]
	s_mov_b64 s[2:3], 0
	s_mov_b32 s10, -1
.LBB136_42:                             ; =>This Inner Loop Header: Depth=1
	scratch_load_b64 v[102:103], v68, off
	scratch_load_b64 v[104:105], v69, off
	;; [unrolled: 1-line block ×32, first 2 shown]
	s_cmp_eq_u32 s2, 1
	s_waitcnt lgkmcnt(16)
	v_max_f64 v[168:169], v[0:1], v[0:1]
	s_cselect_b32 vcc_lo, -1, 0
	v_max_f64 v[170:171], v[2:3], v[2:3]
	s_waitcnt lgkmcnt(0)
	v_dual_cndmask_b32 v167, v65, v67 :: v_dual_cndmask_b32 v166, v64, v66
	v_max_f64 v[172:173], v[4:5], v[4:5]
	v_max_f64 v[174:175], v[6:7], v[6:7]
	;; [unrolled: 1-line block ×31, first 2 shown]
	s_mov_b64 s[2:3], 1
	s_and_b32 vcc_lo, exec_lo, s10
	s_mov_b32 s10, 0
	v_min_f64 v[168:169], v[168:169], v[166:167]
	v_min_f64 v[170:171], v[170:171], v[166:167]
	;; [unrolled: 1-line block ×32, first 2 shown]
	s_waitcnt vmcnt(31)
	v_add_f64 v[102:103], v[102:103], v[168:169]
	s_waitcnt vmcnt(30)
	v_add_f64 v[104:105], v[170:171], v[104:105]
	;; [unrolled: 2-line block ×32, first 2 shown]
	scratch_store_b64 v68, v[102:103], off
	scratch_store_b64 v69, v[104:105], off
	;; [unrolled: 1-line block ×32, first 2 shown]
	v_mov_b32_e32 v68, 0x100
	v_mov_b32_e32 v69, 0x108
	;; [unrolled: 1-line block ×32, first 2 shown]
	s_cbranch_vccnz .LBB136_42
; %bb.43:
	scratch_load_b64 v[2:3], off, off
	s_load_b32 s3, s[0:1], 0x58
	v_dual_mov_b32 v4, 0 :: v_dual_add_nc_u32 v71, s15, v95
	v_dual_mov_b32 v5, 0 :: v_dual_add_nc_u32 v16, s14, v94
	v_mov_b32_e32 v8, 0
	v_mov_b32_e32 v9, 0
	s_and_b32 s2, exec_lo, s18
	s_delay_alu instid0(VALU_DEP_3) | instskip(SKIP_2) | instid1(VALU_DEP_1)
	v_ashrrev_i32_e32 v17, 31, v16
	s_waitcnt lgkmcnt(0)
	v_mad_i64_i32 v[0:1], null, v71, s3, 0
	v_lshlrev_b64 v[0:1], 3, v[0:1]
	s_delay_alu instid0(VALU_DEP_1) | instskip(NEXT) | instid1(VALU_DEP_2)
	v_add_co_u32 v72, vcc_lo, s4, v0
	v_add_co_ci_u32_e32 v73, vcc_lo, s5, v1, vcc_lo
	v_lshlrev_b64 v[0:1], 3, v[16:17]
	s_mov_b32 vcc_lo, s2
	s_cbranch_vccz .LBB136_45
; %bb.44:
	s_delay_alu instid0(VALU_DEP_1) | instskip(NEXT) | instid1(VALU_DEP_2)
	v_add_co_u32 v6, vcc_lo, v72, v0
	v_add_co_ci_u32_e32 v7, vcc_lo, v73, v1, vcc_lo
	flat_load_b64 v[6:7], v[6:7]
	s_waitcnt vmcnt(0) lgkmcnt(0)
	v_mul_f64 v[8:9], v[6:7], s[6:7]
.LBB136_45:
	scratch_load_b64 v[6:7], off, off offset:8
	s_clause 0x1
	s_load_b32 s10, s[0:1], 0x70
	s_load_b64 s[0:1], s[0:1], 0x78
	s_waitcnt vmcnt(1)
	v_add_f64 v[8:9], v[2:3], v[8:9]
	v_add_nc_u32_e32 v10, 4, v16
	v_cndmask_b32_e64 v12, 0, 1, s18
	s_delay_alu instid0(VALU_DEP_2)
	v_ashrrev_i32_e32 v11, 31, v10
	s_waitcnt lgkmcnt(0)
	v_mad_i64_i32 v[2:3], null, v71, s10, 0
	s_lshl_b64 s[12:13], s[0:1], 3
	v_cmp_ne_u32_e64 s0, 1, v12
	s_add_u32 s1, s8, s12
	s_addc_u32 s8, s9, s13
	s_delay_alu instid0(VALU_DEP_2) | instskip(NEXT) | instid1(VALU_DEP_1)
	v_lshlrev_b64 v[2:3], 3, v[2:3]
	v_add_co_u32 v74, vcc_lo, s1, v2
	s_delay_alu instid0(VALU_DEP_2) | instskip(SKIP_1) | instid1(VALU_DEP_3)
	v_add_co_ci_u32_e32 v75, vcc_lo, s8, v3, vcc_lo
	v_lshlrev_b64 v[2:3], 3, v[10:11]
	v_add_co_u32 v12, vcc_lo, v74, v0
	s_delay_alu instid0(VALU_DEP_3)
	v_add_co_ci_u32_e32 v13, vcc_lo, v75, v1, vcc_lo
	s_and_not1_b32 vcc_lo, exec_lo, s18
	global_store_b64 v[12:13], v[8:9], off
	s_cbranch_vccnz .LBB136_47
; %bb.46:
	v_add_co_u32 v4, vcc_lo, v72, v2
	v_add_co_ci_u32_e32 v5, vcc_lo, v73, v3, vcc_lo
	flat_load_b64 v[4:5], v[4:5]
	s_waitcnt vmcnt(0) lgkmcnt(0)
	v_mul_f64 v[4:5], v[4:5], s[6:7]
.LBB136_47:
	scratch_load_b64 v[10:11], off, off offset:16
	s_waitcnt vmcnt(1)
	v_add_f64 v[12:13], v[6:7], v[4:5]
	v_add_nc_u32_e32 v4, 8, v16
	v_mov_b32_e32 v8, 0
	v_mov_b32_e32 v9, 0
	v_add_co_u32 v14, vcc_lo, v74, v2
	s_delay_alu instid0(VALU_DEP_4) | instskip(SKIP_3) | instid1(VALU_DEP_4)
	v_ashrrev_i32_e32 v5, 31, v4
	v_mov_b32_e32 v6, 0
	v_mov_b32_e32 v7, 0
	v_add_co_ci_u32_e32 v15, vcc_lo, v75, v3, vcc_lo
	v_lshlrev_b64 v[4:5], 3, v[4:5]
	s_and_b32 vcc_lo, exec_lo, s0
	global_store_b64 v[14:15], v[12:13], off
	s_cbranch_vccnz .LBB136_49
; %bb.48:
	v_add_co_u32 v6, vcc_lo, v72, v4
	v_add_co_ci_u32_e32 v7, vcc_lo, v73, v5, vcc_lo
	flat_load_b64 v[6:7], v[6:7]
	s_waitcnt vmcnt(0) lgkmcnt(0)
	v_mul_f64 v[6:7], v[6:7], s[6:7]
.LBB136_49:
	scratch_load_b64 v[12:13], off, off offset:24
	s_waitcnt vmcnt(1)
	v_add_f64 v[10:11], v[10:11], v[6:7]
	v_add_nc_u32_e32 v6, 12, v16
	v_add_co_u32 v14, vcc_lo, v74, v4
	v_add_co_ci_u32_e32 v15, vcc_lo, v75, v5, vcc_lo
	s_delay_alu instid0(VALU_DEP_3) | instskip(SKIP_1) | instid1(VALU_DEP_1)
	v_ashrrev_i32_e32 v7, 31, v6
	s_and_b32 vcc_lo, exec_lo, s0
	v_lshlrev_b64 v[6:7], 3, v[6:7]
	global_store_b64 v[14:15], v[10:11], off
	s_cbranch_vccnz .LBB136_51
; %bb.50:
	v_add_co_u32 v8, vcc_lo, v72, v6
	v_add_co_ci_u32_e32 v9, vcc_lo, v73, v7, vcc_lo
	flat_load_b64 v[8:9], v[8:9]
	s_waitcnt vmcnt(0) lgkmcnt(0)
	v_mul_f64 v[8:9], v[8:9], s[6:7]
.LBB136_51:
	scratch_load_b64 v[10:11], off, off offset:32
	s_waitcnt vmcnt(1)
	v_add_f64 v[17:18], v[12:13], v[8:9]
	v_add_nc_u32_e32 v8, 16, v16
	v_mov_b32_e32 v12, 0
	v_mov_b32_e32 v13, 0
	v_add_co_u32 v19, vcc_lo, v74, v6
	s_delay_alu instid0(VALU_DEP_4) | instskip(SKIP_3) | instid1(VALU_DEP_4)
	v_ashrrev_i32_e32 v9, 31, v8
	v_mov_b32_e32 v14, 0
	v_mov_b32_e32 v15, 0
	v_add_co_ci_u32_e32 v20, vcc_lo, v75, v7, vcc_lo
	v_lshlrev_b64 v[8:9], 3, v[8:9]
	s_and_b32 vcc_lo, exec_lo, s0
	global_store_b64 v[19:20], v[17:18], off
	s_cbranch_vccnz .LBB136_53
; %bb.52:
	v_add_co_u32 v14, vcc_lo, v72, v8
	v_add_co_ci_u32_e32 v15, vcc_lo, v73, v9, vcc_lo
	flat_load_b64 v[14:15], v[14:15]
	s_waitcnt vmcnt(0) lgkmcnt(0)
	v_mul_f64 v[14:15], v[14:15], s[6:7]
.LBB136_53:
	scratch_load_b64 v[17:18], off, off offset:40
	s_waitcnt vmcnt(1)
	v_add_f64 v[14:15], v[10:11], v[14:15]
	v_add_nc_u32_e32 v10, 20, v16
	v_add_co_u32 v19, vcc_lo, v74, v8
	v_add_co_ci_u32_e32 v20, vcc_lo, v75, v9, vcc_lo
	s_delay_alu instid0(VALU_DEP_3) | instskip(SKIP_1) | instid1(VALU_DEP_1)
	v_ashrrev_i32_e32 v11, 31, v10
	s_and_b32 vcc_lo, exec_lo, s0
	v_lshlrev_b64 v[10:11], 3, v[10:11]
	global_store_b64 v[19:20], v[14:15], off
	s_cbranch_vccnz .LBB136_55
; %bb.54:
	v_add_co_u32 v12, vcc_lo, v72, v10
	v_add_co_ci_u32_e32 v13, vcc_lo, v73, v11, vcc_lo
	flat_load_b64 v[12:13], v[12:13]
	s_waitcnt vmcnt(0) lgkmcnt(0)
	v_mul_f64 v[12:13], v[12:13], s[6:7]
.LBB136_55:
	scratch_load_b64 v[14:15], off, off offset:48
	s_waitcnt vmcnt(1)
	v_add_f64 v[21:22], v[17:18], v[12:13]
	v_dual_mov_b32 v17, 0 :: v_dual_add_nc_u32 v12, 24, v16
	v_add_co_u32 v23, vcc_lo, v74, v10
	v_dual_mov_b32 v18, 0 :: v_dual_mov_b32 v19, 0
	s_delay_alu instid0(VALU_DEP_3) | instskip(SKIP_3) | instid1(VALU_DEP_3)
	v_ashrrev_i32_e32 v13, 31, v12
	v_add_co_ci_u32_e32 v24, vcc_lo, v75, v11, vcc_lo
	v_mov_b32_e32 v20, 0
	s_and_b32 vcc_lo, exec_lo, s0
	v_lshlrev_b64 v[12:13], 3, v[12:13]
	global_store_b64 v[23:24], v[21:22], off
	s_cbranch_vccnz .LBB136_57
; %bb.56:
	v_add_co_u32 v19, vcc_lo, v72, v12
	v_add_co_ci_u32_e32 v20, vcc_lo, v73, v13, vcc_lo
	flat_load_b64 v[19:20], v[19:20]
	s_waitcnt vmcnt(0) lgkmcnt(0)
	v_mul_f64 v[19:20], v[19:20], s[6:7]
.LBB136_57:
	scratch_load_b64 v[21:22], off, off offset:56
	s_waitcnt vmcnt(1)
	v_add_f64 v[19:20], v[14:15], v[19:20]
	v_add_nc_u32_e32 v14, 28, v16
	v_add_co_u32 v23, vcc_lo, v74, v12
	v_add_co_ci_u32_e32 v24, vcc_lo, v75, v13, vcc_lo
	s_delay_alu instid0(VALU_DEP_3) | instskip(SKIP_1) | instid1(VALU_DEP_1)
	v_ashrrev_i32_e32 v15, 31, v14
	s_and_b32 vcc_lo, exec_lo, s0
	v_lshlrev_b64 v[14:15], 3, v[14:15]
	global_store_b64 v[23:24], v[19:20], off
	s_cbranch_vccnz .LBB136_59
; %bb.58:
	v_add_co_u32 v17, vcc_lo, v72, v14
	v_add_co_ci_u32_e32 v18, vcc_lo, v73, v15, vcc_lo
	flat_load_b64 v[17:18], v[17:18]
	s_waitcnt vmcnt(0) lgkmcnt(0)
	v_mul_f64 v[17:18], v[17:18], s[6:7]
.LBB136_59:
	scratch_load_b64 v[19:20], off, off offset:64
	s_waitcnt vmcnt(1)
	v_add_f64 v[25:26], v[21:22], v[17:18]
	v_add_nc_u32_e32 v17, 32, v16
	v_mov_b32_e32 v21, 0
	v_mov_b32_e32 v22, 0
	v_add_co_u32 v27, vcc_lo, v74, v14
	s_delay_alu instid0(VALU_DEP_4) | instskip(SKIP_3) | instid1(VALU_DEP_4)
	v_ashrrev_i32_e32 v18, 31, v17
	v_mov_b32_e32 v23, 0
	v_mov_b32_e32 v24, 0
	v_add_co_ci_u32_e32 v28, vcc_lo, v75, v15, vcc_lo
	v_lshlrev_b64 v[17:18], 3, v[17:18]
	s_and_b32 vcc_lo, exec_lo, s0
	global_store_b64 v[27:28], v[25:26], off
	s_cbranch_vccnz .LBB136_61
; %bb.60:
	v_add_co_u32 v23, vcc_lo, v72, v17
	v_add_co_ci_u32_e32 v24, vcc_lo, v73, v18, vcc_lo
	flat_load_b64 v[23:24], v[23:24]
	s_waitcnt vmcnt(0) lgkmcnt(0)
	v_mul_f64 v[23:24], v[23:24], s[6:7]
.LBB136_61:
	scratch_load_b64 v[25:26], off, off offset:72
	s_waitcnt vmcnt(1)
	v_add_f64 v[23:24], v[19:20], v[23:24]
	v_add_nc_u32_e32 v19, 36, v16
	v_add_co_u32 v27, vcc_lo, v74, v17
	v_add_co_ci_u32_e32 v28, vcc_lo, v75, v18, vcc_lo
	s_delay_alu instid0(VALU_DEP_3) | instskip(SKIP_1) | instid1(VALU_DEP_1)
	v_ashrrev_i32_e32 v20, 31, v19
	s_and_b32 vcc_lo, exec_lo, s0
	v_lshlrev_b64 v[19:20], 3, v[19:20]
	global_store_b64 v[27:28], v[23:24], off
	s_cbranch_vccnz .LBB136_63
; %bb.62:
	v_add_co_u32 v21, vcc_lo, v72, v19
	v_add_co_ci_u32_e32 v22, vcc_lo, v73, v20, vcc_lo
	flat_load_b64 v[21:22], v[21:22]
	s_waitcnt vmcnt(0) lgkmcnt(0)
	v_mul_f64 v[21:22], v[21:22], s[6:7]
.LBB136_63:
	scratch_load_b64 v[23:24], off, off offset:80
	s_waitcnt vmcnt(1)
	v_add_f64 v[29:30], v[25:26], v[21:22]
	v_add_nc_u32_e32 v21, 40, v16
	v_mov_b32_e32 v25, 0
	v_mov_b32_e32 v26, 0
	v_add_co_u32 v31, vcc_lo, v74, v19
	s_delay_alu instid0(VALU_DEP_4) | instskip(SKIP_3) | instid1(VALU_DEP_4)
	v_ashrrev_i32_e32 v22, 31, v21
	v_mov_b32_e32 v27, 0
	v_mov_b32_e32 v28, 0
	v_add_co_ci_u32_e32 v32, vcc_lo, v75, v20, vcc_lo
	v_lshlrev_b64 v[21:22], 3, v[21:22]
	s_and_b32 vcc_lo, exec_lo, s0
	;; [unrolled: 42-line block ×12, first 2 shown]
	global_store_b64 v[76:77], v[67:68], off
	s_cbranch_vccnz .LBB136_105
; %bb.104:
	v_add_co_u32 v67, vcc_lo, v72, v61
	v_add_co_ci_u32_e32 v68, vcc_lo, v73, v62, vcc_lo
	flat_load_b64 v[67:68], v[67:68]
	s_waitcnt vmcnt(0) lgkmcnt(0)
	v_mul_f64 v[69:70], v[67:68], s[6:7]
.LBB136_105:
	scratch_load_b64 v[67:68], off, off offset:248
	s_waitcnt vmcnt(1)
	v_add_f64 v[69:70], v[63:64], v[69:70]
	v_add_nc_u32_e32 v63, 0x7c, v16
	v_add_co_u32 v76, vcc_lo, v74, v61
	v_add_co_ci_u32_e32 v77, vcc_lo, v75, v62, vcc_lo
	s_delay_alu instid0(VALU_DEP_3) | instskip(SKIP_1) | instid1(VALU_DEP_1)
	v_ashrrev_i32_e32 v64, 31, v63
	s_and_b32 vcc_lo, exec_lo, s0
	v_lshlrev_b64 v[63:64], 3, v[63:64]
	global_store_b64 v[76:77], v[69:70], off
	s_cbranch_vccnz .LBB136_107
; %bb.106:
	v_add_co_u32 v65, vcc_lo, v72, v63
	v_add_co_ci_u32_e32 v66, vcc_lo, v73, v64, vcc_lo
	flat_load_b64 v[65:66], v[65:66]
	s_waitcnt vmcnt(0) lgkmcnt(0)
	v_mul_f64 v[65:66], v[65:66], s[6:7]
.LBB136_107:
	scratch_load_b64 v[69:70], off, off offset:256
	s_waitcnt vmcnt(1)
	v_add_f64 v[67:68], v[67:68], v[65:66]
	v_add_nc_u32_e32 v76, 64, v71
	v_add_co_u32 v74, vcc_lo, v74, v63
	v_add_co_ci_u32_e32 v75, vcc_lo, v75, v64, vcc_lo
	s_delay_alu instid0(VALU_DEP_3) | instskip(SKIP_2) | instid1(VALU_DEP_3)
	v_mad_i64_i32 v[65:66], null, v76, s3, 0
	v_mov_b32_e32 v71, 0
	v_mov_b32_e32 v72, 0
	v_lshlrev_b64 v[77:78], 3, v[65:66]
	v_mov_b32_e32 v65, 0
	v_mov_b32_e32 v66, 0
	s_delay_alu instid0(VALU_DEP_3) | instskip(NEXT) | instid1(VALU_DEP_4)
	v_add_co_u32 v16, vcc_lo, s4, v77
	v_add_co_ci_u32_e32 v73, vcc_lo, s5, v78, vcc_lo
	s_mov_b32 vcc_lo, s2
	global_store_b64 v[74:75], v[67:68], off
	s_cbranch_vccz .LBB136_109
; %bb.108:
	v_add_co_u32 v67, vcc_lo, v16, v0
	v_add_co_ci_u32_e32 v68, vcc_lo, v73, v1, vcc_lo
	flat_load_b64 v[67:68], v[67:68]
	s_waitcnt vmcnt(0) lgkmcnt(0)
	v_mul_f64 v[71:72], v[67:68], s[6:7]
.LBB136_109:
	scratch_load_b64 v[67:68], off, off offset:264
	s_waitcnt vmcnt(1)
	v_add_f64 v[69:70], v[69:70], v[71:72]
	v_mad_i64_i32 v[71:72], null, v76, s10, 0
	s_delay_alu instid0(VALU_DEP_1) | instskip(NEXT) | instid1(VALU_DEP_1)
	v_lshlrev_b64 v[71:72], 3, v[71:72]
	v_add_co_u32 v71, vcc_lo, s1, v71
	s_delay_alu instid0(VALU_DEP_2) | instskip(NEXT) | instid1(VALU_DEP_2)
	v_add_co_ci_u32_e32 v72, vcc_lo, s8, v72, vcc_lo
	v_add_co_u32 v0, vcc_lo, v71, v0
	s_delay_alu instid0(VALU_DEP_2)
	v_add_co_ci_u32_e32 v1, vcc_lo, v72, v1, vcc_lo
	s_and_b32 vcc_lo, exec_lo, s0
	global_store_b64 v[0:1], v[69:70], off
	s_cbranch_vccnz .LBB136_111
; %bb.110:
	v_add_co_u32 v0, vcc_lo, v16, v2
	v_add_co_ci_u32_e32 v1, vcc_lo, v73, v3, vcc_lo
	flat_load_b64 v[0:1], v[0:1]
	s_waitcnt vmcnt(0) lgkmcnt(0)
	v_mul_f64 v[65:66], v[0:1], s[6:7]
.LBB136_111:
	scratch_load_b64 v[69:70], off, off offset:272
	s_waitcnt vmcnt(1)
	v_add_f64 v[65:66], v[67:68], v[65:66]
	v_add_co_u32 v67, vcc_lo, v71, v2
	v_mov_b32_e32 v0, 0
	v_add_co_ci_u32_e32 v68, vcc_lo, v72, v3, vcc_lo
	v_dual_mov_b32 v1, 0 :: v_dual_mov_b32 v2, 0
	v_mov_b32_e32 v3, 0
	s_and_b32 vcc_lo, exec_lo, s0
	global_store_b64 v[67:68], v[65:66], off
	s_cbranch_vccnz .LBB136_113
; %bb.112:
	v_add_co_u32 v2, vcc_lo, v16, v4
	v_add_co_ci_u32_e32 v3, vcc_lo, v73, v5, vcc_lo
	flat_load_b64 v[2:3], v[2:3]
	s_waitcnt vmcnt(0) lgkmcnt(0)
	v_mul_f64 v[2:3], v[2:3], s[6:7]
.LBB136_113:
	scratch_load_b64 v[65:66], off, off offset:280
	s_waitcnt vmcnt(1)
	v_add_f64 v[2:3], v[69:70], v[2:3]
	v_add_co_u32 v4, vcc_lo, v71, v4
	v_add_co_ci_u32_e32 v5, vcc_lo, v72, v5, vcc_lo
	s_and_b32 vcc_lo, exec_lo, s0
	global_store_b64 v[4:5], v[2:3], off
	s_cbranch_vccnz .LBB136_115
; %bb.114:
	v_add_co_u32 v0, vcc_lo, v16, v6
	v_add_co_ci_u32_e32 v1, vcc_lo, v73, v7, vcc_lo
	flat_load_b64 v[0:1], v[0:1]
	s_waitcnt vmcnt(0) lgkmcnt(0)
	v_mul_f64 v[0:1], v[0:1], s[6:7]
.LBB136_115:
	scratch_load_b64 v[2:3], off, off offset:288
	s_waitcnt vmcnt(1)
	v_add_f64 v[4:5], v[65:66], v[0:1]
	v_add_co_u32 v65, vcc_lo, v71, v6
	v_mov_b32_e32 v0, 0
	v_add_co_ci_u32_e32 v66, vcc_lo, v72, v7, vcc_lo
	v_dual_mov_b32 v1, 0 :: v_dual_mov_b32 v6, 0
	v_mov_b32_e32 v7, 0
	s_and_b32 vcc_lo, exec_lo, s0
	global_store_b64 v[65:66], v[4:5], off
	s_cbranch_vccnz .LBB136_117
; %bb.116:
	v_add_co_u32 v4, vcc_lo, v16, v8
	v_add_co_ci_u32_e32 v5, vcc_lo, v73, v9, vcc_lo
	flat_load_b64 v[4:5], v[4:5]
	s_waitcnt vmcnt(0) lgkmcnt(0)
	v_mul_f64 v[6:7], v[4:5], s[6:7]
.LBB136_117:
	scratch_load_b64 v[4:5], off, off offset:296
	s_waitcnt vmcnt(1)
	v_add_f64 v[2:3], v[2:3], v[6:7]
	v_add_co_u32 v6, vcc_lo, v71, v8
	v_add_co_ci_u32_e32 v7, vcc_lo, v72, v9, vcc_lo
	s_and_b32 vcc_lo, exec_lo, s0
	global_store_b64 v[6:7], v[2:3], off
	s_cbranch_vccnz .LBB136_119
; %bb.118:
	v_add_co_u32 v0, vcc_lo, v16, v10
	v_add_co_ci_u32_e32 v1, vcc_lo, v73, v11, vcc_lo
	flat_load_b64 v[0:1], v[0:1]
	s_waitcnt vmcnt(0) lgkmcnt(0)
	v_mul_f64 v[0:1], v[0:1], s[6:7]
.LBB136_119:
	scratch_load_b64 v[2:3], off, off offset:304
	s_waitcnt vmcnt(1)
	v_add_f64 v[4:5], v[4:5], v[0:1]
	v_add_co_u32 v8, vcc_lo, v71, v10
	v_mov_b32_e32 v0, 0
	v_dual_mov_b32 v1, 0 :: v_dual_mov_b32 v6, 0
	v_add_co_ci_u32_e32 v9, vcc_lo, v72, v11, vcc_lo
	v_mov_b32_e32 v7, 0
	s_and_b32 vcc_lo, exec_lo, s0
	global_store_b64 v[8:9], v[4:5], off
	s_cbranch_vccnz .LBB136_121
; %bb.120:
	v_add_co_u32 v4, vcc_lo, v16, v12
	v_add_co_ci_u32_e32 v5, vcc_lo, v73, v13, vcc_lo
	flat_load_b64 v[4:5], v[4:5]
	s_waitcnt vmcnt(0) lgkmcnt(0)
	v_mul_f64 v[6:7], v[4:5], s[6:7]
.LBB136_121:
	scratch_load_b64 v[4:5], off, off offset:312
	s_waitcnt vmcnt(1)
	v_add_f64 v[2:3], v[2:3], v[6:7]
	v_add_co_u32 v6, vcc_lo, v71, v12
	v_add_co_ci_u32_e32 v7, vcc_lo, v72, v13, vcc_lo
	s_and_b32 vcc_lo, exec_lo, s0
	global_store_b64 v[6:7], v[2:3], off
	s_cbranch_vccnz .LBB136_123
; %bb.122:
	v_add_co_u32 v0, vcc_lo, v16, v14
	v_add_co_ci_u32_e32 v1, vcc_lo, v73, v15, vcc_lo
	flat_load_b64 v[0:1], v[0:1]
	s_waitcnt vmcnt(0) lgkmcnt(0)
	v_mul_f64 v[0:1], v[0:1], s[6:7]
.LBB136_123:
	scratch_load_b64 v[2:3], off, off offset:320
	s_waitcnt vmcnt(1)
	v_add_f64 v[4:5], v[4:5], v[0:1]
	v_add_co_u32 v8, vcc_lo, v71, v14
	v_mov_b32_e32 v0, 0
	v_dual_mov_b32 v1, 0 :: v_dual_mov_b32 v6, 0
	v_add_co_ci_u32_e32 v9, vcc_lo, v72, v15, vcc_lo
	v_mov_b32_e32 v7, 0
	s_and_b32 vcc_lo, exec_lo, s0
	global_store_b64 v[8:9], v[4:5], off
	s_cbranch_vccnz .LBB136_125
; %bb.124:
	v_add_co_u32 v4, vcc_lo, v16, v17
	v_add_co_ci_u32_e32 v5, vcc_lo, v73, v18, vcc_lo
	flat_load_b64 v[4:5], v[4:5]
	s_waitcnt vmcnt(0) lgkmcnt(0)
	v_mul_f64 v[6:7], v[4:5], s[6:7]
.LBB136_125:
	scratch_load_b64 v[4:5], off, off offset:328
	s_waitcnt vmcnt(1)
	v_add_f64 v[2:3], v[2:3], v[6:7]
	v_add_co_u32 v6, vcc_lo, v71, v17
	v_add_co_ci_u32_e32 v7, vcc_lo, v72, v18, vcc_lo
	s_and_b32 vcc_lo, exec_lo, s0
	global_store_b64 v[6:7], v[2:3], off
	s_cbranch_vccnz .LBB136_127
; %bb.126:
	v_add_co_u32 v0, vcc_lo, v16, v19
	v_add_co_ci_u32_e32 v1, vcc_lo, v73, v20, vcc_lo
	flat_load_b64 v[0:1], v[0:1]
	s_waitcnt vmcnt(0) lgkmcnt(0)
	v_mul_f64 v[0:1], v[0:1], s[6:7]
.LBB136_127:
	scratch_load_b64 v[2:3], off, off offset:336
	s_waitcnt vmcnt(1)
	v_add_f64 v[4:5], v[4:5], v[0:1]
	v_add_co_u32 v8, vcc_lo, v71, v19
	v_mov_b32_e32 v0, 0
	v_dual_mov_b32 v1, 0 :: v_dual_mov_b32 v6, 0
	v_add_co_ci_u32_e32 v9, vcc_lo, v72, v20, vcc_lo
	v_mov_b32_e32 v7, 0
	s_and_b32 vcc_lo, exec_lo, s0
	global_store_b64 v[8:9], v[4:5], off
	s_cbranch_vccnz .LBB136_129
; %bb.128:
	v_add_co_u32 v4, vcc_lo, v16, v21
	v_add_co_ci_u32_e32 v5, vcc_lo, v73, v22, vcc_lo
	flat_load_b64 v[4:5], v[4:5]
	s_waitcnt vmcnt(0) lgkmcnt(0)
	v_mul_f64 v[6:7], v[4:5], s[6:7]
.LBB136_129:
	scratch_load_b64 v[4:5], off, off offset:344
	s_waitcnt vmcnt(1)
	v_add_f64 v[2:3], v[2:3], v[6:7]
	v_add_co_u32 v6, vcc_lo, v71, v21
	v_add_co_ci_u32_e32 v7, vcc_lo, v72, v22, vcc_lo
	s_and_b32 vcc_lo, exec_lo, s0
	global_store_b64 v[6:7], v[2:3], off
	s_cbranch_vccnz .LBB136_131
; %bb.130:
	v_add_co_u32 v0, vcc_lo, v16, v23
	v_add_co_ci_u32_e32 v1, vcc_lo, v73, v24, vcc_lo
	flat_load_b64 v[0:1], v[0:1]
	s_waitcnt vmcnt(0) lgkmcnt(0)
	v_mul_f64 v[0:1], v[0:1], s[6:7]
.LBB136_131:
	scratch_load_b64 v[2:3], off, off offset:352
	s_waitcnt vmcnt(1)
	v_add_f64 v[4:5], v[4:5], v[0:1]
	v_add_co_u32 v8, vcc_lo, v71, v23
	v_mov_b32_e32 v0, 0
	v_dual_mov_b32 v1, 0 :: v_dual_mov_b32 v6, 0
	v_add_co_ci_u32_e32 v9, vcc_lo, v72, v24, vcc_lo
	v_mov_b32_e32 v7, 0
	s_and_b32 vcc_lo, exec_lo, s0
	global_store_b64 v[8:9], v[4:5], off
	s_cbranch_vccnz .LBB136_133
; %bb.132:
	v_add_co_u32 v4, vcc_lo, v16, v25
	v_add_co_ci_u32_e32 v5, vcc_lo, v73, v26, vcc_lo
	flat_load_b64 v[4:5], v[4:5]
	s_waitcnt vmcnt(0) lgkmcnt(0)
	v_mul_f64 v[6:7], v[4:5], s[6:7]
.LBB136_133:
	scratch_load_b64 v[4:5], off, off offset:360
	s_waitcnt vmcnt(1)
	v_add_f64 v[2:3], v[2:3], v[6:7]
	v_add_co_u32 v6, vcc_lo, v71, v25
	v_add_co_ci_u32_e32 v7, vcc_lo, v72, v26, vcc_lo
	s_and_b32 vcc_lo, exec_lo, s0
	global_store_b64 v[6:7], v[2:3], off
	s_cbranch_vccnz .LBB136_135
; %bb.134:
	v_add_co_u32 v0, vcc_lo, v16, v27
	v_add_co_ci_u32_e32 v1, vcc_lo, v73, v28, vcc_lo
	flat_load_b64 v[0:1], v[0:1]
	s_waitcnt vmcnt(0) lgkmcnt(0)
	v_mul_f64 v[0:1], v[0:1], s[6:7]
.LBB136_135:
	scratch_load_b64 v[2:3], off, off offset:368
	s_waitcnt vmcnt(1)
	v_add_f64 v[4:5], v[4:5], v[0:1]
	v_add_co_u32 v8, vcc_lo, v71, v27
	v_mov_b32_e32 v0, 0
	v_dual_mov_b32 v1, 0 :: v_dual_mov_b32 v6, 0
	v_add_co_ci_u32_e32 v9, vcc_lo, v72, v28, vcc_lo
	v_mov_b32_e32 v7, 0
	s_and_b32 vcc_lo, exec_lo, s0
	global_store_b64 v[8:9], v[4:5], off
	s_cbranch_vccnz .LBB136_137
; %bb.136:
	v_add_co_u32 v4, vcc_lo, v16, v29
	v_add_co_ci_u32_e32 v5, vcc_lo, v73, v30, vcc_lo
	flat_load_b64 v[4:5], v[4:5]
	s_waitcnt vmcnt(0) lgkmcnt(0)
	v_mul_f64 v[6:7], v[4:5], s[6:7]
.LBB136_137:
	scratch_load_b64 v[4:5], off, off offset:376
	s_waitcnt vmcnt(1)
	v_add_f64 v[2:3], v[2:3], v[6:7]
	v_add_co_u32 v6, vcc_lo, v71, v29
	v_add_co_ci_u32_e32 v7, vcc_lo, v72, v30, vcc_lo
	s_and_b32 vcc_lo, exec_lo, s0
	global_store_b64 v[6:7], v[2:3], off
	s_cbranch_vccnz .LBB136_139
; %bb.138:
	v_add_co_u32 v0, vcc_lo, v16, v31
	v_add_co_ci_u32_e32 v1, vcc_lo, v73, v32, vcc_lo
	flat_load_b64 v[0:1], v[0:1]
	s_waitcnt vmcnt(0) lgkmcnt(0)
	v_mul_f64 v[0:1], v[0:1], s[6:7]
.LBB136_139:
	scratch_load_b64 v[2:3], off, off offset:384
	s_waitcnt vmcnt(1)
	v_add_f64 v[4:5], v[4:5], v[0:1]
	v_add_co_u32 v8, vcc_lo, v71, v31
	v_mov_b32_e32 v0, 0
	v_dual_mov_b32 v1, 0 :: v_dual_mov_b32 v6, 0
	v_add_co_ci_u32_e32 v9, vcc_lo, v72, v32, vcc_lo
	v_mov_b32_e32 v7, 0
	s_and_b32 vcc_lo, exec_lo, s0
	global_store_b64 v[8:9], v[4:5], off
	s_cbranch_vccnz .LBB136_141
; %bb.140:
	v_add_co_u32 v4, vcc_lo, v16, v33
	v_add_co_ci_u32_e32 v5, vcc_lo, v73, v34, vcc_lo
	flat_load_b64 v[4:5], v[4:5]
	s_waitcnt vmcnt(0) lgkmcnt(0)
	v_mul_f64 v[6:7], v[4:5], s[6:7]
.LBB136_141:
	scratch_load_b64 v[4:5], off, off offset:392
	s_waitcnt vmcnt(1)
	v_add_f64 v[2:3], v[2:3], v[6:7]
	v_add_co_u32 v6, vcc_lo, v71, v33
	v_add_co_ci_u32_e32 v7, vcc_lo, v72, v34, vcc_lo
	s_and_b32 vcc_lo, exec_lo, s0
	global_store_b64 v[6:7], v[2:3], off
	s_cbranch_vccnz .LBB136_143
; %bb.142:
	v_add_co_u32 v0, vcc_lo, v16, v35
	v_add_co_ci_u32_e32 v1, vcc_lo, v73, v36, vcc_lo
	flat_load_b64 v[0:1], v[0:1]
	s_waitcnt vmcnt(0) lgkmcnt(0)
	v_mul_f64 v[0:1], v[0:1], s[6:7]
.LBB136_143:
	scratch_load_b64 v[2:3], off, off offset:400
	s_waitcnt vmcnt(1)
	v_add_f64 v[4:5], v[4:5], v[0:1]
	v_add_co_u32 v8, vcc_lo, v71, v35
	v_mov_b32_e32 v0, 0
	v_dual_mov_b32 v1, 0 :: v_dual_mov_b32 v6, 0
	v_add_co_ci_u32_e32 v9, vcc_lo, v72, v36, vcc_lo
	v_mov_b32_e32 v7, 0
	s_and_b32 vcc_lo, exec_lo, s0
	global_store_b64 v[8:9], v[4:5], off
	s_cbranch_vccnz .LBB136_145
; %bb.144:
	v_add_co_u32 v4, vcc_lo, v16, v37
	v_add_co_ci_u32_e32 v5, vcc_lo, v73, v38, vcc_lo
	flat_load_b64 v[4:5], v[4:5]
	s_waitcnt vmcnt(0) lgkmcnt(0)
	v_mul_f64 v[6:7], v[4:5], s[6:7]
.LBB136_145:
	scratch_load_b64 v[4:5], off, off offset:408
	s_waitcnt vmcnt(1)
	v_add_f64 v[2:3], v[2:3], v[6:7]
	v_add_co_u32 v6, vcc_lo, v71, v37
	v_add_co_ci_u32_e32 v7, vcc_lo, v72, v38, vcc_lo
	s_and_b32 vcc_lo, exec_lo, s0
	global_store_b64 v[6:7], v[2:3], off
	s_cbranch_vccnz .LBB136_147
; %bb.146:
	v_add_co_u32 v0, vcc_lo, v16, v39
	v_add_co_ci_u32_e32 v1, vcc_lo, v73, v40, vcc_lo
	flat_load_b64 v[0:1], v[0:1]
	s_waitcnt vmcnt(0) lgkmcnt(0)
	v_mul_f64 v[0:1], v[0:1], s[6:7]
.LBB136_147:
	scratch_load_b64 v[2:3], off, off offset:416
	s_waitcnt vmcnt(1)
	v_add_f64 v[4:5], v[4:5], v[0:1]
	v_add_co_u32 v8, vcc_lo, v71, v39
	v_mov_b32_e32 v0, 0
	v_dual_mov_b32 v1, 0 :: v_dual_mov_b32 v6, 0
	v_add_co_ci_u32_e32 v9, vcc_lo, v72, v40, vcc_lo
	v_mov_b32_e32 v7, 0
	s_and_b32 vcc_lo, exec_lo, s0
	global_store_b64 v[8:9], v[4:5], off
	s_cbranch_vccnz .LBB136_149
; %bb.148:
	v_add_co_u32 v4, vcc_lo, v16, v41
	v_add_co_ci_u32_e32 v5, vcc_lo, v73, v42, vcc_lo
	flat_load_b64 v[4:5], v[4:5]
	s_waitcnt vmcnt(0) lgkmcnt(0)
	v_mul_f64 v[6:7], v[4:5], s[6:7]
.LBB136_149:
	scratch_load_b64 v[4:5], off, off offset:424
	s_waitcnt vmcnt(1)
	v_add_f64 v[2:3], v[2:3], v[6:7]
	v_add_co_u32 v6, vcc_lo, v71, v41
	v_add_co_ci_u32_e32 v7, vcc_lo, v72, v42, vcc_lo
	s_and_b32 vcc_lo, exec_lo, s0
	global_store_b64 v[6:7], v[2:3], off
	s_cbranch_vccnz .LBB136_151
; %bb.150:
	v_add_co_u32 v0, vcc_lo, v16, v43
	v_add_co_ci_u32_e32 v1, vcc_lo, v73, v44, vcc_lo
	flat_load_b64 v[0:1], v[0:1]
	s_waitcnt vmcnt(0) lgkmcnt(0)
	v_mul_f64 v[0:1], v[0:1], s[6:7]
.LBB136_151:
	scratch_load_b64 v[2:3], off, off offset:432
	s_waitcnt vmcnt(1)
	v_add_f64 v[4:5], v[4:5], v[0:1]
	v_add_co_u32 v8, vcc_lo, v71, v43
	v_mov_b32_e32 v0, 0
	v_dual_mov_b32 v1, 0 :: v_dual_mov_b32 v6, 0
	v_add_co_ci_u32_e32 v9, vcc_lo, v72, v44, vcc_lo
	v_mov_b32_e32 v7, 0
	s_and_b32 vcc_lo, exec_lo, s0
	global_store_b64 v[8:9], v[4:5], off
	s_cbranch_vccnz .LBB136_153
; %bb.152:
	v_add_co_u32 v4, vcc_lo, v16, v45
	v_add_co_ci_u32_e32 v5, vcc_lo, v73, v46, vcc_lo
	flat_load_b64 v[4:5], v[4:5]
	s_waitcnt vmcnt(0) lgkmcnt(0)
	v_mul_f64 v[6:7], v[4:5], s[6:7]
.LBB136_153:
	scratch_load_b64 v[4:5], off, off offset:440
	s_waitcnt vmcnt(1)
	v_add_f64 v[2:3], v[2:3], v[6:7]
	v_add_co_u32 v6, vcc_lo, v71, v45
	v_add_co_ci_u32_e32 v7, vcc_lo, v72, v46, vcc_lo
	s_and_b32 vcc_lo, exec_lo, s0
	global_store_b64 v[6:7], v[2:3], off
	s_cbranch_vccnz .LBB136_155
; %bb.154:
	v_add_co_u32 v0, vcc_lo, v16, v47
	v_add_co_ci_u32_e32 v1, vcc_lo, v73, v48, vcc_lo
	flat_load_b64 v[0:1], v[0:1]
	s_waitcnt vmcnt(0) lgkmcnt(0)
	v_mul_f64 v[0:1], v[0:1], s[6:7]
.LBB136_155:
	scratch_load_b64 v[2:3], off, off offset:448
	s_waitcnt vmcnt(1)
	v_add_f64 v[4:5], v[4:5], v[0:1]
	v_add_co_u32 v8, vcc_lo, v71, v47
	v_mov_b32_e32 v0, 0
	v_dual_mov_b32 v1, 0 :: v_dual_mov_b32 v6, 0
	v_add_co_ci_u32_e32 v9, vcc_lo, v72, v48, vcc_lo
	v_mov_b32_e32 v7, 0
	s_and_b32 vcc_lo, exec_lo, s0
	global_store_b64 v[8:9], v[4:5], off
	s_cbranch_vccnz .LBB136_157
; %bb.156:
	v_add_co_u32 v4, vcc_lo, v16, v49
	v_add_co_ci_u32_e32 v5, vcc_lo, v73, v50, vcc_lo
	flat_load_b64 v[4:5], v[4:5]
	s_waitcnt vmcnt(0) lgkmcnt(0)
	v_mul_f64 v[6:7], v[4:5], s[6:7]
.LBB136_157:
	scratch_load_b64 v[4:5], off, off offset:456
	s_waitcnt vmcnt(1)
	v_add_f64 v[2:3], v[2:3], v[6:7]
	v_add_co_u32 v6, vcc_lo, v71, v49
	v_add_co_ci_u32_e32 v7, vcc_lo, v72, v50, vcc_lo
	s_and_b32 vcc_lo, exec_lo, s0
	global_store_b64 v[6:7], v[2:3], off
	s_cbranch_vccnz .LBB136_159
; %bb.158:
	v_add_co_u32 v0, vcc_lo, v16, v51
	v_add_co_ci_u32_e32 v1, vcc_lo, v73, v52, vcc_lo
	flat_load_b64 v[0:1], v[0:1]
	s_waitcnt vmcnt(0) lgkmcnt(0)
	v_mul_f64 v[0:1], v[0:1], s[6:7]
.LBB136_159:
	scratch_load_b64 v[2:3], off, off offset:464
	s_waitcnt vmcnt(1)
	v_add_f64 v[4:5], v[4:5], v[0:1]
	v_add_co_u32 v8, vcc_lo, v71, v51
	v_mov_b32_e32 v0, 0
	v_dual_mov_b32 v1, 0 :: v_dual_mov_b32 v6, 0
	v_add_co_ci_u32_e32 v9, vcc_lo, v72, v52, vcc_lo
	v_mov_b32_e32 v7, 0
	s_and_b32 vcc_lo, exec_lo, s0
	global_store_b64 v[8:9], v[4:5], off
	s_cbranch_vccnz .LBB136_161
; %bb.160:
	v_add_co_u32 v4, vcc_lo, v16, v53
	v_add_co_ci_u32_e32 v5, vcc_lo, v73, v54, vcc_lo
	flat_load_b64 v[4:5], v[4:5]
	s_waitcnt vmcnt(0) lgkmcnt(0)
	v_mul_f64 v[6:7], v[4:5], s[6:7]
.LBB136_161:
	scratch_load_b64 v[4:5], off, off offset:472
	s_waitcnt vmcnt(1)
	v_add_f64 v[2:3], v[2:3], v[6:7]
	v_add_co_u32 v6, vcc_lo, v71, v53
	v_add_co_ci_u32_e32 v7, vcc_lo, v72, v54, vcc_lo
	s_and_b32 vcc_lo, exec_lo, s0
	global_store_b64 v[6:7], v[2:3], off
	s_cbranch_vccnz .LBB136_163
; %bb.162:
	v_add_co_u32 v0, vcc_lo, v16, v55
	v_add_co_ci_u32_e32 v1, vcc_lo, v73, v56, vcc_lo
	flat_load_b64 v[0:1], v[0:1]
	s_waitcnt vmcnt(0) lgkmcnt(0)
	v_mul_f64 v[0:1], v[0:1], s[6:7]
.LBB136_163:
	scratch_load_b64 v[2:3], off, off offset:480
	s_waitcnt vmcnt(1)
	v_add_f64 v[4:5], v[4:5], v[0:1]
	v_add_co_u32 v8, vcc_lo, v71, v55
	v_mov_b32_e32 v0, 0
	v_dual_mov_b32 v1, 0 :: v_dual_mov_b32 v6, 0
	v_add_co_ci_u32_e32 v9, vcc_lo, v72, v56, vcc_lo
	v_mov_b32_e32 v7, 0
	s_and_b32 vcc_lo, exec_lo, s0
	global_store_b64 v[8:9], v[4:5], off
	s_cbranch_vccnz .LBB136_165
; %bb.164:
	v_add_co_u32 v4, vcc_lo, v16, v57
	v_add_co_ci_u32_e32 v5, vcc_lo, v73, v58, vcc_lo
	flat_load_b64 v[4:5], v[4:5]
	s_waitcnt vmcnt(0) lgkmcnt(0)
	v_mul_f64 v[6:7], v[4:5], s[6:7]
.LBB136_165:
	scratch_load_b64 v[4:5], off, off offset:488
	s_waitcnt vmcnt(1)
	v_add_f64 v[2:3], v[2:3], v[6:7]
	v_add_co_u32 v6, vcc_lo, v71, v57
	v_add_co_ci_u32_e32 v7, vcc_lo, v72, v58, vcc_lo
	s_and_b32 vcc_lo, exec_lo, s0
	global_store_b64 v[6:7], v[2:3], off
	s_cbranch_vccnz .LBB136_167
; %bb.166:
	v_add_co_u32 v0, vcc_lo, v16, v59
	v_add_co_ci_u32_e32 v1, vcc_lo, v73, v60, vcc_lo
	flat_load_b64 v[0:1], v[0:1]
	s_waitcnt vmcnt(0) lgkmcnt(0)
	v_mul_f64 v[0:1], v[0:1], s[6:7]
.LBB136_167:
	scratch_load_b64 v[2:3], off, off offset:496
	s_waitcnt vmcnt(1)
	v_add_f64 v[4:5], v[4:5], v[0:1]
	v_add_co_u32 v8, vcc_lo, v71, v59
	v_mov_b32_e32 v0, 0
	v_dual_mov_b32 v1, 0 :: v_dual_mov_b32 v6, 0
	v_add_co_ci_u32_e32 v9, vcc_lo, v72, v60, vcc_lo
	v_mov_b32_e32 v7, 0
	s_and_b32 vcc_lo, exec_lo, s0
	global_store_b64 v[8:9], v[4:5], off
	s_cbranch_vccnz .LBB136_169
; %bb.168:
	v_add_co_u32 v4, vcc_lo, v16, v61
	v_add_co_ci_u32_e32 v5, vcc_lo, v73, v62, vcc_lo
	flat_load_b64 v[4:5], v[4:5]
	s_waitcnt vmcnt(0) lgkmcnt(0)
	v_mul_f64 v[6:7], v[4:5], s[6:7]
.LBB136_169:
	scratch_load_b64 v[4:5], off, off offset:504
	s_waitcnt vmcnt(1)
	v_add_f64 v[2:3], v[2:3], v[6:7]
	v_add_co_u32 v6, vcc_lo, v71, v61
	v_add_co_ci_u32_e32 v7, vcc_lo, v72, v62, vcc_lo
	s_and_b32 vcc_lo, exec_lo, s0
	global_store_b64 v[6:7], v[2:3], off
	s_cbranch_vccnz .LBB136_171
; %bb.170:
	v_add_co_u32 v0, vcc_lo, v16, v63
	v_add_co_ci_u32_e32 v1, vcc_lo, v73, v64, vcc_lo
	flat_load_b64 v[0:1], v[0:1]
	s_waitcnt vmcnt(0) lgkmcnt(0)
	v_mul_f64 v[0:1], v[0:1], s[6:7]
.LBB136_171:
	s_waitcnt vmcnt(0)
	s_delay_alu instid0(VALU_DEP_1)
	v_add_f64 v[0:1], v[4:5], v[0:1]
	v_add_co_u32 v2, vcc_lo, v71, v63
	v_add_co_ci_u32_e32 v3, vcc_lo, v72, v64, vcc_lo
	global_store_b64 v[2:3], v[0:1], off
	s_endpgm
	.section	.rodata,"a",@progbits
	.p2align	6, 0x0
	.amdhsa_kernel _ZN12_GLOBAL__N_120geam_min_plus_kernelIdddLi4ELi64ELi128ELi128ELi4ELi4ELi64ELi4ELi64ELc84ELc78ELb1ELb0ELb0EdKPKdKPdEEviiiT16_PT17_ilS8_ilS6_S8_ilPT18_ili26rocblas_geam_ex_operation_
		.amdhsa_group_segment_fixed_size 16384
		.amdhsa_private_segment_fixed_size 528
		.amdhsa_kernarg_size 136
		.amdhsa_user_sgpr_count 14
		.amdhsa_user_sgpr_dispatch_ptr 0
		.amdhsa_user_sgpr_queue_ptr 0
		.amdhsa_user_sgpr_kernarg_segment_ptr 1
		.amdhsa_user_sgpr_dispatch_id 0
		.amdhsa_user_sgpr_private_segment_size 0
		.amdhsa_wavefront_size32 1
		.amdhsa_uses_dynamic_stack 0
		.amdhsa_enable_private_segment 1
		.amdhsa_system_sgpr_workgroup_id_x 1
		.amdhsa_system_sgpr_workgroup_id_y 0
		.amdhsa_system_sgpr_workgroup_id_z 1
		.amdhsa_system_sgpr_workgroup_info 0
		.amdhsa_system_vgpr_workitem_id 1
		.amdhsa_next_free_vgpr 254
		.amdhsa_next_free_sgpr 22
		.amdhsa_reserve_vcc 1
		.amdhsa_float_round_mode_32 0
		.amdhsa_float_round_mode_16_64 0
		.amdhsa_float_denorm_mode_32 3
		.amdhsa_float_denorm_mode_16_64 3
		.amdhsa_dx10_clamp 1
		.amdhsa_ieee_mode 1
		.amdhsa_fp16_overflow 0
		.amdhsa_workgroup_processor_mode 1
		.amdhsa_memory_ordered 1
		.amdhsa_forward_progress 0
		.amdhsa_shared_vgpr_count 0
		.amdhsa_exception_fp_ieee_invalid_op 0
		.amdhsa_exception_fp_denorm_src 0
		.amdhsa_exception_fp_ieee_div_zero 0
		.amdhsa_exception_fp_ieee_overflow 0
		.amdhsa_exception_fp_ieee_underflow 0
		.amdhsa_exception_fp_ieee_inexact 0
		.amdhsa_exception_int_div_zero 0
	.end_amdhsa_kernel
	.section	.text._ZN12_GLOBAL__N_120geam_min_plus_kernelIdddLi4ELi64ELi128ELi128ELi4ELi4ELi64ELi4ELi64ELc84ELc78ELb1ELb0ELb0EdKPKdKPdEEviiiT16_PT17_ilS8_ilS6_S8_ilPT18_ili26rocblas_geam_ex_operation_,"axG",@progbits,_ZN12_GLOBAL__N_120geam_min_plus_kernelIdddLi4ELi64ELi128ELi128ELi4ELi4ELi64ELi4ELi64ELc84ELc78ELb1ELb0ELb0EdKPKdKPdEEviiiT16_PT17_ilS8_ilS6_S8_ilPT18_ili26rocblas_geam_ex_operation_,comdat
.Lfunc_end136:
	.size	_ZN12_GLOBAL__N_120geam_min_plus_kernelIdddLi4ELi64ELi128ELi128ELi4ELi4ELi64ELi4ELi64ELc84ELc78ELb1ELb0ELb0EdKPKdKPdEEviiiT16_PT17_ilS8_ilS6_S8_ilPT18_ili26rocblas_geam_ex_operation_, .Lfunc_end136-_ZN12_GLOBAL__N_120geam_min_plus_kernelIdddLi4ELi64ELi128ELi128ELi4ELi4ELi64ELi4ELi64ELc84ELc78ELb1ELb0ELb0EdKPKdKPdEEviiiT16_PT17_ilS8_ilS6_S8_ilPT18_ili26rocblas_geam_ex_operation_
                                        ; -- End function
	.section	.AMDGPU.csdata,"",@progbits
; Kernel info:
; codeLenInByte = 42752
; NumSgprs: 24
; NumVgprs: 254
; ScratchSize: 528
; MemoryBound: 1
; FloatMode: 240
; IeeeMode: 1
; LDSByteSize: 16384 bytes/workgroup (compile time only)
; SGPRBlocks: 2
; VGPRBlocks: 31
; NumSGPRsForWavesPerEU: 24
; NumVGPRsForWavesPerEU: 254
; Occupancy: 5
; WaveLimiterHint : 1
; COMPUTE_PGM_RSRC2:SCRATCH_EN: 1
; COMPUTE_PGM_RSRC2:USER_SGPR: 14
; COMPUTE_PGM_RSRC2:TRAP_HANDLER: 0
; COMPUTE_PGM_RSRC2:TGID_X_EN: 1
; COMPUTE_PGM_RSRC2:TGID_Y_EN: 0
; COMPUTE_PGM_RSRC2:TGID_Z_EN: 1
; COMPUTE_PGM_RSRC2:TIDIG_COMP_CNT: 1
	.section	.text._ZN12_GLOBAL__N_120geam_min_plus_kernelIdddLi4ELi64ELi128ELi128ELi4ELi4ELi64ELi4ELi64ELc84ELc78ELb0ELb0ELb0EdKPKdKPdEEviiiT16_PT17_ilS8_ilS6_S8_ilPT18_ili26rocblas_geam_ex_operation_,"axG",@progbits,_ZN12_GLOBAL__N_120geam_min_plus_kernelIdddLi4ELi64ELi128ELi128ELi4ELi4ELi64ELi4ELi64ELc84ELc78ELb0ELb0ELb0EdKPKdKPdEEviiiT16_PT17_ilS8_ilS6_S8_ilPT18_ili26rocblas_geam_ex_operation_,comdat
	.globl	_ZN12_GLOBAL__N_120geam_min_plus_kernelIdddLi4ELi64ELi128ELi128ELi4ELi4ELi64ELi4ELi64ELc84ELc78ELb0ELb0ELb0EdKPKdKPdEEviiiT16_PT17_ilS8_ilS6_S8_ilPT18_ili26rocblas_geam_ex_operation_ ; -- Begin function _ZN12_GLOBAL__N_120geam_min_plus_kernelIdddLi4ELi64ELi128ELi128ELi4ELi4ELi64ELi4ELi64ELc84ELc78ELb0ELb0ELb0EdKPKdKPdEEviiiT16_PT17_ilS8_ilS6_S8_ilPT18_ili26rocblas_geam_ex_operation_
	.p2align	8
	.type	_ZN12_GLOBAL__N_120geam_min_plus_kernelIdddLi4ELi64ELi128ELi128ELi4ELi4ELi64ELi4ELi64ELc84ELc78ELb0ELb0ELb0EdKPKdKPdEEviiiT16_PT17_ilS8_ilS6_S8_ilPT18_ili26rocblas_geam_ex_operation_,@function
_ZN12_GLOBAL__N_120geam_min_plus_kernelIdddLi4ELi64ELi128ELi128ELi4ELi4ELi64ELi4ELi64ELc84ELc78ELb0ELb0ELb0EdKPKdKPdEEviiiT16_PT17_ilS8_ilS6_S8_ilPT18_ili26rocblas_geam_ex_operation_: ; @_ZN12_GLOBAL__N_120geam_min_plus_kernelIdddLi4ELi64ELi128ELi128ELi4ELi4ELi64ELi4ELi64ELc84ELc78ELb0ELb0ELb0EdKPKdKPdEEviiiT16_PT17_ilS8_ilS6_S8_ilPT18_ili26rocblas_geam_ex_operation_
; %bb.0:
	s_clause 0x1
	s_load_b128 s[8:11], s[0:1], 0x10
	s_load_b128 s[16:19], s[0:1], 0x28
	s_mov_b32 s2, s15
	s_mov_b64 s[12:13], 0
	s_waitcnt lgkmcnt(0)
	v_cmp_eq_f64_e64 s15, s[8:9], 0
	s_delay_alu instid0(VALU_DEP_1)
	s_and_b32 vcc_lo, exec_lo, s15
	s_cbranch_vccnz .LBB137_2
; %bb.1:
	s_mov_b32 s3, 0
	s_delay_alu instid0(SALU_CYCLE_1) | instskip(NEXT) | instid1(SALU_CYCLE_1)
	s_lshl_b64 s[4:5], s[2:3], 3
	s_add_u32 s4, s10, s4
	s_addc_u32 s5, s11, s5
	s_lshl_b64 s[6:7], s[16:17], 3
	s_load_b64 s[4:5], s[4:5], 0x0
	s_waitcnt lgkmcnt(0)
	s_add_u32 s12, s4, s6
	s_addc_u32 s13, s5, s7
.LBB137_2:
	s_clause 0x1
	s_load_b128 s[4:7], s[0:1], 0x40
	s_load_b64 s[10:11], s[0:1], 0x50
	s_and_not1_b32 vcc_lo, exec_lo, s15
	s_cbranch_vccnz .LBB137_4
; %bb.3:
	s_mov_b32 s3, 0
	s_mov_b64 s[20:21], 0
	s_cbranch_execz .LBB137_5
	s_branch .LBB137_6
.LBB137_4:
	s_mov_b32 s3, -1
                                        ; implicit-def: $sgpr20_sgpr21
.LBB137_5:
	s_mov_b32 s3, 0
	s_delay_alu instid0(SALU_CYCLE_1) | instskip(NEXT) | instid1(SALU_CYCLE_1)
	s_lshl_b64 s[16:17], s[2:3], 3
	s_add_u32 s16, s18, s16
	s_addc_u32 s17, s19, s17
	s_waitcnt lgkmcnt(0)
	s_lshl_b64 s[4:5], s[4:5], 3
	s_load_b64 s[16:17], s[16:17], 0x0
	s_waitcnt lgkmcnt(0)
	s_add_u32 s20, s16, s4
	s_addc_u32 s21, s17, s5
.LBB137_6:
	s_waitcnt lgkmcnt(0)
	v_cmp_eq_f64_e64 s4, s[6:7], 0
	v_cmp_neq_f64_e64 s24, s[8:9], 0
	s_load_b128 s[16:19], s[0:1], 0x60
	s_delay_alu instid0(VALU_DEP_2)
	s_and_b32 vcc_lo, exec_lo, s4
	s_mov_b64 s[4:5], 0
	s_cbranch_vccnz .LBB137_8
; %bb.7:
	s_lshl_b64 s[4:5], s[2:3], 3
	s_delay_alu instid0(SALU_CYCLE_1)
	s_add_u32 s4, s10, s4
	s_addc_u32 s5, s11, s5
	s_waitcnt lgkmcnt(0)
	s_lshl_b64 s[10:11], s[16:17], 3
	s_load_b64 s[4:5], s[4:5], 0x0
	s_waitcnt lgkmcnt(0)
	s_add_u32 s4, s4, s10
	s_addc_u32 s5, s5, s11
.LBB137_8:
	s_clause 0x1
	s_load_b32 s15, s[0:1], 0x0
	s_load_b32 s22, s[0:1], 0x20
	s_lshl_b64 s[2:3], s[2:3], 3
	s_mov_b32 s10, 0
	s_waitcnt lgkmcnt(0)
	s_add_u32 s2, s18, s2
	s_mov_b32 s11, s10
	s_addc_u32 s3, s19, s3
	v_dual_mov_b32 v1, s10 :: v_dual_and_b32 v86, 0x3ff, v0
	v_mov_b32_e32 v2, s11
	s_load_b64 s[10:11], s[2:3], 0x0
	v_bfe_u32 v87, v0, 10, 10
	s_delay_alu instid0(VALU_DEP_3) | instskip(SKIP_1) | instid1(VALU_DEP_2)
	v_lshrrev_b32_e32 v0, 2, v86
	v_and_b32_e32 v88, 3, v86
	v_add_nc_u32_e32 v8, v0, v87
	v_cndmask_b32_e64 v0, 0, 1, s24
	s_delay_alu instid0(VALU_DEP_3) | instskip(SKIP_1) | instid1(SALU_CYCLE_1)
	v_lshlrev_b32_e32 v9, 3, v88
	s_add_i32 s2, s15, -1
	s_ashr_i32 s3, s2, 31
	s_delay_alu instid0(SALU_CYCLE_1) | instskip(NEXT) | instid1(SALU_CYCLE_1)
	s_lshr_b32 s3, s3, 25
	s_add_i32 s2, s2, s3
	s_delay_alu instid0(SALU_CYCLE_1) | instskip(NEXT) | instid1(SALU_CYCLE_1)
	s_ashr_i32 s2, s2, 7
	s_add_i32 s3, s2, 1
	s_not_b32 s2, s2
	v_cvt_f32_u32_e32 v3, s3
	s_delay_alu instid0(VALU_DEP_1)
	v_rcp_iflag_f32_e32 v3, v3
	s_waitcnt_depctr 0xfff
	v_mul_f32_e32 v3, 0x4f7ffffe, v3
	s_clause 0xa
	scratch_store_b64 off, v[1:2], off
	scratch_store_b64 off, v[1:2], off offset:8
	scratch_store_b64 off, v[1:2], off offset:16
	;; [unrolled: 1-line block ×10, first 2 shown]
	v_cvt_u32_f32_e32 v3, v3
	s_clause 0xe
	scratch_store_b64 off, v[1:2], off offset:88
	scratch_store_b64 off, v[1:2], off offset:96
	;; [unrolled: 1-line block ×15, first 2 shown]
	v_readfirstlane_b32 s15, v3
	s_clause 0xd
	scratch_store_b64 off, v[1:2], off offset:208
	scratch_store_b64 off, v[1:2], off offset:216
	;; [unrolled: 1-line block ×14, first 2 shown]
	s_mul_i32 s2, s2, s15
	s_clause 0x3
	scratch_store_b64 off, v[1:2], off offset:320
	scratch_store_b64 off, v[1:2], off offset:328
	;; [unrolled: 1-line block ×4, first 2 shown]
	s_mul_hi_u32 s2, s15, s2
	s_clause 0x1
	scratch_store_b64 off, v[1:2], off offset:352
	scratch_store_b64 off, v[1:2], off offset:360
	s_add_i32 s15, s15, s2
	s_clause 0xa
	scratch_store_b64 off, v[1:2], off offset:368
	scratch_store_b64 off, v[1:2], off offset:376
	;; [unrolled: 1-line block ×11, first 2 shown]
	s_mul_hi_u32 s2, s14, s15
	s_clause 0x1
	scratch_store_b64 off, v[1:2], off offset:456
	scratch_store_b64 off, v[1:2], off offset:464
	s_mul_i32 s15, s2, s3
	s_add_i32 s16, s2, 1
	s_sub_i32 s15, s14, s15
	s_clause 0x2
	scratch_store_b64 off, v[1:2], off offset:472
	scratch_store_b64 off, v[1:2], off offset:480
	;; [unrolled: 1-line block ×3, first 2 shown]
	s_sub_i32 s17, s15, s3
	s_cmp_ge_u32 s15, s3
	s_clause 0x1
	scratch_store_b64 off, v[1:2], off offset:496
	scratch_store_b64 off, v[1:2], off offset:504
	s_cselect_b32 s2, s16, s2
	s_cselect_b32 s15, s17, s15
	s_add_i32 s16, s2, 1
	s_cmp_ge_u32 s15, s3
	s_cselect_b32 s15, s16, s2
	s_and_not1_b32 vcc_lo, exec_lo, s24
	s_mul_i32 s2, s15, s3
	s_delay_alu instid0(SALU_CYCLE_1) | instskip(NEXT) | instid1(SALU_CYCLE_1)
	s_sub_i32 s2, s14, s2
	s_lshl_b32 s16, s2, 7
	v_cmp_ne_u32_e64 s2, 1, v0
	v_add_nc_u32_e32 v76, s16, v8
	s_delay_alu instid0(VALU_DEP_1)
	v_add_nc_u32_e32 v77, 64, v76
	s_cbranch_vccnz .LBB137_10
; %bb.9:
	v_mad_i64_i32 v[0:1], null, v76, s22, 0
	s_delay_alu instid0(VALU_DEP_2) | instskip(SKIP_1) | instid1(VALU_DEP_1)
	v_mad_i64_i32 v[2:3], null, v77, s22, 0
	v_add_co_u32 v4, s3, s12, v9
	v_add_co_ci_u32_e64 v5, null, s13, 0, s3
	s_delay_alu instid0(VALU_DEP_4) | instskip(NEXT) | instid1(VALU_DEP_4)
	v_lshlrev_b64 v[0:1], 3, v[0:1]
	v_lshlrev_b64 v[2:3], 3, v[2:3]
	s_delay_alu instid0(VALU_DEP_2) | instskip(NEXT) | instid1(VALU_DEP_3)
	v_add_co_u32 v0, vcc_lo, v4, v0
	v_add_co_ci_u32_e32 v1, vcc_lo, v5, v1, vcc_lo
	s_delay_alu instid0(VALU_DEP_3) | instskip(NEXT) | instid1(VALU_DEP_4)
	v_add_co_u32 v2, vcc_lo, v4, v2
	v_add_co_ci_u32_e32 v3, vcc_lo, v5, v3, vcc_lo
	s_clause 0x1
	flat_load_b64 v[0:1], v[0:1]
	flat_load_b64 v[2:3], v[2:3]
	s_waitcnt vmcnt(1) lgkmcnt(0)
	v_mul_f64 v[0:1], v[0:1], s[8:9]
	s_waitcnt vmcnt(0)
	v_mul_f64 v[2:3], v[2:3], s[8:9]
	s_branch .LBB137_11
.LBB137_10:
	v_mov_b32_e32 v0, 0
	v_dual_mov_b32 v1, 0 :: v_dual_mov_b32 v2, 0
	v_mov_b32_e32 v3, 0
.LBB137_11:
	s_load_b32 s3, s[0:1], 0x38
	s_lshl_b32 s17, s15, 7
	s_and_b32 vcc_lo, exec_lo, s2
	v_add_nc_u32_e32 v79, s17, v8
	s_delay_alu instid0(VALU_DEP_1)
	v_add_nc_u32_e32 v78, 64, v79
	s_cbranch_vccnz .LBB137_15
; %bb.12:
	s_waitcnt lgkmcnt(0)
	v_mad_i64_i32 v[4:5], null, v79, s3, 0
	s_delay_alu instid0(VALU_DEP_2) | instskip(SKIP_1) | instid1(VALU_DEP_1)
	v_mad_i64_i32 v[6:7], null, v78, s3, 0
	v_add_co_u32 v10, s14, s20, v9
	v_add_co_ci_u32_e64 v11, null, s21, 0, s14
	s_delay_alu instid0(VALU_DEP_4) | instskip(NEXT) | instid1(VALU_DEP_4)
	v_lshlrev_b64 v[4:5], 3, v[4:5]
	v_lshlrev_b64 v[6:7], 3, v[6:7]
	s_delay_alu instid0(VALU_DEP_2) | instskip(NEXT) | instid1(VALU_DEP_3)
	v_add_co_u32 v4, vcc_lo, v10, v4
	v_add_co_ci_u32_e32 v5, vcc_lo, v11, v5, vcc_lo
	s_delay_alu instid0(VALU_DEP_3) | instskip(NEXT) | instid1(VALU_DEP_4)
	v_add_co_u32 v6, vcc_lo, v10, v6
	v_add_co_ci_u32_e32 v7, vcc_lo, v11, v7, vcc_lo
	s_clause 0x1
	flat_load_b64 v[4:5], v[4:5]
	flat_load_b64 v[6:7], v[6:7]
	s_waitcnt vmcnt(1) lgkmcnt(1)
	v_mul_f64 v[4:5], v[4:5], s[8:9]
	s_waitcnt vmcnt(0) lgkmcnt(0)
	v_mul_f64 v[6:7], v[6:7], s[8:9]
	s_and_b32 vcc_lo, exec_lo, s2
	s_cbranch_vccnz .LBB137_16
.LBB137_13:
	v_mad_i64_i32 v[10:11], null, v76, s22, 0
	v_mad_i64_i32 v[12:13], null, v77, s22, 0
	v_add_co_u32 v14, s14, s12, v9
	s_delay_alu instid0(VALU_DEP_1) | instskip(NEXT) | instid1(VALU_DEP_4)
	v_add_co_ci_u32_e64 v15, null, s13, 0, s14
	v_lshlrev_b64 v[10:11], 3, v[10:11]
	s_delay_alu instid0(VALU_DEP_4) | instskip(NEXT) | instid1(VALU_DEP_2)
	v_lshlrev_b64 v[12:13], 3, v[12:13]
	v_add_co_u32 v10, vcc_lo, v14, v10
	s_delay_alu instid0(VALU_DEP_3) | instskip(NEXT) | instid1(VALU_DEP_3)
	v_add_co_ci_u32_e32 v11, vcc_lo, v15, v11, vcc_lo
	v_add_co_u32 v12, vcc_lo, v14, v12
	s_delay_alu instid0(VALU_DEP_4)
	v_add_co_ci_u32_e32 v13, vcc_lo, v15, v13, vcc_lo
	s_clause 0x1
	flat_load_b64 v[10:11], v[10:11] offset:32
	flat_load_b64 v[12:13], v[12:13] offset:32
	s_waitcnt vmcnt(1) lgkmcnt(0)
	v_mul_f64 v[68:69], v[10:11], s[8:9]
	s_waitcnt vmcnt(0)
	v_mul_f64 v[70:71], v[12:13], s[8:9]
	s_and_b32 vcc_lo, exec_lo, s2
	s_mov_b64 s[14:15], 0
	s_cbranch_vccnz .LBB137_17
.LBB137_14:
	s_waitcnt lgkmcnt(0)
	v_mad_i64_i32 v[10:11], null, v79, s3, 0
	v_mad_i64_i32 v[12:13], null, v78, s3, 0
	v_add_co_u32 v14, s15, s20, v9
	s_delay_alu instid0(VALU_DEP_1) | instskip(NEXT) | instid1(VALU_DEP_4)
	v_add_co_ci_u32_e64 v15, null, s21, 0, s15
	v_lshlrev_b64 v[10:11], 3, v[10:11]
	s_delay_alu instid0(VALU_DEP_4) | instskip(NEXT) | instid1(VALU_DEP_2)
	v_lshlrev_b64 v[12:13], 3, v[12:13]
	v_add_co_u32 v10, vcc_lo, v14, v10
	s_delay_alu instid0(VALU_DEP_3) | instskip(NEXT) | instid1(VALU_DEP_3)
	v_add_co_ci_u32_e32 v11, vcc_lo, v15, v11, vcc_lo
	v_add_co_u32 v12, vcc_lo, v14, v12
	s_delay_alu instid0(VALU_DEP_4)
	v_add_co_ci_u32_e32 v13, vcc_lo, v15, v13, vcc_lo
	s_clause 0x1
	flat_load_b64 v[10:11], v[10:11] offset:32
	flat_load_b64 v[12:13], v[12:13] offset:32
	s_waitcnt vmcnt(1) lgkmcnt(1)
	v_mul_f64 v[72:73], v[10:11], s[8:9]
	s_waitcnt vmcnt(0) lgkmcnt(0)
	v_mul_f64 v[74:75], v[12:13], s[8:9]
	s_branch .LBB137_18
.LBB137_15:
	v_mov_b32_e32 v4, 0
	v_dual_mov_b32 v5, 0 :: v_dual_mov_b32 v6, 0
	v_mov_b32_e32 v7, 0
	s_and_b32 vcc_lo, exec_lo, s2
	s_cbranch_vccz .LBB137_13
.LBB137_16:
	v_mov_b32_e32 v68, 0
	v_dual_mov_b32 v69, 0 :: v_dual_mov_b32 v70, 0
	v_mov_b32_e32 v71, 0
	s_and_b32 vcc_lo, exec_lo, s2
	s_mov_b64 s[14:15], 0
	s_cbranch_vccz .LBB137_14
.LBB137_17:
	v_mov_b32_e32 v72, 0
	v_dual_mov_b32 v73, 0 :: v_dual_mov_b32 v74, 0
	v_mov_b32_e32 v75, 0
.LBB137_18:
	v_cmp_neq_f64_e64 s18, s[6:7], 0
	v_dual_mov_b32 v80, 0 :: v_dual_lshlrev_b32 v89, 5, v86
	v_lshl_or_b32 v90, v8, 5, v9
	v_dual_mov_b32 v82, 16 :: v_dual_lshlrev_b32 v91, 5, v87
	s_delay_alu instid0(VALU_DEP_3)
	v_dual_mov_b32 v83, 24 :: v_dual_add_nc_u32 v52, 0x800, v89
	ds_store_2addr_stride64_b64 v90, v[0:1], v[2:3] offset1:4
	ds_store_2addr_stride64_b64 v90, v[4:5], v[6:7] offset0:16 offset1:20
	s_waitcnt lgkmcnt(0)
	s_waitcnt_vscnt null, 0x0
	s_barrier
	buffer_gl0_inv
	ds_load_2addr_b64 v[0:3], v89 offset1:16
	ds_load_2addr_b64 v[4:7], v89 offset0:32 offset1:48
	ds_load_2addr_b64 v[8:11], v89 offset0:64 offset1:80
	;; [unrolled: 1-line block ×5, first 2 shown]
	ds_load_2addr_b64 v[24:27], v52 offset1:16
	ds_load_2addr_b64 v[28:31], v52 offset0:32 offset1:48
	ds_load_2addr_b64 v[32:35], v52 offset0:64 offset1:80
	;; [unrolled: 1-line block ×9, first 2 shown]
	ds_load_2addr_stride64_b64 v[64:67], v91 offset0:16 offset1:20
	v_dual_mov_b32 v81, 8 :: v_dual_add_nc_u32 v92, 0x2000, v90
	v_dual_mov_b32 v84, 32 :: v_dual_add_nc_u32 v93, 0x2000, v91
	v_dual_mov_b32 v85, 40 :: v_dual_mov_b32 v94, 48
	v_dual_mov_b32 v95, 56 :: v_dual_mov_b32 v96, 64
	v_mov_b32_e32 v97, 0x48
	v_mov_b32_e32 v98, 0x50
	;; [unrolled: 1-line block ×23, first 2 shown]
	s_mov_b32 s19, -1
.LBB137_19:                             ; =>This Inner Loop Header: Depth=1
	scratch_load_b64 v[120:121], v80, off
	scratch_load_b64 v[122:123], v81, off
	scratch_load_b64 v[124:125], v82, off
	scratch_load_b64 v[126:127], v83, off
	scratch_load_b64 v[128:129], v84, off
	scratch_load_b64 v[130:131], v85, off
	scratch_load_b64 v[132:133], v94, off
	scratch_load_b64 v[134:135], v95, off
	scratch_load_b64 v[136:137], v96, off
	scratch_load_b64 v[138:139], v97, off
	scratch_load_b64 v[140:141], v98, off
	scratch_load_b64 v[142:143], v99, off
	scratch_load_b64 v[144:145], v100, off
	scratch_load_b64 v[146:147], v101, off
	scratch_load_b64 v[148:149], v102, off
	scratch_load_b64 v[150:151], v103, off
	scratch_load_b64 v[152:153], v104, off
	scratch_load_b64 v[154:155], v105, off
	scratch_load_b64 v[156:157], v106, off
	scratch_load_b64 v[158:159], v107, off
	scratch_load_b64 v[160:161], v108, off
	scratch_load_b64 v[162:163], v109, off
	scratch_load_b64 v[164:165], v110, off
	scratch_load_b64 v[166:167], v111, off
	scratch_load_b64 v[168:169], v112, off
	scratch_load_b64 v[170:171], v113, off
	scratch_load_b64 v[172:173], v114, off
	scratch_load_b64 v[174:175], v115, off
	scratch_load_b64 v[176:177], v116, off
	scratch_load_b64 v[178:179], v117, off
	scratch_load_b64 v[180:181], v118, off
	scratch_load_b64 v[182:183], v119, off
	s_cmp_eq_u32 s14, 1
	s_waitcnt lgkmcnt(16)
	v_max_f64 v[186:187], v[0:1], v[0:1]
	s_cselect_b32 vcc_lo, -1, 0
	v_max_f64 v[188:189], v[2:3], v[2:3]
	s_waitcnt lgkmcnt(0)
	v_dual_cndmask_b32 v185, v65, v67 :: v_dual_cndmask_b32 v184, v64, v66
	v_max_f64 v[190:191], v[4:5], v[4:5]
	v_max_f64 v[192:193], v[6:7], v[6:7]
	;; [unrolled: 1-line block ×31, first 2 shown]
	s_mov_b64 s[14:15], 1
	s_and_b32 vcc_lo, exec_lo, s19
	s_mov_b32 s19, 0
	v_min_f64 v[186:187], v[186:187], v[184:185]
	v_min_f64 v[188:189], v[188:189], v[184:185]
	v_min_f64 v[190:191], v[190:191], v[184:185]
	v_min_f64 v[192:193], v[192:193], v[184:185]
	v_min_f64 v[194:195], v[194:195], v[184:185]
	v_min_f64 v[196:197], v[196:197], v[184:185]
	v_min_f64 v[198:199], v[198:199], v[184:185]
	v_min_f64 v[200:201], v[200:201], v[184:185]
	v_min_f64 v[202:203], v[202:203], v[184:185]
	v_min_f64 v[204:205], v[204:205], v[184:185]
	v_min_f64 v[206:207], v[206:207], v[184:185]
	v_min_f64 v[208:209], v[208:209], v[184:185]
	v_min_f64 v[210:211], v[210:211], v[184:185]
	v_min_f64 v[212:213], v[212:213], v[184:185]
	v_min_f64 v[214:215], v[214:215], v[184:185]
	v_min_f64 v[216:217], v[216:217], v[184:185]
	v_min_f64 v[218:219], v[218:219], v[184:185]
	v_min_f64 v[220:221], v[220:221], v[184:185]
	v_min_f64 v[222:223], v[222:223], v[184:185]
	v_min_f64 v[224:225], v[224:225], v[184:185]
	v_min_f64 v[226:227], v[226:227], v[184:185]
	v_min_f64 v[228:229], v[228:229], v[184:185]
	v_min_f64 v[230:231], v[230:231], v[184:185]
	v_min_f64 v[232:233], v[232:233], v[184:185]
	v_min_f64 v[234:235], v[234:235], v[184:185]
	v_min_f64 v[236:237], v[236:237], v[184:185]
	v_min_f64 v[238:239], v[238:239], v[184:185]
	v_min_f64 v[240:241], v[240:241], v[184:185]
	v_min_f64 v[242:243], v[242:243], v[184:185]
	v_min_f64 v[244:245], v[244:245], v[184:185]
	v_min_f64 v[246:247], v[246:247], v[184:185]
	v_min_f64 v[184:185], v[248:249], v[184:185]
	s_waitcnt vmcnt(31)
	v_add_f64 v[120:121], v[120:121], v[186:187]
	s_waitcnt vmcnt(30)
	v_add_f64 v[122:123], v[188:189], v[122:123]
	;; [unrolled: 2-line block ×32, first 2 shown]
	scratch_store_b64 v80, v[120:121], off
	scratch_store_b64 v81, v[122:123], off
	;; [unrolled: 1-line block ×32, first 2 shown]
	v_mov_b32_e32 v80, 0x100
	v_mov_b32_e32 v81, 0x108
	v_mov_b32_e32 v82, 0x110
	v_mov_b32_e32 v83, 0x118
	v_mov_b32_e32 v84, 0x120
	v_mov_b32_e32 v85, 0x128
	v_mov_b32_e32 v94, 0x130
	v_mov_b32_e32 v95, 0x138
	v_mov_b32_e32 v96, 0x140
	v_mov_b32_e32 v97, 0x148
	v_mov_b32_e32 v98, 0x150
	v_mov_b32_e32 v99, 0x158
	v_mov_b32_e32 v100, 0x160
	v_mov_b32_e32 v101, 0x168
	v_mov_b32_e32 v102, 0x170
	v_mov_b32_e32 v103, 0x178
	v_mov_b32_e32 v104, 0x180
	v_mov_b32_e32 v105, 0x188
	v_mov_b32_e32 v106, 0x190
	v_mov_b32_e32 v107, 0x198
	v_mov_b32_e32 v108, 0x1a0
	v_mov_b32_e32 v109, 0x1a8
	v_mov_b32_e32 v110, 0x1b0
	v_mov_b32_e32 v111, 0x1b8
	v_mov_b32_e32 v112, 0x1c0
	v_mov_b32_e32 v113, 0x1c8
	v_mov_b32_e32 v114, 0x1d0
	v_mov_b32_e32 v115, 0x1d8
	v_mov_b32_e32 v116, 0x1e0
	v_mov_b32_e32 v117, 0x1e8
	v_mov_b32_e32 v118, 0x1f0
	v_mov_b32_e32 v119, 0x1f8
	s_cbranch_vccnz .LBB137_19
; %bb.20:
	v_dual_mov_b32 v81, 8 :: v_dual_add_nc_u32 v60, 0x800, v89
	ds_load_2addr_b64 v[0:3], v89 offset0:1 offset1:17
	ds_load_2addr_b64 v[4:7], v89 offset0:33 offset1:49
	;; [unrolled: 1-line block ×12, first 2 shown]
	v_dual_mov_b32 v83, 24 :: v_dual_add_nc_u32 v64, 8, v93
	ds_load_2addr_b64 v[48:51], v60 offset0:129 offset1:145
	ds_load_2addr_b64 v[52:55], v60 offset0:161 offset1:177
	;; [unrolled: 1-line block ×4, first 2 shown]
	ds_load_2addr_stride64_b64 v[64:67], v64 offset1:4
	v_dual_mov_b32 v80, 0 :: v_dual_mov_b32 v85, 40
	v_dual_mov_b32 v82, 16 :: v_dual_mov_b32 v95, 56
	;; [unrolled: 1-line block ×5, first 2 shown]
	v_mov_b32_e32 v98, 0x50
	v_mov_b32_e32 v100, 0x60
	;; [unrolled: 1-line block ×20, first 2 shown]
	s_mov_b64 s[14:15], 0
	s_mov_b32 s19, -1
.LBB137_21:                             ; =>This Inner Loop Header: Depth=1
	scratch_load_b64 v[120:121], v80, off
	scratch_load_b64 v[122:123], v81, off
	;; [unrolled: 1-line block ×32, first 2 shown]
	s_cmp_eq_u32 s14, 1
	s_waitcnt lgkmcnt(16)
	v_max_f64 v[186:187], v[0:1], v[0:1]
	s_cselect_b32 vcc_lo, -1, 0
	v_max_f64 v[188:189], v[2:3], v[2:3]
	s_waitcnt lgkmcnt(0)
	v_dual_cndmask_b32 v185, v65, v67 :: v_dual_cndmask_b32 v184, v64, v66
	v_max_f64 v[190:191], v[4:5], v[4:5]
	v_max_f64 v[192:193], v[6:7], v[6:7]
	;; [unrolled: 1-line block ×31, first 2 shown]
	s_mov_b64 s[14:15], 1
	s_and_b32 vcc_lo, exec_lo, s19
	s_mov_b32 s19, 0
	v_min_f64 v[186:187], v[186:187], v[184:185]
	v_min_f64 v[188:189], v[188:189], v[184:185]
	v_min_f64 v[190:191], v[190:191], v[184:185]
	v_min_f64 v[192:193], v[192:193], v[184:185]
	v_min_f64 v[194:195], v[194:195], v[184:185]
	v_min_f64 v[196:197], v[196:197], v[184:185]
	v_min_f64 v[198:199], v[198:199], v[184:185]
	v_min_f64 v[200:201], v[200:201], v[184:185]
	v_min_f64 v[202:203], v[202:203], v[184:185]
	v_min_f64 v[204:205], v[204:205], v[184:185]
	v_min_f64 v[206:207], v[206:207], v[184:185]
	v_min_f64 v[208:209], v[208:209], v[184:185]
	v_min_f64 v[210:211], v[210:211], v[184:185]
	v_min_f64 v[212:213], v[212:213], v[184:185]
	v_min_f64 v[214:215], v[214:215], v[184:185]
	v_min_f64 v[216:217], v[216:217], v[184:185]
	v_min_f64 v[218:219], v[218:219], v[184:185]
	v_min_f64 v[220:221], v[220:221], v[184:185]
	v_min_f64 v[222:223], v[222:223], v[184:185]
	v_min_f64 v[224:225], v[224:225], v[184:185]
	v_min_f64 v[226:227], v[226:227], v[184:185]
	v_min_f64 v[228:229], v[228:229], v[184:185]
	v_min_f64 v[230:231], v[230:231], v[184:185]
	v_min_f64 v[232:233], v[232:233], v[184:185]
	v_min_f64 v[234:235], v[234:235], v[184:185]
	v_min_f64 v[236:237], v[236:237], v[184:185]
	v_min_f64 v[238:239], v[238:239], v[184:185]
	v_min_f64 v[240:241], v[240:241], v[184:185]
	v_min_f64 v[242:243], v[242:243], v[184:185]
	v_min_f64 v[244:245], v[244:245], v[184:185]
	v_min_f64 v[246:247], v[246:247], v[184:185]
	v_min_f64 v[184:185], v[248:249], v[184:185]
	s_waitcnt vmcnt(31)
	v_add_f64 v[120:121], v[120:121], v[186:187]
	s_waitcnt vmcnt(30)
	v_add_f64 v[122:123], v[188:189], v[122:123]
	;; [unrolled: 2-line block ×32, first 2 shown]
	scratch_store_b64 v80, v[120:121], off
	scratch_store_b64 v81, v[122:123], off
	;; [unrolled: 1-line block ×32, first 2 shown]
	v_mov_b32_e32 v80, 0x100
	v_mov_b32_e32 v81, 0x108
	;; [unrolled: 1-line block ×32, first 2 shown]
	s_cbranch_vccnz .LBB137_21
; %bb.22:
	v_dual_mov_b32 v81, 8 :: v_dual_add_nc_u32 v60, 0x800, v89
	ds_load_2addr_b64 v[0:3], v89 offset0:2 offset1:18
	ds_load_2addr_b64 v[4:7], v89 offset0:34 offset1:50
	;; [unrolled: 1-line block ×12, first 2 shown]
	v_dual_mov_b32 v83, 24 :: v_dual_add_nc_u32 v64, 16, v93
	ds_load_2addr_b64 v[48:51], v60 offset0:130 offset1:146
	ds_load_2addr_b64 v[52:55], v60 offset0:162 offset1:178
	;; [unrolled: 1-line block ×4, first 2 shown]
	ds_load_2addr_stride64_b64 v[64:67], v64 offset1:4
	v_dual_mov_b32 v80, 0 :: v_dual_mov_b32 v85, 40
	v_dual_mov_b32 v82, 16 :: v_dual_mov_b32 v95, 56
	;; [unrolled: 1-line block ×5, first 2 shown]
	v_mov_b32_e32 v98, 0x50
	v_mov_b32_e32 v100, 0x60
	;; [unrolled: 1-line block ×20, first 2 shown]
	s_mov_b64 s[14:15], 0
	s_mov_b32 s19, -1
.LBB137_23:                             ; =>This Inner Loop Header: Depth=1
	scratch_load_b64 v[120:121], v80, off
	scratch_load_b64 v[122:123], v81, off
	;; [unrolled: 1-line block ×32, first 2 shown]
	s_cmp_eq_u32 s14, 1
	s_waitcnt lgkmcnt(16)
	v_max_f64 v[186:187], v[0:1], v[0:1]
	s_cselect_b32 vcc_lo, -1, 0
	v_max_f64 v[188:189], v[2:3], v[2:3]
	s_waitcnt lgkmcnt(0)
	v_dual_cndmask_b32 v185, v65, v67 :: v_dual_cndmask_b32 v184, v64, v66
	v_max_f64 v[190:191], v[4:5], v[4:5]
	v_max_f64 v[192:193], v[6:7], v[6:7]
	;; [unrolled: 1-line block ×31, first 2 shown]
	s_mov_b64 s[14:15], 1
	s_and_b32 vcc_lo, exec_lo, s19
	s_mov_b32 s19, 0
	v_min_f64 v[186:187], v[186:187], v[184:185]
	v_min_f64 v[188:189], v[188:189], v[184:185]
	;; [unrolled: 1-line block ×32, first 2 shown]
	s_waitcnt vmcnt(31)
	v_add_f64 v[120:121], v[120:121], v[186:187]
	s_waitcnt vmcnt(30)
	v_add_f64 v[122:123], v[188:189], v[122:123]
	;; [unrolled: 2-line block ×32, first 2 shown]
	scratch_store_b64 v80, v[120:121], off
	scratch_store_b64 v81, v[122:123], off
	;; [unrolled: 1-line block ×32, first 2 shown]
	v_mov_b32_e32 v80, 0x100
	v_mov_b32_e32 v81, 0x108
	v_mov_b32_e32 v82, 0x110
	v_mov_b32_e32 v83, 0x118
	v_mov_b32_e32 v84, 0x120
	v_mov_b32_e32 v85, 0x128
	v_mov_b32_e32 v94, 0x130
	v_mov_b32_e32 v95, 0x138
	v_mov_b32_e32 v96, 0x140
	v_mov_b32_e32 v97, 0x148
	v_mov_b32_e32 v98, 0x150
	v_mov_b32_e32 v99, 0x158
	v_mov_b32_e32 v100, 0x160
	v_mov_b32_e32 v101, 0x168
	v_mov_b32_e32 v102, 0x170
	v_mov_b32_e32 v103, 0x178
	v_mov_b32_e32 v104, 0x180
	v_mov_b32_e32 v105, 0x188
	v_mov_b32_e32 v106, 0x190
	v_mov_b32_e32 v107, 0x198
	v_mov_b32_e32 v108, 0x1a0
	v_mov_b32_e32 v109, 0x1a8
	v_mov_b32_e32 v110, 0x1b0
	v_mov_b32_e32 v111, 0x1b8
	v_mov_b32_e32 v112, 0x1c0
	v_mov_b32_e32 v113, 0x1c8
	v_mov_b32_e32 v114, 0x1d0
	v_mov_b32_e32 v115, 0x1d8
	v_mov_b32_e32 v116, 0x1e0
	v_mov_b32_e32 v117, 0x1e8
	v_mov_b32_e32 v118, 0x1f0
	v_mov_b32_e32 v119, 0x1f8
	s_cbranch_vccnz .LBB137_23
; %bb.24:
	v_dual_mov_b32 v81, 8 :: v_dual_add_nc_u32 v60, 0x800, v89
	ds_load_2addr_b64 v[0:3], v89 offset0:3 offset1:19
	ds_load_2addr_b64 v[4:7], v89 offset0:35 offset1:51
	;; [unrolled: 1-line block ×12, first 2 shown]
	v_dual_mov_b32 v83, 24 :: v_dual_add_nc_u32 v64, 24, v93
	ds_load_2addr_b64 v[48:51], v60 offset0:131 offset1:147
	ds_load_2addr_b64 v[52:55], v60 offset0:163 offset1:179
	;; [unrolled: 1-line block ×4, first 2 shown]
	ds_load_2addr_stride64_b64 v[64:67], v64 offset1:4
	v_dual_mov_b32 v80, 0 :: v_dual_mov_b32 v85, 40
	v_dual_mov_b32 v82, 16 :: v_dual_mov_b32 v95, 56
	;; [unrolled: 1-line block ×5, first 2 shown]
	v_mov_b32_e32 v98, 0x50
	v_mov_b32_e32 v100, 0x60
	;; [unrolled: 1-line block ×20, first 2 shown]
	s_mov_b64 s[14:15], 0
	s_mov_b32 s19, -1
.LBB137_25:                             ; =>This Inner Loop Header: Depth=1
	scratch_load_b64 v[120:121], v80, off
	scratch_load_b64 v[122:123], v81, off
	;; [unrolled: 1-line block ×32, first 2 shown]
	s_cmp_eq_u32 s14, 1
	s_waitcnt lgkmcnt(16)
	v_max_f64 v[186:187], v[0:1], v[0:1]
	s_cselect_b32 vcc_lo, -1, 0
	v_max_f64 v[188:189], v[2:3], v[2:3]
	s_waitcnt lgkmcnt(0)
	v_dual_cndmask_b32 v185, v65, v67 :: v_dual_cndmask_b32 v184, v64, v66
	v_max_f64 v[190:191], v[4:5], v[4:5]
	v_max_f64 v[192:193], v[6:7], v[6:7]
	;; [unrolled: 1-line block ×31, first 2 shown]
	s_mov_b64 s[14:15], 1
	s_and_b32 vcc_lo, exec_lo, s19
	s_mov_b32 s19, 0
	v_min_f64 v[186:187], v[186:187], v[184:185]
	v_min_f64 v[188:189], v[188:189], v[184:185]
	v_min_f64 v[190:191], v[190:191], v[184:185]
	v_min_f64 v[192:193], v[192:193], v[184:185]
	v_min_f64 v[194:195], v[194:195], v[184:185]
	v_min_f64 v[196:197], v[196:197], v[184:185]
	v_min_f64 v[198:199], v[198:199], v[184:185]
	v_min_f64 v[200:201], v[200:201], v[184:185]
	v_min_f64 v[202:203], v[202:203], v[184:185]
	v_min_f64 v[204:205], v[204:205], v[184:185]
	v_min_f64 v[206:207], v[206:207], v[184:185]
	v_min_f64 v[208:209], v[208:209], v[184:185]
	v_min_f64 v[210:211], v[210:211], v[184:185]
	v_min_f64 v[212:213], v[212:213], v[184:185]
	v_min_f64 v[214:215], v[214:215], v[184:185]
	v_min_f64 v[216:217], v[216:217], v[184:185]
	v_min_f64 v[218:219], v[218:219], v[184:185]
	v_min_f64 v[220:221], v[220:221], v[184:185]
	v_min_f64 v[222:223], v[222:223], v[184:185]
	v_min_f64 v[224:225], v[224:225], v[184:185]
	v_min_f64 v[226:227], v[226:227], v[184:185]
	v_min_f64 v[228:229], v[228:229], v[184:185]
	v_min_f64 v[230:231], v[230:231], v[184:185]
	v_min_f64 v[232:233], v[232:233], v[184:185]
	v_min_f64 v[234:235], v[234:235], v[184:185]
	v_min_f64 v[236:237], v[236:237], v[184:185]
	v_min_f64 v[238:239], v[238:239], v[184:185]
	v_min_f64 v[240:241], v[240:241], v[184:185]
	v_min_f64 v[242:243], v[242:243], v[184:185]
	v_min_f64 v[244:245], v[244:245], v[184:185]
	v_min_f64 v[246:247], v[246:247], v[184:185]
	v_min_f64 v[184:185], v[248:249], v[184:185]
	s_waitcnt vmcnt(31)
	v_add_f64 v[120:121], v[120:121], v[186:187]
	s_waitcnt vmcnt(30)
	v_add_f64 v[122:123], v[188:189], v[122:123]
	;; [unrolled: 2-line block ×32, first 2 shown]
	scratch_store_b64 v80, v[120:121], off
	scratch_store_b64 v81, v[122:123], off
	;; [unrolled: 1-line block ×32, first 2 shown]
	v_mov_b32_e32 v80, 0x100
	v_mov_b32_e32 v81, 0x108
	;; [unrolled: 1-line block ×32, first 2 shown]
	s_cbranch_vccnz .LBB137_25
; %bb.26:
	s_load_b32 s14, s[0:1], 0x8
	s_mov_b32 s19, 8
	ds_store_2addr_stride64_b64 v90, v[68:69], v[70:71] offset0:8 offset1:12
	ds_store_2addr_stride64_b64 v90, v[72:73], v[74:75] offset0:24 offset1:28
	s_waitcnt lgkmcnt(0)
	s_waitcnt_vscnt null, 0x0
	s_barrier
	buffer_gl0_inv
	s_cmp_gt_i32 s14, 8
	s_cbranch_scc0 .LBB137_55
; %bb.27:
	v_mad_i64_i32 v[0:1], null, v76, s22, 0
	v_mad_i64_i32 v[2:3], null, v77, s22, 0
	;; [unrolled: 1-line block ×4, first 2 shown]
	v_lshl_add_u32 v96, v86, 5, 0x1000
	v_lshlrev_b64 v[70:71], 3, v[0:1]
	v_lshlrev_b64 v[72:73], 3, v[2:3]
	v_dual_mov_b32 v69, 0 :: v_dual_add_nc_u32 v94, 0x1000, v90
	v_lshlrev_b64 v[74:75], 3, v[4:5]
	v_lshlrev_b64 v[76:77], 3, v[6:7]
	v_add_nc_u32_e32 v95, 0x3000, v90
	v_lshl_add_u32 v97, v87, 5, 0x3000
	v_add_nc_u32_e32 v98, 0x800, v96
	s_add_i32 s22, s14, -8
	s_mov_b32 s23, 0
	s_and_b32 s3, exec_lo, s24
.LBB137_28:                             ; =>This Loop Header: Depth=1
                                        ;     Child Loop BB137_34 Depth 2
                                        ;     Child Loop BB137_36 Depth 2
	;; [unrolled: 1-line block ×8, first 2 shown]
	v_or_b32_e32 v68, s19, v88
	s_and_b32 vcc_lo, exec_lo, s2
	s_cbranch_vccnz .LBB137_31
; %bb.29:                               ;   in Loop: Header=BB137_28 Depth=1
	s_delay_alu instid0(VALU_DEP_1) | instskip(NEXT) | instid1(VALU_DEP_1)
	v_lshlrev_b64 v[0:1], 3, v[68:69]
	v_add_co_u32 v2, vcc_lo, s12, v0
	s_delay_alu instid0(VALU_DEP_2) | instskip(NEXT) | instid1(VALU_DEP_2)
	v_add_co_ci_u32_e32 v3, vcc_lo, s13, v1, vcc_lo
	v_add_co_u32 v0, vcc_lo, v2, v70
	s_delay_alu instid0(VALU_DEP_2)
	v_add_co_ci_u32_e32 v1, vcc_lo, v3, v71, vcc_lo
	v_add_co_u32 v2, vcc_lo, v2, v72
	v_add_co_ci_u32_e32 v3, vcc_lo, v3, v73, vcc_lo
	s_clause 0x1
	flat_load_b64 v[0:1], v[0:1]
	flat_load_b64 v[2:3], v[2:3]
	s_waitcnt vmcnt(1) lgkmcnt(1)
	v_mul_f64 v[78:79], v[0:1], s[8:9]
	s_waitcnt vmcnt(0) lgkmcnt(0)
	v_mul_f64 v[80:81], v[2:3], s[8:9]
	s_and_b32 vcc_lo, exec_lo, s2
	s_mov_b64 s[14:15], 0
	s_cbranch_vccnz .LBB137_32
.LBB137_30:                             ;   in Loop: Header=BB137_28 Depth=1
	v_lshlrev_b64 v[0:1], 3, v[68:69]
	s_delay_alu instid0(VALU_DEP_1) | instskip(NEXT) | instid1(VALU_DEP_2)
	v_add_co_u32 v2, vcc_lo, s20, v0
	v_add_co_ci_u32_e32 v3, vcc_lo, s21, v1, vcc_lo
	s_delay_alu instid0(VALU_DEP_2) | instskip(NEXT) | instid1(VALU_DEP_2)
	v_add_co_u32 v0, vcc_lo, v2, v74
	v_add_co_ci_u32_e32 v1, vcc_lo, v3, v75, vcc_lo
	v_add_co_u32 v2, vcc_lo, v2, v76
	v_add_co_ci_u32_e32 v3, vcc_lo, v3, v77, vcc_lo
	s_clause 0x1
	flat_load_b64 v[0:1], v[0:1]
	flat_load_b64 v[2:3], v[2:3]
	s_waitcnt vmcnt(1) lgkmcnt(1)
	v_mul_f64 v[82:83], v[0:1], s[8:9]
	s_waitcnt vmcnt(0) lgkmcnt(0)
	v_mul_f64 v[84:85], v[2:3], s[8:9]
	s_branch .LBB137_33
.LBB137_31:                             ;   in Loop: Header=BB137_28 Depth=1
	v_mov_b32_e32 v78, 0
	v_dual_mov_b32 v79, 0 :: v_dual_mov_b32 v80, 0
	v_mov_b32_e32 v81, 0
	s_and_b32 vcc_lo, exec_lo, s2
	s_mov_b64 s[14:15], 0
	s_cbranch_vccz .LBB137_30
.LBB137_32:                             ;   in Loop: Header=BB137_28 Depth=1
	v_mov_b32_e32 v82, 0
	v_dual_mov_b32 v83, 0 :: v_dual_mov_b32 v84, 0
	v_mov_b32_e32 v85, 0
.LBB137_33:                             ;   in Loop: Header=BB137_28 Depth=1
	ds_load_2addr_b64 v[0:3], v96 offset1:16
	ds_load_2addr_b64 v[4:7], v96 offset0:32 offset1:48
	ds_load_2addr_b64 v[8:11], v96 offset0:64 offset1:80
	;; [unrolled: 1-line block ×7, first 2 shown]
	ds_load_2addr_b64 v[32:35], v98 offset1:16
	ds_load_2addr_b64 v[36:39], v98 offset0:32 offset1:48
	ds_load_2addr_b64 v[40:43], v98 offset0:64 offset1:80
	;; [unrolled: 1-line block ×7, first 2 shown]
	ds_load_2addr_stride64_b64 v[64:67], v97 offset1:4
	v_dual_mov_b32 v130, 0 :: v_dual_mov_b32 v129, 8
	v_dual_mov_b32 v128, 16 :: v_dual_mov_b32 v127, 24
	;; [unrolled: 1-line block ×5, first 2 shown]
	v_mov_b32_e32 v120, 0x50
	v_mov_b32_e32 v119, 0x58
	;; [unrolled: 1-line block ×22, first 2 shown]
	s_mov_b32 s24, -1
.LBB137_34:                             ;   Parent Loop BB137_28 Depth=1
                                        ; =>  This Inner Loop Header: Depth=2
	scratch_load_b64 v[135:136], v130, off
	s_cmp_eq_u32 s14, 1
	s_waitcnt lgkmcnt(16)
	v_max_f64 v[133:134], v[0:1], v[0:1]
	s_cselect_b32 vcc_lo, -1, 0
	s_mov_b64 s[14:15], 1
	s_waitcnt lgkmcnt(0)
	v_dual_cndmask_b32 v132, v65, v67 :: v_dual_cndmask_b32 v131, v64, v66
	s_and_b32 vcc_lo, exec_lo, s24
	s_mov_b32 s24, 0
	s_delay_alu instid0(VALU_DEP_1) | instskip(NEXT) | instid1(VALU_DEP_1)
	v_max_f64 v[131:132], v[131:132], v[131:132]
	v_min_f64 v[133:134], v[133:134], v[131:132]
	s_waitcnt vmcnt(0)
	s_delay_alu instid0(VALU_DEP_1) | instskip(SKIP_3) | instid1(VALU_DEP_1)
	v_add_f64 v[133:134], v[135:136], v[133:134]
	scratch_load_b64 v[135:136], v129, off
	scratch_store_b64 v130, v[133:134], off
	v_max_f64 v[133:134], v[2:3], v[2:3]
	v_min_f64 v[133:134], v[133:134], v[131:132]
	s_waitcnt vmcnt(0)
	s_delay_alu instid0(VALU_DEP_1) | instskip(SKIP_3) | instid1(VALU_DEP_1)
	v_add_f64 v[133:134], v[133:134], v[135:136]
	scratch_store_b64 v129, v[133:134], off
	scratch_load_b64 v[133:134], v128, off
	v_max_f64 v[129:130], v[4:5], v[4:5]
	v_min_f64 v[129:130], v[129:130], v[131:132]
	s_waitcnt vmcnt(0)
	s_delay_alu instid0(VALU_DEP_1) | instskip(SKIP_3) | instid1(VALU_DEP_1)
	v_add_f64 v[129:130], v[129:130], v[133:134]
	scratch_load_b64 v[133:134], v127, off
	scratch_store_b64 v128, v[129:130], off
	v_max_f64 v[128:129], v[6:7], v[6:7]
	v_min_f64 v[128:129], v[128:129], v[131:132]
	s_waitcnt vmcnt(0)
	s_delay_alu instid0(VALU_DEP_1) | instskip(SKIP_3) | instid1(VALU_DEP_1)
	v_add_f64 v[128:129], v[128:129], v[133:134]
	scratch_store_b64 v127, v[128:129], off
	scratch_load_b64 v[129:130], v126, off
	v_max_f64 v[127:128], v[8:9], v[8:9]
	v_min_f64 v[127:128], v[127:128], v[131:132]
	s_waitcnt vmcnt(0)
	s_delay_alu instid0(VALU_DEP_1) | instskip(SKIP_4) | instid1(VALU_DEP_1)
	v_add_f64 v[127:128], v[127:128], v[129:130]
	v_mov_b32_e32 v130, 0x100
	scratch_store_b64 v126, v[127:128], off
	scratch_load_b64 v[128:129], v125, off
	v_max_f64 v[126:127], v[10:11], v[10:11]
	v_min_f64 v[126:127], v[126:127], v[131:132]
	s_waitcnt vmcnt(0)
	s_delay_alu instid0(VALU_DEP_1) | instskip(SKIP_4) | instid1(VALU_DEP_1)
	v_add_f64 v[126:127], v[126:127], v[128:129]
	v_mov_b32_e32 v129, 0x108
	;; [unrolled: 8-line block ×27, first 2 shown]
	scratch_store_b64 v100, v[101:102], off
	scratch_load_b64 v[102:103], v99, off
	v_max_f64 v[100:101], v[62:63], v[62:63]
	v_min_f64 v[100:101], v[100:101], v[131:132]
	s_waitcnt vmcnt(0)
	s_delay_alu instid0(VALU_DEP_1)
	v_add_f64 v[100:101], v[100:101], v[102:103]
	v_mov_b32_e32 v103, 0x1d8
	v_mov_b32_e32 v102, 0x1e0
	scratch_store_b64 v99, v[100:101], off
	v_mov_b32_e32 v101, 0x1e8
	v_mov_b32_e32 v100, 0x1f0
	;; [unrolled: 1-line block ×3, first 2 shown]
	s_cbranch_vccnz .LBB137_34
; %bb.35:                               ;   in Loop: Header=BB137_28 Depth=1
	ds_load_2addr_b64 v[0:3], v96 offset0:1 offset1:17
	ds_load_2addr_b64 v[4:7], v96 offset0:33 offset1:49
	;; [unrolled: 1-line block ×12, first 2 shown]
	v_dual_mov_b32 v129, 8 :: v_dual_add_nc_u32 v64, 8, v97
	ds_load_2addr_b64 v[48:51], v98 offset0:129 offset1:145
	ds_load_2addr_b64 v[52:55], v98 offset0:161 offset1:177
	ds_load_2addr_b64 v[56:59], v98 offset0:193 offset1:209
	ds_load_2addr_b64 v[60:63], v98 offset0:225 offset1:241
	ds_load_2addr_stride64_b64 v[64:67], v64 offset1:4
	v_dual_mov_b32 v130, 0 :: v_dual_mov_b32 v127, 24
	v_dual_mov_b32 v128, 16 :: v_dual_mov_b32 v125, 40
	;; [unrolled: 1-line block ×5, first 2 shown]
	v_mov_b32_e32 v120, 0x50
	v_mov_b32_e32 v118, 0x60
	;; [unrolled: 1-line block ×21, first 2 shown]
	s_mov_b64 s[14:15], 0
	s_mov_b32 s24, -1
.LBB137_36:                             ;   Parent Loop BB137_28 Depth=1
                                        ; =>  This Inner Loop Header: Depth=2
	scratch_load_b64 v[135:136], v130, off
	s_cmp_eq_u32 s14, 1
	s_waitcnt lgkmcnt(16)
	v_max_f64 v[133:134], v[0:1], v[0:1]
	s_cselect_b32 vcc_lo, -1, 0
	s_mov_b64 s[14:15], 1
	s_waitcnt lgkmcnt(0)
	v_dual_cndmask_b32 v132, v65, v67 :: v_dual_cndmask_b32 v131, v64, v66
	s_and_b32 vcc_lo, exec_lo, s24
	s_mov_b32 s24, 0
	s_delay_alu instid0(VALU_DEP_1) | instskip(NEXT) | instid1(VALU_DEP_1)
	v_max_f64 v[131:132], v[131:132], v[131:132]
	v_min_f64 v[133:134], v[133:134], v[131:132]
	s_waitcnt vmcnt(0)
	s_delay_alu instid0(VALU_DEP_1) | instskip(SKIP_3) | instid1(VALU_DEP_1)
	v_add_f64 v[133:134], v[135:136], v[133:134]
	scratch_load_b64 v[135:136], v129, off
	scratch_store_b64 v130, v[133:134], off
	v_max_f64 v[133:134], v[2:3], v[2:3]
	v_min_f64 v[133:134], v[133:134], v[131:132]
	s_waitcnt vmcnt(0)
	s_delay_alu instid0(VALU_DEP_1) | instskip(SKIP_3) | instid1(VALU_DEP_1)
	v_add_f64 v[133:134], v[133:134], v[135:136]
	scratch_store_b64 v129, v[133:134], off
	scratch_load_b64 v[133:134], v128, off
	v_max_f64 v[129:130], v[4:5], v[4:5]
	v_min_f64 v[129:130], v[129:130], v[131:132]
	s_waitcnt vmcnt(0)
	s_delay_alu instid0(VALU_DEP_1) | instskip(SKIP_3) | instid1(VALU_DEP_1)
	v_add_f64 v[129:130], v[129:130], v[133:134]
	scratch_load_b64 v[133:134], v127, off
	scratch_store_b64 v128, v[129:130], off
	v_max_f64 v[128:129], v[6:7], v[6:7]
	v_min_f64 v[128:129], v[128:129], v[131:132]
	s_waitcnt vmcnt(0)
	s_delay_alu instid0(VALU_DEP_1) | instskip(SKIP_3) | instid1(VALU_DEP_1)
	v_add_f64 v[128:129], v[128:129], v[133:134]
	scratch_store_b64 v127, v[128:129], off
	scratch_load_b64 v[129:130], v126, off
	v_max_f64 v[127:128], v[8:9], v[8:9]
	v_min_f64 v[127:128], v[127:128], v[131:132]
	s_waitcnt vmcnt(0)
	s_delay_alu instid0(VALU_DEP_1) | instskip(SKIP_4) | instid1(VALU_DEP_1)
	v_add_f64 v[127:128], v[127:128], v[129:130]
	v_mov_b32_e32 v130, 0x100
	scratch_store_b64 v126, v[127:128], off
	scratch_load_b64 v[128:129], v125, off
	v_max_f64 v[126:127], v[10:11], v[10:11]
	v_min_f64 v[126:127], v[126:127], v[131:132]
	s_waitcnt vmcnt(0)
	s_delay_alu instid0(VALU_DEP_1) | instskip(SKIP_4) | instid1(VALU_DEP_1)
	v_add_f64 v[126:127], v[126:127], v[128:129]
	v_mov_b32_e32 v129, 0x108
	;; [unrolled: 8-line block ×27, first 2 shown]
	scratch_store_b64 v100, v[101:102], off
	scratch_load_b64 v[102:103], v99, off
	v_max_f64 v[100:101], v[62:63], v[62:63]
	v_min_f64 v[100:101], v[100:101], v[131:132]
	s_waitcnt vmcnt(0)
	s_delay_alu instid0(VALU_DEP_1)
	v_add_f64 v[100:101], v[100:101], v[102:103]
	v_mov_b32_e32 v103, 0x1d8
	v_mov_b32_e32 v102, 0x1e0
	scratch_store_b64 v99, v[100:101], off
	v_mov_b32_e32 v101, 0x1e8
	v_mov_b32_e32 v100, 0x1f0
	;; [unrolled: 1-line block ×3, first 2 shown]
	s_cbranch_vccnz .LBB137_36
; %bb.37:                               ;   in Loop: Header=BB137_28 Depth=1
	ds_load_2addr_b64 v[0:3], v96 offset0:2 offset1:18
	ds_load_2addr_b64 v[4:7], v96 offset0:34 offset1:50
	;; [unrolled: 1-line block ×12, first 2 shown]
	v_dual_mov_b32 v129, 8 :: v_dual_add_nc_u32 v64, 16, v97
	ds_load_2addr_b64 v[48:51], v98 offset0:130 offset1:146
	ds_load_2addr_b64 v[52:55], v98 offset0:162 offset1:178
	;; [unrolled: 1-line block ×4, first 2 shown]
	ds_load_2addr_stride64_b64 v[64:67], v64 offset1:4
	v_dual_mov_b32 v130, 0 :: v_dual_mov_b32 v127, 24
	v_dual_mov_b32 v128, 16 :: v_dual_mov_b32 v125, 40
	;; [unrolled: 1-line block ×5, first 2 shown]
	v_mov_b32_e32 v120, 0x50
	v_mov_b32_e32 v118, 0x60
	;; [unrolled: 1-line block ×21, first 2 shown]
	s_mov_b64 s[14:15], 0
	s_mov_b32 s24, -1
.LBB137_38:                             ;   Parent Loop BB137_28 Depth=1
                                        ; =>  This Inner Loop Header: Depth=2
	scratch_load_b64 v[135:136], v130, off
	s_cmp_eq_u32 s14, 1
	s_waitcnt lgkmcnt(16)
	v_max_f64 v[133:134], v[0:1], v[0:1]
	s_cselect_b32 vcc_lo, -1, 0
	s_mov_b64 s[14:15], 1
	s_waitcnt lgkmcnt(0)
	v_dual_cndmask_b32 v132, v65, v67 :: v_dual_cndmask_b32 v131, v64, v66
	s_and_b32 vcc_lo, exec_lo, s24
	s_mov_b32 s24, 0
	s_delay_alu instid0(VALU_DEP_1) | instskip(NEXT) | instid1(VALU_DEP_1)
	v_max_f64 v[131:132], v[131:132], v[131:132]
	v_min_f64 v[133:134], v[133:134], v[131:132]
	s_waitcnt vmcnt(0)
	s_delay_alu instid0(VALU_DEP_1) | instskip(SKIP_3) | instid1(VALU_DEP_1)
	v_add_f64 v[133:134], v[135:136], v[133:134]
	scratch_load_b64 v[135:136], v129, off
	scratch_store_b64 v130, v[133:134], off
	v_max_f64 v[133:134], v[2:3], v[2:3]
	v_min_f64 v[133:134], v[133:134], v[131:132]
	s_waitcnt vmcnt(0)
	s_delay_alu instid0(VALU_DEP_1) | instskip(SKIP_3) | instid1(VALU_DEP_1)
	v_add_f64 v[133:134], v[133:134], v[135:136]
	scratch_store_b64 v129, v[133:134], off
	scratch_load_b64 v[133:134], v128, off
	v_max_f64 v[129:130], v[4:5], v[4:5]
	v_min_f64 v[129:130], v[129:130], v[131:132]
	s_waitcnt vmcnt(0)
	s_delay_alu instid0(VALU_DEP_1) | instskip(SKIP_3) | instid1(VALU_DEP_1)
	v_add_f64 v[129:130], v[129:130], v[133:134]
	scratch_load_b64 v[133:134], v127, off
	scratch_store_b64 v128, v[129:130], off
	v_max_f64 v[128:129], v[6:7], v[6:7]
	v_min_f64 v[128:129], v[128:129], v[131:132]
	s_waitcnt vmcnt(0)
	s_delay_alu instid0(VALU_DEP_1) | instskip(SKIP_3) | instid1(VALU_DEP_1)
	v_add_f64 v[128:129], v[128:129], v[133:134]
	scratch_store_b64 v127, v[128:129], off
	scratch_load_b64 v[129:130], v126, off
	v_max_f64 v[127:128], v[8:9], v[8:9]
	v_min_f64 v[127:128], v[127:128], v[131:132]
	s_waitcnt vmcnt(0)
	s_delay_alu instid0(VALU_DEP_1) | instskip(SKIP_4) | instid1(VALU_DEP_1)
	v_add_f64 v[127:128], v[127:128], v[129:130]
	v_mov_b32_e32 v130, 0x100
	scratch_store_b64 v126, v[127:128], off
	scratch_load_b64 v[128:129], v125, off
	v_max_f64 v[126:127], v[10:11], v[10:11]
	v_min_f64 v[126:127], v[126:127], v[131:132]
	s_waitcnt vmcnt(0)
	s_delay_alu instid0(VALU_DEP_1) | instskip(SKIP_4) | instid1(VALU_DEP_1)
	v_add_f64 v[126:127], v[126:127], v[128:129]
	v_mov_b32_e32 v129, 0x108
	;; [unrolled: 8-line block ×27, first 2 shown]
	scratch_store_b64 v100, v[101:102], off
	scratch_load_b64 v[102:103], v99, off
	v_max_f64 v[100:101], v[62:63], v[62:63]
	v_min_f64 v[100:101], v[100:101], v[131:132]
	s_waitcnt vmcnt(0)
	s_delay_alu instid0(VALU_DEP_1)
	v_add_f64 v[100:101], v[100:101], v[102:103]
	v_mov_b32_e32 v103, 0x1d8
	v_mov_b32_e32 v102, 0x1e0
	scratch_store_b64 v99, v[100:101], off
	v_mov_b32_e32 v101, 0x1e8
	v_mov_b32_e32 v100, 0x1f0
	;; [unrolled: 1-line block ×3, first 2 shown]
	s_cbranch_vccnz .LBB137_38
; %bb.39:                               ;   in Loop: Header=BB137_28 Depth=1
	ds_load_2addr_b64 v[0:3], v96 offset0:3 offset1:19
	ds_load_2addr_b64 v[4:7], v96 offset0:35 offset1:51
	;; [unrolled: 1-line block ×12, first 2 shown]
	v_dual_mov_b32 v129, 8 :: v_dual_add_nc_u32 v64, 24, v97
	ds_load_2addr_b64 v[48:51], v98 offset0:131 offset1:147
	ds_load_2addr_b64 v[52:55], v98 offset0:163 offset1:179
	;; [unrolled: 1-line block ×4, first 2 shown]
	ds_load_2addr_stride64_b64 v[64:67], v64 offset1:4
	v_dual_mov_b32 v130, 0 :: v_dual_mov_b32 v127, 24
	v_dual_mov_b32 v128, 16 :: v_dual_mov_b32 v125, 40
	;; [unrolled: 1-line block ×5, first 2 shown]
	v_mov_b32_e32 v120, 0x50
	v_mov_b32_e32 v118, 0x60
	;; [unrolled: 1-line block ×21, first 2 shown]
	s_mov_b64 s[14:15], 0
	s_mov_b32 s24, -1
.LBB137_40:                             ;   Parent Loop BB137_28 Depth=1
                                        ; =>  This Inner Loop Header: Depth=2
	scratch_load_b64 v[135:136], v130, off
	s_cmp_eq_u32 s14, 1
	s_waitcnt lgkmcnt(16)
	v_max_f64 v[133:134], v[0:1], v[0:1]
	s_cselect_b32 vcc_lo, -1, 0
	s_mov_b64 s[14:15], 1
	s_waitcnt lgkmcnt(0)
	v_dual_cndmask_b32 v132, v65, v67 :: v_dual_cndmask_b32 v131, v64, v66
	s_and_b32 vcc_lo, exec_lo, s24
	s_mov_b32 s24, 0
	s_delay_alu instid0(VALU_DEP_1) | instskip(NEXT) | instid1(VALU_DEP_1)
	v_max_f64 v[131:132], v[131:132], v[131:132]
	v_min_f64 v[133:134], v[133:134], v[131:132]
	s_waitcnt vmcnt(0)
	s_delay_alu instid0(VALU_DEP_1) | instskip(SKIP_3) | instid1(VALU_DEP_1)
	v_add_f64 v[133:134], v[135:136], v[133:134]
	scratch_load_b64 v[135:136], v129, off
	scratch_store_b64 v130, v[133:134], off
	v_max_f64 v[133:134], v[2:3], v[2:3]
	v_min_f64 v[133:134], v[133:134], v[131:132]
	s_waitcnt vmcnt(0)
	s_delay_alu instid0(VALU_DEP_1) | instskip(SKIP_3) | instid1(VALU_DEP_1)
	v_add_f64 v[133:134], v[133:134], v[135:136]
	scratch_store_b64 v129, v[133:134], off
	scratch_load_b64 v[133:134], v128, off
	v_max_f64 v[129:130], v[4:5], v[4:5]
	v_min_f64 v[129:130], v[129:130], v[131:132]
	s_waitcnt vmcnt(0)
	s_delay_alu instid0(VALU_DEP_1) | instskip(SKIP_3) | instid1(VALU_DEP_1)
	v_add_f64 v[129:130], v[129:130], v[133:134]
	scratch_load_b64 v[133:134], v127, off
	scratch_store_b64 v128, v[129:130], off
	v_max_f64 v[128:129], v[6:7], v[6:7]
	v_min_f64 v[128:129], v[128:129], v[131:132]
	s_waitcnt vmcnt(0)
	s_delay_alu instid0(VALU_DEP_1) | instskip(SKIP_3) | instid1(VALU_DEP_1)
	v_add_f64 v[128:129], v[128:129], v[133:134]
	scratch_store_b64 v127, v[128:129], off
	scratch_load_b64 v[129:130], v126, off
	v_max_f64 v[127:128], v[8:9], v[8:9]
	v_min_f64 v[127:128], v[127:128], v[131:132]
	s_waitcnt vmcnt(0)
	s_delay_alu instid0(VALU_DEP_1) | instskip(SKIP_4) | instid1(VALU_DEP_1)
	v_add_f64 v[127:128], v[127:128], v[129:130]
	v_mov_b32_e32 v130, 0x100
	scratch_store_b64 v126, v[127:128], off
	scratch_load_b64 v[128:129], v125, off
	v_max_f64 v[126:127], v[10:11], v[10:11]
	v_min_f64 v[126:127], v[126:127], v[131:132]
	s_waitcnt vmcnt(0)
	s_delay_alu instid0(VALU_DEP_1) | instskip(SKIP_4) | instid1(VALU_DEP_1)
	v_add_f64 v[126:127], v[126:127], v[128:129]
	v_mov_b32_e32 v129, 0x108
	;; [unrolled: 8-line block ×27, first 2 shown]
	scratch_store_b64 v100, v[101:102], off
	scratch_load_b64 v[102:103], v99, off
	v_max_f64 v[100:101], v[62:63], v[62:63]
	v_min_f64 v[100:101], v[100:101], v[131:132]
	s_waitcnt vmcnt(0)
	s_delay_alu instid0(VALU_DEP_1)
	v_add_f64 v[100:101], v[100:101], v[102:103]
	v_mov_b32_e32 v103, 0x1d8
	v_mov_b32_e32 v102, 0x1e0
	scratch_store_b64 v99, v[100:101], off
	v_mov_b32_e32 v101, 0x1e8
	v_mov_b32_e32 v100, 0x1f0
	;; [unrolled: 1-line block ×3, first 2 shown]
	s_cbranch_vccnz .LBB137_40
; %bb.41:                               ;   in Loop: Header=BB137_28 Depth=1
	s_mov_b32 vcc_lo, s3
	ds_store_2addr_stride64_b64 v90, v[78:79], v[80:81] offset1:4
	ds_store_2addr_stride64_b64 v92, v[82:83], v[84:85] offset1:4
	s_waitcnt lgkmcnt(0)
	s_waitcnt_vscnt null, 0x0
	s_barrier
	buffer_gl0_inv
	s_cbranch_vccz .LBB137_44
; %bb.42:                               ;   in Loop: Header=BB137_28 Depth=1
	v_lshlrev_b64 v[0:1], 3, v[68:69]
	s_delay_alu instid0(VALU_DEP_1) | instskip(NEXT) | instid1(VALU_DEP_2)
	v_add_co_u32 v2, vcc_lo, s12, v0
	v_add_co_ci_u32_e32 v3, vcc_lo, s13, v1, vcc_lo
	s_delay_alu instid0(VALU_DEP_2) | instskip(NEXT) | instid1(VALU_DEP_2)
	v_add_co_u32 v0, vcc_lo, v2, v70
	v_add_co_ci_u32_e32 v1, vcc_lo, v3, v71, vcc_lo
	v_add_co_u32 v2, vcc_lo, v2, v72
	v_add_co_ci_u32_e32 v3, vcc_lo, v3, v73, vcc_lo
	s_clause 0x1
	flat_load_b64 v[0:1], v[0:1] offset:32
	flat_load_b64 v[2:3], v[2:3] offset:32
	s_waitcnt vmcnt(1) lgkmcnt(1)
	v_mul_f64 v[78:79], v[0:1], s[8:9]
	s_waitcnt vmcnt(0) lgkmcnt(0)
	v_mul_f64 v[80:81], v[2:3], s[8:9]
	s_and_b32 vcc_lo, exec_lo, s2
	s_mov_b64 s[14:15], 0
	s_cbranch_vccnz .LBB137_45
.LBB137_43:                             ;   in Loop: Header=BB137_28 Depth=1
	v_lshlrev_b64 v[0:1], 3, v[68:69]
	s_delay_alu instid0(VALU_DEP_1) | instskip(NEXT) | instid1(VALU_DEP_2)
	v_add_co_u32 v2, vcc_lo, s20, v0
	v_add_co_ci_u32_e32 v3, vcc_lo, s21, v1, vcc_lo
	s_delay_alu instid0(VALU_DEP_2) | instskip(NEXT) | instid1(VALU_DEP_2)
	v_add_co_u32 v0, vcc_lo, v2, v74
	v_add_co_ci_u32_e32 v1, vcc_lo, v3, v75, vcc_lo
	v_add_co_u32 v2, vcc_lo, v2, v76
	v_add_co_ci_u32_e32 v3, vcc_lo, v3, v77, vcc_lo
	s_clause 0x1
	flat_load_b64 v[0:1], v[0:1] offset:32
	flat_load_b64 v[2:3], v[2:3] offset:32
	s_waitcnt vmcnt(1) lgkmcnt(1)
	v_mul_f64 v[82:83], v[0:1], s[8:9]
	s_waitcnt vmcnt(0) lgkmcnt(0)
	v_mul_f64 v[84:85], v[2:3], s[8:9]
	s_branch .LBB137_46
.LBB137_44:                             ;   in Loop: Header=BB137_28 Depth=1
	v_mov_b32_e32 v78, 0
	v_dual_mov_b32 v79, 0 :: v_dual_mov_b32 v80, 0
	v_mov_b32_e32 v81, 0
	s_and_b32 vcc_lo, exec_lo, s2
	s_mov_b64 s[14:15], 0
	s_cbranch_vccz .LBB137_43
.LBB137_45:                             ;   in Loop: Header=BB137_28 Depth=1
	v_mov_b32_e32 v82, 0
	v_dual_mov_b32 v83, 0 :: v_dual_mov_b32 v84, 0
	v_mov_b32_e32 v85, 0
.LBB137_46:                             ;   in Loop: Header=BB137_28 Depth=1
	v_dual_mov_b32 v129, 8 :: v_dual_add_nc_u32 v68, 0x800, v89
	ds_load_2addr_b64 v[0:3], v89 offset1:16
	ds_load_2addr_b64 v[4:7], v89 offset0:32 offset1:48
	ds_load_2addr_b64 v[8:11], v89 offset0:64 offset1:80
	;; [unrolled: 1-line block ×7, first 2 shown]
	ds_load_2addr_b64 v[32:35], v68 offset1:16
	ds_load_2addr_b64 v[36:39], v68 offset0:32 offset1:48
	ds_load_2addr_b64 v[40:43], v68 offset0:64 offset1:80
	;; [unrolled: 1-line block ×7, first 2 shown]
	ds_load_2addr_stride64_b64 v[64:67], v93 offset1:4
	v_dual_mov_b32 v130, 0 :: v_dual_mov_b32 v127, 24
	v_dual_mov_b32 v128, 16 :: v_dual_mov_b32 v125, 40
	;; [unrolled: 1-line block ×5, first 2 shown]
	v_mov_b32_e32 v120, 0x50
	v_mov_b32_e32 v118, 0x60
	;; [unrolled: 1-line block ×21, first 2 shown]
	s_mov_b32 s24, -1
.LBB137_47:                             ;   Parent Loop BB137_28 Depth=1
                                        ; =>  This Inner Loop Header: Depth=2
	scratch_load_b64 v[135:136], v130, off
	s_cmp_eq_u32 s14, 1
	s_waitcnt lgkmcnt(16)
	v_max_f64 v[133:134], v[0:1], v[0:1]
	s_cselect_b32 vcc_lo, -1, 0
	s_mov_b64 s[14:15], 1
	s_waitcnt lgkmcnt(0)
	v_dual_cndmask_b32 v132, v65, v67 :: v_dual_cndmask_b32 v131, v64, v66
	s_and_b32 vcc_lo, exec_lo, s24
	s_mov_b32 s24, 0
	s_delay_alu instid0(VALU_DEP_1) | instskip(NEXT) | instid1(VALU_DEP_1)
	v_max_f64 v[131:132], v[131:132], v[131:132]
	v_min_f64 v[133:134], v[133:134], v[131:132]
	s_waitcnt vmcnt(0)
	s_delay_alu instid0(VALU_DEP_1) | instskip(SKIP_3) | instid1(VALU_DEP_1)
	v_add_f64 v[133:134], v[135:136], v[133:134]
	scratch_load_b64 v[135:136], v129, off
	scratch_store_b64 v130, v[133:134], off
	v_max_f64 v[133:134], v[2:3], v[2:3]
	v_min_f64 v[133:134], v[133:134], v[131:132]
	s_waitcnt vmcnt(0)
	s_delay_alu instid0(VALU_DEP_1) | instskip(SKIP_3) | instid1(VALU_DEP_1)
	v_add_f64 v[133:134], v[133:134], v[135:136]
	scratch_store_b64 v129, v[133:134], off
	scratch_load_b64 v[133:134], v128, off
	v_max_f64 v[129:130], v[4:5], v[4:5]
	v_min_f64 v[129:130], v[129:130], v[131:132]
	s_waitcnt vmcnt(0)
	s_delay_alu instid0(VALU_DEP_1) | instskip(SKIP_3) | instid1(VALU_DEP_1)
	v_add_f64 v[129:130], v[129:130], v[133:134]
	scratch_load_b64 v[133:134], v127, off
	scratch_store_b64 v128, v[129:130], off
	v_max_f64 v[128:129], v[6:7], v[6:7]
	v_min_f64 v[128:129], v[128:129], v[131:132]
	s_waitcnt vmcnt(0)
	s_delay_alu instid0(VALU_DEP_1) | instskip(SKIP_3) | instid1(VALU_DEP_1)
	v_add_f64 v[128:129], v[128:129], v[133:134]
	scratch_store_b64 v127, v[128:129], off
	scratch_load_b64 v[129:130], v126, off
	v_max_f64 v[127:128], v[8:9], v[8:9]
	v_min_f64 v[127:128], v[127:128], v[131:132]
	s_waitcnt vmcnt(0)
	s_delay_alu instid0(VALU_DEP_1) | instskip(SKIP_4) | instid1(VALU_DEP_1)
	v_add_f64 v[127:128], v[127:128], v[129:130]
	v_mov_b32_e32 v130, 0x100
	scratch_store_b64 v126, v[127:128], off
	scratch_load_b64 v[128:129], v125, off
	v_max_f64 v[126:127], v[10:11], v[10:11]
	v_min_f64 v[126:127], v[126:127], v[131:132]
	s_waitcnt vmcnt(0)
	s_delay_alu instid0(VALU_DEP_1) | instskip(SKIP_4) | instid1(VALU_DEP_1)
	v_add_f64 v[126:127], v[126:127], v[128:129]
	v_mov_b32_e32 v129, 0x108
	;; [unrolled: 8-line block ×27, first 2 shown]
	scratch_store_b64 v100, v[101:102], off
	scratch_load_b64 v[102:103], v99, off
	v_max_f64 v[100:101], v[62:63], v[62:63]
	v_min_f64 v[100:101], v[100:101], v[131:132]
	s_waitcnt vmcnt(0)
	s_delay_alu instid0(VALU_DEP_1)
	v_add_f64 v[100:101], v[100:101], v[102:103]
	v_mov_b32_e32 v103, 0x1d8
	v_mov_b32_e32 v102, 0x1e0
	scratch_store_b64 v99, v[100:101], off
	v_mov_b32_e32 v101, 0x1e8
	v_mov_b32_e32 v100, 0x1f0
	;; [unrolled: 1-line block ×3, first 2 shown]
	s_cbranch_vccnz .LBB137_47
; %bb.48:                               ;   in Loop: Header=BB137_28 Depth=1
	ds_load_2addr_b64 v[0:3], v89 offset0:1 offset1:17
	ds_load_2addr_b64 v[4:7], v89 offset0:33 offset1:49
	ds_load_2addr_b64 v[8:11], v89 offset0:65 offset1:81
	ds_load_2addr_b64 v[12:15], v89 offset0:97 offset1:113
	ds_load_2addr_b64 v[16:19], v89 offset0:129 offset1:145
	ds_load_2addr_b64 v[20:23], v89 offset0:161 offset1:177
	ds_load_2addr_b64 v[24:27], v89 offset0:193 offset1:209
	ds_load_2addr_b64 v[28:31], v89 offset0:225 offset1:241
	ds_load_2addr_b64 v[32:35], v68 offset0:1 offset1:17
	ds_load_2addr_b64 v[36:39], v68 offset0:33 offset1:49
	ds_load_2addr_b64 v[40:43], v68 offset0:65 offset1:81
	ds_load_2addr_b64 v[44:47], v68 offset0:97 offset1:113
	v_dual_mov_b32 v129, 8 :: v_dual_add_nc_u32 v64, 8, v93
	ds_load_2addr_b64 v[48:51], v68 offset0:129 offset1:145
	ds_load_2addr_b64 v[52:55], v68 offset0:161 offset1:177
	;; [unrolled: 1-line block ×4, first 2 shown]
	ds_load_2addr_stride64_b64 v[64:67], v64 offset1:4
	v_dual_mov_b32 v130, 0 :: v_dual_mov_b32 v127, 24
	v_dual_mov_b32 v128, 16 :: v_dual_mov_b32 v125, 40
	;; [unrolled: 1-line block ×5, first 2 shown]
	v_mov_b32_e32 v120, 0x50
	v_mov_b32_e32 v118, 0x60
	;; [unrolled: 1-line block ×21, first 2 shown]
	s_mov_b64 s[14:15], 0
	s_mov_b32 s24, -1
.LBB137_49:                             ;   Parent Loop BB137_28 Depth=1
                                        ; =>  This Inner Loop Header: Depth=2
	scratch_load_b64 v[135:136], v130, off
	s_cmp_eq_u32 s14, 1
	s_waitcnt lgkmcnt(16)
	v_max_f64 v[133:134], v[0:1], v[0:1]
	s_cselect_b32 vcc_lo, -1, 0
	s_mov_b64 s[14:15], 1
	s_waitcnt lgkmcnt(0)
	v_dual_cndmask_b32 v132, v65, v67 :: v_dual_cndmask_b32 v131, v64, v66
	s_and_b32 vcc_lo, exec_lo, s24
	s_mov_b32 s24, 0
	s_delay_alu instid0(VALU_DEP_1) | instskip(NEXT) | instid1(VALU_DEP_1)
	v_max_f64 v[131:132], v[131:132], v[131:132]
	v_min_f64 v[133:134], v[133:134], v[131:132]
	s_waitcnt vmcnt(0)
	s_delay_alu instid0(VALU_DEP_1) | instskip(SKIP_3) | instid1(VALU_DEP_1)
	v_add_f64 v[133:134], v[135:136], v[133:134]
	scratch_load_b64 v[135:136], v129, off
	scratch_store_b64 v130, v[133:134], off
	v_max_f64 v[133:134], v[2:3], v[2:3]
	v_min_f64 v[133:134], v[133:134], v[131:132]
	s_waitcnt vmcnt(0)
	s_delay_alu instid0(VALU_DEP_1) | instskip(SKIP_3) | instid1(VALU_DEP_1)
	v_add_f64 v[133:134], v[133:134], v[135:136]
	scratch_store_b64 v129, v[133:134], off
	scratch_load_b64 v[133:134], v128, off
	v_max_f64 v[129:130], v[4:5], v[4:5]
	v_min_f64 v[129:130], v[129:130], v[131:132]
	s_waitcnt vmcnt(0)
	s_delay_alu instid0(VALU_DEP_1) | instskip(SKIP_3) | instid1(VALU_DEP_1)
	v_add_f64 v[129:130], v[129:130], v[133:134]
	scratch_load_b64 v[133:134], v127, off
	scratch_store_b64 v128, v[129:130], off
	v_max_f64 v[128:129], v[6:7], v[6:7]
	v_min_f64 v[128:129], v[128:129], v[131:132]
	s_waitcnt vmcnt(0)
	s_delay_alu instid0(VALU_DEP_1) | instskip(SKIP_3) | instid1(VALU_DEP_1)
	v_add_f64 v[128:129], v[128:129], v[133:134]
	scratch_store_b64 v127, v[128:129], off
	scratch_load_b64 v[129:130], v126, off
	v_max_f64 v[127:128], v[8:9], v[8:9]
	v_min_f64 v[127:128], v[127:128], v[131:132]
	s_waitcnt vmcnt(0)
	s_delay_alu instid0(VALU_DEP_1) | instskip(SKIP_4) | instid1(VALU_DEP_1)
	v_add_f64 v[127:128], v[127:128], v[129:130]
	v_mov_b32_e32 v130, 0x100
	scratch_store_b64 v126, v[127:128], off
	scratch_load_b64 v[128:129], v125, off
	v_max_f64 v[126:127], v[10:11], v[10:11]
	v_min_f64 v[126:127], v[126:127], v[131:132]
	s_waitcnt vmcnt(0)
	s_delay_alu instid0(VALU_DEP_1) | instskip(SKIP_4) | instid1(VALU_DEP_1)
	v_add_f64 v[126:127], v[126:127], v[128:129]
	v_mov_b32_e32 v129, 0x108
	;; [unrolled: 8-line block ×27, first 2 shown]
	scratch_store_b64 v100, v[101:102], off
	scratch_load_b64 v[102:103], v99, off
	v_max_f64 v[100:101], v[62:63], v[62:63]
	v_min_f64 v[100:101], v[100:101], v[131:132]
	s_waitcnt vmcnt(0)
	s_delay_alu instid0(VALU_DEP_1)
	v_add_f64 v[100:101], v[100:101], v[102:103]
	v_mov_b32_e32 v103, 0x1d8
	v_mov_b32_e32 v102, 0x1e0
	scratch_store_b64 v99, v[100:101], off
	v_mov_b32_e32 v101, 0x1e8
	v_mov_b32_e32 v100, 0x1f0
	;; [unrolled: 1-line block ×3, first 2 shown]
	s_cbranch_vccnz .LBB137_49
; %bb.50:                               ;   in Loop: Header=BB137_28 Depth=1
	ds_load_2addr_b64 v[0:3], v89 offset0:2 offset1:18
	ds_load_2addr_b64 v[4:7], v89 offset0:34 offset1:50
	;; [unrolled: 1-line block ×12, first 2 shown]
	v_dual_mov_b32 v129, 8 :: v_dual_add_nc_u32 v64, 16, v93
	ds_load_2addr_b64 v[48:51], v68 offset0:130 offset1:146
	ds_load_2addr_b64 v[52:55], v68 offset0:162 offset1:178
	;; [unrolled: 1-line block ×4, first 2 shown]
	ds_load_2addr_stride64_b64 v[64:67], v64 offset1:4
	v_dual_mov_b32 v130, 0 :: v_dual_mov_b32 v127, 24
	v_dual_mov_b32 v128, 16 :: v_dual_mov_b32 v125, 40
	;; [unrolled: 1-line block ×5, first 2 shown]
	v_mov_b32_e32 v120, 0x50
	v_mov_b32_e32 v118, 0x60
	;; [unrolled: 1-line block ×21, first 2 shown]
	s_mov_b64 s[14:15], 0
	s_mov_b32 s24, -1
.LBB137_51:                             ;   Parent Loop BB137_28 Depth=1
                                        ; =>  This Inner Loop Header: Depth=2
	scratch_load_b64 v[135:136], v130, off
	s_cmp_eq_u32 s14, 1
	s_waitcnt lgkmcnt(16)
	v_max_f64 v[133:134], v[0:1], v[0:1]
	s_cselect_b32 vcc_lo, -1, 0
	s_mov_b64 s[14:15], 1
	s_waitcnt lgkmcnt(0)
	v_dual_cndmask_b32 v132, v65, v67 :: v_dual_cndmask_b32 v131, v64, v66
	s_and_b32 vcc_lo, exec_lo, s24
	s_mov_b32 s24, 0
	s_delay_alu instid0(VALU_DEP_1) | instskip(NEXT) | instid1(VALU_DEP_1)
	v_max_f64 v[131:132], v[131:132], v[131:132]
	v_min_f64 v[133:134], v[133:134], v[131:132]
	s_waitcnt vmcnt(0)
	s_delay_alu instid0(VALU_DEP_1) | instskip(SKIP_3) | instid1(VALU_DEP_1)
	v_add_f64 v[133:134], v[135:136], v[133:134]
	scratch_load_b64 v[135:136], v129, off
	scratch_store_b64 v130, v[133:134], off
	v_max_f64 v[133:134], v[2:3], v[2:3]
	v_min_f64 v[133:134], v[133:134], v[131:132]
	s_waitcnt vmcnt(0)
	s_delay_alu instid0(VALU_DEP_1) | instskip(SKIP_3) | instid1(VALU_DEP_1)
	v_add_f64 v[133:134], v[133:134], v[135:136]
	scratch_store_b64 v129, v[133:134], off
	scratch_load_b64 v[133:134], v128, off
	v_max_f64 v[129:130], v[4:5], v[4:5]
	v_min_f64 v[129:130], v[129:130], v[131:132]
	s_waitcnt vmcnt(0)
	s_delay_alu instid0(VALU_DEP_1) | instskip(SKIP_3) | instid1(VALU_DEP_1)
	v_add_f64 v[129:130], v[129:130], v[133:134]
	scratch_load_b64 v[133:134], v127, off
	scratch_store_b64 v128, v[129:130], off
	v_max_f64 v[128:129], v[6:7], v[6:7]
	v_min_f64 v[128:129], v[128:129], v[131:132]
	s_waitcnt vmcnt(0)
	s_delay_alu instid0(VALU_DEP_1) | instskip(SKIP_3) | instid1(VALU_DEP_1)
	v_add_f64 v[128:129], v[128:129], v[133:134]
	scratch_store_b64 v127, v[128:129], off
	scratch_load_b64 v[129:130], v126, off
	v_max_f64 v[127:128], v[8:9], v[8:9]
	v_min_f64 v[127:128], v[127:128], v[131:132]
	s_waitcnt vmcnt(0)
	s_delay_alu instid0(VALU_DEP_1) | instskip(SKIP_4) | instid1(VALU_DEP_1)
	v_add_f64 v[127:128], v[127:128], v[129:130]
	v_mov_b32_e32 v130, 0x100
	scratch_store_b64 v126, v[127:128], off
	scratch_load_b64 v[128:129], v125, off
	v_max_f64 v[126:127], v[10:11], v[10:11]
	v_min_f64 v[126:127], v[126:127], v[131:132]
	s_waitcnt vmcnt(0)
	s_delay_alu instid0(VALU_DEP_1) | instskip(SKIP_4) | instid1(VALU_DEP_1)
	v_add_f64 v[126:127], v[126:127], v[128:129]
	v_mov_b32_e32 v129, 0x108
	;; [unrolled: 8-line block ×27, first 2 shown]
	scratch_store_b64 v100, v[101:102], off
	scratch_load_b64 v[102:103], v99, off
	v_max_f64 v[100:101], v[62:63], v[62:63]
	v_min_f64 v[100:101], v[100:101], v[131:132]
	s_waitcnt vmcnt(0)
	s_delay_alu instid0(VALU_DEP_1)
	v_add_f64 v[100:101], v[100:101], v[102:103]
	v_mov_b32_e32 v103, 0x1d8
	v_mov_b32_e32 v102, 0x1e0
	scratch_store_b64 v99, v[100:101], off
	v_mov_b32_e32 v101, 0x1e8
	v_mov_b32_e32 v100, 0x1f0
	;; [unrolled: 1-line block ×3, first 2 shown]
	s_cbranch_vccnz .LBB137_51
; %bb.52:                               ;   in Loop: Header=BB137_28 Depth=1
	ds_load_2addr_b64 v[0:3], v89 offset0:3 offset1:19
	ds_load_2addr_b64 v[4:7], v89 offset0:35 offset1:51
	;; [unrolled: 1-line block ×12, first 2 shown]
	v_dual_mov_b32 v129, 0 :: v_dual_add_nc_u32 v64, 24, v93
	ds_load_2addr_b64 v[48:51], v68 offset0:131 offset1:147
	ds_load_2addr_b64 v[52:55], v68 offset0:163 offset1:179
	;; [unrolled: 1-line block ×4, first 2 shown]
	ds_load_2addr_stride64_b64 v[64:67], v64 offset1:4
	v_dual_mov_b32 v128, 8 :: v_dual_mov_b32 v127, 16
	v_dual_mov_b32 v126, 24 :: v_dual_mov_b32 v125, 32
	;; [unrolled: 1-line block ×4, first 2 shown]
	v_mov_b32_e32 v120, 0x48
	v_mov_b32_e32 v119, 0x50
	;; [unrolled: 1-line block ×23, first 2 shown]
	s_mov_b64 s[14:15], 0
	s_mov_b32 s24, -1
.LBB137_53:                             ;   Parent Loop BB137_28 Depth=1
                                        ; =>  This Inner Loop Header: Depth=2
	scratch_load_b64 v[134:135], v129, off
	s_cmp_eq_u32 s14, 1
	s_waitcnt lgkmcnt(16)
	v_max_f64 v[132:133], v[0:1], v[0:1]
	s_cselect_b32 vcc_lo, -1, 0
	s_mov_b64 s[14:15], 1
	s_waitcnt lgkmcnt(0)
	v_dual_cndmask_b32 v131, v65, v67 :: v_dual_cndmask_b32 v130, v64, v66
	s_and_b32 vcc_lo, exec_lo, s24
	s_mov_b32 s24, 0
	s_delay_alu instid0(VALU_DEP_1) | instskip(NEXT) | instid1(VALU_DEP_1)
	v_max_f64 v[130:131], v[130:131], v[130:131]
	v_min_f64 v[132:133], v[132:133], v[130:131]
	s_waitcnt vmcnt(0)
	s_delay_alu instid0(VALU_DEP_1) | instskip(SKIP_3) | instid1(VALU_DEP_1)
	v_add_f64 v[132:133], v[134:135], v[132:133]
	scratch_load_b64 v[134:135], v128, off
	scratch_store_b64 v129, v[132:133], off
	v_max_f64 v[132:133], v[2:3], v[2:3]
	v_min_f64 v[132:133], v[132:133], v[130:131]
	s_waitcnt vmcnt(0)
	s_delay_alu instid0(VALU_DEP_1) | instskip(SKIP_3) | instid1(VALU_DEP_1)
	v_add_f64 v[132:133], v[132:133], v[134:135]
	scratch_store_b64 v128, v[132:133], off
	scratch_load_b64 v[132:133], v127, off
	v_max_f64 v[128:129], v[4:5], v[4:5]
	v_min_f64 v[128:129], v[128:129], v[130:131]
	s_waitcnt vmcnt(0)
	s_delay_alu instid0(VALU_DEP_1) | instskip(SKIP_3) | instid1(VALU_DEP_1)
	v_add_f64 v[128:129], v[128:129], v[132:133]
	scratch_load_b64 v[132:133], v126, off
	scratch_store_b64 v127, v[128:129], off
	v_max_f64 v[127:128], v[6:7], v[6:7]
	v_min_f64 v[127:128], v[127:128], v[130:131]
	s_waitcnt vmcnt(0)
	s_delay_alu instid0(VALU_DEP_1) | instskip(SKIP_3) | instid1(VALU_DEP_1)
	v_add_f64 v[127:128], v[127:128], v[132:133]
	scratch_store_b64 v126, v[127:128], off
	scratch_load_b64 v[128:129], v125, off
	v_max_f64 v[126:127], v[8:9], v[8:9]
	v_min_f64 v[126:127], v[126:127], v[130:131]
	s_waitcnt vmcnt(0)
	s_delay_alu instid0(VALU_DEP_1) | instskip(SKIP_4) | instid1(VALU_DEP_1)
	v_add_f64 v[126:127], v[126:127], v[128:129]
	v_mov_b32_e32 v129, 0x100
	scratch_store_b64 v125, v[126:127], off
	scratch_load_b64 v[127:128], v124, off
	v_max_f64 v[125:126], v[10:11], v[10:11]
	v_min_f64 v[125:126], v[125:126], v[130:131]
	s_waitcnt vmcnt(0)
	s_delay_alu instid0(VALU_DEP_1) | instskip(SKIP_4) | instid1(VALU_DEP_1)
	v_add_f64 v[125:126], v[125:126], v[127:128]
	v_mov_b32_e32 v128, 0x108
	;; [unrolled: 8-line block ×27, first 2 shown]
	scratch_store_b64 v99, v[100:101], off
	scratch_load_b64 v[101:102], v68, off
	v_max_f64 v[99:100], v[62:63], v[62:63]
	v_min_f64 v[99:100], v[99:100], v[130:131]
	s_waitcnt vmcnt(0)
	s_delay_alu instid0(VALU_DEP_1)
	v_add_f64 v[99:100], v[99:100], v[101:102]
	v_mov_b32_e32 v102, 0x1d8
	v_mov_b32_e32 v101, 0x1e0
	scratch_store_b64 v68, v[99:100], off
	v_mov_b32_e32 v100, 0x1e8
	v_mov_b32_e32 v99, 0x1f0
	v_mov_b32_e32 v68, 0x1f8
	s_cbranch_vccnz .LBB137_53
; %bb.54:                               ;   in Loop: Header=BB137_28 Depth=1
	s_add_i32 s23, s23, 8
	s_add_i32 s19, s19, 8
	s_cmp_ge_i32 s23, s22
	ds_store_2addr_stride64_b64 v94, v[78:79], v[80:81] offset1:4
	ds_store_2addr_stride64_b64 v95, v[82:83], v[84:85] offset1:4
	s_waitcnt lgkmcnt(0)
	s_waitcnt_vscnt null, 0x0
	s_barrier
	buffer_gl0_inv
	s_cbranch_scc0 .LBB137_28
.LBB137_55:
	v_dual_mov_b32 v71, 8 :: v_dual_add_nc_u32 v28, 0x1000, v89
	v_dual_mov_b32 v75, 40 :: v_dual_add_nc_u32 v60, 0x1800, v89
	;; [unrolled: 1-line block ×3, first 2 shown]
	ds_load_2addr_b64 v[0:3], v28 offset1:16
	ds_load_2addr_b64 v[4:7], v28 offset0:32 offset1:48
	ds_load_2addr_b64 v[8:11], v28 offset0:64 offset1:80
	;; [unrolled: 1-line block ×7, first 2 shown]
	ds_load_2addr_b64 v[32:35], v60 offset1:16
	ds_load_2addr_b64 v[36:39], v60 offset0:32 offset1:48
	ds_load_2addr_b64 v[40:43], v60 offset0:64 offset1:80
	;; [unrolled: 1-line block ×7, first 2 shown]
	ds_load_2addr_stride64_b64 v[64:67], v91 offset0:24 offset1:28
	v_dual_mov_b32 v70, 0 :: v_dual_add_nc_u32 v69, 0x3000, v91
	v_dual_mov_b32 v72, 16 :: v_dual_mov_b32 v77, 56
	v_dual_mov_b32 v74, 32 :: v_dual_mov_b32 v79, 0x48
	;; [unrolled: 1-line block ×4, first 2 shown]
	v_mov_b32_e32 v80, 0x50
	v_mov_b32_e32 v82, 0x60
	;; [unrolled: 1-line block ×20, first 2 shown]
	s_mov_b64 s[2:3], 0
	s_mov_b32 s8, -1
.LBB137_56:                             ; =>This Inner Loop Header: Depth=1
	scratch_load_b64 v[104:105], v70, off
	scratch_load_b64 v[106:107], v71, off
	;; [unrolled: 1-line block ×32, first 2 shown]
	s_cmp_eq_u32 s2, 1
	s_waitcnt lgkmcnt(16)
	v_max_f64 v[170:171], v[0:1], v[0:1]
	s_cselect_b32 vcc_lo, -1, 0
	v_max_f64 v[172:173], v[2:3], v[2:3]
	s_waitcnt lgkmcnt(0)
	v_dual_cndmask_b32 v169, v65, v67 :: v_dual_cndmask_b32 v168, v64, v66
	v_max_f64 v[174:175], v[4:5], v[4:5]
	v_max_f64 v[176:177], v[6:7], v[6:7]
	;; [unrolled: 1-line block ×31, first 2 shown]
	s_mov_b64 s[2:3], 1
	s_and_b32 vcc_lo, exec_lo, s8
	s_mov_b32 s8, 0
	v_min_f64 v[170:171], v[170:171], v[168:169]
	v_min_f64 v[172:173], v[172:173], v[168:169]
	v_min_f64 v[174:175], v[174:175], v[168:169]
	v_min_f64 v[176:177], v[176:177], v[168:169]
	v_min_f64 v[178:179], v[178:179], v[168:169]
	v_min_f64 v[180:181], v[180:181], v[168:169]
	v_min_f64 v[182:183], v[182:183], v[168:169]
	v_min_f64 v[184:185], v[184:185], v[168:169]
	v_min_f64 v[186:187], v[186:187], v[168:169]
	v_min_f64 v[188:189], v[188:189], v[168:169]
	v_min_f64 v[190:191], v[190:191], v[168:169]
	v_min_f64 v[192:193], v[192:193], v[168:169]
	v_min_f64 v[194:195], v[194:195], v[168:169]
	v_min_f64 v[196:197], v[196:197], v[168:169]
	v_min_f64 v[198:199], v[198:199], v[168:169]
	v_min_f64 v[200:201], v[200:201], v[168:169]
	v_min_f64 v[202:203], v[202:203], v[168:169]
	v_min_f64 v[204:205], v[204:205], v[168:169]
	v_min_f64 v[206:207], v[206:207], v[168:169]
	v_min_f64 v[208:209], v[208:209], v[168:169]
	v_min_f64 v[210:211], v[210:211], v[168:169]
	v_min_f64 v[212:213], v[212:213], v[168:169]
	v_min_f64 v[214:215], v[214:215], v[168:169]
	v_min_f64 v[216:217], v[216:217], v[168:169]
	v_min_f64 v[218:219], v[218:219], v[168:169]
	v_min_f64 v[220:221], v[220:221], v[168:169]
	v_min_f64 v[222:223], v[222:223], v[168:169]
	v_min_f64 v[224:225], v[224:225], v[168:169]
	v_min_f64 v[226:227], v[226:227], v[168:169]
	v_min_f64 v[228:229], v[228:229], v[168:169]
	v_min_f64 v[230:231], v[230:231], v[168:169]
	v_min_f64 v[168:169], v[232:233], v[168:169]
	s_waitcnt vmcnt(31)
	v_add_f64 v[104:105], v[104:105], v[170:171]
	s_waitcnt vmcnt(30)
	v_add_f64 v[106:107], v[172:173], v[106:107]
	;; [unrolled: 2-line block ×32, first 2 shown]
	scratch_store_b64 v70, v[104:105], off
	scratch_store_b64 v71, v[106:107], off
	;; [unrolled: 1-line block ×32, first 2 shown]
	v_mov_b32_e32 v70, 0x100
	v_mov_b32_e32 v71, 0x108
	;; [unrolled: 1-line block ×32, first 2 shown]
	s_cbranch_vccnz .LBB137_56
; %bb.57:
	v_dual_mov_b32 v71, 8 :: v_dual_add_nc_u32 v60, 0x800, v68
	ds_load_2addr_b64 v[0:3], v68 offset0:1 offset1:17
	ds_load_2addr_b64 v[4:7], v68 offset0:33 offset1:49
	;; [unrolled: 1-line block ×12, first 2 shown]
	v_dual_mov_b32 v73, 24 :: v_dual_add_nc_u32 v64, 8, v69
	ds_load_2addr_b64 v[48:51], v60 offset0:129 offset1:145
	ds_load_2addr_b64 v[52:55], v60 offset0:161 offset1:177
	;; [unrolled: 1-line block ×4, first 2 shown]
	ds_load_2addr_stride64_b64 v[64:67], v64 offset1:4
	v_dual_mov_b32 v70, 0 :: v_dual_mov_b32 v75, 40
	v_dual_mov_b32 v72, 16 :: v_dual_mov_b32 v77, 56
	;; [unrolled: 1-line block ×5, first 2 shown]
	v_mov_b32_e32 v80, 0x50
	v_mov_b32_e32 v82, 0x60
	v_mov_b32_e32 v84, 0x70
	v_mov_b32_e32 v85, 0x78
	v_mov_b32_e32 v88, 0x80
	v_mov_b32_e32 v89, 0x88
	v_mov_b32_e32 v90, 0x90
	v_mov_b32_e32 v91, 0x98
	v_mov_b32_e32 v92, 0xa0
	v_mov_b32_e32 v93, 0xa8
	v_mov_b32_e32 v94, 0xb0
	v_mov_b32_e32 v95, 0xb8
	v_mov_b32_e32 v96, 0xc0
	v_mov_b32_e32 v97, 0xc8
	v_mov_b32_e32 v98, 0xd0
	v_mov_b32_e32 v99, 0xd8
	v_mov_b32_e32 v100, 0xe0
	v_mov_b32_e32 v101, 0xe8
	v_mov_b32_e32 v102, 0xf0
	v_mov_b32_e32 v103, 0xf8
	s_mov_b64 s[2:3], 0
	s_mov_b32 s8, -1
.LBB137_58:                             ; =>This Inner Loop Header: Depth=1
	scratch_load_b64 v[104:105], v70, off
	scratch_load_b64 v[106:107], v71, off
	;; [unrolled: 1-line block ×32, first 2 shown]
	s_cmp_eq_u32 s2, 1
	s_waitcnt lgkmcnt(16)
	v_max_f64 v[170:171], v[0:1], v[0:1]
	s_cselect_b32 vcc_lo, -1, 0
	v_max_f64 v[172:173], v[2:3], v[2:3]
	s_waitcnt lgkmcnt(0)
	v_dual_cndmask_b32 v169, v65, v67 :: v_dual_cndmask_b32 v168, v64, v66
	v_max_f64 v[174:175], v[4:5], v[4:5]
	v_max_f64 v[176:177], v[6:7], v[6:7]
	;; [unrolled: 1-line block ×31, first 2 shown]
	s_mov_b64 s[2:3], 1
	s_and_b32 vcc_lo, exec_lo, s8
	s_mov_b32 s8, 0
	v_min_f64 v[170:171], v[170:171], v[168:169]
	v_min_f64 v[172:173], v[172:173], v[168:169]
	;; [unrolled: 1-line block ×32, first 2 shown]
	s_waitcnt vmcnt(31)
	v_add_f64 v[104:105], v[104:105], v[170:171]
	s_waitcnt vmcnt(30)
	v_add_f64 v[106:107], v[172:173], v[106:107]
	;; [unrolled: 2-line block ×32, first 2 shown]
	scratch_store_b64 v70, v[104:105], off
	scratch_store_b64 v71, v[106:107], off
	;; [unrolled: 1-line block ×32, first 2 shown]
	v_mov_b32_e32 v70, 0x100
	v_mov_b32_e32 v71, 0x108
	;; [unrolled: 1-line block ×32, first 2 shown]
	s_cbranch_vccnz .LBB137_58
; %bb.59:
	v_dual_mov_b32 v71, 8 :: v_dual_add_nc_u32 v60, 0x800, v68
	ds_load_2addr_b64 v[0:3], v68 offset0:2 offset1:18
	ds_load_2addr_b64 v[4:7], v68 offset0:34 offset1:50
	;; [unrolled: 1-line block ×12, first 2 shown]
	v_dual_mov_b32 v73, 24 :: v_dual_add_nc_u32 v64, 16, v69
	ds_load_2addr_b64 v[48:51], v60 offset0:130 offset1:146
	ds_load_2addr_b64 v[52:55], v60 offset0:162 offset1:178
	;; [unrolled: 1-line block ×4, first 2 shown]
	ds_load_2addr_stride64_b64 v[64:67], v64 offset1:4
	v_dual_mov_b32 v70, 0 :: v_dual_mov_b32 v75, 40
	v_dual_mov_b32 v72, 16 :: v_dual_mov_b32 v77, 56
	;; [unrolled: 1-line block ×5, first 2 shown]
	v_mov_b32_e32 v80, 0x50
	v_mov_b32_e32 v82, 0x60
	;; [unrolled: 1-line block ×20, first 2 shown]
	s_mov_b64 s[2:3], 0
	s_mov_b32 s8, -1
.LBB137_60:                             ; =>This Inner Loop Header: Depth=1
	scratch_load_b64 v[104:105], v70, off
	scratch_load_b64 v[106:107], v71, off
	;; [unrolled: 1-line block ×32, first 2 shown]
	s_cmp_eq_u32 s2, 1
	s_waitcnt lgkmcnt(16)
	v_max_f64 v[170:171], v[0:1], v[0:1]
	s_cselect_b32 vcc_lo, -1, 0
	v_max_f64 v[172:173], v[2:3], v[2:3]
	s_waitcnt lgkmcnt(0)
	v_dual_cndmask_b32 v169, v65, v67 :: v_dual_cndmask_b32 v168, v64, v66
	v_max_f64 v[174:175], v[4:5], v[4:5]
	v_max_f64 v[176:177], v[6:7], v[6:7]
	;; [unrolled: 1-line block ×31, first 2 shown]
	s_mov_b64 s[2:3], 1
	s_and_b32 vcc_lo, exec_lo, s8
	s_mov_b32 s8, 0
	v_min_f64 v[170:171], v[170:171], v[168:169]
	v_min_f64 v[172:173], v[172:173], v[168:169]
	;; [unrolled: 1-line block ×32, first 2 shown]
	s_waitcnt vmcnt(31)
	v_add_f64 v[104:105], v[104:105], v[170:171]
	s_waitcnt vmcnt(30)
	v_add_f64 v[106:107], v[172:173], v[106:107]
	s_waitcnt vmcnt(29)
	v_add_f64 v[108:109], v[174:175], v[108:109]
	s_waitcnt vmcnt(28)
	v_add_f64 v[110:111], v[176:177], v[110:111]
	s_waitcnt vmcnt(27)
	v_add_f64 v[112:113], v[178:179], v[112:113]
	s_waitcnt vmcnt(26)
	v_add_f64 v[114:115], v[180:181], v[114:115]
	s_waitcnt vmcnt(25)
	v_add_f64 v[116:117], v[182:183], v[116:117]
	s_waitcnt vmcnt(24)
	v_add_f64 v[118:119], v[184:185], v[118:119]
	s_waitcnt vmcnt(23)
	v_add_f64 v[120:121], v[186:187], v[120:121]
	s_waitcnt vmcnt(22)
	v_add_f64 v[122:123], v[188:189], v[122:123]
	s_waitcnt vmcnt(21)
	v_add_f64 v[124:125], v[190:191], v[124:125]
	s_waitcnt vmcnt(20)
	v_add_f64 v[126:127], v[192:193], v[126:127]
	s_waitcnt vmcnt(19)
	v_add_f64 v[128:129], v[194:195], v[128:129]
	s_waitcnt vmcnt(18)
	v_add_f64 v[130:131], v[196:197], v[130:131]
	s_waitcnt vmcnt(17)
	v_add_f64 v[132:133], v[198:199], v[132:133]
	s_waitcnt vmcnt(16)
	v_add_f64 v[134:135], v[200:201], v[134:135]
	s_waitcnt vmcnt(15)
	v_add_f64 v[136:137], v[202:203], v[136:137]
	s_waitcnt vmcnt(14)
	v_add_f64 v[138:139], v[204:205], v[138:139]
	s_waitcnt vmcnt(13)
	v_add_f64 v[140:141], v[206:207], v[140:141]
	s_waitcnt vmcnt(12)
	v_add_f64 v[142:143], v[208:209], v[142:143]
	s_waitcnt vmcnt(11)
	v_add_f64 v[144:145], v[210:211], v[144:145]
	s_waitcnt vmcnt(10)
	v_add_f64 v[146:147], v[212:213], v[146:147]
	s_waitcnt vmcnt(9)
	v_add_f64 v[148:149], v[214:215], v[148:149]
	s_waitcnt vmcnt(8)
	v_add_f64 v[150:151], v[216:217], v[150:151]
	s_waitcnt vmcnt(7)
	v_add_f64 v[152:153], v[218:219], v[152:153]
	s_waitcnt vmcnt(6)
	v_add_f64 v[154:155], v[220:221], v[154:155]
	s_waitcnt vmcnt(5)
	v_add_f64 v[156:157], v[222:223], v[156:157]
	s_waitcnt vmcnt(4)
	v_add_f64 v[158:159], v[224:225], v[158:159]
	s_waitcnt vmcnt(3)
	v_add_f64 v[160:161], v[226:227], v[160:161]
	s_waitcnt vmcnt(2)
	v_add_f64 v[162:163], v[228:229], v[162:163]
	s_waitcnt vmcnt(1)
	v_add_f64 v[164:165], v[230:231], v[164:165]
	s_waitcnt vmcnt(0)
	v_add_f64 v[166:167], v[168:169], v[166:167]
	scratch_store_b64 v70, v[104:105], off
	scratch_store_b64 v71, v[106:107], off
	scratch_store_b64 v72, v[108:109], off
	scratch_store_b64 v73, v[110:111], off
	scratch_store_b64 v74, v[112:113], off
	scratch_store_b64 v75, v[114:115], off
	scratch_store_b64 v76, v[116:117], off
	scratch_store_b64 v77, v[118:119], off
	scratch_store_b64 v78, v[120:121], off
	scratch_store_b64 v79, v[122:123], off
	scratch_store_b64 v80, v[124:125], off
	scratch_store_b64 v81, v[126:127], off
	scratch_store_b64 v82, v[128:129], off
	scratch_store_b64 v83, v[130:131], off
	scratch_store_b64 v84, v[132:133], off
	scratch_store_b64 v85, v[134:135], off
	scratch_store_b64 v88, v[136:137], off
	scratch_store_b64 v89, v[138:139], off
	scratch_store_b64 v90, v[140:141], off
	scratch_store_b64 v91, v[142:143], off
	scratch_store_b64 v92, v[144:145], off
	scratch_store_b64 v93, v[146:147], off
	scratch_store_b64 v94, v[148:149], off
	scratch_store_b64 v95, v[150:151], off
	scratch_store_b64 v96, v[152:153], off
	scratch_store_b64 v97, v[154:155], off
	scratch_store_b64 v98, v[156:157], off
	scratch_store_b64 v99, v[158:159], off
	scratch_store_b64 v100, v[160:161], off
	scratch_store_b64 v101, v[162:163], off
	scratch_store_b64 v102, v[164:165], off
	scratch_store_b64 v103, v[166:167], off
	v_mov_b32_e32 v70, 0x100
	v_mov_b32_e32 v71, 0x108
	;; [unrolled: 1-line block ×32, first 2 shown]
	s_cbranch_vccnz .LBB137_60
; %bb.61:
	v_add_nc_u32_e32 v60, 0x800, v68
	ds_load_2addr_b64 v[0:3], v68 offset0:3 offset1:19
	ds_load_2addr_b64 v[4:7], v68 offset0:35 offset1:51
	ds_load_2addr_b64 v[8:11], v68 offset0:67 offset1:83
	ds_load_2addr_b64 v[12:15], v68 offset0:99 offset1:115
	v_dual_mov_b32 v71, 24 :: v_dual_add_nc_u32 v64, 24, v69
	v_mov_b32_e32 v69, 8
	ds_load_2addr_b64 v[16:19], v68 offset0:131 offset1:147
	ds_load_2addr_b64 v[20:23], v68 offset0:163 offset1:179
	;; [unrolled: 1-line block ×12, first 2 shown]
	ds_load_2addr_stride64_b64 v[64:67], v64 offset1:4
	v_dual_mov_b32 v68, 0 :: v_dual_mov_b32 v73, 40
	v_dual_mov_b32 v70, 16 :: v_dual_mov_b32 v75, 56
	;; [unrolled: 1-line block ×5, first 2 shown]
	v_mov_b32_e32 v78, 0x50
	v_mov_b32_e32 v80, 0x60
	;; [unrolled: 1-line block ×20, first 2 shown]
	s_mov_b64 s[2:3], 0
	s_mov_b32 s8, -1
.LBB137_62:                             ; =>This Inner Loop Header: Depth=1
	scratch_load_b64 v[102:103], v68, off
	scratch_load_b64 v[104:105], v69, off
	;; [unrolled: 1-line block ×32, first 2 shown]
	s_cmp_eq_u32 s2, 1
	s_waitcnt lgkmcnt(16)
	v_max_f64 v[168:169], v[0:1], v[0:1]
	s_cselect_b32 vcc_lo, -1, 0
	v_max_f64 v[170:171], v[2:3], v[2:3]
	s_waitcnt lgkmcnt(0)
	v_dual_cndmask_b32 v167, v65, v67 :: v_dual_cndmask_b32 v166, v64, v66
	v_max_f64 v[172:173], v[4:5], v[4:5]
	v_max_f64 v[174:175], v[6:7], v[6:7]
	;; [unrolled: 1-line block ×31, first 2 shown]
	s_mov_b64 s[2:3], 1
	s_and_b32 vcc_lo, exec_lo, s8
	s_mov_b32 s8, 0
	v_min_f64 v[168:169], v[168:169], v[166:167]
	v_min_f64 v[170:171], v[170:171], v[166:167]
	;; [unrolled: 1-line block ×32, first 2 shown]
	s_waitcnt vmcnt(31)
	v_add_f64 v[102:103], v[102:103], v[168:169]
	s_waitcnt vmcnt(30)
	v_add_f64 v[104:105], v[170:171], v[104:105]
	;; [unrolled: 2-line block ×32, first 2 shown]
	scratch_store_b64 v68, v[102:103], off
	scratch_store_b64 v69, v[104:105], off
	;; [unrolled: 1-line block ×32, first 2 shown]
	v_mov_b32_e32 v68, 0x100
	v_mov_b32_e32 v69, 0x108
	;; [unrolled: 1-line block ×32, first 2 shown]
	s_cbranch_vccnz .LBB137_62
; %bb.63:
	scratch_load_b64 v[2:3], off, off
	s_load_b32 s3, s[0:1], 0x58
	v_dual_mov_b32 v4, 0 :: v_dual_add_nc_u32 v71, s17, v87
	v_dual_mov_b32 v5, 0 :: v_dual_add_nc_u32 v16, s16, v86
	v_mov_b32_e32 v8, 0
	v_mov_b32_e32 v9, 0
	s_and_b32 s2, exec_lo, s18
	s_delay_alu instid0(VALU_DEP_3) | instskip(SKIP_2) | instid1(VALU_DEP_1)
	v_ashrrev_i32_e32 v17, 31, v16
	s_waitcnt lgkmcnt(0)
	v_mad_i64_i32 v[0:1], null, v71, s3, 0
	v_lshlrev_b64 v[0:1], 3, v[0:1]
	s_delay_alu instid0(VALU_DEP_1) | instskip(NEXT) | instid1(VALU_DEP_2)
	v_add_co_u32 v72, vcc_lo, s4, v0
	v_add_co_ci_u32_e32 v73, vcc_lo, s5, v1, vcc_lo
	v_lshlrev_b64 v[0:1], 3, v[16:17]
	s_mov_b32 vcc_lo, s2
	s_cbranch_vccz .LBB137_65
; %bb.64:
	s_delay_alu instid0(VALU_DEP_1) | instskip(NEXT) | instid1(VALU_DEP_2)
	v_add_co_u32 v6, vcc_lo, v72, v0
	v_add_co_ci_u32_e32 v7, vcc_lo, v73, v1, vcc_lo
	flat_load_b64 v[6:7], v[6:7]
	s_waitcnt vmcnt(0) lgkmcnt(0)
	v_mul_f64 v[8:9], v[6:7], s[6:7]
.LBB137_65:
	scratch_load_b64 v[6:7], off, off offset:8
	s_clause 0x1
	s_load_b32 s8, s[0:1], 0x70
	s_load_b64 s[0:1], s[0:1], 0x78
	s_waitcnt vmcnt(1)
	v_add_f64 v[8:9], v[2:3], v[8:9]
	v_add_nc_u32_e32 v10, 4, v16
	v_cndmask_b32_e64 v12, 0, 1, s18
	s_delay_alu instid0(VALU_DEP_2)
	v_ashrrev_i32_e32 v11, 31, v10
	s_waitcnt lgkmcnt(0)
	v_mad_i64_i32 v[2:3], null, v71, s8, 0
	s_lshl_b64 s[12:13], s[0:1], 3
	v_cmp_ne_u32_e64 s0, 1, v12
	s_add_u32 s1, s10, s12
	s_addc_u32 s9, s11, s13
	s_delay_alu instid0(VALU_DEP_2) | instskip(NEXT) | instid1(VALU_DEP_1)
	v_lshlrev_b64 v[2:3], 3, v[2:3]
	v_add_co_u32 v74, vcc_lo, s1, v2
	s_delay_alu instid0(VALU_DEP_2) | instskip(SKIP_1) | instid1(VALU_DEP_3)
	v_add_co_ci_u32_e32 v75, vcc_lo, s9, v3, vcc_lo
	v_lshlrev_b64 v[2:3], 3, v[10:11]
	v_add_co_u32 v12, vcc_lo, v74, v0
	s_delay_alu instid0(VALU_DEP_3)
	v_add_co_ci_u32_e32 v13, vcc_lo, v75, v1, vcc_lo
	s_and_not1_b32 vcc_lo, exec_lo, s18
	global_store_b64 v[12:13], v[8:9], off
	s_cbranch_vccnz .LBB137_67
; %bb.66:
	v_add_co_u32 v4, vcc_lo, v72, v2
	v_add_co_ci_u32_e32 v5, vcc_lo, v73, v3, vcc_lo
	flat_load_b64 v[4:5], v[4:5]
	s_waitcnt vmcnt(0) lgkmcnt(0)
	v_mul_f64 v[4:5], v[4:5], s[6:7]
.LBB137_67:
	scratch_load_b64 v[10:11], off, off offset:16
	s_waitcnt vmcnt(1)
	v_add_f64 v[12:13], v[6:7], v[4:5]
	v_add_nc_u32_e32 v4, 8, v16
	v_mov_b32_e32 v8, 0
	v_mov_b32_e32 v9, 0
	v_add_co_u32 v14, vcc_lo, v74, v2
	s_delay_alu instid0(VALU_DEP_4) | instskip(SKIP_3) | instid1(VALU_DEP_4)
	v_ashrrev_i32_e32 v5, 31, v4
	v_mov_b32_e32 v6, 0
	v_mov_b32_e32 v7, 0
	v_add_co_ci_u32_e32 v15, vcc_lo, v75, v3, vcc_lo
	v_lshlrev_b64 v[4:5], 3, v[4:5]
	s_and_b32 vcc_lo, exec_lo, s0
	global_store_b64 v[14:15], v[12:13], off
	s_cbranch_vccnz .LBB137_69
; %bb.68:
	v_add_co_u32 v6, vcc_lo, v72, v4
	v_add_co_ci_u32_e32 v7, vcc_lo, v73, v5, vcc_lo
	flat_load_b64 v[6:7], v[6:7]
	s_waitcnt vmcnt(0) lgkmcnt(0)
	v_mul_f64 v[6:7], v[6:7], s[6:7]
.LBB137_69:
	scratch_load_b64 v[12:13], off, off offset:24
	s_waitcnt vmcnt(1)
	v_add_f64 v[10:11], v[10:11], v[6:7]
	v_add_nc_u32_e32 v6, 12, v16
	v_add_co_u32 v14, vcc_lo, v74, v4
	v_add_co_ci_u32_e32 v15, vcc_lo, v75, v5, vcc_lo
	s_delay_alu instid0(VALU_DEP_3) | instskip(SKIP_1) | instid1(VALU_DEP_1)
	v_ashrrev_i32_e32 v7, 31, v6
	s_and_b32 vcc_lo, exec_lo, s0
	v_lshlrev_b64 v[6:7], 3, v[6:7]
	global_store_b64 v[14:15], v[10:11], off
	s_cbranch_vccnz .LBB137_71
; %bb.70:
	v_add_co_u32 v8, vcc_lo, v72, v6
	v_add_co_ci_u32_e32 v9, vcc_lo, v73, v7, vcc_lo
	flat_load_b64 v[8:9], v[8:9]
	s_waitcnt vmcnt(0) lgkmcnt(0)
	v_mul_f64 v[8:9], v[8:9], s[6:7]
.LBB137_71:
	scratch_load_b64 v[10:11], off, off offset:32
	s_waitcnt vmcnt(1)
	v_add_f64 v[17:18], v[12:13], v[8:9]
	v_add_nc_u32_e32 v8, 16, v16
	v_mov_b32_e32 v12, 0
	v_mov_b32_e32 v13, 0
	v_add_co_u32 v19, vcc_lo, v74, v6
	s_delay_alu instid0(VALU_DEP_4) | instskip(SKIP_3) | instid1(VALU_DEP_4)
	v_ashrrev_i32_e32 v9, 31, v8
	v_mov_b32_e32 v14, 0
	v_mov_b32_e32 v15, 0
	v_add_co_ci_u32_e32 v20, vcc_lo, v75, v7, vcc_lo
	v_lshlrev_b64 v[8:9], 3, v[8:9]
	s_and_b32 vcc_lo, exec_lo, s0
	global_store_b64 v[19:20], v[17:18], off
	s_cbranch_vccnz .LBB137_73
; %bb.72:
	v_add_co_u32 v14, vcc_lo, v72, v8
	v_add_co_ci_u32_e32 v15, vcc_lo, v73, v9, vcc_lo
	flat_load_b64 v[14:15], v[14:15]
	s_waitcnt vmcnt(0) lgkmcnt(0)
	v_mul_f64 v[14:15], v[14:15], s[6:7]
.LBB137_73:
	scratch_load_b64 v[17:18], off, off offset:40
	s_waitcnt vmcnt(1)
	v_add_f64 v[14:15], v[10:11], v[14:15]
	v_add_nc_u32_e32 v10, 20, v16
	v_add_co_u32 v19, vcc_lo, v74, v8
	v_add_co_ci_u32_e32 v20, vcc_lo, v75, v9, vcc_lo
	s_delay_alu instid0(VALU_DEP_3) | instskip(SKIP_1) | instid1(VALU_DEP_1)
	v_ashrrev_i32_e32 v11, 31, v10
	s_and_b32 vcc_lo, exec_lo, s0
	v_lshlrev_b64 v[10:11], 3, v[10:11]
	global_store_b64 v[19:20], v[14:15], off
	s_cbranch_vccnz .LBB137_75
; %bb.74:
	v_add_co_u32 v12, vcc_lo, v72, v10
	v_add_co_ci_u32_e32 v13, vcc_lo, v73, v11, vcc_lo
	flat_load_b64 v[12:13], v[12:13]
	s_waitcnt vmcnt(0) lgkmcnt(0)
	v_mul_f64 v[12:13], v[12:13], s[6:7]
.LBB137_75:
	scratch_load_b64 v[14:15], off, off offset:48
	s_waitcnt vmcnt(1)
	v_add_f64 v[21:22], v[17:18], v[12:13]
	v_dual_mov_b32 v17, 0 :: v_dual_add_nc_u32 v12, 24, v16
	v_add_co_u32 v23, vcc_lo, v74, v10
	v_dual_mov_b32 v18, 0 :: v_dual_mov_b32 v19, 0
	s_delay_alu instid0(VALU_DEP_3) | instskip(SKIP_3) | instid1(VALU_DEP_3)
	v_ashrrev_i32_e32 v13, 31, v12
	v_add_co_ci_u32_e32 v24, vcc_lo, v75, v11, vcc_lo
	v_mov_b32_e32 v20, 0
	s_and_b32 vcc_lo, exec_lo, s0
	v_lshlrev_b64 v[12:13], 3, v[12:13]
	global_store_b64 v[23:24], v[21:22], off
	s_cbranch_vccnz .LBB137_77
; %bb.76:
	v_add_co_u32 v19, vcc_lo, v72, v12
	v_add_co_ci_u32_e32 v20, vcc_lo, v73, v13, vcc_lo
	flat_load_b64 v[19:20], v[19:20]
	s_waitcnt vmcnt(0) lgkmcnt(0)
	v_mul_f64 v[19:20], v[19:20], s[6:7]
.LBB137_77:
	scratch_load_b64 v[21:22], off, off offset:56
	s_waitcnt vmcnt(1)
	v_add_f64 v[19:20], v[14:15], v[19:20]
	v_add_nc_u32_e32 v14, 28, v16
	v_add_co_u32 v23, vcc_lo, v74, v12
	v_add_co_ci_u32_e32 v24, vcc_lo, v75, v13, vcc_lo
	s_delay_alu instid0(VALU_DEP_3) | instskip(SKIP_1) | instid1(VALU_DEP_1)
	v_ashrrev_i32_e32 v15, 31, v14
	s_and_b32 vcc_lo, exec_lo, s0
	v_lshlrev_b64 v[14:15], 3, v[14:15]
	global_store_b64 v[23:24], v[19:20], off
	s_cbranch_vccnz .LBB137_79
; %bb.78:
	v_add_co_u32 v17, vcc_lo, v72, v14
	v_add_co_ci_u32_e32 v18, vcc_lo, v73, v15, vcc_lo
	flat_load_b64 v[17:18], v[17:18]
	s_waitcnt vmcnt(0) lgkmcnt(0)
	v_mul_f64 v[17:18], v[17:18], s[6:7]
.LBB137_79:
	scratch_load_b64 v[19:20], off, off offset:64
	s_waitcnt vmcnt(1)
	v_add_f64 v[25:26], v[21:22], v[17:18]
	v_add_nc_u32_e32 v17, 32, v16
	v_mov_b32_e32 v21, 0
	v_mov_b32_e32 v22, 0
	v_add_co_u32 v27, vcc_lo, v74, v14
	s_delay_alu instid0(VALU_DEP_4) | instskip(SKIP_3) | instid1(VALU_DEP_4)
	v_ashrrev_i32_e32 v18, 31, v17
	v_mov_b32_e32 v23, 0
	v_mov_b32_e32 v24, 0
	v_add_co_ci_u32_e32 v28, vcc_lo, v75, v15, vcc_lo
	v_lshlrev_b64 v[17:18], 3, v[17:18]
	s_and_b32 vcc_lo, exec_lo, s0
	global_store_b64 v[27:28], v[25:26], off
	s_cbranch_vccnz .LBB137_81
; %bb.80:
	v_add_co_u32 v23, vcc_lo, v72, v17
	v_add_co_ci_u32_e32 v24, vcc_lo, v73, v18, vcc_lo
	flat_load_b64 v[23:24], v[23:24]
	s_waitcnt vmcnt(0) lgkmcnt(0)
	v_mul_f64 v[23:24], v[23:24], s[6:7]
.LBB137_81:
	scratch_load_b64 v[25:26], off, off offset:72
	s_waitcnt vmcnt(1)
	v_add_f64 v[23:24], v[19:20], v[23:24]
	v_add_nc_u32_e32 v19, 36, v16
	v_add_co_u32 v27, vcc_lo, v74, v17
	v_add_co_ci_u32_e32 v28, vcc_lo, v75, v18, vcc_lo
	s_delay_alu instid0(VALU_DEP_3) | instskip(SKIP_1) | instid1(VALU_DEP_1)
	v_ashrrev_i32_e32 v20, 31, v19
	s_and_b32 vcc_lo, exec_lo, s0
	v_lshlrev_b64 v[19:20], 3, v[19:20]
	global_store_b64 v[27:28], v[23:24], off
	s_cbranch_vccnz .LBB137_83
; %bb.82:
	v_add_co_u32 v21, vcc_lo, v72, v19
	v_add_co_ci_u32_e32 v22, vcc_lo, v73, v20, vcc_lo
	flat_load_b64 v[21:22], v[21:22]
	s_waitcnt vmcnt(0) lgkmcnt(0)
	v_mul_f64 v[21:22], v[21:22], s[6:7]
.LBB137_83:
	scratch_load_b64 v[23:24], off, off offset:80
	s_waitcnt vmcnt(1)
	v_add_f64 v[29:30], v[25:26], v[21:22]
	v_add_nc_u32_e32 v21, 40, v16
	v_mov_b32_e32 v25, 0
	v_mov_b32_e32 v26, 0
	v_add_co_u32 v31, vcc_lo, v74, v19
	s_delay_alu instid0(VALU_DEP_4) | instskip(SKIP_3) | instid1(VALU_DEP_4)
	v_ashrrev_i32_e32 v22, 31, v21
	v_mov_b32_e32 v27, 0
	v_mov_b32_e32 v28, 0
	v_add_co_ci_u32_e32 v32, vcc_lo, v75, v20, vcc_lo
	v_lshlrev_b64 v[21:22], 3, v[21:22]
	s_and_b32 vcc_lo, exec_lo, s0
	;; [unrolled: 42-line block ×12, first 2 shown]
	global_store_b64 v[76:77], v[67:68], off
	s_cbranch_vccnz .LBB137_125
; %bb.124:
	v_add_co_u32 v67, vcc_lo, v72, v61
	v_add_co_ci_u32_e32 v68, vcc_lo, v73, v62, vcc_lo
	flat_load_b64 v[67:68], v[67:68]
	s_waitcnt vmcnt(0) lgkmcnt(0)
	v_mul_f64 v[69:70], v[67:68], s[6:7]
.LBB137_125:
	scratch_load_b64 v[67:68], off, off offset:248
	s_waitcnt vmcnt(1)
	v_add_f64 v[69:70], v[63:64], v[69:70]
	v_add_nc_u32_e32 v63, 0x7c, v16
	v_add_co_u32 v76, vcc_lo, v74, v61
	v_add_co_ci_u32_e32 v77, vcc_lo, v75, v62, vcc_lo
	s_delay_alu instid0(VALU_DEP_3) | instskip(SKIP_1) | instid1(VALU_DEP_1)
	v_ashrrev_i32_e32 v64, 31, v63
	s_and_b32 vcc_lo, exec_lo, s0
	v_lshlrev_b64 v[63:64], 3, v[63:64]
	global_store_b64 v[76:77], v[69:70], off
	s_cbranch_vccnz .LBB137_127
; %bb.126:
	v_add_co_u32 v65, vcc_lo, v72, v63
	v_add_co_ci_u32_e32 v66, vcc_lo, v73, v64, vcc_lo
	flat_load_b64 v[65:66], v[65:66]
	s_waitcnt vmcnt(0) lgkmcnt(0)
	v_mul_f64 v[65:66], v[65:66], s[6:7]
.LBB137_127:
	scratch_load_b64 v[69:70], off, off offset:256
	s_waitcnt vmcnt(1)
	v_add_f64 v[67:68], v[67:68], v[65:66]
	v_add_nc_u32_e32 v76, 64, v71
	v_add_co_u32 v74, vcc_lo, v74, v63
	v_add_co_ci_u32_e32 v75, vcc_lo, v75, v64, vcc_lo
	s_delay_alu instid0(VALU_DEP_3) | instskip(SKIP_2) | instid1(VALU_DEP_3)
	v_mad_i64_i32 v[65:66], null, v76, s3, 0
	v_mov_b32_e32 v71, 0
	v_mov_b32_e32 v72, 0
	v_lshlrev_b64 v[77:78], 3, v[65:66]
	v_mov_b32_e32 v65, 0
	v_mov_b32_e32 v66, 0
	s_delay_alu instid0(VALU_DEP_3) | instskip(NEXT) | instid1(VALU_DEP_4)
	v_add_co_u32 v16, vcc_lo, s4, v77
	v_add_co_ci_u32_e32 v73, vcc_lo, s5, v78, vcc_lo
	s_mov_b32 vcc_lo, s2
	global_store_b64 v[74:75], v[67:68], off
	s_cbranch_vccz .LBB137_129
; %bb.128:
	v_add_co_u32 v67, vcc_lo, v16, v0
	v_add_co_ci_u32_e32 v68, vcc_lo, v73, v1, vcc_lo
	flat_load_b64 v[67:68], v[67:68]
	s_waitcnt vmcnt(0) lgkmcnt(0)
	v_mul_f64 v[71:72], v[67:68], s[6:7]
.LBB137_129:
	scratch_load_b64 v[67:68], off, off offset:264
	s_waitcnt vmcnt(1)
	v_add_f64 v[69:70], v[69:70], v[71:72]
	v_mad_i64_i32 v[71:72], null, v76, s8, 0
	s_delay_alu instid0(VALU_DEP_1) | instskip(NEXT) | instid1(VALU_DEP_1)
	v_lshlrev_b64 v[71:72], 3, v[71:72]
	v_add_co_u32 v71, vcc_lo, s1, v71
	s_delay_alu instid0(VALU_DEP_2) | instskip(NEXT) | instid1(VALU_DEP_2)
	v_add_co_ci_u32_e32 v72, vcc_lo, s9, v72, vcc_lo
	v_add_co_u32 v0, vcc_lo, v71, v0
	s_delay_alu instid0(VALU_DEP_2)
	v_add_co_ci_u32_e32 v1, vcc_lo, v72, v1, vcc_lo
	s_and_b32 vcc_lo, exec_lo, s0
	global_store_b64 v[0:1], v[69:70], off
	s_cbranch_vccnz .LBB137_131
; %bb.130:
	v_add_co_u32 v0, vcc_lo, v16, v2
	v_add_co_ci_u32_e32 v1, vcc_lo, v73, v3, vcc_lo
	flat_load_b64 v[0:1], v[0:1]
	s_waitcnt vmcnt(0) lgkmcnt(0)
	v_mul_f64 v[65:66], v[0:1], s[6:7]
.LBB137_131:
	scratch_load_b64 v[69:70], off, off offset:272
	s_waitcnt vmcnt(1)
	v_add_f64 v[65:66], v[67:68], v[65:66]
	v_add_co_u32 v67, vcc_lo, v71, v2
	v_mov_b32_e32 v0, 0
	v_add_co_ci_u32_e32 v68, vcc_lo, v72, v3, vcc_lo
	v_dual_mov_b32 v1, 0 :: v_dual_mov_b32 v2, 0
	v_mov_b32_e32 v3, 0
	s_and_b32 vcc_lo, exec_lo, s0
	global_store_b64 v[67:68], v[65:66], off
	s_cbranch_vccnz .LBB137_133
; %bb.132:
	v_add_co_u32 v2, vcc_lo, v16, v4
	v_add_co_ci_u32_e32 v3, vcc_lo, v73, v5, vcc_lo
	flat_load_b64 v[2:3], v[2:3]
	s_waitcnt vmcnt(0) lgkmcnt(0)
	v_mul_f64 v[2:3], v[2:3], s[6:7]
.LBB137_133:
	scratch_load_b64 v[65:66], off, off offset:280
	s_waitcnt vmcnt(1)
	v_add_f64 v[2:3], v[69:70], v[2:3]
	v_add_co_u32 v4, vcc_lo, v71, v4
	v_add_co_ci_u32_e32 v5, vcc_lo, v72, v5, vcc_lo
	s_and_b32 vcc_lo, exec_lo, s0
	global_store_b64 v[4:5], v[2:3], off
	s_cbranch_vccnz .LBB137_135
; %bb.134:
	v_add_co_u32 v0, vcc_lo, v16, v6
	v_add_co_ci_u32_e32 v1, vcc_lo, v73, v7, vcc_lo
	flat_load_b64 v[0:1], v[0:1]
	s_waitcnt vmcnt(0) lgkmcnt(0)
	v_mul_f64 v[0:1], v[0:1], s[6:7]
.LBB137_135:
	scratch_load_b64 v[2:3], off, off offset:288
	s_waitcnt vmcnt(1)
	v_add_f64 v[4:5], v[65:66], v[0:1]
	v_add_co_u32 v65, vcc_lo, v71, v6
	v_mov_b32_e32 v0, 0
	v_add_co_ci_u32_e32 v66, vcc_lo, v72, v7, vcc_lo
	v_dual_mov_b32 v1, 0 :: v_dual_mov_b32 v6, 0
	v_mov_b32_e32 v7, 0
	s_and_b32 vcc_lo, exec_lo, s0
	global_store_b64 v[65:66], v[4:5], off
	s_cbranch_vccnz .LBB137_137
; %bb.136:
	v_add_co_u32 v4, vcc_lo, v16, v8
	v_add_co_ci_u32_e32 v5, vcc_lo, v73, v9, vcc_lo
	flat_load_b64 v[4:5], v[4:5]
	s_waitcnt vmcnt(0) lgkmcnt(0)
	v_mul_f64 v[6:7], v[4:5], s[6:7]
.LBB137_137:
	scratch_load_b64 v[4:5], off, off offset:296
	s_waitcnt vmcnt(1)
	v_add_f64 v[2:3], v[2:3], v[6:7]
	v_add_co_u32 v6, vcc_lo, v71, v8
	v_add_co_ci_u32_e32 v7, vcc_lo, v72, v9, vcc_lo
	s_and_b32 vcc_lo, exec_lo, s0
	global_store_b64 v[6:7], v[2:3], off
	s_cbranch_vccnz .LBB137_139
; %bb.138:
	v_add_co_u32 v0, vcc_lo, v16, v10
	v_add_co_ci_u32_e32 v1, vcc_lo, v73, v11, vcc_lo
	flat_load_b64 v[0:1], v[0:1]
	s_waitcnt vmcnt(0) lgkmcnt(0)
	v_mul_f64 v[0:1], v[0:1], s[6:7]
.LBB137_139:
	scratch_load_b64 v[2:3], off, off offset:304
	s_waitcnt vmcnt(1)
	v_add_f64 v[4:5], v[4:5], v[0:1]
	v_add_co_u32 v8, vcc_lo, v71, v10
	v_mov_b32_e32 v0, 0
	v_dual_mov_b32 v1, 0 :: v_dual_mov_b32 v6, 0
	v_add_co_ci_u32_e32 v9, vcc_lo, v72, v11, vcc_lo
	v_mov_b32_e32 v7, 0
	s_and_b32 vcc_lo, exec_lo, s0
	global_store_b64 v[8:9], v[4:5], off
	s_cbranch_vccnz .LBB137_141
; %bb.140:
	v_add_co_u32 v4, vcc_lo, v16, v12
	v_add_co_ci_u32_e32 v5, vcc_lo, v73, v13, vcc_lo
	flat_load_b64 v[4:5], v[4:5]
	s_waitcnt vmcnt(0) lgkmcnt(0)
	v_mul_f64 v[6:7], v[4:5], s[6:7]
.LBB137_141:
	scratch_load_b64 v[4:5], off, off offset:312
	s_waitcnt vmcnt(1)
	v_add_f64 v[2:3], v[2:3], v[6:7]
	v_add_co_u32 v6, vcc_lo, v71, v12
	v_add_co_ci_u32_e32 v7, vcc_lo, v72, v13, vcc_lo
	s_and_b32 vcc_lo, exec_lo, s0
	global_store_b64 v[6:7], v[2:3], off
	s_cbranch_vccnz .LBB137_143
; %bb.142:
	v_add_co_u32 v0, vcc_lo, v16, v14
	v_add_co_ci_u32_e32 v1, vcc_lo, v73, v15, vcc_lo
	flat_load_b64 v[0:1], v[0:1]
	s_waitcnt vmcnt(0) lgkmcnt(0)
	v_mul_f64 v[0:1], v[0:1], s[6:7]
.LBB137_143:
	scratch_load_b64 v[2:3], off, off offset:320
	s_waitcnt vmcnt(1)
	v_add_f64 v[4:5], v[4:5], v[0:1]
	v_add_co_u32 v8, vcc_lo, v71, v14
	v_mov_b32_e32 v0, 0
	v_dual_mov_b32 v1, 0 :: v_dual_mov_b32 v6, 0
	v_add_co_ci_u32_e32 v9, vcc_lo, v72, v15, vcc_lo
	;; [unrolled: 33-line block ×13, first 2 shown]
	v_mov_b32_e32 v7, 0
	s_and_b32 vcc_lo, exec_lo, s0
	global_store_b64 v[8:9], v[4:5], off
	s_cbranch_vccnz .LBB137_189
; %bb.188:
	v_add_co_u32 v4, vcc_lo, v16, v61
	v_add_co_ci_u32_e32 v5, vcc_lo, v73, v62, vcc_lo
	flat_load_b64 v[4:5], v[4:5]
	s_waitcnt vmcnt(0) lgkmcnt(0)
	v_mul_f64 v[6:7], v[4:5], s[6:7]
.LBB137_189:
	scratch_load_b64 v[4:5], off, off offset:504
	s_waitcnt vmcnt(1)
	v_add_f64 v[2:3], v[2:3], v[6:7]
	v_add_co_u32 v6, vcc_lo, v71, v61
	v_add_co_ci_u32_e32 v7, vcc_lo, v72, v62, vcc_lo
	s_and_b32 vcc_lo, exec_lo, s0
	global_store_b64 v[6:7], v[2:3], off
	s_cbranch_vccnz .LBB137_191
; %bb.190:
	v_add_co_u32 v0, vcc_lo, v16, v63
	v_add_co_ci_u32_e32 v1, vcc_lo, v73, v64, vcc_lo
	flat_load_b64 v[0:1], v[0:1]
	s_waitcnt vmcnt(0) lgkmcnt(0)
	v_mul_f64 v[0:1], v[0:1], s[6:7]
.LBB137_191:
	s_waitcnt vmcnt(0)
	s_delay_alu instid0(VALU_DEP_1)
	v_add_f64 v[0:1], v[4:5], v[0:1]
	v_add_co_u32 v2, vcc_lo, v71, v63
	v_add_co_ci_u32_e32 v3, vcc_lo, v72, v64, vcc_lo
	global_store_b64 v[2:3], v[0:1], off
	s_endpgm
	.section	.rodata,"a",@progbits
	.p2align	6, 0x0
	.amdhsa_kernel _ZN12_GLOBAL__N_120geam_min_plus_kernelIdddLi4ELi64ELi128ELi128ELi4ELi4ELi64ELi4ELi64ELc84ELc78ELb0ELb0ELb0EdKPKdKPdEEviiiT16_PT17_ilS8_ilS6_S8_ilPT18_ili26rocblas_geam_ex_operation_
		.amdhsa_group_segment_fixed_size 16384
		.amdhsa_private_segment_fixed_size 528
		.amdhsa_kernarg_size 136
		.amdhsa_user_sgpr_count 14
		.amdhsa_user_sgpr_dispatch_ptr 0
		.amdhsa_user_sgpr_queue_ptr 0
		.amdhsa_user_sgpr_kernarg_segment_ptr 1
		.amdhsa_user_sgpr_dispatch_id 0
		.amdhsa_user_sgpr_private_segment_size 0
		.amdhsa_wavefront_size32 1
		.amdhsa_uses_dynamic_stack 0
		.amdhsa_enable_private_segment 1
		.amdhsa_system_sgpr_workgroup_id_x 1
		.amdhsa_system_sgpr_workgroup_id_y 0
		.amdhsa_system_sgpr_workgroup_id_z 1
		.amdhsa_system_sgpr_workgroup_info 0
		.amdhsa_system_vgpr_workitem_id 1
		.amdhsa_next_free_vgpr 250
		.amdhsa_next_free_sgpr 25
		.amdhsa_reserve_vcc 1
		.amdhsa_float_round_mode_32 0
		.amdhsa_float_round_mode_16_64 0
		.amdhsa_float_denorm_mode_32 3
		.amdhsa_float_denorm_mode_16_64 3
		.amdhsa_dx10_clamp 1
		.amdhsa_ieee_mode 1
		.amdhsa_fp16_overflow 0
		.amdhsa_workgroup_processor_mode 1
		.amdhsa_memory_ordered 1
		.amdhsa_forward_progress 0
		.amdhsa_shared_vgpr_count 0
		.amdhsa_exception_fp_ieee_invalid_op 0
		.amdhsa_exception_fp_denorm_src 0
		.amdhsa_exception_fp_ieee_div_zero 0
		.amdhsa_exception_fp_ieee_overflow 0
		.amdhsa_exception_fp_ieee_underflow 0
		.amdhsa_exception_fp_ieee_inexact 0
		.amdhsa_exception_int_div_zero 0
	.end_amdhsa_kernel
	.section	.text._ZN12_GLOBAL__N_120geam_min_plus_kernelIdddLi4ELi64ELi128ELi128ELi4ELi4ELi64ELi4ELi64ELc84ELc78ELb0ELb0ELb0EdKPKdKPdEEviiiT16_PT17_ilS8_ilS6_S8_ilPT18_ili26rocblas_geam_ex_operation_,"axG",@progbits,_ZN12_GLOBAL__N_120geam_min_plus_kernelIdddLi4ELi64ELi128ELi128ELi4ELi4ELi64ELi4ELi64ELc84ELc78ELb0ELb0ELb0EdKPKdKPdEEviiiT16_PT17_ilS8_ilS6_S8_ilPT18_ili26rocblas_geam_ex_operation_,comdat
.Lfunc_end137:
	.size	_ZN12_GLOBAL__N_120geam_min_plus_kernelIdddLi4ELi64ELi128ELi128ELi4ELi4ELi64ELi4ELi64ELc84ELc78ELb0ELb0ELb0EdKPKdKPdEEviiiT16_PT17_ilS8_ilS6_S8_ilPT18_ili26rocblas_geam_ex_operation_, .Lfunc_end137-_ZN12_GLOBAL__N_120geam_min_plus_kernelIdddLi4ELi64ELi128ELi128ELi4ELi4ELi64ELi4ELi64ELc84ELc78ELb0ELb0ELb0EdKPKdKPdEEviiiT16_PT17_ilS8_ilS6_S8_ilPT18_ili26rocblas_geam_ex_operation_
                                        ; -- End function
	.section	.AMDGPU.csdata,"",@progbits
; Kernel info:
; codeLenInByte = 43636
; NumSgprs: 27
; NumVgprs: 250
; ScratchSize: 528
; MemoryBound: 1
; FloatMode: 240
; IeeeMode: 1
; LDSByteSize: 16384 bytes/workgroup (compile time only)
; SGPRBlocks: 3
; VGPRBlocks: 31
; NumSGPRsForWavesPerEU: 27
; NumVGPRsForWavesPerEU: 250
; Occupancy: 5
; WaveLimiterHint : 1
; COMPUTE_PGM_RSRC2:SCRATCH_EN: 1
; COMPUTE_PGM_RSRC2:USER_SGPR: 14
; COMPUTE_PGM_RSRC2:TRAP_HANDLER: 0
; COMPUTE_PGM_RSRC2:TGID_X_EN: 1
; COMPUTE_PGM_RSRC2:TGID_Y_EN: 0
; COMPUTE_PGM_RSRC2:TGID_Z_EN: 1
; COMPUTE_PGM_RSRC2:TIDIG_COMP_CNT: 1
	.section	.text._ZN12_GLOBAL__N_120geam_min_plus_kernelIdddLi4ELi64ELi128ELi128ELi4ELi4ELi64ELi4ELi64ELc84ELc78ELb0ELb1ELb0EPKdKS2_KPdEEviiiT16_PT17_ilS8_ilS6_S8_ilPT18_ili26rocblas_geam_ex_operation_,"axG",@progbits,_ZN12_GLOBAL__N_120geam_min_plus_kernelIdddLi4ELi64ELi128ELi128ELi4ELi4ELi64ELi4ELi64ELc84ELc78ELb0ELb1ELb0EPKdKS2_KPdEEviiiT16_PT17_ilS8_ilS6_S8_ilPT18_ili26rocblas_geam_ex_operation_,comdat
	.globl	_ZN12_GLOBAL__N_120geam_min_plus_kernelIdddLi4ELi64ELi128ELi128ELi4ELi4ELi64ELi4ELi64ELc84ELc78ELb0ELb1ELb0EPKdKS2_KPdEEviiiT16_PT17_ilS8_ilS6_S8_ilPT18_ili26rocblas_geam_ex_operation_ ; -- Begin function _ZN12_GLOBAL__N_120geam_min_plus_kernelIdddLi4ELi64ELi128ELi128ELi4ELi4ELi64ELi4ELi64ELc84ELc78ELb0ELb1ELb0EPKdKS2_KPdEEviiiT16_PT17_ilS8_ilS6_S8_ilPT18_ili26rocblas_geam_ex_operation_
	.p2align	8
	.type	_ZN12_GLOBAL__N_120geam_min_plus_kernelIdddLi4ELi64ELi128ELi128ELi4ELi4ELi64ELi4ELi64ELc84ELc78ELb0ELb1ELb0EPKdKS2_KPdEEviiiT16_PT17_ilS8_ilS6_S8_ilPT18_ili26rocblas_geam_ex_operation_,@function
_ZN12_GLOBAL__N_120geam_min_plus_kernelIdddLi4ELi64ELi128ELi128ELi4ELi4ELi64ELi4ELi64ELc84ELc78ELb0ELb1ELb0EPKdKS2_KPdEEviiiT16_PT17_ilS8_ilS6_S8_ilPT18_ili26rocblas_geam_ex_operation_: ; @_ZN12_GLOBAL__N_120geam_min_plus_kernelIdddLi4ELi64ELi128ELi128ELi4ELi4ELi64ELi4ELi64ELc84ELc78ELb0ELb1ELb0EPKdKS2_KPdEEviiiT16_PT17_ilS8_ilS6_S8_ilPT18_ili26rocblas_geam_ex_operation_
; %bb.0:
	s_clause 0x1
	s_load_b128 s[16:19], s[0:1], 0x10
	s_load_b128 s[4:7], s[0:1], 0x28
	s_mov_b32 s2, s15
	s_mov_b32 s3, 0
	s_delay_alu instid0(SALU_CYCLE_1)
	s_lshl_b64 s[2:3], s[2:3], 3
	s_waitcnt lgkmcnt(0)
	s_add_u32 s8, s16, s2
	s_addc_u32 s9, s17, s3
	s_load_b64 s[12:13], s[8:9], 0x0
	s_clause 0x1
	s_load_b128 s[8:11], s[0:1], 0x40
	s_load_b64 s[20:21], s[0:1], 0x50
	s_waitcnt lgkmcnt(0)
	s_add_u32 s22, s10, s2
	v_cmp_eq_f64_e64 s16, s[12:13], 0
	v_cmp_neq_f64_e64 s15, s[12:13], 0
	s_addc_u32 s23, s11, s3
	s_mov_b64 s[10:11], 0
	s_delay_alu instid0(VALU_DEP_2)
	s_and_b32 vcc_lo, exec_lo, s16
	s_mov_b64 s[16:17], 0
	s_cbranch_vccnz .LBB138_2
; %bb.1:
	s_add_u32 s16, s18, s2
	s_addc_u32 s17, s19, s3
	s_lshl_b64 s[4:5], s[4:5], 3
	s_load_b64 s[16:17], s[16:17], 0x0
	s_waitcnt lgkmcnt(0)
	s_add_u32 s16, s16, s4
	s_addc_u32 s17, s17, s5
.LBB138_2:
	s_load_b64 s[34:35], s[22:23], 0x0
	s_delay_alu instid0(VALU_DEP_1)
	s_and_not1_b32 vcc_lo, exec_lo, s15
	s_cbranch_vccnz .LBB138_4
; %bb.3:
	s_add_u32 s4, s6, s2
	s_addc_u32 s5, s7, s3
	s_lshl_b64 s[6:7], s[8:9], 3
	s_load_b64 s[4:5], s[4:5], 0x0
	s_waitcnt lgkmcnt(0)
	s_add_u32 s10, s4, s6
	s_addc_u32 s11, s5, s7
.LBB138_4:
	s_waitcnt lgkmcnt(0)
	v_cmp_eq_f64_e64 s8, s[34:35], 0
	v_cmp_neq_f64_e64 s42, s[34:35], 0
	s_load_b128 s[4:7], s[0:1], 0x60
	s_mov_b64 s[40:41], 0
	s_delay_alu instid0(VALU_DEP_2)
	s_and_b32 vcc_lo, exec_lo, s8
	s_cbranch_vccnz .LBB138_6
; %bb.5:
	s_add_u32 s8, s20, s2
	s_addc_u32 s9, s21, s3
	s_waitcnt lgkmcnt(0)
	s_lshl_b64 s[4:5], s[4:5], 3
	s_load_b64 s[8:9], s[8:9], 0x0
	s_waitcnt lgkmcnt(0)
	s_add_u32 s40, s8, s4
	s_addc_u32 s41, s9, s5
.LBB138_6:
	s_clause 0x1
	s_load_b128 s[36:39], s[0:1], 0x0
	s_load_b32 s21, s[0:1], 0x20
	s_waitcnt lgkmcnt(0)
	s_add_u32 s2, s6, s2
	s_addc_u32 s3, s7, s3
	s_mov_b32 s4, 0
	s_load_b64 s[8:9], s[2:3], 0x0
	s_mov_b32 s5, s4
	v_and_b32_e32 v84, 0x3ff, v0
	v_cmp_eq_f64_e64 s18, s[12:13], 0
	v_bfe_u32 v85, v0, 10, 10
	s_add_i32 s2, s36, -1
	s_delay_alu instid0(SALU_CYCLE_1) | instskip(NEXT) | instid1(SALU_CYCLE_1)
	s_ashr_i32 s3, s2, 31
	s_lshr_b32 s3, s3, 25
	s_delay_alu instid0(SALU_CYCLE_1) | instskip(NEXT) | instid1(SALU_CYCLE_1)
	s_add_i32 s2, s2, s3
	s_ashr_i32 s2, s2, 7
	s_delay_alu instid0(SALU_CYCLE_1) | instskip(SKIP_2) | instid1(VALU_DEP_1)
	s_add_i32 s3, s2, 1
	s_not_b32 s2, s2
	v_cvt_f32_u32_e32 v1, s3
	v_rcp_iflag_f32_e32 v1, v1
	v_dual_mov_b32 v4, s4 :: v_dual_mov_b32 v5, s5
	v_and_b32_e32 v86, 3, v84
	v_lshrrev_b32_e32 v0, 2, v84
	s_delay_alu instid0(VALU_DEP_1)
	v_add_nc_u32_e32 v10, v0, v85
	s_waitcnt_depctr 0xfff
	v_mul_f32_e32 v1, 0x4f7ffffe, v1
	s_clause 0xa
	scratch_store_b64 off, v[4:5], off
	scratch_store_b64 off, v[4:5], off offset:8
	scratch_store_b64 off, v[4:5], off offset:16
	;; [unrolled: 1-line block ×10, first 2 shown]
	v_cvt_u32_f32_e32 v1, v1
	s_clause 0xe
	scratch_store_b64 off, v[4:5], off offset:88
	scratch_store_b64 off, v[4:5], off offset:96
	;; [unrolled: 1-line block ×15, first 2 shown]
	v_readfirstlane_b32 s4, v1
	s_clause 0xd
	scratch_store_b64 off, v[4:5], off offset:208
	scratch_store_b64 off, v[4:5], off offset:216
	scratch_store_b64 off, v[4:5], off offset:224
	scratch_store_b64 off, v[4:5], off offset:232
	scratch_store_b64 off, v[4:5], off offset:240
	scratch_store_b64 off, v[4:5], off offset:248
	scratch_store_b64 off, v[4:5], off offset:256
	scratch_store_b64 off, v[4:5], off offset:264
	scratch_store_b64 off, v[4:5], off offset:272
	scratch_store_b64 off, v[4:5], off offset:280
	scratch_store_b64 off, v[4:5], off offset:288
	scratch_store_b64 off, v[4:5], off offset:296
	scratch_store_b64 off, v[4:5], off offset:304
	scratch_store_b64 off, v[4:5], off offset:312
	s_mul_i32 s2, s2, s4
	s_clause 0x3
	scratch_store_b64 off, v[4:5], off offset:320
	scratch_store_b64 off, v[4:5], off offset:328
	;; [unrolled: 1-line block ×4, first 2 shown]
	s_mul_hi_u32 s2, s4, s2
	s_clause 0x1
	scratch_store_b64 off, v[4:5], off offset:352
	scratch_store_b64 off, v[4:5], off offset:360
	s_add_i32 s4, s4, s2
	s_clause 0x6
	scratch_store_b64 off, v[4:5], off offset:368
	scratch_store_b64 off, v[4:5], off offset:376
	;; [unrolled: 1-line block ×7, first 2 shown]
	s_mul_hi_u32 s2, s14, s4
	scratch_store_b64 off, v[4:5], off offset:424
	s_mul_i32 s4, s2, s3
	s_add_i32 s5, s2, 1
	s_sub_i32 s4, s14, s4
	s_clause 0x3
	scratch_store_b64 off, v[4:5], off offset:432
	scratch_store_b64 off, v[4:5], off offset:440
	;; [unrolled: 1-line block ×4, first 2 shown]
	s_sub_i32 s6, s4, s3
	s_cmp_ge_u32 s4, s3
	s_clause 0x1
	scratch_store_b64 off, v[4:5], off offset:464
	scratch_store_b64 off, v[4:5], off offset:472
	s_cselect_b32 s2, s5, s2
	s_cselect_b32 s4, s6, s4
	s_add_i32 s5, s2, 1
	s_cmp_ge_u32 s4, s3
	s_clause 0x3
	scratch_store_b64 off, v[4:5], off offset:480
	scratch_store_b64 off, v[4:5], off offset:488
	;; [unrolled: 1-line block ×4, first 2 shown]
	s_cselect_b32 s5, s5, s2
	s_add_i32 s19, s38, -1
	s_mul_i32 s2, s5, s3
	v_min_i32_e32 v0, s19, v86
	s_sub_i32 s2, s14, s2
	s_delay_alu instid0(SALU_CYCLE_1) | instskip(NEXT) | instid1(VALU_DEP_1)
	s_lshl_b32 s14, s2, 7
	v_ashrrev_i32_e32 v1, 31, v0
	s_delay_alu instid0(VALU_DEP_1) | instskip(SKIP_3) | instid1(VALU_DEP_4)
	v_lshlrev_b64 v[6:7], 3, v[0:1]
	v_mov_b32_e32 v0, 0
	v_mov_b32_e32 v1, 0
	v_cmp_le_i32_e32 vcc_lo, s38, v86
	v_add_co_u32 v8, s3, s16, v6
	s_delay_alu instid0(VALU_DEP_3) | instskip(SKIP_2) | instid1(VALU_DEP_3)
	v_dual_mov_b32 v3, v1 :: v_dual_add_nc_u32 v76, s14, v10
	v_add_co_ci_u32_e64 v9, s3, s17, v7, s3
	v_mov_b32_e32 v2, v0
	v_cmp_le_i32_e64 s2, s36, v76
	s_delay_alu instid0(VALU_DEP_1) | instskip(NEXT) | instid1(SALU_CYCLE_1)
	s_or_b32 s3, vcc_lo, s2
	s_or_b32 s3, s18, s3
	s_delay_alu instid0(SALU_CYCLE_1) | instskip(NEXT) | instid1(SALU_CYCLE_1)
	s_xor_b32 s3, s3, -1
	s_and_saveexec_b32 s4, s3
	s_cbranch_execz .LBB138_8
; %bb.7:
	v_mad_i64_i32 v[2:3], null, v76, s21, 0
	s_delay_alu instid0(VALU_DEP_1) | instskip(NEXT) | instid1(VALU_DEP_1)
	v_lshlrev_b64 v[2:3], 3, v[2:3]
	v_add_co_u32 v2, s3, v8, v2
	s_delay_alu instid0(VALU_DEP_1)
	v_add_co_ci_u32_e64 v3, s3, v9, v3, s3
	flat_load_b64 v[2:3], v[2:3]
	s_waitcnt vmcnt(0) lgkmcnt(0)
	v_mul_f64 v[2:3], s[12:13], v[2:3]
.LBB138_8:
	s_or_b32 exec_lo, exec_lo, s4
	v_add_nc_u32_e32 v77, 64, v76
	v_dual_mov_b32 v5, v1 :: v_dual_mov_b32 v4, v0
	s_delay_alu instid0(VALU_DEP_2) | instskip(NEXT) | instid1(VALU_DEP_1)
	v_cmp_le_i32_e64 s3, s36, v77
	s_or_b32 s4, vcc_lo, s3
	s_delay_alu instid0(SALU_CYCLE_1) | instskip(NEXT) | instid1(SALU_CYCLE_1)
	s_or_b32 s4, s18, s4
	s_xor_b32 s4, s4, -1
	s_delay_alu instid0(SALU_CYCLE_1)
	s_and_saveexec_b32 s6, s4
	s_cbranch_execz .LBB138_10
; %bb.9:
	v_mad_i64_i32 v[4:5], null, v77, s21, 0
	s_delay_alu instid0(VALU_DEP_1) | instskip(NEXT) | instid1(VALU_DEP_1)
	v_lshlrev_b64 v[4:5], 3, v[4:5]
	v_add_co_u32 v4, s4, v8, v4
	s_delay_alu instid0(VALU_DEP_1)
	v_add_co_ci_u32_e64 v5, s4, v9, v5, s4
	flat_load_b64 v[4:5], v[4:5]
	s_waitcnt vmcnt(0) lgkmcnt(0)
	v_mul_f64 v[4:5], s[12:13], v[4:5]
.LBB138_10:
	s_or_b32 exec_lo, exec_lo, s6
	s_load_b32 s22, s[0:1], 0x38
	s_lshl_b32 s15, s5, 7
	v_add_co_u32 v8, s5, s10, v6
	v_add_nc_u32_e32 v78, s15, v10
	v_add_co_ci_u32_e64 v9, s5, s11, v7, s5
	s_delay_alu instid0(VALU_DEP_2) | instskip(NEXT) | instid1(VALU_DEP_1)
	v_cmp_le_i32_e64 s4, s37, v78
	s_or_b32 s6, vcc_lo, s4
	s_delay_alu instid0(SALU_CYCLE_1) | instskip(NEXT) | instid1(SALU_CYCLE_1)
	s_or_b32 s5, s18, s6
	s_xor_b32 s5, s5, -1
	s_delay_alu instid0(SALU_CYCLE_1)
	s_and_saveexec_b32 s6, s5
	s_cbranch_execz .LBB138_12
; %bb.11:
	s_waitcnt lgkmcnt(0)
	v_mad_i64_i32 v[0:1], null, v78, s22, 0
	s_delay_alu instid0(VALU_DEP_1) | instskip(NEXT) | instid1(VALU_DEP_1)
	v_lshlrev_b64 v[0:1], 3, v[0:1]
	v_add_co_u32 v0, s5, v8, v0
	s_delay_alu instid0(VALU_DEP_1)
	v_add_co_ci_u32_e64 v1, s5, v9, v1, s5
	flat_load_b64 v[0:1], v[0:1]
	s_waitcnt vmcnt(0) lgkmcnt(0)
	v_mul_f64 v[0:1], s[12:13], v[0:1]
.LBB138_12:
	s_or_b32 exec_lo, exec_lo, s6
	v_dual_mov_b32 v68, 0 :: v_dual_add_nc_u32 v79, 64, v78
	v_mov_b32_e32 v69, 0
	s_delay_alu instid0(VALU_DEP_2) | instskip(NEXT) | instid1(VALU_DEP_3)
	v_mov_b32_e32 v6, v68
	v_cmp_le_i32_e64 s5, s37, v79
	s_delay_alu instid0(VALU_DEP_3) | instskip(NEXT) | instid1(VALU_DEP_2)
	v_mov_b32_e32 v7, v69
	s_or_b32 s6, vcc_lo, s5
	s_delay_alu instid0(SALU_CYCLE_1) | instskip(NEXT) | instid1(SALU_CYCLE_1)
	s_or_b32 s6, s18, s6
	s_xor_b32 s7, s6, -1
	s_delay_alu instid0(SALU_CYCLE_1)
	s_and_saveexec_b32 s6, s7
	s_cbranch_execz .LBB138_14
; %bb.13:
	s_waitcnt lgkmcnt(0)
	v_mad_i64_i32 v[6:7], null, v79, s22, 0
	s_delay_alu instid0(VALU_DEP_1) | instskip(NEXT) | instid1(VALU_DEP_1)
	v_lshlrev_b64 v[6:7], 3, v[6:7]
	v_add_co_u32 v6, vcc_lo, v8, v6
	s_delay_alu instid0(VALU_DEP_2)
	v_add_co_ci_u32_e32 v7, vcc_lo, v9, v7, vcc_lo
	flat_load_b64 v[6:7], v[6:7]
	s_waitcnt vmcnt(0) lgkmcnt(0)
	v_mul_f64 v[6:7], s[12:13], v[6:7]
.LBB138_14:
	s_or_b32 exec_lo, exec_lo, s6
	v_or_b32_e32 v11, 4, v86
	s_delay_alu instid0(VALU_DEP_1) | instskip(SKIP_1) | instid1(VALU_DEP_2)
	v_min_i32_e32 v8, s19, v11
	v_cmp_le_i32_e32 vcc_lo, s38, v11
	v_ashrrev_i32_e32 v9, 31, v8
	s_or_b32 s7, vcc_lo, s2
	s_delay_alu instid0(VALU_DEP_1) | instskip(NEXT) | instid1(VALU_DEP_1)
	v_lshlrev_b64 v[8:9], 3, v[8:9]
	v_add_co_u32 v11, s6, s16, v8
	s_delay_alu instid0(VALU_DEP_1) | instskip(SKIP_1) | instid1(SALU_CYCLE_1)
	v_add_co_ci_u32_e64 v12, s6, s17, v9, s6
	s_or_b32 s6, s18, s7
	s_xor_b32 s6, s6, -1
	s_delay_alu instid0(SALU_CYCLE_1)
	s_and_saveexec_b32 s7, s6
	s_cbranch_execz .LBB138_16
; %bb.15:
	v_mad_i64_i32 v[13:14], null, v76, s21, 0
	s_delay_alu instid0(VALU_DEP_1) | instskip(NEXT) | instid1(VALU_DEP_1)
	v_lshlrev_b64 v[13:14], 3, v[13:14]
	v_add_co_u32 v13, s6, v11, v13
	s_delay_alu instid0(VALU_DEP_1)
	v_add_co_ci_u32_e64 v14, s6, v12, v14, s6
	flat_load_b64 v[13:14], v[13:14]
	s_waitcnt vmcnt(0) lgkmcnt(0)
	v_mul_f64 v[68:69], s[12:13], v[13:14]
.LBB138_16:
	s_or_b32 exec_lo, exec_lo, s7
	v_mov_b32_e32 v70, 0
	v_mov_b32_e32 v71, 0
	s_or_b32 s6, vcc_lo, s3
	s_delay_alu instid0(SALU_CYCLE_1) | instskip(NEXT) | instid1(SALU_CYCLE_1)
	s_or_b32 s6, s18, s6
	s_xor_b32 s6, s6, -1
	s_delay_alu instid0(VALU_DEP_1)
	v_dual_mov_b32 v73, v71 :: v_dual_mov_b32 v72, v70
	s_and_saveexec_b32 s7, s6
	s_cbranch_execz .LBB138_18
; %bb.17:
	v_mad_i64_i32 v[13:14], null, v77, s21, 0
	s_delay_alu instid0(VALU_DEP_1) | instskip(NEXT) | instid1(VALU_DEP_1)
	v_lshlrev_b64 v[13:14], 3, v[13:14]
	v_add_co_u32 v11, s6, v11, v13
	s_delay_alu instid0(VALU_DEP_1)
	v_add_co_ci_u32_e64 v12, s6, v12, v14, s6
	flat_load_b64 v[11:12], v[11:12]
	s_waitcnt vmcnt(0) lgkmcnt(0)
	v_mul_f64 v[72:73], s[12:13], v[11:12]
.LBB138_18:
	s_or_b32 exec_lo, exec_lo, s7
	v_add_co_u32 v8, s6, s10, v8
	s_or_b32 s7, vcc_lo, s4
	v_add_co_ci_u32_e64 v9, s6, s11, v9, s6
	s_or_b32 s6, s18, s7
	s_delay_alu instid0(SALU_CYCLE_1) | instskip(NEXT) | instid1(SALU_CYCLE_1)
	s_xor_b32 s6, s6, -1
	s_and_saveexec_b32 s7, s6
	s_cbranch_execz .LBB138_20
; %bb.19:
	s_waitcnt lgkmcnt(0)
	v_mad_i64_i32 v[11:12], null, v78, s22, 0
	s_delay_alu instid0(VALU_DEP_1) | instskip(NEXT) | instid1(VALU_DEP_1)
	v_lshlrev_b64 v[11:12], 3, v[11:12]
	v_add_co_u32 v11, s6, v8, v11
	s_delay_alu instid0(VALU_DEP_1)
	v_add_co_ci_u32_e64 v12, s6, v9, v12, s6
	flat_load_b64 v[11:12], v[11:12]
	s_waitcnt vmcnt(0) lgkmcnt(0)
	v_mul_f64 v[70:71], s[12:13], v[11:12]
.LBB138_20:
	s_or_b32 exec_lo, exec_lo, s7
	s_or_b32 s6, vcc_lo, s5
	v_mov_b32_e32 v74, 0
	v_mov_b32_e32 v75, 0
	s_or_b32 s6, s18, s6
	s_delay_alu instid0(SALU_CYCLE_1) | instskip(NEXT) | instid1(SALU_CYCLE_1)
	s_xor_b32 s7, s6, -1
	s_and_saveexec_b32 s6, s7
	s_cbranch_execz .LBB138_22
; %bb.21:
	s_waitcnt lgkmcnt(0)
	v_mad_i64_i32 v[11:12], null, v79, s22, 0
	s_delay_alu instid0(VALU_DEP_1) | instskip(NEXT) | instid1(VALU_DEP_1)
	v_lshlrev_b64 v[11:12], 3, v[11:12]
	v_add_co_u32 v8, vcc_lo, v8, v11
	s_delay_alu instid0(VALU_DEP_2)
	v_add_co_ci_u32_e32 v9, vcc_lo, v9, v12, vcc_lo
	flat_load_b64 v[8:9], v[8:9]
	s_waitcnt vmcnt(0) lgkmcnt(0)
	v_mul_f64 v[74:75], s[12:13], v[8:9]
.LBB138_22:
	s_or_b32 exec_lo, exec_lo, s6
	v_dual_mov_b32 v81, 8 :: v_dual_lshlrev_b32 v8, 3, v86
	v_dual_mov_b32 v80, 0 :: v_dual_lshlrev_b32 v87, 5, v84
	v_dual_mov_b32 v82, 16 :: v_dual_lshlrev_b32 v89, 5, v85
	s_delay_alu instid0(VALU_DEP_3) | instskip(NEXT) | instid1(VALU_DEP_3)
	v_lshl_or_b32 v88, v10, 5, v8
	v_dual_mov_b32 v83, 24 :: v_dual_add_nc_u32 v48, 0x800, v87
	s_delay_alu instid0(VALU_DEP_3)
	v_dual_mov_b32 v92, 32 :: v_dual_add_nc_u32 v91, 0x2000, v89
	ds_store_2addr_stride64_b64 v88, v[2:3], v[4:5] offset1:4
	ds_store_2addr_stride64_b64 v88, v[0:1], v[6:7] offset0:16 offset1:20
	s_waitcnt lgkmcnt(0)
	s_waitcnt_vscnt null, 0x0
	s_barrier
	buffer_gl0_inv
	ds_load_2addr_b64 v[0:3], v87 offset1:16
	ds_load_2addr_b64 v[4:7], v87 offset0:32 offset1:48
	ds_load_2addr_b64 v[8:11], v87 offset0:64 offset1:80
	;; [unrolled: 1-line block ×4, first 2 shown]
	ds_load_2addr_b64 v[20:23], v48 offset1:16
	ds_load_2addr_b64 v[24:27], v48 offset0:32 offset1:48
	ds_load_2addr_b64 v[28:31], v48 offset0:64 offset1:80
	;; [unrolled: 1-line block ×10, first 2 shown]
	ds_load_2addr_stride64_b64 v[64:67], v89 offset0:16 offset1:20
	v_dual_mov_b32 v93, 40 :: v_dual_add_nc_u32 v90, 0x2000, v88
	v_dual_mov_b32 v94, 48 :: v_dual_mov_b32 v95, 56
	v_dual_mov_b32 v96, 64 :: v_dual_mov_b32 v97, 0x48
	v_mov_b32_e32 v98, 0x50
	v_mov_b32_e32 v99, 0x58
	;; [unrolled: 1-line block ×22, first 2 shown]
	s_mov_b64 s[6:7], 0
	s_mov_b32 s20, -1
.LBB138_23:                             ; =>This Inner Loop Header: Depth=1
	scratch_load_b64 v[120:121], v80, off
	scratch_load_b64 v[122:123], v81, off
	;; [unrolled: 1-line block ×32, first 2 shown]
	s_cmp_eq_u32 s6, 1
	s_waitcnt lgkmcnt(16)
	v_max_f64 v[186:187], v[0:1], v[0:1]
	s_cselect_b32 vcc_lo, -1, 0
	v_max_f64 v[188:189], v[2:3], v[2:3]
	s_waitcnt lgkmcnt(0)
	v_dual_cndmask_b32 v185, v65, v67 :: v_dual_cndmask_b32 v184, v64, v66
	v_max_f64 v[190:191], v[4:5], v[4:5]
	v_max_f64 v[192:193], v[6:7], v[6:7]
	;; [unrolled: 1-line block ×31, first 2 shown]
	s_mov_b64 s[6:7], 1
	s_and_b32 vcc_lo, exec_lo, s20
	s_mov_b32 s20, 0
	v_min_f64 v[186:187], v[186:187], v[184:185]
	v_min_f64 v[188:189], v[188:189], v[184:185]
	;; [unrolled: 1-line block ×32, first 2 shown]
	s_waitcnt vmcnt(31)
	v_add_f64 v[120:121], v[120:121], v[186:187]
	s_waitcnt vmcnt(30)
	v_add_f64 v[122:123], v[188:189], v[122:123]
	;; [unrolled: 2-line block ×32, first 2 shown]
	scratch_store_b64 v80, v[120:121], off
	scratch_store_b64 v81, v[122:123], off
	;; [unrolled: 1-line block ×32, first 2 shown]
	v_mov_b32_e32 v80, 0x100
	v_mov_b32_e32 v81, 0x108
	;; [unrolled: 1-line block ×32, first 2 shown]
	s_cbranch_vccnz .LBB138_23
; %bb.24:
	v_dual_mov_b32 v81, 8 :: v_dual_add_nc_u32 v60, 0x800, v87
	ds_load_2addr_b64 v[0:3], v87 offset0:1 offset1:17
	ds_load_2addr_b64 v[4:7], v87 offset0:33 offset1:49
	;; [unrolled: 1-line block ×12, first 2 shown]
	v_dual_mov_b32 v83, 24 :: v_dual_add_nc_u32 v64, 8, v91
	ds_load_2addr_b64 v[48:51], v60 offset0:129 offset1:145
	ds_load_2addr_b64 v[52:55], v60 offset0:161 offset1:177
	;; [unrolled: 1-line block ×4, first 2 shown]
	ds_load_2addr_stride64_b64 v[64:67], v64 offset1:4
	v_dual_mov_b32 v80, 0 :: v_dual_mov_b32 v93, 40
	v_dual_mov_b32 v82, 16 :: v_dual_mov_b32 v95, 56
	;; [unrolled: 1-line block ×5, first 2 shown]
	v_mov_b32_e32 v98, 0x50
	v_mov_b32_e32 v100, 0x60
	v_mov_b32_e32 v102, 0x70
	v_mov_b32_e32 v103, 0x78
	v_mov_b32_e32 v104, 0x80
	v_mov_b32_e32 v105, 0x88
	v_mov_b32_e32 v106, 0x90
	v_mov_b32_e32 v107, 0x98
	v_mov_b32_e32 v108, 0xa0
	v_mov_b32_e32 v109, 0xa8
	v_mov_b32_e32 v110, 0xb0
	v_mov_b32_e32 v111, 0xb8
	v_mov_b32_e32 v112, 0xc0
	v_mov_b32_e32 v113, 0xc8
	v_mov_b32_e32 v114, 0xd0
	v_mov_b32_e32 v115, 0xd8
	v_mov_b32_e32 v116, 0xe0
	v_mov_b32_e32 v117, 0xe8
	v_mov_b32_e32 v118, 0xf0
	v_mov_b32_e32 v119, 0xf8
	s_mov_b64 s[6:7], 0
	s_mov_b32 s20, -1
.LBB138_25:                             ; =>This Inner Loop Header: Depth=1
	scratch_load_b64 v[120:121], v80, off
	scratch_load_b64 v[122:123], v81, off
	;; [unrolled: 1-line block ×32, first 2 shown]
	s_cmp_eq_u32 s6, 1
	s_waitcnt lgkmcnt(16)
	v_max_f64 v[186:187], v[0:1], v[0:1]
	s_cselect_b32 vcc_lo, -1, 0
	v_max_f64 v[188:189], v[2:3], v[2:3]
	s_waitcnt lgkmcnt(0)
	v_dual_cndmask_b32 v185, v65, v67 :: v_dual_cndmask_b32 v184, v64, v66
	v_max_f64 v[190:191], v[4:5], v[4:5]
	v_max_f64 v[192:193], v[6:7], v[6:7]
	;; [unrolled: 1-line block ×31, first 2 shown]
	s_mov_b64 s[6:7], 1
	s_and_b32 vcc_lo, exec_lo, s20
	s_mov_b32 s20, 0
	v_min_f64 v[186:187], v[186:187], v[184:185]
	v_min_f64 v[188:189], v[188:189], v[184:185]
	;; [unrolled: 1-line block ×32, first 2 shown]
	s_waitcnt vmcnt(31)
	v_add_f64 v[120:121], v[120:121], v[186:187]
	s_waitcnt vmcnt(30)
	v_add_f64 v[122:123], v[188:189], v[122:123]
	;; [unrolled: 2-line block ×32, first 2 shown]
	scratch_store_b64 v80, v[120:121], off
	scratch_store_b64 v81, v[122:123], off
	;; [unrolled: 1-line block ×32, first 2 shown]
	v_mov_b32_e32 v80, 0x100
	v_mov_b32_e32 v81, 0x108
	;; [unrolled: 1-line block ×32, first 2 shown]
	s_cbranch_vccnz .LBB138_25
; %bb.26:
	v_dual_mov_b32 v81, 8 :: v_dual_add_nc_u32 v60, 0x800, v87
	ds_load_2addr_b64 v[0:3], v87 offset0:2 offset1:18
	ds_load_2addr_b64 v[4:7], v87 offset0:34 offset1:50
	;; [unrolled: 1-line block ×12, first 2 shown]
	v_dual_mov_b32 v83, 24 :: v_dual_add_nc_u32 v64, 16, v91
	ds_load_2addr_b64 v[48:51], v60 offset0:130 offset1:146
	ds_load_2addr_b64 v[52:55], v60 offset0:162 offset1:178
	;; [unrolled: 1-line block ×4, first 2 shown]
	ds_load_2addr_stride64_b64 v[64:67], v64 offset1:4
	v_dual_mov_b32 v80, 0 :: v_dual_mov_b32 v93, 40
	v_dual_mov_b32 v82, 16 :: v_dual_mov_b32 v95, 56
	;; [unrolled: 1-line block ×5, first 2 shown]
	v_mov_b32_e32 v98, 0x50
	v_mov_b32_e32 v100, 0x60
	;; [unrolled: 1-line block ×20, first 2 shown]
	s_mov_b64 s[6:7], 0
	s_mov_b32 s20, -1
.LBB138_27:                             ; =>This Inner Loop Header: Depth=1
	scratch_load_b64 v[120:121], v80, off
	scratch_load_b64 v[122:123], v81, off
	;; [unrolled: 1-line block ×32, first 2 shown]
	s_cmp_eq_u32 s6, 1
	s_waitcnt lgkmcnt(16)
	v_max_f64 v[186:187], v[0:1], v[0:1]
	s_cselect_b32 vcc_lo, -1, 0
	v_max_f64 v[188:189], v[2:3], v[2:3]
	s_waitcnt lgkmcnt(0)
	v_dual_cndmask_b32 v185, v65, v67 :: v_dual_cndmask_b32 v184, v64, v66
	v_max_f64 v[190:191], v[4:5], v[4:5]
	v_max_f64 v[192:193], v[6:7], v[6:7]
	;; [unrolled: 1-line block ×31, first 2 shown]
	s_mov_b64 s[6:7], 1
	s_and_b32 vcc_lo, exec_lo, s20
	s_mov_b32 s20, 0
	v_min_f64 v[186:187], v[186:187], v[184:185]
	v_min_f64 v[188:189], v[188:189], v[184:185]
	;; [unrolled: 1-line block ×32, first 2 shown]
	s_waitcnt vmcnt(31)
	v_add_f64 v[120:121], v[120:121], v[186:187]
	s_waitcnt vmcnt(30)
	v_add_f64 v[122:123], v[188:189], v[122:123]
	s_waitcnt vmcnt(29)
	v_add_f64 v[124:125], v[190:191], v[124:125]
	s_waitcnt vmcnt(28)
	v_add_f64 v[126:127], v[192:193], v[126:127]
	s_waitcnt vmcnt(27)
	v_add_f64 v[128:129], v[194:195], v[128:129]
	s_waitcnt vmcnt(26)
	v_add_f64 v[130:131], v[196:197], v[130:131]
	s_waitcnt vmcnt(25)
	v_add_f64 v[132:133], v[198:199], v[132:133]
	s_waitcnt vmcnt(24)
	v_add_f64 v[134:135], v[200:201], v[134:135]
	s_waitcnt vmcnt(23)
	v_add_f64 v[136:137], v[202:203], v[136:137]
	s_waitcnt vmcnt(22)
	v_add_f64 v[138:139], v[204:205], v[138:139]
	s_waitcnt vmcnt(21)
	v_add_f64 v[140:141], v[206:207], v[140:141]
	s_waitcnt vmcnt(20)
	v_add_f64 v[142:143], v[208:209], v[142:143]
	s_waitcnt vmcnt(19)
	v_add_f64 v[144:145], v[210:211], v[144:145]
	s_waitcnt vmcnt(18)
	v_add_f64 v[146:147], v[212:213], v[146:147]
	s_waitcnt vmcnt(17)
	v_add_f64 v[148:149], v[214:215], v[148:149]
	s_waitcnt vmcnt(16)
	v_add_f64 v[150:151], v[216:217], v[150:151]
	s_waitcnt vmcnt(15)
	v_add_f64 v[152:153], v[218:219], v[152:153]
	s_waitcnt vmcnt(14)
	v_add_f64 v[154:155], v[220:221], v[154:155]
	s_waitcnt vmcnt(13)
	v_add_f64 v[156:157], v[222:223], v[156:157]
	s_waitcnt vmcnt(12)
	v_add_f64 v[158:159], v[224:225], v[158:159]
	s_waitcnt vmcnt(11)
	v_add_f64 v[160:161], v[226:227], v[160:161]
	s_waitcnt vmcnt(10)
	v_add_f64 v[162:163], v[228:229], v[162:163]
	s_waitcnt vmcnt(9)
	v_add_f64 v[164:165], v[230:231], v[164:165]
	s_waitcnt vmcnt(8)
	v_add_f64 v[166:167], v[232:233], v[166:167]
	s_waitcnt vmcnt(7)
	v_add_f64 v[168:169], v[234:235], v[168:169]
	s_waitcnt vmcnt(6)
	v_add_f64 v[170:171], v[236:237], v[170:171]
	s_waitcnt vmcnt(5)
	v_add_f64 v[172:173], v[238:239], v[172:173]
	s_waitcnt vmcnt(4)
	v_add_f64 v[174:175], v[240:241], v[174:175]
	s_waitcnt vmcnt(3)
	v_add_f64 v[176:177], v[242:243], v[176:177]
	s_waitcnt vmcnt(2)
	v_add_f64 v[178:179], v[244:245], v[178:179]
	s_waitcnt vmcnt(1)
	v_add_f64 v[180:181], v[246:247], v[180:181]
	s_waitcnt vmcnt(0)
	v_add_f64 v[182:183], v[184:185], v[182:183]
	scratch_store_b64 v80, v[120:121], off
	scratch_store_b64 v81, v[122:123], off
	;; [unrolled: 1-line block ×32, first 2 shown]
	v_mov_b32_e32 v80, 0x100
	v_mov_b32_e32 v81, 0x108
	;; [unrolled: 1-line block ×32, first 2 shown]
	s_cbranch_vccnz .LBB138_27
; %bb.28:
	v_dual_mov_b32 v81, 8 :: v_dual_add_nc_u32 v60, 0x800, v87
	ds_load_2addr_b64 v[0:3], v87 offset0:3 offset1:19
	ds_load_2addr_b64 v[4:7], v87 offset0:35 offset1:51
	ds_load_2addr_b64 v[8:11], v87 offset0:67 offset1:83
	ds_load_2addr_b64 v[12:15], v87 offset0:99 offset1:115
	ds_load_2addr_b64 v[16:19], v87 offset0:131 offset1:147
	ds_load_2addr_b64 v[20:23], v87 offset0:163 offset1:179
	ds_load_2addr_b64 v[24:27], v87 offset0:195 offset1:211
	ds_load_2addr_b64 v[28:31], v87 offset0:227 offset1:243
	ds_load_2addr_b64 v[32:35], v60 offset0:3 offset1:19
	ds_load_2addr_b64 v[36:39], v60 offset0:35 offset1:51
	ds_load_2addr_b64 v[40:43], v60 offset0:67 offset1:83
	ds_load_2addr_b64 v[44:47], v60 offset0:99 offset1:115
	v_dual_mov_b32 v83, 24 :: v_dual_add_nc_u32 v64, 24, v91
	ds_load_2addr_b64 v[48:51], v60 offset0:131 offset1:147
	ds_load_2addr_b64 v[52:55], v60 offset0:163 offset1:179
	ds_load_2addr_b64 v[56:59], v60 offset0:195 offset1:211
	ds_load_2addr_b64 v[60:63], v60 offset0:227 offset1:243
	ds_load_2addr_stride64_b64 v[64:67], v64 offset1:4
	v_dual_mov_b32 v80, 0 :: v_dual_mov_b32 v93, 40
	v_dual_mov_b32 v82, 16 :: v_dual_mov_b32 v95, 56
	;; [unrolled: 1-line block ×5, first 2 shown]
	v_mov_b32_e32 v98, 0x50
	v_mov_b32_e32 v100, 0x60
	;; [unrolled: 1-line block ×20, first 2 shown]
	s_mov_b64 s[6:7], 0
	s_mov_b32 s20, -1
.LBB138_29:                             ; =>This Inner Loop Header: Depth=1
	scratch_load_b64 v[120:121], v80, off
	scratch_load_b64 v[122:123], v81, off
	;; [unrolled: 1-line block ×32, first 2 shown]
	s_cmp_eq_u32 s6, 1
	s_waitcnt lgkmcnt(16)
	v_max_f64 v[186:187], v[0:1], v[0:1]
	s_cselect_b32 vcc_lo, -1, 0
	v_max_f64 v[188:189], v[2:3], v[2:3]
	s_waitcnt lgkmcnt(0)
	v_dual_cndmask_b32 v185, v65, v67 :: v_dual_cndmask_b32 v184, v64, v66
	v_max_f64 v[190:191], v[4:5], v[4:5]
	v_max_f64 v[192:193], v[6:7], v[6:7]
	;; [unrolled: 1-line block ×31, first 2 shown]
	s_mov_b64 s[6:7], 1
	s_and_b32 vcc_lo, exec_lo, s20
	s_mov_b32 s20, 0
	v_min_f64 v[186:187], v[186:187], v[184:185]
	v_min_f64 v[188:189], v[188:189], v[184:185]
	;; [unrolled: 1-line block ×32, first 2 shown]
	s_waitcnt vmcnt(31)
	v_add_f64 v[120:121], v[120:121], v[186:187]
	s_waitcnt vmcnt(30)
	v_add_f64 v[122:123], v[188:189], v[122:123]
	s_waitcnt vmcnt(29)
	v_add_f64 v[124:125], v[190:191], v[124:125]
	s_waitcnt vmcnt(28)
	v_add_f64 v[126:127], v[192:193], v[126:127]
	s_waitcnt vmcnt(27)
	v_add_f64 v[128:129], v[194:195], v[128:129]
	s_waitcnt vmcnt(26)
	v_add_f64 v[130:131], v[196:197], v[130:131]
	s_waitcnt vmcnt(25)
	v_add_f64 v[132:133], v[198:199], v[132:133]
	s_waitcnt vmcnt(24)
	v_add_f64 v[134:135], v[200:201], v[134:135]
	s_waitcnt vmcnt(23)
	v_add_f64 v[136:137], v[202:203], v[136:137]
	s_waitcnt vmcnt(22)
	v_add_f64 v[138:139], v[204:205], v[138:139]
	s_waitcnt vmcnt(21)
	v_add_f64 v[140:141], v[206:207], v[140:141]
	s_waitcnt vmcnt(20)
	v_add_f64 v[142:143], v[208:209], v[142:143]
	s_waitcnt vmcnt(19)
	v_add_f64 v[144:145], v[210:211], v[144:145]
	s_waitcnt vmcnt(18)
	v_add_f64 v[146:147], v[212:213], v[146:147]
	s_waitcnt vmcnt(17)
	v_add_f64 v[148:149], v[214:215], v[148:149]
	s_waitcnt vmcnt(16)
	v_add_f64 v[150:151], v[216:217], v[150:151]
	s_waitcnt vmcnt(15)
	v_add_f64 v[152:153], v[218:219], v[152:153]
	s_waitcnt vmcnt(14)
	v_add_f64 v[154:155], v[220:221], v[154:155]
	s_waitcnt vmcnt(13)
	v_add_f64 v[156:157], v[222:223], v[156:157]
	s_waitcnt vmcnt(12)
	v_add_f64 v[158:159], v[224:225], v[158:159]
	s_waitcnt vmcnt(11)
	v_add_f64 v[160:161], v[226:227], v[160:161]
	s_waitcnt vmcnt(10)
	v_add_f64 v[162:163], v[228:229], v[162:163]
	s_waitcnt vmcnt(9)
	v_add_f64 v[164:165], v[230:231], v[164:165]
	s_waitcnt vmcnt(8)
	v_add_f64 v[166:167], v[232:233], v[166:167]
	s_waitcnt vmcnt(7)
	v_add_f64 v[168:169], v[234:235], v[168:169]
	s_waitcnt vmcnt(6)
	v_add_f64 v[170:171], v[236:237], v[170:171]
	s_waitcnt vmcnt(5)
	v_add_f64 v[172:173], v[238:239], v[172:173]
	s_waitcnt vmcnt(4)
	v_add_f64 v[174:175], v[240:241], v[174:175]
	s_waitcnt vmcnt(3)
	v_add_f64 v[176:177], v[242:243], v[176:177]
	s_waitcnt vmcnt(2)
	v_add_f64 v[178:179], v[244:245], v[178:179]
	s_waitcnt vmcnt(1)
	v_add_f64 v[180:181], v[246:247], v[180:181]
	s_waitcnt vmcnt(0)
	v_add_f64 v[182:183], v[184:185], v[182:183]
	scratch_store_b64 v80, v[120:121], off
	scratch_store_b64 v81, v[122:123], off
	;; [unrolled: 1-line block ×32, first 2 shown]
	v_mov_b32_e32 v80, 0x100
	v_mov_b32_e32 v81, 0x108
	;; [unrolled: 1-line block ×32, first 2 shown]
	s_cbranch_vccnz .LBB138_29
; %bb.30:
	s_cmp_gt_i32 s38, 8
	s_mov_b32 s20, 8
	ds_store_2addr_stride64_b64 v88, v[68:69], v[72:73] offset0:8 offset1:12
	ds_store_2addr_stride64_b64 v88, v[70:71], v[74:75] offset0:24 offset1:28
	s_waitcnt lgkmcnt(0)
	s_waitcnt_vscnt null, 0x0
	s_barrier
	buffer_gl0_inv
	s_cbranch_scc0 .LBB138_65
; %bb.31:
	v_mad_i64_i32 v[0:1], null, v76, s21, 0
	v_mad_i64_i32 v[2:3], null, v77, s21, 0
	;; [unrolled: 1-line block ×4, first 2 shown]
	v_lshl_add_u32 v94, v84, 5, 0x1000
	v_lshlrev_b64 v[68:69], 3, v[0:1]
	v_lshlrev_b64 v[70:71], 3, v[2:3]
	v_add_nc_u32_e32 v92, 0x1000, v88
	v_lshlrev_b64 v[72:73], 3, v[4:5]
	v_add_nc_u32_e32 v93, 0x3000, v88
	v_lshlrev_b64 v[74:75], 3, v[6:7]
	v_lshl_add_u32 v95, v85, 5, 0x3000
	v_add_nc_u32_e32 v96, 0x800, v94
	s_add_i32 s21, s38, -8
	s_mov_b32 s22, 0
.LBB138_32:                             ; =>This Loop Header: Depth=1
                                        ;     Child Loop BB138_41 Depth 2
                                        ;     Child Loop BB138_43 Depth 2
                                        ;     Child Loop BB138_45 Depth 2
                                        ;     Child Loop BB138_47 Depth 2
                                        ;     Child Loop BB138_57 Depth 2
                                        ;     Child Loop BB138_59 Depth 2
                                        ;     Child Loop BB138_61 Depth 2
                                        ;     Child Loop BB138_63 Depth 2
	v_or_b32_e32 v97, s20, v86
	v_mov_b32_e32 v76, 0
	v_mov_b32_e32 v77, 0
	s_delay_alu instid0(VALU_DEP_3) | instskip(SKIP_1) | instid1(VALU_DEP_3)
	v_min_i32_e32 v0, s19, v97
	v_cmp_le_i32_e32 vcc_lo, s38, v97
	v_dual_mov_b32 v79, v77 :: v_dual_mov_b32 v78, v76
	s_delay_alu instid0(VALU_DEP_3) | instskip(SKIP_1) | instid1(VALU_DEP_1)
	v_ashrrev_i32_e32 v1, 31, v0
	s_or_b32 s7, s2, vcc_lo
	v_lshlrev_b64 v[0:1], 3, v[0:1]
	s_delay_alu instid0(VALU_DEP_1) | instskip(NEXT) | instid1(VALU_DEP_1)
	v_add_co_u32 v2, s6, s16, v0
	v_add_co_ci_u32_e64 v3, s6, s17, v1, s6
	s_or_b32 s6, s18, s7
	s_delay_alu instid0(SALU_CYCLE_1) | instskip(NEXT) | instid1(SALU_CYCLE_1)
	s_xor_b32 s6, s6, -1
	s_and_saveexec_b32 s7, s6
	s_cbranch_execz .LBB138_34
; %bb.33:                               ;   in Loop: Header=BB138_32 Depth=1
	v_add_co_u32 v4, s6, v2, v68
	s_delay_alu instid0(VALU_DEP_1)
	v_add_co_ci_u32_e64 v5, s6, v3, v69, s6
	flat_load_b64 v[4:5], v[4:5]
	s_waitcnt vmcnt(0) lgkmcnt(0)
	v_mul_f64 v[78:79], s[12:13], v[4:5]
.LBB138_34:                             ;   in Loop: Header=BB138_32 Depth=1
	s_or_b32 exec_lo, exec_lo, s7
	s_or_b32 s6, s3, vcc_lo
	s_delay_alu instid0(SALU_CYCLE_1) | instskip(NEXT) | instid1(SALU_CYCLE_1)
	s_or_b32 s6, s18, s6
	s_xor_b32 s6, s6, -1
	s_delay_alu instid0(SALU_CYCLE_1)
	s_and_saveexec_b32 s7, s6
	s_cbranch_execz .LBB138_36
; %bb.35:                               ;   in Loop: Header=BB138_32 Depth=1
	v_add_co_u32 v2, s6, v2, v70
	s_delay_alu instid0(VALU_DEP_1)
	v_add_co_ci_u32_e64 v3, s6, v3, v71, s6
	flat_load_b64 v[2:3], v[2:3]
	s_waitcnt vmcnt(0) lgkmcnt(0)
	v_mul_f64 v[76:77], s[12:13], v[2:3]
.LBB138_36:                             ;   in Loop: Header=BB138_32 Depth=1
	s_or_b32 exec_lo, exec_lo, s7
	v_mov_b32_e32 v80, 0
	v_mov_b32_e32 v81, 0
	v_add_co_u32 v0, s6, s10, v0
	s_delay_alu instid0(VALU_DEP_1) | instskip(SKIP_1) | instid1(VALU_DEP_3)
	v_add_co_ci_u32_e64 v1, s6, s11, v1, s6
	s_or_b32 s6, s4, vcc_lo
	v_dual_mov_b32 v83, v81 :: v_dual_mov_b32 v82, v80
	s_or_b32 s6, s18, s6
	s_delay_alu instid0(SALU_CYCLE_1) | instskip(NEXT) | instid1(SALU_CYCLE_1)
	s_xor_b32 s6, s6, -1
	s_and_saveexec_b32 s7, s6
	s_cbranch_execz .LBB138_38
; %bb.37:                               ;   in Loop: Header=BB138_32 Depth=1
	v_add_co_u32 v2, s6, v0, v72
	s_delay_alu instid0(VALU_DEP_1)
	v_add_co_ci_u32_e64 v3, s6, v1, v73, s6
	flat_load_b64 v[2:3], v[2:3]
	s_waitcnt vmcnt(0) lgkmcnt(0)
	v_mul_f64 v[82:83], s[12:13], v[2:3]
.LBB138_38:                             ;   in Loop: Header=BB138_32 Depth=1
	s_or_b32 exec_lo, exec_lo, s7
	s_or_b32 s6, s5, vcc_lo
	s_delay_alu instid0(SALU_CYCLE_1) | instskip(NEXT) | instid1(SALU_CYCLE_1)
	s_or_b32 s6, s18, s6
	s_xor_b32 s7, s6, -1
	s_delay_alu instid0(SALU_CYCLE_1)
	s_and_saveexec_b32 s6, s7
	s_cbranch_execz .LBB138_40
; %bb.39:                               ;   in Loop: Header=BB138_32 Depth=1
	v_add_co_u32 v0, vcc_lo, v0, v74
	v_add_co_ci_u32_e32 v1, vcc_lo, v1, v75, vcc_lo
	flat_load_b64 v[0:1], v[0:1]
	s_waitcnt vmcnt(0) lgkmcnt(0)
	v_mul_f64 v[80:81], s[12:13], v[0:1]
.LBB138_40:                             ;   in Loop: Header=BB138_32 Depth=1
	s_or_b32 exec_lo, exec_lo, s6
	ds_load_2addr_b64 v[0:3], v94 offset1:16
	ds_load_2addr_b64 v[4:7], v94 offset0:32 offset1:48
	ds_load_2addr_b64 v[8:11], v94 offset0:64 offset1:80
	;; [unrolled: 1-line block ×7, first 2 shown]
	ds_load_2addr_b64 v[32:35], v96 offset1:16
	ds_load_2addr_b64 v[36:39], v96 offset0:32 offset1:48
	ds_load_2addr_b64 v[40:43], v96 offset0:64 offset1:80
	;; [unrolled: 1-line block ×7, first 2 shown]
	ds_load_2addr_stride64_b64 v[64:67], v95 offset1:4
	v_dual_mov_b32 v129, 0 :: v_dual_mov_b32 v128, 8
	v_dual_mov_b32 v127, 16 :: v_dual_mov_b32 v126, 24
	v_dual_mov_b32 v125, 32 :: v_dual_mov_b32 v124, 40
	v_dual_mov_b32 v123, 48 :: v_dual_mov_b32 v122, 56
	v_dual_mov_b32 v121, 64 :: v_dual_mov_b32 v120, 0x48
	v_mov_b32_e32 v119, 0x50
	v_mov_b32_e32 v118, 0x58
	;; [unrolled: 1-line block ×22, first 2 shown]
	s_mov_b64 s[6:7], 0
	s_mov_b32 s23, -1
.LBB138_41:                             ;   Parent Loop BB138_32 Depth=1
                                        ; =>  This Inner Loop Header: Depth=2
	scratch_load_b64 v[134:135], v129, off
	s_cmp_eq_u32 s6, 1
	s_waitcnt lgkmcnt(16)
	v_max_f64 v[132:133], v[0:1], v[0:1]
	s_cselect_b32 vcc_lo, -1, 0
	s_mov_b64 s[6:7], 1
	s_waitcnt lgkmcnt(0)
	v_dual_cndmask_b32 v131, v65, v67 :: v_dual_cndmask_b32 v130, v64, v66
	s_and_b32 vcc_lo, exec_lo, s23
	s_mov_b32 s23, 0
	s_delay_alu instid0(VALU_DEP_1) | instskip(NEXT) | instid1(VALU_DEP_1)
	v_max_f64 v[130:131], v[130:131], v[130:131]
	v_min_f64 v[132:133], v[132:133], v[130:131]
	s_waitcnt vmcnt(0)
	s_delay_alu instid0(VALU_DEP_1) | instskip(SKIP_3) | instid1(VALU_DEP_1)
	v_add_f64 v[132:133], v[134:135], v[132:133]
	scratch_load_b64 v[134:135], v128, off
	scratch_store_b64 v129, v[132:133], off
	v_max_f64 v[132:133], v[2:3], v[2:3]
	v_min_f64 v[132:133], v[132:133], v[130:131]
	s_waitcnt vmcnt(0)
	s_delay_alu instid0(VALU_DEP_1) | instskip(SKIP_3) | instid1(VALU_DEP_1)
	v_add_f64 v[132:133], v[132:133], v[134:135]
	scratch_store_b64 v128, v[132:133], off
	scratch_load_b64 v[132:133], v127, off
	v_max_f64 v[128:129], v[4:5], v[4:5]
	v_min_f64 v[128:129], v[128:129], v[130:131]
	s_waitcnt vmcnt(0)
	s_delay_alu instid0(VALU_DEP_1) | instskip(SKIP_3) | instid1(VALU_DEP_1)
	v_add_f64 v[128:129], v[128:129], v[132:133]
	scratch_load_b64 v[132:133], v126, off
	scratch_store_b64 v127, v[128:129], off
	v_max_f64 v[127:128], v[6:7], v[6:7]
	v_min_f64 v[127:128], v[127:128], v[130:131]
	s_waitcnt vmcnt(0)
	s_delay_alu instid0(VALU_DEP_1) | instskip(SKIP_3) | instid1(VALU_DEP_1)
	v_add_f64 v[127:128], v[127:128], v[132:133]
	scratch_store_b64 v126, v[127:128], off
	scratch_load_b64 v[128:129], v125, off
	v_max_f64 v[126:127], v[8:9], v[8:9]
	v_min_f64 v[126:127], v[126:127], v[130:131]
	s_waitcnt vmcnt(0)
	s_delay_alu instid0(VALU_DEP_1) | instskip(SKIP_4) | instid1(VALU_DEP_1)
	v_add_f64 v[126:127], v[126:127], v[128:129]
	v_mov_b32_e32 v129, 0x100
	scratch_store_b64 v125, v[126:127], off
	scratch_load_b64 v[127:128], v124, off
	v_max_f64 v[125:126], v[10:11], v[10:11]
	v_min_f64 v[125:126], v[125:126], v[130:131]
	s_waitcnt vmcnt(0)
	s_delay_alu instid0(VALU_DEP_1) | instskip(SKIP_4) | instid1(VALU_DEP_1)
	v_add_f64 v[125:126], v[125:126], v[127:128]
	v_mov_b32_e32 v128, 0x108
	;; [unrolled: 8-line block ×27, first 2 shown]
	scratch_store_b64 v99, v[100:101], off
	scratch_load_b64 v[101:102], v98, off
	v_max_f64 v[99:100], v[62:63], v[62:63]
	v_min_f64 v[99:100], v[99:100], v[130:131]
	s_waitcnt vmcnt(0)
	s_delay_alu instid0(VALU_DEP_1)
	v_add_f64 v[99:100], v[99:100], v[101:102]
	v_mov_b32_e32 v102, 0x1d8
	v_mov_b32_e32 v101, 0x1e0
	scratch_store_b64 v98, v[99:100], off
	v_mov_b32_e32 v100, 0x1e8
	v_mov_b32_e32 v99, 0x1f0
	;; [unrolled: 1-line block ×3, first 2 shown]
	s_cbranch_vccnz .LBB138_41
; %bb.42:                               ;   in Loop: Header=BB138_32 Depth=1
	ds_load_2addr_b64 v[0:3], v94 offset0:1 offset1:17
	ds_load_2addr_b64 v[4:7], v94 offset0:33 offset1:49
	;; [unrolled: 1-line block ×12, first 2 shown]
	v_dual_mov_b32 v129, 0 :: v_dual_add_nc_u32 v64, 8, v95
	ds_load_2addr_b64 v[48:51], v96 offset0:129 offset1:145
	ds_load_2addr_b64 v[52:55], v96 offset0:161 offset1:177
	;; [unrolled: 1-line block ×4, first 2 shown]
	ds_load_2addr_stride64_b64 v[64:67], v64 offset1:4
	v_dual_mov_b32 v128, 8 :: v_dual_mov_b32 v127, 16
	v_dual_mov_b32 v126, 24 :: v_dual_mov_b32 v125, 32
	;; [unrolled: 1-line block ×4, first 2 shown]
	v_mov_b32_e32 v120, 0x48
	v_mov_b32_e32 v119, 0x50
	;; [unrolled: 1-line block ×23, first 2 shown]
	s_mov_b64 s[6:7], 0
	s_mov_b32 s23, -1
.LBB138_43:                             ;   Parent Loop BB138_32 Depth=1
                                        ; =>  This Inner Loop Header: Depth=2
	scratch_load_b64 v[134:135], v129, off
	s_cmp_eq_u32 s6, 1
	s_waitcnt lgkmcnt(16)
	v_max_f64 v[132:133], v[0:1], v[0:1]
	s_cselect_b32 vcc_lo, -1, 0
	s_mov_b64 s[6:7], 1
	s_waitcnt lgkmcnt(0)
	v_dual_cndmask_b32 v131, v65, v67 :: v_dual_cndmask_b32 v130, v64, v66
	s_and_b32 vcc_lo, exec_lo, s23
	s_mov_b32 s23, 0
	s_delay_alu instid0(VALU_DEP_1) | instskip(NEXT) | instid1(VALU_DEP_1)
	v_max_f64 v[130:131], v[130:131], v[130:131]
	v_min_f64 v[132:133], v[132:133], v[130:131]
	s_waitcnt vmcnt(0)
	s_delay_alu instid0(VALU_DEP_1) | instskip(SKIP_3) | instid1(VALU_DEP_1)
	v_add_f64 v[132:133], v[134:135], v[132:133]
	scratch_load_b64 v[134:135], v128, off
	scratch_store_b64 v129, v[132:133], off
	v_max_f64 v[132:133], v[2:3], v[2:3]
	v_min_f64 v[132:133], v[132:133], v[130:131]
	s_waitcnt vmcnt(0)
	s_delay_alu instid0(VALU_DEP_1) | instskip(SKIP_3) | instid1(VALU_DEP_1)
	v_add_f64 v[132:133], v[132:133], v[134:135]
	scratch_store_b64 v128, v[132:133], off
	scratch_load_b64 v[132:133], v127, off
	v_max_f64 v[128:129], v[4:5], v[4:5]
	v_min_f64 v[128:129], v[128:129], v[130:131]
	s_waitcnt vmcnt(0)
	s_delay_alu instid0(VALU_DEP_1) | instskip(SKIP_3) | instid1(VALU_DEP_1)
	v_add_f64 v[128:129], v[128:129], v[132:133]
	scratch_load_b64 v[132:133], v126, off
	scratch_store_b64 v127, v[128:129], off
	v_max_f64 v[127:128], v[6:7], v[6:7]
	v_min_f64 v[127:128], v[127:128], v[130:131]
	s_waitcnt vmcnt(0)
	s_delay_alu instid0(VALU_DEP_1) | instskip(SKIP_3) | instid1(VALU_DEP_1)
	v_add_f64 v[127:128], v[127:128], v[132:133]
	scratch_store_b64 v126, v[127:128], off
	scratch_load_b64 v[128:129], v125, off
	v_max_f64 v[126:127], v[8:9], v[8:9]
	v_min_f64 v[126:127], v[126:127], v[130:131]
	s_waitcnt vmcnt(0)
	s_delay_alu instid0(VALU_DEP_1) | instskip(SKIP_4) | instid1(VALU_DEP_1)
	v_add_f64 v[126:127], v[126:127], v[128:129]
	v_mov_b32_e32 v129, 0x100
	scratch_store_b64 v125, v[126:127], off
	scratch_load_b64 v[127:128], v124, off
	v_max_f64 v[125:126], v[10:11], v[10:11]
	v_min_f64 v[125:126], v[125:126], v[130:131]
	s_waitcnt vmcnt(0)
	s_delay_alu instid0(VALU_DEP_1) | instskip(SKIP_4) | instid1(VALU_DEP_1)
	v_add_f64 v[125:126], v[125:126], v[127:128]
	v_mov_b32_e32 v128, 0x108
	;; [unrolled: 8-line block ×27, first 2 shown]
	scratch_store_b64 v99, v[100:101], off
	scratch_load_b64 v[101:102], v98, off
	v_max_f64 v[99:100], v[62:63], v[62:63]
	v_min_f64 v[99:100], v[99:100], v[130:131]
	s_waitcnt vmcnt(0)
	s_delay_alu instid0(VALU_DEP_1)
	v_add_f64 v[99:100], v[99:100], v[101:102]
	v_mov_b32_e32 v102, 0x1d8
	v_mov_b32_e32 v101, 0x1e0
	scratch_store_b64 v98, v[99:100], off
	v_mov_b32_e32 v100, 0x1e8
	v_mov_b32_e32 v99, 0x1f0
	v_mov_b32_e32 v98, 0x1f8
	s_cbranch_vccnz .LBB138_43
; %bb.44:                               ;   in Loop: Header=BB138_32 Depth=1
	ds_load_2addr_b64 v[0:3], v94 offset0:2 offset1:18
	ds_load_2addr_b64 v[4:7], v94 offset0:34 offset1:50
	ds_load_2addr_b64 v[8:11], v94 offset0:66 offset1:82
	ds_load_2addr_b64 v[12:15], v94 offset0:98 offset1:114
	ds_load_2addr_b64 v[16:19], v94 offset0:130 offset1:146
	ds_load_2addr_b64 v[20:23], v94 offset0:162 offset1:178
	ds_load_2addr_b64 v[24:27], v94 offset0:194 offset1:210
	ds_load_2addr_b64 v[28:31], v94 offset0:226 offset1:242
	ds_load_2addr_b64 v[32:35], v96 offset0:2 offset1:18
	ds_load_2addr_b64 v[36:39], v96 offset0:34 offset1:50
	ds_load_2addr_b64 v[40:43], v96 offset0:66 offset1:82
	ds_load_2addr_b64 v[44:47], v96 offset0:98 offset1:114
	v_dual_mov_b32 v129, 0 :: v_dual_add_nc_u32 v64, 16, v95
	ds_load_2addr_b64 v[48:51], v96 offset0:130 offset1:146
	ds_load_2addr_b64 v[52:55], v96 offset0:162 offset1:178
	;; [unrolled: 1-line block ×4, first 2 shown]
	ds_load_2addr_stride64_b64 v[64:67], v64 offset1:4
	v_dual_mov_b32 v128, 8 :: v_dual_mov_b32 v127, 16
	v_dual_mov_b32 v126, 24 :: v_dual_mov_b32 v125, 32
	;; [unrolled: 1-line block ×4, first 2 shown]
	v_mov_b32_e32 v120, 0x48
	v_mov_b32_e32 v119, 0x50
	;; [unrolled: 1-line block ×23, first 2 shown]
	s_mov_b64 s[6:7], 0
	s_mov_b32 s23, -1
.LBB138_45:                             ;   Parent Loop BB138_32 Depth=1
                                        ; =>  This Inner Loop Header: Depth=2
	scratch_load_b64 v[134:135], v129, off
	s_cmp_eq_u32 s6, 1
	s_waitcnt lgkmcnt(16)
	v_max_f64 v[132:133], v[0:1], v[0:1]
	s_cselect_b32 vcc_lo, -1, 0
	s_mov_b64 s[6:7], 1
	s_waitcnt lgkmcnt(0)
	v_dual_cndmask_b32 v131, v65, v67 :: v_dual_cndmask_b32 v130, v64, v66
	s_and_b32 vcc_lo, exec_lo, s23
	s_mov_b32 s23, 0
	s_delay_alu instid0(VALU_DEP_1) | instskip(NEXT) | instid1(VALU_DEP_1)
	v_max_f64 v[130:131], v[130:131], v[130:131]
	v_min_f64 v[132:133], v[132:133], v[130:131]
	s_waitcnt vmcnt(0)
	s_delay_alu instid0(VALU_DEP_1) | instskip(SKIP_3) | instid1(VALU_DEP_1)
	v_add_f64 v[132:133], v[134:135], v[132:133]
	scratch_load_b64 v[134:135], v128, off
	scratch_store_b64 v129, v[132:133], off
	v_max_f64 v[132:133], v[2:3], v[2:3]
	v_min_f64 v[132:133], v[132:133], v[130:131]
	s_waitcnt vmcnt(0)
	s_delay_alu instid0(VALU_DEP_1) | instskip(SKIP_3) | instid1(VALU_DEP_1)
	v_add_f64 v[132:133], v[132:133], v[134:135]
	scratch_store_b64 v128, v[132:133], off
	scratch_load_b64 v[132:133], v127, off
	v_max_f64 v[128:129], v[4:5], v[4:5]
	v_min_f64 v[128:129], v[128:129], v[130:131]
	s_waitcnt vmcnt(0)
	s_delay_alu instid0(VALU_DEP_1) | instskip(SKIP_3) | instid1(VALU_DEP_1)
	v_add_f64 v[128:129], v[128:129], v[132:133]
	scratch_load_b64 v[132:133], v126, off
	scratch_store_b64 v127, v[128:129], off
	v_max_f64 v[127:128], v[6:7], v[6:7]
	v_min_f64 v[127:128], v[127:128], v[130:131]
	s_waitcnt vmcnt(0)
	s_delay_alu instid0(VALU_DEP_1) | instskip(SKIP_3) | instid1(VALU_DEP_1)
	v_add_f64 v[127:128], v[127:128], v[132:133]
	scratch_store_b64 v126, v[127:128], off
	scratch_load_b64 v[128:129], v125, off
	v_max_f64 v[126:127], v[8:9], v[8:9]
	v_min_f64 v[126:127], v[126:127], v[130:131]
	s_waitcnt vmcnt(0)
	s_delay_alu instid0(VALU_DEP_1) | instskip(SKIP_4) | instid1(VALU_DEP_1)
	v_add_f64 v[126:127], v[126:127], v[128:129]
	v_mov_b32_e32 v129, 0x100
	scratch_store_b64 v125, v[126:127], off
	scratch_load_b64 v[127:128], v124, off
	v_max_f64 v[125:126], v[10:11], v[10:11]
	v_min_f64 v[125:126], v[125:126], v[130:131]
	s_waitcnt vmcnt(0)
	s_delay_alu instid0(VALU_DEP_1) | instskip(SKIP_4) | instid1(VALU_DEP_1)
	v_add_f64 v[125:126], v[125:126], v[127:128]
	v_mov_b32_e32 v128, 0x108
	;; [unrolled: 8-line block ×27, first 2 shown]
	scratch_store_b64 v99, v[100:101], off
	scratch_load_b64 v[101:102], v98, off
	v_max_f64 v[99:100], v[62:63], v[62:63]
	v_min_f64 v[99:100], v[99:100], v[130:131]
	s_waitcnt vmcnt(0)
	s_delay_alu instid0(VALU_DEP_1)
	v_add_f64 v[99:100], v[99:100], v[101:102]
	v_mov_b32_e32 v102, 0x1d8
	v_mov_b32_e32 v101, 0x1e0
	scratch_store_b64 v98, v[99:100], off
	v_mov_b32_e32 v100, 0x1e8
	v_mov_b32_e32 v99, 0x1f0
	;; [unrolled: 1-line block ×3, first 2 shown]
	s_cbranch_vccnz .LBB138_45
; %bb.46:                               ;   in Loop: Header=BB138_32 Depth=1
	ds_load_2addr_b64 v[0:3], v94 offset0:3 offset1:19
	ds_load_2addr_b64 v[4:7], v94 offset0:35 offset1:51
	;; [unrolled: 1-line block ×12, first 2 shown]
	v_dual_mov_b32 v129, 0 :: v_dual_add_nc_u32 v64, 24, v95
	ds_load_2addr_b64 v[48:51], v96 offset0:131 offset1:147
	ds_load_2addr_b64 v[52:55], v96 offset0:163 offset1:179
	;; [unrolled: 1-line block ×4, first 2 shown]
	ds_load_2addr_stride64_b64 v[64:67], v64 offset1:4
	v_dual_mov_b32 v128, 8 :: v_dual_mov_b32 v127, 16
	v_dual_mov_b32 v126, 24 :: v_dual_mov_b32 v125, 32
	;; [unrolled: 1-line block ×4, first 2 shown]
	v_mov_b32_e32 v120, 0x48
	v_mov_b32_e32 v119, 0x50
	;; [unrolled: 1-line block ×23, first 2 shown]
	s_mov_b64 s[6:7], 0
	s_mov_b32 s23, -1
.LBB138_47:                             ;   Parent Loop BB138_32 Depth=1
                                        ; =>  This Inner Loop Header: Depth=2
	scratch_load_b64 v[134:135], v129, off
	s_cmp_eq_u32 s6, 1
	s_waitcnt lgkmcnt(16)
	v_max_f64 v[132:133], v[0:1], v[0:1]
	s_cselect_b32 vcc_lo, -1, 0
	s_mov_b64 s[6:7], 1
	s_waitcnt lgkmcnt(0)
	v_dual_cndmask_b32 v131, v65, v67 :: v_dual_cndmask_b32 v130, v64, v66
	s_and_b32 vcc_lo, exec_lo, s23
	s_mov_b32 s23, 0
	s_delay_alu instid0(VALU_DEP_1) | instskip(NEXT) | instid1(VALU_DEP_1)
	v_max_f64 v[130:131], v[130:131], v[130:131]
	v_min_f64 v[132:133], v[132:133], v[130:131]
	s_waitcnt vmcnt(0)
	s_delay_alu instid0(VALU_DEP_1) | instskip(SKIP_3) | instid1(VALU_DEP_1)
	v_add_f64 v[132:133], v[134:135], v[132:133]
	scratch_load_b64 v[134:135], v128, off
	scratch_store_b64 v129, v[132:133], off
	v_max_f64 v[132:133], v[2:3], v[2:3]
	v_min_f64 v[132:133], v[132:133], v[130:131]
	s_waitcnt vmcnt(0)
	s_delay_alu instid0(VALU_DEP_1) | instskip(SKIP_3) | instid1(VALU_DEP_1)
	v_add_f64 v[132:133], v[132:133], v[134:135]
	scratch_store_b64 v128, v[132:133], off
	scratch_load_b64 v[132:133], v127, off
	v_max_f64 v[128:129], v[4:5], v[4:5]
	v_min_f64 v[128:129], v[128:129], v[130:131]
	s_waitcnt vmcnt(0)
	s_delay_alu instid0(VALU_DEP_1) | instskip(SKIP_3) | instid1(VALU_DEP_1)
	v_add_f64 v[128:129], v[128:129], v[132:133]
	scratch_load_b64 v[132:133], v126, off
	scratch_store_b64 v127, v[128:129], off
	v_max_f64 v[127:128], v[6:7], v[6:7]
	v_min_f64 v[127:128], v[127:128], v[130:131]
	s_waitcnt vmcnt(0)
	s_delay_alu instid0(VALU_DEP_1) | instskip(SKIP_3) | instid1(VALU_DEP_1)
	v_add_f64 v[127:128], v[127:128], v[132:133]
	scratch_store_b64 v126, v[127:128], off
	scratch_load_b64 v[128:129], v125, off
	v_max_f64 v[126:127], v[8:9], v[8:9]
	v_min_f64 v[126:127], v[126:127], v[130:131]
	s_waitcnt vmcnt(0)
	s_delay_alu instid0(VALU_DEP_1) | instskip(SKIP_4) | instid1(VALU_DEP_1)
	v_add_f64 v[126:127], v[126:127], v[128:129]
	v_mov_b32_e32 v129, 0x100
	scratch_store_b64 v125, v[126:127], off
	scratch_load_b64 v[127:128], v124, off
	v_max_f64 v[125:126], v[10:11], v[10:11]
	v_min_f64 v[125:126], v[125:126], v[130:131]
	s_waitcnt vmcnt(0)
	s_delay_alu instid0(VALU_DEP_1) | instskip(SKIP_4) | instid1(VALU_DEP_1)
	v_add_f64 v[125:126], v[125:126], v[127:128]
	v_mov_b32_e32 v128, 0x108
	;; [unrolled: 8-line block ×27, first 2 shown]
	scratch_store_b64 v99, v[100:101], off
	scratch_load_b64 v[101:102], v98, off
	v_max_f64 v[99:100], v[62:63], v[62:63]
	v_min_f64 v[99:100], v[99:100], v[130:131]
	s_waitcnt vmcnt(0)
	s_delay_alu instid0(VALU_DEP_1)
	v_add_f64 v[99:100], v[99:100], v[101:102]
	v_mov_b32_e32 v102, 0x1d8
	v_mov_b32_e32 v101, 0x1e0
	scratch_store_b64 v98, v[99:100], off
	v_mov_b32_e32 v100, 0x1e8
	v_mov_b32_e32 v99, 0x1f0
	;; [unrolled: 1-line block ×3, first 2 shown]
	s_cbranch_vccnz .LBB138_47
; %bb.48:                               ;   in Loop: Header=BB138_32 Depth=1
	v_or_b32_e32 v2, 4, v97
	ds_store_2addr_stride64_b64 v88, v[78:79], v[76:77] offset1:4
	v_mov_b32_e32 v76, 0
	v_mov_b32_e32 v77, 0
	ds_store_2addr_stride64_b64 v90, v[82:83], v[80:81] offset1:4
	v_min_i32_e32 v0, s19, v2
	v_cmp_le_i32_e32 vcc_lo, s38, v2
	s_waitcnt lgkmcnt(0)
	s_waitcnt_vscnt null, 0x0
	v_dual_mov_b32 v79, v77 :: v_dual_mov_b32 v78, v76
	v_ashrrev_i32_e32 v1, 31, v0
	s_or_b32 s7, s2, vcc_lo
	s_barrier
	buffer_gl0_inv
	v_lshlrev_b64 v[0:1], 3, v[0:1]
	s_delay_alu instid0(VALU_DEP_1) | instskip(NEXT) | instid1(VALU_DEP_1)
	v_add_co_u32 v2, s6, s16, v0
	v_add_co_ci_u32_e64 v3, s6, s17, v1, s6
	s_or_b32 s6, s18, s7
	s_delay_alu instid0(SALU_CYCLE_1) | instskip(NEXT) | instid1(SALU_CYCLE_1)
	s_xor_b32 s6, s6, -1
	s_and_saveexec_b32 s7, s6
	s_delay_alu instid0(SALU_CYCLE_1)
	s_xor_b32 s7, exec_lo, s7
	s_cbranch_execz .LBB138_50
; %bb.49:                               ;   in Loop: Header=BB138_32 Depth=1
	v_add_co_u32 v4, s6, v2, v68
	s_delay_alu instid0(VALU_DEP_1)
	v_add_co_ci_u32_e64 v5, s6, v3, v69, s6
	flat_load_b64 v[4:5], v[4:5]
	s_waitcnt vmcnt(0) lgkmcnt(0)
	v_mul_f64 v[78:79], s[12:13], v[4:5]
.LBB138_50:                             ;   in Loop: Header=BB138_32 Depth=1
	s_or_b32 exec_lo, exec_lo, s7
	s_or_b32 s6, s3, vcc_lo
	s_delay_alu instid0(SALU_CYCLE_1) | instskip(NEXT) | instid1(SALU_CYCLE_1)
	s_or_b32 s6, s18, s6
	s_xor_b32 s6, s6, -1
	s_delay_alu instid0(SALU_CYCLE_1)
	s_and_saveexec_b32 s7, s6
	s_cbranch_execz .LBB138_52
; %bb.51:                               ;   in Loop: Header=BB138_32 Depth=1
	v_add_co_u32 v2, s6, v2, v70
	s_delay_alu instid0(VALU_DEP_1)
	v_add_co_ci_u32_e64 v3, s6, v3, v71, s6
	flat_load_b64 v[2:3], v[2:3]
	s_waitcnt vmcnt(0) lgkmcnt(0)
	v_mul_f64 v[76:77], s[12:13], v[2:3]
.LBB138_52:                             ;   in Loop: Header=BB138_32 Depth=1
	s_or_b32 exec_lo, exec_lo, s7
	v_mov_b32_e32 v80, 0
	v_mov_b32_e32 v81, 0
	v_add_co_u32 v0, s6, s10, v0
	s_delay_alu instid0(VALU_DEP_1) | instskip(SKIP_1) | instid1(VALU_DEP_3)
	v_add_co_ci_u32_e64 v1, s6, s11, v1, s6
	s_or_b32 s6, s4, vcc_lo
	v_dual_mov_b32 v83, v81 :: v_dual_mov_b32 v82, v80
	s_or_b32 s6, s18, s6
	s_delay_alu instid0(SALU_CYCLE_1) | instskip(NEXT) | instid1(SALU_CYCLE_1)
	s_xor_b32 s6, s6, -1
	s_and_saveexec_b32 s7, s6
	s_cbranch_execz .LBB138_54
; %bb.53:                               ;   in Loop: Header=BB138_32 Depth=1
	v_add_co_u32 v2, s6, v0, v72
	s_delay_alu instid0(VALU_DEP_1)
	v_add_co_ci_u32_e64 v3, s6, v1, v73, s6
	flat_load_b64 v[2:3], v[2:3]
	s_waitcnt vmcnt(0) lgkmcnt(0)
	v_mul_f64 v[82:83], s[12:13], v[2:3]
.LBB138_54:                             ;   in Loop: Header=BB138_32 Depth=1
	s_or_b32 exec_lo, exec_lo, s7
	s_or_b32 s6, s5, vcc_lo
	s_delay_alu instid0(SALU_CYCLE_1) | instskip(NEXT) | instid1(SALU_CYCLE_1)
	s_or_b32 s6, s18, s6
	s_xor_b32 s7, s6, -1
	s_delay_alu instid0(SALU_CYCLE_1)
	s_and_saveexec_b32 s6, s7
	s_cbranch_execz .LBB138_56
; %bb.55:                               ;   in Loop: Header=BB138_32 Depth=1
	v_add_co_u32 v0, vcc_lo, v0, v74
	v_add_co_ci_u32_e32 v1, vcc_lo, v1, v75, vcc_lo
	flat_load_b64 v[0:1], v[0:1]
	s_waitcnt vmcnt(0) lgkmcnt(0)
	v_mul_f64 v[80:81], s[12:13], v[0:1]
.LBB138_56:                             ;   in Loop: Header=BB138_32 Depth=1
	s_or_b32 exec_lo, exec_lo, s6
	v_dual_mov_b32 v128, 8 :: v_dual_add_nc_u32 v97, 0x800, v87
	ds_load_2addr_b64 v[0:3], v87 offset1:16
	ds_load_2addr_b64 v[4:7], v87 offset0:32 offset1:48
	ds_load_2addr_b64 v[8:11], v87 offset0:64 offset1:80
	;; [unrolled: 1-line block ×7, first 2 shown]
	ds_load_2addr_b64 v[32:35], v97 offset1:16
	ds_load_2addr_b64 v[36:39], v97 offset0:32 offset1:48
	ds_load_2addr_b64 v[40:43], v97 offset0:64 offset1:80
	;; [unrolled: 1-line block ×7, first 2 shown]
	ds_load_2addr_stride64_b64 v[64:67], v91 offset1:4
	v_dual_mov_b32 v129, 0 :: v_dual_mov_b32 v126, 24
	v_dual_mov_b32 v127, 16 :: v_dual_mov_b32 v124, 40
	v_dual_mov_b32 v125, 32 :: v_dual_mov_b32 v122, 56
	v_dual_mov_b32 v123, 48 :: v_dual_mov_b32 v120, 0x48
	v_dual_mov_b32 v121, 64 :: v_dual_mov_b32 v118, 0x58
	v_mov_b32_e32 v119, 0x50
	v_mov_b32_e32 v117, 0x60
	;; [unrolled: 1-line block ×21, first 2 shown]
	s_mov_b64 s[6:7], 0
	s_mov_b32 s23, -1
.LBB138_57:                             ;   Parent Loop BB138_32 Depth=1
                                        ; =>  This Inner Loop Header: Depth=2
	scratch_load_b64 v[134:135], v129, off
	s_cmp_eq_u32 s6, 1
	s_waitcnt lgkmcnt(16)
	v_max_f64 v[132:133], v[0:1], v[0:1]
	s_cselect_b32 vcc_lo, -1, 0
	s_mov_b64 s[6:7], 1
	s_waitcnt lgkmcnt(0)
	v_dual_cndmask_b32 v131, v65, v67 :: v_dual_cndmask_b32 v130, v64, v66
	s_and_b32 vcc_lo, exec_lo, s23
	s_mov_b32 s23, 0
	s_delay_alu instid0(VALU_DEP_1) | instskip(NEXT) | instid1(VALU_DEP_1)
	v_max_f64 v[130:131], v[130:131], v[130:131]
	v_min_f64 v[132:133], v[132:133], v[130:131]
	s_waitcnt vmcnt(0)
	s_delay_alu instid0(VALU_DEP_1) | instskip(SKIP_3) | instid1(VALU_DEP_1)
	v_add_f64 v[132:133], v[134:135], v[132:133]
	scratch_load_b64 v[134:135], v128, off
	scratch_store_b64 v129, v[132:133], off
	v_max_f64 v[132:133], v[2:3], v[2:3]
	v_min_f64 v[132:133], v[132:133], v[130:131]
	s_waitcnt vmcnt(0)
	s_delay_alu instid0(VALU_DEP_1) | instskip(SKIP_3) | instid1(VALU_DEP_1)
	v_add_f64 v[132:133], v[132:133], v[134:135]
	scratch_store_b64 v128, v[132:133], off
	scratch_load_b64 v[132:133], v127, off
	v_max_f64 v[128:129], v[4:5], v[4:5]
	v_min_f64 v[128:129], v[128:129], v[130:131]
	s_waitcnt vmcnt(0)
	s_delay_alu instid0(VALU_DEP_1) | instskip(SKIP_3) | instid1(VALU_DEP_1)
	v_add_f64 v[128:129], v[128:129], v[132:133]
	scratch_load_b64 v[132:133], v126, off
	scratch_store_b64 v127, v[128:129], off
	v_max_f64 v[127:128], v[6:7], v[6:7]
	v_min_f64 v[127:128], v[127:128], v[130:131]
	s_waitcnt vmcnt(0)
	s_delay_alu instid0(VALU_DEP_1) | instskip(SKIP_3) | instid1(VALU_DEP_1)
	v_add_f64 v[127:128], v[127:128], v[132:133]
	scratch_store_b64 v126, v[127:128], off
	scratch_load_b64 v[128:129], v125, off
	v_max_f64 v[126:127], v[8:9], v[8:9]
	v_min_f64 v[126:127], v[126:127], v[130:131]
	s_waitcnt vmcnt(0)
	s_delay_alu instid0(VALU_DEP_1) | instskip(SKIP_4) | instid1(VALU_DEP_1)
	v_add_f64 v[126:127], v[126:127], v[128:129]
	v_mov_b32_e32 v129, 0x100
	scratch_store_b64 v125, v[126:127], off
	scratch_load_b64 v[127:128], v124, off
	v_max_f64 v[125:126], v[10:11], v[10:11]
	v_min_f64 v[125:126], v[125:126], v[130:131]
	s_waitcnt vmcnt(0)
	s_delay_alu instid0(VALU_DEP_1) | instskip(SKIP_4) | instid1(VALU_DEP_1)
	v_add_f64 v[125:126], v[125:126], v[127:128]
	v_mov_b32_e32 v128, 0x108
	;; [unrolled: 8-line block ×27, first 2 shown]
	scratch_store_b64 v99, v[100:101], off
	scratch_load_b64 v[101:102], v98, off
	v_max_f64 v[99:100], v[62:63], v[62:63]
	v_min_f64 v[99:100], v[99:100], v[130:131]
	s_waitcnt vmcnt(0)
	s_delay_alu instid0(VALU_DEP_1)
	v_add_f64 v[99:100], v[99:100], v[101:102]
	v_mov_b32_e32 v102, 0x1d8
	v_mov_b32_e32 v101, 0x1e0
	scratch_store_b64 v98, v[99:100], off
	v_mov_b32_e32 v100, 0x1e8
	v_mov_b32_e32 v99, 0x1f0
	;; [unrolled: 1-line block ×3, first 2 shown]
	s_cbranch_vccnz .LBB138_57
; %bb.58:                               ;   in Loop: Header=BB138_32 Depth=1
	ds_load_2addr_b64 v[0:3], v87 offset0:1 offset1:17
	ds_load_2addr_b64 v[4:7], v87 offset0:33 offset1:49
	;; [unrolled: 1-line block ×12, first 2 shown]
	v_dual_mov_b32 v129, 0 :: v_dual_add_nc_u32 v64, 8, v91
	ds_load_2addr_b64 v[48:51], v97 offset0:129 offset1:145
	ds_load_2addr_b64 v[52:55], v97 offset0:161 offset1:177
	;; [unrolled: 1-line block ×4, first 2 shown]
	ds_load_2addr_stride64_b64 v[64:67], v64 offset1:4
	v_dual_mov_b32 v128, 8 :: v_dual_mov_b32 v127, 16
	v_dual_mov_b32 v126, 24 :: v_dual_mov_b32 v125, 32
	;; [unrolled: 1-line block ×4, first 2 shown]
	v_mov_b32_e32 v120, 0x48
	v_mov_b32_e32 v119, 0x50
	;; [unrolled: 1-line block ×23, first 2 shown]
	s_mov_b64 s[6:7], 0
	s_mov_b32 s23, -1
.LBB138_59:                             ;   Parent Loop BB138_32 Depth=1
                                        ; =>  This Inner Loop Header: Depth=2
	scratch_load_b64 v[134:135], v129, off
	s_cmp_eq_u32 s6, 1
	s_waitcnt lgkmcnt(16)
	v_max_f64 v[132:133], v[0:1], v[0:1]
	s_cselect_b32 vcc_lo, -1, 0
	s_mov_b64 s[6:7], 1
	s_waitcnt lgkmcnt(0)
	v_dual_cndmask_b32 v131, v65, v67 :: v_dual_cndmask_b32 v130, v64, v66
	s_and_b32 vcc_lo, exec_lo, s23
	s_mov_b32 s23, 0
	s_delay_alu instid0(VALU_DEP_1) | instskip(NEXT) | instid1(VALU_DEP_1)
	v_max_f64 v[130:131], v[130:131], v[130:131]
	v_min_f64 v[132:133], v[132:133], v[130:131]
	s_waitcnt vmcnt(0)
	s_delay_alu instid0(VALU_DEP_1) | instskip(SKIP_3) | instid1(VALU_DEP_1)
	v_add_f64 v[132:133], v[134:135], v[132:133]
	scratch_load_b64 v[134:135], v128, off
	scratch_store_b64 v129, v[132:133], off
	v_max_f64 v[132:133], v[2:3], v[2:3]
	v_min_f64 v[132:133], v[132:133], v[130:131]
	s_waitcnt vmcnt(0)
	s_delay_alu instid0(VALU_DEP_1) | instskip(SKIP_3) | instid1(VALU_DEP_1)
	v_add_f64 v[132:133], v[132:133], v[134:135]
	scratch_store_b64 v128, v[132:133], off
	scratch_load_b64 v[132:133], v127, off
	v_max_f64 v[128:129], v[4:5], v[4:5]
	v_min_f64 v[128:129], v[128:129], v[130:131]
	s_waitcnt vmcnt(0)
	s_delay_alu instid0(VALU_DEP_1) | instskip(SKIP_3) | instid1(VALU_DEP_1)
	v_add_f64 v[128:129], v[128:129], v[132:133]
	scratch_load_b64 v[132:133], v126, off
	scratch_store_b64 v127, v[128:129], off
	v_max_f64 v[127:128], v[6:7], v[6:7]
	v_min_f64 v[127:128], v[127:128], v[130:131]
	s_waitcnt vmcnt(0)
	s_delay_alu instid0(VALU_DEP_1) | instskip(SKIP_3) | instid1(VALU_DEP_1)
	v_add_f64 v[127:128], v[127:128], v[132:133]
	scratch_store_b64 v126, v[127:128], off
	scratch_load_b64 v[128:129], v125, off
	v_max_f64 v[126:127], v[8:9], v[8:9]
	v_min_f64 v[126:127], v[126:127], v[130:131]
	s_waitcnt vmcnt(0)
	s_delay_alu instid0(VALU_DEP_1) | instskip(SKIP_4) | instid1(VALU_DEP_1)
	v_add_f64 v[126:127], v[126:127], v[128:129]
	v_mov_b32_e32 v129, 0x100
	scratch_store_b64 v125, v[126:127], off
	scratch_load_b64 v[127:128], v124, off
	v_max_f64 v[125:126], v[10:11], v[10:11]
	v_min_f64 v[125:126], v[125:126], v[130:131]
	s_waitcnt vmcnt(0)
	s_delay_alu instid0(VALU_DEP_1) | instskip(SKIP_4) | instid1(VALU_DEP_1)
	v_add_f64 v[125:126], v[125:126], v[127:128]
	v_mov_b32_e32 v128, 0x108
	scratch_store_b64 v124, v[125:126], off
	scratch_load_b64 v[126:127], v123, off
	v_max_f64 v[124:125], v[12:13], v[12:13]
	v_min_f64 v[124:125], v[124:125], v[130:131]
	s_waitcnt vmcnt(0)
	s_delay_alu instid0(VALU_DEP_1) | instskip(SKIP_4) | instid1(VALU_DEP_1)
	v_add_f64 v[124:125], v[124:125], v[126:127]
	v_mov_b32_e32 v127, 0x110
	scratch_store_b64 v123, v[124:125], off
	scratch_load_b64 v[125:126], v122, off
	v_max_f64 v[123:124], v[14:15], v[14:15]
	v_min_f64 v[123:124], v[123:124], v[130:131]
	s_waitcnt vmcnt(0)
	s_delay_alu instid0(VALU_DEP_1) | instskip(SKIP_4) | instid1(VALU_DEP_1)
	v_add_f64 v[123:124], v[123:124], v[125:126]
	v_mov_b32_e32 v126, 0x118
	scratch_store_b64 v122, v[123:124], off
	scratch_load_b64 v[124:125], v121, off
	v_max_f64 v[122:123], v[16:17], v[16:17]
	v_min_f64 v[122:123], v[122:123], v[130:131]
	s_waitcnt vmcnt(0)
	s_delay_alu instid0(VALU_DEP_1) | instskip(SKIP_4) | instid1(VALU_DEP_1)
	v_add_f64 v[122:123], v[122:123], v[124:125]
	v_mov_b32_e32 v125, 0x120
	scratch_store_b64 v121, v[122:123], off
	scratch_load_b64 v[123:124], v120, off
	v_max_f64 v[121:122], v[18:19], v[18:19]
	v_min_f64 v[121:122], v[121:122], v[130:131]
	s_waitcnt vmcnt(0)
	s_delay_alu instid0(VALU_DEP_1) | instskip(SKIP_4) | instid1(VALU_DEP_1)
	v_add_f64 v[121:122], v[121:122], v[123:124]
	v_mov_b32_e32 v124, 0x128
	scratch_store_b64 v120, v[121:122], off
	scratch_load_b64 v[122:123], v119, off
	v_max_f64 v[120:121], v[20:21], v[20:21]
	v_min_f64 v[120:121], v[120:121], v[130:131]
	s_waitcnt vmcnt(0)
	s_delay_alu instid0(VALU_DEP_1) | instskip(SKIP_4) | instid1(VALU_DEP_1)
	v_add_f64 v[120:121], v[120:121], v[122:123]
	v_mov_b32_e32 v123, 0x130
	scratch_store_b64 v119, v[120:121], off
	scratch_load_b64 v[121:122], v118, off
	v_max_f64 v[119:120], v[22:23], v[22:23]
	v_min_f64 v[119:120], v[119:120], v[130:131]
	s_waitcnt vmcnt(0)
	s_delay_alu instid0(VALU_DEP_1) | instskip(SKIP_4) | instid1(VALU_DEP_1)
	v_add_f64 v[119:120], v[119:120], v[121:122]
	v_mov_b32_e32 v122, 0x138
	scratch_store_b64 v118, v[119:120], off
	scratch_load_b64 v[120:121], v117, off
	v_max_f64 v[118:119], v[24:25], v[24:25]
	v_min_f64 v[118:119], v[118:119], v[130:131]
	s_waitcnt vmcnt(0)
	s_delay_alu instid0(VALU_DEP_1) | instskip(SKIP_4) | instid1(VALU_DEP_1)
	v_add_f64 v[118:119], v[118:119], v[120:121]
	v_mov_b32_e32 v121, 0x140
	scratch_store_b64 v117, v[118:119], off
	scratch_load_b64 v[119:120], v116, off
	v_max_f64 v[117:118], v[26:27], v[26:27]
	v_min_f64 v[117:118], v[117:118], v[130:131]
	s_waitcnt vmcnt(0)
	s_delay_alu instid0(VALU_DEP_1) | instskip(SKIP_4) | instid1(VALU_DEP_1)
	v_add_f64 v[117:118], v[117:118], v[119:120]
	v_mov_b32_e32 v120, 0x148
	scratch_store_b64 v116, v[117:118], off
	scratch_load_b64 v[118:119], v115, off
	v_max_f64 v[116:117], v[28:29], v[28:29]
	v_min_f64 v[116:117], v[116:117], v[130:131]
	s_waitcnt vmcnt(0)
	s_delay_alu instid0(VALU_DEP_1) | instskip(SKIP_4) | instid1(VALU_DEP_1)
	v_add_f64 v[116:117], v[116:117], v[118:119]
	v_mov_b32_e32 v119, 0x150
	scratch_store_b64 v115, v[116:117], off
	scratch_load_b64 v[117:118], v114, off
	v_max_f64 v[115:116], v[30:31], v[30:31]
	v_min_f64 v[115:116], v[115:116], v[130:131]
	s_waitcnt vmcnt(0)
	s_delay_alu instid0(VALU_DEP_1) | instskip(SKIP_4) | instid1(VALU_DEP_1)
	v_add_f64 v[115:116], v[115:116], v[117:118]
	v_mov_b32_e32 v118, 0x158
	scratch_store_b64 v114, v[115:116], off
	scratch_load_b64 v[116:117], v113, off
	v_max_f64 v[114:115], v[32:33], v[32:33]
	v_min_f64 v[114:115], v[114:115], v[130:131]
	s_waitcnt vmcnt(0)
	s_delay_alu instid0(VALU_DEP_1) | instskip(SKIP_4) | instid1(VALU_DEP_1)
	v_add_f64 v[114:115], v[114:115], v[116:117]
	v_mov_b32_e32 v117, 0x160
	scratch_store_b64 v113, v[114:115], off
	scratch_load_b64 v[115:116], v112, off
	v_max_f64 v[113:114], v[34:35], v[34:35]
	v_min_f64 v[113:114], v[113:114], v[130:131]
	s_waitcnt vmcnt(0)
	s_delay_alu instid0(VALU_DEP_1) | instskip(SKIP_4) | instid1(VALU_DEP_1)
	v_add_f64 v[113:114], v[113:114], v[115:116]
	v_mov_b32_e32 v116, 0x168
	scratch_store_b64 v112, v[113:114], off
	scratch_load_b64 v[114:115], v111, off
	v_max_f64 v[112:113], v[36:37], v[36:37]
	v_min_f64 v[112:113], v[112:113], v[130:131]
	s_waitcnt vmcnt(0)
	s_delay_alu instid0(VALU_DEP_1) | instskip(SKIP_4) | instid1(VALU_DEP_1)
	v_add_f64 v[112:113], v[112:113], v[114:115]
	v_mov_b32_e32 v115, 0x170
	scratch_store_b64 v111, v[112:113], off
	scratch_load_b64 v[113:114], v110, off
	v_max_f64 v[111:112], v[38:39], v[38:39]
	v_min_f64 v[111:112], v[111:112], v[130:131]
	s_waitcnt vmcnt(0)
	s_delay_alu instid0(VALU_DEP_1) | instskip(SKIP_4) | instid1(VALU_DEP_1)
	v_add_f64 v[111:112], v[111:112], v[113:114]
	v_mov_b32_e32 v114, 0x178
	scratch_store_b64 v110, v[111:112], off
	scratch_load_b64 v[112:113], v109, off
	v_max_f64 v[110:111], v[40:41], v[40:41]
	v_min_f64 v[110:111], v[110:111], v[130:131]
	s_waitcnt vmcnt(0)
	s_delay_alu instid0(VALU_DEP_1) | instskip(SKIP_4) | instid1(VALU_DEP_1)
	v_add_f64 v[110:111], v[110:111], v[112:113]
	v_mov_b32_e32 v113, 0x180
	scratch_store_b64 v109, v[110:111], off
	scratch_load_b64 v[111:112], v108, off
	v_max_f64 v[109:110], v[42:43], v[42:43]
	v_min_f64 v[109:110], v[109:110], v[130:131]
	s_waitcnt vmcnt(0)
	s_delay_alu instid0(VALU_DEP_1) | instskip(SKIP_4) | instid1(VALU_DEP_1)
	v_add_f64 v[109:110], v[109:110], v[111:112]
	v_mov_b32_e32 v112, 0x188
	scratch_store_b64 v108, v[109:110], off
	scratch_load_b64 v[110:111], v107, off
	v_max_f64 v[108:109], v[44:45], v[44:45]
	v_min_f64 v[108:109], v[108:109], v[130:131]
	s_waitcnt vmcnt(0)
	s_delay_alu instid0(VALU_DEP_1) | instskip(SKIP_4) | instid1(VALU_DEP_1)
	v_add_f64 v[108:109], v[108:109], v[110:111]
	v_mov_b32_e32 v111, 0x190
	scratch_store_b64 v107, v[108:109], off
	scratch_load_b64 v[109:110], v106, off
	v_max_f64 v[107:108], v[46:47], v[46:47]
	v_min_f64 v[107:108], v[107:108], v[130:131]
	s_waitcnt vmcnt(0)
	s_delay_alu instid0(VALU_DEP_1) | instskip(SKIP_4) | instid1(VALU_DEP_1)
	v_add_f64 v[107:108], v[107:108], v[109:110]
	v_mov_b32_e32 v110, 0x198
	scratch_store_b64 v106, v[107:108], off
	scratch_load_b64 v[108:109], v105, off
	v_max_f64 v[106:107], v[48:49], v[48:49]
	v_min_f64 v[106:107], v[106:107], v[130:131]
	s_waitcnt vmcnt(0)
	s_delay_alu instid0(VALU_DEP_1) | instskip(SKIP_4) | instid1(VALU_DEP_1)
	v_add_f64 v[106:107], v[106:107], v[108:109]
	v_mov_b32_e32 v109, 0x1a0
	scratch_store_b64 v105, v[106:107], off
	scratch_load_b64 v[107:108], v104, off
	v_max_f64 v[105:106], v[50:51], v[50:51]
	v_min_f64 v[105:106], v[105:106], v[130:131]
	s_waitcnt vmcnt(0)
	s_delay_alu instid0(VALU_DEP_1) | instskip(SKIP_4) | instid1(VALU_DEP_1)
	v_add_f64 v[105:106], v[105:106], v[107:108]
	v_mov_b32_e32 v108, 0x1a8
	scratch_store_b64 v104, v[105:106], off
	scratch_load_b64 v[106:107], v103, off
	v_max_f64 v[104:105], v[52:53], v[52:53]
	v_min_f64 v[104:105], v[104:105], v[130:131]
	s_waitcnt vmcnt(0)
	s_delay_alu instid0(VALU_DEP_1) | instskip(SKIP_4) | instid1(VALU_DEP_1)
	v_add_f64 v[104:105], v[104:105], v[106:107]
	v_mov_b32_e32 v107, 0x1b0
	scratch_store_b64 v103, v[104:105], off
	scratch_load_b64 v[105:106], v102, off
	v_max_f64 v[103:104], v[54:55], v[54:55]
	v_min_f64 v[103:104], v[103:104], v[130:131]
	s_waitcnt vmcnt(0)
	s_delay_alu instid0(VALU_DEP_1) | instskip(SKIP_4) | instid1(VALU_DEP_1)
	v_add_f64 v[103:104], v[103:104], v[105:106]
	v_mov_b32_e32 v106, 0x1b8
	scratch_store_b64 v102, v[103:104], off
	scratch_load_b64 v[104:105], v101, off
	v_max_f64 v[102:103], v[56:57], v[56:57]
	v_min_f64 v[102:103], v[102:103], v[130:131]
	s_waitcnt vmcnt(0)
	s_delay_alu instid0(VALU_DEP_1) | instskip(SKIP_4) | instid1(VALU_DEP_1)
	v_add_f64 v[102:103], v[102:103], v[104:105]
	v_mov_b32_e32 v105, 0x1c0
	scratch_store_b64 v101, v[102:103], off
	scratch_load_b64 v[103:104], v100, off
	v_max_f64 v[101:102], v[58:59], v[58:59]
	v_min_f64 v[101:102], v[101:102], v[130:131]
	s_waitcnt vmcnt(0)
	s_delay_alu instid0(VALU_DEP_1) | instskip(SKIP_4) | instid1(VALU_DEP_1)
	v_add_f64 v[101:102], v[101:102], v[103:104]
	v_mov_b32_e32 v104, 0x1c8
	scratch_store_b64 v100, v[101:102], off
	scratch_load_b64 v[102:103], v99, off
	v_max_f64 v[100:101], v[60:61], v[60:61]
	v_min_f64 v[100:101], v[100:101], v[130:131]
	s_waitcnt vmcnt(0)
	s_delay_alu instid0(VALU_DEP_1) | instskip(SKIP_4) | instid1(VALU_DEP_1)
	v_add_f64 v[100:101], v[100:101], v[102:103]
	v_mov_b32_e32 v103, 0x1d0
	scratch_store_b64 v99, v[100:101], off
	scratch_load_b64 v[101:102], v98, off
	v_max_f64 v[99:100], v[62:63], v[62:63]
	v_min_f64 v[99:100], v[99:100], v[130:131]
	s_waitcnt vmcnt(0)
	s_delay_alu instid0(VALU_DEP_1)
	v_add_f64 v[99:100], v[99:100], v[101:102]
	v_mov_b32_e32 v102, 0x1d8
	v_mov_b32_e32 v101, 0x1e0
	scratch_store_b64 v98, v[99:100], off
	v_mov_b32_e32 v100, 0x1e8
	v_mov_b32_e32 v99, 0x1f0
	;; [unrolled: 1-line block ×3, first 2 shown]
	s_cbranch_vccnz .LBB138_59
; %bb.60:                               ;   in Loop: Header=BB138_32 Depth=1
	ds_load_2addr_b64 v[0:3], v87 offset0:2 offset1:18
	ds_load_2addr_b64 v[4:7], v87 offset0:34 offset1:50
	ds_load_2addr_b64 v[8:11], v87 offset0:66 offset1:82
	ds_load_2addr_b64 v[12:15], v87 offset0:98 offset1:114
	ds_load_2addr_b64 v[16:19], v87 offset0:130 offset1:146
	ds_load_2addr_b64 v[20:23], v87 offset0:162 offset1:178
	ds_load_2addr_b64 v[24:27], v87 offset0:194 offset1:210
	ds_load_2addr_b64 v[28:31], v87 offset0:226 offset1:242
	ds_load_2addr_b64 v[32:35], v97 offset0:2 offset1:18
	ds_load_2addr_b64 v[36:39], v97 offset0:34 offset1:50
	ds_load_2addr_b64 v[40:43], v97 offset0:66 offset1:82
	ds_load_2addr_b64 v[44:47], v97 offset0:98 offset1:114
	v_dual_mov_b32 v129, 0 :: v_dual_add_nc_u32 v64, 16, v91
	ds_load_2addr_b64 v[48:51], v97 offset0:130 offset1:146
	ds_load_2addr_b64 v[52:55], v97 offset0:162 offset1:178
	ds_load_2addr_b64 v[56:59], v97 offset0:194 offset1:210
	ds_load_2addr_b64 v[60:63], v97 offset0:226 offset1:242
	ds_load_2addr_stride64_b64 v[64:67], v64 offset1:4
	v_dual_mov_b32 v128, 8 :: v_dual_mov_b32 v127, 16
	v_dual_mov_b32 v126, 24 :: v_dual_mov_b32 v125, 32
	;; [unrolled: 1-line block ×4, first 2 shown]
	v_mov_b32_e32 v120, 0x48
	v_mov_b32_e32 v119, 0x50
	;; [unrolled: 1-line block ×23, first 2 shown]
	s_mov_b64 s[6:7], 0
	s_mov_b32 s23, -1
.LBB138_61:                             ;   Parent Loop BB138_32 Depth=1
                                        ; =>  This Inner Loop Header: Depth=2
	scratch_load_b64 v[134:135], v129, off
	s_cmp_eq_u32 s6, 1
	s_waitcnt lgkmcnt(16)
	v_max_f64 v[132:133], v[0:1], v[0:1]
	s_cselect_b32 vcc_lo, -1, 0
	s_mov_b64 s[6:7], 1
	s_waitcnt lgkmcnt(0)
	v_dual_cndmask_b32 v131, v65, v67 :: v_dual_cndmask_b32 v130, v64, v66
	s_and_b32 vcc_lo, exec_lo, s23
	s_mov_b32 s23, 0
	s_delay_alu instid0(VALU_DEP_1) | instskip(NEXT) | instid1(VALU_DEP_1)
	v_max_f64 v[130:131], v[130:131], v[130:131]
	v_min_f64 v[132:133], v[132:133], v[130:131]
	s_waitcnt vmcnt(0)
	s_delay_alu instid0(VALU_DEP_1) | instskip(SKIP_3) | instid1(VALU_DEP_1)
	v_add_f64 v[132:133], v[134:135], v[132:133]
	scratch_load_b64 v[134:135], v128, off
	scratch_store_b64 v129, v[132:133], off
	v_max_f64 v[132:133], v[2:3], v[2:3]
	v_min_f64 v[132:133], v[132:133], v[130:131]
	s_waitcnt vmcnt(0)
	s_delay_alu instid0(VALU_DEP_1) | instskip(SKIP_3) | instid1(VALU_DEP_1)
	v_add_f64 v[132:133], v[132:133], v[134:135]
	scratch_store_b64 v128, v[132:133], off
	scratch_load_b64 v[132:133], v127, off
	v_max_f64 v[128:129], v[4:5], v[4:5]
	v_min_f64 v[128:129], v[128:129], v[130:131]
	s_waitcnt vmcnt(0)
	s_delay_alu instid0(VALU_DEP_1) | instskip(SKIP_3) | instid1(VALU_DEP_1)
	v_add_f64 v[128:129], v[128:129], v[132:133]
	scratch_load_b64 v[132:133], v126, off
	scratch_store_b64 v127, v[128:129], off
	v_max_f64 v[127:128], v[6:7], v[6:7]
	v_min_f64 v[127:128], v[127:128], v[130:131]
	s_waitcnt vmcnt(0)
	s_delay_alu instid0(VALU_DEP_1) | instskip(SKIP_3) | instid1(VALU_DEP_1)
	v_add_f64 v[127:128], v[127:128], v[132:133]
	scratch_store_b64 v126, v[127:128], off
	scratch_load_b64 v[128:129], v125, off
	v_max_f64 v[126:127], v[8:9], v[8:9]
	v_min_f64 v[126:127], v[126:127], v[130:131]
	s_waitcnt vmcnt(0)
	s_delay_alu instid0(VALU_DEP_1) | instskip(SKIP_4) | instid1(VALU_DEP_1)
	v_add_f64 v[126:127], v[126:127], v[128:129]
	v_mov_b32_e32 v129, 0x100
	scratch_store_b64 v125, v[126:127], off
	scratch_load_b64 v[127:128], v124, off
	v_max_f64 v[125:126], v[10:11], v[10:11]
	v_min_f64 v[125:126], v[125:126], v[130:131]
	s_waitcnt vmcnt(0)
	s_delay_alu instid0(VALU_DEP_1) | instskip(SKIP_4) | instid1(VALU_DEP_1)
	v_add_f64 v[125:126], v[125:126], v[127:128]
	v_mov_b32_e32 v128, 0x108
	;; [unrolled: 8-line block ×27, first 2 shown]
	scratch_store_b64 v99, v[100:101], off
	scratch_load_b64 v[101:102], v98, off
	v_max_f64 v[99:100], v[62:63], v[62:63]
	v_min_f64 v[99:100], v[99:100], v[130:131]
	s_waitcnt vmcnt(0)
	s_delay_alu instid0(VALU_DEP_1)
	v_add_f64 v[99:100], v[99:100], v[101:102]
	v_mov_b32_e32 v102, 0x1d8
	v_mov_b32_e32 v101, 0x1e0
	scratch_store_b64 v98, v[99:100], off
	v_mov_b32_e32 v100, 0x1e8
	v_mov_b32_e32 v99, 0x1f0
	;; [unrolled: 1-line block ×3, first 2 shown]
	s_cbranch_vccnz .LBB138_61
; %bb.62:                               ;   in Loop: Header=BB138_32 Depth=1
	ds_load_2addr_b64 v[0:3], v87 offset0:3 offset1:19
	ds_load_2addr_b64 v[4:7], v87 offset0:35 offset1:51
	;; [unrolled: 1-line block ×12, first 2 shown]
	v_dual_mov_b32 v127, 8 :: v_dual_add_nc_u32 v64, 24, v91
	ds_load_2addr_b64 v[48:51], v97 offset0:131 offset1:147
	ds_load_2addr_b64 v[52:55], v97 offset0:163 offset1:179
	;; [unrolled: 1-line block ×4, first 2 shown]
	ds_load_2addr_stride64_b64 v[64:67], v64 offset1:4
	v_dual_mov_b32 v128, 0 :: v_dual_mov_b32 v125, 24
	v_dual_mov_b32 v126, 16 :: v_dual_mov_b32 v123, 40
	;; [unrolled: 1-line block ×5, first 2 shown]
	v_mov_b32_e32 v118, 0x50
	v_mov_b32_e32 v116, 0x60
	;; [unrolled: 1-line block ×21, first 2 shown]
	s_mov_b64 s[6:7], 0
	s_mov_b32 s23, -1
.LBB138_63:                             ;   Parent Loop BB138_32 Depth=1
                                        ; =>  This Inner Loop Header: Depth=2
	scratch_load_b64 v[133:134], v128, off
	s_cmp_eq_u32 s6, 1
	s_waitcnt lgkmcnt(16)
	v_max_f64 v[131:132], v[0:1], v[0:1]
	s_cselect_b32 vcc_lo, -1, 0
	s_mov_b64 s[6:7], 1
	s_waitcnt lgkmcnt(0)
	v_dual_cndmask_b32 v130, v65, v67 :: v_dual_cndmask_b32 v129, v64, v66
	s_and_b32 vcc_lo, exec_lo, s23
	s_mov_b32 s23, 0
	s_delay_alu instid0(VALU_DEP_1) | instskip(NEXT) | instid1(VALU_DEP_1)
	v_max_f64 v[129:130], v[129:130], v[129:130]
	v_min_f64 v[131:132], v[131:132], v[129:130]
	s_waitcnt vmcnt(0)
	s_delay_alu instid0(VALU_DEP_1) | instskip(SKIP_3) | instid1(VALU_DEP_1)
	v_add_f64 v[131:132], v[133:134], v[131:132]
	scratch_load_b64 v[133:134], v127, off
	scratch_store_b64 v128, v[131:132], off
	v_max_f64 v[131:132], v[2:3], v[2:3]
	v_min_f64 v[131:132], v[131:132], v[129:130]
	s_waitcnt vmcnt(0)
	s_delay_alu instid0(VALU_DEP_1) | instskip(SKIP_3) | instid1(VALU_DEP_1)
	v_add_f64 v[131:132], v[131:132], v[133:134]
	scratch_store_b64 v127, v[131:132], off
	scratch_load_b64 v[131:132], v126, off
	v_max_f64 v[127:128], v[4:5], v[4:5]
	v_min_f64 v[127:128], v[127:128], v[129:130]
	s_waitcnt vmcnt(0)
	s_delay_alu instid0(VALU_DEP_1) | instskip(SKIP_3) | instid1(VALU_DEP_1)
	v_add_f64 v[127:128], v[127:128], v[131:132]
	scratch_load_b64 v[131:132], v125, off
	scratch_store_b64 v126, v[127:128], off
	v_max_f64 v[126:127], v[6:7], v[6:7]
	v_min_f64 v[126:127], v[126:127], v[129:130]
	s_waitcnt vmcnt(0)
	s_delay_alu instid0(VALU_DEP_1) | instskip(SKIP_3) | instid1(VALU_DEP_1)
	v_add_f64 v[126:127], v[126:127], v[131:132]
	scratch_store_b64 v125, v[126:127], off
	scratch_load_b64 v[127:128], v124, off
	v_max_f64 v[125:126], v[8:9], v[8:9]
	v_min_f64 v[125:126], v[125:126], v[129:130]
	s_waitcnt vmcnt(0)
	s_delay_alu instid0(VALU_DEP_1) | instskip(SKIP_4) | instid1(VALU_DEP_1)
	v_add_f64 v[125:126], v[125:126], v[127:128]
	v_mov_b32_e32 v128, 0x100
	scratch_store_b64 v124, v[125:126], off
	scratch_load_b64 v[126:127], v123, off
	v_max_f64 v[124:125], v[10:11], v[10:11]
	v_min_f64 v[124:125], v[124:125], v[129:130]
	s_waitcnt vmcnt(0)
	s_delay_alu instid0(VALU_DEP_1) | instskip(SKIP_4) | instid1(VALU_DEP_1)
	v_add_f64 v[124:125], v[124:125], v[126:127]
	v_mov_b32_e32 v127, 0x108
	;; [unrolled: 8-line block ×27, first 2 shown]
	scratch_store_b64 v98, v[99:100], off
	scratch_load_b64 v[100:101], v97, off
	v_max_f64 v[98:99], v[62:63], v[62:63]
	v_min_f64 v[98:99], v[98:99], v[129:130]
	s_waitcnt vmcnt(0)
	s_delay_alu instid0(VALU_DEP_1)
	v_add_f64 v[98:99], v[98:99], v[100:101]
	v_mov_b32_e32 v101, 0x1d8
	v_mov_b32_e32 v100, 0x1e0
	scratch_store_b64 v97, v[98:99], off
	v_mov_b32_e32 v99, 0x1e8
	v_mov_b32_e32 v98, 0x1f0
	;; [unrolled: 1-line block ×3, first 2 shown]
	s_cbranch_vccnz .LBB138_63
; %bb.64:                               ;   in Loop: Header=BB138_32 Depth=1
	s_add_i32 s22, s22, 8
	s_add_i32 s20, s20, 8
	s_cmp_ge_i32 s22, s21
	ds_store_2addr_stride64_b64 v92, v[78:79], v[76:77] offset1:4
	ds_store_2addr_stride64_b64 v93, v[82:83], v[80:81] offset1:4
	s_waitcnt lgkmcnt(0)
	s_waitcnt_vscnt null, 0x0
	s_barrier
	buffer_gl0_inv
	s_cbranch_scc0 .LBB138_32
.LBB138_65:
	v_dual_mov_b32 v71, 8 :: v_dual_add_nc_u32 v28, 0x1000, v87
	v_dual_mov_b32 v75, 40 :: v_dual_add_nc_u32 v60, 0x1800, v87
	;; [unrolled: 1-line block ×3, first 2 shown]
	ds_load_2addr_b64 v[0:3], v28 offset1:16
	ds_load_2addr_b64 v[4:7], v28 offset0:32 offset1:48
	ds_load_2addr_b64 v[8:11], v28 offset0:64 offset1:80
	;; [unrolled: 1-line block ×7, first 2 shown]
	ds_load_2addr_b64 v[32:35], v60 offset1:16
	ds_load_2addr_b64 v[36:39], v60 offset0:32 offset1:48
	ds_load_2addr_b64 v[40:43], v60 offset0:64 offset1:80
	;; [unrolled: 1-line block ×7, first 2 shown]
	ds_load_2addr_stride64_b64 v[64:67], v89 offset0:24 offset1:28
	v_dual_mov_b32 v70, 0 :: v_dual_add_nc_u32 v69, 0x3000, v89
	v_dual_mov_b32 v72, 16 :: v_dual_mov_b32 v77, 56
	v_dual_mov_b32 v74, 32 :: v_dual_mov_b32 v79, 0x48
	;; [unrolled: 1-line block ×4, first 2 shown]
	v_mov_b32_e32 v80, 0x50
	v_mov_b32_e32 v82, 0x60
	;; [unrolled: 1-line block ×20, first 2 shown]
	s_mov_b64 s[2:3], 0
	s_mov_b32 s4, -1
.LBB138_66:                             ; =>This Inner Loop Header: Depth=1
	scratch_load_b64 v[104:105], v70, off
	scratch_load_b64 v[106:107], v71, off
	;; [unrolled: 1-line block ×32, first 2 shown]
	s_cmp_eq_u32 s2, 1
	s_waitcnt lgkmcnt(16)
	v_max_f64 v[170:171], v[0:1], v[0:1]
	s_cselect_b32 vcc_lo, -1, 0
	v_max_f64 v[172:173], v[2:3], v[2:3]
	s_waitcnt lgkmcnt(0)
	v_dual_cndmask_b32 v169, v65, v67 :: v_dual_cndmask_b32 v168, v64, v66
	v_max_f64 v[174:175], v[4:5], v[4:5]
	v_max_f64 v[176:177], v[6:7], v[6:7]
	;; [unrolled: 1-line block ×31, first 2 shown]
	s_mov_b64 s[2:3], 1
	s_and_b32 vcc_lo, exec_lo, s4
	s_mov_b32 s4, 0
	v_min_f64 v[170:171], v[170:171], v[168:169]
	v_min_f64 v[172:173], v[172:173], v[168:169]
	;; [unrolled: 1-line block ×32, first 2 shown]
	s_waitcnt vmcnt(31)
	v_add_f64 v[104:105], v[104:105], v[170:171]
	s_waitcnt vmcnt(30)
	v_add_f64 v[106:107], v[172:173], v[106:107]
	;; [unrolled: 2-line block ×32, first 2 shown]
	scratch_store_b64 v70, v[104:105], off
	scratch_store_b64 v71, v[106:107], off
	;; [unrolled: 1-line block ×32, first 2 shown]
	v_mov_b32_e32 v70, 0x100
	v_mov_b32_e32 v71, 0x108
	;; [unrolled: 1-line block ×32, first 2 shown]
	s_cbranch_vccnz .LBB138_66
; %bb.67:
	v_dual_mov_b32 v71, 8 :: v_dual_add_nc_u32 v60, 0x800, v68
	ds_load_2addr_b64 v[0:3], v68 offset0:1 offset1:17
	ds_load_2addr_b64 v[4:7], v68 offset0:33 offset1:49
	;; [unrolled: 1-line block ×12, first 2 shown]
	v_dual_mov_b32 v73, 24 :: v_dual_add_nc_u32 v64, 8, v69
	ds_load_2addr_b64 v[48:51], v60 offset0:129 offset1:145
	ds_load_2addr_b64 v[52:55], v60 offset0:161 offset1:177
	;; [unrolled: 1-line block ×4, first 2 shown]
	ds_load_2addr_stride64_b64 v[64:67], v64 offset1:4
	v_dual_mov_b32 v70, 0 :: v_dual_mov_b32 v75, 40
	v_dual_mov_b32 v72, 16 :: v_dual_mov_b32 v77, 56
	;; [unrolled: 1-line block ×5, first 2 shown]
	v_mov_b32_e32 v80, 0x50
	v_mov_b32_e32 v82, 0x60
	;; [unrolled: 1-line block ×20, first 2 shown]
	s_mov_b64 s[2:3], 0
	s_mov_b32 s4, -1
.LBB138_68:                             ; =>This Inner Loop Header: Depth=1
	scratch_load_b64 v[104:105], v70, off
	scratch_load_b64 v[106:107], v71, off
	;; [unrolled: 1-line block ×32, first 2 shown]
	s_cmp_eq_u32 s2, 1
	s_waitcnt lgkmcnt(16)
	v_max_f64 v[170:171], v[0:1], v[0:1]
	s_cselect_b32 vcc_lo, -1, 0
	v_max_f64 v[172:173], v[2:3], v[2:3]
	s_waitcnt lgkmcnt(0)
	v_dual_cndmask_b32 v169, v65, v67 :: v_dual_cndmask_b32 v168, v64, v66
	v_max_f64 v[174:175], v[4:5], v[4:5]
	v_max_f64 v[176:177], v[6:7], v[6:7]
	v_max_f64 v[178:179], v[8:9], v[8:9]
	v_max_f64 v[180:181], v[10:11], v[10:11]
	v_max_f64 v[168:169], v[168:169], v[168:169]
	v_max_f64 v[182:183], v[12:13], v[12:13]
	v_max_f64 v[184:185], v[14:15], v[14:15]
	v_max_f64 v[186:187], v[16:17], v[16:17]
	v_max_f64 v[188:189], v[18:19], v[18:19]
	v_max_f64 v[190:191], v[20:21], v[20:21]
	v_max_f64 v[192:193], v[22:23], v[22:23]
	v_max_f64 v[194:195], v[24:25], v[24:25]
	v_max_f64 v[196:197], v[26:27], v[26:27]
	v_max_f64 v[198:199], v[28:29], v[28:29]
	v_max_f64 v[200:201], v[30:31], v[30:31]
	v_max_f64 v[202:203], v[32:33], v[32:33]
	v_max_f64 v[204:205], v[34:35], v[34:35]
	v_max_f64 v[206:207], v[36:37], v[36:37]
	v_max_f64 v[208:209], v[38:39], v[38:39]
	v_max_f64 v[210:211], v[40:41], v[40:41]
	v_max_f64 v[212:213], v[42:43], v[42:43]
	v_max_f64 v[214:215], v[44:45], v[44:45]
	v_max_f64 v[216:217], v[46:47], v[46:47]
	v_max_f64 v[218:219], v[48:49], v[48:49]
	v_max_f64 v[220:221], v[50:51], v[50:51]
	v_max_f64 v[222:223], v[52:53], v[52:53]
	v_max_f64 v[224:225], v[54:55], v[54:55]
	v_max_f64 v[226:227], v[56:57], v[56:57]
	v_max_f64 v[228:229], v[58:59], v[58:59]
	v_max_f64 v[230:231], v[60:61], v[60:61]
	v_max_f64 v[232:233], v[62:63], v[62:63]
	s_mov_b64 s[2:3], 1
	s_and_b32 vcc_lo, exec_lo, s4
	s_mov_b32 s4, 0
	v_min_f64 v[170:171], v[170:171], v[168:169]
	v_min_f64 v[172:173], v[172:173], v[168:169]
	;; [unrolled: 1-line block ×32, first 2 shown]
	s_waitcnt vmcnt(31)
	v_add_f64 v[104:105], v[104:105], v[170:171]
	s_waitcnt vmcnt(30)
	v_add_f64 v[106:107], v[172:173], v[106:107]
	;; [unrolled: 2-line block ×32, first 2 shown]
	scratch_store_b64 v70, v[104:105], off
	scratch_store_b64 v71, v[106:107], off
	;; [unrolled: 1-line block ×32, first 2 shown]
	v_mov_b32_e32 v70, 0x100
	v_mov_b32_e32 v71, 0x108
	;; [unrolled: 1-line block ×32, first 2 shown]
	s_cbranch_vccnz .LBB138_68
; %bb.69:
	v_dual_mov_b32 v71, 8 :: v_dual_add_nc_u32 v60, 0x800, v68
	ds_load_2addr_b64 v[0:3], v68 offset0:2 offset1:18
	ds_load_2addr_b64 v[4:7], v68 offset0:34 offset1:50
	;; [unrolled: 1-line block ×12, first 2 shown]
	v_dual_mov_b32 v73, 24 :: v_dual_add_nc_u32 v64, 16, v69
	ds_load_2addr_b64 v[48:51], v60 offset0:130 offset1:146
	ds_load_2addr_b64 v[52:55], v60 offset0:162 offset1:178
	;; [unrolled: 1-line block ×4, first 2 shown]
	ds_load_2addr_stride64_b64 v[64:67], v64 offset1:4
	v_dual_mov_b32 v70, 0 :: v_dual_mov_b32 v75, 40
	v_dual_mov_b32 v72, 16 :: v_dual_mov_b32 v77, 56
	;; [unrolled: 1-line block ×5, first 2 shown]
	v_mov_b32_e32 v80, 0x50
	v_mov_b32_e32 v82, 0x60
	v_mov_b32_e32 v86, 0x70
	v_mov_b32_e32 v87, 0x78
	v_mov_b32_e32 v88, 0x80
	v_mov_b32_e32 v89, 0x88
	v_mov_b32_e32 v90, 0x90
	v_mov_b32_e32 v91, 0x98
	v_mov_b32_e32 v92, 0xa0
	v_mov_b32_e32 v93, 0xa8
	v_mov_b32_e32 v94, 0xb0
	v_mov_b32_e32 v95, 0xb8
	v_mov_b32_e32 v96, 0xc0
	v_mov_b32_e32 v97, 0xc8
	v_mov_b32_e32 v98, 0xd0
	v_mov_b32_e32 v99, 0xd8
	v_mov_b32_e32 v100, 0xe0
	v_mov_b32_e32 v101, 0xe8
	v_mov_b32_e32 v102, 0xf0
	v_mov_b32_e32 v103, 0xf8
	s_mov_b64 s[2:3], 0
	s_mov_b32 s4, -1
.LBB138_70:                             ; =>This Inner Loop Header: Depth=1
	scratch_load_b64 v[104:105], v70, off
	scratch_load_b64 v[106:107], v71, off
	;; [unrolled: 1-line block ×32, first 2 shown]
	s_cmp_eq_u32 s2, 1
	s_waitcnt lgkmcnt(16)
	v_max_f64 v[170:171], v[0:1], v[0:1]
	s_cselect_b32 vcc_lo, -1, 0
	v_max_f64 v[172:173], v[2:3], v[2:3]
	s_waitcnt lgkmcnt(0)
	v_dual_cndmask_b32 v169, v65, v67 :: v_dual_cndmask_b32 v168, v64, v66
	v_max_f64 v[174:175], v[4:5], v[4:5]
	v_max_f64 v[176:177], v[6:7], v[6:7]
	;; [unrolled: 1-line block ×31, first 2 shown]
	s_mov_b64 s[2:3], 1
	s_and_b32 vcc_lo, exec_lo, s4
	s_mov_b32 s4, 0
	v_min_f64 v[170:171], v[170:171], v[168:169]
	v_min_f64 v[172:173], v[172:173], v[168:169]
	;; [unrolled: 1-line block ×32, first 2 shown]
	s_waitcnt vmcnt(31)
	v_add_f64 v[104:105], v[104:105], v[170:171]
	s_waitcnt vmcnt(30)
	v_add_f64 v[106:107], v[172:173], v[106:107]
	;; [unrolled: 2-line block ×32, first 2 shown]
	scratch_store_b64 v70, v[104:105], off
	scratch_store_b64 v71, v[106:107], off
	;; [unrolled: 1-line block ×32, first 2 shown]
	v_mov_b32_e32 v70, 0x100
	v_mov_b32_e32 v71, 0x108
	;; [unrolled: 1-line block ×32, first 2 shown]
	s_cbranch_vccnz .LBB138_70
; %bb.71:
	v_add_nc_u32_e32 v60, 0x800, v68
	ds_load_2addr_b64 v[0:3], v68 offset0:3 offset1:19
	ds_load_2addr_b64 v[4:7], v68 offset0:35 offset1:51
	;; [unrolled: 1-line block ×4, first 2 shown]
	v_dual_mov_b32 v71, 24 :: v_dual_add_nc_u32 v64, 24, v69
	v_mov_b32_e32 v69, 8
	ds_load_2addr_b64 v[16:19], v68 offset0:131 offset1:147
	ds_load_2addr_b64 v[20:23], v68 offset0:163 offset1:179
	;; [unrolled: 1-line block ×12, first 2 shown]
	ds_load_2addr_stride64_b64 v[64:67], v64 offset1:4
	v_dual_mov_b32 v68, 0 :: v_dual_mov_b32 v73, 40
	v_dual_mov_b32 v70, 16 :: v_dual_mov_b32 v75, 56
	;; [unrolled: 1-line block ×5, first 2 shown]
	v_mov_b32_e32 v78, 0x50
	v_mov_b32_e32 v80, 0x60
	;; [unrolled: 1-line block ×20, first 2 shown]
	s_mov_b64 s[2:3], 0
	s_mov_b32 s4, -1
.LBB138_72:                             ; =>This Inner Loop Header: Depth=1
	scratch_load_b64 v[102:103], v68, off
	scratch_load_b64 v[104:105], v69, off
	;; [unrolled: 1-line block ×32, first 2 shown]
	s_cmp_eq_u32 s2, 1
	s_waitcnt lgkmcnt(16)
	v_max_f64 v[168:169], v[0:1], v[0:1]
	s_cselect_b32 vcc_lo, -1, 0
	v_max_f64 v[170:171], v[2:3], v[2:3]
	s_waitcnt lgkmcnt(0)
	v_dual_cndmask_b32 v167, v65, v67 :: v_dual_cndmask_b32 v166, v64, v66
	v_max_f64 v[172:173], v[4:5], v[4:5]
	v_max_f64 v[174:175], v[6:7], v[6:7]
	;; [unrolled: 1-line block ×31, first 2 shown]
	s_mov_b64 s[2:3], 1
	s_and_b32 vcc_lo, exec_lo, s4
	s_mov_b32 s4, 0
	v_min_f64 v[168:169], v[168:169], v[166:167]
	v_min_f64 v[170:171], v[170:171], v[166:167]
	;; [unrolled: 1-line block ×32, first 2 shown]
	s_waitcnt vmcnt(31)
	v_add_f64 v[102:103], v[102:103], v[168:169]
	s_waitcnt vmcnt(30)
	v_add_f64 v[104:105], v[170:171], v[104:105]
	;; [unrolled: 2-line block ×32, first 2 shown]
	scratch_store_b64 v68, v[102:103], off
	scratch_store_b64 v69, v[104:105], off
	;; [unrolled: 1-line block ×32, first 2 shown]
	v_mov_b32_e32 v68, 0x100
	v_mov_b32_e32 v69, 0x108
	;; [unrolled: 1-line block ×32, first 2 shown]
	s_cbranch_vccnz .LBB138_72
; %bb.73:
	s_clause 0x2
	s_load_b32 s39, s[0:1], 0x58
	s_load_b32 s38, s[0:1], 0x70
	s_load_b64 s[2:3], s[0:1], 0x78
	v_add_nc_u32_e32 v71, s15, v85
	v_add_nc_u32_e32 v0, s14, v84
	v_cndmask_b32_e64 v70, 0, 1, s42
	s_delay_alu instid0(VALU_DEP_3) | instskip(NEXT) | instid1(VALU_DEP_3)
	v_cmp_gt_i32_e64 s11, s37, v71
	v_cmp_gt_i32_e64 s0, s36, v0
	s_waitcnt lgkmcnt(0)
	v_mad_i64_i32 v[1:2], null, v71, s39, 0
	v_mad_i64_i32 v[3:4], null, v71, s38, 0
	s_lshl_b64 s[2:3], s[2:3], 3
	s_delay_alu instid0(SALU_CYCLE_1) | instskip(SKIP_1) | instid1(VALU_DEP_2)
	s_add_u32 s43, s8, s2
	s_addc_u32 s44, s9, s3
	v_lshlrev_b64 v[5:6], 3, v[1:2]
	v_ashrrev_i32_e32 v1, 31, v0
	s_delay_alu instid0(VALU_DEP_3) | instskip(SKIP_1) | instid1(VALU_DEP_3)
	v_lshlrev_b64 v[2:3], 3, v[3:4]
	s_and_b32 s1, s11, s0
	v_add_co_u32 v68, vcc_lo, s40, v5
	s_delay_alu instid0(VALU_DEP_4) | instskip(NEXT) | instid1(VALU_DEP_3)
	v_add_co_ci_u32_e32 v69, vcc_lo, s41, v6, vcc_lo
	v_add_co_u32 v72, vcc_lo, s43, v2
	s_delay_alu instid0(VALU_DEP_4) | instskip(SKIP_1) | instid1(SALU_CYCLE_1)
	v_add_co_ci_u32_e32 v73, vcc_lo, s44, v3, vcc_lo
	s_and_saveexec_b32 s2, s1
	s_xor_b32 s1, exec_lo, s2
	s_cbranch_execz .LBB138_78
; %bb.74:
	scratch_load_b64 v[2:3], off, off
	v_lshlrev_b64 v[4:5], 3, v[0:1]
	s_and_not1_b32 vcc_lo, exec_lo, s42
	s_cbranch_vccnz .LBB138_76
; %bb.75:
	s_delay_alu instid0(VALU_DEP_1) | instskip(NEXT) | instid1(VALU_DEP_2)
	v_add_co_u32 v6, vcc_lo, v68, v4
	v_add_co_ci_u32_e32 v7, vcc_lo, v69, v5, vcc_lo
	flat_load_b64 v[6:7], v[6:7]
	s_waitcnt vmcnt(0) lgkmcnt(0)
	v_mul_f64 v[6:7], s[34:35], v[6:7]
	s_branch .LBB138_77
.LBB138_76:
	v_mov_b32_e32 v6, 0
	v_mov_b32_e32 v7, 0
.LBB138_77:
	s_waitcnt vmcnt(0)
	s_delay_alu instid0(VALU_DEP_1)
	v_add_f64 v[2:3], v[2:3], v[6:7]
	v_add_co_u32 v4, vcc_lo, v72, v4
	v_add_co_ci_u32_e32 v5, vcc_lo, v73, v5, vcc_lo
	global_store_b64 v[4:5], v[2:3], off
.LBB138_78:
	s_or_b32 exec_lo, exec_lo, s1
	v_add_nc_u32_e32 v2, 4, v0
	s_delay_alu instid0(VALU_DEP_1) | instskip(SKIP_1) | instid1(VALU_DEP_2)
	v_cmp_gt_i32_e64 s1, s36, v2
	v_ashrrev_i32_e32 v3, 31, v2
	s_and_b32 s3, s11, s1
	s_delay_alu instid0(SALU_CYCLE_1)
	s_and_saveexec_b32 s2, s3
	s_cbranch_execz .LBB138_83
; %bb.79:
	scratch_load_b64 v[4:5], off, off offset:8
	v_lshlrev_b64 v[6:7], 3, v[2:3]
	s_and_not1_b32 vcc_lo, exec_lo, s42
	s_cbranch_vccnz .LBB138_81
; %bb.80:
	s_delay_alu instid0(VALU_DEP_1) | instskip(NEXT) | instid1(VALU_DEP_2)
	v_add_co_u32 v8, vcc_lo, v68, v6
	v_add_co_ci_u32_e32 v9, vcc_lo, v69, v7, vcc_lo
	flat_load_b64 v[8:9], v[8:9]
	s_waitcnt vmcnt(0) lgkmcnt(0)
	v_mul_f64 v[8:9], s[34:35], v[8:9]
	s_branch .LBB138_82
.LBB138_81:
	v_mov_b32_e32 v8, 0
	v_mov_b32_e32 v9, 0
.LBB138_82:
	s_waitcnt vmcnt(0)
	s_delay_alu instid0(VALU_DEP_1)
	v_add_f64 v[4:5], v[4:5], v[8:9]
	v_add_co_u32 v6, vcc_lo, v72, v6
	v_add_co_ci_u32_e32 v7, vcc_lo, v73, v7, vcc_lo
	global_store_b64 v[6:7], v[4:5], off
.LBB138_83:
	s_or_b32 exec_lo, exec_lo, s2
	v_add_nc_u32_e32 v4, 8, v0
	s_delay_alu instid0(VALU_DEP_1) | instskip(SKIP_1) | instid1(VALU_DEP_2)
	v_cmp_gt_i32_e64 s2, s36, v4
	v_ashrrev_i32_e32 v5, 31, v4
	s_and_b32 s4, s11, s2
	s_delay_alu instid0(SALU_CYCLE_1)
	s_and_saveexec_b32 s3, s4
	s_cbranch_execz .LBB138_88
; %bb.84:
	scratch_load_b64 v[6:7], off, off offset:16
	v_lshlrev_b64 v[8:9], 3, v[4:5]
	s_and_not1_b32 vcc_lo, exec_lo, s42
	s_cbranch_vccnz .LBB138_86
; %bb.85:
	s_delay_alu instid0(VALU_DEP_1) | instskip(NEXT) | instid1(VALU_DEP_2)
	v_add_co_u32 v10, vcc_lo, v68, v8
	v_add_co_ci_u32_e32 v11, vcc_lo, v69, v9, vcc_lo
	flat_load_b64 v[10:11], v[10:11]
	s_waitcnt vmcnt(0) lgkmcnt(0)
	v_mul_f64 v[10:11], s[34:35], v[10:11]
	s_branch .LBB138_87
.LBB138_86:
	v_mov_b32_e32 v10, 0
	v_mov_b32_e32 v11, 0
.LBB138_87:
	s_waitcnt vmcnt(0)
	s_delay_alu instid0(VALU_DEP_1)
	v_add_f64 v[6:7], v[6:7], v[10:11]
	v_add_co_u32 v8, vcc_lo, v72, v8
	v_add_co_ci_u32_e32 v9, vcc_lo, v73, v9, vcc_lo
	global_store_b64 v[8:9], v[6:7], off
.LBB138_88:
	;; [unrolled: 33-line block ×31, first 2 shown]
	s_or_b32 exec_lo, exec_lo, s11
	v_add_nc_u32_e32 v68, 64, v71
	s_delay_alu instid0(VALU_DEP_1) | instskip(SKIP_2) | instid1(VALU_DEP_3)
	v_mad_i64_i32 v[64:65], null, v68, s39, 0
	v_mad_i64_i32 v[66:67], null, v68, s38, 0
	v_cmp_gt_i32_e64 s11, s37, v68
	v_lshlrev_b64 v[64:65], 3, v[64:65]
	s_delay_alu instid0(VALU_DEP_2) | instskip(NEXT) | instid1(VALU_DEP_3)
	s_and_b32 s0, s11, s0
	v_lshlrev_b64 v[66:67], 3, v[66:67]
	s_delay_alu instid0(VALU_DEP_2) | instskip(NEXT) | instid1(VALU_DEP_3)
	v_add_co_u32 v71, vcc_lo, s40, v64
	v_add_co_ci_u32_e32 v72, vcc_lo, s41, v65, vcc_lo
	s_delay_alu instid0(VALU_DEP_3) | instskip(NEXT) | instid1(VALU_DEP_4)
	v_add_co_u32 v68, vcc_lo, s43, v66
	v_add_co_ci_u32_e32 v69, vcc_lo, s44, v67, vcc_lo
	s_and_saveexec_b32 s36, s0
	s_delay_alu instid0(SALU_CYCLE_1)
	s_xor_b32 s0, exec_lo, s36
	s_cbranch_execnz .LBB138_266
; %bb.234:
	s_or_b32 exec_lo, exec_lo, s0
	s_and_b32 s1, s11, s1
	s_delay_alu instid0(SALU_CYCLE_1)
	s_and_saveexec_b32 s0, s1
	s_cbranch_execnz .LBB138_270
.LBB138_235:
	s_or_b32 exec_lo, exec_lo, s0
	s_and_b32 s1, s11, s2
	s_delay_alu instid0(SALU_CYCLE_1)
	s_and_saveexec_b32 s0, s1
	s_cbranch_execnz .LBB138_274
.LBB138_236:
	s_or_b32 exec_lo, exec_lo, s0
	s_and_b32 s1, s11, s3
	s_delay_alu instid0(SALU_CYCLE_1)
	s_and_saveexec_b32 s0, s1
	s_cbranch_execnz .LBB138_278
.LBB138_237:
	s_or_b32 exec_lo, exec_lo, s0
	s_and_b32 s1, s11, s4
	s_delay_alu instid0(SALU_CYCLE_1)
	s_and_saveexec_b32 s0, s1
	s_cbranch_execnz .LBB138_282
.LBB138_238:
	s_or_b32 exec_lo, exec_lo, s0
	s_and_b32 s1, s11, s5
	s_delay_alu instid0(SALU_CYCLE_1)
	s_and_saveexec_b32 s0, s1
	s_cbranch_execnz .LBB138_286
.LBB138_239:
	s_or_b32 exec_lo, exec_lo, s0
	s_and_b32 s1, s11, s6
	s_delay_alu instid0(SALU_CYCLE_1)
	s_and_saveexec_b32 s0, s1
	s_cbranch_execnz .LBB138_290
.LBB138_240:
	s_or_b32 exec_lo, exec_lo, s0
	s_and_b32 s1, s11, s7
	s_delay_alu instid0(SALU_CYCLE_1)
	s_and_saveexec_b32 s0, s1
	s_cbranch_execnz .LBB138_294
.LBB138_241:
	s_or_b32 exec_lo, exec_lo, s0
	s_and_b32 s1, s11, s8
	s_delay_alu instid0(SALU_CYCLE_1)
	s_and_saveexec_b32 s0, s1
	s_cbranch_execnz .LBB138_298
.LBB138_242:
	s_or_b32 exec_lo, exec_lo, s0
	s_and_b32 s1, s11, s9
	s_delay_alu instid0(SALU_CYCLE_1)
	s_and_saveexec_b32 s0, s1
	s_cbranch_execnz .LBB138_302
.LBB138_243:
	s_or_b32 exec_lo, exec_lo, s0
	s_and_b32 s1, s11, s10
	s_delay_alu instid0(SALU_CYCLE_1)
	s_and_saveexec_b32 s0, s1
	s_cbranch_execnz .LBB138_306
.LBB138_244:
	s_or_b32 exec_lo, exec_lo, s0
	s_and_b32 s1, s11, s12
	s_delay_alu instid0(SALU_CYCLE_1)
	s_and_saveexec_b32 s0, s1
	s_cbranch_execnz .LBB138_310
.LBB138_245:
	s_or_b32 exec_lo, exec_lo, s0
	s_and_b32 s1, s11, s13
	s_delay_alu instid0(SALU_CYCLE_1)
	s_and_saveexec_b32 s0, s1
	s_cbranch_execnz .LBB138_314
.LBB138_246:
	s_or_b32 exec_lo, exec_lo, s0
	s_and_b32 s1, s11, s14
	s_delay_alu instid0(SALU_CYCLE_1)
	s_and_saveexec_b32 s0, s1
	s_cbranch_execnz .LBB138_318
.LBB138_247:
	s_or_b32 exec_lo, exec_lo, s0
	s_and_b32 s1, s11, s15
	s_delay_alu instid0(SALU_CYCLE_1)
	s_and_saveexec_b32 s0, s1
	s_cbranch_execnz .LBB138_322
.LBB138_248:
	s_or_b32 exec_lo, exec_lo, s0
	s_and_b32 s1, s11, s16
	s_delay_alu instid0(SALU_CYCLE_1)
	s_and_saveexec_b32 s0, s1
	s_cbranch_execnz .LBB138_326
.LBB138_249:
	s_or_b32 exec_lo, exec_lo, s0
	s_and_b32 s1, s11, s17
	s_delay_alu instid0(SALU_CYCLE_1)
	s_and_saveexec_b32 s0, s1
	s_cbranch_execnz .LBB138_330
.LBB138_250:
	s_or_b32 exec_lo, exec_lo, s0
	s_and_b32 s1, s11, s18
	s_delay_alu instid0(SALU_CYCLE_1)
	s_and_saveexec_b32 s0, s1
	s_cbranch_execnz .LBB138_334
.LBB138_251:
	s_or_b32 exec_lo, exec_lo, s0
	s_and_b32 s1, s11, s19
	s_delay_alu instid0(SALU_CYCLE_1)
	s_and_saveexec_b32 s0, s1
	s_cbranch_execnz .LBB138_338
.LBB138_252:
	s_or_b32 exec_lo, exec_lo, s0
	s_and_b32 s1, s11, s20
	s_delay_alu instid0(SALU_CYCLE_1)
	s_and_saveexec_b32 s0, s1
	s_cbranch_execnz .LBB138_342
.LBB138_253:
	s_or_b32 exec_lo, exec_lo, s0
	s_and_b32 s1, s11, s21
	s_delay_alu instid0(SALU_CYCLE_1)
	s_and_saveexec_b32 s0, s1
	s_cbranch_execnz .LBB138_346
.LBB138_254:
	s_or_b32 exec_lo, exec_lo, s0
	s_and_b32 s1, s11, s22
	s_delay_alu instid0(SALU_CYCLE_1)
	s_and_saveexec_b32 s0, s1
	s_cbranch_execnz .LBB138_350
.LBB138_255:
	s_or_b32 exec_lo, exec_lo, s0
	s_and_b32 s1, s11, s23
	s_delay_alu instid0(SALU_CYCLE_1)
	s_and_saveexec_b32 s0, s1
	s_cbranch_execnz .LBB138_354
.LBB138_256:
	s_or_b32 exec_lo, exec_lo, s0
	s_and_b32 s1, s11, s24
	s_delay_alu instid0(SALU_CYCLE_1)
	s_and_saveexec_b32 s0, s1
	s_cbranch_execnz .LBB138_358
.LBB138_257:
	s_or_b32 exec_lo, exec_lo, s0
	s_and_b32 s1, s11, s25
	s_delay_alu instid0(SALU_CYCLE_1)
	s_and_saveexec_b32 s0, s1
	s_cbranch_execnz .LBB138_362
.LBB138_258:
	s_or_b32 exec_lo, exec_lo, s0
	s_and_b32 s1, s11, s26
	s_delay_alu instid0(SALU_CYCLE_1)
	s_and_saveexec_b32 s0, s1
	s_cbranch_execnz .LBB138_366
.LBB138_259:
	s_or_b32 exec_lo, exec_lo, s0
	s_and_b32 s1, s11, s27
	s_delay_alu instid0(SALU_CYCLE_1)
	s_and_saveexec_b32 s0, s1
	s_cbranch_execnz .LBB138_370
.LBB138_260:
	s_or_b32 exec_lo, exec_lo, s0
	s_and_b32 s1, s11, s28
	s_delay_alu instid0(SALU_CYCLE_1)
	s_and_saveexec_b32 s0, s1
	s_cbranch_execnz .LBB138_374
.LBB138_261:
	s_or_b32 exec_lo, exec_lo, s0
	s_and_b32 s1, s11, s29
	s_delay_alu instid0(SALU_CYCLE_1)
	s_and_saveexec_b32 s0, s1
	s_cbranch_execnz .LBB138_378
.LBB138_262:
	s_or_b32 exec_lo, exec_lo, s0
	s_and_b32 s1, s11, s30
	s_delay_alu instid0(SALU_CYCLE_1)
	s_and_saveexec_b32 s0, s1
	s_cbranch_execnz .LBB138_382
.LBB138_263:
	s_or_b32 exec_lo, exec_lo, s0
	s_and_b32 s1, s11, s31
	s_delay_alu instid0(SALU_CYCLE_1)
	s_and_saveexec_b32 s0, s1
	s_cbranch_execnz .LBB138_386
.LBB138_264:
	s_or_b32 exec_lo, exec_lo, s0
	s_and_b32 s0, s11, s33
	s_delay_alu instid0(SALU_CYCLE_1)
	s_and_saveexec_b32 s1, s0
	s_cbranch_execnz .LBB138_390
.LBB138_265:
	s_endpgm
.LBB138_266:
	scratch_load_b64 v[64:65], off, off offset:256
	v_lshlrev_b64 v[0:1], 3, v[0:1]
	s_and_not1_b32 vcc_lo, exec_lo, s42
	s_cbranch_vccnz .LBB138_268
; %bb.267:
	s_delay_alu instid0(VALU_DEP_1) | instskip(NEXT) | instid1(VALU_DEP_2)
	v_add_co_u32 v66, vcc_lo, v71, v0
	v_add_co_ci_u32_e32 v67, vcc_lo, v72, v1, vcc_lo
	flat_load_b64 v[66:67], v[66:67]
	s_waitcnt vmcnt(0) lgkmcnt(0)
	v_mul_f64 v[66:67], s[34:35], v[66:67]
	s_branch .LBB138_269
.LBB138_268:
	v_mov_b32_e32 v66, 0
	v_mov_b32_e32 v67, 0
.LBB138_269:
	s_waitcnt vmcnt(0)
	s_delay_alu instid0(VALU_DEP_1)
	v_add_f64 v[64:65], v[64:65], v[66:67]
	v_add_co_u32 v0, vcc_lo, v68, v0
	v_add_co_ci_u32_e32 v1, vcc_lo, v69, v1, vcc_lo
	global_store_b64 v[0:1], v[64:65], off
	s_or_b32 exec_lo, exec_lo, s0
	s_and_b32 s1, s11, s1
	s_delay_alu instid0(SALU_CYCLE_1)
	s_and_saveexec_b32 s0, s1
	s_cbranch_execz .LBB138_235
.LBB138_270:
	scratch_load_b64 v[0:1], off, off offset:264
	v_cmp_ne_u32_e32 vcc_lo, 1, v70
	v_lshlrev_b64 v[2:3], 3, v[2:3]
	s_cbranch_vccnz .LBB138_272
; %bb.271:
	s_delay_alu instid0(VALU_DEP_1) | instskip(NEXT) | instid1(VALU_DEP_2)
	v_add_co_u32 v64, vcc_lo, v71, v2
	v_add_co_ci_u32_e32 v65, vcc_lo, v72, v3, vcc_lo
	flat_load_b64 v[64:65], v[64:65]
	s_waitcnt vmcnt(0) lgkmcnt(0)
	v_mul_f64 v[64:65], s[34:35], v[64:65]
	s_branch .LBB138_273
.LBB138_272:
	v_mov_b32_e32 v64, 0
	v_mov_b32_e32 v65, 0
.LBB138_273:
	s_waitcnt vmcnt(0)
	s_delay_alu instid0(VALU_DEP_1)
	v_add_f64 v[0:1], v[0:1], v[64:65]
	v_add_co_u32 v2, vcc_lo, v68, v2
	v_add_co_ci_u32_e32 v3, vcc_lo, v69, v3, vcc_lo
	global_store_b64 v[2:3], v[0:1], off
	s_or_b32 exec_lo, exec_lo, s0
	s_and_b32 s1, s11, s2
	s_delay_alu instid0(SALU_CYCLE_1)
	s_and_saveexec_b32 s0, s1
	s_cbranch_execz .LBB138_236
.LBB138_274:
	scratch_load_b64 v[0:1], off, off offset:272
	v_cmp_ne_u32_e32 vcc_lo, 1, v70
	v_lshlrev_b64 v[2:3], 3, v[4:5]
	s_cbranch_vccnz .LBB138_276
; %bb.275:
	s_delay_alu instid0(VALU_DEP_1) | instskip(NEXT) | instid1(VALU_DEP_2)
	v_add_co_u32 v4, vcc_lo, v71, v2
	v_add_co_ci_u32_e32 v5, vcc_lo, v72, v3, vcc_lo
	flat_load_b64 v[4:5], v[4:5]
	s_waitcnt vmcnt(0) lgkmcnt(0)
	v_mul_f64 v[4:5], s[34:35], v[4:5]
	s_branch .LBB138_277
.LBB138_276:
	v_mov_b32_e32 v4, 0
	v_mov_b32_e32 v5, 0
.LBB138_277:
	s_waitcnt vmcnt(0)
	s_delay_alu instid0(VALU_DEP_1)
	v_add_f64 v[0:1], v[0:1], v[4:5]
	v_add_co_u32 v2, vcc_lo, v68, v2
	v_add_co_ci_u32_e32 v3, vcc_lo, v69, v3, vcc_lo
	global_store_b64 v[2:3], v[0:1], off
	s_or_b32 exec_lo, exec_lo, s0
	s_and_b32 s1, s11, s3
	s_delay_alu instid0(SALU_CYCLE_1)
	s_and_saveexec_b32 s0, s1
	s_cbranch_execz .LBB138_237
.LBB138_278:
	scratch_load_b64 v[0:1], off, off offset:280
	v_cmp_ne_u32_e32 vcc_lo, 1, v70
	v_lshlrev_b64 v[2:3], 3, v[6:7]
	s_cbranch_vccnz .LBB138_280
; %bb.279:
	s_delay_alu instid0(VALU_DEP_1) | instskip(NEXT) | instid1(VALU_DEP_2)
	v_add_co_u32 v4, vcc_lo, v71, v2
	v_add_co_ci_u32_e32 v5, vcc_lo, v72, v3, vcc_lo
	flat_load_b64 v[4:5], v[4:5]
	s_waitcnt vmcnt(0) lgkmcnt(0)
	v_mul_f64 v[4:5], s[34:35], v[4:5]
	s_branch .LBB138_281
.LBB138_280:
	v_mov_b32_e32 v4, 0
	v_mov_b32_e32 v5, 0
.LBB138_281:
	s_waitcnt vmcnt(0)
	s_delay_alu instid0(VALU_DEP_1)
	v_add_f64 v[0:1], v[0:1], v[4:5]
	v_add_co_u32 v2, vcc_lo, v68, v2
	v_add_co_ci_u32_e32 v3, vcc_lo, v69, v3, vcc_lo
	global_store_b64 v[2:3], v[0:1], off
	s_or_b32 exec_lo, exec_lo, s0
	s_and_b32 s1, s11, s4
	s_delay_alu instid0(SALU_CYCLE_1)
	s_and_saveexec_b32 s0, s1
	s_cbranch_execz .LBB138_238
.LBB138_282:
	scratch_load_b64 v[0:1], off, off offset:288
	v_cmp_ne_u32_e32 vcc_lo, 1, v70
	v_lshlrev_b64 v[2:3], 3, v[8:9]
	s_cbranch_vccnz .LBB138_284
; %bb.283:
	s_delay_alu instid0(VALU_DEP_1) | instskip(NEXT) | instid1(VALU_DEP_2)
	v_add_co_u32 v4, vcc_lo, v71, v2
	v_add_co_ci_u32_e32 v5, vcc_lo, v72, v3, vcc_lo
	flat_load_b64 v[4:5], v[4:5]
	s_waitcnt vmcnt(0) lgkmcnt(0)
	v_mul_f64 v[4:5], s[34:35], v[4:5]
	s_branch .LBB138_285
.LBB138_284:
	v_mov_b32_e32 v4, 0
	v_mov_b32_e32 v5, 0
.LBB138_285:
	s_waitcnt vmcnt(0)
	s_delay_alu instid0(VALU_DEP_1)
	v_add_f64 v[0:1], v[0:1], v[4:5]
	v_add_co_u32 v2, vcc_lo, v68, v2
	v_add_co_ci_u32_e32 v3, vcc_lo, v69, v3, vcc_lo
	global_store_b64 v[2:3], v[0:1], off
	s_or_b32 exec_lo, exec_lo, s0
	s_and_b32 s1, s11, s5
	s_delay_alu instid0(SALU_CYCLE_1)
	s_and_saveexec_b32 s0, s1
	s_cbranch_execz .LBB138_239
.LBB138_286:
	scratch_load_b64 v[0:1], off, off offset:296
	v_cmp_ne_u32_e32 vcc_lo, 1, v70
	v_lshlrev_b64 v[2:3], 3, v[10:11]
	s_cbranch_vccnz .LBB138_288
; %bb.287:
	s_delay_alu instid0(VALU_DEP_1) | instskip(NEXT) | instid1(VALU_DEP_2)
	v_add_co_u32 v4, vcc_lo, v71, v2
	v_add_co_ci_u32_e32 v5, vcc_lo, v72, v3, vcc_lo
	flat_load_b64 v[4:5], v[4:5]
	s_waitcnt vmcnt(0) lgkmcnt(0)
	v_mul_f64 v[4:5], s[34:35], v[4:5]
	s_branch .LBB138_289
.LBB138_288:
	v_mov_b32_e32 v4, 0
	v_mov_b32_e32 v5, 0
.LBB138_289:
	s_waitcnt vmcnt(0)
	s_delay_alu instid0(VALU_DEP_1)
	v_add_f64 v[0:1], v[0:1], v[4:5]
	v_add_co_u32 v2, vcc_lo, v68, v2
	v_add_co_ci_u32_e32 v3, vcc_lo, v69, v3, vcc_lo
	global_store_b64 v[2:3], v[0:1], off
	s_or_b32 exec_lo, exec_lo, s0
	s_and_b32 s1, s11, s6
	s_delay_alu instid0(SALU_CYCLE_1)
	s_and_saveexec_b32 s0, s1
	s_cbranch_execz .LBB138_240
.LBB138_290:
	scratch_load_b64 v[0:1], off, off offset:304
	v_cmp_ne_u32_e32 vcc_lo, 1, v70
	v_lshlrev_b64 v[2:3], 3, v[12:13]
	s_cbranch_vccnz .LBB138_292
; %bb.291:
	s_delay_alu instid0(VALU_DEP_1) | instskip(NEXT) | instid1(VALU_DEP_2)
	v_add_co_u32 v4, vcc_lo, v71, v2
	v_add_co_ci_u32_e32 v5, vcc_lo, v72, v3, vcc_lo
	flat_load_b64 v[4:5], v[4:5]
	s_waitcnt vmcnt(0) lgkmcnt(0)
	v_mul_f64 v[4:5], s[34:35], v[4:5]
	s_branch .LBB138_293
.LBB138_292:
	v_mov_b32_e32 v4, 0
	v_mov_b32_e32 v5, 0
.LBB138_293:
	s_waitcnt vmcnt(0)
	s_delay_alu instid0(VALU_DEP_1)
	v_add_f64 v[0:1], v[0:1], v[4:5]
	v_add_co_u32 v2, vcc_lo, v68, v2
	v_add_co_ci_u32_e32 v3, vcc_lo, v69, v3, vcc_lo
	global_store_b64 v[2:3], v[0:1], off
	s_or_b32 exec_lo, exec_lo, s0
	s_and_b32 s1, s11, s7
	s_delay_alu instid0(SALU_CYCLE_1)
	s_and_saveexec_b32 s0, s1
	s_cbranch_execz .LBB138_241
.LBB138_294:
	scratch_load_b64 v[0:1], off, off offset:312
	v_cmp_ne_u32_e32 vcc_lo, 1, v70
	v_lshlrev_b64 v[2:3], 3, v[14:15]
	s_cbranch_vccnz .LBB138_296
; %bb.295:
	s_delay_alu instid0(VALU_DEP_1) | instskip(NEXT) | instid1(VALU_DEP_2)
	v_add_co_u32 v4, vcc_lo, v71, v2
	v_add_co_ci_u32_e32 v5, vcc_lo, v72, v3, vcc_lo
	flat_load_b64 v[4:5], v[4:5]
	s_waitcnt vmcnt(0) lgkmcnt(0)
	v_mul_f64 v[4:5], s[34:35], v[4:5]
	s_branch .LBB138_297
.LBB138_296:
	v_mov_b32_e32 v4, 0
	v_mov_b32_e32 v5, 0
.LBB138_297:
	s_waitcnt vmcnt(0)
	s_delay_alu instid0(VALU_DEP_1)
	v_add_f64 v[0:1], v[0:1], v[4:5]
	v_add_co_u32 v2, vcc_lo, v68, v2
	v_add_co_ci_u32_e32 v3, vcc_lo, v69, v3, vcc_lo
	global_store_b64 v[2:3], v[0:1], off
	s_or_b32 exec_lo, exec_lo, s0
	s_and_b32 s1, s11, s8
	s_delay_alu instid0(SALU_CYCLE_1)
	s_and_saveexec_b32 s0, s1
	s_cbranch_execz .LBB138_242
.LBB138_298:
	scratch_load_b64 v[0:1], off, off offset:320
	v_cmp_ne_u32_e32 vcc_lo, 1, v70
	v_lshlrev_b64 v[2:3], 3, v[16:17]
	s_cbranch_vccnz .LBB138_300
; %bb.299:
	s_delay_alu instid0(VALU_DEP_1) | instskip(NEXT) | instid1(VALU_DEP_2)
	v_add_co_u32 v4, vcc_lo, v71, v2
	v_add_co_ci_u32_e32 v5, vcc_lo, v72, v3, vcc_lo
	flat_load_b64 v[4:5], v[4:5]
	s_waitcnt vmcnt(0) lgkmcnt(0)
	v_mul_f64 v[4:5], s[34:35], v[4:5]
	s_branch .LBB138_301
.LBB138_300:
	v_mov_b32_e32 v4, 0
	v_mov_b32_e32 v5, 0
.LBB138_301:
	s_waitcnt vmcnt(0)
	s_delay_alu instid0(VALU_DEP_1)
	v_add_f64 v[0:1], v[0:1], v[4:5]
	v_add_co_u32 v2, vcc_lo, v68, v2
	v_add_co_ci_u32_e32 v3, vcc_lo, v69, v3, vcc_lo
	global_store_b64 v[2:3], v[0:1], off
	s_or_b32 exec_lo, exec_lo, s0
	s_and_b32 s1, s11, s9
	s_delay_alu instid0(SALU_CYCLE_1)
	s_and_saveexec_b32 s0, s1
	s_cbranch_execz .LBB138_243
.LBB138_302:
	scratch_load_b64 v[0:1], off, off offset:328
	v_cmp_ne_u32_e32 vcc_lo, 1, v70
	v_lshlrev_b64 v[2:3], 3, v[18:19]
	s_cbranch_vccnz .LBB138_304
; %bb.303:
	s_delay_alu instid0(VALU_DEP_1) | instskip(NEXT) | instid1(VALU_DEP_2)
	v_add_co_u32 v4, vcc_lo, v71, v2
	v_add_co_ci_u32_e32 v5, vcc_lo, v72, v3, vcc_lo
	flat_load_b64 v[4:5], v[4:5]
	s_waitcnt vmcnt(0) lgkmcnt(0)
	v_mul_f64 v[4:5], s[34:35], v[4:5]
	s_branch .LBB138_305
.LBB138_304:
	v_mov_b32_e32 v4, 0
	v_mov_b32_e32 v5, 0
.LBB138_305:
	s_waitcnt vmcnt(0)
	s_delay_alu instid0(VALU_DEP_1)
	v_add_f64 v[0:1], v[0:1], v[4:5]
	v_add_co_u32 v2, vcc_lo, v68, v2
	v_add_co_ci_u32_e32 v3, vcc_lo, v69, v3, vcc_lo
	global_store_b64 v[2:3], v[0:1], off
	s_or_b32 exec_lo, exec_lo, s0
	s_and_b32 s1, s11, s10
	s_delay_alu instid0(SALU_CYCLE_1)
	s_and_saveexec_b32 s0, s1
	s_cbranch_execz .LBB138_244
.LBB138_306:
	scratch_load_b64 v[0:1], off, off offset:336
	v_cmp_ne_u32_e32 vcc_lo, 1, v70
	v_lshlrev_b64 v[2:3], 3, v[20:21]
	s_cbranch_vccnz .LBB138_308
; %bb.307:
	s_delay_alu instid0(VALU_DEP_1) | instskip(NEXT) | instid1(VALU_DEP_2)
	v_add_co_u32 v4, vcc_lo, v71, v2
	v_add_co_ci_u32_e32 v5, vcc_lo, v72, v3, vcc_lo
	flat_load_b64 v[4:5], v[4:5]
	s_waitcnt vmcnt(0) lgkmcnt(0)
	v_mul_f64 v[4:5], s[34:35], v[4:5]
	s_branch .LBB138_309
.LBB138_308:
	v_mov_b32_e32 v4, 0
	v_mov_b32_e32 v5, 0
.LBB138_309:
	s_waitcnt vmcnt(0)
	s_delay_alu instid0(VALU_DEP_1)
	v_add_f64 v[0:1], v[0:1], v[4:5]
	v_add_co_u32 v2, vcc_lo, v68, v2
	v_add_co_ci_u32_e32 v3, vcc_lo, v69, v3, vcc_lo
	global_store_b64 v[2:3], v[0:1], off
	s_or_b32 exec_lo, exec_lo, s0
	s_and_b32 s1, s11, s12
	s_delay_alu instid0(SALU_CYCLE_1)
	s_and_saveexec_b32 s0, s1
	s_cbranch_execz .LBB138_245
.LBB138_310:
	scratch_load_b64 v[0:1], off, off offset:344
	v_cmp_ne_u32_e32 vcc_lo, 1, v70
	v_lshlrev_b64 v[2:3], 3, v[22:23]
	s_cbranch_vccnz .LBB138_312
; %bb.311:
	s_delay_alu instid0(VALU_DEP_1) | instskip(NEXT) | instid1(VALU_DEP_2)
	v_add_co_u32 v4, vcc_lo, v71, v2
	v_add_co_ci_u32_e32 v5, vcc_lo, v72, v3, vcc_lo
	flat_load_b64 v[4:5], v[4:5]
	s_waitcnt vmcnt(0) lgkmcnt(0)
	v_mul_f64 v[4:5], s[34:35], v[4:5]
	s_branch .LBB138_313
.LBB138_312:
	v_mov_b32_e32 v4, 0
	v_mov_b32_e32 v5, 0
.LBB138_313:
	s_waitcnt vmcnt(0)
	s_delay_alu instid0(VALU_DEP_1)
	v_add_f64 v[0:1], v[0:1], v[4:5]
	v_add_co_u32 v2, vcc_lo, v68, v2
	v_add_co_ci_u32_e32 v3, vcc_lo, v69, v3, vcc_lo
	global_store_b64 v[2:3], v[0:1], off
	s_or_b32 exec_lo, exec_lo, s0
	s_and_b32 s1, s11, s13
	s_delay_alu instid0(SALU_CYCLE_1)
	s_and_saveexec_b32 s0, s1
	s_cbranch_execz .LBB138_246
.LBB138_314:
	scratch_load_b64 v[0:1], off, off offset:352
	v_cmp_ne_u32_e32 vcc_lo, 1, v70
	v_lshlrev_b64 v[2:3], 3, v[24:25]
	s_cbranch_vccnz .LBB138_316
; %bb.315:
	s_delay_alu instid0(VALU_DEP_1) | instskip(NEXT) | instid1(VALU_DEP_2)
	v_add_co_u32 v4, vcc_lo, v71, v2
	v_add_co_ci_u32_e32 v5, vcc_lo, v72, v3, vcc_lo
	flat_load_b64 v[4:5], v[4:5]
	s_waitcnt vmcnt(0) lgkmcnt(0)
	v_mul_f64 v[4:5], s[34:35], v[4:5]
	s_branch .LBB138_317
.LBB138_316:
	v_mov_b32_e32 v4, 0
	v_mov_b32_e32 v5, 0
.LBB138_317:
	s_waitcnt vmcnt(0)
	s_delay_alu instid0(VALU_DEP_1)
	v_add_f64 v[0:1], v[0:1], v[4:5]
	v_add_co_u32 v2, vcc_lo, v68, v2
	v_add_co_ci_u32_e32 v3, vcc_lo, v69, v3, vcc_lo
	global_store_b64 v[2:3], v[0:1], off
	s_or_b32 exec_lo, exec_lo, s0
	s_and_b32 s1, s11, s14
	s_delay_alu instid0(SALU_CYCLE_1)
	s_and_saveexec_b32 s0, s1
	s_cbranch_execz .LBB138_247
.LBB138_318:
	scratch_load_b64 v[0:1], off, off offset:360
	v_cmp_ne_u32_e32 vcc_lo, 1, v70
	v_lshlrev_b64 v[2:3], 3, v[26:27]
	s_cbranch_vccnz .LBB138_320
; %bb.319:
	s_delay_alu instid0(VALU_DEP_1) | instskip(NEXT) | instid1(VALU_DEP_2)
	v_add_co_u32 v4, vcc_lo, v71, v2
	v_add_co_ci_u32_e32 v5, vcc_lo, v72, v3, vcc_lo
	flat_load_b64 v[4:5], v[4:5]
	s_waitcnt vmcnt(0) lgkmcnt(0)
	v_mul_f64 v[4:5], s[34:35], v[4:5]
	s_branch .LBB138_321
.LBB138_320:
	v_mov_b32_e32 v4, 0
	v_mov_b32_e32 v5, 0
.LBB138_321:
	s_waitcnt vmcnt(0)
	s_delay_alu instid0(VALU_DEP_1)
	v_add_f64 v[0:1], v[0:1], v[4:5]
	v_add_co_u32 v2, vcc_lo, v68, v2
	v_add_co_ci_u32_e32 v3, vcc_lo, v69, v3, vcc_lo
	global_store_b64 v[2:3], v[0:1], off
	s_or_b32 exec_lo, exec_lo, s0
	s_and_b32 s1, s11, s15
	s_delay_alu instid0(SALU_CYCLE_1)
	s_and_saveexec_b32 s0, s1
	s_cbranch_execz .LBB138_248
.LBB138_322:
	scratch_load_b64 v[0:1], off, off offset:368
	v_cmp_ne_u32_e32 vcc_lo, 1, v70
	v_lshlrev_b64 v[2:3], 3, v[28:29]
	s_cbranch_vccnz .LBB138_324
; %bb.323:
	s_delay_alu instid0(VALU_DEP_1) | instskip(NEXT) | instid1(VALU_DEP_2)
	v_add_co_u32 v4, vcc_lo, v71, v2
	v_add_co_ci_u32_e32 v5, vcc_lo, v72, v3, vcc_lo
	flat_load_b64 v[4:5], v[4:5]
	s_waitcnt vmcnt(0) lgkmcnt(0)
	v_mul_f64 v[4:5], s[34:35], v[4:5]
	s_branch .LBB138_325
.LBB138_324:
	v_mov_b32_e32 v4, 0
	v_mov_b32_e32 v5, 0
.LBB138_325:
	s_waitcnt vmcnt(0)
	s_delay_alu instid0(VALU_DEP_1)
	v_add_f64 v[0:1], v[0:1], v[4:5]
	v_add_co_u32 v2, vcc_lo, v68, v2
	v_add_co_ci_u32_e32 v3, vcc_lo, v69, v3, vcc_lo
	global_store_b64 v[2:3], v[0:1], off
	s_or_b32 exec_lo, exec_lo, s0
	s_and_b32 s1, s11, s16
	s_delay_alu instid0(SALU_CYCLE_1)
	s_and_saveexec_b32 s0, s1
	s_cbranch_execz .LBB138_249
.LBB138_326:
	scratch_load_b64 v[0:1], off, off offset:376
	v_cmp_ne_u32_e32 vcc_lo, 1, v70
	v_lshlrev_b64 v[2:3], 3, v[30:31]
	s_cbranch_vccnz .LBB138_328
; %bb.327:
	s_delay_alu instid0(VALU_DEP_1) | instskip(NEXT) | instid1(VALU_DEP_2)
	v_add_co_u32 v4, vcc_lo, v71, v2
	v_add_co_ci_u32_e32 v5, vcc_lo, v72, v3, vcc_lo
	flat_load_b64 v[4:5], v[4:5]
	s_waitcnt vmcnt(0) lgkmcnt(0)
	v_mul_f64 v[4:5], s[34:35], v[4:5]
	s_branch .LBB138_329
.LBB138_328:
	v_mov_b32_e32 v4, 0
	v_mov_b32_e32 v5, 0
.LBB138_329:
	s_waitcnt vmcnt(0)
	s_delay_alu instid0(VALU_DEP_1)
	v_add_f64 v[0:1], v[0:1], v[4:5]
	v_add_co_u32 v2, vcc_lo, v68, v2
	v_add_co_ci_u32_e32 v3, vcc_lo, v69, v3, vcc_lo
	global_store_b64 v[2:3], v[0:1], off
	s_or_b32 exec_lo, exec_lo, s0
	s_and_b32 s1, s11, s17
	s_delay_alu instid0(SALU_CYCLE_1)
	s_and_saveexec_b32 s0, s1
	s_cbranch_execz .LBB138_250
.LBB138_330:
	scratch_load_b64 v[0:1], off, off offset:384
	v_cmp_ne_u32_e32 vcc_lo, 1, v70
	v_lshlrev_b64 v[2:3], 3, v[32:33]
	s_cbranch_vccnz .LBB138_332
; %bb.331:
	s_delay_alu instid0(VALU_DEP_1) | instskip(NEXT) | instid1(VALU_DEP_2)
	v_add_co_u32 v4, vcc_lo, v71, v2
	v_add_co_ci_u32_e32 v5, vcc_lo, v72, v3, vcc_lo
	flat_load_b64 v[4:5], v[4:5]
	s_waitcnt vmcnt(0) lgkmcnt(0)
	v_mul_f64 v[4:5], s[34:35], v[4:5]
	s_branch .LBB138_333
.LBB138_332:
	v_mov_b32_e32 v4, 0
	v_mov_b32_e32 v5, 0
.LBB138_333:
	s_waitcnt vmcnt(0)
	s_delay_alu instid0(VALU_DEP_1)
	v_add_f64 v[0:1], v[0:1], v[4:5]
	v_add_co_u32 v2, vcc_lo, v68, v2
	v_add_co_ci_u32_e32 v3, vcc_lo, v69, v3, vcc_lo
	global_store_b64 v[2:3], v[0:1], off
	s_or_b32 exec_lo, exec_lo, s0
	s_and_b32 s1, s11, s18
	s_delay_alu instid0(SALU_CYCLE_1)
	s_and_saveexec_b32 s0, s1
	s_cbranch_execz .LBB138_251
.LBB138_334:
	scratch_load_b64 v[0:1], off, off offset:392
	v_cmp_ne_u32_e32 vcc_lo, 1, v70
	v_lshlrev_b64 v[2:3], 3, v[34:35]
	s_cbranch_vccnz .LBB138_336
; %bb.335:
	s_delay_alu instid0(VALU_DEP_1) | instskip(NEXT) | instid1(VALU_DEP_2)
	v_add_co_u32 v4, vcc_lo, v71, v2
	v_add_co_ci_u32_e32 v5, vcc_lo, v72, v3, vcc_lo
	flat_load_b64 v[4:5], v[4:5]
	s_waitcnt vmcnt(0) lgkmcnt(0)
	v_mul_f64 v[4:5], s[34:35], v[4:5]
	s_branch .LBB138_337
.LBB138_336:
	v_mov_b32_e32 v4, 0
	v_mov_b32_e32 v5, 0
.LBB138_337:
	s_waitcnt vmcnt(0)
	s_delay_alu instid0(VALU_DEP_1)
	v_add_f64 v[0:1], v[0:1], v[4:5]
	v_add_co_u32 v2, vcc_lo, v68, v2
	v_add_co_ci_u32_e32 v3, vcc_lo, v69, v3, vcc_lo
	global_store_b64 v[2:3], v[0:1], off
	s_or_b32 exec_lo, exec_lo, s0
	s_and_b32 s1, s11, s19
	s_delay_alu instid0(SALU_CYCLE_1)
	s_and_saveexec_b32 s0, s1
	s_cbranch_execz .LBB138_252
.LBB138_338:
	scratch_load_b64 v[0:1], off, off offset:400
	v_cmp_ne_u32_e32 vcc_lo, 1, v70
	v_lshlrev_b64 v[2:3], 3, v[36:37]
	s_cbranch_vccnz .LBB138_340
; %bb.339:
	s_delay_alu instid0(VALU_DEP_1) | instskip(NEXT) | instid1(VALU_DEP_2)
	v_add_co_u32 v4, vcc_lo, v71, v2
	v_add_co_ci_u32_e32 v5, vcc_lo, v72, v3, vcc_lo
	flat_load_b64 v[4:5], v[4:5]
	s_waitcnt vmcnt(0) lgkmcnt(0)
	v_mul_f64 v[4:5], s[34:35], v[4:5]
	s_branch .LBB138_341
.LBB138_340:
	v_mov_b32_e32 v4, 0
	v_mov_b32_e32 v5, 0
.LBB138_341:
	s_waitcnt vmcnt(0)
	s_delay_alu instid0(VALU_DEP_1)
	v_add_f64 v[0:1], v[0:1], v[4:5]
	v_add_co_u32 v2, vcc_lo, v68, v2
	v_add_co_ci_u32_e32 v3, vcc_lo, v69, v3, vcc_lo
	global_store_b64 v[2:3], v[0:1], off
	s_or_b32 exec_lo, exec_lo, s0
	s_and_b32 s1, s11, s20
	s_delay_alu instid0(SALU_CYCLE_1)
	s_and_saveexec_b32 s0, s1
	s_cbranch_execz .LBB138_253
.LBB138_342:
	scratch_load_b64 v[0:1], off, off offset:408
	v_cmp_ne_u32_e32 vcc_lo, 1, v70
	v_lshlrev_b64 v[2:3], 3, v[38:39]
	s_cbranch_vccnz .LBB138_344
; %bb.343:
	s_delay_alu instid0(VALU_DEP_1) | instskip(NEXT) | instid1(VALU_DEP_2)
	v_add_co_u32 v4, vcc_lo, v71, v2
	v_add_co_ci_u32_e32 v5, vcc_lo, v72, v3, vcc_lo
	flat_load_b64 v[4:5], v[4:5]
	s_waitcnt vmcnt(0) lgkmcnt(0)
	v_mul_f64 v[4:5], s[34:35], v[4:5]
	s_branch .LBB138_345
.LBB138_344:
	v_mov_b32_e32 v4, 0
	v_mov_b32_e32 v5, 0
.LBB138_345:
	s_waitcnt vmcnt(0)
	s_delay_alu instid0(VALU_DEP_1)
	v_add_f64 v[0:1], v[0:1], v[4:5]
	v_add_co_u32 v2, vcc_lo, v68, v2
	v_add_co_ci_u32_e32 v3, vcc_lo, v69, v3, vcc_lo
	global_store_b64 v[2:3], v[0:1], off
	s_or_b32 exec_lo, exec_lo, s0
	s_and_b32 s1, s11, s21
	s_delay_alu instid0(SALU_CYCLE_1)
	s_and_saveexec_b32 s0, s1
	s_cbranch_execz .LBB138_254
.LBB138_346:
	scratch_load_b64 v[0:1], off, off offset:416
	v_cmp_ne_u32_e32 vcc_lo, 1, v70
	v_lshlrev_b64 v[2:3], 3, v[40:41]
	s_cbranch_vccnz .LBB138_348
; %bb.347:
	s_delay_alu instid0(VALU_DEP_1) | instskip(NEXT) | instid1(VALU_DEP_2)
	v_add_co_u32 v4, vcc_lo, v71, v2
	v_add_co_ci_u32_e32 v5, vcc_lo, v72, v3, vcc_lo
	flat_load_b64 v[4:5], v[4:5]
	s_waitcnt vmcnt(0) lgkmcnt(0)
	v_mul_f64 v[4:5], s[34:35], v[4:5]
	s_branch .LBB138_349
.LBB138_348:
	v_mov_b32_e32 v4, 0
	v_mov_b32_e32 v5, 0
.LBB138_349:
	s_waitcnt vmcnt(0)
	s_delay_alu instid0(VALU_DEP_1)
	v_add_f64 v[0:1], v[0:1], v[4:5]
	v_add_co_u32 v2, vcc_lo, v68, v2
	v_add_co_ci_u32_e32 v3, vcc_lo, v69, v3, vcc_lo
	global_store_b64 v[2:3], v[0:1], off
	s_or_b32 exec_lo, exec_lo, s0
	s_and_b32 s1, s11, s22
	s_delay_alu instid0(SALU_CYCLE_1)
	s_and_saveexec_b32 s0, s1
	s_cbranch_execz .LBB138_255
.LBB138_350:
	scratch_load_b64 v[0:1], off, off offset:424
	v_cmp_ne_u32_e32 vcc_lo, 1, v70
	v_lshlrev_b64 v[2:3], 3, v[42:43]
	s_cbranch_vccnz .LBB138_352
; %bb.351:
	s_delay_alu instid0(VALU_DEP_1) | instskip(NEXT) | instid1(VALU_DEP_2)
	v_add_co_u32 v4, vcc_lo, v71, v2
	v_add_co_ci_u32_e32 v5, vcc_lo, v72, v3, vcc_lo
	flat_load_b64 v[4:5], v[4:5]
	s_waitcnt vmcnt(0) lgkmcnt(0)
	v_mul_f64 v[4:5], s[34:35], v[4:5]
	s_branch .LBB138_353
.LBB138_352:
	v_mov_b32_e32 v4, 0
	v_mov_b32_e32 v5, 0
.LBB138_353:
	s_waitcnt vmcnt(0)
	s_delay_alu instid0(VALU_DEP_1)
	v_add_f64 v[0:1], v[0:1], v[4:5]
	v_add_co_u32 v2, vcc_lo, v68, v2
	v_add_co_ci_u32_e32 v3, vcc_lo, v69, v3, vcc_lo
	global_store_b64 v[2:3], v[0:1], off
	s_or_b32 exec_lo, exec_lo, s0
	s_and_b32 s1, s11, s23
	s_delay_alu instid0(SALU_CYCLE_1)
	s_and_saveexec_b32 s0, s1
	s_cbranch_execz .LBB138_256
.LBB138_354:
	scratch_load_b64 v[0:1], off, off offset:432
	v_cmp_ne_u32_e32 vcc_lo, 1, v70
	v_lshlrev_b64 v[2:3], 3, v[44:45]
	s_cbranch_vccnz .LBB138_356
; %bb.355:
	s_delay_alu instid0(VALU_DEP_1) | instskip(NEXT) | instid1(VALU_DEP_2)
	v_add_co_u32 v4, vcc_lo, v71, v2
	v_add_co_ci_u32_e32 v5, vcc_lo, v72, v3, vcc_lo
	flat_load_b64 v[4:5], v[4:5]
	s_waitcnt vmcnt(0) lgkmcnt(0)
	v_mul_f64 v[4:5], s[34:35], v[4:5]
	s_branch .LBB138_357
.LBB138_356:
	v_mov_b32_e32 v4, 0
	v_mov_b32_e32 v5, 0
.LBB138_357:
	s_waitcnt vmcnt(0)
	s_delay_alu instid0(VALU_DEP_1)
	v_add_f64 v[0:1], v[0:1], v[4:5]
	v_add_co_u32 v2, vcc_lo, v68, v2
	v_add_co_ci_u32_e32 v3, vcc_lo, v69, v3, vcc_lo
	global_store_b64 v[2:3], v[0:1], off
	s_or_b32 exec_lo, exec_lo, s0
	s_and_b32 s1, s11, s24
	s_delay_alu instid0(SALU_CYCLE_1)
	s_and_saveexec_b32 s0, s1
	s_cbranch_execz .LBB138_257
.LBB138_358:
	scratch_load_b64 v[0:1], off, off offset:440
	v_cmp_ne_u32_e32 vcc_lo, 1, v70
	v_lshlrev_b64 v[2:3], 3, v[46:47]
	s_cbranch_vccnz .LBB138_360
; %bb.359:
	s_delay_alu instid0(VALU_DEP_1) | instskip(NEXT) | instid1(VALU_DEP_2)
	v_add_co_u32 v4, vcc_lo, v71, v2
	v_add_co_ci_u32_e32 v5, vcc_lo, v72, v3, vcc_lo
	flat_load_b64 v[4:5], v[4:5]
	s_waitcnt vmcnt(0) lgkmcnt(0)
	v_mul_f64 v[4:5], s[34:35], v[4:5]
	s_branch .LBB138_361
.LBB138_360:
	v_mov_b32_e32 v4, 0
	v_mov_b32_e32 v5, 0
.LBB138_361:
	s_waitcnt vmcnt(0)
	s_delay_alu instid0(VALU_DEP_1)
	v_add_f64 v[0:1], v[0:1], v[4:5]
	v_add_co_u32 v2, vcc_lo, v68, v2
	v_add_co_ci_u32_e32 v3, vcc_lo, v69, v3, vcc_lo
	global_store_b64 v[2:3], v[0:1], off
	s_or_b32 exec_lo, exec_lo, s0
	s_and_b32 s1, s11, s25
	s_delay_alu instid0(SALU_CYCLE_1)
	s_and_saveexec_b32 s0, s1
	s_cbranch_execz .LBB138_258
.LBB138_362:
	scratch_load_b64 v[0:1], off, off offset:448
	v_cmp_ne_u32_e32 vcc_lo, 1, v70
	v_lshlrev_b64 v[2:3], 3, v[48:49]
	s_cbranch_vccnz .LBB138_364
; %bb.363:
	s_delay_alu instid0(VALU_DEP_1) | instskip(NEXT) | instid1(VALU_DEP_2)
	v_add_co_u32 v4, vcc_lo, v71, v2
	v_add_co_ci_u32_e32 v5, vcc_lo, v72, v3, vcc_lo
	flat_load_b64 v[4:5], v[4:5]
	s_waitcnt vmcnt(0) lgkmcnt(0)
	v_mul_f64 v[4:5], s[34:35], v[4:5]
	s_branch .LBB138_365
.LBB138_364:
	v_mov_b32_e32 v4, 0
	v_mov_b32_e32 v5, 0
.LBB138_365:
	s_waitcnt vmcnt(0)
	s_delay_alu instid0(VALU_DEP_1)
	v_add_f64 v[0:1], v[0:1], v[4:5]
	v_add_co_u32 v2, vcc_lo, v68, v2
	v_add_co_ci_u32_e32 v3, vcc_lo, v69, v3, vcc_lo
	global_store_b64 v[2:3], v[0:1], off
	s_or_b32 exec_lo, exec_lo, s0
	s_and_b32 s1, s11, s26
	s_delay_alu instid0(SALU_CYCLE_1)
	s_and_saveexec_b32 s0, s1
	s_cbranch_execz .LBB138_259
.LBB138_366:
	scratch_load_b64 v[0:1], off, off offset:456
	v_cmp_ne_u32_e32 vcc_lo, 1, v70
	v_lshlrev_b64 v[2:3], 3, v[50:51]
	s_cbranch_vccnz .LBB138_368
; %bb.367:
	s_delay_alu instid0(VALU_DEP_1) | instskip(NEXT) | instid1(VALU_DEP_2)
	v_add_co_u32 v4, vcc_lo, v71, v2
	v_add_co_ci_u32_e32 v5, vcc_lo, v72, v3, vcc_lo
	flat_load_b64 v[4:5], v[4:5]
	s_waitcnt vmcnt(0) lgkmcnt(0)
	v_mul_f64 v[4:5], s[34:35], v[4:5]
	s_branch .LBB138_369
.LBB138_368:
	v_mov_b32_e32 v4, 0
	v_mov_b32_e32 v5, 0
.LBB138_369:
	s_waitcnt vmcnt(0)
	s_delay_alu instid0(VALU_DEP_1)
	v_add_f64 v[0:1], v[0:1], v[4:5]
	v_add_co_u32 v2, vcc_lo, v68, v2
	v_add_co_ci_u32_e32 v3, vcc_lo, v69, v3, vcc_lo
	global_store_b64 v[2:3], v[0:1], off
	s_or_b32 exec_lo, exec_lo, s0
	s_and_b32 s1, s11, s27
	s_delay_alu instid0(SALU_CYCLE_1)
	s_and_saveexec_b32 s0, s1
	s_cbranch_execz .LBB138_260
.LBB138_370:
	scratch_load_b64 v[0:1], off, off offset:464
	v_cmp_ne_u32_e32 vcc_lo, 1, v70
	v_lshlrev_b64 v[2:3], 3, v[52:53]
	s_cbranch_vccnz .LBB138_372
; %bb.371:
	s_delay_alu instid0(VALU_DEP_1) | instskip(NEXT) | instid1(VALU_DEP_2)
	v_add_co_u32 v4, vcc_lo, v71, v2
	v_add_co_ci_u32_e32 v5, vcc_lo, v72, v3, vcc_lo
	flat_load_b64 v[4:5], v[4:5]
	s_waitcnt vmcnt(0) lgkmcnt(0)
	v_mul_f64 v[4:5], s[34:35], v[4:5]
	s_branch .LBB138_373
.LBB138_372:
	v_mov_b32_e32 v4, 0
	v_mov_b32_e32 v5, 0
.LBB138_373:
	s_waitcnt vmcnt(0)
	s_delay_alu instid0(VALU_DEP_1)
	v_add_f64 v[0:1], v[0:1], v[4:5]
	v_add_co_u32 v2, vcc_lo, v68, v2
	v_add_co_ci_u32_e32 v3, vcc_lo, v69, v3, vcc_lo
	global_store_b64 v[2:3], v[0:1], off
	s_or_b32 exec_lo, exec_lo, s0
	s_and_b32 s1, s11, s28
	s_delay_alu instid0(SALU_CYCLE_1)
	s_and_saveexec_b32 s0, s1
	s_cbranch_execz .LBB138_261
.LBB138_374:
	scratch_load_b64 v[0:1], off, off offset:472
	v_cmp_ne_u32_e32 vcc_lo, 1, v70
	v_lshlrev_b64 v[2:3], 3, v[54:55]
	s_cbranch_vccnz .LBB138_376
; %bb.375:
	s_delay_alu instid0(VALU_DEP_1) | instskip(NEXT) | instid1(VALU_DEP_2)
	v_add_co_u32 v4, vcc_lo, v71, v2
	v_add_co_ci_u32_e32 v5, vcc_lo, v72, v3, vcc_lo
	flat_load_b64 v[4:5], v[4:5]
	s_waitcnt vmcnt(0) lgkmcnt(0)
	v_mul_f64 v[4:5], s[34:35], v[4:5]
	s_branch .LBB138_377
.LBB138_376:
	v_mov_b32_e32 v4, 0
	v_mov_b32_e32 v5, 0
.LBB138_377:
	s_waitcnt vmcnt(0)
	s_delay_alu instid0(VALU_DEP_1)
	v_add_f64 v[0:1], v[0:1], v[4:5]
	v_add_co_u32 v2, vcc_lo, v68, v2
	v_add_co_ci_u32_e32 v3, vcc_lo, v69, v3, vcc_lo
	global_store_b64 v[2:3], v[0:1], off
	s_or_b32 exec_lo, exec_lo, s0
	s_and_b32 s1, s11, s29
	s_delay_alu instid0(SALU_CYCLE_1)
	s_and_saveexec_b32 s0, s1
	s_cbranch_execz .LBB138_262
.LBB138_378:
	scratch_load_b64 v[0:1], off, off offset:480
	v_cmp_ne_u32_e32 vcc_lo, 1, v70
	v_lshlrev_b64 v[2:3], 3, v[56:57]
	s_cbranch_vccnz .LBB138_380
; %bb.379:
	s_delay_alu instid0(VALU_DEP_1) | instskip(NEXT) | instid1(VALU_DEP_2)
	v_add_co_u32 v4, vcc_lo, v71, v2
	v_add_co_ci_u32_e32 v5, vcc_lo, v72, v3, vcc_lo
	flat_load_b64 v[4:5], v[4:5]
	s_waitcnt vmcnt(0) lgkmcnt(0)
	v_mul_f64 v[4:5], s[34:35], v[4:5]
	s_branch .LBB138_381
.LBB138_380:
	v_mov_b32_e32 v4, 0
	v_mov_b32_e32 v5, 0
.LBB138_381:
	s_waitcnt vmcnt(0)
	s_delay_alu instid0(VALU_DEP_1)
	v_add_f64 v[0:1], v[0:1], v[4:5]
	v_add_co_u32 v2, vcc_lo, v68, v2
	v_add_co_ci_u32_e32 v3, vcc_lo, v69, v3, vcc_lo
	global_store_b64 v[2:3], v[0:1], off
	s_or_b32 exec_lo, exec_lo, s0
	s_and_b32 s1, s11, s30
	s_delay_alu instid0(SALU_CYCLE_1)
	s_and_saveexec_b32 s0, s1
	s_cbranch_execz .LBB138_263
.LBB138_382:
	scratch_load_b64 v[0:1], off, off offset:488
	v_cmp_ne_u32_e32 vcc_lo, 1, v70
	v_lshlrev_b64 v[2:3], 3, v[58:59]
	s_cbranch_vccnz .LBB138_384
; %bb.383:
	s_delay_alu instid0(VALU_DEP_1) | instskip(NEXT) | instid1(VALU_DEP_2)
	v_add_co_u32 v4, vcc_lo, v71, v2
	v_add_co_ci_u32_e32 v5, vcc_lo, v72, v3, vcc_lo
	flat_load_b64 v[4:5], v[4:5]
	s_waitcnt vmcnt(0) lgkmcnt(0)
	v_mul_f64 v[4:5], s[34:35], v[4:5]
	s_branch .LBB138_385
.LBB138_384:
	v_mov_b32_e32 v4, 0
	v_mov_b32_e32 v5, 0
.LBB138_385:
	s_waitcnt vmcnt(0)
	s_delay_alu instid0(VALU_DEP_1)
	v_add_f64 v[0:1], v[0:1], v[4:5]
	v_add_co_u32 v2, vcc_lo, v68, v2
	v_add_co_ci_u32_e32 v3, vcc_lo, v69, v3, vcc_lo
	global_store_b64 v[2:3], v[0:1], off
	s_or_b32 exec_lo, exec_lo, s0
	s_and_b32 s1, s11, s31
	s_delay_alu instid0(SALU_CYCLE_1)
	s_and_saveexec_b32 s0, s1
	s_cbranch_execz .LBB138_264
.LBB138_386:
	scratch_load_b64 v[0:1], off, off offset:496
	v_cmp_ne_u32_e32 vcc_lo, 1, v70
	v_lshlrev_b64 v[2:3], 3, v[60:61]
	s_cbranch_vccnz .LBB138_388
; %bb.387:
	s_delay_alu instid0(VALU_DEP_1) | instskip(NEXT) | instid1(VALU_DEP_2)
	v_add_co_u32 v4, vcc_lo, v71, v2
	v_add_co_ci_u32_e32 v5, vcc_lo, v72, v3, vcc_lo
	flat_load_b64 v[4:5], v[4:5]
	s_waitcnt vmcnt(0) lgkmcnt(0)
	v_mul_f64 v[4:5], s[34:35], v[4:5]
	s_branch .LBB138_389
.LBB138_388:
	v_mov_b32_e32 v4, 0
	v_mov_b32_e32 v5, 0
.LBB138_389:
	s_waitcnt vmcnt(0)
	s_delay_alu instid0(VALU_DEP_1)
	v_add_f64 v[0:1], v[0:1], v[4:5]
	v_add_co_u32 v2, vcc_lo, v68, v2
	v_add_co_ci_u32_e32 v3, vcc_lo, v69, v3, vcc_lo
	global_store_b64 v[2:3], v[0:1], off
	s_or_b32 exec_lo, exec_lo, s0
	s_and_b32 s0, s11, s33
	s_delay_alu instid0(SALU_CYCLE_1)
	s_and_saveexec_b32 s1, s0
	s_cbranch_execz .LBB138_265
.LBB138_390:
	scratch_load_b64 v[0:1], off, off offset:504
	v_cmp_ne_u32_e32 vcc_lo, 1, v70
	v_lshlrev_b64 v[2:3], 3, v[62:63]
	s_cbranch_vccnz .LBB138_392
; %bb.391:
	s_delay_alu instid0(VALU_DEP_1) | instskip(NEXT) | instid1(VALU_DEP_2)
	v_add_co_u32 v4, vcc_lo, v71, v2
	v_add_co_ci_u32_e32 v5, vcc_lo, v72, v3, vcc_lo
	flat_load_b64 v[4:5], v[4:5]
	s_waitcnt vmcnt(0) lgkmcnt(0)
	v_mul_f64 v[4:5], s[34:35], v[4:5]
	s_branch .LBB138_393
.LBB138_392:
	v_mov_b32_e32 v4, 0
	v_mov_b32_e32 v5, 0
.LBB138_393:
	s_waitcnt vmcnt(0)
	s_delay_alu instid0(VALU_DEP_1)
	v_add_f64 v[0:1], v[0:1], v[4:5]
	v_add_co_u32 v2, vcc_lo, v68, v2
	v_add_co_ci_u32_e32 v3, vcc_lo, v69, v3, vcc_lo
	global_store_b64 v[2:3], v[0:1], off
	s_endpgm
	.section	.rodata,"a",@progbits
	.p2align	6, 0x0
	.amdhsa_kernel _ZN12_GLOBAL__N_120geam_min_plus_kernelIdddLi4ELi64ELi128ELi128ELi4ELi4ELi64ELi4ELi64ELc84ELc78ELb0ELb1ELb0EPKdKS2_KPdEEviiiT16_PT17_ilS8_ilS6_S8_ilPT18_ili26rocblas_geam_ex_operation_
		.amdhsa_group_segment_fixed_size 16384
		.amdhsa_private_segment_fixed_size 528
		.amdhsa_kernarg_size 136
		.amdhsa_user_sgpr_count 14
		.amdhsa_user_sgpr_dispatch_ptr 0
		.amdhsa_user_sgpr_queue_ptr 0
		.amdhsa_user_sgpr_kernarg_segment_ptr 1
		.amdhsa_user_sgpr_dispatch_id 0
		.amdhsa_user_sgpr_private_segment_size 0
		.amdhsa_wavefront_size32 1
		.amdhsa_uses_dynamic_stack 0
		.amdhsa_enable_private_segment 1
		.amdhsa_system_sgpr_workgroup_id_x 1
		.amdhsa_system_sgpr_workgroup_id_y 0
		.amdhsa_system_sgpr_workgroup_id_z 1
		.amdhsa_system_sgpr_workgroup_info 0
		.amdhsa_system_vgpr_workitem_id 1
		.amdhsa_next_free_vgpr 250
		.amdhsa_next_free_sgpr 46
		.amdhsa_reserve_vcc 1
		.amdhsa_float_round_mode_32 0
		.amdhsa_float_round_mode_16_64 0
		.amdhsa_float_denorm_mode_32 3
		.amdhsa_float_denorm_mode_16_64 3
		.amdhsa_dx10_clamp 1
		.amdhsa_ieee_mode 1
		.amdhsa_fp16_overflow 0
		.amdhsa_workgroup_processor_mode 1
		.amdhsa_memory_ordered 1
		.amdhsa_forward_progress 0
		.amdhsa_shared_vgpr_count 0
		.amdhsa_exception_fp_ieee_invalid_op 0
		.amdhsa_exception_fp_denorm_src 0
		.amdhsa_exception_fp_ieee_div_zero 0
		.amdhsa_exception_fp_ieee_overflow 0
		.amdhsa_exception_fp_ieee_underflow 0
		.amdhsa_exception_fp_ieee_inexact 0
		.amdhsa_exception_int_div_zero 0
	.end_amdhsa_kernel
	.section	.text._ZN12_GLOBAL__N_120geam_min_plus_kernelIdddLi4ELi64ELi128ELi128ELi4ELi4ELi64ELi4ELi64ELc84ELc78ELb0ELb1ELb0EPKdKS2_KPdEEviiiT16_PT17_ilS8_ilS6_S8_ilPT18_ili26rocblas_geam_ex_operation_,"axG",@progbits,_ZN12_GLOBAL__N_120geam_min_plus_kernelIdddLi4ELi64ELi128ELi128ELi4ELi4ELi64ELi4ELi64ELc84ELc78ELb0ELb1ELb0EPKdKS2_KPdEEviiiT16_PT17_ilS8_ilS6_S8_ilPT18_ili26rocblas_geam_ex_operation_,comdat
.Lfunc_end138:
	.size	_ZN12_GLOBAL__N_120geam_min_plus_kernelIdddLi4ELi64ELi128ELi128ELi4ELi4ELi64ELi4ELi64ELc84ELc78ELb0ELb1ELb0EPKdKS2_KPdEEviiiT16_PT17_ilS8_ilS6_S8_ilPT18_ili26rocblas_geam_ex_operation_, .Lfunc_end138-_ZN12_GLOBAL__N_120geam_min_plus_kernelIdddLi4ELi64ELi128ELi128ELi4ELi4ELi64ELi4ELi64ELc84ELc78ELb0ELb1ELb0EPKdKS2_KPdEEviiiT16_PT17_ilS8_ilS6_S8_ilPT18_ili26rocblas_geam_ex_operation_
                                        ; -- End function
	.section	.AMDGPU.csdata,"",@progbits
; Kernel info:
; codeLenInByte = 47320
; NumSgprs: 48
; NumVgprs: 250
; ScratchSize: 528
; MemoryBound: 1
; FloatMode: 240
; IeeeMode: 1
; LDSByteSize: 16384 bytes/workgroup (compile time only)
; SGPRBlocks: 5
; VGPRBlocks: 31
; NumSGPRsForWavesPerEU: 48
; NumVGPRsForWavesPerEU: 250
; Occupancy: 5
; WaveLimiterHint : 1
; COMPUTE_PGM_RSRC2:SCRATCH_EN: 1
; COMPUTE_PGM_RSRC2:USER_SGPR: 14
; COMPUTE_PGM_RSRC2:TRAP_HANDLER: 0
; COMPUTE_PGM_RSRC2:TGID_X_EN: 1
; COMPUTE_PGM_RSRC2:TGID_Y_EN: 0
; COMPUTE_PGM_RSRC2:TGID_Z_EN: 1
; COMPUTE_PGM_RSRC2:TIDIG_COMP_CNT: 1
	.section	.text._ZN12_GLOBAL__N_120geam_min_plus_kernelIdddLi4ELi64ELi128ELi128ELi4ELi4ELi64ELi4ELi64ELc84ELc78ELb1ELb1ELb0EdKPKdKPdEEviiiT16_PT17_ilS8_ilS6_S8_ilPT18_ili26rocblas_geam_ex_operation_,"axG",@progbits,_ZN12_GLOBAL__N_120geam_min_plus_kernelIdddLi4ELi64ELi128ELi128ELi4ELi4ELi64ELi4ELi64ELc84ELc78ELb1ELb1ELb0EdKPKdKPdEEviiiT16_PT17_ilS8_ilS6_S8_ilPT18_ili26rocblas_geam_ex_operation_,comdat
	.globl	_ZN12_GLOBAL__N_120geam_min_plus_kernelIdddLi4ELi64ELi128ELi128ELi4ELi4ELi64ELi4ELi64ELc84ELc78ELb1ELb1ELb0EdKPKdKPdEEviiiT16_PT17_ilS8_ilS6_S8_ilPT18_ili26rocblas_geam_ex_operation_ ; -- Begin function _ZN12_GLOBAL__N_120geam_min_plus_kernelIdddLi4ELi64ELi128ELi128ELi4ELi4ELi64ELi4ELi64ELc84ELc78ELb1ELb1ELb0EdKPKdKPdEEviiiT16_PT17_ilS8_ilS6_S8_ilPT18_ili26rocblas_geam_ex_operation_
	.p2align	8
	.type	_ZN12_GLOBAL__N_120geam_min_plus_kernelIdddLi4ELi64ELi128ELi128ELi4ELi4ELi64ELi4ELi64ELc84ELc78ELb1ELb1ELb0EdKPKdKPdEEviiiT16_PT17_ilS8_ilS6_S8_ilPT18_ili26rocblas_geam_ex_operation_,@function
_ZN12_GLOBAL__N_120geam_min_plus_kernelIdddLi4ELi64ELi128ELi128ELi4ELi4ELi64ELi4ELi64ELc84ELc78ELb1ELb1ELb0EdKPKdKPdEEviiiT16_PT17_ilS8_ilS6_S8_ilPT18_ili26rocblas_geam_ex_operation_: ; @_ZN12_GLOBAL__N_120geam_min_plus_kernelIdddLi4ELi64ELi128ELi128ELi4ELi4ELi64ELi4ELi64ELc84ELc78ELb1ELb1ELb0EdKPKdKPdEEviiiT16_PT17_ilS8_ilS6_S8_ilPT18_ili26rocblas_geam_ex_operation_
; %bb.0:
	s_clause 0x1
	s_load_b128 s[8:11], s[0:1], 0x10
	s_load_b128 s[4:7], s[0:1], 0x28
	s_mov_b32 s2, s15
	s_mov_b64 s[12:13], 0
	s_waitcnt lgkmcnt(0)
	v_cmp_eq_f64_e64 s15, s[8:9], 0
	s_delay_alu instid0(VALU_DEP_1)
	s_and_b32 vcc_lo, exec_lo, s15
	s_cbranch_vccnz .LBB139_2
; %bb.1:
	s_mov_b32 s3, 0
	s_delay_alu instid0(SALU_CYCLE_1) | instskip(NEXT) | instid1(SALU_CYCLE_1)
	s_lshl_b64 s[8:9], s[2:3], 3
	s_add_u32 s8, s10, s8
	s_addc_u32 s9, s11, s9
	s_lshl_b64 s[4:5], s[4:5], 3
	s_load_b64 s[8:9], s[8:9], 0x0
	s_waitcnt lgkmcnt(0)
	s_add_u32 s12, s8, s4
	s_addc_u32 s13, s9, s5
.LBB139_2:
	s_clause 0x1
	s_load_b128 s[36:39], s[0:1], 0x40
	s_load_b64 s[8:9], s[0:1], 0x50
	s_and_not1_b32 vcc_lo, exec_lo, s15
	s_cbranch_vccnz .LBB139_4
; %bb.3:
	s_mov_b32 s3, 0
	s_mov_b64 s[10:11], 0
	s_cbranch_execz .LBB139_5
	s_branch .LBB139_6
.LBB139_4:
	s_mov_b32 s3, -1
                                        ; implicit-def: $sgpr10_sgpr11
.LBB139_5:
	s_mov_b32 s3, 0
	s_delay_alu instid0(SALU_CYCLE_1) | instskip(NEXT) | instid1(SALU_CYCLE_1)
	s_lshl_b64 s[4:5], s[2:3], 3
	s_add_u32 s4, s6, s4
	s_addc_u32 s5, s7, s5
	s_waitcnt lgkmcnt(0)
	s_lshl_b64 s[6:7], s[36:37], 3
	s_load_b64 s[4:5], s[4:5], 0x0
	s_waitcnt lgkmcnt(0)
	s_add_u32 s10, s4, s6
	s_addc_u32 s11, s5, s7
.LBB139_6:
	s_waitcnt lgkmcnt(0)
	v_cmp_eq_f64_e64 s15, s[38:39], 0
	v_cmp_neq_f64_e64 s36, s[38:39], 0
	s_load_b128 s[4:7], s[0:1], 0x60
	s_mov_b64 s[34:35], 0
	s_delay_alu instid0(VALU_DEP_2)
	s_and_b32 vcc_lo, exec_lo, s15
	s_cbranch_vccnz .LBB139_8
; %bb.7:
	s_lshl_b64 s[16:17], s[2:3], 3
	s_delay_alu instid0(SALU_CYCLE_1)
	s_add_u32 s8, s8, s16
	s_addc_u32 s9, s9, s17
	s_waitcnt lgkmcnt(0)
	s_lshl_b64 s[4:5], s[4:5], 3
	s_load_b64 s[8:9], s[8:9], 0x0
	s_waitcnt lgkmcnt(0)
	s_add_u32 s34, s8, s4
	s_addc_u32 s35, s9, s5
.LBB139_8:
	s_clause 0x1
	s_load_b128 s[40:43], s[0:1], 0x0
	s_load_b32 s17, s[0:1], 0x20
	s_lshl_b64 s[2:3], s[2:3], 3
	s_waitcnt lgkmcnt(0)
	s_mov_b32 s4, 0
	s_add_u32 s2, s6, s2
	s_addc_u32 s3, s7, s3
	s_mov_b32 s5, s4
	s_load_b64 s[8:9], s[2:3], 0x0
	v_and_b32_e32 v88, 0x3ff, v0
	v_bfe_u32 v89, v0, 10, 10
	s_add_i32 s2, s40, -1
	s_delay_alu instid0(SALU_CYCLE_1) | instskip(NEXT) | instid1(SALU_CYCLE_1)
	s_ashr_i32 s3, s2, 31
	s_lshr_b32 s3, s3, 25
	s_delay_alu instid0(SALU_CYCLE_1) | instskip(NEXT) | instid1(SALU_CYCLE_1)
	s_add_i32 s2, s2, s3
	s_ashr_i32 s2, s2, 7
	s_delay_alu instid0(SALU_CYCLE_1) | instskip(SKIP_2) | instid1(VALU_DEP_1)
	s_add_i32 s3, s2, 1
	s_not_b32 s2, s2
	v_cvt_f32_u32_e32 v1, s3
	v_rcp_iflag_f32_e32 v1, v1
	v_dual_mov_b32 v4, s4 :: v_dual_mov_b32 v5, s5
	v_lshrrev_b32_e32 v0, 2, v88
	v_and_b32_e32 v90, 3, v88
	s_delay_alu instid0(VALU_DEP_2)
	v_add_nc_u32_e32 v8, v0, v89
	s_waitcnt_depctr 0xfff
	v_mul_f32_e32 v1, 0x4f7ffffe, v1
	s_clause 0xa
	scratch_store_b64 off, v[4:5], off
	scratch_store_b64 off, v[4:5], off offset:8
	scratch_store_b64 off, v[4:5], off offset:16
	;; [unrolled: 1-line block ×10, first 2 shown]
	v_cvt_u32_f32_e32 v1, v1
	s_clause 0xe
	scratch_store_b64 off, v[4:5], off offset:88
	scratch_store_b64 off, v[4:5], off offset:96
	;; [unrolled: 1-line block ×15, first 2 shown]
	v_readfirstlane_b32 s4, v1
	v_mov_b32_e32 v0, 0
	v_mov_b32_e32 v1, 0
	v_lshlrev_b32_e32 v9, 3, v90
	v_cmp_le_i32_e32 vcc_lo, s42, v90
	s_mul_i32 s2, s2, s4
	s_clause 0x3
	scratch_store_b64 off, v[4:5], off offset:208
	scratch_store_b64 off, v[4:5], off offset:216
	;; [unrolled: 1-line block ×4, first 2 shown]
	s_mul_hi_u32 s2, s4, s2
	v_dual_mov_b32 v3, v1 :: v_dual_mov_b32 v2, v0
	s_add_i32 s4, s4, s2
	s_clause 0x3
	scratch_store_b64 off, v[4:5], off offset:240
	scratch_store_b64 off, v[4:5], off offset:248
	;; [unrolled: 1-line block ×4, first 2 shown]
	s_mul_hi_u32 s2, s14, s4
	s_clause 0x1
	scratch_store_b64 off, v[4:5], off offset:272
	scratch_store_b64 off, v[4:5], off offset:280
	s_mul_i32 s4, s2, s3
	s_add_i32 s5, s2, 1
	s_sub_i32 s4, s14, s4
	s_clause 0x3
	scratch_store_b64 off, v[4:5], off offset:288
	scratch_store_b64 off, v[4:5], off offset:296
	;; [unrolled: 1-line block ×4, first 2 shown]
	s_sub_i32 s6, s4, s3
	s_cmp_ge_u32 s4, s3
	s_clause 0x3
	scratch_store_b64 off, v[4:5], off offset:320
	scratch_store_b64 off, v[4:5], off offset:328
	scratch_store_b64 off, v[4:5], off offset:336
	scratch_store_b64 off, v[4:5], off offset:344
	s_cselect_b32 s2, s5, s2
	s_cselect_b32 s4, s6, s4
	s_add_i32 s5, s2, 1
	s_cmp_ge_u32 s4, s3
	s_clause 0x1
	scratch_store_b64 off, v[4:5], off offset:352
	scratch_store_b64 off, v[4:5], off offset:360
	s_cselect_b32 s5, s5, s2
	s_clause 0xe
	scratch_store_b64 off, v[4:5], off offset:368
	scratch_store_b64 off, v[4:5], off offset:376
	;; [unrolled: 1-line block ×15, first 2 shown]
	s_mul_i32 s2, s5, s3
	v_add_co_u32 v10, s3, s12, v9
	s_sub_i32 s2, s14, s2
	v_add_co_ci_u32_e64 v11, null, s13, 0, s3
	s_lshl_b32 s14, s2, 7
	s_clause 0x2
	scratch_store_b64 off, v[4:5], off offset:488
	scratch_store_b64 off, v[4:5], off offset:496
	;; [unrolled: 1-line block ×3, first 2 shown]
	v_add_nc_u32_e32 v76, s14, v8
	s_delay_alu instid0(VALU_DEP_1) | instskip(NEXT) | instid1(VALU_DEP_1)
	v_cmp_le_i32_e64 s2, s40, v76
	s_or_b32 s3, vcc_lo, s2
	s_delay_alu instid0(SALU_CYCLE_1) | instskip(NEXT) | instid1(SALU_CYCLE_1)
	s_xor_b32 s3, s3, -1
	s_and_saveexec_b32 s4, s3
	s_cbranch_execz .LBB139_10
; %bb.9:
	v_mad_i64_i32 v[2:3], null, v76, s17, 0
	s_delay_alu instid0(VALU_DEP_1) | instskip(NEXT) | instid1(VALU_DEP_1)
	v_lshlrev_b64 v[2:3], 3, v[2:3]
	v_add_co_u32 v2, s3, v10, v2
	s_delay_alu instid0(VALU_DEP_1)
	v_add_co_ci_u32_e64 v3, s3, v11, v3, s3
	flat_load_b64 v[2:3], v[2:3]
.LBB139_10:
	s_or_b32 exec_lo, exec_lo, s4
	v_add_nc_u32_e32 v77, 64, v76
	s_delay_alu instid0(VALU_DEP_1) | instskip(NEXT) | instid1(VALU_DEP_1)
	v_cmp_le_i32_e64 s3, s40, v77
	s_or_b32 s4, vcc_lo, s3
	s_delay_alu instid0(SALU_CYCLE_1) | instskip(NEXT) | instid1(SALU_CYCLE_1)
	s_xor_b32 s4, s4, -1
	s_and_saveexec_b32 s6, s4
	s_cbranch_execz .LBB139_12
; %bb.11:
	v_mad_i64_i32 v[0:1], null, v77, s17, 0
	s_delay_alu instid0(VALU_DEP_1) | instskip(NEXT) | instid1(VALU_DEP_1)
	v_lshlrev_b64 v[0:1], 3, v[0:1]
	v_add_co_u32 v0, s4, v10, v0
	s_delay_alu instid0(VALU_DEP_1)
	v_add_co_ci_u32_e64 v1, s4, v11, v1, s4
	flat_load_b64 v[0:1], v[0:1]
.LBB139_12:
	s_or_b32 exec_lo, exec_lo, s6
	s_load_b32 s18, s[0:1], 0x38
	s_lshl_b32 s15, s5, 7
	v_mov_b32_e32 v4, 0
	v_dual_mov_b32 v5, 0 :: v_dual_add_nc_u32 v78, s15, v8
	v_add_co_u32 v12, s5, s10, v9
	s_delay_alu instid0(VALU_DEP_1) | instskip(NEXT) | instid1(VALU_DEP_3)
	v_add_co_ci_u32_e64 v13, null, s11, 0, s5
	v_cmp_le_i32_e64 s4, s41, v78
	s_delay_alu instid0(VALU_DEP_4) | instskip(NEXT) | instid1(VALU_DEP_2)
	v_dual_mov_b32 v7, v5 :: v_dual_mov_b32 v6, v4
	s_or_b32 s5, vcc_lo, s4
	s_delay_alu instid0(SALU_CYCLE_1) | instskip(NEXT) | instid1(SALU_CYCLE_1)
	s_xor_b32 s5, s5, -1
	s_and_saveexec_b32 s6, s5
	s_cbranch_execz .LBB139_14
; %bb.13:
	s_waitcnt lgkmcnt(0)
	v_mad_i64_i32 v[6:7], null, v78, s18, 0
	s_delay_alu instid0(VALU_DEP_1) | instskip(NEXT) | instid1(VALU_DEP_1)
	v_lshlrev_b64 v[6:7], 3, v[6:7]
	v_add_co_u32 v6, s5, v12, v6
	s_delay_alu instid0(VALU_DEP_1)
	v_add_co_ci_u32_e64 v7, s5, v13, v7, s5
	flat_load_b64 v[6:7], v[6:7]
.LBB139_14:
	s_or_b32 exec_lo, exec_lo, s6
	v_add_nc_u32_e32 v79, 64, v78
	s_delay_alu instid0(VALU_DEP_1) | instskip(NEXT) | instid1(VALU_DEP_1)
	v_cmp_le_i32_e64 s5, s41, v79
	s_or_b32 s6, vcc_lo, s5
	s_delay_alu instid0(SALU_CYCLE_1) | instskip(NEXT) | instid1(SALU_CYCLE_1)
	s_xor_b32 s7, s6, -1
	s_and_saveexec_b32 s6, s7
	s_cbranch_execz .LBB139_16
; %bb.15:
	s_waitcnt lgkmcnt(0)
	v_mad_i64_i32 v[4:5], null, v79, s18, 0
	s_delay_alu instid0(VALU_DEP_1) | instskip(NEXT) | instid1(VALU_DEP_1)
	v_lshlrev_b64 v[4:5], 3, v[4:5]
	v_add_co_u32 v4, vcc_lo, v12, v4
	s_delay_alu instid0(VALU_DEP_2)
	v_add_co_ci_u32_e32 v5, vcc_lo, v13, v5, vcc_lo
	flat_load_b64 v[4:5], v[4:5]
.LBB139_16:
	s_or_b32 exec_lo, exec_lo, s6
	v_or_b32_e32 v14, 4, v90
	v_mov_b32_e32 v68, 0
	v_mov_b32_e32 v69, 0
	s_delay_alu instid0(VALU_DEP_3) | instskip(NEXT) | instid1(VALU_DEP_2)
	v_cmp_le_i32_e32 vcc_lo, s42, v14
	v_dual_mov_b32 v71, v69 :: v_dual_mov_b32 v70, v68
	s_or_b32 s6, vcc_lo, s2
	s_delay_alu instid0(SALU_CYCLE_1) | instskip(NEXT) | instid1(SALU_CYCLE_1)
	s_xor_b32 s6, s6, -1
	s_and_saveexec_b32 s7, s6
	s_cbranch_execz .LBB139_18
; %bb.17:
	v_mad_i64_i32 v[14:15], null, v76, s17, 0
	s_delay_alu instid0(VALU_DEP_1) | instskip(NEXT) | instid1(VALU_DEP_1)
	v_lshlrev_b64 v[14:15], 3, v[14:15]
	v_add_co_u32 v14, s6, v10, v14
	s_delay_alu instid0(VALU_DEP_1)
	v_add_co_ci_u32_e64 v15, s6, v11, v15, s6
	flat_load_b64 v[70:71], v[14:15] offset:32
.LBB139_18:
	s_or_b32 exec_lo, exec_lo, s7
	s_or_b32 s6, vcc_lo, s3
	s_delay_alu instid0(SALU_CYCLE_1) | instskip(NEXT) | instid1(SALU_CYCLE_1)
	s_xor_b32 s6, s6, -1
	s_and_saveexec_b32 s7, s6
	s_cbranch_execz .LBB139_20
; %bb.19:
	v_mad_i64_i32 v[14:15], null, v77, s17, 0
	s_delay_alu instid0(VALU_DEP_1) | instskip(NEXT) | instid1(VALU_DEP_1)
	v_lshlrev_b64 v[14:15], 3, v[14:15]
	v_add_co_u32 v10, s6, v10, v14
	s_delay_alu instid0(VALU_DEP_1)
	v_add_co_ci_u32_e64 v11, s6, v11, v15, s6
	flat_load_b64 v[68:69], v[10:11] offset:32
.LBB139_20:
	s_or_b32 exec_lo, exec_lo, s7
	v_mov_b32_e32 v72, 0
	v_mov_b32_e32 v73, 0
	s_or_b32 s6, vcc_lo, s4
	s_delay_alu instid0(SALU_CYCLE_1) | instskip(NEXT) | instid1(VALU_DEP_1)
	s_xor_b32 s6, s6, -1
	v_dual_mov_b32 v75, v73 :: v_dual_mov_b32 v74, v72
	s_and_saveexec_b32 s7, s6
	s_cbranch_execz .LBB139_22
; %bb.21:
	s_waitcnt lgkmcnt(0)
	v_mad_i64_i32 v[10:11], null, v78, s18, 0
	s_delay_alu instid0(VALU_DEP_1) | instskip(NEXT) | instid1(VALU_DEP_1)
	v_lshlrev_b64 v[10:11], 3, v[10:11]
	v_add_co_u32 v10, s6, v12, v10
	s_delay_alu instid0(VALU_DEP_1)
	v_add_co_ci_u32_e64 v11, s6, v13, v11, s6
	flat_load_b64 v[74:75], v[10:11] offset:32
.LBB139_22:
	s_or_b32 exec_lo, exec_lo, s7
	s_or_b32 s6, vcc_lo, s5
	s_delay_alu instid0(SALU_CYCLE_1) | instskip(NEXT) | instid1(SALU_CYCLE_1)
	s_xor_b32 s7, s6, -1
	s_and_saveexec_b32 s6, s7
	s_cbranch_execz .LBB139_24
; %bb.23:
	s_waitcnt lgkmcnt(0)
	v_mad_i64_i32 v[10:11], null, v79, s18, 0
	s_delay_alu instid0(VALU_DEP_1) | instskip(NEXT) | instid1(VALU_DEP_1)
	v_lshlrev_b64 v[10:11], 3, v[10:11]
	v_add_co_u32 v10, vcc_lo, v12, v10
	s_delay_alu instid0(VALU_DEP_2)
	v_add_co_ci_u32_e32 v11, vcc_lo, v13, v11, vcc_lo
	flat_load_b64 v[72:73], v[10:11] offset:32
.LBB139_24:
	s_or_b32 exec_lo, exec_lo, s6
	v_dual_mov_b32 v80, 0 :: v_dual_lshlrev_b32 v91, 5, v88
	v_lshl_or_b32 v92, v8, 5, v9
	v_dual_mov_b32 v82, 16 :: v_dual_lshlrev_b32 v93, 5, v89
	s_delay_alu instid0(VALU_DEP_3)
	v_dual_mov_b32 v83, 24 :: v_dual_add_nc_u32 v52, 0x800, v91
	s_waitcnt vmcnt(0) lgkmcnt(0)
	ds_store_2addr_stride64_b64 v92, v[2:3], v[0:1] offset1:4
	ds_store_2addr_stride64_b64 v92, v[6:7], v[4:5] offset0:16 offset1:20
	s_waitcnt lgkmcnt(0)
	s_waitcnt_vscnt null, 0x0
	s_barrier
	buffer_gl0_inv
	ds_load_2addr_b64 v[0:3], v91 offset1:16
	ds_load_2addr_b64 v[4:7], v91 offset0:32 offset1:48
	ds_load_2addr_b64 v[8:11], v91 offset0:64 offset1:80
	;; [unrolled: 1-line block ×5, first 2 shown]
	ds_load_2addr_b64 v[24:27], v52 offset1:16
	ds_load_2addr_b64 v[28:31], v52 offset0:32 offset1:48
	ds_load_2addr_b64 v[32:35], v52 offset0:64 offset1:80
	;; [unrolled: 1-line block ×9, first 2 shown]
	ds_load_2addr_stride64_b64 v[64:67], v93 offset0:16 offset1:20
	v_dual_mov_b32 v81, 8 :: v_dual_add_nc_u32 v94, 0x2000, v92
	v_dual_mov_b32 v84, 32 :: v_dual_add_nc_u32 v95, 0x2000, v93
	v_dual_mov_b32 v85, 40 :: v_dual_mov_b32 v86, 48
	v_dual_mov_b32 v87, 56 :: v_dual_mov_b32 v96, 64
	v_mov_b32_e32 v97, 0x48
	v_mov_b32_e32 v98, 0x50
	;; [unrolled: 1-line block ×23, first 2 shown]
	s_mov_b64 s[6:7], 0
	s_mov_b32 s16, -1
.LBB139_25:                             ; =>This Inner Loop Header: Depth=1
	scratch_load_b64 v[120:121], v80, off
	scratch_load_b64 v[122:123], v81, off
	;; [unrolled: 1-line block ×32, first 2 shown]
	s_cmp_eq_u32 s6, 1
	s_waitcnt lgkmcnt(16)
	v_max_f64 v[186:187], v[0:1], v[0:1]
	s_cselect_b32 vcc_lo, -1, 0
	v_max_f64 v[188:189], v[2:3], v[2:3]
	s_waitcnt lgkmcnt(0)
	v_dual_cndmask_b32 v185, v65, v67 :: v_dual_cndmask_b32 v184, v64, v66
	v_max_f64 v[190:191], v[4:5], v[4:5]
	v_max_f64 v[192:193], v[6:7], v[6:7]
	;; [unrolled: 1-line block ×31, first 2 shown]
	s_mov_b64 s[6:7], 1
	s_and_b32 vcc_lo, exec_lo, s16
	s_mov_b32 s16, 0
	v_min_f64 v[186:187], v[186:187], v[184:185]
	v_min_f64 v[188:189], v[188:189], v[184:185]
	;; [unrolled: 1-line block ×32, first 2 shown]
	s_waitcnt vmcnt(31)
	v_add_f64 v[120:121], v[120:121], v[186:187]
	s_waitcnt vmcnt(30)
	v_add_f64 v[122:123], v[188:189], v[122:123]
	;; [unrolled: 2-line block ×32, first 2 shown]
	scratch_store_b64 v80, v[120:121], off
	scratch_store_b64 v81, v[122:123], off
	;; [unrolled: 1-line block ×32, first 2 shown]
	v_mov_b32_e32 v80, 0x100
	v_mov_b32_e32 v81, 0x108
	;; [unrolled: 1-line block ×32, first 2 shown]
	s_cbranch_vccnz .LBB139_25
; %bb.26:
	v_dual_mov_b32 v81, 8 :: v_dual_add_nc_u32 v60, 0x800, v91
	ds_load_2addr_b64 v[0:3], v91 offset0:1 offset1:17
	ds_load_2addr_b64 v[4:7], v91 offset0:33 offset1:49
	ds_load_2addr_b64 v[8:11], v91 offset0:65 offset1:81
	ds_load_2addr_b64 v[12:15], v91 offset0:97 offset1:113
	ds_load_2addr_b64 v[16:19], v91 offset0:129 offset1:145
	ds_load_2addr_b64 v[20:23], v91 offset0:161 offset1:177
	ds_load_2addr_b64 v[24:27], v91 offset0:193 offset1:209
	ds_load_2addr_b64 v[28:31], v91 offset0:225 offset1:241
	ds_load_2addr_b64 v[32:35], v60 offset0:1 offset1:17
	ds_load_2addr_b64 v[36:39], v60 offset0:33 offset1:49
	ds_load_2addr_b64 v[40:43], v60 offset0:65 offset1:81
	ds_load_2addr_b64 v[44:47], v60 offset0:97 offset1:113
	v_dual_mov_b32 v83, 24 :: v_dual_add_nc_u32 v64, 8, v95
	ds_load_2addr_b64 v[48:51], v60 offset0:129 offset1:145
	ds_load_2addr_b64 v[52:55], v60 offset0:161 offset1:177
	ds_load_2addr_b64 v[56:59], v60 offset0:193 offset1:209
	ds_load_2addr_b64 v[60:63], v60 offset0:225 offset1:241
	ds_load_2addr_stride64_b64 v[64:67], v64 offset1:4
	v_dual_mov_b32 v80, 0 :: v_dual_mov_b32 v85, 40
	v_dual_mov_b32 v82, 16 :: v_dual_mov_b32 v87, 56
	;; [unrolled: 1-line block ×5, first 2 shown]
	v_mov_b32_e32 v98, 0x50
	v_mov_b32_e32 v100, 0x60
	;; [unrolled: 1-line block ×20, first 2 shown]
	s_mov_b64 s[6:7], 0
	s_mov_b32 s16, -1
.LBB139_27:                             ; =>This Inner Loop Header: Depth=1
	scratch_load_b64 v[120:121], v80, off
	scratch_load_b64 v[122:123], v81, off
	;; [unrolled: 1-line block ×32, first 2 shown]
	s_cmp_eq_u32 s6, 1
	s_waitcnt lgkmcnt(16)
	v_max_f64 v[186:187], v[0:1], v[0:1]
	s_cselect_b32 vcc_lo, -1, 0
	v_max_f64 v[188:189], v[2:3], v[2:3]
	s_waitcnt lgkmcnt(0)
	v_dual_cndmask_b32 v185, v65, v67 :: v_dual_cndmask_b32 v184, v64, v66
	v_max_f64 v[190:191], v[4:5], v[4:5]
	v_max_f64 v[192:193], v[6:7], v[6:7]
	;; [unrolled: 1-line block ×31, first 2 shown]
	s_mov_b64 s[6:7], 1
	s_and_b32 vcc_lo, exec_lo, s16
	s_mov_b32 s16, 0
	v_min_f64 v[186:187], v[186:187], v[184:185]
	v_min_f64 v[188:189], v[188:189], v[184:185]
	;; [unrolled: 1-line block ×32, first 2 shown]
	s_waitcnt vmcnt(31)
	v_add_f64 v[120:121], v[120:121], v[186:187]
	s_waitcnt vmcnt(30)
	v_add_f64 v[122:123], v[188:189], v[122:123]
	s_waitcnt vmcnt(29)
	v_add_f64 v[124:125], v[190:191], v[124:125]
	s_waitcnt vmcnt(28)
	v_add_f64 v[126:127], v[192:193], v[126:127]
	s_waitcnt vmcnt(27)
	v_add_f64 v[128:129], v[194:195], v[128:129]
	s_waitcnt vmcnt(26)
	v_add_f64 v[130:131], v[196:197], v[130:131]
	s_waitcnt vmcnt(25)
	v_add_f64 v[132:133], v[198:199], v[132:133]
	s_waitcnt vmcnt(24)
	v_add_f64 v[134:135], v[200:201], v[134:135]
	s_waitcnt vmcnt(23)
	v_add_f64 v[136:137], v[202:203], v[136:137]
	s_waitcnt vmcnt(22)
	v_add_f64 v[138:139], v[204:205], v[138:139]
	s_waitcnt vmcnt(21)
	v_add_f64 v[140:141], v[206:207], v[140:141]
	s_waitcnt vmcnt(20)
	v_add_f64 v[142:143], v[208:209], v[142:143]
	s_waitcnt vmcnt(19)
	v_add_f64 v[144:145], v[210:211], v[144:145]
	s_waitcnt vmcnt(18)
	v_add_f64 v[146:147], v[212:213], v[146:147]
	s_waitcnt vmcnt(17)
	v_add_f64 v[148:149], v[214:215], v[148:149]
	s_waitcnt vmcnt(16)
	v_add_f64 v[150:151], v[216:217], v[150:151]
	s_waitcnt vmcnt(15)
	v_add_f64 v[152:153], v[218:219], v[152:153]
	s_waitcnt vmcnt(14)
	v_add_f64 v[154:155], v[220:221], v[154:155]
	s_waitcnt vmcnt(13)
	v_add_f64 v[156:157], v[222:223], v[156:157]
	s_waitcnt vmcnt(12)
	v_add_f64 v[158:159], v[224:225], v[158:159]
	s_waitcnt vmcnt(11)
	v_add_f64 v[160:161], v[226:227], v[160:161]
	s_waitcnt vmcnt(10)
	v_add_f64 v[162:163], v[228:229], v[162:163]
	s_waitcnt vmcnt(9)
	v_add_f64 v[164:165], v[230:231], v[164:165]
	s_waitcnt vmcnt(8)
	v_add_f64 v[166:167], v[232:233], v[166:167]
	s_waitcnt vmcnt(7)
	v_add_f64 v[168:169], v[234:235], v[168:169]
	s_waitcnt vmcnt(6)
	v_add_f64 v[170:171], v[236:237], v[170:171]
	s_waitcnt vmcnt(5)
	v_add_f64 v[172:173], v[238:239], v[172:173]
	s_waitcnt vmcnt(4)
	v_add_f64 v[174:175], v[240:241], v[174:175]
	s_waitcnt vmcnt(3)
	v_add_f64 v[176:177], v[242:243], v[176:177]
	s_waitcnt vmcnt(2)
	v_add_f64 v[178:179], v[244:245], v[178:179]
	s_waitcnt vmcnt(1)
	v_add_f64 v[180:181], v[246:247], v[180:181]
	s_waitcnt vmcnt(0)
	v_add_f64 v[182:183], v[184:185], v[182:183]
	scratch_store_b64 v80, v[120:121], off
	scratch_store_b64 v81, v[122:123], off
	;; [unrolled: 1-line block ×32, first 2 shown]
	v_mov_b32_e32 v80, 0x100
	v_mov_b32_e32 v81, 0x108
	;; [unrolled: 1-line block ×32, first 2 shown]
	s_cbranch_vccnz .LBB139_27
; %bb.28:
	v_dual_mov_b32 v81, 8 :: v_dual_add_nc_u32 v60, 0x800, v91
	ds_load_2addr_b64 v[0:3], v91 offset0:2 offset1:18
	ds_load_2addr_b64 v[4:7], v91 offset0:34 offset1:50
	;; [unrolled: 1-line block ×12, first 2 shown]
	v_dual_mov_b32 v83, 24 :: v_dual_add_nc_u32 v64, 16, v95
	ds_load_2addr_b64 v[48:51], v60 offset0:130 offset1:146
	ds_load_2addr_b64 v[52:55], v60 offset0:162 offset1:178
	;; [unrolled: 1-line block ×4, first 2 shown]
	ds_load_2addr_stride64_b64 v[64:67], v64 offset1:4
	v_dual_mov_b32 v80, 0 :: v_dual_mov_b32 v85, 40
	v_dual_mov_b32 v82, 16 :: v_dual_mov_b32 v87, 56
	;; [unrolled: 1-line block ×5, first 2 shown]
	v_mov_b32_e32 v98, 0x50
	v_mov_b32_e32 v100, 0x60
	;; [unrolled: 1-line block ×20, first 2 shown]
	s_mov_b64 s[6:7], 0
	s_mov_b32 s16, -1
.LBB139_29:                             ; =>This Inner Loop Header: Depth=1
	scratch_load_b64 v[120:121], v80, off
	scratch_load_b64 v[122:123], v81, off
	scratch_load_b64 v[124:125], v82, off
	scratch_load_b64 v[126:127], v83, off
	scratch_load_b64 v[128:129], v84, off
	scratch_load_b64 v[130:131], v85, off
	scratch_load_b64 v[132:133], v86, off
	scratch_load_b64 v[134:135], v87, off
	scratch_load_b64 v[136:137], v96, off
	scratch_load_b64 v[138:139], v97, off
	scratch_load_b64 v[140:141], v98, off
	scratch_load_b64 v[142:143], v99, off
	scratch_load_b64 v[144:145], v100, off
	scratch_load_b64 v[146:147], v101, off
	scratch_load_b64 v[148:149], v102, off
	scratch_load_b64 v[150:151], v103, off
	scratch_load_b64 v[152:153], v104, off
	scratch_load_b64 v[154:155], v105, off
	scratch_load_b64 v[156:157], v106, off
	scratch_load_b64 v[158:159], v107, off
	scratch_load_b64 v[160:161], v108, off
	scratch_load_b64 v[162:163], v109, off
	scratch_load_b64 v[164:165], v110, off
	scratch_load_b64 v[166:167], v111, off
	scratch_load_b64 v[168:169], v112, off
	scratch_load_b64 v[170:171], v113, off
	scratch_load_b64 v[172:173], v114, off
	scratch_load_b64 v[174:175], v115, off
	scratch_load_b64 v[176:177], v116, off
	scratch_load_b64 v[178:179], v117, off
	scratch_load_b64 v[180:181], v118, off
	scratch_load_b64 v[182:183], v119, off
	s_cmp_eq_u32 s6, 1
	s_waitcnt lgkmcnt(16)
	v_max_f64 v[186:187], v[0:1], v[0:1]
	s_cselect_b32 vcc_lo, -1, 0
	v_max_f64 v[188:189], v[2:3], v[2:3]
	s_waitcnt lgkmcnt(0)
	v_dual_cndmask_b32 v185, v65, v67 :: v_dual_cndmask_b32 v184, v64, v66
	v_max_f64 v[190:191], v[4:5], v[4:5]
	v_max_f64 v[192:193], v[6:7], v[6:7]
	;; [unrolled: 1-line block ×31, first 2 shown]
	s_mov_b64 s[6:7], 1
	s_and_b32 vcc_lo, exec_lo, s16
	s_mov_b32 s16, 0
	v_min_f64 v[186:187], v[186:187], v[184:185]
	v_min_f64 v[188:189], v[188:189], v[184:185]
	;; [unrolled: 1-line block ×32, first 2 shown]
	s_waitcnt vmcnt(31)
	v_add_f64 v[120:121], v[120:121], v[186:187]
	s_waitcnt vmcnt(30)
	v_add_f64 v[122:123], v[188:189], v[122:123]
	;; [unrolled: 2-line block ×32, first 2 shown]
	scratch_store_b64 v80, v[120:121], off
	scratch_store_b64 v81, v[122:123], off
	;; [unrolled: 1-line block ×32, first 2 shown]
	v_mov_b32_e32 v80, 0x100
	v_mov_b32_e32 v81, 0x108
	;; [unrolled: 1-line block ×32, first 2 shown]
	s_cbranch_vccnz .LBB139_29
; %bb.30:
	v_dual_mov_b32 v81, 8 :: v_dual_add_nc_u32 v60, 0x800, v91
	ds_load_2addr_b64 v[0:3], v91 offset0:3 offset1:19
	ds_load_2addr_b64 v[4:7], v91 offset0:35 offset1:51
	;; [unrolled: 1-line block ×12, first 2 shown]
	v_dual_mov_b32 v83, 24 :: v_dual_add_nc_u32 v64, 24, v95
	ds_load_2addr_b64 v[48:51], v60 offset0:131 offset1:147
	ds_load_2addr_b64 v[52:55], v60 offset0:163 offset1:179
	;; [unrolled: 1-line block ×4, first 2 shown]
	ds_load_2addr_stride64_b64 v[64:67], v64 offset1:4
	v_dual_mov_b32 v80, 0 :: v_dual_mov_b32 v85, 40
	v_dual_mov_b32 v82, 16 :: v_dual_mov_b32 v87, 56
	;; [unrolled: 1-line block ×5, first 2 shown]
	v_mov_b32_e32 v98, 0x50
	v_mov_b32_e32 v100, 0x60
	;; [unrolled: 1-line block ×20, first 2 shown]
	s_mov_b64 s[6:7], 0
	s_mov_b32 s16, -1
.LBB139_31:                             ; =>This Inner Loop Header: Depth=1
	scratch_load_b64 v[120:121], v80, off
	scratch_load_b64 v[122:123], v81, off
	;; [unrolled: 1-line block ×32, first 2 shown]
	s_cmp_eq_u32 s6, 1
	s_waitcnt lgkmcnt(16)
	v_max_f64 v[186:187], v[0:1], v[0:1]
	s_cselect_b32 vcc_lo, -1, 0
	v_max_f64 v[188:189], v[2:3], v[2:3]
	s_waitcnt lgkmcnt(0)
	v_dual_cndmask_b32 v185, v65, v67 :: v_dual_cndmask_b32 v184, v64, v66
	v_max_f64 v[190:191], v[4:5], v[4:5]
	v_max_f64 v[192:193], v[6:7], v[6:7]
	;; [unrolled: 1-line block ×31, first 2 shown]
	s_mov_b64 s[6:7], 1
	s_and_b32 vcc_lo, exec_lo, s16
	s_mov_b32 s16, 0
	v_min_f64 v[186:187], v[186:187], v[184:185]
	v_min_f64 v[188:189], v[188:189], v[184:185]
	;; [unrolled: 1-line block ×32, first 2 shown]
	s_waitcnt vmcnt(31)
	v_add_f64 v[120:121], v[120:121], v[186:187]
	s_waitcnt vmcnt(30)
	v_add_f64 v[122:123], v[188:189], v[122:123]
	s_waitcnt vmcnt(29)
	v_add_f64 v[124:125], v[190:191], v[124:125]
	s_waitcnt vmcnt(28)
	v_add_f64 v[126:127], v[192:193], v[126:127]
	s_waitcnt vmcnt(27)
	v_add_f64 v[128:129], v[194:195], v[128:129]
	s_waitcnt vmcnt(26)
	v_add_f64 v[130:131], v[196:197], v[130:131]
	s_waitcnt vmcnt(25)
	v_add_f64 v[132:133], v[198:199], v[132:133]
	s_waitcnt vmcnt(24)
	v_add_f64 v[134:135], v[200:201], v[134:135]
	s_waitcnt vmcnt(23)
	v_add_f64 v[136:137], v[202:203], v[136:137]
	s_waitcnt vmcnt(22)
	v_add_f64 v[138:139], v[204:205], v[138:139]
	s_waitcnt vmcnt(21)
	v_add_f64 v[140:141], v[206:207], v[140:141]
	s_waitcnt vmcnt(20)
	v_add_f64 v[142:143], v[208:209], v[142:143]
	s_waitcnt vmcnt(19)
	v_add_f64 v[144:145], v[210:211], v[144:145]
	s_waitcnt vmcnt(18)
	v_add_f64 v[146:147], v[212:213], v[146:147]
	s_waitcnt vmcnt(17)
	v_add_f64 v[148:149], v[214:215], v[148:149]
	s_waitcnt vmcnt(16)
	v_add_f64 v[150:151], v[216:217], v[150:151]
	s_waitcnt vmcnt(15)
	v_add_f64 v[152:153], v[218:219], v[152:153]
	s_waitcnt vmcnt(14)
	v_add_f64 v[154:155], v[220:221], v[154:155]
	s_waitcnt vmcnt(13)
	v_add_f64 v[156:157], v[222:223], v[156:157]
	s_waitcnt vmcnt(12)
	v_add_f64 v[158:159], v[224:225], v[158:159]
	s_waitcnt vmcnt(11)
	v_add_f64 v[160:161], v[226:227], v[160:161]
	s_waitcnt vmcnt(10)
	v_add_f64 v[162:163], v[228:229], v[162:163]
	s_waitcnt vmcnt(9)
	v_add_f64 v[164:165], v[230:231], v[164:165]
	s_waitcnt vmcnt(8)
	v_add_f64 v[166:167], v[232:233], v[166:167]
	s_waitcnt vmcnt(7)
	v_add_f64 v[168:169], v[234:235], v[168:169]
	s_waitcnt vmcnt(6)
	v_add_f64 v[170:171], v[236:237], v[170:171]
	s_waitcnt vmcnt(5)
	v_add_f64 v[172:173], v[238:239], v[172:173]
	s_waitcnt vmcnt(4)
	v_add_f64 v[174:175], v[240:241], v[174:175]
	s_waitcnt vmcnt(3)
	v_add_f64 v[176:177], v[242:243], v[176:177]
	s_waitcnt vmcnt(2)
	v_add_f64 v[178:179], v[244:245], v[178:179]
	s_waitcnt vmcnt(1)
	v_add_f64 v[180:181], v[246:247], v[180:181]
	s_waitcnt vmcnt(0)
	v_add_f64 v[182:183], v[184:185], v[182:183]
	scratch_store_b64 v80, v[120:121], off
	scratch_store_b64 v81, v[122:123], off
	;; [unrolled: 1-line block ×32, first 2 shown]
	v_mov_b32_e32 v80, 0x100
	v_mov_b32_e32 v81, 0x108
	;; [unrolled: 1-line block ×32, first 2 shown]
	s_cbranch_vccnz .LBB139_31
; %bb.32:
	s_cmp_gt_i32 s42, 8
	s_mov_b32 s16, 8
	ds_store_2addr_stride64_b64 v92, v[70:71], v[68:69] offset0:8 offset1:12
	ds_store_2addr_stride64_b64 v92, v[74:75], v[72:73] offset0:24 offset1:28
	s_waitcnt lgkmcnt(0)
	s_waitcnt_vscnt null, 0x0
	s_barrier
	buffer_gl0_inv
	s_cbranch_scc0 .LBB139_67
; %bb.33:
	v_mad_i64_i32 v[0:1], null, v76, s17, 0
	v_mad_i64_i32 v[2:3], null, v77, s17, 0
	;; [unrolled: 1-line block ×3, first 2 shown]
	v_lshl_add_u32 v98, v88, 5, 0x1000
	v_dual_mov_b32 v73, 0 :: v_dual_add_nc_u32 v96, 0x1000, v92
	v_lshlrev_b64 v[68:69], 3, v[0:1]
	v_mad_i64_i32 v[0:1], null, v79, s18, 0
	v_lshlrev_b64 v[70:71], 3, v[2:3]
	v_lshlrev_b64 v[74:75], 3, v[4:5]
	v_add_nc_u32_e32 v97, 0x3000, v92
	v_add_co_u32 v100, vcc_lo, s12, v68
	v_add_co_ci_u32_e32 v101, vcc_lo, s13, v69, vcc_lo
	v_add_co_u32 v102, vcc_lo, s12, v70
	v_lshlrev_b64 v[76:77], 3, v[0:1]
	v_lshl_add_u32 v99, v89, 5, 0x3000
	v_add_co_ci_u32_e32 v103, vcc_lo, s13, v71, vcc_lo
	v_add_nc_u32_e32 v104, 0x800, v98
	s_add_i32 s17, s42, -8
	s_mov_b32 s18, 0
.LBB139_34:                             ; =>This Loop Header: Depth=1
                                        ;     Child Loop BB139_43 Depth 2
                                        ;     Child Loop BB139_45 Depth 2
	;; [unrolled: 1-line block ×8, first 2 shown]
	v_or_b32_e32 v72, s16, v90
	v_mov_b32_e32 v78, 0
	v_mov_b32_e32 v79, 0
	s_delay_alu instid0(VALU_DEP_3) | instskip(SKIP_1) | instid1(VALU_DEP_3)
	v_lshlrev_b64 v[0:1], 3, v[72:73]
	v_cmp_le_i32_e32 vcc_lo, s42, v72
	v_dual_mov_b32 v81, v79 :: v_dual_mov_b32 v80, v78
	s_delay_alu instid0(VALU_DEP_3) | instskip(NEXT) | instid1(VALU_DEP_1)
	v_add_co_u32 v2, s6, s12, v0
	v_add_co_ci_u32_e64 v3, s6, s13, v1, s6
	s_or_b32 s6, s2, vcc_lo
	s_delay_alu instid0(SALU_CYCLE_1) | instskip(NEXT) | instid1(SALU_CYCLE_1)
	s_xor_b32 s6, s6, -1
	s_and_saveexec_b32 s7, s6
	s_cbranch_execz .LBB139_36
; %bb.35:                               ;   in Loop: Header=BB139_34 Depth=1
	v_add_co_u32 v4, s6, v2, v68
	s_delay_alu instid0(VALU_DEP_1)
	v_add_co_ci_u32_e64 v5, s6, v3, v69, s6
	flat_load_b64 v[80:81], v[4:5]
.LBB139_36:                             ;   in Loop: Header=BB139_34 Depth=1
	s_or_b32 exec_lo, exec_lo, s7
	s_or_b32 s6, s3, vcc_lo
	s_delay_alu instid0(SALU_CYCLE_1) | instskip(NEXT) | instid1(SALU_CYCLE_1)
	s_xor_b32 s6, s6, -1
	s_and_saveexec_b32 s7, s6
	s_cbranch_execz .LBB139_38
; %bb.37:                               ;   in Loop: Header=BB139_34 Depth=1
	v_add_co_u32 v2, s6, v2, v70
	s_delay_alu instid0(VALU_DEP_1)
	v_add_co_ci_u32_e64 v3, s6, v3, v71, s6
	flat_load_b64 v[78:79], v[2:3]
.LBB139_38:                             ;   in Loop: Header=BB139_34 Depth=1
	s_or_b32 exec_lo, exec_lo, s7
	v_mov_b32_e32 v84, 0
	v_mov_b32_e32 v85, 0
	v_add_co_u32 v105, s6, s10, v0
	s_delay_alu instid0(VALU_DEP_1) | instskip(NEXT) | instid1(VALU_DEP_3)
	v_add_co_ci_u32_e64 v106, s6, s11, v1, s6
	v_dual_mov_b32 v87, v85 :: v_dual_mov_b32 v86, v84
	s_or_b32 s6, s4, vcc_lo
	s_delay_alu instid0(SALU_CYCLE_1) | instskip(NEXT) | instid1(SALU_CYCLE_1)
	s_xor_b32 s6, s6, -1
	s_and_saveexec_b32 s7, s6
	s_cbranch_execz .LBB139_40
; %bb.39:                               ;   in Loop: Header=BB139_34 Depth=1
	v_add_co_u32 v0, s6, v105, v74
	s_delay_alu instid0(VALU_DEP_1)
	v_add_co_ci_u32_e64 v1, s6, v106, v75, s6
	flat_load_b64 v[86:87], v[0:1]
.LBB139_40:                             ;   in Loop: Header=BB139_34 Depth=1
	s_or_b32 exec_lo, exec_lo, s7
	s_or_b32 s6, s5, vcc_lo
	s_delay_alu instid0(SALU_CYCLE_1) | instskip(NEXT) | instid1(SALU_CYCLE_1)
	s_xor_b32 s7, s6, -1
	s_and_saveexec_b32 s6, s7
	s_cbranch_execz .LBB139_42
; %bb.41:                               ;   in Loop: Header=BB139_34 Depth=1
	v_add_co_u32 v0, vcc_lo, v105, v76
	v_add_co_ci_u32_e32 v1, vcc_lo, v106, v77, vcc_lo
	flat_load_b64 v[84:85], v[0:1]
.LBB139_42:                             ;   in Loop: Header=BB139_34 Depth=1
	s_or_b32 exec_lo, exec_lo, s6
	ds_load_2addr_b64 v[0:3], v98 offset1:16
	ds_load_2addr_b64 v[4:7], v98 offset0:32 offset1:48
	ds_load_2addr_b64 v[8:11], v98 offset0:64 offset1:80
	;; [unrolled: 1-line block ×7, first 2 shown]
	ds_load_2addr_b64 v[32:35], v104 offset1:16
	ds_load_2addr_b64 v[36:39], v104 offset0:32 offset1:48
	ds_load_2addr_b64 v[40:43], v104 offset0:64 offset1:80
	;; [unrolled: 1-line block ×7, first 2 shown]
	ds_load_2addr_stride64_b64 v[64:67], v99 offset1:4
	v_dual_mov_b32 v136, 0 :: v_dual_mov_b32 v135, 8
	v_dual_mov_b32 v134, 16 :: v_dual_mov_b32 v133, 24
	;; [unrolled: 1-line block ×5, first 2 shown]
	v_mov_b32_e32 v126, 0x50
	v_mov_b32_e32 v125, 0x58
	;; [unrolled: 1-line block ×22, first 2 shown]
	s_mov_b64 s[6:7], 0
	s_mov_b32 s19, -1
.LBB139_43:                             ;   Parent Loop BB139_34 Depth=1
                                        ; =>  This Inner Loop Header: Depth=2
	scratch_load_b64 v[141:142], v136, off
	s_cmp_eq_u32 s6, 1
	s_waitcnt lgkmcnt(16)
	v_max_f64 v[139:140], v[0:1], v[0:1]
	s_cselect_b32 vcc_lo, -1, 0
	s_mov_b64 s[6:7], 1
	s_waitcnt lgkmcnt(0)
	v_dual_cndmask_b32 v138, v65, v67 :: v_dual_cndmask_b32 v137, v64, v66
	s_and_b32 vcc_lo, exec_lo, s19
	s_mov_b32 s19, 0
	s_delay_alu instid0(VALU_DEP_1) | instskip(NEXT) | instid1(VALU_DEP_1)
	v_max_f64 v[137:138], v[137:138], v[137:138]
	v_min_f64 v[139:140], v[139:140], v[137:138]
	s_waitcnt vmcnt(0)
	s_delay_alu instid0(VALU_DEP_1) | instskip(SKIP_3) | instid1(VALU_DEP_1)
	v_add_f64 v[139:140], v[141:142], v[139:140]
	scratch_load_b64 v[141:142], v135, off
	scratch_store_b64 v136, v[139:140], off
	v_max_f64 v[139:140], v[2:3], v[2:3]
	v_min_f64 v[139:140], v[139:140], v[137:138]
	s_waitcnt vmcnt(0)
	s_delay_alu instid0(VALU_DEP_1) | instskip(SKIP_3) | instid1(VALU_DEP_1)
	v_add_f64 v[139:140], v[139:140], v[141:142]
	scratch_store_b64 v135, v[139:140], off
	scratch_load_b64 v[139:140], v134, off
	v_max_f64 v[135:136], v[4:5], v[4:5]
	v_min_f64 v[135:136], v[135:136], v[137:138]
	s_waitcnt vmcnt(0)
	s_delay_alu instid0(VALU_DEP_1) | instskip(SKIP_3) | instid1(VALU_DEP_1)
	v_add_f64 v[135:136], v[135:136], v[139:140]
	scratch_load_b64 v[139:140], v133, off
	scratch_store_b64 v134, v[135:136], off
	v_max_f64 v[134:135], v[6:7], v[6:7]
	v_min_f64 v[134:135], v[134:135], v[137:138]
	s_waitcnt vmcnt(0)
	s_delay_alu instid0(VALU_DEP_1) | instskip(SKIP_3) | instid1(VALU_DEP_1)
	v_add_f64 v[134:135], v[134:135], v[139:140]
	scratch_store_b64 v133, v[134:135], off
	scratch_load_b64 v[135:136], v132, off
	v_max_f64 v[133:134], v[8:9], v[8:9]
	v_min_f64 v[133:134], v[133:134], v[137:138]
	s_waitcnt vmcnt(0)
	s_delay_alu instid0(VALU_DEP_1) | instskip(SKIP_4) | instid1(VALU_DEP_1)
	v_add_f64 v[133:134], v[133:134], v[135:136]
	v_mov_b32_e32 v136, 0x100
	scratch_store_b64 v132, v[133:134], off
	scratch_load_b64 v[134:135], v131, off
	v_max_f64 v[132:133], v[10:11], v[10:11]
	v_min_f64 v[132:133], v[132:133], v[137:138]
	s_waitcnt vmcnt(0)
	s_delay_alu instid0(VALU_DEP_1) | instskip(SKIP_4) | instid1(VALU_DEP_1)
	v_add_f64 v[132:133], v[132:133], v[134:135]
	v_mov_b32_e32 v135, 0x108
	scratch_store_b64 v131, v[132:133], off
	scratch_load_b64 v[133:134], v130, off
	v_max_f64 v[131:132], v[12:13], v[12:13]
	v_min_f64 v[131:132], v[131:132], v[137:138]
	s_waitcnt vmcnt(0)
	s_delay_alu instid0(VALU_DEP_1) | instskip(SKIP_4) | instid1(VALU_DEP_1)
	v_add_f64 v[131:132], v[131:132], v[133:134]
	v_mov_b32_e32 v134, 0x110
	scratch_store_b64 v130, v[131:132], off
	scratch_load_b64 v[132:133], v129, off
	v_max_f64 v[130:131], v[14:15], v[14:15]
	v_min_f64 v[130:131], v[130:131], v[137:138]
	s_waitcnt vmcnt(0)
	s_delay_alu instid0(VALU_DEP_1) | instskip(SKIP_4) | instid1(VALU_DEP_1)
	v_add_f64 v[130:131], v[130:131], v[132:133]
	v_mov_b32_e32 v133, 0x118
	scratch_store_b64 v129, v[130:131], off
	scratch_load_b64 v[131:132], v128, off
	v_max_f64 v[129:130], v[16:17], v[16:17]
	v_min_f64 v[129:130], v[129:130], v[137:138]
	s_waitcnt vmcnt(0)
	s_delay_alu instid0(VALU_DEP_1) | instskip(SKIP_4) | instid1(VALU_DEP_1)
	v_add_f64 v[129:130], v[129:130], v[131:132]
	v_mov_b32_e32 v132, 0x120
	scratch_store_b64 v128, v[129:130], off
	scratch_load_b64 v[130:131], v127, off
	v_max_f64 v[128:129], v[18:19], v[18:19]
	v_min_f64 v[128:129], v[128:129], v[137:138]
	s_waitcnt vmcnt(0)
	s_delay_alu instid0(VALU_DEP_1) | instskip(SKIP_4) | instid1(VALU_DEP_1)
	v_add_f64 v[128:129], v[128:129], v[130:131]
	v_mov_b32_e32 v131, 0x128
	scratch_store_b64 v127, v[128:129], off
	scratch_load_b64 v[129:130], v126, off
	v_max_f64 v[127:128], v[20:21], v[20:21]
	v_min_f64 v[127:128], v[127:128], v[137:138]
	s_waitcnt vmcnt(0)
	s_delay_alu instid0(VALU_DEP_1) | instskip(SKIP_4) | instid1(VALU_DEP_1)
	v_add_f64 v[127:128], v[127:128], v[129:130]
	v_mov_b32_e32 v130, 0x130
	scratch_store_b64 v126, v[127:128], off
	scratch_load_b64 v[128:129], v125, off
	v_max_f64 v[126:127], v[22:23], v[22:23]
	v_min_f64 v[126:127], v[126:127], v[137:138]
	s_waitcnt vmcnt(0)
	s_delay_alu instid0(VALU_DEP_1) | instskip(SKIP_4) | instid1(VALU_DEP_1)
	v_add_f64 v[126:127], v[126:127], v[128:129]
	v_mov_b32_e32 v129, 0x138
	scratch_store_b64 v125, v[126:127], off
	scratch_load_b64 v[127:128], v124, off
	v_max_f64 v[125:126], v[24:25], v[24:25]
	v_min_f64 v[125:126], v[125:126], v[137:138]
	s_waitcnt vmcnt(0)
	s_delay_alu instid0(VALU_DEP_1) | instskip(SKIP_4) | instid1(VALU_DEP_1)
	v_add_f64 v[125:126], v[125:126], v[127:128]
	v_mov_b32_e32 v128, 0x140
	scratch_store_b64 v124, v[125:126], off
	scratch_load_b64 v[126:127], v123, off
	v_max_f64 v[124:125], v[26:27], v[26:27]
	v_min_f64 v[124:125], v[124:125], v[137:138]
	s_waitcnt vmcnt(0)
	s_delay_alu instid0(VALU_DEP_1) | instskip(SKIP_4) | instid1(VALU_DEP_1)
	v_add_f64 v[124:125], v[124:125], v[126:127]
	v_mov_b32_e32 v127, 0x148
	scratch_store_b64 v123, v[124:125], off
	scratch_load_b64 v[125:126], v122, off
	v_max_f64 v[123:124], v[28:29], v[28:29]
	v_min_f64 v[123:124], v[123:124], v[137:138]
	s_waitcnt vmcnt(0)
	s_delay_alu instid0(VALU_DEP_1) | instskip(SKIP_4) | instid1(VALU_DEP_1)
	v_add_f64 v[123:124], v[123:124], v[125:126]
	v_mov_b32_e32 v126, 0x150
	scratch_store_b64 v122, v[123:124], off
	scratch_load_b64 v[124:125], v121, off
	v_max_f64 v[122:123], v[30:31], v[30:31]
	v_min_f64 v[122:123], v[122:123], v[137:138]
	s_waitcnt vmcnt(0)
	s_delay_alu instid0(VALU_DEP_1) | instskip(SKIP_4) | instid1(VALU_DEP_1)
	v_add_f64 v[122:123], v[122:123], v[124:125]
	v_mov_b32_e32 v125, 0x158
	scratch_store_b64 v121, v[122:123], off
	scratch_load_b64 v[123:124], v120, off
	v_max_f64 v[121:122], v[32:33], v[32:33]
	v_min_f64 v[121:122], v[121:122], v[137:138]
	s_waitcnt vmcnt(0)
	s_delay_alu instid0(VALU_DEP_1) | instskip(SKIP_4) | instid1(VALU_DEP_1)
	v_add_f64 v[121:122], v[121:122], v[123:124]
	v_mov_b32_e32 v124, 0x160
	scratch_store_b64 v120, v[121:122], off
	scratch_load_b64 v[122:123], v119, off
	v_max_f64 v[120:121], v[34:35], v[34:35]
	v_min_f64 v[120:121], v[120:121], v[137:138]
	s_waitcnt vmcnt(0)
	s_delay_alu instid0(VALU_DEP_1) | instskip(SKIP_4) | instid1(VALU_DEP_1)
	v_add_f64 v[120:121], v[120:121], v[122:123]
	v_mov_b32_e32 v123, 0x168
	scratch_store_b64 v119, v[120:121], off
	scratch_load_b64 v[121:122], v118, off
	v_max_f64 v[119:120], v[36:37], v[36:37]
	v_min_f64 v[119:120], v[119:120], v[137:138]
	s_waitcnt vmcnt(0)
	s_delay_alu instid0(VALU_DEP_1) | instskip(SKIP_4) | instid1(VALU_DEP_1)
	v_add_f64 v[119:120], v[119:120], v[121:122]
	v_mov_b32_e32 v122, 0x170
	scratch_store_b64 v118, v[119:120], off
	scratch_load_b64 v[120:121], v117, off
	v_max_f64 v[118:119], v[38:39], v[38:39]
	v_min_f64 v[118:119], v[118:119], v[137:138]
	s_waitcnt vmcnt(0)
	s_delay_alu instid0(VALU_DEP_1) | instskip(SKIP_4) | instid1(VALU_DEP_1)
	v_add_f64 v[118:119], v[118:119], v[120:121]
	v_mov_b32_e32 v121, 0x178
	scratch_store_b64 v117, v[118:119], off
	scratch_load_b64 v[119:120], v116, off
	v_max_f64 v[117:118], v[40:41], v[40:41]
	v_min_f64 v[117:118], v[117:118], v[137:138]
	s_waitcnt vmcnt(0)
	s_delay_alu instid0(VALU_DEP_1) | instskip(SKIP_4) | instid1(VALU_DEP_1)
	v_add_f64 v[117:118], v[117:118], v[119:120]
	v_mov_b32_e32 v120, 0x180
	scratch_store_b64 v116, v[117:118], off
	scratch_load_b64 v[118:119], v115, off
	v_max_f64 v[116:117], v[42:43], v[42:43]
	v_min_f64 v[116:117], v[116:117], v[137:138]
	s_waitcnt vmcnt(0)
	s_delay_alu instid0(VALU_DEP_1) | instskip(SKIP_4) | instid1(VALU_DEP_1)
	v_add_f64 v[116:117], v[116:117], v[118:119]
	v_mov_b32_e32 v119, 0x188
	scratch_store_b64 v115, v[116:117], off
	scratch_load_b64 v[117:118], v114, off
	v_max_f64 v[115:116], v[44:45], v[44:45]
	v_min_f64 v[115:116], v[115:116], v[137:138]
	s_waitcnt vmcnt(0)
	s_delay_alu instid0(VALU_DEP_1) | instskip(SKIP_4) | instid1(VALU_DEP_1)
	v_add_f64 v[115:116], v[115:116], v[117:118]
	v_mov_b32_e32 v118, 0x190
	scratch_store_b64 v114, v[115:116], off
	scratch_load_b64 v[116:117], v113, off
	v_max_f64 v[114:115], v[46:47], v[46:47]
	v_min_f64 v[114:115], v[114:115], v[137:138]
	s_waitcnt vmcnt(0)
	s_delay_alu instid0(VALU_DEP_1) | instskip(SKIP_4) | instid1(VALU_DEP_1)
	v_add_f64 v[114:115], v[114:115], v[116:117]
	v_mov_b32_e32 v117, 0x198
	scratch_store_b64 v113, v[114:115], off
	scratch_load_b64 v[115:116], v112, off
	v_max_f64 v[113:114], v[48:49], v[48:49]
	v_min_f64 v[113:114], v[113:114], v[137:138]
	s_waitcnt vmcnt(0)
	s_delay_alu instid0(VALU_DEP_1) | instskip(SKIP_4) | instid1(VALU_DEP_1)
	v_add_f64 v[113:114], v[113:114], v[115:116]
	v_mov_b32_e32 v116, 0x1a0
	scratch_store_b64 v112, v[113:114], off
	scratch_load_b64 v[114:115], v111, off
	v_max_f64 v[112:113], v[50:51], v[50:51]
	v_min_f64 v[112:113], v[112:113], v[137:138]
	s_waitcnt vmcnt(0)
	s_delay_alu instid0(VALU_DEP_1) | instskip(SKIP_4) | instid1(VALU_DEP_1)
	v_add_f64 v[112:113], v[112:113], v[114:115]
	v_mov_b32_e32 v115, 0x1a8
	scratch_store_b64 v111, v[112:113], off
	scratch_load_b64 v[113:114], v110, off
	v_max_f64 v[111:112], v[52:53], v[52:53]
	v_min_f64 v[111:112], v[111:112], v[137:138]
	s_waitcnt vmcnt(0)
	s_delay_alu instid0(VALU_DEP_1) | instskip(SKIP_4) | instid1(VALU_DEP_1)
	v_add_f64 v[111:112], v[111:112], v[113:114]
	v_mov_b32_e32 v114, 0x1b0
	scratch_store_b64 v110, v[111:112], off
	scratch_load_b64 v[112:113], v109, off
	v_max_f64 v[110:111], v[54:55], v[54:55]
	v_min_f64 v[110:111], v[110:111], v[137:138]
	s_waitcnt vmcnt(0)
	s_delay_alu instid0(VALU_DEP_1) | instskip(SKIP_4) | instid1(VALU_DEP_1)
	v_add_f64 v[110:111], v[110:111], v[112:113]
	v_mov_b32_e32 v113, 0x1b8
	scratch_store_b64 v109, v[110:111], off
	scratch_load_b64 v[111:112], v108, off
	v_max_f64 v[109:110], v[56:57], v[56:57]
	v_min_f64 v[109:110], v[109:110], v[137:138]
	s_waitcnt vmcnt(0)
	s_delay_alu instid0(VALU_DEP_1) | instskip(SKIP_4) | instid1(VALU_DEP_1)
	v_add_f64 v[109:110], v[109:110], v[111:112]
	v_mov_b32_e32 v112, 0x1c0
	scratch_store_b64 v108, v[109:110], off
	scratch_load_b64 v[110:111], v107, off
	v_max_f64 v[108:109], v[58:59], v[58:59]
	v_min_f64 v[108:109], v[108:109], v[137:138]
	s_waitcnt vmcnt(0)
	s_delay_alu instid0(VALU_DEP_1) | instskip(SKIP_4) | instid1(VALU_DEP_1)
	v_add_f64 v[108:109], v[108:109], v[110:111]
	v_mov_b32_e32 v111, 0x1c8
	scratch_store_b64 v107, v[108:109], off
	scratch_load_b64 v[109:110], v83, off
	v_max_f64 v[107:108], v[60:61], v[60:61]
	v_min_f64 v[107:108], v[107:108], v[137:138]
	s_waitcnt vmcnt(0)
	s_delay_alu instid0(VALU_DEP_1) | instskip(SKIP_4) | instid1(VALU_DEP_2)
	v_add_f64 v[107:108], v[107:108], v[109:110]
	scratch_load_b64 v[109:110], v82, off
	scratch_store_b64 v83, v[107:108], off
	v_max_f64 v[107:108], v[62:63], v[62:63]
	v_mov_b32_e32 v83, 0x1f0
	v_min_f64 v[107:108], v[107:108], v[137:138]
	s_waitcnt vmcnt(0)
	s_delay_alu instid0(VALU_DEP_1)
	v_add_f64 v[107:108], v[107:108], v[109:110]
	v_mov_b32_e32 v110, 0x1d0
	v_mov_b32_e32 v109, 0x1d8
	scratch_store_b64 v82, v[107:108], off
	v_mov_b32_e32 v108, 0x1e0
	v_mov_b32_e32 v107, 0x1e8
	;; [unrolled: 1-line block ×3, first 2 shown]
	s_cbranch_vccnz .LBB139_43
; %bb.44:                               ;   in Loop: Header=BB139_34 Depth=1
	ds_load_2addr_b64 v[0:3], v98 offset0:1 offset1:17
	ds_load_2addr_b64 v[4:7], v98 offset0:33 offset1:49
	;; [unrolled: 1-line block ×12, first 2 shown]
	v_dual_mov_b32 v135, 8 :: v_dual_add_nc_u32 v64, 8, v99
	ds_load_2addr_b64 v[48:51], v104 offset0:129 offset1:145
	ds_load_2addr_b64 v[52:55], v104 offset0:161 offset1:177
	;; [unrolled: 1-line block ×4, first 2 shown]
	ds_load_2addr_stride64_b64 v[64:67], v64 offset1:4
	v_dual_mov_b32 v136, 0 :: v_dual_mov_b32 v133, 24
	v_dual_mov_b32 v134, 16 :: v_dual_mov_b32 v131, 40
	;; [unrolled: 1-line block ×5, first 2 shown]
	v_mov_b32_e32 v126, 0x50
	v_mov_b32_e32 v124, 0x60
	;; [unrolled: 1-line block ×21, first 2 shown]
	s_mov_b64 s[6:7], 0
	s_mov_b32 s19, -1
.LBB139_45:                             ;   Parent Loop BB139_34 Depth=1
                                        ; =>  This Inner Loop Header: Depth=2
	scratch_load_b64 v[141:142], v136, off
	s_cmp_eq_u32 s6, 1
	s_waitcnt lgkmcnt(16)
	v_max_f64 v[139:140], v[0:1], v[0:1]
	s_cselect_b32 vcc_lo, -1, 0
	s_mov_b64 s[6:7], 1
	s_waitcnt lgkmcnt(0)
	v_dual_cndmask_b32 v138, v65, v67 :: v_dual_cndmask_b32 v137, v64, v66
	s_and_b32 vcc_lo, exec_lo, s19
	s_mov_b32 s19, 0
	s_delay_alu instid0(VALU_DEP_1) | instskip(NEXT) | instid1(VALU_DEP_1)
	v_max_f64 v[137:138], v[137:138], v[137:138]
	v_min_f64 v[139:140], v[139:140], v[137:138]
	s_waitcnt vmcnt(0)
	s_delay_alu instid0(VALU_DEP_1) | instskip(SKIP_3) | instid1(VALU_DEP_1)
	v_add_f64 v[139:140], v[141:142], v[139:140]
	scratch_load_b64 v[141:142], v135, off
	scratch_store_b64 v136, v[139:140], off
	v_max_f64 v[139:140], v[2:3], v[2:3]
	v_min_f64 v[139:140], v[139:140], v[137:138]
	s_waitcnt vmcnt(0)
	s_delay_alu instid0(VALU_DEP_1) | instskip(SKIP_3) | instid1(VALU_DEP_1)
	v_add_f64 v[139:140], v[139:140], v[141:142]
	scratch_store_b64 v135, v[139:140], off
	scratch_load_b64 v[139:140], v134, off
	v_max_f64 v[135:136], v[4:5], v[4:5]
	v_min_f64 v[135:136], v[135:136], v[137:138]
	s_waitcnt vmcnt(0)
	s_delay_alu instid0(VALU_DEP_1) | instskip(SKIP_3) | instid1(VALU_DEP_1)
	v_add_f64 v[135:136], v[135:136], v[139:140]
	scratch_load_b64 v[139:140], v133, off
	scratch_store_b64 v134, v[135:136], off
	v_max_f64 v[134:135], v[6:7], v[6:7]
	v_min_f64 v[134:135], v[134:135], v[137:138]
	s_waitcnt vmcnt(0)
	s_delay_alu instid0(VALU_DEP_1) | instskip(SKIP_3) | instid1(VALU_DEP_1)
	v_add_f64 v[134:135], v[134:135], v[139:140]
	scratch_store_b64 v133, v[134:135], off
	scratch_load_b64 v[135:136], v132, off
	v_max_f64 v[133:134], v[8:9], v[8:9]
	v_min_f64 v[133:134], v[133:134], v[137:138]
	s_waitcnt vmcnt(0)
	s_delay_alu instid0(VALU_DEP_1) | instskip(SKIP_4) | instid1(VALU_DEP_1)
	v_add_f64 v[133:134], v[133:134], v[135:136]
	v_mov_b32_e32 v136, 0x100
	scratch_store_b64 v132, v[133:134], off
	scratch_load_b64 v[134:135], v131, off
	v_max_f64 v[132:133], v[10:11], v[10:11]
	v_min_f64 v[132:133], v[132:133], v[137:138]
	s_waitcnt vmcnt(0)
	s_delay_alu instid0(VALU_DEP_1) | instskip(SKIP_4) | instid1(VALU_DEP_1)
	v_add_f64 v[132:133], v[132:133], v[134:135]
	v_mov_b32_e32 v135, 0x108
	;; [unrolled: 8-line block ×26, first 2 shown]
	scratch_store_b64 v107, v[108:109], off
	scratch_load_b64 v[109:110], v83, off
	v_max_f64 v[107:108], v[60:61], v[60:61]
	v_min_f64 v[107:108], v[107:108], v[137:138]
	s_waitcnt vmcnt(0)
	s_delay_alu instid0(VALU_DEP_1) | instskip(SKIP_4) | instid1(VALU_DEP_2)
	v_add_f64 v[107:108], v[107:108], v[109:110]
	scratch_load_b64 v[109:110], v82, off
	scratch_store_b64 v83, v[107:108], off
	v_max_f64 v[107:108], v[62:63], v[62:63]
	v_mov_b32_e32 v83, 0x1f0
	v_min_f64 v[107:108], v[107:108], v[137:138]
	s_waitcnt vmcnt(0)
	s_delay_alu instid0(VALU_DEP_1)
	v_add_f64 v[107:108], v[107:108], v[109:110]
	v_mov_b32_e32 v110, 0x1d0
	v_mov_b32_e32 v109, 0x1d8
	scratch_store_b64 v82, v[107:108], off
	v_mov_b32_e32 v108, 0x1e0
	v_mov_b32_e32 v107, 0x1e8
	;; [unrolled: 1-line block ×3, first 2 shown]
	s_cbranch_vccnz .LBB139_45
; %bb.46:                               ;   in Loop: Header=BB139_34 Depth=1
	ds_load_2addr_b64 v[0:3], v98 offset0:2 offset1:18
	ds_load_2addr_b64 v[4:7], v98 offset0:34 offset1:50
	;; [unrolled: 1-line block ×12, first 2 shown]
	v_dual_mov_b32 v135, 8 :: v_dual_add_nc_u32 v64, 16, v99
	ds_load_2addr_b64 v[48:51], v104 offset0:130 offset1:146
	ds_load_2addr_b64 v[52:55], v104 offset0:162 offset1:178
	;; [unrolled: 1-line block ×4, first 2 shown]
	ds_load_2addr_stride64_b64 v[64:67], v64 offset1:4
	v_dual_mov_b32 v136, 0 :: v_dual_mov_b32 v133, 24
	v_dual_mov_b32 v134, 16 :: v_dual_mov_b32 v131, 40
	;; [unrolled: 1-line block ×5, first 2 shown]
	v_mov_b32_e32 v126, 0x50
	v_mov_b32_e32 v124, 0x60
	;; [unrolled: 1-line block ×21, first 2 shown]
	s_mov_b64 s[6:7], 0
	s_mov_b32 s19, -1
.LBB139_47:                             ;   Parent Loop BB139_34 Depth=1
                                        ; =>  This Inner Loop Header: Depth=2
	scratch_load_b64 v[141:142], v136, off
	s_cmp_eq_u32 s6, 1
	s_waitcnt lgkmcnt(16)
	v_max_f64 v[139:140], v[0:1], v[0:1]
	s_cselect_b32 vcc_lo, -1, 0
	s_mov_b64 s[6:7], 1
	s_waitcnt lgkmcnt(0)
	v_dual_cndmask_b32 v138, v65, v67 :: v_dual_cndmask_b32 v137, v64, v66
	s_and_b32 vcc_lo, exec_lo, s19
	s_mov_b32 s19, 0
	s_delay_alu instid0(VALU_DEP_1) | instskip(NEXT) | instid1(VALU_DEP_1)
	v_max_f64 v[137:138], v[137:138], v[137:138]
	v_min_f64 v[139:140], v[139:140], v[137:138]
	s_waitcnt vmcnt(0)
	s_delay_alu instid0(VALU_DEP_1) | instskip(SKIP_3) | instid1(VALU_DEP_1)
	v_add_f64 v[139:140], v[141:142], v[139:140]
	scratch_load_b64 v[141:142], v135, off
	scratch_store_b64 v136, v[139:140], off
	v_max_f64 v[139:140], v[2:3], v[2:3]
	v_min_f64 v[139:140], v[139:140], v[137:138]
	s_waitcnt vmcnt(0)
	s_delay_alu instid0(VALU_DEP_1) | instskip(SKIP_3) | instid1(VALU_DEP_1)
	v_add_f64 v[139:140], v[139:140], v[141:142]
	scratch_store_b64 v135, v[139:140], off
	scratch_load_b64 v[139:140], v134, off
	v_max_f64 v[135:136], v[4:5], v[4:5]
	v_min_f64 v[135:136], v[135:136], v[137:138]
	s_waitcnt vmcnt(0)
	s_delay_alu instid0(VALU_DEP_1) | instskip(SKIP_3) | instid1(VALU_DEP_1)
	v_add_f64 v[135:136], v[135:136], v[139:140]
	scratch_load_b64 v[139:140], v133, off
	scratch_store_b64 v134, v[135:136], off
	v_max_f64 v[134:135], v[6:7], v[6:7]
	v_min_f64 v[134:135], v[134:135], v[137:138]
	s_waitcnt vmcnt(0)
	s_delay_alu instid0(VALU_DEP_1) | instskip(SKIP_3) | instid1(VALU_DEP_1)
	v_add_f64 v[134:135], v[134:135], v[139:140]
	scratch_store_b64 v133, v[134:135], off
	scratch_load_b64 v[135:136], v132, off
	v_max_f64 v[133:134], v[8:9], v[8:9]
	v_min_f64 v[133:134], v[133:134], v[137:138]
	s_waitcnt vmcnt(0)
	s_delay_alu instid0(VALU_DEP_1) | instskip(SKIP_4) | instid1(VALU_DEP_1)
	v_add_f64 v[133:134], v[133:134], v[135:136]
	v_mov_b32_e32 v136, 0x100
	scratch_store_b64 v132, v[133:134], off
	scratch_load_b64 v[134:135], v131, off
	v_max_f64 v[132:133], v[10:11], v[10:11]
	v_min_f64 v[132:133], v[132:133], v[137:138]
	s_waitcnt vmcnt(0)
	s_delay_alu instid0(VALU_DEP_1) | instskip(SKIP_4) | instid1(VALU_DEP_1)
	v_add_f64 v[132:133], v[132:133], v[134:135]
	v_mov_b32_e32 v135, 0x108
	scratch_store_b64 v131, v[132:133], off
	scratch_load_b64 v[133:134], v130, off
	v_max_f64 v[131:132], v[12:13], v[12:13]
	v_min_f64 v[131:132], v[131:132], v[137:138]
	s_waitcnt vmcnt(0)
	s_delay_alu instid0(VALU_DEP_1) | instskip(SKIP_4) | instid1(VALU_DEP_1)
	v_add_f64 v[131:132], v[131:132], v[133:134]
	v_mov_b32_e32 v134, 0x110
	scratch_store_b64 v130, v[131:132], off
	scratch_load_b64 v[132:133], v129, off
	v_max_f64 v[130:131], v[14:15], v[14:15]
	v_min_f64 v[130:131], v[130:131], v[137:138]
	s_waitcnt vmcnt(0)
	s_delay_alu instid0(VALU_DEP_1) | instskip(SKIP_4) | instid1(VALU_DEP_1)
	v_add_f64 v[130:131], v[130:131], v[132:133]
	v_mov_b32_e32 v133, 0x118
	scratch_store_b64 v129, v[130:131], off
	scratch_load_b64 v[131:132], v128, off
	v_max_f64 v[129:130], v[16:17], v[16:17]
	v_min_f64 v[129:130], v[129:130], v[137:138]
	s_waitcnt vmcnt(0)
	s_delay_alu instid0(VALU_DEP_1) | instskip(SKIP_4) | instid1(VALU_DEP_1)
	v_add_f64 v[129:130], v[129:130], v[131:132]
	v_mov_b32_e32 v132, 0x120
	scratch_store_b64 v128, v[129:130], off
	scratch_load_b64 v[130:131], v127, off
	v_max_f64 v[128:129], v[18:19], v[18:19]
	v_min_f64 v[128:129], v[128:129], v[137:138]
	s_waitcnt vmcnt(0)
	s_delay_alu instid0(VALU_DEP_1) | instskip(SKIP_4) | instid1(VALU_DEP_1)
	v_add_f64 v[128:129], v[128:129], v[130:131]
	v_mov_b32_e32 v131, 0x128
	scratch_store_b64 v127, v[128:129], off
	scratch_load_b64 v[129:130], v126, off
	v_max_f64 v[127:128], v[20:21], v[20:21]
	v_min_f64 v[127:128], v[127:128], v[137:138]
	s_waitcnt vmcnt(0)
	s_delay_alu instid0(VALU_DEP_1) | instskip(SKIP_4) | instid1(VALU_DEP_1)
	v_add_f64 v[127:128], v[127:128], v[129:130]
	v_mov_b32_e32 v130, 0x130
	scratch_store_b64 v126, v[127:128], off
	scratch_load_b64 v[128:129], v125, off
	v_max_f64 v[126:127], v[22:23], v[22:23]
	v_min_f64 v[126:127], v[126:127], v[137:138]
	s_waitcnt vmcnt(0)
	s_delay_alu instid0(VALU_DEP_1) | instskip(SKIP_4) | instid1(VALU_DEP_1)
	v_add_f64 v[126:127], v[126:127], v[128:129]
	v_mov_b32_e32 v129, 0x138
	scratch_store_b64 v125, v[126:127], off
	scratch_load_b64 v[127:128], v124, off
	v_max_f64 v[125:126], v[24:25], v[24:25]
	v_min_f64 v[125:126], v[125:126], v[137:138]
	s_waitcnt vmcnt(0)
	s_delay_alu instid0(VALU_DEP_1) | instskip(SKIP_4) | instid1(VALU_DEP_1)
	v_add_f64 v[125:126], v[125:126], v[127:128]
	v_mov_b32_e32 v128, 0x140
	scratch_store_b64 v124, v[125:126], off
	scratch_load_b64 v[126:127], v123, off
	v_max_f64 v[124:125], v[26:27], v[26:27]
	v_min_f64 v[124:125], v[124:125], v[137:138]
	s_waitcnt vmcnt(0)
	s_delay_alu instid0(VALU_DEP_1) | instskip(SKIP_4) | instid1(VALU_DEP_1)
	v_add_f64 v[124:125], v[124:125], v[126:127]
	v_mov_b32_e32 v127, 0x148
	scratch_store_b64 v123, v[124:125], off
	scratch_load_b64 v[125:126], v122, off
	v_max_f64 v[123:124], v[28:29], v[28:29]
	v_min_f64 v[123:124], v[123:124], v[137:138]
	s_waitcnt vmcnt(0)
	s_delay_alu instid0(VALU_DEP_1) | instskip(SKIP_4) | instid1(VALU_DEP_1)
	v_add_f64 v[123:124], v[123:124], v[125:126]
	v_mov_b32_e32 v126, 0x150
	scratch_store_b64 v122, v[123:124], off
	scratch_load_b64 v[124:125], v121, off
	v_max_f64 v[122:123], v[30:31], v[30:31]
	v_min_f64 v[122:123], v[122:123], v[137:138]
	s_waitcnt vmcnt(0)
	s_delay_alu instid0(VALU_DEP_1) | instskip(SKIP_4) | instid1(VALU_DEP_1)
	v_add_f64 v[122:123], v[122:123], v[124:125]
	v_mov_b32_e32 v125, 0x158
	scratch_store_b64 v121, v[122:123], off
	scratch_load_b64 v[123:124], v120, off
	v_max_f64 v[121:122], v[32:33], v[32:33]
	v_min_f64 v[121:122], v[121:122], v[137:138]
	s_waitcnt vmcnt(0)
	s_delay_alu instid0(VALU_DEP_1) | instskip(SKIP_4) | instid1(VALU_DEP_1)
	v_add_f64 v[121:122], v[121:122], v[123:124]
	v_mov_b32_e32 v124, 0x160
	scratch_store_b64 v120, v[121:122], off
	scratch_load_b64 v[122:123], v119, off
	v_max_f64 v[120:121], v[34:35], v[34:35]
	v_min_f64 v[120:121], v[120:121], v[137:138]
	s_waitcnt vmcnt(0)
	s_delay_alu instid0(VALU_DEP_1) | instskip(SKIP_4) | instid1(VALU_DEP_1)
	v_add_f64 v[120:121], v[120:121], v[122:123]
	v_mov_b32_e32 v123, 0x168
	scratch_store_b64 v119, v[120:121], off
	scratch_load_b64 v[121:122], v118, off
	v_max_f64 v[119:120], v[36:37], v[36:37]
	v_min_f64 v[119:120], v[119:120], v[137:138]
	s_waitcnt vmcnt(0)
	s_delay_alu instid0(VALU_DEP_1) | instskip(SKIP_4) | instid1(VALU_DEP_1)
	v_add_f64 v[119:120], v[119:120], v[121:122]
	v_mov_b32_e32 v122, 0x170
	scratch_store_b64 v118, v[119:120], off
	scratch_load_b64 v[120:121], v117, off
	v_max_f64 v[118:119], v[38:39], v[38:39]
	v_min_f64 v[118:119], v[118:119], v[137:138]
	s_waitcnt vmcnt(0)
	s_delay_alu instid0(VALU_DEP_1) | instskip(SKIP_4) | instid1(VALU_DEP_1)
	v_add_f64 v[118:119], v[118:119], v[120:121]
	v_mov_b32_e32 v121, 0x178
	scratch_store_b64 v117, v[118:119], off
	scratch_load_b64 v[119:120], v116, off
	v_max_f64 v[117:118], v[40:41], v[40:41]
	v_min_f64 v[117:118], v[117:118], v[137:138]
	s_waitcnt vmcnt(0)
	s_delay_alu instid0(VALU_DEP_1) | instskip(SKIP_4) | instid1(VALU_DEP_1)
	v_add_f64 v[117:118], v[117:118], v[119:120]
	v_mov_b32_e32 v120, 0x180
	scratch_store_b64 v116, v[117:118], off
	scratch_load_b64 v[118:119], v115, off
	v_max_f64 v[116:117], v[42:43], v[42:43]
	v_min_f64 v[116:117], v[116:117], v[137:138]
	s_waitcnt vmcnt(0)
	s_delay_alu instid0(VALU_DEP_1) | instskip(SKIP_4) | instid1(VALU_DEP_1)
	v_add_f64 v[116:117], v[116:117], v[118:119]
	v_mov_b32_e32 v119, 0x188
	scratch_store_b64 v115, v[116:117], off
	scratch_load_b64 v[117:118], v114, off
	v_max_f64 v[115:116], v[44:45], v[44:45]
	v_min_f64 v[115:116], v[115:116], v[137:138]
	s_waitcnt vmcnt(0)
	s_delay_alu instid0(VALU_DEP_1) | instskip(SKIP_4) | instid1(VALU_DEP_1)
	v_add_f64 v[115:116], v[115:116], v[117:118]
	v_mov_b32_e32 v118, 0x190
	scratch_store_b64 v114, v[115:116], off
	scratch_load_b64 v[116:117], v113, off
	v_max_f64 v[114:115], v[46:47], v[46:47]
	v_min_f64 v[114:115], v[114:115], v[137:138]
	s_waitcnt vmcnt(0)
	s_delay_alu instid0(VALU_DEP_1) | instskip(SKIP_4) | instid1(VALU_DEP_1)
	v_add_f64 v[114:115], v[114:115], v[116:117]
	v_mov_b32_e32 v117, 0x198
	scratch_store_b64 v113, v[114:115], off
	scratch_load_b64 v[115:116], v112, off
	v_max_f64 v[113:114], v[48:49], v[48:49]
	v_min_f64 v[113:114], v[113:114], v[137:138]
	s_waitcnt vmcnt(0)
	s_delay_alu instid0(VALU_DEP_1) | instskip(SKIP_4) | instid1(VALU_DEP_1)
	v_add_f64 v[113:114], v[113:114], v[115:116]
	v_mov_b32_e32 v116, 0x1a0
	scratch_store_b64 v112, v[113:114], off
	scratch_load_b64 v[114:115], v111, off
	v_max_f64 v[112:113], v[50:51], v[50:51]
	v_min_f64 v[112:113], v[112:113], v[137:138]
	s_waitcnt vmcnt(0)
	s_delay_alu instid0(VALU_DEP_1) | instskip(SKIP_4) | instid1(VALU_DEP_1)
	v_add_f64 v[112:113], v[112:113], v[114:115]
	v_mov_b32_e32 v115, 0x1a8
	scratch_store_b64 v111, v[112:113], off
	scratch_load_b64 v[113:114], v110, off
	v_max_f64 v[111:112], v[52:53], v[52:53]
	v_min_f64 v[111:112], v[111:112], v[137:138]
	s_waitcnt vmcnt(0)
	s_delay_alu instid0(VALU_DEP_1) | instskip(SKIP_4) | instid1(VALU_DEP_1)
	v_add_f64 v[111:112], v[111:112], v[113:114]
	v_mov_b32_e32 v114, 0x1b0
	scratch_store_b64 v110, v[111:112], off
	scratch_load_b64 v[112:113], v109, off
	v_max_f64 v[110:111], v[54:55], v[54:55]
	v_min_f64 v[110:111], v[110:111], v[137:138]
	s_waitcnt vmcnt(0)
	s_delay_alu instid0(VALU_DEP_1) | instskip(SKIP_4) | instid1(VALU_DEP_1)
	v_add_f64 v[110:111], v[110:111], v[112:113]
	v_mov_b32_e32 v113, 0x1b8
	scratch_store_b64 v109, v[110:111], off
	scratch_load_b64 v[111:112], v108, off
	v_max_f64 v[109:110], v[56:57], v[56:57]
	v_min_f64 v[109:110], v[109:110], v[137:138]
	s_waitcnt vmcnt(0)
	s_delay_alu instid0(VALU_DEP_1) | instskip(SKIP_4) | instid1(VALU_DEP_1)
	v_add_f64 v[109:110], v[109:110], v[111:112]
	v_mov_b32_e32 v112, 0x1c0
	scratch_store_b64 v108, v[109:110], off
	scratch_load_b64 v[110:111], v107, off
	v_max_f64 v[108:109], v[58:59], v[58:59]
	v_min_f64 v[108:109], v[108:109], v[137:138]
	s_waitcnt vmcnt(0)
	s_delay_alu instid0(VALU_DEP_1) | instskip(SKIP_4) | instid1(VALU_DEP_1)
	v_add_f64 v[108:109], v[108:109], v[110:111]
	v_mov_b32_e32 v111, 0x1c8
	scratch_store_b64 v107, v[108:109], off
	scratch_load_b64 v[109:110], v83, off
	v_max_f64 v[107:108], v[60:61], v[60:61]
	v_min_f64 v[107:108], v[107:108], v[137:138]
	s_waitcnt vmcnt(0)
	s_delay_alu instid0(VALU_DEP_1) | instskip(SKIP_4) | instid1(VALU_DEP_2)
	v_add_f64 v[107:108], v[107:108], v[109:110]
	scratch_load_b64 v[109:110], v82, off
	scratch_store_b64 v83, v[107:108], off
	v_max_f64 v[107:108], v[62:63], v[62:63]
	v_mov_b32_e32 v83, 0x1f0
	v_min_f64 v[107:108], v[107:108], v[137:138]
	s_waitcnt vmcnt(0)
	s_delay_alu instid0(VALU_DEP_1)
	v_add_f64 v[107:108], v[107:108], v[109:110]
	v_mov_b32_e32 v110, 0x1d0
	v_mov_b32_e32 v109, 0x1d8
	scratch_store_b64 v82, v[107:108], off
	v_mov_b32_e32 v108, 0x1e0
	v_mov_b32_e32 v107, 0x1e8
	;; [unrolled: 1-line block ×3, first 2 shown]
	s_cbranch_vccnz .LBB139_47
; %bb.48:                               ;   in Loop: Header=BB139_34 Depth=1
	ds_load_2addr_b64 v[0:3], v98 offset0:3 offset1:19
	ds_load_2addr_b64 v[4:7], v98 offset0:35 offset1:51
	;; [unrolled: 1-line block ×12, first 2 shown]
	v_dual_mov_b32 v135, 8 :: v_dual_add_nc_u32 v64, 24, v99
	ds_load_2addr_b64 v[48:51], v104 offset0:131 offset1:147
	ds_load_2addr_b64 v[52:55], v104 offset0:163 offset1:179
	;; [unrolled: 1-line block ×4, first 2 shown]
	ds_load_2addr_stride64_b64 v[64:67], v64 offset1:4
	v_dual_mov_b32 v136, 0 :: v_dual_mov_b32 v133, 24
	v_dual_mov_b32 v134, 16 :: v_dual_mov_b32 v131, 40
	;; [unrolled: 1-line block ×5, first 2 shown]
	v_mov_b32_e32 v126, 0x50
	v_mov_b32_e32 v124, 0x60
	;; [unrolled: 1-line block ×21, first 2 shown]
	s_mov_b64 s[6:7], 0
	s_mov_b32 s19, -1
.LBB139_49:                             ;   Parent Loop BB139_34 Depth=1
                                        ; =>  This Inner Loop Header: Depth=2
	scratch_load_b64 v[141:142], v136, off
	s_cmp_eq_u32 s6, 1
	s_waitcnt lgkmcnt(16)
	v_max_f64 v[139:140], v[0:1], v[0:1]
	s_cselect_b32 vcc_lo, -1, 0
	s_mov_b64 s[6:7], 1
	s_waitcnt lgkmcnt(0)
	v_dual_cndmask_b32 v138, v65, v67 :: v_dual_cndmask_b32 v137, v64, v66
	s_and_b32 vcc_lo, exec_lo, s19
	s_mov_b32 s19, 0
	s_delay_alu instid0(VALU_DEP_1) | instskip(NEXT) | instid1(VALU_DEP_1)
	v_max_f64 v[137:138], v[137:138], v[137:138]
	v_min_f64 v[139:140], v[139:140], v[137:138]
	s_waitcnt vmcnt(0)
	s_delay_alu instid0(VALU_DEP_1) | instskip(SKIP_3) | instid1(VALU_DEP_1)
	v_add_f64 v[139:140], v[141:142], v[139:140]
	scratch_load_b64 v[141:142], v135, off
	scratch_store_b64 v136, v[139:140], off
	v_max_f64 v[139:140], v[2:3], v[2:3]
	v_min_f64 v[139:140], v[139:140], v[137:138]
	s_waitcnt vmcnt(0)
	s_delay_alu instid0(VALU_DEP_1) | instskip(SKIP_3) | instid1(VALU_DEP_1)
	v_add_f64 v[139:140], v[139:140], v[141:142]
	scratch_store_b64 v135, v[139:140], off
	scratch_load_b64 v[139:140], v134, off
	v_max_f64 v[135:136], v[4:5], v[4:5]
	v_min_f64 v[135:136], v[135:136], v[137:138]
	s_waitcnt vmcnt(0)
	s_delay_alu instid0(VALU_DEP_1) | instskip(SKIP_3) | instid1(VALU_DEP_1)
	v_add_f64 v[135:136], v[135:136], v[139:140]
	scratch_load_b64 v[139:140], v133, off
	scratch_store_b64 v134, v[135:136], off
	v_max_f64 v[134:135], v[6:7], v[6:7]
	v_min_f64 v[134:135], v[134:135], v[137:138]
	s_waitcnt vmcnt(0)
	s_delay_alu instid0(VALU_DEP_1) | instskip(SKIP_3) | instid1(VALU_DEP_1)
	v_add_f64 v[134:135], v[134:135], v[139:140]
	scratch_store_b64 v133, v[134:135], off
	scratch_load_b64 v[135:136], v132, off
	v_max_f64 v[133:134], v[8:9], v[8:9]
	v_min_f64 v[133:134], v[133:134], v[137:138]
	s_waitcnt vmcnt(0)
	s_delay_alu instid0(VALU_DEP_1) | instskip(SKIP_4) | instid1(VALU_DEP_1)
	v_add_f64 v[133:134], v[133:134], v[135:136]
	v_mov_b32_e32 v136, 0x100
	scratch_store_b64 v132, v[133:134], off
	scratch_load_b64 v[134:135], v131, off
	v_max_f64 v[132:133], v[10:11], v[10:11]
	v_min_f64 v[132:133], v[132:133], v[137:138]
	s_waitcnt vmcnt(0)
	s_delay_alu instid0(VALU_DEP_1) | instskip(SKIP_4) | instid1(VALU_DEP_1)
	v_add_f64 v[132:133], v[132:133], v[134:135]
	v_mov_b32_e32 v135, 0x108
	scratch_store_b64 v131, v[132:133], off
	scratch_load_b64 v[133:134], v130, off
	v_max_f64 v[131:132], v[12:13], v[12:13]
	v_min_f64 v[131:132], v[131:132], v[137:138]
	s_waitcnt vmcnt(0)
	s_delay_alu instid0(VALU_DEP_1) | instskip(SKIP_4) | instid1(VALU_DEP_1)
	v_add_f64 v[131:132], v[131:132], v[133:134]
	v_mov_b32_e32 v134, 0x110
	scratch_store_b64 v130, v[131:132], off
	scratch_load_b64 v[132:133], v129, off
	v_max_f64 v[130:131], v[14:15], v[14:15]
	v_min_f64 v[130:131], v[130:131], v[137:138]
	s_waitcnt vmcnt(0)
	s_delay_alu instid0(VALU_DEP_1) | instskip(SKIP_4) | instid1(VALU_DEP_1)
	v_add_f64 v[130:131], v[130:131], v[132:133]
	v_mov_b32_e32 v133, 0x118
	scratch_store_b64 v129, v[130:131], off
	scratch_load_b64 v[131:132], v128, off
	v_max_f64 v[129:130], v[16:17], v[16:17]
	v_min_f64 v[129:130], v[129:130], v[137:138]
	s_waitcnt vmcnt(0)
	s_delay_alu instid0(VALU_DEP_1) | instskip(SKIP_4) | instid1(VALU_DEP_1)
	v_add_f64 v[129:130], v[129:130], v[131:132]
	v_mov_b32_e32 v132, 0x120
	scratch_store_b64 v128, v[129:130], off
	scratch_load_b64 v[130:131], v127, off
	v_max_f64 v[128:129], v[18:19], v[18:19]
	v_min_f64 v[128:129], v[128:129], v[137:138]
	s_waitcnt vmcnt(0)
	s_delay_alu instid0(VALU_DEP_1) | instskip(SKIP_4) | instid1(VALU_DEP_1)
	v_add_f64 v[128:129], v[128:129], v[130:131]
	v_mov_b32_e32 v131, 0x128
	scratch_store_b64 v127, v[128:129], off
	scratch_load_b64 v[129:130], v126, off
	v_max_f64 v[127:128], v[20:21], v[20:21]
	v_min_f64 v[127:128], v[127:128], v[137:138]
	s_waitcnt vmcnt(0)
	s_delay_alu instid0(VALU_DEP_1) | instskip(SKIP_4) | instid1(VALU_DEP_1)
	v_add_f64 v[127:128], v[127:128], v[129:130]
	v_mov_b32_e32 v130, 0x130
	scratch_store_b64 v126, v[127:128], off
	scratch_load_b64 v[128:129], v125, off
	v_max_f64 v[126:127], v[22:23], v[22:23]
	v_min_f64 v[126:127], v[126:127], v[137:138]
	s_waitcnt vmcnt(0)
	s_delay_alu instid0(VALU_DEP_1) | instskip(SKIP_4) | instid1(VALU_DEP_1)
	v_add_f64 v[126:127], v[126:127], v[128:129]
	v_mov_b32_e32 v129, 0x138
	scratch_store_b64 v125, v[126:127], off
	scratch_load_b64 v[127:128], v124, off
	v_max_f64 v[125:126], v[24:25], v[24:25]
	v_min_f64 v[125:126], v[125:126], v[137:138]
	s_waitcnt vmcnt(0)
	s_delay_alu instid0(VALU_DEP_1) | instskip(SKIP_4) | instid1(VALU_DEP_1)
	v_add_f64 v[125:126], v[125:126], v[127:128]
	v_mov_b32_e32 v128, 0x140
	scratch_store_b64 v124, v[125:126], off
	scratch_load_b64 v[126:127], v123, off
	v_max_f64 v[124:125], v[26:27], v[26:27]
	v_min_f64 v[124:125], v[124:125], v[137:138]
	s_waitcnt vmcnt(0)
	s_delay_alu instid0(VALU_DEP_1) | instskip(SKIP_4) | instid1(VALU_DEP_1)
	v_add_f64 v[124:125], v[124:125], v[126:127]
	v_mov_b32_e32 v127, 0x148
	scratch_store_b64 v123, v[124:125], off
	scratch_load_b64 v[125:126], v122, off
	v_max_f64 v[123:124], v[28:29], v[28:29]
	v_min_f64 v[123:124], v[123:124], v[137:138]
	s_waitcnt vmcnt(0)
	s_delay_alu instid0(VALU_DEP_1) | instskip(SKIP_4) | instid1(VALU_DEP_1)
	v_add_f64 v[123:124], v[123:124], v[125:126]
	v_mov_b32_e32 v126, 0x150
	scratch_store_b64 v122, v[123:124], off
	scratch_load_b64 v[124:125], v121, off
	v_max_f64 v[122:123], v[30:31], v[30:31]
	v_min_f64 v[122:123], v[122:123], v[137:138]
	s_waitcnt vmcnt(0)
	s_delay_alu instid0(VALU_DEP_1) | instskip(SKIP_4) | instid1(VALU_DEP_1)
	v_add_f64 v[122:123], v[122:123], v[124:125]
	v_mov_b32_e32 v125, 0x158
	scratch_store_b64 v121, v[122:123], off
	scratch_load_b64 v[123:124], v120, off
	v_max_f64 v[121:122], v[32:33], v[32:33]
	v_min_f64 v[121:122], v[121:122], v[137:138]
	s_waitcnt vmcnt(0)
	s_delay_alu instid0(VALU_DEP_1) | instskip(SKIP_4) | instid1(VALU_DEP_1)
	v_add_f64 v[121:122], v[121:122], v[123:124]
	v_mov_b32_e32 v124, 0x160
	scratch_store_b64 v120, v[121:122], off
	scratch_load_b64 v[122:123], v119, off
	v_max_f64 v[120:121], v[34:35], v[34:35]
	v_min_f64 v[120:121], v[120:121], v[137:138]
	s_waitcnt vmcnt(0)
	s_delay_alu instid0(VALU_DEP_1) | instskip(SKIP_4) | instid1(VALU_DEP_1)
	v_add_f64 v[120:121], v[120:121], v[122:123]
	v_mov_b32_e32 v123, 0x168
	scratch_store_b64 v119, v[120:121], off
	scratch_load_b64 v[121:122], v118, off
	v_max_f64 v[119:120], v[36:37], v[36:37]
	v_min_f64 v[119:120], v[119:120], v[137:138]
	s_waitcnt vmcnt(0)
	s_delay_alu instid0(VALU_DEP_1) | instskip(SKIP_4) | instid1(VALU_DEP_1)
	v_add_f64 v[119:120], v[119:120], v[121:122]
	v_mov_b32_e32 v122, 0x170
	scratch_store_b64 v118, v[119:120], off
	scratch_load_b64 v[120:121], v117, off
	v_max_f64 v[118:119], v[38:39], v[38:39]
	v_min_f64 v[118:119], v[118:119], v[137:138]
	s_waitcnt vmcnt(0)
	s_delay_alu instid0(VALU_DEP_1) | instskip(SKIP_4) | instid1(VALU_DEP_1)
	v_add_f64 v[118:119], v[118:119], v[120:121]
	v_mov_b32_e32 v121, 0x178
	scratch_store_b64 v117, v[118:119], off
	scratch_load_b64 v[119:120], v116, off
	v_max_f64 v[117:118], v[40:41], v[40:41]
	v_min_f64 v[117:118], v[117:118], v[137:138]
	s_waitcnt vmcnt(0)
	s_delay_alu instid0(VALU_DEP_1) | instskip(SKIP_4) | instid1(VALU_DEP_1)
	v_add_f64 v[117:118], v[117:118], v[119:120]
	v_mov_b32_e32 v120, 0x180
	scratch_store_b64 v116, v[117:118], off
	scratch_load_b64 v[118:119], v115, off
	v_max_f64 v[116:117], v[42:43], v[42:43]
	v_min_f64 v[116:117], v[116:117], v[137:138]
	s_waitcnt vmcnt(0)
	s_delay_alu instid0(VALU_DEP_1) | instskip(SKIP_4) | instid1(VALU_DEP_1)
	v_add_f64 v[116:117], v[116:117], v[118:119]
	v_mov_b32_e32 v119, 0x188
	scratch_store_b64 v115, v[116:117], off
	scratch_load_b64 v[117:118], v114, off
	v_max_f64 v[115:116], v[44:45], v[44:45]
	v_min_f64 v[115:116], v[115:116], v[137:138]
	s_waitcnt vmcnt(0)
	s_delay_alu instid0(VALU_DEP_1) | instskip(SKIP_4) | instid1(VALU_DEP_1)
	v_add_f64 v[115:116], v[115:116], v[117:118]
	v_mov_b32_e32 v118, 0x190
	scratch_store_b64 v114, v[115:116], off
	scratch_load_b64 v[116:117], v113, off
	v_max_f64 v[114:115], v[46:47], v[46:47]
	v_min_f64 v[114:115], v[114:115], v[137:138]
	s_waitcnt vmcnt(0)
	s_delay_alu instid0(VALU_DEP_1) | instskip(SKIP_4) | instid1(VALU_DEP_1)
	v_add_f64 v[114:115], v[114:115], v[116:117]
	v_mov_b32_e32 v117, 0x198
	scratch_store_b64 v113, v[114:115], off
	scratch_load_b64 v[115:116], v112, off
	v_max_f64 v[113:114], v[48:49], v[48:49]
	v_min_f64 v[113:114], v[113:114], v[137:138]
	s_waitcnt vmcnt(0)
	s_delay_alu instid0(VALU_DEP_1) | instskip(SKIP_4) | instid1(VALU_DEP_1)
	v_add_f64 v[113:114], v[113:114], v[115:116]
	v_mov_b32_e32 v116, 0x1a0
	scratch_store_b64 v112, v[113:114], off
	scratch_load_b64 v[114:115], v111, off
	v_max_f64 v[112:113], v[50:51], v[50:51]
	v_min_f64 v[112:113], v[112:113], v[137:138]
	s_waitcnt vmcnt(0)
	s_delay_alu instid0(VALU_DEP_1) | instskip(SKIP_4) | instid1(VALU_DEP_1)
	v_add_f64 v[112:113], v[112:113], v[114:115]
	v_mov_b32_e32 v115, 0x1a8
	scratch_store_b64 v111, v[112:113], off
	scratch_load_b64 v[113:114], v110, off
	v_max_f64 v[111:112], v[52:53], v[52:53]
	v_min_f64 v[111:112], v[111:112], v[137:138]
	s_waitcnt vmcnt(0)
	s_delay_alu instid0(VALU_DEP_1) | instskip(SKIP_4) | instid1(VALU_DEP_1)
	v_add_f64 v[111:112], v[111:112], v[113:114]
	v_mov_b32_e32 v114, 0x1b0
	scratch_store_b64 v110, v[111:112], off
	scratch_load_b64 v[112:113], v109, off
	v_max_f64 v[110:111], v[54:55], v[54:55]
	v_min_f64 v[110:111], v[110:111], v[137:138]
	s_waitcnt vmcnt(0)
	s_delay_alu instid0(VALU_DEP_1) | instskip(SKIP_4) | instid1(VALU_DEP_1)
	v_add_f64 v[110:111], v[110:111], v[112:113]
	v_mov_b32_e32 v113, 0x1b8
	scratch_store_b64 v109, v[110:111], off
	scratch_load_b64 v[111:112], v108, off
	v_max_f64 v[109:110], v[56:57], v[56:57]
	v_min_f64 v[109:110], v[109:110], v[137:138]
	s_waitcnt vmcnt(0)
	s_delay_alu instid0(VALU_DEP_1) | instskip(SKIP_4) | instid1(VALU_DEP_1)
	v_add_f64 v[109:110], v[109:110], v[111:112]
	v_mov_b32_e32 v112, 0x1c0
	scratch_store_b64 v108, v[109:110], off
	scratch_load_b64 v[110:111], v107, off
	v_max_f64 v[108:109], v[58:59], v[58:59]
	v_min_f64 v[108:109], v[108:109], v[137:138]
	s_waitcnt vmcnt(0)
	s_delay_alu instid0(VALU_DEP_1) | instskip(SKIP_4) | instid1(VALU_DEP_1)
	v_add_f64 v[108:109], v[108:109], v[110:111]
	v_mov_b32_e32 v111, 0x1c8
	scratch_store_b64 v107, v[108:109], off
	scratch_load_b64 v[109:110], v83, off
	v_max_f64 v[107:108], v[60:61], v[60:61]
	v_min_f64 v[107:108], v[107:108], v[137:138]
	s_waitcnt vmcnt(0)
	s_delay_alu instid0(VALU_DEP_1) | instskip(SKIP_4) | instid1(VALU_DEP_2)
	v_add_f64 v[107:108], v[107:108], v[109:110]
	scratch_load_b64 v[109:110], v82, off
	scratch_store_b64 v83, v[107:108], off
	v_max_f64 v[107:108], v[62:63], v[62:63]
	v_mov_b32_e32 v83, 0x1f0
	v_min_f64 v[107:108], v[107:108], v[137:138]
	s_waitcnt vmcnt(0)
	s_delay_alu instid0(VALU_DEP_1)
	v_add_f64 v[107:108], v[107:108], v[109:110]
	v_mov_b32_e32 v110, 0x1d0
	v_mov_b32_e32 v109, 0x1d8
	scratch_store_b64 v82, v[107:108], off
	v_mov_b32_e32 v108, 0x1e0
	v_mov_b32_e32 v107, 0x1e8
	;; [unrolled: 1-line block ×3, first 2 shown]
	s_cbranch_vccnz .LBB139_49
; %bb.50:                               ;   in Loop: Header=BB139_34 Depth=1
	v_or_b32_e32 v72, 4, v72
	v_mov_b32_e32 v82, 0
	v_mov_b32_e32 v83, 0
	ds_store_2addr_stride64_b64 v92, v[80:81], v[78:79] offset1:4
	v_mov_b32_e32 v78, v82
	v_cmp_le_i32_e32 vcc_lo, s42, v72
	v_lshlrev_b64 v[0:1], 3, v[72:73]
	v_mov_b32_e32 v79, v83
	ds_store_2addr_stride64_b64 v94, v[86:87], v[84:85] offset1:4
	s_waitcnt lgkmcnt(0)
	s_waitcnt_vscnt null, 0x0
	s_or_b32 s6, s2, vcc_lo
	s_barrier
	s_xor_b32 s6, s6, -1
	buffer_gl0_inv
	s_and_saveexec_b32 s7, s6
	s_delay_alu instid0(SALU_CYCLE_1)
	s_xor_b32 s7, exec_lo, s7
	s_cbranch_execz .LBB139_52
; %bb.51:                               ;   in Loop: Header=BB139_34 Depth=1
	v_add_co_u32 v2, s6, v100, v0
	s_delay_alu instid0(VALU_DEP_1)
	v_add_co_ci_u32_e64 v3, s6, v101, v1, s6
	flat_load_b64 v[78:79], v[2:3]
.LBB139_52:                             ;   in Loop: Header=BB139_34 Depth=1
	s_or_b32 exec_lo, exec_lo, s7
	s_or_b32 s6, s3, vcc_lo
	s_delay_alu instid0(SALU_CYCLE_1) | instskip(NEXT) | instid1(SALU_CYCLE_1)
	s_xor_b32 s6, s6, -1
	s_and_saveexec_b32 s7, s6
	s_cbranch_execz .LBB139_54
; %bb.53:                               ;   in Loop: Header=BB139_34 Depth=1
	v_add_co_u32 v0, s6, v102, v0
	s_delay_alu instid0(VALU_DEP_1)
	v_add_co_ci_u32_e64 v1, s6, v103, v1, s6
	flat_load_b64 v[82:83], v[0:1]
.LBB139_54:                             ;   in Loop: Header=BB139_34 Depth=1
	s_or_b32 exec_lo, exec_lo, s7
	v_mov_b32_e32 v80, 0
	v_mov_b32_e32 v81, 0
	s_or_b32 s6, s4, vcc_lo
	s_delay_alu instid0(SALU_CYCLE_1) | instskip(NEXT) | instid1(VALU_DEP_1)
	s_xor_b32 s6, s6, -1
	v_dual_mov_b32 v85, v81 :: v_dual_mov_b32 v84, v80
	s_and_saveexec_b32 s7, s6
	s_cbranch_execz .LBB139_56
; %bb.55:                               ;   in Loop: Header=BB139_34 Depth=1
	v_add_co_u32 v0, s6, v105, v74
	s_delay_alu instid0(VALU_DEP_1)
	v_add_co_ci_u32_e64 v1, s6, v106, v75, s6
	flat_load_b64 v[84:85], v[0:1] offset:32
.LBB139_56:                             ;   in Loop: Header=BB139_34 Depth=1
	s_or_b32 exec_lo, exec_lo, s7
	s_or_b32 s6, s5, vcc_lo
	s_delay_alu instid0(SALU_CYCLE_1) | instskip(NEXT) | instid1(SALU_CYCLE_1)
	s_xor_b32 s7, s6, -1
	s_and_saveexec_b32 s6, s7
	s_cbranch_execz .LBB139_58
; %bb.57:                               ;   in Loop: Header=BB139_34 Depth=1
	v_add_co_u32 v0, vcc_lo, v105, v76
	v_add_co_ci_u32_e32 v1, vcc_lo, v106, v77, vcc_lo
	flat_load_b64 v[80:81], v[0:1] offset:32
.LBB139_58:                             ;   in Loop: Header=BB139_34 Depth=1
	s_or_b32 exec_lo, exec_lo, s6
	v_dual_mov_b32 v133, 8 :: v_dual_add_nc_u32 v72, 0x800, v91
	ds_load_2addr_b64 v[0:3], v91 offset1:16
	ds_load_2addr_b64 v[4:7], v91 offset0:32 offset1:48
	ds_load_2addr_b64 v[8:11], v91 offset0:64 offset1:80
	ds_load_2addr_b64 v[12:15], v91 offset0:96 offset1:112
	ds_load_2addr_b64 v[16:19], v91 offset0:128 offset1:144
	ds_load_2addr_b64 v[20:23], v91 offset0:160 offset1:176
	ds_load_2addr_b64 v[24:27], v91 offset0:192 offset1:208
	ds_load_2addr_b64 v[28:31], v91 offset0:224 offset1:240
	ds_load_2addr_b64 v[32:35], v72 offset1:16
	ds_load_2addr_b64 v[36:39], v72 offset0:32 offset1:48
	ds_load_2addr_b64 v[40:43], v72 offset0:64 offset1:80
	;; [unrolled: 1-line block ×7, first 2 shown]
	ds_load_2addr_stride64_b64 v[64:67], v95 offset1:4
	v_dual_mov_b32 v134, 0 :: v_dual_mov_b32 v131, 24
	v_dual_mov_b32 v132, 16 :: v_dual_mov_b32 v129, 40
	;; [unrolled: 1-line block ×5, first 2 shown]
	v_mov_b32_e32 v124, 0x50
	v_mov_b32_e32 v122, 0x60
	;; [unrolled: 1-line block ×21, first 2 shown]
	s_mov_b64 s[6:7], 0
	s_mov_b32 s19, -1
.LBB139_59:                             ;   Parent Loop BB139_34 Depth=1
                                        ; =>  This Inner Loop Header: Depth=2
	scratch_load_b64 v[139:140], v134, off
	s_cmp_eq_u32 s6, 1
	s_waitcnt lgkmcnt(16)
	v_max_f64 v[137:138], v[0:1], v[0:1]
	s_cselect_b32 vcc_lo, -1, 0
	s_mov_b64 s[6:7], 1
	s_waitcnt lgkmcnt(0)
	v_dual_cndmask_b32 v136, v65, v67 :: v_dual_cndmask_b32 v135, v64, v66
	s_and_b32 vcc_lo, exec_lo, s19
	s_mov_b32 s19, 0
	s_delay_alu instid0(VALU_DEP_1) | instskip(NEXT) | instid1(VALU_DEP_1)
	v_max_f64 v[135:136], v[135:136], v[135:136]
	v_min_f64 v[137:138], v[137:138], v[135:136]
	s_waitcnt vmcnt(0)
	s_delay_alu instid0(VALU_DEP_1) | instskip(SKIP_3) | instid1(VALU_DEP_1)
	v_add_f64 v[137:138], v[139:140], v[137:138]
	scratch_load_b64 v[139:140], v133, off
	scratch_store_b64 v134, v[137:138], off
	v_max_f64 v[137:138], v[2:3], v[2:3]
	v_min_f64 v[137:138], v[137:138], v[135:136]
	s_waitcnt vmcnt(0)
	s_delay_alu instid0(VALU_DEP_1) | instskip(SKIP_3) | instid1(VALU_DEP_1)
	v_add_f64 v[137:138], v[137:138], v[139:140]
	scratch_store_b64 v133, v[137:138], off
	scratch_load_b64 v[137:138], v132, off
	v_max_f64 v[133:134], v[4:5], v[4:5]
	v_min_f64 v[133:134], v[133:134], v[135:136]
	s_waitcnt vmcnt(0)
	s_delay_alu instid0(VALU_DEP_1) | instskip(SKIP_3) | instid1(VALU_DEP_1)
	v_add_f64 v[133:134], v[133:134], v[137:138]
	scratch_load_b64 v[137:138], v131, off
	scratch_store_b64 v132, v[133:134], off
	v_max_f64 v[132:133], v[6:7], v[6:7]
	v_min_f64 v[132:133], v[132:133], v[135:136]
	s_waitcnt vmcnt(0)
	s_delay_alu instid0(VALU_DEP_1) | instskip(SKIP_3) | instid1(VALU_DEP_1)
	v_add_f64 v[132:133], v[132:133], v[137:138]
	scratch_store_b64 v131, v[132:133], off
	scratch_load_b64 v[133:134], v130, off
	v_max_f64 v[131:132], v[8:9], v[8:9]
	v_min_f64 v[131:132], v[131:132], v[135:136]
	s_waitcnt vmcnt(0)
	s_delay_alu instid0(VALU_DEP_1) | instskip(SKIP_4) | instid1(VALU_DEP_1)
	v_add_f64 v[131:132], v[131:132], v[133:134]
	v_mov_b32_e32 v134, 0x100
	scratch_store_b64 v130, v[131:132], off
	scratch_load_b64 v[132:133], v129, off
	v_max_f64 v[130:131], v[10:11], v[10:11]
	v_min_f64 v[130:131], v[130:131], v[135:136]
	s_waitcnt vmcnt(0)
	s_delay_alu instid0(VALU_DEP_1) | instskip(SKIP_4) | instid1(VALU_DEP_1)
	v_add_f64 v[130:131], v[130:131], v[132:133]
	v_mov_b32_e32 v133, 0x108
	scratch_store_b64 v129, v[130:131], off
	scratch_load_b64 v[131:132], v128, off
	v_max_f64 v[129:130], v[12:13], v[12:13]
	v_min_f64 v[129:130], v[129:130], v[135:136]
	s_waitcnt vmcnt(0)
	s_delay_alu instid0(VALU_DEP_1) | instskip(SKIP_4) | instid1(VALU_DEP_1)
	v_add_f64 v[129:130], v[129:130], v[131:132]
	v_mov_b32_e32 v132, 0x110
	scratch_store_b64 v128, v[129:130], off
	scratch_load_b64 v[130:131], v127, off
	v_max_f64 v[128:129], v[14:15], v[14:15]
	v_min_f64 v[128:129], v[128:129], v[135:136]
	s_waitcnt vmcnt(0)
	s_delay_alu instid0(VALU_DEP_1) | instskip(SKIP_4) | instid1(VALU_DEP_1)
	v_add_f64 v[128:129], v[128:129], v[130:131]
	v_mov_b32_e32 v131, 0x118
	scratch_store_b64 v127, v[128:129], off
	scratch_load_b64 v[129:130], v126, off
	v_max_f64 v[127:128], v[16:17], v[16:17]
	v_min_f64 v[127:128], v[127:128], v[135:136]
	s_waitcnt vmcnt(0)
	s_delay_alu instid0(VALU_DEP_1) | instskip(SKIP_4) | instid1(VALU_DEP_1)
	v_add_f64 v[127:128], v[127:128], v[129:130]
	v_mov_b32_e32 v130, 0x120
	scratch_store_b64 v126, v[127:128], off
	scratch_load_b64 v[128:129], v125, off
	v_max_f64 v[126:127], v[18:19], v[18:19]
	v_min_f64 v[126:127], v[126:127], v[135:136]
	s_waitcnt vmcnt(0)
	s_delay_alu instid0(VALU_DEP_1) | instskip(SKIP_4) | instid1(VALU_DEP_1)
	v_add_f64 v[126:127], v[126:127], v[128:129]
	v_mov_b32_e32 v129, 0x128
	scratch_store_b64 v125, v[126:127], off
	scratch_load_b64 v[127:128], v124, off
	v_max_f64 v[125:126], v[20:21], v[20:21]
	v_min_f64 v[125:126], v[125:126], v[135:136]
	s_waitcnt vmcnt(0)
	s_delay_alu instid0(VALU_DEP_1) | instskip(SKIP_4) | instid1(VALU_DEP_1)
	v_add_f64 v[125:126], v[125:126], v[127:128]
	v_mov_b32_e32 v128, 0x130
	scratch_store_b64 v124, v[125:126], off
	scratch_load_b64 v[126:127], v123, off
	v_max_f64 v[124:125], v[22:23], v[22:23]
	v_min_f64 v[124:125], v[124:125], v[135:136]
	s_waitcnt vmcnt(0)
	s_delay_alu instid0(VALU_DEP_1) | instskip(SKIP_4) | instid1(VALU_DEP_1)
	v_add_f64 v[124:125], v[124:125], v[126:127]
	v_mov_b32_e32 v127, 0x138
	scratch_store_b64 v123, v[124:125], off
	scratch_load_b64 v[125:126], v122, off
	v_max_f64 v[123:124], v[24:25], v[24:25]
	v_min_f64 v[123:124], v[123:124], v[135:136]
	s_waitcnt vmcnt(0)
	s_delay_alu instid0(VALU_DEP_1) | instskip(SKIP_4) | instid1(VALU_DEP_1)
	v_add_f64 v[123:124], v[123:124], v[125:126]
	v_mov_b32_e32 v126, 0x140
	scratch_store_b64 v122, v[123:124], off
	scratch_load_b64 v[124:125], v121, off
	v_max_f64 v[122:123], v[26:27], v[26:27]
	v_min_f64 v[122:123], v[122:123], v[135:136]
	s_waitcnt vmcnt(0)
	s_delay_alu instid0(VALU_DEP_1) | instskip(SKIP_4) | instid1(VALU_DEP_1)
	v_add_f64 v[122:123], v[122:123], v[124:125]
	v_mov_b32_e32 v125, 0x148
	scratch_store_b64 v121, v[122:123], off
	scratch_load_b64 v[123:124], v120, off
	v_max_f64 v[121:122], v[28:29], v[28:29]
	v_min_f64 v[121:122], v[121:122], v[135:136]
	s_waitcnt vmcnt(0)
	s_delay_alu instid0(VALU_DEP_1) | instskip(SKIP_4) | instid1(VALU_DEP_1)
	v_add_f64 v[121:122], v[121:122], v[123:124]
	v_mov_b32_e32 v124, 0x150
	scratch_store_b64 v120, v[121:122], off
	scratch_load_b64 v[122:123], v119, off
	v_max_f64 v[120:121], v[30:31], v[30:31]
	v_min_f64 v[120:121], v[120:121], v[135:136]
	s_waitcnt vmcnt(0)
	s_delay_alu instid0(VALU_DEP_1) | instskip(SKIP_4) | instid1(VALU_DEP_1)
	v_add_f64 v[120:121], v[120:121], v[122:123]
	v_mov_b32_e32 v123, 0x158
	scratch_store_b64 v119, v[120:121], off
	scratch_load_b64 v[121:122], v118, off
	v_max_f64 v[119:120], v[32:33], v[32:33]
	v_min_f64 v[119:120], v[119:120], v[135:136]
	s_waitcnt vmcnt(0)
	s_delay_alu instid0(VALU_DEP_1) | instskip(SKIP_4) | instid1(VALU_DEP_1)
	v_add_f64 v[119:120], v[119:120], v[121:122]
	v_mov_b32_e32 v122, 0x160
	scratch_store_b64 v118, v[119:120], off
	scratch_load_b64 v[120:121], v117, off
	v_max_f64 v[118:119], v[34:35], v[34:35]
	v_min_f64 v[118:119], v[118:119], v[135:136]
	s_waitcnt vmcnt(0)
	s_delay_alu instid0(VALU_DEP_1) | instskip(SKIP_4) | instid1(VALU_DEP_1)
	v_add_f64 v[118:119], v[118:119], v[120:121]
	v_mov_b32_e32 v121, 0x168
	scratch_store_b64 v117, v[118:119], off
	scratch_load_b64 v[119:120], v116, off
	v_max_f64 v[117:118], v[36:37], v[36:37]
	v_min_f64 v[117:118], v[117:118], v[135:136]
	s_waitcnt vmcnt(0)
	s_delay_alu instid0(VALU_DEP_1) | instskip(SKIP_4) | instid1(VALU_DEP_1)
	v_add_f64 v[117:118], v[117:118], v[119:120]
	v_mov_b32_e32 v120, 0x170
	scratch_store_b64 v116, v[117:118], off
	scratch_load_b64 v[118:119], v115, off
	v_max_f64 v[116:117], v[38:39], v[38:39]
	v_min_f64 v[116:117], v[116:117], v[135:136]
	s_waitcnt vmcnt(0)
	s_delay_alu instid0(VALU_DEP_1) | instskip(SKIP_4) | instid1(VALU_DEP_1)
	v_add_f64 v[116:117], v[116:117], v[118:119]
	v_mov_b32_e32 v119, 0x178
	scratch_store_b64 v115, v[116:117], off
	scratch_load_b64 v[117:118], v114, off
	v_max_f64 v[115:116], v[40:41], v[40:41]
	v_min_f64 v[115:116], v[115:116], v[135:136]
	s_waitcnt vmcnt(0)
	s_delay_alu instid0(VALU_DEP_1) | instskip(SKIP_4) | instid1(VALU_DEP_1)
	v_add_f64 v[115:116], v[115:116], v[117:118]
	v_mov_b32_e32 v118, 0x180
	scratch_store_b64 v114, v[115:116], off
	scratch_load_b64 v[116:117], v113, off
	v_max_f64 v[114:115], v[42:43], v[42:43]
	v_min_f64 v[114:115], v[114:115], v[135:136]
	s_waitcnt vmcnt(0)
	s_delay_alu instid0(VALU_DEP_1) | instskip(SKIP_4) | instid1(VALU_DEP_1)
	v_add_f64 v[114:115], v[114:115], v[116:117]
	v_mov_b32_e32 v117, 0x188
	scratch_store_b64 v113, v[114:115], off
	scratch_load_b64 v[115:116], v112, off
	v_max_f64 v[113:114], v[44:45], v[44:45]
	v_min_f64 v[113:114], v[113:114], v[135:136]
	s_waitcnt vmcnt(0)
	s_delay_alu instid0(VALU_DEP_1) | instskip(SKIP_4) | instid1(VALU_DEP_1)
	v_add_f64 v[113:114], v[113:114], v[115:116]
	v_mov_b32_e32 v116, 0x190
	scratch_store_b64 v112, v[113:114], off
	scratch_load_b64 v[114:115], v111, off
	v_max_f64 v[112:113], v[46:47], v[46:47]
	v_min_f64 v[112:113], v[112:113], v[135:136]
	s_waitcnt vmcnt(0)
	s_delay_alu instid0(VALU_DEP_1) | instskip(SKIP_4) | instid1(VALU_DEP_1)
	v_add_f64 v[112:113], v[112:113], v[114:115]
	v_mov_b32_e32 v115, 0x198
	scratch_store_b64 v111, v[112:113], off
	scratch_load_b64 v[113:114], v110, off
	v_max_f64 v[111:112], v[48:49], v[48:49]
	v_min_f64 v[111:112], v[111:112], v[135:136]
	s_waitcnt vmcnt(0)
	s_delay_alu instid0(VALU_DEP_1) | instskip(SKIP_4) | instid1(VALU_DEP_1)
	v_add_f64 v[111:112], v[111:112], v[113:114]
	v_mov_b32_e32 v114, 0x1a0
	scratch_store_b64 v110, v[111:112], off
	scratch_load_b64 v[112:113], v109, off
	v_max_f64 v[110:111], v[50:51], v[50:51]
	v_min_f64 v[110:111], v[110:111], v[135:136]
	s_waitcnt vmcnt(0)
	s_delay_alu instid0(VALU_DEP_1) | instskip(SKIP_4) | instid1(VALU_DEP_1)
	v_add_f64 v[110:111], v[110:111], v[112:113]
	v_mov_b32_e32 v113, 0x1a8
	scratch_store_b64 v109, v[110:111], off
	scratch_load_b64 v[111:112], v108, off
	v_max_f64 v[109:110], v[52:53], v[52:53]
	v_min_f64 v[109:110], v[109:110], v[135:136]
	s_waitcnt vmcnt(0)
	s_delay_alu instid0(VALU_DEP_1) | instskip(SKIP_4) | instid1(VALU_DEP_1)
	v_add_f64 v[109:110], v[109:110], v[111:112]
	v_mov_b32_e32 v112, 0x1b0
	scratch_store_b64 v108, v[109:110], off
	scratch_load_b64 v[110:111], v107, off
	v_max_f64 v[108:109], v[54:55], v[54:55]
	v_min_f64 v[108:109], v[108:109], v[135:136]
	s_waitcnt vmcnt(0)
	s_delay_alu instid0(VALU_DEP_1) | instskip(SKIP_4) | instid1(VALU_DEP_1)
	v_add_f64 v[108:109], v[108:109], v[110:111]
	v_mov_b32_e32 v111, 0x1b8
	scratch_store_b64 v107, v[108:109], off
	scratch_load_b64 v[109:110], v106, off
	v_max_f64 v[107:108], v[56:57], v[56:57]
	v_min_f64 v[107:108], v[107:108], v[135:136]
	s_waitcnt vmcnt(0)
	s_delay_alu instid0(VALU_DEP_1) | instskip(SKIP_4) | instid1(VALU_DEP_1)
	v_add_f64 v[107:108], v[107:108], v[109:110]
	v_mov_b32_e32 v110, 0x1c0
	scratch_store_b64 v106, v[107:108], off
	scratch_load_b64 v[108:109], v105, off
	v_max_f64 v[106:107], v[58:59], v[58:59]
	v_min_f64 v[106:107], v[106:107], v[135:136]
	s_waitcnt vmcnt(0)
	s_delay_alu instid0(VALU_DEP_1) | instskip(SKIP_4) | instid1(VALU_DEP_1)
	v_add_f64 v[106:107], v[106:107], v[108:109]
	v_mov_b32_e32 v109, 0x1c8
	scratch_store_b64 v105, v[106:107], off
	scratch_load_b64 v[107:108], v87, off
	v_max_f64 v[105:106], v[60:61], v[60:61]
	v_min_f64 v[105:106], v[105:106], v[135:136]
	s_waitcnt vmcnt(0)
	s_delay_alu instid0(VALU_DEP_1) | instskip(SKIP_4) | instid1(VALU_DEP_2)
	v_add_f64 v[105:106], v[105:106], v[107:108]
	scratch_load_b64 v[107:108], v86, off
	scratch_store_b64 v87, v[105:106], off
	v_max_f64 v[105:106], v[62:63], v[62:63]
	v_mov_b32_e32 v87, 0x1f0
	v_min_f64 v[105:106], v[105:106], v[135:136]
	s_waitcnt vmcnt(0)
	s_delay_alu instid0(VALU_DEP_1)
	v_add_f64 v[105:106], v[105:106], v[107:108]
	v_mov_b32_e32 v108, 0x1d0
	v_mov_b32_e32 v107, 0x1d8
	scratch_store_b64 v86, v[105:106], off
	v_mov_b32_e32 v106, 0x1e0
	v_mov_b32_e32 v105, 0x1e8
	v_mov_b32_e32 v86, 0x1f8
	s_cbranch_vccnz .LBB139_59
; %bb.60:                               ;   in Loop: Header=BB139_34 Depth=1
	ds_load_2addr_b64 v[0:3], v91 offset0:1 offset1:17
	ds_load_2addr_b64 v[4:7], v91 offset0:33 offset1:49
	;; [unrolled: 1-line block ×12, first 2 shown]
	v_dual_mov_b32 v133, 8 :: v_dual_add_nc_u32 v64, 8, v95
	ds_load_2addr_b64 v[48:51], v72 offset0:129 offset1:145
	ds_load_2addr_b64 v[52:55], v72 offset0:161 offset1:177
	;; [unrolled: 1-line block ×4, first 2 shown]
	ds_load_2addr_stride64_b64 v[64:67], v64 offset1:4
	v_dual_mov_b32 v134, 0 :: v_dual_mov_b32 v131, 24
	v_dual_mov_b32 v132, 16 :: v_dual_mov_b32 v129, 40
	;; [unrolled: 1-line block ×5, first 2 shown]
	v_mov_b32_e32 v124, 0x50
	v_mov_b32_e32 v122, 0x60
	;; [unrolled: 1-line block ×21, first 2 shown]
	s_mov_b64 s[6:7], 0
	s_mov_b32 s19, -1
.LBB139_61:                             ;   Parent Loop BB139_34 Depth=1
                                        ; =>  This Inner Loop Header: Depth=2
	scratch_load_b64 v[139:140], v134, off
	s_cmp_eq_u32 s6, 1
	s_waitcnt lgkmcnt(16)
	v_max_f64 v[137:138], v[0:1], v[0:1]
	s_cselect_b32 vcc_lo, -1, 0
	s_mov_b64 s[6:7], 1
	s_waitcnt lgkmcnt(0)
	v_dual_cndmask_b32 v136, v65, v67 :: v_dual_cndmask_b32 v135, v64, v66
	s_and_b32 vcc_lo, exec_lo, s19
	s_mov_b32 s19, 0
	s_delay_alu instid0(VALU_DEP_1) | instskip(NEXT) | instid1(VALU_DEP_1)
	v_max_f64 v[135:136], v[135:136], v[135:136]
	v_min_f64 v[137:138], v[137:138], v[135:136]
	s_waitcnt vmcnt(0)
	s_delay_alu instid0(VALU_DEP_1) | instskip(SKIP_3) | instid1(VALU_DEP_1)
	v_add_f64 v[137:138], v[139:140], v[137:138]
	scratch_load_b64 v[139:140], v133, off
	scratch_store_b64 v134, v[137:138], off
	v_max_f64 v[137:138], v[2:3], v[2:3]
	v_min_f64 v[137:138], v[137:138], v[135:136]
	s_waitcnt vmcnt(0)
	s_delay_alu instid0(VALU_DEP_1) | instskip(SKIP_3) | instid1(VALU_DEP_1)
	v_add_f64 v[137:138], v[137:138], v[139:140]
	scratch_store_b64 v133, v[137:138], off
	scratch_load_b64 v[137:138], v132, off
	v_max_f64 v[133:134], v[4:5], v[4:5]
	v_min_f64 v[133:134], v[133:134], v[135:136]
	s_waitcnt vmcnt(0)
	s_delay_alu instid0(VALU_DEP_1) | instskip(SKIP_3) | instid1(VALU_DEP_1)
	v_add_f64 v[133:134], v[133:134], v[137:138]
	scratch_load_b64 v[137:138], v131, off
	scratch_store_b64 v132, v[133:134], off
	v_max_f64 v[132:133], v[6:7], v[6:7]
	v_min_f64 v[132:133], v[132:133], v[135:136]
	s_waitcnt vmcnt(0)
	s_delay_alu instid0(VALU_DEP_1) | instskip(SKIP_3) | instid1(VALU_DEP_1)
	v_add_f64 v[132:133], v[132:133], v[137:138]
	scratch_store_b64 v131, v[132:133], off
	scratch_load_b64 v[133:134], v130, off
	v_max_f64 v[131:132], v[8:9], v[8:9]
	v_min_f64 v[131:132], v[131:132], v[135:136]
	s_waitcnt vmcnt(0)
	s_delay_alu instid0(VALU_DEP_1) | instskip(SKIP_4) | instid1(VALU_DEP_1)
	v_add_f64 v[131:132], v[131:132], v[133:134]
	v_mov_b32_e32 v134, 0x100
	scratch_store_b64 v130, v[131:132], off
	scratch_load_b64 v[132:133], v129, off
	v_max_f64 v[130:131], v[10:11], v[10:11]
	v_min_f64 v[130:131], v[130:131], v[135:136]
	s_waitcnt vmcnt(0)
	s_delay_alu instid0(VALU_DEP_1) | instskip(SKIP_4) | instid1(VALU_DEP_1)
	v_add_f64 v[130:131], v[130:131], v[132:133]
	v_mov_b32_e32 v133, 0x108
	;; [unrolled: 8-line block ×26, first 2 shown]
	scratch_store_b64 v105, v[106:107], off
	scratch_load_b64 v[107:108], v87, off
	v_max_f64 v[105:106], v[60:61], v[60:61]
	v_min_f64 v[105:106], v[105:106], v[135:136]
	s_waitcnt vmcnt(0)
	s_delay_alu instid0(VALU_DEP_1) | instskip(SKIP_4) | instid1(VALU_DEP_2)
	v_add_f64 v[105:106], v[105:106], v[107:108]
	scratch_load_b64 v[107:108], v86, off
	scratch_store_b64 v87, v[105:106], off
	v_max_f64 v[105:106], v[62:63], v[62:63]
	v_mov_b32_e32 v87, 0x1f0
	v_min_f64 v[105:106], v[105:106], v[135:136]
	s_waitcnt vmcnt(0)
	s_delay_alu instid0(VALU_DEP_1)
	v_add_f64 v[105:106], v[105:106], v[107:108]
	v_mov_b32_e32 v108, 0x1d0
	v_mov_b32_e32 v107, 0x1d8
	scratch_store_b64 v86, v[105:106], off
	v_mov_b32_e32 v106, 0x1e0
	v_mov_b32_e32 v105, 0x1e8
	;; [unrolled: 1-line block ×3, first 2 shown]
	s_cbranch_vccnz .LBB139_61
; %bb.62:                               ;   in Loop: Header=BB139_34 Depth=1
	ds_load_2addr_b64 v[0:3], v91 offset0:2 offset1:18
	ds_load_2addr_b64 v[4:7], v91 offset0:34 offset1:50
	;; [unrolled: 1-line block ×12, first 2 shown]
	v_dual_mov_b32 v133, 8 :: v_dual_add_nc_u32 v64, 16, v95
	ds_load_2addr_b64 v[48:51], v72 offset0:130 offset1:146
	ds_load_2addr_b64 v[52:55], v72 offset0:162 offset1:178
	;; [unrolled: 1-line block ×4, first 2 shown]
	ds_load_2addr_stride64_b64 v[64:67], v64 offset1:4
	v_dual_mov_b32 v134, 0 :: v_dual_mov_b32 v131, 24
	v_dual_mov_b32 v132, 16 :: v_dual_mov_b32 v129, 40
	;; [unrolled: 1-line block ×5, first 2 shown]
	v_mov_b32_e32 v124, 0x50
	v_mov_b32_e32 v122, 0x60
	;; [unrolled: 1-line block ×21, first 2 shown]
	s_mov_b64 s[6:7], 0
	s_mov_b32 s19, -1
.LBB139_63:                             ;   Parent Loop BB139_34 Depth=1
                                        ; =>  This Inner Loop Header: Depth=2
	scratch_load_b64 v[139:140], v134, off
	s_cmp_eq_u32 s6, 1
	s_waitcnt lgkmcnt(16)
	v_max_f64 v[137:138], v[0:1], v[0:1]
	s_cselect_b32 vcc_lo, -1, 0
	s_mov_b64 s[6:7], 1
	s_waitcnt lgkmcnt(0)
	v_dual_cndmask_b32 v136, v65, v67 :: v_dual_cndmask_b32 v135, v64, v66
	s_and_b32 vcc_lo, exec_lo, s19
	s_mov_b32 s19, 0
	s_delay_alu instid0(VALU_DEP_1) | instskip(NEXT) | instid1(VALU_DEP_1)
	v_max_f64 v[135:136], v[135:136], v[135:136]
	v_min_f64 v[137:138], v[137:138], v[135:136]
	s_waitcnt vmcnt(0)
	s_delay_alu instid0(VALU_DEP_1) | instskip(SKIP_3) | instid1(VALU_DEP_1)
	v_add_f64 v[137:138], v[139:140], v[137:138]
	scratch_load_b64 v[139:140], v133, off
	scratch_store_b64 v134, v[137:138], off
	v_max_f64 v[137:138], v[2:3], v[2:3]
	v_min_f64 v[137:138], v[137:138], v[135:136]
	s_waitcnt vmcnt(0)
	s_delay_alu instid0(VALU_DEP_1) | instskip(SKIP_3) | instid1(VALU_DEP_1)
	v_add_f64 v[137:138], v[137:138], v[139:140]
	scratch_store_b64 v133, v[137:138], off
	scratch_load_b64 v[137:138], v132, off
	v_max_f64 v[133:134], v[4:5], v[4:5]
	v_min_f64 v[133:134], v[133:134], v[135:136]
	s_waitcnt vmcnt(0)
	s_delay_alu instid0(VALU_DEP_1) | instskip(SKIP_3) | instid1(VALU_DEP_1)
	v_add_f64 v[133:134], v[133:134], v[137:138]
	scratch_load_b64 v[137:138], v131, off
	scratch_store_b64 v132, v[133:134], off
	v_max_f64 v[132:133], v[6:7], v[6:7]
	v_min_f64 v[132:133], v[132:133], v[135:136]
	s_waitcnt vmcnt(0)
	s_delay_alu instid0(VALU_DEP_1) | instskip(SKIP_3) | instid1(VALU_DEP_1)
	v_add_f64 v[132:133], v[132:133], v[137:138]
	scratch_store_b64 v131, v[132:133], off
	scratch_load_b64 v[133:134], v130, off
	v_max_f64 v[131:132], v[8:9], v[8:9]
	v_min_f64 v[131:132], v[131:132], v[135:136]
	s_waitcnt vmcnt(0)
	s_delay_alu instid0(VALU_DEP_1) | instskip(SKIP_4) | instid1(VALU_DEP_1)
	v_add_f64 v[131:132], v[131:132], v[133:134]
	v_mov_b32_e32 v134, 0x100
	scratch_store_b64 v130, v[131:132], off
	scratch_load_b64 v[132:133], v129, off
	v_max_f64 v[130:131], v[10:11], v[10:11]
	v_min_f64 v[130:131], v[130:131], v[135:136]
	s_waitcnt vmcnt(0)
	s_delay_alu instid0(VALU_DEP_1) | instskip(SKIP_4) | instid1(VALU_DEP_1)
	v_add_f64 v[130:131], v[130:131], v[132:133]
	v_mov_b32_e32 v133, 0x108
	;; [unrolled: 8-line block ×26, first 2 shown]
	scratch_store_b64 v105, v[106:107], off
	scratch_load_b64 v[107:108], v87, off
	v_max_f64 v[105:106], v[60:61], v[60:61]
	v_min_f64 v[105:106], v[105:106], v[135:136]
	s_waitcnt vmcnt(0)
	s_delay_alu instid0(VALU_DEP_1) | instskip(SKIP_4) | instid1(VALU_DEP_2)
	v_add_f64 v[105:106], v[105:106], v[107:108]
	scratch_load_b64 v[107:108], v86, off
	scratch_store_b64 v87, v[105:106], off
	v_max_f64 v[105:106], v[62:63], v[62:63]
	v_mov_b32_e32 v87, 0x1f0
	v_min_f64 v[105:106], v[105:106], v[135:136]
	s_waitcnt vmcnt(0)
	s_delay_alu instid0(VALU_DEP_1)
	v_add_f64 v[105:106], v[105:106], v[107:108]
	v_mov_b32_e32 v108, 0x1d0
	v_mov_b32_e32 v107, 0x1d8
	scratch_store_b64 v86, v[105:106], off
	v_mov_b32_e32 v106, 0x1e0
	v_mov_b32_e32 v105, 0x1e8
	;; [unrolled: 1-line block ×3, first 2 shown]
	s_cbranch_vccnz .LBB139_63
; %bb.64:                               ;   in Loop: Header=BB139_34 Depth=1
	ds_load_2addr_b64 v[0:3], v91 offset0:3 offset1:19
	ds_load_2addr_b64 v[4:7], v91 offset0:35 offset1:51
	;; [unrolled: 1-line block ×12, first 2 shown]
	v_dual_mov_b32 v133, 0 :: v_dual_add_nc_u32 v64, 24, v95
	ds_load_2addr_b64 v[48:51], v72 offset0:131 offset1:147
	ds_load_2addr_b64 v[52:55], v72 offset0:163 offset1:179
	;; [unrolled: 1-line block ×4, first 2 shown]
	ds_load_2addr_stride64_b64 v[64:67], v64 offset1:4
	v_dual_mov_b32 v132, 8 :: v_dual_mov_b32 v131, 16
	v_dual_mov_b32 v130, 24 :: v_dual_mov_b32 v129, 32
	;; [unrolled: 1-line block ×4, first 2 shown]
	v_mov_b32_e32 v124, 0x48
	v_mov_b32_e32 v123, 0x50
	v_mov_b32_e32 v122, 0x58
	v_mov_b32_e32 v121, 0x60
	v_mov_b32_e32 v120, 0x68
	v_mov_b32_e32 v119, 0x70
	v_mov_b32_e32 v118, 0x78
	v_mov_b32_e32 v117, 0x80
	v_mov_b32_e32 v116, 0x88
	v_mov_b32_e32 v115, 0x90
	v_mov_b32_e32 v114, 0x98
	v_mov_b32_e32 v113, 0xa0
	v_mov_b32_e32 v112, 0xa8
	v_mov_b32_e32 v111, 0xb0
	v_mov_b32_e32 v110, 0xb8
	v_mov_b32_e32 v109, 0xc0
	v_mov_b32_e32 v108, 0xc8
	v_mov_b32_e32 v107, 0xd0
	v_mov_b32_e32 v106, 0xd8
	v_mov_b32_e32 v105, 0xe0
	v_mov_b32_e32 v87, 0xe8
	v_mov_b32_e32 v86, 0xf0
	v_mov_b32_e32 v72, 0xf8
	s_mov_b64 s[6:7], 0
	s_mov_b32 s19, -1
.LBB139_65:                             ;   Parent Loop BB139_34 Depth=1
                                        ; =>  This Inner Loop Header: Depth=2
	scratch_load_b64 v[138:139], v133, off
	s_cmp_eq_u32 s6, 1
	s_waitcnt lgkmcnt(16)
	v_max_f64 v[136:137], v[0:1], v[0:1]
	s_cselect_b32 vcc_lo, -1, 0
	s_mov_b64 s[6:7], 1
	s_waitcnt lgkmcnt(0)
	v_dual_cndmask_b32 v135, v65, v67 :: v_dual_cndmask_b32 v134, v64, v66
	s_and_b32 vcc_lo, exec_lo, s19
	s_mov_b32 s19, 0
	s_delay_alu instid0(VALU_DEP_1) | instskip(NEXT) | instid1(VALU_DEP_1)
	v_max_f64 v[134:135], v[134:135], v[134:135]
	v_min_f64 v[136:137], v[136:137], v[134:135]
	s_waitcnt vmcnt(0)
	s_delay_alu instid0(VALU_DEP_1) | instskip(SKIP_3) | instid1(VALU_DEP_1)
	v_add_f64 v[136:137], v[138:139], v[136:137]
	scratch_load_b64 v[138:139], v132, off
	scratch_store_b64 v133, v[136:137], off
	v_max_f64 v[136:137], v[2:3], v[2:3]
	v_min_f64 v[136:137], v[136:137], v[134:135]
	s_waitcnt vmcnt(0)
	s_delay_alu instid0(VALU_DEP_1) | instskip(SKIP_3) | instid1(VALU_DEP_1)
	v_add_f64 v[136:137], v[136:137], v[138:139]
	scratch_store_b64 v132, v[136:137], off
	scratch_load_b64 v[136:137], v131, off
	v_max_f64 v[132:133], v[4:5], v[4:5]
	v_min_f64 v[132:133], v[132:133], v[134:135]
	s_waitcnt vmcnt(0)
	s_delay_alu instid0(VALU_DEP_1) | instskip(SKIP_3) | instid1(VALU_DEP_1)
	v_add_f64 v[132:133], v[132:133], v[136:137]
	scratch_load_b64 v[136:137], v130, off
	scratch_store_b64 v131, v[132:133], off
	v_max_f64 v[131:132], v[6:7], v[6:7]
	v_min_f64 v[131:132], v[131:132], v[134:135]
	s_waitcnt vmcnt(0)
	s_delay_alu instid0(VALU_DEP_1) | instskip(SKIP_3) | instid1(VALU_DEP_1)
	v_add_f64 v[131:132], v[131:132], v[136:137]
	scratch_store_b64 v130, v[131:132], off
	scratch_load_b64 v[132:133], v129, off
	v_max_f64 v[130:131], v[8:9], v[8:9]
	v_min_f64 v[130:131], v[130:131], v[134:135]
	s_waitcnt vmcnt(0)
	s_delay_alu instid0(VALU_DEP_1) | instskip(SKIP_4) | instid1(VALU_DEP_1)
	v_add_f64 v[130:131], v[130:131], v[132:133]
	v_mov_b32_e32 v133, 0x100
	scratch_store_b64 v129, v[130:131], off
	scratch_load_b64 v[131:132], v128, off
	v_max_f64 v[129:130], v[10:11], v[10:11]
	v_min_f64 v[129:130], v[129:130], v[134:135]
	s_waitcnt vmcnt(0)
	s_delay_alu instid0(VALU_DEP_1) | instskip(SKIP_4) | instid1(VALU_DEP_1)
	v_add_f64 v[129:130], v[129:130], v[131:132]
	v_mov_b32_e32 v132, 0x108
	;; [unrolled: 8-line block ×25, first 2 shown]
	scratch_store_b64 v105, v[106:107], off
	scratch_load_b64 v[107:108], v87, off
	v_max_f64 v[105:106], v[58:59], v[58:59]
	v_min_f64 v[105:106], v[105:106], v[134:135]
	s_waitcnt vmcnt(0)
	s_delay_alu instid0(VALU_DEP_1) | instskip(SKIP_3) | instid1(VALU_DEP_1)
	v_add_f64 v[105:106], v[105:106], v[107:108]
	scratch_load_b64 v[107:108], v86, off
	scratch_store_b64 v87, v[105:106], off
	v_max_f64 v[105:106], v[60:61], v[60:61]
	v_min_f64 v[105:106], v[105:106], v[134:135]
	s_waitcnt vmcnt(0)
	s_delay_alu instid0(VALU_DEP_1)
	v_add_f64 v[105:106], v[105:106], v[107:108]
	v_mov_b32_e32 v108, 0x1c8
	v_mov_b32_e32 v107, 0x1d0
	scratch_store_b64 v86, v[105:106], off
	scratch_load_b64 v[105:106], v72, off
	v_max_f64 v[86:87], v[62:63], v[62:63]
	s_delay_alu instid0(VALU_DEP_1) | instskip(SKIP_1) | instid1(VALU_DEP_1)
	v_min_f64 v[86:87], v[86:87], v[134:135]
	s_waitcnt vmcnt(0)
	v_add_f64 v[86:87], v[86:87], v[105:106]
	v_mov_b32_e32 v106, 0x1d8
	v_mov_b32_e32 v105, 0x1e0
	scratch_store_b64 v72, v[86:87], off
	v_mov_b32_e32 v87, 0x1e8
	v_mov_b32_e32 v86, 0x1f0
	;; [unrolled: 1-line block ×3, first 2 shown]
	s_cbranch_vccnz .LBB139_65
; %bb.66:                               ;   in Loop: Header=BB139_34 Depth=1
	s_add_i32 s18, s18, 8
	s_add_i32 s16, s16, 8
	s_cmp_ge_i32 s18, s17
	ds_store_2addr_stride64_b64 v96, v[78:79], v[82:83] offset1:4
	ds_store_2addr_stride64_b64 v97, v[84:85], v[80:81] offset1:4
	s_waitcnt lgkmcnt(0)
	s_waitcnt_vscnt null, 0x0
	s_barrier
	buffer_gl0_inv
	s_cbranch_scc0 .LBB139_34
.LBB139_67:
	v_dual_mov_b32 v71, 8 :: v_dual_add_nc_u32 v28, 0x1000, v91
	v_dual_mov_b32 v75, 40 :: v_dual_add_nc_u32 v60, 0x1800, v91
	;; [unrolled: 1-line block ×3, first 2 shown]
	ds_load_2addr_b64 v[0:3], v28 offset1:16
	ds_load_2addr_b64 v[4:7], v28 offset0:32 offset1:48
	ds_load_2addr_b64 v[8:11], v28 offset0:64 offset1:80
	;; [unrolled: 1-line block ×7, first 2 shown]
	ds_load_2addr_b64 v[32:35], v60 offset1:16
	ds_load_2addr_b64 v[36:39], v60 offset0:32 offset1:48
	ds_load_2addr_b64 v[40:43], v60 offset0:64 offset1:80
	;; [unrolled: 1-line block ×7, first 2 shown]
	ds_load_2addr_stride64_b64 v[64:67], v93 offset0:24 offset1:28
	v_dual_mov_b32 v70, 0 :: v_dual_add_nc_u32 v69, 0x3000, v93
	v_dual_mov_b32 v72, 16 :: v_dual_mov_b32 v77, 56
	v_dual_mov_b32 v74, 32 :: v_dual_mov_b32 v79, 0x48
	;; [unrolled: 1-line block ×4, first 2 shown]
	v_mov_b32_e32 v80, 0x50
	v_mov_b32_e32 v82, 0x60
	;; [unrolled: 1-line block ×20, first 2 shown]
	s_mov_b64 s[2:3], 0
	s_mov_b32 s4, -1
.LBB139_68:                             ; =>This Inner Loop Header: Depth=1
	scratch_load_b64 v[104:105], v70, off
	scratch_load_b64 v[106:107], v71, off
	;; [unrolled: 1-line block ×32, first 2 shown]
	s_cmp_eq_u32 s2, 1
	s_waitcnt lgkmcnt(16)
	v_max_f64 v[170:171], v[0:1], v[0:1]
	s_cselect_b32 vcc_lo, -1, 0
	v_max_f64 v[172:173], v[2:3], v[2:3]
	s_waitcnt lgkmcnt(0)
	v_dual_cndmask_b32 v169, v65, v67 :: v_dual_cndmask_b32 v168, v64, v66
	v_max_f64 v[174:175], v[4:5], v[4:5]
	v_max_f64 v[176:177], v[6:7], v[6:7]
	;; [unrolled: 1-line block ×31, first 2 shown]
	s_mov_b64 s[2:3], 1
	s_and_b32 vcc_lo, exec_lo, s4
	s_mov_b32 s4, 0
	v_min_f64 v[170:171], v[170:171], v[168:169]
	v_min_f64 v[172:173], v[172:173], v[168:169]
	v_min_f64 v[174:175], v[174:175], v[168:169]
	v_min_f64 v[176:177], v[176:177], v[168:169]
	v_min_f64 v[178:179], v[178:179], v[168:169]
	v_min_f64 v[180:181], v[180:181], v[168:169]
	v_min_f64 v[182:183], v[182:183], v[168:169]
	v_min_f64 v[184:185], v[184:185], v[168:169]
	v_min_f64 v[186:187], v[186:187], v[168:169]
	v_min_f64 v[188:189], v[188:189], v[168:169]
	v_min_f64 v[190:191], v[190:191], v[168:169]
	v_min_f64 v[192:193], v[192:193], v[168:169]
	v_min_f64 v[194:195], v[194:195], v[168:169]
	v_min_f64 v[196:197], v[196:197], v[168:169]
	v_min_f64 v[198:199], v[198:199], v[168:169]
	v_min_f64 v[200:201], v[200:201], v[168:169]
	v_min_f64 v[202:203], v[202:203], v[168:169]
	v_min_f64 v[204:205], v[204:205], v[168:169]
	v_min_f64 v[206:207], v[206:207], v[168:169]
	v_min_f64 v[208:209], v[208:209], v[168:169]
	v_min_f64 v[210:211], v[210:211], v[168:169]
	v_min_f64 v[212:213], v[212:213], v[168:169]
	v_min_f64 v[214:215], v[214:215], v[168:169]
	v_min_f64 v[216:217], v[216:217], v[168:169]
	v_min_f64 v[218:219], v[218:219], v[168:169]
	v_min_f64 v[220:221], v[220:221], v[168:169]
	v_min_f64 v[222:223], v[222:223], v[168:169]
	v_min_f64 v[224:225], v[224:225], v[168:169]
	v_min_f64 v[226:227], v[226:227], v[168:169]
	v_min_f64 v[228:229], v[228:229], v[168:169]
	v_min_f64 v[230:231], v[230:231], v[168:169]
	v_min_f64 v[168:169], v[232:233], v[168:169]
	s_waitcnt vmcnt(31)
	v_add_f64 v[104:105], v[104:105], v[170:171]
	s_waitcnt vmcnt(30)
	v_add_f64 v[106:107], v[172:173], v[106:107]
	;; [unrolled: 2-line block ×32, first 2 shown]
	scratch_store_b64 v70, v[104:105], off
	scratch_store_b64 v71, v[106:107], off
	;; [unrolled: 1-line block ×32, first 2 shown]
	v_mov_b32_e32 v70, 0x100
	v_mov_b32_e32 v71, 0x108
	;; [unrolled: 1-line block ×32, first 2 shown]
	s_cbranch_vccnz .LBB139_68
; %bb.69:
	v_dual_mov_b32 v71, 8 :: v_dual_add_nc_u32 v60, 0x800, v68
	ds_load_2addr_b64 v[0:3], v68 offset0:1 offset1:17
	ds_load_2addr_b64 v[4:7], v68 offset0:33 offset1:49
	;; [unrolled: 1-line block ×12, first 2 shown]
	v_dual_mov_b32 v73, 24 :: v_dual_add_nc_u32 v64, 8, v69
	ds_load_2addr_b64 v[48:51], v60 offset0:129 offset1:145
	ds_load_2addr_b64 v[52:55], v60 offset0:161 offset1:177
	;; [unrolled: 1-line block ×4, first 2 shown]
	ds_load_2addr_stride64_b64 v[64:67], v64 offset1:4
	v_dual_mov_b32 v70, 0 :: v_dual_mov_b32 v75, 40
	v_dual_mov_b32 v72, 16 :: v_dual_mov_b32 v77, 56
	;; [unrolled: 1-line block ×5, first 2 shown]
	v_mov_b32_e32 v80, 0x50
	v_mov_b32_e32 v82, 0x60
	v_mov_b32_e32 v84, 0x70
	v_mov_b32_e32 v85, 0x78
	v_mov_b32_e32 v86, 0x80
	v_mov_b32_e32 v87, 0x88
	v_mov_b32_e32 v90, 0x90
	v_mov_b32_e32 v91, 0x98
	v_mov_b32_e32 v92, 0xa0
	v_mov_b32_e32 v93, 0xa8
	v_mov_b32_e32 v94, 0xb0
	v_mov_b32_e32 v95, 0xb8
	v_mov_b32_e32 v96, 0xc0
	v_mov_b32_e32 v97, 0xc8
	v_mov_b32_e32 v98, 0xd0
	v_mov_b32_e32 v99, 0xd8
	v_mov_b32_e32 v100, 0xe0
	v_mov_b32_e32 v101, 0xe8
	v_mov_b32_e32 v102, 0xf0
	v_mov_b32_e32 v103, 0xf8
	s_mov_b64 s[2:3], 0
	s_mov_b32 s4, -1
.LBB139_70:                             ; =>This Inner Loop Header: Depth=1
	scratch_load_b64 v[104:105], v70, off
	scratch_load_b64 v[106:107], v71, off
	;; [unrolled: 1-line block ×32, first 2 shown]
	s_cmp_eq_u32 s2, 1
	s_waitcnt lgkmcnt(16)
	v_max_f64 v[170:171], v[0:1], v[0:1]
	s_cselect_b32 vcc_lo, -1, 0
	v_max_f64 v[172:173], v[2:3], v[2:3]
	s_waitcnt lgkmcnt(0)
	v_dual_cndmask_b32 v169, v65, v67 :: v_dual_cndmask_b32 v168, v64, v66
	v_max_f64 v[174:175], v[4:5], v[4:5]
	v_max_f64 v[176:177], v[6:7], v[6:7]
	v_max_f64 v[178:179], v[8:9], v[8:9]
	v_max_f64 v[180:181], v[10:11], v[10:11]
	v_max_f64 v[168:169], v[168:169], v[168:169]
	v_max_f64 v[182:183], v[12:13], v[12:13]
	v_max_f64 v[184:185], v[14:15], v[14:15]
	v_max_f64 v[186:187], v[16:17], v[16:17]
	v_max_f64 v[188:189], v[18:19], v[18:19]
	v_max_f64 v[190:191], v[20:21], v[20:21]
	v_max_f64 v[192:193], v[22:23], v[22:23]
	v_max_f64 v[194:195], v[24:25], v[24:25]
	v_max_f64 v[196:197], v[26:27], v[26:27]
	v_max_f64 v[198:199], v[28:29], v[28:29]
	v_max_f64 v[200:201], v[30:31], v[30:31]
	v_max_f64 v[202:203], v[32:33], v[32:33]
	v_max_f64 v[204:205], v[34:35], v[34:35]
	v_max_f64 v[206:207], v[36:37], v[36:37]
	v_max_f64 v[208:209], v[38:39], v[38:39]
	v_max_f64 v[210:211], v[40:41], v[40:41]
	v_max_f64 v[212:213], v[42:43], v[42:43]
	v_max_f64 v[214:215], v[44:45], v[44:45]
	v_max_f64 v[216:217], v[46:47], v[46:47]
	v_max_f64 v[218:219], v[48:49], v[48:49]
	v_max_f64 v[220:221], v[50:51], v[50:51]
	v_max_f64 v[222:223], v[52:53], v[52:53]
	v_max_f64 v[224:225], v[54:55], v[54:55]
	v_max_f64 v[226:227], v[56:57], v[56:57]
	v_max_f64 v[228:229], v[58:59], v[58:59]
	v_max_f64 v[230:231], v[60:61], v[60:61]
	v_max_f64 v[232:233], v[62:63], v[62:63]
	s_mov_b64 s[2:3], 1
	s_and_b32 vcc_lo, exec_lo, s4
	s_mov_b32 s4, 0
	v_min_f64 v[170:171], v[170:171], v[168:169]
	v_min_f64 v[172:173], v[172:173], v[168:169]
	;; [unrolled: 1-line block ×32, first 2 shown]
	s_waitcnt vmcnt(31)
	v_add_f64 v[104:105], v[104:105], v[170:171]
	s_waitcnt vmcnt(30)
	v_add_f64 v[106:107], v[172:173], v[106:107]
	;; [unrolled: 2-line block ×32, first 2 shown]
	scratch_store_b64 v70, v[104:105], off
	scratch_store_b64 v71, v[106:107], off
	;; [unrolled: 1-line block ×32, first 2 shown]
	v_mov_b32_e32 v70, 0x100
	v_mov_b32_e32 v71, 0x108
	;; [unrolled: 1-line block ×32, first 2 shown]
	s_cbranch_vccnz .LBB139_70
; %bb.71:
	v_dual_mov_b32 v71, 8 :: v_dual_add_nc_u32 v60, 0x800, v68
	ds_load_2addr_b64 v[0:3], v68 offset0:2 offset1:18
	ds_load_2addr_b64 v[4:7], v68 offset0:34 offset1:50
	;; [unrolled: 1-line block ×12, first 2 shown]
	v_dual_mov_b32 v73, 24 :: v_dual_add_nc_u32 v64, 16, v69
	ds_load_2addr_b64 v[48:51], v60 offset0:130 offset1:146
	ds_load_2addr_b64 v[52:55], v60 offset0:162 offset1:178
	;; [unrolled: 1-line block ×4, first 2 shown]
	ds_load_2addr_stride64_b64 v[64:67], v64 offset1:4
	v_dual_mov_b32 v70, 0 :: v_dual_mov_b32 v75, 40
	v_dual_mov_b32 v72, 16 :: v_dual_mov_b32 v77, 56
	;; [unrolled: 1-line block ×5, first 2 shown]
	v_mov_b32_e32 v80, 0x50
	v_mov_b32_e32 v82, 0x60
	v_mov_b32_e32 v84, 0x70
	v_mov_b32_e32 v85, 0x78
	v_mov_b32_e32 v86, 0x80
	v_mov_b32_e32 v87, 0x88
	v_mov_b32_e32 v90, 0x90
	v_mov_b32_e32 v91, 0x98
	v_mov_b32_e32 v92, 0xa0
	v_mov_b32_e32 v93, 0xa8
	v_mov_b32_e32 v94, 0xb0
	v_mov_b32_e32 v95, 0xb8
	v_mov_b32_e32 v96, 0xc0
	v_mov_b32_e32 v97, 0xc8
	v_mov_b32_e32 v98, 0xd0
	v_mov_b32_e32 v99, 0xd8
	v_mov_b32_e32 v100, 0xe0
	v_mov_b32_e32 v101, 0xe8
	v_mov_b32_e32 v102, 0xf0
	v_mov_b32_e32 v103, 0xf8
	s_mov_b64 s[2:3], 0
	s_mov_b32 s4, -1
.LBB139_72:                             ; =>This Inner Loop Header: Depth=1
	scratch_load_b64 v[104:105], v70, off
	scratch_load_b64 v[106:107], v71, off
	;; [unrolled: 1-line block ×32, first 2 shown]
	s_cmp_eq_u32 s2, 1
	s_waitcnt lgkmcnt(16)
	v_max_f64 v[170:171], v[0:1], v[0:1]
	s_cselect_b32 vcc_lo, -1, 0
	v_max_f64 v[172:173], v[2:3], v[2:3]
	s_waitcnt lgkmcnt(0)
	v_dual_cndmask_b32 v169, v65, v67 :: v_dual_cndmask_b32 v168, v64, v66
	v_max_f64 v[174:175], v[4:5], v[4:5]
	v_max_f64 v[176:177], v[6:7], v[6:7]
	;; [unrolled: 1-line block ×31, first 2 shown]
	s_mov_b64 s[2:3], 1
	s_and_b32 vcc_lo, exec_lo, s4
	s_mov_b32 s4, 0
	v_min_f64 v[170:171], v[170:171], v[168:169]
	v_min_f64 v[172:173], v[172:173], v[168:169]
	;; [unrolled: 1-line block ×32, first 2 shown]
	s_waitcnt vmcnt(31)
	v_add_f64 v[104:105], v[104:105], v[170:171]
	s_waitcnt vmcnt(30)
	v_add_f64 v[106:107], v[172:173], v[106:107]
	;; [unrolled: 2-line block ×32, first 2 shown]
	scratch_store_b64 v70, v[104:105], off
	scratch_store_b64 v71, v[106:107], off
	scratch_store_b64 v72, v[108:109], off
	scratch_store_b64 v73, v[110:111], off
	scratch_store_b64 v74, v[112:113], off
	scratch_store_b64 v75, v[114:115], off
	scratch_store_b64 v76, v[116:117], off
	scratch_store_b64 v77, v[118:119], off
	scratch_store_b64 v78, v[120:121], off
	scratch_store_b64 v79, v[122:123], off
	scratch_store_b64 v80, v[124:125], off
	scratch_store_b64 v81, v[126:127], off
	scratch_store_b64 v82, v[128:129], off
	scratch_store_b64 v83, v[130:131], off
	scratch_store_b64 v84, v[132:133], off
	scratch_store_b64 v85, v[134:135], off
	scratch_store_b64 v86, v[136:137], off
	scratch_store_b64 v87, v[138:139], off
	scratch_store_b64 v90, v[140:141], off
	scratch_store_b64 v91, v[142:143], off
	scratch_store_b64 v92, v[144:145], off
	scratch_store_b64 v93, v[146:147], off
	scratch_store_b64 v94, v[148:149], off
	scratch_store_b64 v95, v[150:151], off
	scratch_store_b64 v96, v[152:153], off
	scratch_store_b64 v97, v[154:155], off
	scratch_store_b64 v98, v[156:157], off
	scratch_store_b64 v99, v[158:159], off
	scratch_store_b64 v100, v[160:161], off
	scratch_store_b64 v101, v[162:163], off
	scratch_store_b64 v102, v[164:165], off
	scratch_store_b64 v103, v[166:167], off
	v_mov_b32_e32 v70, 0x100
	v_mov_b32_e32 v71, 0x108
	;; [unrolled: 1-line block ×32, first 2 shown]
	s_cbranch_vccnz .LBB139_72
; %bb.73:
	v_add_nc_u32_e32 v60, 0x800, v68
	ds_load_2addr_b64 v[0:3], v68 offset0:3 offset1:19
	ds_load_2addr_b64 v[4:7], v68 offset0:35 offset1:51
	;; [unrolled: 1-line block ×4, first 2 shown]
	v_dual_mov_b32 v71, 24 :: v_dual_add_nc_u32 v64, 24, v69
	v_mov_b32_e32 v69, 8
	ds_load_2addr_b64 v[16:19], v68 offset0:131 offset1:147
	ds_load_2addr_b64 v[20:23], v68 offset0:163 offset1:179
	;; [unrolled: 1-line block ×12, first 2 shown]
	ds_load_2addr_stride64_b64 v[64:67], v64 offset1:4
	v_dual_mov_b32 v68, 0 :: v_dual_mov_b32 v73, 40
	v_dual_mov_b32 v70, 16 :: v_dual_mov_b32 v75, 56
	v_dual_mov_b32 v72, 32 :: v_dual_mov_b32 v77, 0x48
	v_dual_mov_b32 v74, 48 :: v_dual_mov_b32 v79, 0x58
	v_dual_mov_b32 v76, 64 :: v_dual_mov_b32 v81, 0x68
	v_mov_b32_e32 v78, 0x50
	v_mov_b32_e32 v80, 0x60
	;; [unrolled: 1-line block ×20, first 2 shown]
	s_mov_b64 s[2:3], 0
	s_mov_b32 s4, -1
.LBB139_74:                             ; =>This Inner Loop Header: Depth=1
	scratch_load_b64 v[102:103], v68, off
	scratch_load_b64 v[104:105], v69, off
	;; [unrolled: 1-line block ×32, first 2 shown]
	s_cmp_eq_u32 s2, 1
	s_waitcnt lgkmcnt(16)
	v_max_f64 v[168:169], v[0:1], v[0:1]
	s_cselect_b32 vcc_lo, -1, 0
	v_max_f64 v[170:171], v[2:3], v[2:3]
	s_waitcnt lgkmcnt(0)
	v_dual_cndmask_b32 v167, v65, v67 :: v_dual_cndmask_b32 v166, v64, v66
	v_max_f64 v[172:173], v[4:5], v[4:5]
	v_max_f64 v[174:175], v[6:7], v[6:7]
	;; [unrolled: 1-line block ×31, first 2 shown]
	s_mov_b64 s[2:3], 1
	s_and_b32 vcc_lo, exec_lo, s4
	s_mov_b32 s4, 0
	v_min_f64 v[168:169], v[168:169], v[166:167]
	v_min_f64 v[170:171], v[170:171], v[166:167]
	;; [unrolled: 1-line block ×32, first 2 shown]
	s_waitcnt vmcnt(31)
	v_add_f64 v[102:103], v[102:103], v[168:169]
	s_waitcnt vmcnt(30)
	v_add_f64 v[104:105], v[170:171], v[104:105]
	;; [unrolled: 2-line block ×32, first 2 shown]
	scratch_store_b64 v68, v[102:103], off
	scratch_store_b64 v69, v[104:105], off
	;; [unrolled: 1-line block ×32, first 2 shown]
	v_mov_b32_e32 v68, 0x100
	v_mov_b32_e32 v69, 0x108
	v_mov_b32_e32 v70, 0x110
	v_mov_b32_e32 v71, 0x118
	v_mov_b32_e32 v72, 0x120
	v_mov_b32_e32 v73, 0x128
	v_mov_b32_e32 v74, 0x130
	v_mov_b32_e32 v75, 0x138
	v_mov_b32_e32 v76, 0x140
	v_mov_b32_e32 v77, 0x148
	v_mov_b32_e32 v78, 0x150
	v_mov_b32_e32 v79, 0x158
	v_mov_b32_e32 v80, 0x160
	v_mov_b32_e32 v81, 0x168
	v_mov_b32_e32 v82, 0x170
	v_mov_b32_e32 v83, 0x178
	v_mov_b32_e32 v84, 0x180
	v_mov_b32_e32 v85, 0x188
	v_mov_b32_e32 v86, 0x190
	v_mov_b32_e32 v87, 0x198
	v_mov_b32_e32 v90, 0x1a0
	v_mov_b32_e32 v91, 0x1a8
	v_mov_b32_e32 v92, 0x1b0
	v_mov_b32_e32 v93, 0x1b8
	v_mov_b32_e32 v94, 0x1c0
	v_mov_b32_e32 v95, 0x1c8
	v_mov_b32_e32 v96, 0x1d0
	v_mov_b32_e32 v97, 0x1d8
	v_mov_b32_e32 v98, 0x1e0
	v_mov_b32_e32 v99, 0x1e8
	v_mov_b32_e32 v100, 0x1f0
	v_mov_b32_e32 v101, 0x1f8
	s_cbranch_vccnz .LBB139_74
; %bb.75:
	s_clause 0x2
	s_load_b32 s42, s[0:1], 0x58
	s_load_b32 s37, s[0:1], 0x70
	s_load_b64 s[2:3], s[0:1], 0x78
	v_add_nc_u32_e32 v71, s15, v89
	v_add_nc_u32_e32 v0, s14, v88
	v_cndmask_b32_e64 v70, 0, 1, s36
	s_delay_alu instid0(VALU_DEP_3) | instskip(NEXT) | instid1(VALU_DEP_3)
	v_cmp_gt_i32_e64 s11, s41, v71
	v_cmp_gt_i32_e64 s0, s40, v0
	s_waitcnt lgkmcnt(0)
	v_mad_i64_i32 v[1:2], null, v71, s42, 0
	v_mad_i64_i32 v[3:4], null, v71, s37, 0
	s_lshl_b64 s[2:3], s[2:3], 3
	s_delay_alu instid0(SALU_CYCLE_1) | instskip(SKIP_1) | instid1(VALU_DEP_2)
	s_add_u32 s43, s8, s2
	s_addc_u32 s44, s9, s3
	v_lshlrev_b64 v[5:6], 3, v[1:2]
	v_ashrrev_i32_e32 v1, 31, v0
	s_delay_alu instid0(VALU_DEP_3) | instskip(SKIP_1) | instid1(VALU_DEP_3)
	v_lshlrev_b64 v[2:3], 3, v[3:4]
	s_and_b32 s1, s11, s0
	v_add_co_u32 v68, vcc_lo, s34, v5
	s_delay_alu instid0(VALU_DEP_4) | instskip(NEXT) | instid1(VALU_DEP_3)
	v_add_co_ci_u32_e32 v69, vcc_lo, s35, v6, vcc_lo
	v_add_co_u32 v72, vcc_lo, s43, v2
	s_delay_alu instid0(VALU_DEP_4) | instskip(SKIP_1) | instid1(SALU_CYCLE_1)
	v_add_co_ci_u32_e32 v73, vcc_lo, s44, v3, vcc_lo
	s_and_saveexec_b32 s2, s1
	s_xor_b32 s1, exec_lo, s2
	s_cbranch_execz .LBB139_80
; %bb.76:
	scratch_load_b64 v[2:3], off, off
	v_lshlrev_b64 v[4:5], 3, v[0:1]
	s_and_not1_b32 vcc_lo, exec_lo, s36
	s_cbranch_vccnz .LBB139_78
; %bb.77:
	s_delay_alu instid0(VALU_DEP_1) | instskip(NEXT) | instid1(VALU_DEP_2)
	v_add_co_u32 v6, vcc_lo, v68, v4
	v_add_co_ci_u32_e32 v7, vcc_lo, v69, v5, vcc_lo
	flat_load_b64 v[6:7], v[6:7]
	s_waitcnt vmcnt(0) lgkmcnt(0)
	v_mul_f64 v[6:7], v[6:7], s[38:39]
	s_branch .LBB139_79
.LBB139_78:
	v_mov_b32_e32 v6, 0
	v_mov_b32_e32 v7, 0
.LBB139_79:
	s_waitcnt vmcnt(0)
	s_delay_alu instid0(VALU_DEP_1)
	v_add_f64 v[2:3], v[2:3], v[6:7]
	v_add_co_u32 v4, vcc_lo, v72, v4
	v_add_co_ci_u32_e32 v5, vcc_lo, v73, v5, vcc_lo
	global_store_b64 v[4:5], v[2:3], off
.LBB139_80:
	s_or_b32 exec_lo, exec_lo, s1
	v_add_nc_u32_e32 v2, 4, v0
	s_delay_alu instid0(VALU_DEP_1) | instskip(SKIP_1) | instid1(VALU_DEP_2)
	v_cmp_gt_i32_e64 s1, s40, v2
	v_ashrrev_i32_e32 v3, 31, v2
	s_and_b32 s3, s11, s1
	s_delay_alu instid0(SALU_CYCLE_1)
	s_and_saveexec_b32 s2, s3
	s_cbranch_execz .LBB139_85
; %bb.81:
	scratch_load_b64 v[4:5], off, off offset:8
	v_lshlrev_b64 v[6:7], 3, v[2:3]
	s_and_not1_b32 vcc_lo, exec_lo, s36
	s_cbranch_vccnz .LBB139_83
; %bb.82:
	s_delay_alu instid0(VALU_DEP_1) | instskip(NEXT) | instid1(VALU_DEP_2)
	v_add_co_u32 v8, vcc_lo, v68, v6
	v_add_co_ci_u32_e32 v9, vcc_lo, v69, v7, vcc_lo
	flat_load_b64 v[8:9], v[8:9]
	s_waitcnt vmcnt(0) lgkmcnt(0)
	v_mul_f64 v[8:9], v[8:9], s[38:39]
	s_branch .LBB139_84
.LBB139_83:
	v_mov_b32_e32 v8, 0
	v_mov_b32_e32 v9, 0
.LBB139_84:
	s_waitcnt vmcnt(0)
	s_delay_alu instid0(VALU_DEP_1)
	v_add_f64 v[4:5], v[4:5], v[8:9]
	v_add_co_u32 v6, vcc_lo, v72, v6
	v_add_co_ci_u32_e32 v7, vcc_lo, v73, v7, vcc_lo
	global_store_b64 v[6:7], v[4:5], off
.LBB139_85:
	s_or_b32 exec_lo, exec_lo, s2
	v_add_nc_u32_e32 v4, 8, v0
	s_delay_alu instid0(VALU_DEP_1) | instskip(SKIP_1) | instid1(VALU_DEP_2)
	v_cmp_gt_i32_e64 s2, s40, v4
	v_ashrrev_i32_e32 v5, 31, v4
	s_and_b32 s4, s11, s2
	s_delay_alu instid0(SALU_CYCLE_1)
	s_and_saveexec_b32 s3, s4
	s_cbranch_execz .LBB139_90
; %bb.86:
	scratch_load_b64 v[6:7], off, off offset:16
	v_lshlrev_b64 v[8:9], 3, v[4:5]
	s_and_not1_b32 vcc_lo, exec_lo, s36
	s_cbranch_vccnz .LBB139_88
; %bb.87:
	s_delay_alu instid0(VALU_DEP_1) | instskip(NEXT) | instid1(VALU_DEP_2)
	v_add_co_u32 v10, vcc_lo, v68, v8
	v_add_co_ci_u32_e32 v11, vcc_lo, v69, v9, vcc_lo
	flat_load_b64 v[10:11], v[10:11]
	s_waitcnt vmcnt(0) lgkmcnt(0)
	v_mul_f64 v[10:11], v[10:11], s[38:39]
	s_branch .LBB139_89
.LBB139_88:
	v_mov_b32_e32 v10, 0
	v_mov_b32_e32 v11, 0
.LBB139_89:
	s_waitcnt vmcnt(0)
	s_delay_alu instid0(VALU_DEP_1)
	v_add_f64 v[6:7], v[6:7], v[10:11]
	v_add_co_u32 v8, vcc_lo, v72, v8
	v_add_co_ci_u32_e32 v9, vcc_lo, v73, v9, vcc_lo
	global_store_b64 v[8:9], v[6:7], off
.LBB139_90:
	;; [unrolled: 33-line block ×31, first 2 shown]
	s_or_b32 exec_lo, exec_lo, s11
	v_add_nc_u32_e32 v68, 64, v71
	s_delay_alu instid0(VALU_DEP_1) | instskip(SKIP_2) | instid1(VALU_DEP_3)
	v_mad_i64_i32 v[64:65], null, v68, s42, 0
	v_mad_i64_i32 v[66:67], null, v68, s37, 0
	v_cmp_gt_i32_e64 s11, s41, v68
	v_lshlrev_b64 v[64:65], 3, v[64:65]
	s_delay_alu instid0(VALU_DEP_2) | instskip(NEXT) | instid1(VALU_DEP_3)
	s_and_b32 s0, s11, s0
	v_lshlrev_b64 v[66:67], 3, v[66:67]
	s_delay_alu instid0(VALU_DEP_2) | instskip(NEXT) | instid1(VALU_DEP_3)
	v_add_co_u32 v71, vcc_lo, s34, v64
	v_add_co_ci_u32_e32 v72, vcc_lo, s35, v65, vcc_lo
	s_delay_alu instid0(VALU_DEP_3) | instskip(NEXT) | instid1(VALU_DEP_4)
	v_add_co_u32 v68, vcc_lo, s43, v66
	v_add_co_ci_u32_e32 v69, vcc_lo, s44, v67, vcc_lo
	s_and_saveexec_b32 s34, s0
	s_delay_alu instid0(SALU_CYCLE_1)
	s_xor_b32 s0, exec_lo, s34
	s_cbranch_execnz .LBB139_268
; %bb.236:
	s_or_b32 exec_lo, exec_lo, s0
	s_and_b32 s1, s11, s1
	s_delay_alu instid0(SALU_CYCLE_1)
	s_and_saveexec_b32 s0, s1
	s_cbranch_execnz .LBB139_272
.LBB139_237:
	s_or_b32 exec_lo, exec_lo, s0
	s_and_b32 s1, s11, s2
	s_delay_alu instid0(SALU_CYCLE_1)
	s_and_saveexec_b32 s0, s1
	s_cbranch_execnz .LBB139_276
.LBB139_238:
	s_or_b32 exec_lo, exec_lo, s0
	s_and_b32 s1, s11, s3
	s_delay_alu instid0(SALU_CYCLE_1)
	s_and_saveexec_b32 s0, s1
	s_cbranch_execnz .LBB139_280
.LBB139_239:
	s_or_b32 exec_lo, exec_lo, s0
	s_and_b32 s1, s11, s4
	s_delay_alu instid0(SALU_CYCLE_1)
	s_and_saveexec_b32 s0, s1
	s_cbranch_execnz .LBB139_284
.LBB139_240:
	s_or_b32 exec_lo, exec_lo, s0
	s_and_b32 s1, s11, s5
	s_delay_alu instid0(SALU_CYCLE_1)
	s_and_saveexec_b32 s0, s1
	s_cbranch_execnz .LBB139_288
.LBB139_241:
	s_or_b32 exec_lo, exec_lo, s0
	s_and_b32 s1, s11, s6
	s_delay_alu instid0(SALU_CYCLE_1)
	s_and_saveexec_b32 s0, s1
	s_cbranch_execnz .LBB139_292
.LBB139_242:
	s_or_b32 exec_lo, exec_lo, s0
	s_and_b32 s1, s11, s7
	s_delay_alu instid0(SALU_CYCLE_1)
	s_and_saveexec_b32 s0, s1
	s_cbranch_execnz .LBB139_296
.LBB139_243:
	s_or_b32 exec_lo, exec_lo, s0
	s_and_b32 s1, s11, s8
	s_delay_alu instid0(SALU_CYCLE_1)
	s_and_saveexec_b32 s0, s1
	s_cbranch_execnz .LBB139_300
.LBB139_244:
	s_or_b32 exec_lo, exec_lo, s0
	s_and_b32 s1, s11, s9
	s_delay_alu instid0(SALU_CYCLE_1)
	s_and_saveexec_b32 s0, s1
	s_cbranch_execnz .LBB139_304
.LBB139_245:
	s_or_b32 exec_lo, exec_lo, s0
	s_and_b32 s1, s11, s10
	s_delay_alu instid0(SALU_CYCLE_1)
	s_and_saveexec_b32 s0, s1
	s_cbranch_execnz .LBB139_308
.LBB139_246:
	s_or_b32 exec_lo, exec_lo, s0
	s_and_b32 s1, s11, s12
	s_delay_alu instid0(SALU_CYCLE_1)
	s_and_saveexec_b32 s0, s1
	s_cbranch_execnz .LBB139_312
.LBB139_247:
	s_or_b32 exec_lo, exec_lo, s0
	s_and_b32 s1, s11, s13
	s_delay_alu instid0(SALU_CYCLE_1)
	s_and_saveexec_b32 s0, s1
	s_cbranch_execnz .LBB139_316
.LBB139_248:
	s_or_b32 exec_lo, exec_lo, s0
	s_and_b32 s1, s11, s14
	s_delay_alu instid0(SALU_CYCLE_1)
	s_and_saveexec_b32 s0, s1
	s_cbranch_execnz .LBB139_320
.LBB139_249:
	s_or_b32 exec_lo, exec_lo, s0
	s_and_b32 s1, s11, s15
	s_delay_alu instid0(SALU_CYCLE_1)
	s_and_saveexec_b32 s0, s1
	s_cbranch_execnz .LBB139_324
.LBB139_250:
	s_or_b32 exec_lo, exec_lo, s0
	s_and_b32 s1, s11, s16
	s_delay_alu instid0(SALU_CYCLE_1)
	s_and_saveexec_b32 s0, s1
	s_cbranch_execnz .LBB139_328
.LBB139_251:
	s_or_b32 exec_lo, exec_lo, s0
	s_and_b32 s1, s11, s17
	s_delay_alu instid0(SALU_CYCLE_1)
	s_and_saveexec_b32 s0, s1
	s_cbranch_execnz .LBB139_332
.LBB139_252:
	s_or_b32 exec_lo, exec_lo, s0
	s_and_b32 s1, s11, s18
	s_delay_alu instid0(SALU_CYCLE_1)
	s_and_saveexec_b32 s0, s1
	s_cbranch_execnz .LBB139_336
.LBB139_253:
	s_or_b32 exec_lo, exec_lo, s0
	s_and_b32 s1, s11, s19
	s_delay_alu instid0(SALU_CYCLE_1)
	s_and_saveexec_b32 s0, s1
	s_cbranch_execnz .LBB139_340
.LBB139_254:
	s_or_b32 exec_lo, exec_lo, s0
	s_and_b32 s1, s11, s20
	s_delay_alu instid0(SALU_CYCLE_1)
	s_and_saveexec_b32 s0, s1
	s_cbranch_execnz .LBB139_344
.LBB139_255:
	s_or_b32 exec_lo, exec_lo, s0
	s_and_b32 s1, s11, s21
	s_delay_alu instid0(SALU_CYCLE_1)
	s_and_saveexec_b32 s0, s1
	s_cbranch_execnz .LBB139_348
.LBB139_256:
	s_or_b32 exec_lo, exec_lo, s0
	s_and_b32 s1, s11, s22
	s_delay_alu instid0(SALU_CYCLE_1)
	s_and_saveexec_b32 s0, s1
	s_cbranch_execnz .LBB139_352
.LBB139_257:
	s_or_b32 exec_lo, exec_lo, s0
	s_and_b32 s1, s11, s23
	s_delay_alu instid0(SALU_CYCLE_1)
	s_and_saveexec_b32 s0, s1
	s_cbranch_execnz .LBB139_356
.LBB139_258:
	s_or_b32 exec_lo, exec_lo, s0
	s_and_b32 s1, s11, s24
	s_delay_alu instid0(SALU_CYCLE_1)
	s_and_saveexec_b32 s0, s1
	s_cbranch_execnz .LBB139_360
.LBB139_259:
	s_or_b32 exec_lo, exec_lo, s0
	s_and_b32 s1, s11, s25
	s_delay_alu instid0(SALU_CYCLE_1)
	s_and_saveexec_b32 s0, s1
	s_cbranch_execnz .LBB139_364
.LBB139_260:
	s_or_b32 exec_lo, exec_lo, s0
	s_and_b32 s1, s11, s26
	s_delay_alu instid0(SALU_CYCLE_1)
	s_and_saveexec_b32 s0, s1
	s_cbranch_execnz .LBB139_368
.LBB139_261:
	s_or_b32 exec_lo, exec_lo, s0
	s_and_b32 s1, s11, s27
	s_delay_alu instid0(SALU_CYCLE_1)
	s_and_saveexec_b32 s0, s1
	s_cbranch_execnz .LBB139_372
.LBB139_262:
	s_or_b32 exec_lo, exec_lo, s0
	s_and_b32 s1, s11, s28
	s_delay_alu instid0(SALU_CYCLE_1)
	s_and_saveexec_b32 s0, s1
	s_cbranch_execnz .LBB139_376
.LBB139_263:
	s_or_b32 exec_lo, exec_lo, s0
	s_and_b32 s1, s11, s29
	s_delay_alu instid0(SALU_CYCLE_1)
	s_and_saveexec_b32 s0, s1
	s_cbranch_execnz .LBB139_380
.LBB139_264:
	s_or_b32 exec_lo, exec_lo, s0
	s_and_b32 s1, s11, s30
	s_delay_alu instid0(SALU_CYCLE_1)
	s_and_saveexec_b32 s0, s1
	s_cbranch_execnz .LBB139_384
.LBB139_265:
	s_or_b32 exec_lo, exec_lo, s0
	s_and_b32 s1, s11, s31
	s_delay_alu instid0(SALU_CYCLE_1)
	s_and_saveexec_b32 s0, s1
	s_cbranch_execnz .LBB139_388
.LBB139_266:
	s_or_b32 exec_lo, exec_lo, s0
	s_and_b32 s0, s11, s33
	s_delay_alu instid0(SALU_CYCLE_1)
	s_and_saveexec_b32 s1, s0
	s_cbranch_execnz .LBB139_392
.LBB139_267:
	s_endpgm
.LBB139_268:
	scratch_load_b64 v[64:65], off, off offset:256
	v_lshlrev_b64 v[0:1], 3, v[0:1]
	s_and_not1_b32 vcc_lo, exec_lo, s36
	s_cbranch_vccnz .LBB139_270
; %bb.269:
	s_delay_alu instid0(VALU_DEP_1) | instskip(NEXT) | instid1(VALU_DEP_2)
	v_add_co_u32 v66, vcc_lo, v71, v0
	v_add_co_ci_u32_e32 v67, vcc_lo, v72, v1, vcc_lo
	flat_load_b64 v[66:67], v[66:67]
	s_waitcnt vmcnt(0) lgkmcnt(0)
	v_mul_f64 v[66:67], v[66:67], s[38:39]
	s_branch .LBB139_271
.LBB139_270:
	v_mov_b32_e32 v66, 0
	v_mov_b32_e32 v67, 0
.LBB139_271:
	s_waitcnt vmcnt(0)
	s_delay_alu instid0(VALU_DEP_1)
	v_add_f64 v[64:65], v[64:65], v[66:67]
	v_add_co_u32 v0, vcc_lo, v68, v0
	v_add_co_ci_u32_e32 v1, vcc_lo, v69, v1, vcc_lo
	global_store_b64 v[0:1], v[64:65], off
	s_or_b32 exec_lo, exec_lo, s0
	s_and_b32 s1, s11, s1
	s_delay_alu instid0(SALU_CYCLE_1)
	s_and_saveexec_b32 s0, s1
	s_cbranch_execz .LBB139_237
.LBB139_272:
	scratch_load_b64 v[0:1], off, off offset:264
	v_cmp_ne_u32_e32 vcc_lo, 1, v70
	v_lshlrev_b64 v[2:3], 3, v[2:3]
	s_cbranch_vccnz .LBB139_274
; %bb.273:
	s_delay_alu instid0(VALU_DEP_1) | instskip(NEXT) | instid1(VALU_DEP_2)
	v_add_co_u32 v64, vcc_lo, v71, v2
	v_add_co_ci_u32_e32 v65, vcc_lo, v72, v3, vcc_lo
	flat_load_b64 v[64:65], v[64:65]
	s_waitcnt vmcnt(0) lgkmcnt(0)
	v_mul_f64 v[64:65], v[64:65], s[38:39]
	s_branch .LBB139_275
.LBB139_274:
	v_mov_b32_e32 v64, 0
	v_mov_b32_e32 v65, 0
.LBB139_275:
	s_waitcnt vmcnt(0)
	s_delay_alu instid0(VALU_DEP_1)
	v_add_f64 v[0:1], v[0:1], v[64:65]
	v_add_co_u32 v2, vcc_lo, v68, v2
	v_add_co_ci_u32_e32 v3, vcc_lo, v69, v3, vcc_lo
	global_store_b64 v[2:3], v[0:1], off
	s_or_b32 exec_lo, exec_lo, s0
	s_and_b32 s1, s11, s2
	s_delay_alu instid0(SALU_CYCLE_1)
	s_and_saveexec_b32 s0, s1
	s_cbranch_execz .LBB139_238
.LBB139_276:
	scratch_load_b64 v[0:1], off, off offset:272
	v_cmp_ne_u32_e32 vcc_lo, 1, v70
	v_lshlrev_b64 v[2:3], 3, v[4:5]
	s_cbranch_vccnz .LBB139_278
; %bb.277:
	s_delay_alu instid0(VALU_DEP_1) | instskip(NEXT) | instid1(VALU_DEP_2)
	v_add_co_u32 v4, vcc_lo, v71, v2
	v_add_co_ci_u32_e32 v5, vcc_lo, v72, v3, vcc_lo
	flat_load_b64 v[4:5], v[4:5]
	s_waitcnt vmcnt(0) lgkmcnt(0)
	v_mul_f64 v[4:5], v[4:5], s[38:39]
	s_branch .LBB139_279
.LBB139_278:
	v_mov_b32_e32 v4, 0
	v_mov_b32_e32 v5, 0
.LBB139_279:
	s_waitcnt vmcnt(0)
	s_delay_alu instid0(VALU_DEP_1)
	v_add_f64 v[0:1], v[0:1], v[4:5]
	v_add_co_u32 v2, vcc_lo, v68, v2
	v_add_co_ci_u32_e32 v3, vcc_lo, v69, v3, vcc_lo
	global_store_b64 v[2:3], v[0:1], off
	s_or_b32 exec_lo, exec_lo, s0
	s_and_b32 s1, s11, s3
	s_delay_alu instid0(SALU_CYCLE_1)
	s_and_saveexec_b32 s0, s1
	s_cbranch_execz .LBB139_239
.LBB139_280:
	scratch_load_b64 v[0:1], off, off offset:280
	v_cmp_ne_u32_e32 vcc_lo, 1, v70
	v_lshlrev_b64 v[2:3], 3, v[6:7]
	s_cbranch_vccnz .LBB139_282
; %bb.281:
	s_delay_alu instid0(VALU_DEP_1) | instskip(NEXT) | instid1(VALU_DEP_2)
	v_add_co_u32 v4, vcc_lo, v71, v2
	v_add_co_ci_u32_e32 v5, vcc_lo, v72, v3, vcc_lo
	flat_load_b64 v[4:5], v[4:5]
	s_waitcnt vmcnt(0) lgkmcnt(0)
	v_mul_f64 v[4:5], v[4:5], s[38:39]
	s_branch .LBB139_283
.LBB139_282:
	v_mov_b32_e32 v4, 0
	v_mov_b32_e32 v5, 0
.LBB139_283:
	s_waitcnt vmcnt(0)
	s_delay_alu instid0(VALU_DEP_1)
	v_add_f64 v[0:1], v[0:1], v[4:5]
	v_add_co_u32 v2, vcc_lo, v68, v2
	v_add_co_ci_u32_e32 v3, vcc_lo, v69, v3, vcc_lo
	global_store_b64 v[2:3], v[0:1], off
	s_or_b32 exec_lo, exec_lo, s0
	s_and_b32 s1, s11, s4
	s_delay_alu instid0(SALU_CYCLE_1)
	s_and_saveexec_b32 s0, s1
	s_cbranch_execz .LBB139_240
.LBB139_284:
	scratch_load_b64 v[0:1], off, off offset:288
	v_cmp_ne_u32_e32 vcc_lo, 1, v70
	v_lshlrev_b64 v[2:3], 3, v[8:9]
	s_cbranch_vccnz .LBB139_286
; %bb.285:
	s_delay_alu instid0(VALU_DEP_1) | instskip(NEXT) | instid1(VALU_DEP_2)
	v_add_co_u32 v4, vcc_lo, v71, v2
	v_add_co_ci_u32_e32 v5, vcc_lo, v72, v3, vcc_lo
	flat_load_b64 v[4:5], v[4:5]
	s_waitcnt vmcnt(0) lgkmcnt(0)
	v_mul_f64 v[4:5], v[4:5], s[38:39]
	s_branch .LBB139_287
.LBB139_286:
	v_mov_b32_e32 v4, 0
	v_mov_b32_e32 v5, 0
.LBB139_287:
	s_waitcnt vmcnt(0)
	s_delay_alu instid0(VALU_DEP_1)
	v_add_f64 v[0:1], v[0:1], v[4:5]
	v_add_co_u32 v2, vcc_lo, v68, v2
	v_add_co_ci_u32_e32 v3, vcc_lo, v69, v3, vcc_lo
	global_store_b64 v[2:3], v[0:1], off
	s_or_b32 exec_lo, exec_lo, s0
	s_and_b32 s1, s11, s5
	s_delay_alu instid0(SALU_CYCLE_1)
	s_and_saveexec_b32 s0, s1
	s_cbranch_execz .LBB139_241
.LBB139_288:
	scratch_load_b64 v[0:1], off, off offset:296
	v_cmp_ne_u32_e32 vcc_lo, 1, v70
	v_lshlrev_b64 v[2:3], 3, v[10:11]
	s_cbranch_vccnz .LBB139_290
; %bb.289:
	s_delay_alu instid0(VALU_DEP_1) | instskip(NEXT) | instid1(VALU_DEP_2)
	v_add_co_u32 v4, vcc_lo, v71, v2
	v_add_co_ci_u32_e32 v5, vcc_lo, v72, v3, vcc_lo
	flat_load_b64 v[4:5], v[4:5]
	s_waitcnt vmcnt(0) lgkmcnt(0)
	v_mul_f64 v[4:5], v[4:5], s[38:39]
	s_branch .LBB139_291
.LBB139_290:
	v_mov_b32_e32 v4, 0
	v_mov_b32_e32 v5, 0
.LBB139_291:
	s_waitcnt vmcnt(0)
	s_delay_alu instid0(VALU_DEP_1)
	v_add_f64 v[0:1], v[0:1], v[4:5]
	v_add_co_u32 v2, vcc_lo, v68, v2
	v_add_co_ci_u32_e32 v3, vcc_lo, v69, v3, vcc_lo
	global_store_b64 v[2:3], v[0:1], off
	s_or_b32 exec_lo, exec_lo, s0
	s_and_b32 s1, s11, s6
	s_delay_alu instid0(SALU_CYCLE_1)
	s_and_saveexec_b32 s0, s1
	s_cbranch_execz .LBB139_242
.LBB139_292:
	scratch_load_b64 v[0:1], off, off offset:304
	v_cmp_ne_u32_e32 vcc_lo, 1, v70
	v_lshlrev_b64 v[2:3], 3, v[12:13]
	s_cbranch_vccnz .LBB139_294
; %bb.293:
	s_delay_alu instid0(VALU_DEP_1) | instskip(NEXT) | instid1(VALU_DEP_2)
	v_add_co_u32 v4, vcc_lo, v71, v2
	v_add_co_ci_u32_e32 v5, vcc_lo, v72, v3, vcc_lo
	flat_load_b64 v[4:5], v[4:5]
	s_waitcnt vmcnt(0) lgkmcnt(0)
	v_mul_f64 v[4:5], v[4:5], s[38:39]
	s_branch .LBB139_295
.LBB139_294:
	v_mov_b32_e32 v4, 0
	v_mov_b32_e32 v5, 0
.LBB139_295:
	s_waitcnt vmcnt(0)
	s_delay_alu instid0(VALU_DEP_1)
	v_add_f64 v[0:1], v[0:1], v[4:5]
	v_add_co_u32 v2, vcc_lo, v68, v2
	v_add_co_ci_u32_e32 v3, vcc_lo, v69, v3, vcc_lo
	global_store_b64 v[2:3], v[0:1], off
	s_or_b32 exec_lo, exec_lo, s0
	s_and_b32 s1, s11, s7
	s_delay_alu instid0(SALU_CYCLE_1)
	s_and_saveexec_b32 s0, s1
	s_cbranch_execz .LBB139_243
.LBB139_296:
	scratch_load_b64 v[0:1], off, off offset:312
	v_cmp_ne_u32_e32 vcc_lo, 1, v70
	v_lshlrev_b64 v[2:3], 3, v[14:15]
	s_cbranch_vccnz .LBB139_298
; %bb.297:
	s_delay_alu instid0(VALU_DEP_1) | instskip(NEXT) | instid1(VALU_DEP_2)
	v_add_co_u32 v4, vcc_lo, v71, v2
	v_add_co_ci_u32_e32 v5, vcc_lo, v72, v3, vcc_lo
	flat_load_b64 v[4:5], v[4:5]
	s_waitcnt vmcnt(0) lgkmcnt(0)
	v_mul_f64 v[4:5], v[4:5], s[38:39]
	s_branch .LBB139_299
.LBB139_298:
	v_mov_b32_e32 v4, 0
	v_mov_b32_e32 v5, 0
.LBB139_299:
	s_waitcnt vmcnt(0)
	s_delay_alu instid0(VALU_DEP_1)
	v_add_f64 v[0:1], v[0:1], v[4:5]
	v_add_co_u32 v2, vcc_lo, v68, v2
	v_add_co_ci_u32_e32 v3, vcc_lo, v69, v3, vcc_lo
	global_store_b64 v[2:3], v[0:1], off
	s_or_b32 exec_lo, exec_lo, s0
	s_and_b32 s1, s11, s8
	s_delay_alu instid0(SALU_CYCLE_1)
	s_and_saveexec_b32 s0, s1
	s_cbranch_execz .LBB139_244
.LBB139_300:
	scratch_load_b64 v[0:1], off, off offset:320
	v_cmp_ne_u32_e32 vcc_lo, 1, v70
	v_lshlrev_b64 v[2:3], 3, v[16:17]
	s_cbranch_vccnz .LBB139_302
; %bb.301:
	s_delay_alu instid0(VALU_DEP_1) | instskip(NEXT) | instid1(VALU_DEP_2)
	v_add_co_u32 v4, vcc_lo, v71, v2
	v_add_co_ci_u32_e32 v5, vcc_lo, v72, v3, vcc_lo
	flat_load_b64 v[4:5], v[4:5]
	s_waitcnt vmcnt(0) lgkmcnt(0)
	v_mul_f64 v[4:5], v[4:5], s[38:39]
	s_branch .LBB139_303
.LBB139_302:
	v_mov_b32_e32 v4, 0
	v_mov_b32_e32 v5, 0
.LBB139_303:
	s_waitcnt vmcnt(0)
	s_delay_alu instid0(VALU_DEP_1)
	v_add_f64 v[0:1], v[0:1], v[4:5]
	v_add_co_u32 v2, vcc_lo, v68, v2
	v_add_co_ci_u32_e32 v3, vcc_lo, v69, v3, vcc_lo
	global_store_b64 v[2:3], v[0:1], off
	s_or_b32 exec_lo, exec_lo, s0
	s_and_b32 s1, s11, s9
	s_delay_alu instid0(SALU_CYCLE_1)
	s_and_saveexec_b32 s0, s1
	s_cbranch_execz .LBB139_245
.LBB139_304:
	scratch_load_b64 v[0:1], off, off offset:328
	v_cmp_ne_u32_e32 vcc_lo, 1, v70
	v_lshlrev_b64 v[2:3], 3, v[18:19]
	s_cbranch_vccnz .LBB139_306
; %bb.305:
	s_delay_alu instid0(VALU_DEP_1) | instskip(NEXT) | instid1(VALU_DEP_2)
	v_add_co_u32 v4, vcc_lo, v71, v2
	v_add_co_ci_u32_e32 v5, vcc_lo, v72, v3, vcc_lo
	flat_load_b64 v[4:5], v[4:5]
	s_waitcnt vmcnt(0) lgkmcnt(0)
	v_mul_f64 v[4:5], v[4:5], s[38:39]
	s_branch .LBB139_307
.LBB139_306:
	v_mov_b32_e32 v4, 0
	v_mov_b32_e32 v5, 0
.LBB139_307:
	s_waitcnt vmcnt(0)
	s_delay_alu instid0(VALU_DEP_1)
	v_add_f64 v[0:1], v[0:1], v[4:5]
	v_add_co_u32 v2, vcc_lo, v68, v2
	v_add_co_ci_u32_e32 v3, vcc_lo, v69, v3, vcc_lo
	global_store_b64 v[2:3], v[0:1], off
	s_or_b32 exec_lo, exec_lo, s0
	s_and_b32 s1, s11, s10
	s_delay_alu instid0(SALU_CYCLE_1)
	s_and_saveexec_b32 s0, s1
	s_cbranch_execz .LBB139_246
.LBB139_308:
	scratch_load_b64 v[0:1], off, off offset:336
	v_cmp_ne_u32_e32 vcc_lo, 1, v70
	v_lshlrev_b64 v[2:3], 3, v[20:21]
	s_cbranch_vccnz .LBB139_310
; %bb.309:
	s_delay_alu instid0(VALU_DEP_1) | instskip(NEXT) | instid1(VALU_DEP_2)
	v_add_co_u32 v4, vcc_lo, v71, v2
	v_add_co_ci_u32_e32 v5, vcc_lo, v72, v3, vcc_lo
	flat_load_b64 v[4:5], v[4:5]
	s_waitcnt vmcnt(0) lgkmcnt(0)
	v_mul_f64 v[4:5], v[4:5], s[38:39]
	s_branch .LBB139_311
.LBB139_310:
	v_mov_b32_e32 v4, 0
	v_mov_b32_e32 v5, 0
.LBB139_311:
	s_waitcnt vmcnt(0)
	s_delay_alu instid0(VALU_DEP_1)
	v_add_f64 v[0:1], v[0:1], v[4:5]
	v_add_co_u32 v2, vcc_lo, v68, v2
	v_add_co_ci_u32_e32 v3, vcc_lo, v69, v3, vcc_lo
	global_store_b64 v[2:3], v[0:1], off
	s_or_b32 exec_lo, exec_lo, s0
	s_and_b32 s1, s11, s12
	s_delay_alu instid0(SALU_CYCLE_1)
	s_and_saveexec_b32 s0, s1
	s_cbranch_execz .LBB139_247
.LBB139_312:
	scratch_load_b64 v[0:1], off, off offset:344
	v_cmp_ne_u32_e32 vcc_lo, 1, v70
	v_lshlrev_b64 v[2:3], 3, v[22:23]
	s_cbranch_vccnz .LBB139_314
; %bb.313:
	s_delay_alu instid0(VALU_DEP_1) | instskip(NEXT) | instid1(VALU_DEP_2)
	v_add_co_u32 v4, vcc_lo, v71, v2
	v_add_co_ci_u32_e32 v5, vcc_lo, v72, v3, vcc_lo
	flat_load_b64 v[4:5], v[4:5]
	s_waitcnt vmcnt(0) lgkmcnt(0)
	v_mul_f64 v[4:5], v[4:5], s[38:39]
	s_branch .LBB139_315
.LBB139_314:
	v_mov_b32_e32 v4, 0
	v_mov_b32_e32 v5, 0
.LBB139_315:
	s_waitcnt vmcnt(0)
	s_delay_alu instid0(VALU_DEP_1)
	v_add_f64 v[0:1], v[0:1], v[4:5]
	v_add_co_u32 v2, vcc_lo, v68, v2
	v_add_co_ci_u32_e32 v3, vcc_lo, v69, v3, vcc_lo
	global_store_b64 v[2:3], v[0:1], off
	s_or_b32 exec_lo, exec_lo, s0
	s_and_b32 s1, s11, s13
	s_delay_alu instid0(SALU_CYCLE_1)
	s_and_saveexec_b32 s0, s1
	s_cbranch_execz .LBB139_248
.LBB139_316:
	scratch_load_b64 v[0:1], off, off offset:352
	v_cmp_ne_u32_e32 vcc_lo, 1, v70
	v_lshlrev_b64 v[2:3], 3, v[24:25]
	s_cbranch_vccnz .LBB139_318
; %bb.317:
	s_delay_alu instid0(VALU_DEP_1) | instskip(NEXT) | instid1(VALU_DEP_2)
	v_add_co_u32 v4, vcc_lo, v71, v2
	v_add_co_ci_u32_e32 v5, vcc_lo, v72, v3, vcc_lo
	flat_load_b64 v[4:5], v[4:5]
	s_waitcnt vmcnt(0) lgkmcnt(0)
	v_mul_f64 v[4:5], v[4:5], s[38:39]
	s_branch .LBB139_319
.LBB139_318:
	v_mov_b32_e32 v4, 0
	v_mov_b32_e32 v5, 0
.LBB139_319:
	s_waitcnt vmcnt(0)
	s_delay_alu instid0(VALU_DEP_1)
	v_add_f64 v[0:1], v[0:1], v[4:5]
	v_add_co_u32 v2, vcc_lo, v68, v2
	v_add_co_ci_u32_e32 v3, vcc_lo, v69, v3, vcc_lo
	global_store_b64 v[2:3], v[0:1], off
	s_or_b32 exec_lo, exec_lo, s0
	s_and_b32 s1, s11, s14
	s_delay_alu instid0(SALU_CYCLE_1)
	s_and_saveexec_b32 s0, s1
	s_cbranch_execz .LBB139_249
.LBB139_320:
	scratch_load_b64 v[0:1], off, off offset:360
	v_cmp_ne_u32_e32 vcc_lo, 1, v70
	v_lshlrev_b64 v[2:3], 3, v[26:27]
	s_cbranch_vccnz .LBB139_322
; %bb.321:
	s_delay_alu instid0(VALU_DEP_1) | instskip(NEXT) | instid1(VALU_DEP_2)
	v_add_co_u32 v4, vcc_lo, v71, v2
	v_add_co_ci_u32_e32 v5, vcc_lo, v72, v3, vcc_lo
	flat_load_b64 v[4:5], v[4:5]
	s_waitcnt vmcnt(0) lgkmcnt(0)
	v_mul_f64 v[4:5], v[4:5], s[38:39]
	s_branch .LBB139_323
.LBB139_322:
	v_mov_b32_e32 v4, 0
	v_mov_b32_e32 v5, 0
.LBB139_323:
	s_waitcnt vmcnt(0)
	s_delay_alu instid0(VALU_DEP_1)
	v_add_f64 v[0:1], v[0:1], v[4:5]
	v_add_co_u32 v2, vcc_lo, v68, v2
	v_add_co_ci_u32_e32 v3, vcc_lo, v69, v3, vcc_lo
	global_store_b64 v[2:3], v[0:1], off
	s_or_b32 exec_lo, exec_lo, s0
	s_and_b32 s1, s11, s15
	s_delay_alu instid0(SALU_CYCLE_1)
	s_and_saveexec_b32 s0, s1
	s_cbranch_execz .LBB139_250
.LBB139_324:
	scratch_load_b64 v[0:1], off, off offset:368
	v_cmp_ne_u32_e32 vcc_lo, 1, v70
	v_lshlrev_b64 v[2:3], 3, v[28:29]
	s_cbranch_vccnz .LBB139_326
; %bb.325:
	s_delay_alu instid0(VALU_DEP_1) | instskip(NEXT) | instid1(VALU_DEP_2)
	v_add_co_u32 v4, vcc_lo, v71, v2
	v_add_co_ci_u32_e32 v5, vcc_lo, v72, v3, vcc_lo
	flat_load_b64 v[4:5], v[4:5]
	s_waitcnt vmcnt(0) lgkmcnt(0)
	v_mul_f64 v[4:5], v[4:5], s[38:39]
	s_branch .LBB139_327
.LBB139_326:
	v_mov_b32_e32 v4, 0
	v_mov_b32_e32 v5, 0
.LBB139_327:
	s_waitcnt vmcnt(0)
	s_delay_alu instid0(VALU_DEP_1)
	v_add_f64 v[0:1], v[0:1], v[4:5]
	v_add_co_u32 v2, vcc_lo, v68, v2
	v_add_co_ci_u32_e32 v3, vcc_lo, v69, v3, vcc_lo
	global_store_b64 v[2:3], v[0:1], off
	s_or_b32 exec_lo, exec_lo, s0
	s_and_b32 s1, s11, s16
	s_delay_alu instid0(SALU_CYCLE_1)
	s_and_saveexec_b32 s0, s1
	s_cbranch_execz .LBB139_251
.LBB139_328:
	scratch_load_b64 v[0:1], off, off offset:376
	v_cmp_ne_u32_e32 vcc_lo, 1, v70
	v_lshlrev_b64 v[2:3], 3, v[30:31]
	s_cbranch_vccnz .LBB139_330
; %bb.329:
	s_delay_alu instid0(VALU_DEP_1) | instskip(NEXT) | instid1(VALU_DEP_2)
	v_add_co_u32 v4, vcc_lo, v71, v2
	v_add_co_ci_u32_e32 v5, vcc_lo, v72, v3, vcc_lo
	flat_load_b64 v[4:5], v[4:5]
	s_waitcnt vmcnt(0) lgkmcnt(0)
	v_mul_f64 v[4:5], v[4:5], s[38:39]
	s_branch .LBB139_331
.LBB139_330:
	v_mov_b32_e32 v4, 0
	v_mov_b32_e32 v5, 0
.LBB139_331:
	s_waitcnt vmcnt(0)
	s_delay_alu instid0(VALU_DEP_1)
	v_add_f64 v[0:1], v[0:1], v[4:5]
	v_add_co_u32 v2, vcc_lo, v68, v2
	v_add_co_ci_u32_e32 v3, vcc_lo, v69, v3, vcc_lo
	global_store_b64 v[2:3], v[0:1], off
	s_or_b32 exec_lo, exec_lo, s0
	s_and_b32 s1, s11, s17
	s_delay_alu instid0(SALU_CYCLE_1)
	s_and_saveexec_b32 s0, s1
	s_cbranch_execz .LBB139_252
.LBB139_332:
	scratch_load_b64 v[0:1], off, off offset:384
	v_cmp_ne_u32_e32 vcc_lo, 1, v70
	v_lshlrev_b64 v[2:3], 3, v[32:33]
	s_cbranch_vccnz .LBB139_334
; %bb.333:
	s_delay_alu instid0(VALU_DEP_1) | instskip(NEXT) | instid1(VALU_DEP_2)
	v_add_co_u32 v4, vcc_lo, v71, v2
	v_add_co_ci_u32_e32 v5, vcc_lo, v72, v3, vcc_lo
	flat_load_b64 v[4:5], v[4:5]
	s_waitcnt vmcnt(0) lgkmcnt(0)
	v_mul_f64 v[4:5], v[4:5], s[38:39]
	s_branch .LBB139_335
.LBB139_334:
	v_mov_b32_e32 v4, 0
	v_mov_b32_e32 v5, 0
.LBB139_335:
	s_waitcnt vmcnt(0)
	s_delay_alu instid0(VALU_DEP_1)
	v_add_f64 v[0:1], v[0:1], v[4:5]
	v_add_co_u32 v2, vcc_lo, v68, v2
	v_add_co_ci_u32_e32 v3, vcc_lo, v69, v3, vcc_lo
	global_store_b64 v[2:3], v[0:1], off
	s_or_b32 exec_lo, exec_lo, s0
	s_and_b32 s1, s11, s18
	s_delay_alu instid0(SALU_CYCLE_1)
	s_and_saveexec_b32 s0, s1
	s_cbranch_execz .LBB139_253
.LBB139_336:
	scratch_load_b64 v[0:1], off, off offset:392
	v_cmp_ne_u32_e32 vcc_lo, 1, v70
	v_lshlrev_b64 v[2:3], 3, v[34:35]
	s_cbranch_vccnz .LBB139_338
; %bb.337:
	s_delay_alu instid0(VALU_DEP_1) | instskip(NEXT) | instid1(VALU_DEP_2)
	v_add_co_u32 v4, vcc_lo, v71, v2
	v_add_co_ci_u32_e32 v5, vcc_lo, v72, v3, vcc_lo
	flat_load_b64 v[4:5], v[4:5]
	s_waitcnt vmcnt(0) lgkmcnt(0)
	v_mul_f64 v[4:5], v[4:5], s[38:39]
	s_branch .LBB139_339
.LBB139_338:
	v_mov_b32_e32 v4, 0
	v_mov_b32_e32 v5, 0
.LBB139_339:
	s_waitcnt vmcnt(0)
	s_delay_alu instid0(VALU_DEP_1)
	v_add_f64 v[0:1], v[0:1], v[4:5]
	v_add_co_u32 v2, vcc_lo, v68, v2
	v_add_co_ci_u32_e32 v3, vcc_lo, v69, v3, vcc_lo
	global_store_b64 v[2:3], v[0:1], off
	s_or_b32 exec_lo, exec_lo, s0
	s_and_b32 s1, s11, s19
	s_delay_alu instid0(SALU_CYCLE_1)
	s_and_saveexec_b32 s0, s1
	s_cbranch_execz .LBB139_254
.LBB139_340:
	scratch_load_b64 v[0:1], off, off offset:400
	v_cmp_ne_u32_e32 vcc_lo, 1, v70
	v_lshlrev_b64 v[2:3], 3, v[36:37]
	s_cbranch_vccnz .LBB139_342
; %bb.341:
	s_delay_alu instid0(VALU_DEP_1) | instskip(NEXT) | instid1(VALU_DEP_2)
	v_add_co_u32 v4, vcc_lo, v71, v2
	v_add_co_ci_u32_e32 v5, vcc_lo, v72, v3, vcc_lo
	flat_load_b64 v[4:5], v[4:5]
	s_waitcnt vmcnt(0) lgkmcnt(0)
	v_mul_f64 v[4:5], v[4:5], s[38:39]
	s_branch .LBB139_343
.LBB139_342:
	v_mov_b32_e32 v4, 0
	v_mov_b32_e32 v5, 0
.LBB139_343:
	s_waitcnt vmcnt(0)
	s_delay_alu instid0(VALU_DEP_1)
	v_add_f64 v[0:1], v[0:1], v[4:5]
	v_add_co_u32 v2, vcc_lo, v68, v2
	v_add_co_ci_u32_e32 v3, vcc_lo, v69, v3, vcc_lo
	global_store_b64 v[2:3], v[0:1], off
	s_or_b32 exec_lo, exec_lo, s0
	s_and_b32 s1, s11, s20
	s_delay_alu instid0(SALU_CYCLE_1)
	s_and_saveexec_b32 s0, s1
	s_cbranch_execz .LBB139_255
.LBB139_344:
	scratch_load_b64 v[0:1], off, off offset:408
	v_cmp_ne_u32_e32 vcc_lo, 1, v70
	v_lshlrev_b64 v[2:3], 3, v[38:39]
	s_cbranch_vccnz .LBB139_346
; %bb.345:
	s_delay_alu instid0(VALU_DEP_1) | instskip(NEXT) | instid1(VALU_DEP_2)
	v_add_co_u32 v4, vcc_lo, v71, v2
	v_add_co_ci_u32_e32 v5, vcc_lo, v72, v3, vcc_lo
	flat_load_b64 v[4:5], v[4:5]
	s_waitcnt vmcnt(0) lgkmcnt(0)
	v_mul_f64 v[4:5], v[4:5], s[38:39]
	s_branch .LBB139_347
.LBB139_346:
	v_mov_b32_e32 v4, 0
	v_mov_b32_e32 v5, 0
.LBB139_347:
	s_waitcnt vmcnt(0)
	s_delay_alu instid0(VALU_DEP_1)
	v_add_f64 v[0:1], v[0:1], v[4:5]
	v_add_co_u32 v2, vcc_lo, v68, v2
	v_add_co_ci_u32_e32 v3, vcc_lo, v69, v3, vcc_lo
	global_store_b64 v[2:3], v[0:1], off
	s_or_b32 exec_lo, exec_lo, s0
	s_and_b32 s1, s11, s21
	s_delay_alu instid0(SALU_CYCLE_1)
	s_and_saveexec_b32 s0, s1
	s_cbranch_execz .LBB139_256
.LBB139_348:
	scratch_load_b64 v[0:1], off, off offset:416
	v_cmp_ne_u32_e32 vcc_lo, 1, v70
	v_lshlrev_b64 v[2:3], 3, v[40:41]
	s_cbranch_vccnz .LBB139_350
; %bb.349:
	s_delay_alu instid0(VALU_DEP_1) | instskip(NEXT) | instid1(VALU_DEP_2)
	v_add_co_u32 v4, vcc_lo, v71, v2
	v_add_co_ci_u32_e32 v5, vcc_lo, v72, v3, vcc_lo
	flat_load_b64 v[4:5], v[4:5]
	s_waitcnt vmcnt(0) lgkmcnt(0)
	v_mul_f64 v[4:5], v[4:5], s[38:39]
	s_branch .LBB139_351
.LBB139_350:
	v_mov_b32_e32 v4, 0
	v_mov_b32_e32 v5, 0
.LBB139_351:
	s_waitcnt vmcnt(0)
	s_delay_alu instid0(VALU_DEP_1)
	v_add_f64 v[0:1], v[0:1], v[4:5]
	v_add_co_u32 v2, vcc_lo, v68, v2
	v_add_co_ci_u32_e32 v3, vcc_lo, v69, v3, vcc_lo
	global_store_b64 v[2:3], v[0:1], off
	s_or_b32 exec_lo, exec_lo, s0
	s_and_b32 s1, s11, s22
	s_delay_alu instid0(SALU_CYCLE_1)
	s_and_saveexec_b32 s0, s1
	s_cbranch_execz .LBB139_257
.LBB139_352:
	scratch_load_b64 v[0:1], off, off offset:424
	v_cmp_ne_u32_e32 vcc_lo, 1, v70
	v_lshlrev_b64 v[2:3], 3, v[42:43]
	s_cbranch_vccnz .LBB139_354
; %bb.353:
	s_delay_alu instid0(VALU_DEP_1) | instskip(NEXT) | instid1(VALU_DEP_2)
	v_add_co_u32 v4, vcc_lo, v71, v2
	v_add_co_ci_u32_e32 v5, vcc_lo, v72, v3, vcc_lo
	flat_load_b64 v[4:5], v[4:5]
	s_waitcnt vmcnt(0) lgkmcnt(0)
	v_mul_f64 v[4:5], v[4:5], s[38:39]
	s_branch .LBB139_355
.LBB139_354:
	v_mov_b32_e32 v4, 0
	v_mov_b32_e32 v5, 0
.LBB139_355:
	s_waitcnt vmcnt(0)
	s_delay_alu instid0(VALU_DEP_1)
	v_add_f64 v[0:1], v[0:1], v[4:5]
	v_add_co_u32 v2, vcc_lo, v68, v2
	v_add_co_ci_u32_e32 v3, vcc_lo, v69, v3, vcc_lo
	global_store_b64 v[2:3], v[0:1], off
	s_or_b32 exec_lo, exec_lo, s0
	s_and_b32 s1, s11, s23
	s_delay_alu instid0(SALU_CYCLE_1)
	s_and_saveexec_b32 s0, s1
	s_cbranch_execz .LBB139_258
.LBB139_356:
	scratch_load_b64 v[0:1], off, off offset:432
	v_cmp_ne_u32_e32 vcc_lo, 1, v70
	v_lshlrev_b64 v[2:3], 3, v[44:45]
	s_cbranch_vccnz .LBB139_358
; %bb.357:
	s_delay_alu instid0(VALU_DEP_1) | instskip(NEXT) | instid1(VALU_DEP_2)
	v_add_co_u32 v4, vcc_lo, v71, v2
	v_add_co_ci_u32_e32 v5, vcc_lo, v72, v3, vcc_lo
	flat_load_b64 v[4:5], v[4:5]
	s_waitcnt vmcnt(0) lgkmcnt(0)
	v_mul_f64 v[4:5], v[4:5], s[38:39]
	s_branch .LBB139_359
.LBB139_358:
	v_mov_b32_e32 v4, 0
	v_mov_b32_e32 v5, 0
.LBB139_359:
	s_waitcnt vmcnt(0)
	s_delay_alu instid0(VALU_DEP_1)
	v_add_f64 v[0:1], v[0:1], v[4:5]
	v_add_co_u32 v2, vcc_lo, v68, v2
	v_add_co_ci_u32_e32 v3, vcc_lo, v69, v3, vcc_lo
	global_store_b64 v[2:3], v[0:1], off
	s_or_b32 exec_lo, exec_lo, s0
	s_and_b32 s1, s11, s24
	s_delay_alu instid0(SALU_CYCLE_1)
	s_and_saveexec_b32 s0, s1
	s_cbranch_execz .LBB139_259
.LBB139_360:
	scratch_load_b64 v[0:1], off, off offset:440
	v_cmp_ne_u32_e32 vcc_lo, 1, v70
	v_lshlrev_b64 v[2:3], 3, v[46:47]
	s_cbranch_vccnz .LBB139_362
; %bb.361:
	s_delay_alu instid0(VALU_DEP_1) | instskip(NEXT) | instid1(VALU_DEP_2)
	v_add_co_u32 v4, vcc_lo, v71, v2
	v_add_co_ci_u32_e32 v5, vcc_lo, v72, v3, vcc_lo
	flat_load_b64 v[4:5], v[4:5]
	s_waitcnt vmcnt(0) lgkmcnt(0)
	v_mul_f64 v[4:5], v[4:5], s[38:39]
	s_branch .LBB139_363
.LBB139_362:
	v_mov_b32_e32 v4, 0
	v_mov_b32_e32 v5, 0
.LBB139_363:
	s_waitcnt vmcnt(0)
	s_delay_alu instid0(VALU_DEP_1)
	v_add_f64 v[0:1], v[0:1], v[4:5]
	v_add_co_u32 v2, vcc_lo, v68, v2
	v_add_co_ci_u32_e32 v3, vcc_lo, v69, v3, vcc_lo
	global_store_b64 v[2:3], v[0:1], off
	s_or_b32 exec_lo, exec_lo, s0
	s_and_b32 s1, s11, s25
	s_delay_alu instid0(SALU_CYCLE_1)
	s_and_saveexec_b32 s0, s1
	s_cbranch_execz .LBB139_260
.LBB139_364:
	scratch_load_b64 v[0:1], off, off offset:448
	v_cmp_ne_u32_e32 vcc_lo, 1, v70
	v_lshlrev_b64 v[2:3], 3, v[48:49]
	s_cbranch_vccnz .LBB139_366
; %bb.365:
	s_delay_alu instid0(VALU_DEP_1) | instskip(NEXT) | instid1(VALU_DEP_2)
	v_add_co_u32 v4, vcc_lo, v71, v2
	v_add_co_ci_u32_e32 v5, vcc_lo, v72, v3, vcc_lo
	flat_load_b64 v[4:5], v[4:5]
	s_waitcnt vmcnt(0) lgkmcnt(0)
	v_mul_f64 v[4:5], v[4:5], s[38:39]
	s_branch .LBB139_367
.LBB139_366:
	v_mov_b32_e32 v4, 0
	v_mov_b32_e32 v5, 0
.LBB139_367:
	s_waitcnt vmcnt(0)
	s_delay_alu instid0(VALU_DEP_1)
	v_add_f64 v[0:1], v[0:1], v[4:5]
	v_add_co_u32 v2, vcc_lo, v68, v2
	v_add_co_ci_u32_e32 v3, vcc_lo, v69, v3, vcc_lo
	global_store_b64 v[2:3], v[0:1], off
	s_or_b32 exec_lo, exec_lo, s0
	s_and_b32 s1, s11, s26
	s_delay_alu instid0(SALU_CYCLE_1)
	s_and_saveexec_b32 s0, s1
	s_cbranch_execz .LBB139_261
.LBB139_368:
	scratch_load_b64 v[0:1], off, off offset:456
	v_cmp_ne_u32_e32 vcc_lo, 1, v70
	v_lshlrev_b64 v[2:3], 3, v[50:51]
	s_cbranch_vccnz .LBB139_370
; %bb.369:
	s_delay_alu instid0(VALU_DEP_1) | instskip(NEXT) | instid1(VALU_DEP_2)
	v_add_co_u32 v4, vcc_lo, v71, v2
	v_add_co_ci_u32_e32 v5, vcc_lo, v72, v3, vcc_lo
	flat_load_b64 v[4:5], v[4:5]
	s_waitcnt vmcnt(0) lgkmcnt(0)
	v_mul_f64 v[4:5], v[4:5], s[38:39]
	s_branch .LBB139_371
.LBB139_370:
	v_mov_b32_e32 v4, 0
	v_mov_b32_e32 v5, 0
.LBB139_371:
	s_waitcnt vmcnt(0)
	s_delay_alu instid0(VALU_DEP_1)
	v_add_f64 v[0:1], v[0:1], v[4:5]
	v_add_co_u32 v2, vcc_lo, v68, v2
	v_add_co_ci_u32_e32 v3, vcc_lo, v69, v3, vcc_lo
	global_store_b64 v[2:3], v[0:1], off
	s_or_b32 exec_lo, exec_lo, s0
	s_and_b32 s1, s11, s27
	s_delay_alu instid0(SALU_CYCLE_1)
	s_and_saveexec_b32 s0, s1
	s_cbranch_execz .LBB139_262
.LBB139_372:
	scratch_load_b64 v[0:1], off, off offset:464
	v_cmp_ne_u32_e32 vcc_lo, 1, v70
	v_lshlrev_b64 v[2:3], 3, v[52:53]
	s_cbranch_vccnz .LBB139_374
; %bb.373:
	s_delay_alu instid0(VALU_DEP_1) | instskip(NEXT) | instid1(VALU_DEP_2)
	v_add_co_u32 v4, vcc_lo, v71, v2
	v_add_co_ci_u32_e32 v5, vcc_lo, v72, v3, vcc_lo
	flat_load_b64 v[4:5], v[4:5]
	s_waitcnt vmcnt(0) lgkmcnt(0)
	v_mul_f64 v[4:5], v[4:5], s[38:39]
	s_branch .LBB139_375
.LBB139_374:
	v_mov_b32_e32 v4, 0
	v_mov_b32_e32 v5, 0
.LBB139_375:
	s_waitcnt vmcnt(0)
	s_delay_alu instid0(VALU_DEP_1)
	v_add_f64 v[0:1], v[0:1], v[4:5]
	v_add_co_u32 v2, vcc_lo, v68, v2
	v_add_co_ci_u32_e32 v3, vcc_lo, v69, v3, vcc_lo
	global_store_b64 v[2:3], v[0:1], off
	s_or_b32 exec_lo, exec_lo, s0
	s_and_b32 s1, s11, s28
	s_delay_alu instid0(SALU_CYCLE_1)
	s_and_saveexec_b32 s0, s1
	s_cbranch_execz .LBB139_263
.LBB139_376:
	scratch_load_b64 v[0:1], off, off offset:472
	v_cmp_ne_u32_e32 vcc_lo, 1, v70
	v_lshlrev_b64 v[2:3], 3, v[54:55]
	s_cbranch_vccnz .LBB139_378
; %bb.377:
	s_delay_alu instid0(VALU_DEP_1) | instskip(NEXT) | instid1(VALU_DEP_2)
	v_add_co_u32 v4, vcc_lo, v71, v2
	v_add_co_ci_u32_e32 v5, vcc_lo, v72, v3, vcc_lo
	flat_load_b64 v[4:5], v[4:5]
	s_waitcnt vmcnt(0) lgkmcnt(0)
	v_mul_f64 v[4:5], v[4:5], s[38:39]
	s_branch .LBB139_379
.LBB139_378:
	v_mov_b32_e32 v4, 0
	v_mov_b32_e32 v5, 0
.LBB139_379:
	s_waitcnt vmcnt(0)
	s_delay_alu instid0(VALU_DEP_1)
	v_add_f64 v[0:1], v[0:1], v[4:5]
	v_add_co_u32 v2, vcc_lo, v68, v2
	v_add_co_ci_u32_e32 v3, vcc_lo, v69, v3, vcc_lo
	global_store_b64 v[2:3], v[0:1], off
	s_or_b32 exec_lo, exec_lo, s0
	s_and_b32 s1, s11, s29
	s_delay_alu instid0(SALU_CYCLE_1)
	s_and_saveexec_b32 s0, s1
	s_cbranch_execz .LBB139_264
.LBB139_380:
	scratch_load_b64 v[0:1], off, off offset:480
	v_cmp_ne_u32_e32 vcc_lo, 1, v70
	v_lshlrev_b64 v[2:3], 3, v[56:57]
	s_cbranch_vccnz .LBB139_382
; %bb.381:
	s_delay_alu instid0(VALU_DEP_1) | instskip(NEXT) | instid1(VALU_DEP_2)
	v_add_co_u32 v4, vcc_lo, v71, v2
	v_add_co_ci_u32_e32 v5, vcc_lo, v72, v3, vcc_lo
	flat_load_b64 v[4:5], v[4:5]
	s_waitcnt vmcnt(0) lgkmcnt(0)
	v_mul_f64 v[4:5], v[4:5], s[38:39]
	s_branch .LBB139_383
.LBB139_382:
	v_mov_b32_e32 v4, 0
	v_mov_b32_e32 v5, 0
.LBB139_383:
	s_waitcnt vmcnt(0)
	s_delay_alu instid0(VALU_DEP_1)
	v_add_f64 v[0:1], v[0:1], v[4:5]
	v_add_co_u32 v2, vcc_lo, v68, v2
	v_add_co_ci_u32_e32 v3, vcc_lo, v69, v3, vcc_lo
	global_store_b64 v[2:3], v[0:1], off
	s_or_b32 exec_lo, exec_lo, s0
	s_and_b32 s1, s11, s30
	s_delay_alu instid0(SALU_CYCLE_1)
	s_and_saveexec_b32 s0, s1
	s_cbranch_execz .LBB139_265
.LBB139_384:
	scratch_load_b64 v[0:1], off, off offset:488
	v_cmp_ne_u32_e32 vcc_lo, 1, v70
	v_lshlrev_b64 v[2:3], 3, v[58:59]
	s_cbranch_vccnz .LBB139_386
; %bb.385:
	s_delay_alu instid0(VALU_DEP_1) | instskip(NEXT) | instid1(VALU_DEP_2)
	v_add_co_u32 v4, vcc_lo, v71, v2
	v_add_co_ci_u32_e32 v5, vcc_lo, v72, v3, vcc_lo
	flat_load_b64 v[4:5], v[4:5]
	s_waitcnt vmcnt(0) lgkmcnt(0)
	v_mul_f64 v[4:5], v[4:5], s[38:39]
	s_branch .LBB139_387
.LBB139_386:
	v_mov_b32_e32 v4, 0
	v_mov_b32_e32 v5, 0
.LBB139_387:
	s_waitcnt vmcnt(0)
	s_delay_alu instid0(VALU_DEP_1)
	v_add_f64 v[0:1], v[0:1], v[4:5]
	v_add_co_u32 v2, vcc_lo, v68, v2
	v_add_co_ci_u32_e32 v3, vcc_lo, v69, v3, vcc_lo
	global_store_b64 v[2:3], v[0:1], off
	s_or_b32 exec_lo, exec_lo, s0
	s_and_b32 s1, s11, s31
	s_delay_alu instid0(SALU_CYCLE_1)
	s_and_saveexec_b32 s0, s1
	s_cbranch_execz .LBB139_266
.LBB139_388:
	scratch_load_b64 v[0:1], off, off offset:496
	v_cmp_ne_u32_e32 vcc_lo, 1, v70
	v_lshlrev_b64 v[2:3], 3, v[60:61]
	s_cbranch_vccnz .LBB139_390
; %bb.389:
	s_delay_alu instid0(VALU_DEP_1) | instskip(NEXT) | instid1(VALU_DEP_2)
	v_add_co_u32 v4, vcc_lo, v71, v2
	v_add_co_ci_u32_e32 v5, vcc_lo, v72, v3, vcc_lo
	flat_load_b64 v[4:5], v[4:5]
	s_waitcnt vmcnt(0) lgkmcnt(0)
	v_mul_f64 v[4:5], v[4:5], s[38:39]
	s_branch .LBB139_391
.LBB139_390:
	v_mov_b32_e32 v4, 0
	v_mov_b32_e32 v5, 0
.LBB139_391:
	s_waitcnt vmcnt(0)
	s_delay_alu instid0(VALU_DEP_1)
	v_add_f64 v[0:1], v[0:1], v[4:5]
	v_add_co_u32 v2, vcc_lo, v68, v2
	v_add_co_ci_u32_e32 v3, vcc_lo, v69, v3, vcc_lo
	global_store_b64 v[2:3], v[0:1], off
	s_or_b32 exec_lo, exec_lo, s0
	s_and_b32 s0, s11, s33
	s_delay_alu instid0(SALU_CYCLE_1)
	s_and_saveexec_b32 s1, s0
	s_cbranch_execz .LBB139_267
.LBB139_392:
	scratch_load_b64 v[0:1], off, off offset:504
	v_cmp_ne_u32_e32 vcc_lo, 1, v70
	v_lshlrev_b64 v[2:3], 3, v[62:63]
	s_cbranch_vccnz .LBB139_394
; %bb.393:
	s_delay_alu instid0(VALU_DEP_1) | instskip(NEXT) | instid1(VALU_DEP_2)
	v_add_co_u32 v4, vcc_lo, v71, v2
	v_add_co_ci_u32_e32 v5, vcc_lo, v72, v3, vcc_lo
	flat_load_b64 v[4:5], v[4:5]
	s_waitcnt vmcnt(0) lgkmcnt(0)
	v_mul_f64 v[4:5], v[4:5], s[38:39]
	s_branch .LBB139_395
.LBB139_394:
	v_mov_b32_e32 v4, 0
	v_mov_b32_e32 v5, 0
.LBB139_395:
	s_waitcnt vmcnt(0)
	s_delay_alu instid0(VALU_DEP_1)
	v_add_f64 v[0:1], v[0:1], v[4:5]
	v_add_co_u32 v2, vcc_lo, v68, v2
	v_add_co_ci_u32_e32 v3, vcc_lo, v69, v3, vcc_lo
	global_store_b64 v[2:3], v[0:1], off
	s_endpgm
	.section	.rodata,"a",@progbits
	.p2align	6, 0x0
	.amdhsa_kernel _ZN12_GLOBAL__N_120geam_min_plus_kernelIdddLi4ELi64ELi128ELi128ELi4ELi4ELi64ELi4ELi64ELc84ELc78ELb1ELb1ELb0EdKPKdKPdEEviiiT16_PT17_ilS8_ilS6_S8_ilPT18_ili26rocblas_geam_ex_operation_
		.amdhsa_group_segment_fixed_size 16384
		.amdhsa_private_segment_fixed_size 528
		.amdhsa_kernarg_size 136
		.amdhsa_user_sgpr_count 14
		.amdhsa_user_sgpr_dispatch_ptr 0
		.amdhsa_user_sgpr_queue_ptr 0
		.amdhsa_user_sgpr_kernarg_segment_ptr 1
		.amdhsa_user_sgpr_dispatch_id 0
		.amdhsa_user_sgpr_private_segment_size 0
		.amdhsa_wavefront_size32 1
		.amdhsa_uses_dynamic_stack 0
		.amdhsa_enable_private_segment 1
		.amdhsa_system_sgpr_workgroup_id_x 1
		.amdhsa_system_sgpr_workgroup_id_y 0
		.amdhsa_system_sgpr_workgroup_id_z 1
		.amdhsa_system_sgpr_workgroup_info 0
		.amdhsa_system_vgpr_workitem_id 1
		.amdhsa_next_free_vgpr 250
		.amdhsa_next_free_sgpr 46
		.amdhsa_reserve_vcc 1
		.amdhsa_float_round_mode_32 0
		.amdhsa_float_round_mode_16_64 0
		.amdhsa_float_denorm_mode_32 3
		.amdhsa_float_denorm_mode_16_64 3
		.amdhsa_dx10_clamp 1
		.amdhsa_ieee_mode 1
		.amdhsa_fp16_overflow 0
		.amdhsa_workgroup_processor_mode 1
		.amdhsa_memory_ordered 1
		.amdhsa_forward_progress 0
		.amdhsa_shared_vgpr_count 0
		.amdhsa_exception_fp_ieee_invalid_op 0
		.amdhsa_exception_fp_denorm_src 0
		.amdhsa_exception_fp_ieee_div_zero 0
		.amdhsa_exception_fp_ieee_overflow 0
		.amdhsa_exception_fp_ieee_underflow 0
		.amdhsa_exception_fp_ieee_inexact 0
		.amdhsa_exception_int_div_zero 0
	.end_amdhsa_kernel
	.section	.text._ZN12_GLOBAL__N_120geam_min_plus_kernelIdddLi4ELi64ELi128ELi128ELi4ELi4ELi64ELi4ELi64ELc84ELc78ELb1ELb1ELb0EdKPKdKPdEEviiiT16_PT17_ilS8_ilS6_S8_ilPT18_ili26rocblas_geam_ex_operation_,"axG",@progbits,_ZN12_GLOBAL__N_120geam_min_plus_kernelIdddLi4ELi64ELi128ELi128ELi4ELi4ELi64ELi4ELi64ELc84ELc78ELb1ELb1ELb0EdKPKdKPdEEviiiT16_PT17_ilS8_ilS6_S8_ilPT18_ili26rocblas_geam_ex_operation_,comdat
.Lfunc_end139:
	.size	_ZN12_GLOBAL__N_120geam_min_plus_kernelIdddLi4ELi64ELi128ELi128ELi4ELi4ELi64ELi4ELi64ELc84ELc78ELb1ELb1ELb0EdKPKdKPdEEviiiT16_PT17_ilS8_ilS6_S8_ilPT18_ili26rocblas_geam_ex_operation_, .Lfunc_end139-_ZN12_GLOBAL__N_120geam_min_plus_kernelIdddLi4ELi64ELi128ELi128ELi4ELi4ELi64ELi4ELi64ELc84ELc78ELb1ELb1ELb0EdKPKdKPdEEviiiT16_PT17_ilS8_ilS6_S8_ilPT18_ili26rocblas_geam_ex_operation_
                                        ; -- End function
	.section	.AMDGPU.csdata,"",@progbits
; Kernel info:
; codeLenInByte = 46900
; NumSgprs: 48
; NumVgprs: 250
; ScratchSize: 528
; MemoryBound: 1
; FloatMode: 240
; IeeeMode: 1
; LDSByteSize: 16384 bytes/workgroup (compile time only)
; SGPRBlocks: 5
; VGPRBlocks: 31
; NumSGPRsForWavesPerEU: 48
; NumVGPRsForWavesPerEU: 250
; Occupancy: 5
; WaveLimiterHint : 1
; COMPUTE_PGM_RSRC2:SCRATCH_EN: 1
; COMPUTE_PGM_RSRC2:USER_SGPR: 14
; COMPUTE_PGM_RSRC2:TRAP_HANDLER: 0
; COMPUTE_PGM_RSRC2:TGID_X_EN: 1
; COMPUTE_PGM_RSRC2:TGID_Y_EN: 0
; COMPUTE_PGM_RSRC2:TGID_Z_EN: 1
; COMPUTE_PGM_RSRC2:TIDIG_COMP_CNT: 1
	.section	.text._ZN12_GLOBAL__N_120geam_min_plus_kernelIdddLi4ELi64ELi128ELi128ELi4ELi4ELi64ELi4ELi64ELc84ELc78ELb0ELb1ELb0EdKPKdKPdEEviiiT16_PT17_ilS8_ilS6_S8_ilPT18_ili26rocblas_geam_ex_operation_,"axG",@progbits,_ZN12_GLOBAL__N_120geam_min_plus_kernelIdddLi4ELi64ELi128ELi128ELi4ELi4ELi64ELi4ELi64ELc84ELc78ELb0ELb1ELb0EdKPKdKPdEEviiiT16_PT17_ilS8_ilS6_S8_ilPT18_ili26rocblas_geam_ex_operation_,comdat
	.globl	_ZN12_GLOBAL__N_120geam_min_plus_kernelIdddLi4ELi64ELi128ELi128ELi4ELi4ELi64ELi4ELi64ELc84ELc78ELb0ELb1ELb0EdKPKdKPdEEviiiT16_PT17_ilS8_ilS6_S8_ilPT18_ili26rocblas_geam_ex_operation_ ; -- Begin function _ZN12_GLOBAL__N_120geam_min_plus_kernelIdddLi4ELi64ELi128ELi128ELi4ELi4ELi64ELi4ELi64ELc84ELc78ELb0ELb1ELb0EdKPKdKPdEEviiiT16_PT17_ilS8_ilS6_S8_ilPT18_ili26rocblas_geam_ex_operation_
	.p2align	8
	.type	_ZN12_GLOBAL__N_120geam_min_plus_kernelIdddLi4ELi64ELi128ELi128ELi4ELi4ELi64ELi4ELi64ELc84ELc78ELb0ELb1ELb0EdKPKdKPdEEviiiT16_PT17_ilS8_ilS6_S8_ilPT18_ili26rocblas_geam_ex_operation_,@function
_ZN12_GLOBAL__N_120geam_min_plus_kernelIdddLi4ELi64ELi128ELi128ELi4ELi4ELi64ELi4ELi64ELc84ELc78ELb0ELb1ELb0EdKPKdKPdEEviiiT16_PT17_ilS8_ilS6_S8_ilPT18_ili26rocblas_geam_ex_operation_: ; @_ZN12_GLOBAL__N_120geam_min_plus_kernelIdddLi4ELi64ELi128ELi128ELi4ELi4ELi64ELi4ELi64ELc84ELc78ELb0ELb1ELb0EdKPKdKPdEEviiiT16_PT17_ilS8_ilS6_S8_ilPT18_ili26rocblas_geam_ex_operation_
; %bb.0:
	s_clause 0x1
	s_load_b128 s[8:11], s[0:1], 0x10
	s_load_b128 s[4:7], s[0:1], 0x28
	s_mov_b32 s2, s15
	s_mov_b64 s[16:17], 0
	s_waitcnt lgkmcnt(0)
	v_cmp_eq_f64_e64 s15, s[8:9], 0
	s_delay_alu instid0(VALU_DEP_1)
	s_and_b32 vcc_lo, exec_lo, s15
	s_cbranch_vccnz .LBB140_2
; %bb.1:
	s_mov_b32 s3, 0
	s_delay_alu instid0(SALU_CYCLE_1) | instskip(NEXT) | instid1(SALU_CYCLE_1)
	s_lshl_b64 s[12:13], s[2:3], 3
	s_add_u32 s10, s10, s12
	s_addc_u32 s11, s11, s13
	s_lshl_b64 s[4:5], s[4:5], 3
	s_load_b64 s[10:11], s[10:11], 0x0
	s_waitcnt lgkmcnt(0)
	s_add_u32 s16, s10, s4
	s_addc_u32 s17, s11, s5
.LBB140_2:
	s_clause 0x1
	s_load_b128 s[36:39], s[0:1], 0x40
	s_load_b64 s[12:13], s[0:1], 0x50
	s_and_not1_b32 vcc_lo, exec_lo, s15
	s_cbranch_vccnz .LBB140_4
; %bb.3:
	s_mov_b32 s3, 0
	s_mov_b64 s[10:11], 0
	s_cbranch_execz .LBB140_5
	s_branch .LBB140_6
.LBB140_4:
	s_mov_b32 s3, -1
                                        ; implicit-def: $sgpr10_sgpr11
.LBB140_5:
	s_mov_b32 s3, 0
	s_delay_alu instid0(SALU_CYCLE_1) | instskip(NEXT) | instid1(SALU_CYCLE_1)
	s_lshl_b64 s[4:5], s[2:3], 3
	s_add_u32 s4, s6, s4
	s_addc_u32 s5, s7, s5
	s_waitcnt lgkmcnt(0)
	s_lshl_b64 s[6:7], s[36:37], 3
	s_load_b64 s[4:5], s[4:5], 0x0
	s_waitcnt lgkmcnt(0)
	s_add_u32 s10, s4, s6
	s_addc_u32 s11, s5, s7
.LBB140_6:
	s_waitcnt lgkmcnt(0)
	v_cmp_eq_f64_e64 s15, s[38:39], 0
	v_cmp_neq_f64_e64 s36, s[38:39], 0
	s_load_b128 s[4:7], s[0:1], 0x60
	s_mov_b64 s[34:35], 0
	s_delay_alu instid0(VALU_DEP_2)
	s_and_b32 vcc_lo, exec_lo, s15
	s_cbranch_vccnz .LBB140_8
; %bb.7:
	s_lshl_b64 s[18:19], s[2:3], 3
	s_delay_alu instid0(SALU_CYCLE_1)
	s_add_u32 s12, s12, s18
	s_addc_u32 s13, s13, s19
	s_waitcnt lgkmcnt(0)
	s_lshl_b64 s[4:5], s[4:5], 3
	s_load_b64 s[12:13], s[12:13], 0x0
	s_waitcnt lgkmcnt(0)
	s_add_u32 s34, s12, s4
	s_addc_u32 s35, s13, s5
.LBB140_8:
	s_clause 0x1
	s_load_b128 s[40:43], s[0:1], 0x0
	s_load_b32 s21, s[0:1], 0x20
	s_lshl_b64 s[2:3], s[2:3], 3
	s_waitcnt lgkmcnt(0)
	s_mov_b32 s4, 0
	s_add_u32 s2, s6, s2
	s_addc_u32 s3, s7, s3
	s_mov_b32 s5, s4
	s_load_b64 s[12:13], s[2:3], 0x0
	v_and_b32_e32 v84, 0x3ff, v0
	v_cmp_eq_f64_e64 s18, s[8:9], 0
	v_bfe_u32 v85, v0, 10, 10
	s_add_i32 s2, s40, -1
	s_delay_alu instid0(SALU_CYCLE_1) | instskip(NEXT) | instid1(SALU_CYCLE_1)
	s_ashr_i32 s3, s2, 31
	s_lshr_b32 s3, s3, 25
	s_delay_alu instid0(SALU_CYCLE_1) | instskip(NEXT) | instid1(SALU_CYCLE_1)
	s_add_i32 s2, s2, s3
	s_ashr_i32 s2, s2, 7
	s_delay_alu instid0(SALU_CYCLE_1) | instskip(SKIP_2) | instid1(VALU_DEP_1)
	s_add_i32 s3, s2, 1
	s_not_b32 s2, s2
	v_cvt_f32_u32_e32 v1, s3
	v_rcp_iflag_f32_e32 v1, v1
	v_dual_mov_b32 v4, s4 :: v_dual_mov_b32 v5, s5
	v_and_b32_e32 v86, 3, v84
	v_lshrrev_b32_e32 v0, 2, v84
	s_delay_alu instid0(VALU_DEP_1)
	v_add_nc_u32_e32 v10, v0, v85
	s_waitcnt_depctr 0xfff
	v_mul_f32_e32 v1, 0x4f7ffffe, v1
	s_clause 0x9
	scratch_store_b64 off, v[4:5], off
	scratch_store_b64 off, v[4:5], off offset:8
	scratch_store_b64 off, v[4:5], off offset:16
	;; [unrolled: 1-line block ×9, first 2 shown]
	v_cvt_u32_f32_e32 v1, v1
	s_clause 0xe
	scratch_store_b64 off, v[4:5], off offset:80
	scratch_store_b64 off, v[4:5], off offset:88
	;; [unrolled: 1-line block ×15, first 2 shown]
	v_readfirstlane_b32 s4, v1
	s_clause 0xd
	scratch_store_b64 off, v[4:5], off offset:200
	scratch_store_b64 off, v[4:5], off offset:208
	;; [unrolled: 1-line block ×14, first 2 shown]
	s_mul_i32 s2, s2, s4
	s_clause 0x3
	scratch_store_b64 off, v[4:5], off offset:312
	scratch_store_b64 off, v[4:5], off offset:320
	;; [unrolled: 1-line block ×4, first 2 shown]
	s_mul_hi_u32 s2, s4, s2
	s_clause 0x1
	scratch_store_b64 off, v[4:5], off offset:344
	scratch_store_b64 off, v[4:5], off offset:352
	s_add_i32 s4, s4, s2
	s_clause 0x7
	scratch_store_b64 off, v[4:5], off offset:360
	scratch_store_b64 off, v[4:5], off offset:368
	;; [unrolled: 1-line block ×8, first 2 shown]
	s_mul_hi_u32 s2, s14, s4
	scratch_store_b64 off, v[4:5], off offset:424
	s_mul_i32 s4, s2, s3
	s_add_i32 s5, s2, 1
	s_sub_i32 s4, s14, s4
	s_clause 0x3
	scratch_store_b64 off, v[4:5], off offset:432
	scratch_store_b64 off, v[4:5], off offset:440
	;; [unrolled: 1-line block ×4, first 2 shown]
	s_sub_i32 s6, s4, s3
	s_cmp_ge_u32 s4, s3
	s_clause 0x1
	scratch_store_b64 off, v[4:5], off offset:464
	scratch_store_b64 off, v[4:5], off offset:472
	s_cselect_b32 s2, s5, s2
	s_cselect_b32 s4, s6, s4
	s_add_i32 s5, s2, 1
	s_cmp_ge_u32 s4, s3
	s_clause 0x3
	scratch_store_b64 off, v[4:5], off offset:480
	scratch_store_b64 off, v[4:5], off offset:488
	;; [unrolled: 1-line block ×4, first 2 shown]
	s_cselect_b32 s5, s5, s2
	s_add_i32 s19, s42, -1
	s_mul_i32 s2, s5, s3
	v_min_i32_e32 v0, s19, v86
	s_sub_i32 s2, s14, s2
	s_delay_alu instid0(SALU_CYCLE_1) | instskip(NEXT) | instid1(VALU_DEP_1)
	s_lshl_b32 s14, s2, 7
	v_ashrrev_i32_e32 v1, 31, v0
	s_delay_alu instid0(VALU_DEP_1) | instskip(SKIP_3) | instid1(VALU_DEP_4)
	v_lshlrev_b64 v[6:7], 3, v[0:1]
	v_mov_b32_e32 v0, 0
	v_mov_b32_e32 v1, 0
	v_cmp_le_i32_e32 vcc_lo, s42, v86
	v_add_co_u32 v8, s3, s16, v6
	s_delay_alu instid0(VALU_DEP_3) | instskip(SKIP_2) | instid1(VALU_DEP_3)
	v_dual_mov_b32 v3, v1 :: v_dual_add_nc_u32 v76, s14, v10
	v_add_co_ci_u32_e64 v9, s3, s17, v7, s3
	v_mov_b32_e32 v2, v0
	v_cmp_le_i32_e64 s2, s40, v76
	s_delay_alu instid0(VALU_DEP_1) | instskip(NEXT) | instid1(SALU_CYCLE_1)
	s_or_b32 s3, vcc_lo, s2
	s_or_b32 s3, s18, s3
	s_delay_alu instid0(SALU_CYCLE_1) | instskip(NEXT) | instid1(SALU_CYCLE_1)
	s_xor_b32 s3, s3, -1
	s_and_saveexec_b32 s4, s3
	s_cbranch_execz .LBB140_10
; %bb.9:
	v_mad_i64_i32 v[2:3], null, v76, s21, 0
	s_delay_alu instid0(VALU_DEP_1) | instskip(NEXT) | instid1(VALU_DEP_1)
	v_lshlrev_b64 v[2:3], 3, v[2:3]
	v_add_co_u32 v2, s3, v8, v2
	s_delay_alu instid0(VALU_DEP_1)
	v_add_co_ci_u32_e64 v3, s3, v9, v3, s3
	flat_load_b64 v[2:3], v[2:3]
	s_waitcnt vmcnt(0) lgkmcnt(0)
	v_mul_f64 v[2:3], v[2:3], s[8:9]
.LBB140_10:
	s_or_b32 exec_lo, exec_lo, s4
	v_add_nc_u32_e32 v77, 64, v76
	v_dual_mov_b32 v5, v1 :: v_dual_mov_b32 v4, v0
	s_delay_alu instid0(VALU_DEP_2) | instskip(NEXT) | instid1(VALU_DEP_1)
	v_cmp_le_i32_e64 s3, s40, v77
	s_or_b32 s4, vcc_lo, s3
	s_delay_alu instid0(SALU_CYCLE_1) | instskip(NEXT) | instid1(SALU_CYCLE_1)
	s_or_b32 s4, s18, s4
	s_xor_b32 s4, s4, -1
	s_delay_alu instid0(SALU_CYCLE_1)
	s_and_saveexec_b32 s6, s4
	s_cbranch_execz .LBB140_12
; %bb.11:
	v_mad_i64_i32 v[4:5], null, v77, s21, 0
	s_delay_alu instid0(VALU_DEP_1) | instskip(NEXT) | instid1(VALU_DEP_1)
	v_lshlrev_b64 v[4:5], 3, v[4:5]
	v_add_co_u32 v4, s4, v8, v4
	s_delay_alu instid0(VALU_DEP_1)
	v_add_co_ci_u32_e64 v5, s4, v9, v5, s4
	flat_load_b64 v[4:5], v[4:5]
	s_waitcnt vmcnt(0) lgkmcnt(0)
	v_mul_f64 v[4:5], v[4:5], s[8:9]
.LBB140_12:
	s_or_b32 exec_lo, exec_lo, s6
	s_load_b32 s22, s[0:1], 0x38
	s_lshl_b32 s15, s5, 7
	v_add_co_u32 v8, s5, s10, v6
	v_add_nc_u32_e32 v78, s15, v10
	v_add_co_ci_u32_e64 v9, s5, s11, v7, s5
	s_delay_alu instid0(VALU_DEP_2) | instskip(NEXT) | instid1(VALU_DEP_1)
	v_cmp_le_i32_e64 s4, s41, v78
	s_or_b32 s6, vcc_lo, s4
	s_delay_alu instid0(SALU_CYCLE_1) | instskip(NEXT) | instid1(SALU_CYCLE_1)
	s_or_b32 s5, s18, s6
	s_xor_b32 s5, s5, -1
	s_delay_alu instid0(SALU_CYCLE_1)
	s_and_saveexec_b32 s6, s5
	s_cbranch_execz .LBB140_14
; %bb.13:
	s_waitcnt lgkmcnt(0)
	v_mad_i64_i32 v[0:1], null, v78, s22, 0
	s_delay_alu instid0(VALU_DEP_1) | instskip(NEXT) | instid1(VALU_DEP_1)
	v_lshlrev_b64 v[0:1], 3, v[0:1]
	v_add_co_u32 v0, s5, v8, v0
	s_delay_alu instid0(VALU_DEP_1)
	v_add_co_ci_u32_e64 v1, s5, v9, v1, s5
	flat_load_b64 v[0:1], v[0:1]
	s_waitcnt vmcnt(0) lgkmcnt(0)
	v_mul_f64 v[0:1], v[0:1], s[8:9]
.LBB140_14:
	s_or_b32 exec_lo, exec_lo, s6
	v_dual_mov_b32 v68, 0 :: v_dual_add_nc_u32 v79, 64, v78
	v_mov_b32_e32 v69, 0
	s_delay_alu instid0(VALU_DEP_2) | instskip(NEXT) | instid1(VALU_DEP_3)
	v_mov_b32_e32 v6, v68
	v_cmp_le_i32_e64 s5, s41, v79
	s_delay_alu instid0(VALU_DEP_3) | instskip(NEXT) | instid1(VALU_DEP_2)
	v_mov_b32_e32 v7, v69
	s_or_b32 s6, vcc_lo, s5
	s_delay_alu instid0(SALU_CYCLE_1) | instskip(NEXT) | instid1(SALU_CYCLE_1)
	s_or_b32 s6, s18, s6
	s_xor_b32 s7, s6, -1
	s_delay_alu instid0(SALU_CYCLE_1)
	s_and_saveexec_b32 s6, s7
	s_cbranch_execz .LBB140_16
; %bb.15:
	s_waitcnt lgkmcnt(0)
	v_mad_i64_i32 v[6:7], null, v79, s22, 0
	s_delay_alu instid0(VALU_DEP_1) | instskip(NEXT) | instid1(VALU_DEP_1)
	v_lshlrev_b64 v[6:7], 3, v[6:7]
	v_add_co_u32 v6, vcc_lo, v8, v6
	s_delay_alu instid0(VALU_DEP_2)
	v_add_co_ci_u32_e32 v7, vcc_lo, v9, v7, vcc_lo
	flat_load_b64 v[6:7], v[6:7]
	s_waitcnt vmcnt(0) lgkmcnt(0)
	v_mul_f64 v[6:7], v[6:7], s[8:9]
.LBB140_16:
	s_or_b32 exec_lo, exec_lo, s6
	v_or_b32_e32 v11, 4, v86
	s_delay_alu instid0(VALU_DEP_1) | instskip(SKIP_1) | instid1(VALU_DEP_2)
	v_min_i32_e32 v8, s19, v11
	v_cmp_le_i32_e32 vcc_lo, s42, v11
	v_ashrrev_i32_e32 v9, 31, v8
	s_or_b32 s7, vcc_lo, s2
	s_delay_alu instid0(VALU_DEP_1) | instskip(NEXT) | instid1(VALU_DEP_1)
	v_lshlrev_b64 v[8:9], 3, v[8:9]
	v_add_co_u32 v11, s6, s16, v8
	s_delay_alu instid0(VALU_DEP_1) | instskip(SKIP_1) | instid1(SALU_CYCLE_1)
	v_add_co_ci_u32_e64 v12, s6, s17, v9, s6
	s_or_b32 s6, s18, s7
	s_xor_b32 s6, s6, -1
	s_delay_alu instid0(SALU_CYCLE_1)
	s_and_saveexec_b32 s7, s6
	s_cbranch_execz .LBB140_18
; %bb.17:
	v_mad_i64_i32 v[13:14], null, v76, s21, 0
	s_delay_alu instid0(VALU_DEP_1) | instskip(NEXT) | instid1(VALU_DEP_1)
	v_lshlrev_b64 v[13:14], 3, v[13:14]
	v_add_co_u32 v13, s6, v11, v13
	s_delay_alu instid0(VALU_DEP_1)
	v_add_co_ci_u32_e64 v14, s6, v12, v14, s6
	flat_load_b64 v[13:14], v[13:14]
	s_waitcnt vmcnt(0) lgkmcnt(0)
	v_mul_f64 v[68:69], v[13:14], s[8:9]
.LBB140_18:
	s_or_b32 exec_lo, exec_lo, s7
	v_mov_b32_e32 v70, 0
	v_mov_b32_e32 v71, 0
	s_or_b32 s6, vcc_lo, s3
	s_delay_alu instid0(SALU_CYCLE_1) | instskip(NEXT) | instid1(SALU_CYCLE_1)
	s_or_b32 s6, s18, s6
	s_xor_b32 s6, s6, -1
	s_delay_alu instid0(VALU_DEP_1)
	v_dual_mov_b32 v73, v71 :: v_dual_mov_b32 v72, v70
	s_and_saveexec_b32 s7, s6
	s_cbranch_execz .LBB140_20
; %bb.19:
	v_mad_i64_i32 v[13:14], null, v77, s21, 0
	s_delay_alu instid0(VALU_DEP_1) | instskip(NEXT) | instid1(VALU_DEP_1)
	v_lshlrev_b64 v[13:14], 3, v[13:14]
	v_add_co_u32 v11, s6, v11, v13
	s_delay_alu instid0(VALU_DEP_1)
	v_add_co_ci_u32_e64 v12, s6, v12, v14, s6
	flat_load_b64 v[11:12], v[11:12]
	s_waitcnt vmcnt(0) lgkmcnt(0)
	v_mul_f64 v[72:73], v[11:12], s[8:9]
.LBB140_20:
	s_or_b32 exec_lo, exec_lo, s7
	v_add_co_u32 v8, s6, s10, v8
	s_or_b32 s7, vcc_lo, s4
	v_add_co_ci_u32_e64 v9, s6, s11, v9, s6
	s_or_b32 s6, s18, s7
	s_delay_alu instid0(SALU_CYCLE_1) | instskip(NEXT) | instid1(SALU_CYCLE_1)
	s_xor_b32 s6, s6, -1
	s_and_saveexec_b32 s7, s6
	s_cbranch_execz .LBB140_22
; %bb.21:
	s_waitcnt lgkmcnt(0)
	v_mad_i64_i32 v[11:12], null, v78, s22, 0
	s_delay_alu instid0(VALU_DEP_1) | instskip(NEXT) | instid1(VALU_DEP_1)
	v_lshlrev_b64 v[11:12], 3, v[11:12]
	v_add_co_u32 v11, s6, v8, v11
	s_delay_alu instid0(VALU_DEP_1)
	v_add_co_ci_u32_e64 v12, s6, v9, v12, s6
	flat_load_b64 v[11:12], v[11:12]
	s_waitcnt vmcnt(0) lgkmcnt(0)
	v_mul_f64 v[70:71], v[11:12], s[8:9]
.LBB140_22:
	s_or_b32 exec_lo, exec_lo, s7
	s_or_b32 s6, vcc_lo, s5
	v_mov_b32_e32 v74, 0
	v_mov_b32_e32 v75, 0
	s_or_b32 s6, s18, s6
	s_delay_alu instid0(SALU_CYCLE_1) | instskip(NEXT) | instid1(SALU_CYCLE_1)
	s_xor_b32 s7, s6, -1
	s_and_saveexec_b32 s6, s7
	s_cbranch_execz .LBB140_24
; %bb.23:
	s_waitcnt lgkmcnt(0)
	v_mad_i64_i32 v[11:12], null, v79, s22, 0
	s_delay_alu instid0(VALU_DEP_1) | instskip(NEXT) | instid1(VALU_DEP_1)
	v_lshlrev_b64 v[11:12], 3, v[11:12]
	v_add_co_u32 v8, vcc_lo, v8, v11
	s_delay_alu instid0(VALU_DEP_2)
	v_add_co_ci_u32_e32 v9, vcc_lo, v9, v12, vcc_lo
	flat_load_b64 v[8:9], v[8:9]
	s_waitcnt vmcnt(0) lgkmcnt(0)
	v_mul_f64 v[74:75], v[8:9], s[8:9]
.LBB140_24:
	s_or_b32 exec_lo, exec_lo, s6
	v_dual_mov_b32 v81, 8 :: v_dual_lshlrev_b32 v8, 3, v86
	v_dual_mov_b32 v80, 0 :: v_dual_lshlrev_b32 v87, 5, v84
	;; [unrolled: 1-line block ×3, first 2 shown]
	s_delay_alu instid0(VALU_DEP_3) | instskip(NEXT) | instid1(VALU_DEP_3)
	v_lshl_or_b32 v88, v10, 5, v8
	v_dual_mov_b32 v83, 24 :: v_dual_add_nc_u32 v48, 0x800, v87
	s_delay_alu instid0(VALU_DEP_3)
	v_dual_mov_b32 v92, 32 :: v_dual_add_nc_u32 v91, 0x2000, v89
	ds_store_2addr_stride64_b64 v88, v[2:3], v[4:5] offset1:4
	ds_store_2addr_stride64_b64 v88, v[0:1], v[6:7] offset0:16 offset1:20
	s_waitcnt lgkmcnt(0)
	s_waitcnt_vscnt null, 0x0
	s_barrier
	buffer_gl0_inv
	ds_load_2addr_b64 v[0:3], v87 offset1:16
	ds_load_2addr_b64 v[4:7], v87 offset0:32 offset1:48
	ds_load_2addr_b64 v[8:11], v87 offset0:64 offset1:80
	;; [unrolled: 1-line block ×4, first 2 shown]
	ds_load_2addr_b64 v[20:23], v48 offset1:16
	ds_load_2addr_b64 v[24:27], v48 offset0:32 offset1:48
	ds_load_2addr_b64 v[28:31], v48 offset0:64 offset1:80
	;; [unrolled: 1-line block ×10, first 2 shown]
	ds_load_2addr_stride64_b64 v[64:67], v89 offset0:16 offset1:20
	v_dual_mov_b32 v93, 40 :: v_dual_add_nc_u32 v90, 0x2000, v88
	v_dual_mov_b32 v94, 48 :: v_dual_mov_b32 v95, 56
	v_dual_mov_b32 v96, 64 :: v_dual_mov_b32 v97, 0x48
	v_mov_b32_e32 v98, 0x50
	v_mov_b32_e32 v99, 0x58
	;; [unrolled: 1-line block ×22, first 2 shown]
	s_mov_b64 s[6:7], 0
	s_mov_b32 s20, -1
.LBB140_25:                             ; =>This Inner Loop Header: Depth=1
	scratch_load_b64 v[120:121], v80, off
	scratch_load_b64 v[122:123], v81, off
	;; [unrolled: 1-line block ×32, first 2 shown]
	s_cmp_eq_u32 s6, 1
	s_waitcnt lgkmcnt(16)
	v_max_f64 v[186:187], v[0:1], v[0:1]
	s_cselect_b32 vcc_lo, -1, 0
	v_max_f64 v[188:189], v[2:3], v[2:3]
	s_waitcnt lgkmcnt(0)
	v_dual_cndmask_b32 v185, v65, v67 :: v_dual_cndmask_b32 v184, v64, v66
	v_max_f64 v[190:191], v[4:5], v[4:5]
	v_max_f64 v[192:193], v[6:7], v[6:7]
	;; [unrolled: 1-line block ×31, first 2 shown]
	s_mov_b64 s[6:7], 1
	s_and_b32 vcc_lo, exec_lo, s20
	s_mov_b32 s20, 0
	v_min_f64 v[186:187], v[186:187], v[184:185]
	v_min_f64 v[188:189], v[188:189], v[184:185]
	;; [unrolled: 1-line block ×32, first 2 shown]
	s_waitcnt vmcnt(31)
	v_add_f64 v[120:121], v[120:121], v[186:187]
	s_waitcnt vmcnt(30)
	v_add_f64 v[122:123], v[188:189], v[122:123]
	;; [unrolled: 2-line block ×32, first 2 shown]
	scratch_store_b64 v80, v[120:121], off
	scratch_store_b64 v81, v[122:123], off
	;; [unrolled: 1-line block ×32, first 2 shown]
	v_mov_b32_e32 v80, 0x100
	v_mov_b32_e32 v81, 0x108
	;; [unrolled: 1-line block ×32, first 2 shown]
	s_cbranch_vccnz .LBB140_25
; %bb.26:
	v_dual_mov_b32 v81, 8 :: v_dual_add_nc_u32 v60, 0x800, v87
	ds_load_2addr_b64 v[0:3], v87 offset0:1 offset1:17
	ds_load_2addr_b64 v[4:7], v87 offset0:33 offset1:49
	;; [unrolled: 1-line block ×12, first 2 shown]
	v_dual_mov_b32 v83, 24 :: v_dual_add_nc_u32 v64, 8, v91
	ds_load_2addr_b64 v[48:51], v60 offset0:129 offset1:145
	ds_load_2addr_b64 v[52:55], v60 offset0:161 offset1:177
	;; [unrolled: 1-line block ×4, first 2 shown]
	ds_load_2addr_stride64_b64 v[64:67], v64 offset1:4
	v_dual_mov_b32 v80, 0 :: v_dual_mov_b32 v93, 40
	v_dual_mov_b32 v82, 16 :: v_dual_mov_b32 v95, 56
	;; [unrolled: 1-line block ×5, first 2 shown]
	v_mov_b32_e32 v98, 0x50
	v_mov_b32_e32 v100, 0x60
	;; [unrolled: 1-line block ×20, first 2 shown]
	s_mov_b64 s[6:7], 0
	s_mov_b32 s20, -1
.LBB140_27:                             ; =>This Inner Loop Header: Depth=1
	scratch_load_b64 v[120:121], v80, off
	scratch_load_b64 v[122:123], v81, off
	;; [unrolled: 1-line block ×32, first 2 shown]
	s_cmp_eq_u32 s6, 1
	s_waitcnt lgkmcnt(16)
	v_max_f64 v[186:187], v[0:1], v[0:1]
	s_cselect_b32 vcc_lo, -1, 0
	v_max_f64 v[188:189], v[2:3], v[2:3]
	s_waitcnt lgkmcnt(0)
	v_dual_cndmask_b32 v185, v65, v67 :: v_dual_cndmask_b32 v184, v64, v66
	v_max_f64 v[190:191], v[4:5], v[4:5]
	v_max_f64 v[192:193], v[6:7], v[6:7]
	;; [unrolled: 1-line block ×31, first 2 shown]
	s_mov_b64 s[6:7], 1
	s_and_b32 vcc_lo, exec_lo, s20
	s_mov_b32 s20, 0
	v_min_f64 v[186:187], v[186:187], v[184:185]
	v_min_f64 v[188:189], v[188:189], v[184:185]
	;; [unrolled: 1-line block ×32, first 2 shown]
	s_waitcnt vmcnt(31)
	v_add_f64 v[120:121], v[120:121], v[186:187]
	s_waitcnt vmcnt(30)
	v_add_f64 v[122:123], v[188:189], v[122:123]
	;; [unrolled: 2-line block ×32, first 2 shown]
	scratch_store_b64 v80, v[120:121], off
	scratch_store_b64 v81, v[122:123], off
	;; [unrolled: 1-line block ×32, first 2 shown]
	v_mov_b32_e32 v80, 0x100
	v_mov_b32_e32 v81, 0x108
	;; [unrolled: 1-line block ×32, first 2 shown]
	s_cbranch_vccnz .LBB140_27
; %bb.28:
	v_dual_mov_b32 v81, 8 :: v_dual_add_nc_u32 v60, 0x800, v87
	ds_load_2addr_b64 v[0:3], v87 offset0:2 offset1:18
	ds_load_2addr_b64 v[4:7], v87 offset0:34 offset1:50
	;; [unrolled: 1-line block ×12, first 2 shown]
	v_dual_mov_b32 v83, 24 :: v_dual_add_nc_u32 v64, 16, v91
	ds_load_2addr_b64 v[48:51], v60 offset0:130 offset1:146
	ds_load_2addr_b64 v[52:55], v60 offset0:162 offset1:178
	;; [unrolled: 1-line block ×4, first 2 shown]
	ds_load_2addr_stride64_b64 v[64:67], v64 offset1:4
	v_dual_mov_b32 v80, 0 :: v_dual_mov_b32 v93, 40
	v_dual_mov_b32 v82, 16 :: v_dual_mov_b32 v95, 56
	;; [unrolled: 1-line block ×5, first 2 shown]
	v_mov_b32_e32 v98, 0x50
	v_mov_b32_e32 v100, 0x60
	;; [unrolled: 1-line block ×20, first 2 shown]
	s_mov_b64 s[6:7], 0
	s_mov_b32 s20, -1
.LBB140_29:                             ; =>This Inner Loop Header: Depth=1
	scratch_load_b64 v[120:121], v80, off
	scratch_load_b64 v[122:123], v81, off
	;; [unrolled: 1-line block ×32, first 2 shown]
	s_cmp_eq_u32 s6, 1
	s_waitcnt lgkmcnt(16)
	v_max_f64 v[186:187], v[0:1], v[0:1]
	s_cselect_b32 vcc_lo, -1, 0
	v_max_f64 v[188:189], v[2:3], v[2:3]
	s_waitcnt lgkmcnt(0)
	v_dual_cndmask_b32 v185, v65, v67 :: v_dual_cndmask_b32 v184, v64, v66
	v_max_f64 v[190:191], v[4:5], v[4:5]
	v_max_f64 v[192:193], v[6:7], v[6:7]
	;; [unrolled: 1-line block ×31, first 2 shown]
	s_mov_b64 s[6:7], 1
	s_and_b32 vcc_lo, exec_lo, s20
	s_mov_b32 s20, 0
	v_min_f64 v[186:187], v[186:187], v[184:185]
	v_min_f64 v[188:189], v[188:189], v[184:185]
	;; [unrolled: 1-line block ×32, first 2 shown]
	s_waitcnt vmcnt(31)
	v_add_f64 v[120:121], v[120:121], v[186:187]
	s_waitcnt vmcnt(30)
	v_add_f64 v[122:123], v[188:189], v[122:123]
	;; [unrolled: 2-line block ×32, first 2 shown]
	scratch_store_b64 v80, v[120:121], off
	scratch_store_b64 v81, v[122:123], off
	;; [unrolled: 1-line block ×32, first 2 shown]
	v_mov_b32_e32 v80, 0x100
	v_mov_b32_e32 v81, 0x108
	;; [unrolled: 1-line block ×32, first 2 shown]
	s_cbranch_vccnz .LBB140_29
; %bb.30:
	v_dual_mov_b32 v81, 8 :: v_dual_add_nc_u32 v60, 0x800, v87
	ds_load_2addr_b64 v[0:3], v87 offset0:3 offset1:19
	ds_load_2addr_b64 v[4:7], v87 offset0:35 offset1:51
	;; [unrolled: 1-line block ×12, first 2 shown]
	v_dual_mov_b32 v83, 24 :: v_dual_add_nc_u32 v64, 24, v91
	ds_load_2addr_b64 v[48:51], v60 offset0:131 offset1:147
	ds_load_2addr_b64 v[52:55], v60 offset0:163 offset1:179
	;; [unrolled: 1-line block ×4, first 2 shown]
	ds_load_2addr_stride64_b64 v[64:67], v64 offset1:4
	v_dual_mov_b32 v80, 0 :: v_dual_mov_b32 v93, 40
	v_dual_mov_b32 v82, 16 :: v_dual_mov_b32 v95, 56
	;; [unrolled: 1-line block ×5, first 2 shown]
	v_mov_b32_e32 v98, 0x50
	v_mov_b32_e32 v100, 0x60
	;; [unrolled: 1-line block ×20, first 2 shown]
	s_mov_b64 s[6:7], 0
	s_mov_b32 s20, -1
.LBB140_31:                             ; =>This Inner Loop Header: Depth=1
	scratch_load_b64 v[120:121], v80, off
	scratch_load_b64 v[122:123], v81, off
	;; [unrolled: 1-line block ×32, first 2 shown]
	s_cmp_eq_u32 s6, 1
	s_waitcnt lgkmcnt(16)
	v_max_f64 v[186:187], v[0:1], v[0:1]
	s_cselect_b32 vcc_lo, -1, 0
	v_max_f64 v[188:189], v[2:3], v[2:3]
	s_waitcnt lgkmcnt(0)
	v_dual_cndmask_b32 v185, v65, v67 :: v_dual_cndmask_b32 v184, v64, v66
	v_max_f64 v[190:191], v[4:5], v[4:5]
	v_max_f64 v[192:193], v[6:7], v[6:7]
	;; [unrolled: 1-line block ×31, first 2 shown]
	s_mov_b64 s[6:7], 1
	s_and_b32 vcc_lo, exec_lo, s20
	s_mov_b32 s20, 0
	v_min_f64 v[186:187], v[186:187], v[184:185]
	v_min_f64 v[188:189], v[188:189], v[184:185]
	v_min_f64 v[190:191], v[190:191], v[184:185]
	v_min_f64 v[192:193], v[192:193], v[184:185]
	v_min_f64 v[194:195], v[194:195], v[184:185]
	v_min_f64 v[196:197], v[196:197], v[184:185]
	v_min_f64 v[198:199], v[198:199], v[184:185]
	v_min_f64 v[200:201], v[200:201], v[184:185]
	v_min_f64 v[202:203], v[202:203], v[184:185]
	v_min_f64 v[204:205], v[204:205], v[184:185]
	v_min_f64 v[206:207], v[206:207], v[184:185]
	v_min_f64 v[208:209], v[208:209], v[184:185]
	v_min_f64 v[210:211], v[210:211], v[184:185]
	v_min_f64 v[212:213], v[212:213], v[184:185]
	v_min_f64 v[214:215], v[214:215], v[184:185]
	v_min_f64 v[216:217], v[216:217], v[184:185]
	v_min_f64 v[218:219], v[218:219], v[184:185]
	v_min_f64 v[220:221], v[220:221], v[184:185]
	v_min_f64 v[222:223], v[222:223], v[184:185]
	v_min_f64 v[224:225], v[224:225], v[184:185]
	v_min_f64 v[226:227], v[226:227], v[184:185]
	v_min_f64 v[228:229], v[228:229], v[184:185]
	v_min_f64 v[230:231], v[230:231], v[184:185]
	v_min_f64 v[232:233], v[232:233], v[184:185]
	v_min_f64 v[234:235], v[234:235], v[184:185]
	v_min_f64 v[236:237], v[236:237], v[184:185]
	v_min_f64 v[238:239], v[238:239], v[184:185]
	v_min_f64 v[240:241], v[240:241], v[184:185]
	v_min_f64 v[242:243], v[242:243], v[184:185]
	v_min_f64 v[244:245], v[244:245], v[184:185]
	v_min_f64 v[246:247], v[246:247], v[184:185]
	v_min_f64 v[184:185], v[248:249], v[184:185]
	s_waitcnt vmcnt(31)
	v_add_f64 v[120:121], v[120:121], v[186:187]
	s_waitcnt vmcnt(30)
	v_add_f64 v[122:123], v[188:189], v[122:123]
	;; [unrolled: 2-line block ×32, first 2 shown]
	scratch_store_b64 v80, v[120:121], off
	scratch_store_b64 v81, v[122:123], off
	;; [unrolled: 1-line block ×32, first 2 shown]
	v_mov_b32_e32 v80, 0x100
	v_mov_b32_e32 v81, 0x108
	;; [unrolled: 1-line block ×32, first 2 shown]
	s_cbranch_vccnz .LBB140_31
; %bb.32:
	s_cmp_gt_i32 s42, 8
	s_mov_b32 s20, 8
	ds_store_2addr_stride64_b64 v88, v[68:69], v[72:73] offset0:8 offset1:12
	ds_store_2addr_stride64_b64 v88, v[70:71], v[74:75] offset0:24 offset1:28
	s_waitcnt lgkmcnt(0)
	s_waitcnt_vscnt null, 0x0
	s_barrier
	buffer_gl0_inv
	s_cbranch_scc0 .LBB140_67
; %bb.33:
	v_mad_i64_i32 v[0:1], null, v76, s21, 0
	v_mad_i64_i32 v[2:3], null, v77, s21, 0
	;; [unrolled: 1-line block ×4, first 2 shown]
	v_lshl_add_u32 v94, v84, 5, 0x1000
	v_lshlrev_b64 v[68:69], 3, v[0:1]
	v_lshlrev_b64 v[70:71], 3, v[2:3]
	v_add_nc_u32_e32 v92, 0x1000, v88
	v_lshlrev_b64 v[72:73], 3, v[4:5]
	v_add_nc_u32_e32 v93, 0x3000, v88
	v_lshlrev_b64 v[74:75], 3, v[6:7]
	v_lshl_add_u32 v95, v85, 5, 0x3000
	v_add_nc_u32_e32 v96, 0x800, v94
	s_add_i32 s21, s42, -8
	s_mov_b32 s22, 0
.LBB140_34:                             ; =>This Loop Header: Depth=1
                                        ;     Child Loop BB140_43 Depth 2
                                        ;     Child Loop BB140_45 Depth 2
	;; [unrolled: 1-line block ×8, first 2 shown]
	v_or_b32_e32 v97, s20, v86
	v_mov_b32_e32 v76, 0
	v_mov_b32_e32 v77, 0
	s_delay_alu instid0(VALU_DEP_3) | instskip(SKIP_1) | instid1(VALU_DEP_3)
	v_min_i32_e32 v0, s19, v97
	v_cmp_le_i32_e32 vcc_lo, s42, v97
	v_dual_mov_b32 v79, v77 :: v_dual_mov_b32 v78, v76
	s_delay_alu instid0(VALU_DEP_3) | instskip(SKIP_1) | instid1(VALU_DEP_1)
	v_ashrrev_i32_e32 v1, 31, v0
	s_or_b32 s7, s2, vcc_lo
	v_lshlrev_b64 v[0:1], 3, v[0:1]
	s_delay_alu instid0(VALU_DEP_1) | instskip(NEXT) | instid1(VALU_DEP_1)
	v_add_co_u32 v2, s6, s16, v0
	v_add_co_ci_u32_e64 v3, s6, s17, v1, s6
	s_or_b32 s6, s18, s7
	s_delay_alu instid0(SALU_CYCLE_1) | instskip(NEXT) | instid1(SALU_CYCLE_1)
	s_xor_b32 s6, s6, -1
	s_and_saveexec_b32 s7, s6
	s_cbranch_execz .LBB140_36
; %bb.35:                               ;   in Loop: Header=BB140_34 Depth=1
	v_add_co_u32 v4, s6, v2, v68
	s_delay_alu instid0(VALU_DEP_1)
	v_add_co_ci_u32_e64 v5, s6, v3, v69, s6
	flat_load_b64 v[4:5], v[4:5]
	s_waitcnt vmcnt(0) lgkmcnt(0)
	v_mul_f64 v[78:79], v[4:5], s[8:9]
.LBB140_36:                             ;   in Loop: Header=BB140_34 Depth=1
	s_or_b32 exec_lo, exec_lo, s7
	s_or_b32 s6, s3, vcc_lo
	s_delay_alu instid0(SALU_CYCLE_1) | instskip(NEXT) | instid1(SALU_CYCLE_1)
	s_or_b32 s6, s18, s6
	s_xor_b32 s6, s6, -1
	s_delay_alu instid0(SALU_CYCLE_1)
	s_and_saveexec_b32 s7, s6
	s_cbranch_execz .LBB140_38
; %bb.37:                               ;   in Loop: Header=BB140_34 Depth=1
	v_add_co_u32 v2, s6, v2, v70
	s_delay_alu instid0(VALU_DEP_1)
	v_add_co_ci_u32_e64 v3, s6, v3, v71, s6
	flat_load_b64 v[2:3], v[2:3]
	s_waitcnt vmcnt(0) lgkmcnt(0)
	v_mul_f64 v[76:77], v[2:3], s[8:9]
.LBB140_38:                             ;   in Loop: Header=BB140_34 Depth=1
	s_or_b32 exec_lo, exec_lo, s7
	v_mov_b32_e32 v80, 0
	v_mov_b32_e32 v81, 0
	v_add_co_u32 v0, s6, s10, v0
	s_delay_alu instid0(VALU_DEP_1) | instskip(SKIP_1) | instid1(VALU_DEP_3)
	v_add_co_ci_u32_e64 v1, s6, s11, v1, s6
	s_or_b32 s6, s4, vcc_lo
	v_dual_mov_b32 v83, v81 :: v_dual_mov_b32 v82, v80
	s_or_b32 s6, s18, s6
	s_delay_alu instid0(SALU_CYCLE_1) | instskip(NEXT) | instid1(SALU_CYCLE_1)
	s_xor_b32 s6, s6, -1
	s_and_saveexec_b32 s7, s6
	s_cbranch_execz .LBB140_40
; %bb.39:                               ;   in Loop: Header=BB140_34 Depth=1
	v_add_co_u32 v2, s6, v0, v72
	s_delay_alu instid0(VALU_DEP_1)
	v_add_co_ci_u32_e64 v3, s6, v1, v73, s6
	flat_load_b64 v[2:3], v[2:3]
	s_waitcnt vmcnt(0) lgkmcnt(0)
	v_mul_f64 v[82:83], v[2:3], s[8:9]
.LBB140_40:                             ;   in Loop: Header=BB140_34 Depth=1
	s_or_b32 exec_lo, exec_lo, s7
	s_or_b32 s6, s5, vcc_lo
	s_delay_alu instid0(SALU_CYCLE_1) | instskip(NEXT) | instid1(SALU_CYCLE_1)
	s_or_b32 s6, s18, s6
	s_xor_b32 s7, s6, -1
	s_delay_alu instid0(SALU_CYCLE_1)
	s_and_saveexec_b32 s6, s7
	s_cbranch_execz .LBB140_42
; %bb.41:                               ;   in Loop: Header=BB140_34 Depth=1
	v_add_co_u32 v0, vcc_lo, v0, v74
	v_add_co_ci_u32_e32 v1, vcc_lo, v1, v75, vcc_lo
	flat_load_b64 v[0:1], v[0:1]
	s_waitcnt vmcnt(0) lgkmcnt(0)
	v_mul_f64 v[80:81], v[0:1], s[8:9]
.LBB140_42:                             ;   in Loop: Header=BB140_34 Depth=1
	s_or_b32 exec_lo, exec_lo, s6
	ds_load_2addr_b64 v[0:3], v94 offset1:16
	ds_load_2addr_b64 v[4:7], v94 offset0:32 offset1:48
	ds_load_2addr_b64 v[8:11], v94 offset0:64 offset1:80
	;; [unrolled: 1-line block ×7, first 2 shown]
	ds_load_2addr_b64 v[32:35], v96 offset1:16
	ds_load_2addr_b64 v[36:39], v96 offset0:32 offset1:48
	ds_load_2addr_b64 v[40:43], v96 offset0:64 offset1:80
	;; [unrolled: 1-line block ×7, first 2 shown]
	ds_load_2addr_stride64_b64 v[64:67], v95 offset1:4
	v_dual_mov_b32 v129, 0 :: v_dual_mov_b32 v128, 8
	v_dual_mov_b32 v127, 16 :: v_dual_mov_b32 v126, 24
	;; [unrolled: 1-line block ×5, first 2 shown]
	v_mov_b32_e32 v119, 0x50
	v_mov_b32_e32 v118, 0x58
	v_mov_b32_e32 v117, 0x60
	v_mov_b32_e32 v116, 0x68
	v_mov_b32_e32 v115, 0x70
	v_mov_b32_e32 v114, 0x78
	v_mov_b32_e32 v113, 0x80
	v_mov_b32_e32 v112, 0x88
	v_mov_b32_e32 v111, 0x90
	v_mov_b32_e32 v110, 0x98
	v_mov_b32_e32 v109, 0xa0
	v_mov_b32_e32 v108, 0xa8
	v_mov_b32_e32 v107, 0xb0
	v_mov_b32_e32 v106, 0xb8
	v_mov_b32_e32 v105, 0xc0
	v_mov_b32_e32 v104, 0xc8
	v_mov_b32_e32 v103, 0xd0
	v_mov_b32_e32 v102, 0xd8
	v_mov_b32_e32 v101, 0xe0
	v_mov_b32_e32 v100, 0xe8
	v_mov_b32_e32 v99, 0xf0
	v_mov_b32_e32 v98, 0xf8
	s_mov_b64 s[6:7], 0
	s_mov_b32 s23, -1
.LBB140_43:                             ;   Parent Loop BB140_34 Depth=1
                                        ; =>  This Inner Loop Header: Depth=2
	scratch_load_b64 v[134:135], v129, off
	s_cmp_eq_u32 s6, 1
	s_waitcnt lgkmcnt(16)
	v_max_f64 v[132:133], v[0:1], v[0:1]
	s_cselect_b32 vcc_lo, -1, 0
	s_mov_b64 s[6:7], 1
	s_waitcnt lgkmcnt(0)
	v_dual_cndmask_b32 v131, v65, v67 :: v_dual_cndmask_b32 v130, v64, v66
	s_and_b32 vcc_lo, exec_lo, s23
	s_mov_b32 s23, 0
	s_delay_alu instid0(VALU_DEP_1) | instskip(NEXT) | instid1(VALU_DEP_1)
	v_max_f64 v[130:131], v[130:131], v[130:131]
	v_min_f64 v[132:133], v[132:133], v[130:131]
	s_waitcnt vmcnt(0)
	s_delay_alu instid0(VALU_DEP_1) | instskip(SKIP_3) | instid1(VALU_DEP_1)
	v_add_f64 v[132:133], v[134:135], v[132:133]
	scratch_load_b64 v[134:135], v128, off
	scratch_store_b64 v129, v[132:133], off
	v_max_f64 v[132:133], v[2:3], v[2:3]
	v_min_f64 v[132:133], v[132:133], v[130:131]
	s_waitcnt vmcnt(0)
	s_delay_alu instid0(VALU_DEP_1) | instskip(SKIP_3) | instid1(VALU_DEP_1)
	v_add_f64 v[132:133], v[132:133], v[134:135]
	scratch_store_b64 v128, v[132:133], off
	scratch_load_b64 v[132:133], v127, off
	v_max_f64 v[128:129], v[4:5], v[4:5]
	v_min_f64 v[128:129], v[128:129], v[130:131]
	s_waitcnt vmcnt(0)
	s_delay_alu instid0(VALU_DEP_1) | instskip(SKIP_3) | instid1(VALU_DEP_1)
	v_add_f64 v[128:129], v[128:129], v[132:133]
	scratch_load_b64 v[132:133], v126, off
	scratch_store_b64 v127, v[128:129], off
	v_max_f64 v[127:128], v[6:7], v[6:7]
	v_min_f64 v[127:128], v[127:128], v[130:131]
	s_waitcnt vmcnt(0)
	s_delay_alu instid0(VALU_DEP_1) | instskip(SKIP_3) | instid1(VALU_DEP_1)
	v_add_f64 v[127:128], v[127:128], v[132:133]
	scratch_store_b64 v126, v[127:128], off
	scratch_load_b64 v[128:129], v125, off
	v_max_f64 v[126:127], v[8:9], v[8:9]
	v_min_f64 v[126:127], v[126:127], v[130:131]
	s_waitcnt vmcnt(0)
	s_delay_alu instid0(VALU_DEP_1) | instskip(SKIP_4) | instid1(VALU_DEP_1)
	v_add_f64 v[126:127], v[126:127], v[128:129]
	v_mov_b32_e32 v129, 0x100
	scratch_store_b64 v125, v[126:127], off
	scratch_load_b64 v[127:128], v124, off
	v_max_f64 v[125:126], v[10:11], v[10:11]
	v_min_f64 v[125:126], v[125:126], v[130:131]
	s_waitcnt vmcnt(0)
	s_delay_alu instid0(VALU_DEP_1) | instskip(SKIP_4) | instid1(VALU_DEP_1)
	v_add_f64 v[125:126], v[125:126], v[127:128]
	v_mov_b32_e32 v128, 0x108
	;; [unrolled: 8-line block ×27, first 2 shown]
	scratch_store_b64 v99, v[100:101], off
	scratch_load_b64 v[101:102], v98, off
	v_max_f64 v[99:100], v[62:63], v[62:63]
	v_min_f64 v[99:100], v[99:100], v[130:131]
	s_waitcnt vmcnt(0)
	s_delay_alu instid0(VALU_DEP_1)
	v_add_f64 v[99:100], v[99:100], v[101:102]
	v_mov_b32_e32 v102, 0x1d8
	v_mov_b32_e32 v101, 0x1e0
	scratch_store_b64 v98, v[99:100], off
	v_mov_b32_e32 v100, 0x1e8
	v_mov_b32_e32 v99, 0x1f0
	;; [unrolled: 1-line block ×3, first 2 shown]
	s_cbranch_vccnz .LBB140_43
; %bb.44:                               ;   in Loop: Header=BB140_34 Depth=1
	ds_load_2addr_b64 v[0:3], v94 offset0:1 offset1:17
	ds_load_2addr_b64 v[4:7], v94 offset0:33 offset1:49
	;; [unrolled: 1-line block ×12, first 2 shown]
	v_dual_mov_b32 v129, 0 :: v_dual_add_nc_u32 v64, 8, v95
	ds_load_2addr_b64 v[48:51], v96 offset0:129 offset1:145
	ds_load_2addr_b64 v[52:55], v96 offset0:161 offset1:177
	;; [unrolled: 1-line block ×4, first 2 shown]
	ds_load_2addr_stride64_b64 v[64:67], v64 offset1:4
	v_dual_mov_b32 v128, 8 :: v_dual_mov_b32 v127, 16
	v_dual_mov_b32 v126, 24 :: v_dual_mov_b32 v125, 32
	;; [unrolled: 1-line block ×4, first 2 shown]
	v_mov_b32_e32 v120, 0x48
	v_mov_b32_e32 v119, 0x50
	v_mov_b32_e32 v118, 0x58
	v_mov_b32_e32 v117, 0x60
	v_mov_b32_e32 v116, 0x68
	v_mov_b32_e32 v115, 0x70
	v_mov_b32_e32 v114, 0x78
	v_mov_b32_e32 v113, 0x80
	v_mov_b32_e32 v112, 0x88
	v_mov_b32_e32 v111, 0x90
	v_mov_b32_e32 v110, 0x98
	v_mov_b32_e32 v109, 0xa0
	v_mov_b32_e32 v108, 0xa8
	v_mov_b32_e32 v107, 0xb0
	v_mov_b32_e32 v106, 0xb8
	v_mov_b32_e32 v105, 0xc0
	v_mov_b32_e32 v104, 0xc8
	v_mov_b32_e32 v103, 0xd0
	v_mov_b32_e32 v102, 0xd8
	v_mov_b32_e32 v101, 0xe0
	v_mov_b32_e32 v100, 0xe8
	v_mov_b32_e32 v99, 0xf0
	v_mov_b32_e32 v98, 0xf8
	s_mov_b64 s[6:7], 0
	s_mov_b32 s23, -1
.LBB140_45:                             ;   Parent Loop BB140_34 Depth=1
                                        ; =>  This Inner Loop Header: Depth=2
	scratch_load_b64 v[134:135], v129, off
	s_cmp_eq_u32 s6, 1
	s_waitcnt lgkmcnt(16)
	v_max_f64 v[132:133], v[0:1], v[0:1]
	s_cselect_b32 vcc_lo, -1, 0
	s_mov_b64 s[6:7], 1
	s_waitcnt lgkmcnt(0)
	v_dual_cndmask_b32 v131, v65, v67 :: v_dual_cndmask_b32 v130, v64, v66
	s_and_b32 vcc_lo, exec_lo, s23
	s_mov_b32 s23, 0
	s_delay_alu instid0(VALU_DEP_1) | instskip(NEXT) | instid1(VALU_DEP_1)
	v_max_f64 v[130:131], v[130:131], v[130:131]
	v_min_f64 v[132:133], v[132:133], v[130:131]
	s_waitcnt vmcnt(0)
	s_delay_alu instid0(VALU_DEP_1) | instskip(SKIP_3) | instid1(VALU_DEP_1)
	v_add_f64 v[132:133], v[134:135], v[132:133]
	scratch_load_b64 v[134:135], v128, off
	scratch_store_b64 v129, v[132:133], off
	v_max_f64 v[132:133], v[2:3], v[2:3]
	v_min_f64 v[132:133], v[132:133], v[130:131]
	s_waitcnt vmcnt(0)
	s_delay_alu instid0(VALU_DEP_1) | instskip(SKIP_3) | instid1(VALU_DEP_1)
	v_add_f64 v[132:133], v[132:133], v[134:135]
	scratch_store_b64 v128, v[132:133], off
	scratch_load_b64 v[132:133], v127, off
	v_max_f64 v[128:129], v[4:5], v[4:5]
	v_min_f64 v[128:129], v[128:129], v[130:131]
	s_waitcnt vmcnt(0)
	s_delay_alu instid0(VALU_DEP_1) | instskip(SKIP_3) | instid1(VALU_DEP_1)
	v_add_f64 v[128:129], v[128:129], v[132:133]
	scratch_load_b64 v[132:133], v126, off
	scratch_store_b64 v127, v[128:129], off
	v_max_f64 v[127:128], v[6:7], v[6:7]
	v_min_f64 v[127:128], v[127:128], v[130:131]
	s_waitcnt vmcnt(0)
	s_delay_alu instid0(VALU_DEP_1) | instskip(SKIP_3) | instid1(VALU_DEP_1)
	v_add_f64 v[127:128], v[127:128], v[132:133]
	scratch_store_b64 v126, v[127:128], off
	scratch_load_b64 v[128:129], v125, off
	v_max_f64 v[126:127], v[8:9], v[8:9]
	v_min_f64 v[126:127], v[126:127], v[130:131]
	s_waitcnt vmcnt(0)
	s_delay_alu instid0(VALU_DEP_1) | instskip(SKIP_4) | instid1(VALU_DEP_1)
	v_add_f64 v[126:127], v[126:127], v[128:129]
	v_mov_b32_e32 v129, 0x100
	scratch_store_b64 v125, v[126:127], off
	scratch_load_b64 v[127:128], v124, off
	v_max_f64 v[125:126], v[10:11], v[10:11]
	v_min_f64 v[125:126], v[125:126], v[130:131]
	s_waitcnt vmcnt(0)
	s_delay_alu instid0(VALU_DEP_1) | instskip(SKIP_4) | instid1(VALU_DEP_1)
	v_add_f64 v[125:126], v[125:126], v[127:128]
	v_mov_b32_e32 v128, 0x108
	;; [unrolled: 8-line block ×27, first 2 shown]
	scratch_store_b64 v99, v[100:101], off
	scratch_load_b64 v[101:102], v98, off
	v_max_f64 v[99:100], v[62:63], v[62:63]
	v_min_f64 v[99:100], v[99:100], v[130:131]
	s_waitcnt vmcnt(0)
	s_delay_alu instid0(VALU_DEP_1)
	v_add_f64 v[99:100], v[99:100], v[101:102]
	v_mov_b32_e32 v102, 0x1d8
	v_mov_b32_e32 v101, 0x1e0
	scratch_store_b64 v98, v[99:100], off
	v_mov_b32_e32 v100, 0x1e8
	v_mov_b32_e32 v99, 0x1f0
	;; [unrolled: 1-line block ×3, first 2 shown]
	s_cbranch_vccnz .LBB140_45
; %bb.46:                               ;   in Loop: Header=BB140_34 Depth=1
	ds_load_2addr_b64 v[0:3], v94 offset0:2 offset1:18
	ds_load_2addr_b64 v[4:7], v94 offset0:34 offset1:50
	;; [unrolled: 1-line block ×12, first 2 shown]
	v_dual_mov_b32 v129, 0 :: v_dual_add_nc_u32 v64, 16, v95
	ds_load_2addr_b64 v[48:51], v96 offset0:130 offset1:146
	ds_load_2addr_b64 v[52:55], v96 offset0:162 offset1:178
	;; [unrolled: 1-line block ×4, first 2 shown]
	ds_load_2addr_stride64_b64 v[64:67], v64 offset1:4
	v_dual_mov_b32 v128, 8 :: v_dual_mov_b32 v127, 16
	v_dual_mov_b32 v126, 24 :: v_dual_mov_b32 v125, 32
	v_dual_mov_b32 v124, 40 :: v_dual_mov_b32 v123, 48
	v_dual_mov_b32 v122, 56 :: v_dual_mov_b32 v121, 64
	v_mov_b32_e32 v120, 0x48
	v_mov_b32_e32 v119, 0x50
	;; [unrolled: 1-line block ×23, first 2 shown]
	s_mov_b64 s[6:7], 0
	s_mov_b32 s23, -1
.LBB140_47:                             ;   Parent Loop BB140_34 Depth=1
                                        ; =>  This Inner Loop Header: Depth=2
	scratch_load_b64 v[134:135], v129, off
	s_cmp_eq_u32 s6, 1
	s_waitcnt lgkmcnt(16)
	v_max_f64 v[132:133], v[0:1], v[0:1]
	s_cselect_b32 vcc_lo, -1, 0
	s_mov_b64 s[6:7], 1
	s_waitcnt lgkmcnt(0)
	v_dual_cndmask_b32 v131, v65, v67 :: v_dual_cndmask_b32 v130, v64, v66
	s_and_b32 vcc_lo, exec_lo, s23
	s_mov_b32 s23, 0
	s_delay_alu instid0(VALU_DEP_1) | instskip(NEXT) | instid1(VALU_DEP_1)
	v_max_f64 v[130:131], v[130:131], v[130:131]
	v_min_f64 v[132:133], v[132:133], v[130:131]
	s_waitcnt vmcnt(0)
	s_delay_alu instid0(VALU_DEP_1) | instskip(SKIP_3) | instid1(VALU_DEP_1)
	v_add_f64 v[132:133], v[134:135], v[132:133]
	scratch_load_b64 v[134:135], v128, off
	scratch_store_b64 v129, v[132:133], off
	v_max_f64 v[132:133], v[2:3], v[2:3]
	v_min_f64 v[132:133], v[132:133], v[130:131]
	s_waitcnt vmcnt(0)
	s_delay_alu instid0(VALU_DEP_1) | instskip(SKIP_3) | instid1(VALU_DEP_1)
	v_add_f64 v[132:133], v[132:133], v[134:135]
	scratch_store_b64 v128, v[132:133], off
	scratch_load_b64 v[132:133], v127, off
	v_max_f64 v[128:129], v[4:5], v[4:5]
	v_min_f64 v[128:129], v[128:129], v[130:131]
	s_waitcnt vmcnt(0)
	s_delay_alu instid0(VALU_DEP_1) | instskip(SKIP_3) | instid1(VALU_DEP_1)
	v_add_f64 v[128:129], v[128:129], v[132:133]
	scratch_load_b64 v[132:133], v126, off
	scratch_store_b64 v127, v[128:129], off
	v_max_f64 v[127:128], v[6:7], v[6:7]
	v_min_f64 v[127:128], v[127:128], v[130:131]
	s_waitcnt vmcnt(0)
	s_delay_alu instid0(VALU_DEP_1) | instskip(SKIP_3) | instid1(VALU_DEP_1)
	v_add_f64 v[127:128], v[127:128], v[132:133]
	scratch_store_b64 v126, v[127:128], off
	scratch_load_b64 v[128:129], v125, off
	v_max_f64 v[126:127], v[8:9], v[8:9]
	v_min_f64 v[126:127], v[126:127], v[130:131]
	s_waitcnt vmcnt(0)
	s_delay_alu instid0(VALU_DEP_1) | instskip(SKIP_4) | instid1(VALU_DEP_1)
	v_add_f64 v[126:127], v[126:127], v[128:129]
	v_mov_b32_e32 v129, 0x100
	scratch_store_b64 v125, v[126:127], off
	scratch_load_b64 v[127:128], v124, off
	v_max_f64 v[125:126], v[10:11], v[10:11]
	v_min_f64 v[125:126], v[125:126], v[130:131]
	s_waitcnt vmcnt(0)
	s_delay_alu instid0(VALU_DEP_1) | instskip(SKIP_4) | instid1(VALU_DEP_1)
	v_add_f64 v[125:126], v[125:126], v[127:128]
	v_mov_b32_e32 v128, 0x108
	;; [unrolled: 8-line block ×27, first 2 shown]
	scratch_store_b64 v99, v[100:101], off
	scratch_load_b64 v[101:102], v98, off
	v_max_f64 v[99:100], v[62:63], v[62:63]
	v_min_f64 v[99:100], v[99:100], v[130:131]
	s_waitcnt vmcnt(0)
	s_delay_alu instid0(VALU_DEP_1)
	v_add_f64 v[99:100], v[99:100], v[101:102]
	v_mov_b32_e32 v102, 0x1d8
	v_mov_b32_e32 v101, 0x1e0
	scratch_store_b64 v98, v[99:100], off
	v_mov_b32_e32 v100, 0x1e8
	v_mov_b32_e32 v99, 0x1f0
	v_mov_b32_e32 v98, 0x1f8
	s_cbranch_vccnz .LBB140_47
; %bb.48:                               ;   in Loop: Header=BB140_34 Depth=1
	ds_load_2addr_b64 v[0:3], v94 offset0:3 offset1:19
	ds_load_2addr_b64 v[4:7], v94 offset0:35 offset1:51
	;; [unrolled: 1-line block ×12, first 2 shown]
	v_dual_mov_b32 v129, 0 :: v_dual_add_nc_u32 v64, 24, v95
	ds_load_2addr_b64 v[48:51], v96 offset0:131 offset1:147
	ds_load_2addr_b64 v[52:55], v96 offset0:163 offset1:179
	;; [unrolled: 1-line block ×4, first 2 shown]
	ds_load_2addr_stride64_b64 v[64:67], v64 offset1:4
	v_dual_mov_b32 v128, 8 :: v_dual_mov_b32 v127, 16
	v_dual_mov_b32 v126, 24 :: v_dual_mov_b32 v125, 32
	;; [unrolled: 1-line block ×4, first 2 shown]
	v_mov_b32_e32 v120, 0x48
	v_mov_b32_e32 v119, 0x50
	;; [unrolled: 1-line block ×23, first 2 shown]
	s_mov_b64 s[6:7], 0
	s_mov_b32 s23, -1
.LBB140_49:                             ;   Parent Loop BB140_34 Depth=1
                                        ; =>  This Inner Loop Header: Depth=2
	scratch_load_b64 v[134:135], v129, off
	s_cmp_eq_u32 s6, 1
	s_waitcnt lgkmcnt(16)
	v_max_f64 v[132:133], v[0:1], v[0:1]
	s_cselect_b32 vcc_lo, -1, 0
	s_mov_b64 s[6:7], 1
	s_waitcnt lgkmcnt(0)
	v_dual_cndmask_b32 v131, v65, v67 :: v_dual_cndmask_b32 v130, v64, v66
	s_and_b32 vcc_lo, exec_lo, s23
	s_mov_b32 s23, 0
	s_delay_alu instid0(VALU_DEP_1) | instskip(NEXT) | instid1(VALU_DEP_1)
	v_max_f64 v[130:131], v[130:131], v[130:131]
	v_min_f64 v[132:133], v[132:133], v[130:131]
	s_waitcnt vmcnt(0)
	s_delay_alu instid0(VALU_DEP_1) | instskip(SKIP_3) | instid1(VALU_DEP_1)
	v_add_f64 v[132:133], v[134:135], v[132:133]
	scratch_load_b64 v[134:135], v128, off
	scratch_store_b64 v129, v[132:133], off
	v_max_f64 v[132:133], v[2:3], v[2:3]
	v_min_f64 v[132:133], v[132:133], v[130:131]
	s_waitcnt vmcnt(0)
	s_delay_alu instid0(VALU_DEP_1) | instskip(SKIP_3) | instid1(VALU_DEP_1)
	v_add_f64 v[132:133], v[132:133], v[134:135]
	scratch_store_b64 v128, v[132:133], off
	scratch_load_b64 v[132:133], v127, off
	v_max_f64 v[128:129], v[4:5], v[4:5]
	v_min_f64 v[128:129], v[128:129], v[130:131]
	s_waitcnt vmcnt(0)
	s_delay_alu instid0(VALU_DEP_1) | instskip(SKIP_3) | instid1(VALU_DEP_1)
	v_add_f64 v[128:129], v[128:129], v[132:133]
	scratch_load_b64 v[132:133], v126, off
	scratch_store_b64 v127, v[128:129], off
	v_max_f64 v[127:128], v[6:7], v[6:7]
	v_min_f64 v[127:128], v[127:128], v[130:131]
	s_waitcnt vmcnt(0)
	s_delay_alu instid0(VALU_DEP_1) | instskip(SKIP_3) | instid1(VALU_DEP_1)
	v_add_f64 v[127:128], v[127:128], v[132:133]
	scratch_store_b64 v126, v[127:128], off
	scratch_load_b64 v[128:129], v125, off
	v_max_f64 v[126:127], v[8:9], v[8:9]
	v_min_f64 v[126:127], v[126:127], v[130:131]
	s_waitcnt vmcnt(0)
	s_delay_alu instid0(VALU_DEP_1) | instskip(SKIP_4) | instid1(VALU_DEP_1)
	v_add_f64 v[126:127], v[126:127], v[128:129]
	v_mov_b32_e32 v129, 0x100
	scratch_store_b64 v125, v[126:127], off
	scratch_load_b64 v[127:128], v124, off
	v_max_f64 v[125:126], v[10:11], v[10:11]
	v_min_f64 v[125:126], v[125:126], v[130:131]
	s_waitcnt vmcnt(0)
	s_delay_alu instid0(VALU_DEP_1) | instskip(SKIP_4) | instid1(VALU_DEP_1)
	v_add_f64 v[125:126], v[125:126], v[127:128]
	v_mov_b32_e32 v128, 0x108
	;; [unrolled: 8-line block ×27, first 2 shown]
	scratch_store_b64 v99, v[100:101], off
	scratch_load_b64 v[101:102], v98, off
	v_max_f64 v[99:100], v[62:63], v[62:63]
	v_min_f64 v[99:100], v[99:100], v[130:131]
	s_waitcnt vmcnt(0)
	s_delay_alu instid0(VALU_DEP_1)
	v_add_f64 v[99:100], v[99:100], v[101:102]
	v_mov_b32_e32 v102, 0x1d8
	v_mov_b32_e32 v101, 0x1e0
	scratch_store_b64 v98, v[99:100], off
	v_mov_b32_e32 v100, 0x1e8
	v_mov_b32_e32 v99, 0x1f0
	;; [unrolled: 1-line block ×3, first 2 shown]
	s_cbranch_vccnz .LBB140_49
; %bb.50:                               ;   in Loop: Header=BB140_34 Depth=1
	v_or_b32_e32 v2, 4, v97
	ds_store_2addr_stride64_b64 v88, v[78:79], v[76:77] offset1:4
	v_mov_b32_e32 v76, 0
	v_mov_b32_e32 v77, 0
	ds_store_2addr_stride64_b64 v90, v[82:83], v[80:81] offset1:4
	v_min_i32_e32 v0, s19, v2
	v_cmp_le_i32_e32 vcc_lo, s42, v2
	s_waitcnt lgkmcnt(0)
	s_waitcnt_vscnt null, 0x0
	v_dual_mov_b32 v79, v77 :: v_dual_mov_b32 v78, v76
	v_ashrrev_i32_e32 v1, 31, v0
	s_or_b32 s7, s2, vcc_lo
	s_barrier
	buffer_gl0_inv
	v_lshlrev_b64 v[0:1], 3, v[0:1]
	s_delay_alu instid0(VALU_DEP_1) | instskip(NEXT) | instid1(VALU_DEP_1)
	v_add_co_u32 v2, s6, s16, v0
	v_add_co_ci_u32_e64 v3, s6, s17, v1, s6
	s_or_b32 s6, s18, s7
	s_delay_alu instid0(SALU_CYCLE_1) | instskip(NEXT) | instid1(SALU_CYCLE_1)
	s_xor_b32 s6, s6, -1
	s_and_saveexec_b32 s7, s6
	s_delay_alu instid0(SALU_CYCLE_1)
	s_xor_b32 s7, exec_lo, s7
	s_cbranch_execz .LBB140_52
; %bb.51:                               ;   in Loop: Header=BB140_34 Depth=1
	v_add_co_u32 v4, s6, v2, v68
	s_delay_alu instid0(VALU_DEP_1)
	v_add_co_ci_u32_e64 v5, s6, v3, v69, s6
	flat_load_b64 v[4:5], v[4:5]
	s_waitcnt vmcnt(0) lgkmcnt(0)
	v_mul_f64 v[78:79], v[4:5], s[8:9]
.LBB140_52:                             ;   in Loop: Header=BB140_34 Depth=1
	s_or_b32 exec_lo, exec_lo, s7
	s_or_b32 s6, s3, vcc_lo
	s_delay_alu instid0(SALU_CYCLE_1) | instskip(NEXT) | instid1(SALU_CYCLE_1)
	s_or_b32 s6, s18, s6
	s_xor_b32 s6, s6, -1
	s_delay_alu instid0(SALU_CYCLE_1)
	s_and_saveexec_b32 s7, s6
	s_cbranch_execz .LBB140_54
; %bb.53:                               ;   in Loop: Header=BB140_34 Depth=1
	v_add_co_u32 v2, s6, v2, v70
	s_delay_alu instid0(VALU_DEP_1)
	v_add_co_ci_u32_e64 v3, s6, v3, v71, s6
	flat_load_b64 v[2:3], v[2:3]
	s_waitcnt vmcnt(0) lgkmcnt(0)
	v_mul_f64 v[76:77], v[2:3], s[8:9]
.LBB140_54:                             ;   in Loop: Header=BB140_34 Depth=1
	s_or_b32 exec_lo, exec_lo, s7
	v_mov_b32_e32 v80, 0
	v_mov_b32_e32 v81, 0
	v_add_co_u32 v0, s6, s10, v0
	s_delay_alu instid0(VALU_DEP_1) | instskip(SKIP_1) | instid1(VALU_DEP_3)
	v_add_co_ci_u32_e64 v1, s6, s11, v1, s6
	s_or_b32 s6, s4, vcc_lo
	v_dual_mov_b32 v83, v81 :: v_dual_mov_b32 v82, v80
	s_or_b32 s6, s18, s6
	s_delay_alu instid0(SALU_CYCLE_1) | instskip(NEXT) | instid1(SALU_CYCLE_1)
	s_xor_b32 s6, s6, -1
	s_and_saveexec_b32 s7, s6
	s_cbranch_execz .LBB140_56
; %bb.55:                               ;   in Loop: Header=BB140_34 Depth=1
	v_add_co_u32 v2, s6, v0, v72
	s_delay_alu instid0(VALU_DEP_1)
	v_add_co_ci_u32_e64 v3, s6, v1, v73, s6
	flat_load_b64 v[2:3], v[2:3]
	s_waitcnt vmcnt(0) lgkmcnt(0)
	v_mul_f64 v[82:83], v[2:3], s[8:9]
.LBB140_56:                             ;   in Loop: Header=BB140_34 Depth=1
	s_or_b32 exec_lo, exec_lo, s7
	s_or_b32 s6, s5, vcc_lo
	s_delay_alu instid0(SALU_CYCLE_1) | instskip(NEXT) | instid1(SALU_CYCLE_1)
	s_or_b32 s6, s18, s6
	s_xor_b32 s7, s6, -1
	s_delay_alu instid0(SALU_CYCLE_1)
	s_and_saveexec_b32 s6, s7
	s_cbranch_execz .LBB140_58
; %bb.57:                               ;   in Loop: Header=BB140_34 Depth=1
	v_add_co_u32 v0, vcc_lo, v0, v74
	v_add_co_ci_u32_e32 v1, vcc_lo, v1, v75, vcc_lo
	flat_load_b64 v[0:1], v[0:1]
	s_waitcnt vmcnt(0) lgkmcnt(0)
	v_mul_f64 v[80:81], v[0:1], s[8:9]
.LBB140_58:                             ;   in Loop: Header=BB140_34 Depth=1
	s_or_b32 exec_lo, exec_lo, s6
	v_dual_mov_b32 v128, 8 :: v_dual_add_nc_u32 v97, 0x800, v87
	ds_load_2addr_b64 v[0:3], v87 offset1:16
	ds_load_2addr_b64 v[4:7], v87 offset0:32 offset1:48
	ds_load_2addr_b64 v[8:11], v87 offset0:64 offset1:80
	;; [unrolled: 1-line block ×7, first 2 shown]
	ds_load_2addr_b64 v[32:35], v97 offset1:16
	ds_load_2addr_b64 v[36:39], v97 offset0:32 offset1:48
	ds_load_2addr_b64 v[40:43], v97 offset0:64 offset1:80
	;; [unrolled: 1-line block ×7, first 2 shown]
	ds_load_2addr_stride64_b64 v[64:67], v91 offset1:4
	v_dual_mov_b32 v129, 0 :: v_dual_mov_b32 v126, 24
	v_dual_mov_b32 v127, 16 :: v_dual_mov_b32 v124, 40
	;; [unrolled: 1-line block ×5, first 2 shown]
	v_mov_b32_e32 v119, 0x50
	v_mov_b32_e32 v117, 0x60
	;; [unrolled: 1-line block ×21, first 2 shown]
	s_mov_b64 s[6:7], 0
	s_mov_b32 s23, -1
.LBB140_59:                             ;   Parent Loop BB140_34 Depth=1
                                        ; =>  This Inner Loop Header: Depth=2
	scratch_load_b64 v[134:135], v129, off
	s_cmp_eq_u32 s6, 1
	s_waitcnt lgkmcnt(16)
	v_max_f64 v[132:133], v[0:1], v[0:1]
	s_cselect_b32 vcc_lo, -1, 0
	s_mov_b64 s[6:7], 1
	s_waitcnt lgkmcnt(0)
	v_dual_cndmask_b32 v131, v65, v67 :: v_dual_cndmask_b32 v130, v64, v66
	s_and_b32 vcc_lo, exec_lo, s23
	s_mov_b32 s23, 0
	s_delay_alu instid0(VALU_DEP_1) | instskip(NEXT) | instid1(VALU_DEP_1)
	v_max_f64 v[130:131], v[130:131], v[130:131]
	v_min_f64 v[132:133], v[132:133], v[130:131]
	s_waitcnt vmcnt(0)
	s_delay_alu instid0(VALU_DEP_1) | instskip(SKIP_3) | instid1(VALU_DEP_1)
	v_add_f64 v[132:133], v[134:135], v[132:133]
	scratch_load_b64 v[134:135], v128, off
	scratch_store_b64 v129, v[132:133], off
	v_max_f64 v[132:133], v[2:3], v[2:3]
	v_min_f64 v[132:133], v[132:133], v[130:131]
	s_waitcnt vmcnt(0)
	s_delay_alu instid0(VALU_DEP_1) | instskip(SKIP_3) | instid1(VALU_DEP_1)
	v_add_f64 v[132:133], v[132:133], v[134:135]
	scratch_store_b64 v128, v[132:133], off
	scratch_load_b64 v[132:133], v127, off
	v_max_f64 v[128:129], v[4:5], v[4:5]
	v_min_f64 v[128:129], v[128:129], v[130:131]
	s_waitcnt vmcnt(0)
	s_delay_alu instid0(VALU_DEP_1) | instskip(SKIP_3) | instid1(VALU_DEP_1)
	v_add_f64 v[128:129], v[128:129], v[132:133]
	scratch_load_b64 v[132:133], v126, off
	scratch_store_b64 v127, v[128:129], off
	v_max_f64 v[127:128], v[6:7], v[6:7]
	v_min_f64 v[127:128], v[127:128], v[130:131]
	s_waitcnt vmcnt(0)
	s_delay_alu instid0(VALU_DEP_1) | instskip(SKIP_3) | instid1(VALU_DEP_1)
	v_add_f64 v[127:128], v[127:128], v[132:133]
	scratch_store_b64 v126, v[127:128], off
	scratch_load_b64 v[128:129], v125, off
	v_max_f64 v[126:127], v[8:9], v[8:9]
	v_min_f64 v[126:127], v[126:127], v[130:131]
	s_waitcnt vmcnt(0)
	s_delay_alu instid0(VALU_DEP_1) | instskip(SKIP_4) | instid1(VALU_DEP_1)
	v_add_f64 v[126:127], v[126:127], v[128:129]
	v_mov_b32_e32 v129, 0x100
	scratch_store_b64 v125, v[126:127], off
	scratch_load_b64 v[127:128], v124, off
	v_max_f64 v[125:126], v[10:11], v[10:11]
	v_min_f64 v[125:126], v[125:126], v[130:131]
	s_waitcnt vmcnt(0)
	s_delay_alu instid0(VALU_DEP_1) | instskip(SKIP_4) | instid1(VALU_DEP_1)
	v_add_f64 v[125:126], v[125:126], v[127:128]
	v_mov_b32_e32 v128, 0x108
	;; [unrolled: 8-line block ×27, first 2 shown]
	scratch_store_b64 v99, v[100:101], off
	scratch_load_b64 v[101:102], v98, off
	v_max_f64 v[99:100], v[62:63], v[62:63]
	v_min_f64 v[99:100], v[99:100], v[130:131]
	s_waitcnt vmcnt(0)
	s_delay_alu instid0(VALU_DEP_1)
	v_add_f64 v[99:100], v[99:100], v[101:102]
	v_mov_b32_e32 v102, 0x1d8
	v_mov_b32_e32 v101, 0x1e0
	scratch_store_b64 v98, v[99:100], off
	v_mov_b32_e32 v100, 0x1e8
	v_mov_b32_e32 v99, 0x1f0
	;; [unrolled: 1-line block ×3, first 2 shown]
	s_cbranch_vccnz .LBB140_59
; %bb.60:                               ;   in Loop: Header=BB140_34 Depth=1
	ds_load_2addr_b64 v[0:3], v87 offset0:1 offset1:17
	ds_load_2addr_b64 v[4:7], v87 offset0:33 offset1:49
	;; [unrolled: 1-line block ×12, first 2 shown]
	v_dual_mov_b32 v129, 0 :: v_dual_add_nc_u32 v64, 8, v91
	ds_load_2addr_b64 v[48:51], v97 offset0:129 offset1:145
	ds_load_2addr_b64 v[52:55], v97 offset0:161 offset1:177
	;; [unrolled: 1-line block ×4, first 2 shown]
	ds_load_2addr_stride64_b64 v[64:67], v64 offset1:4
	v_dual_mov_b32 v128, 8 :: v_dual_mov_b32 v127, 16
	v_dual_mov_b32 v126, 24 :: v_dual_mov_b32 v125, 32
	v_dual_mov_b32 v124, 40 :: v_dual_mov_b32 v123, 48
	v_dual_mov_b32 v122, 56 :: v_dual_mov_b32 v121, 64
	v_mov_b32_e32 v120, 0x48
	v_mov_b32_e32 v119, 0x50
	;; [unrolled: 1-line block ×23, first 2 shown]
	s_mov_b64 s[6:7], 0
	s_mov_b32 s23, -1
.LBB140_61:                             ;   Parent Loop BB140_34 Depth=1
                                        ; =>  This Inner Loop Header: Depth=2
	scratch_load_b64 v[134:135], v129, off
	s_cmp_eq_u32 s6, 1
	s_waitcnt lgkmcnt(16)
	v_max_f64 v[132:133], v[0:1], v[0:1]
	s_cselect_b32 vcc_lo, -1, 0
	s_mov_b64 s[6:7], 1
	s_waitcnt lgkmcnt(0)
	v_dual_cndmask_b32 v131, v65, v67 :: v_dual_cndmask_b32 v130, v64, v66
	s_and_b32 vcc_lo, exec_lo, s23
	s_mov_b32 s23, 0
	s_delay_alu instid0(VALU_DEP_1) | instskip(NEXT) | instid1(VALU_DEP_1)
	v_max_f64 v[130:131], v[130:131], v[130:131]
	v_min_f64 v[132:133], v[132:133], v[130:131]
	s_waitcnt vmcnt(0)
	s_delay_alu instid0(VALU_DEP_1) | instskip(SKIP_3) | instid1(VALU_DEP_1)
	v_add_f64 v[132:133], v[134:135], v[132:133]
	scratch_load_b64 v[134:135], v128, off
	scratch_store_b64 v129, v[132:133], off
	v_max_f64 v[132:133], v[2:3], v[2:3]
	v_min_f64 v[132:133], v[132:133], v[130:131]
	s_waitcnt vmcnt(0)
	s_delay_alu instid0(VALU_DEP_1) | instskip(SKIP_3) | instid1(VALU_DEP_1)
	v_add_f64 v[132:133], v[132:133], v[134:135]
	scratch_store_b64 v128, v[132:133], off
	scratch_load_b64 v[132:133], v127, off
	v_max_f64 v[128:129], v[4:5], v[4:5]
	v_min_f64 v[128:129], v[128:129], v[130:131]
	s_waitcnt vmcnt(0)
	s_delay_alu instid0(VALU_DEP_1) | instskip(SKIP_3) | instid1(VALU_DEP_1)
	v_add_f64 v[128:129], v[128:129], v[132:133]
	scratch_load_b64 v[132:133], v126, off
	scratch_store_b64 v127, v[128:129], off
	v_max_f64 v[127:128], v[6:7], v[6:7]
	v_min_f64 v[127:128], v[127:128], v[130:131]
	s_waitcnt vmcnt(0)
	s_delay_alu instid0(VALU_DEP_1) | instskip(SKIP_3) | instid1(VALU_DEP_1)
	v_add_f64 v[127:128], v[127:128], v[132:133]
	scratch_store_b64 v126, v[127:128], off
	scratch_load_b64 v[128:129], v125, off
	v_max_f64 v[126:127], v[8:9], v[8:9]
	v_min_f64 v[126:127], v[126:127], v[130:131]
	s_waitcnt vmcnt(0)
	s_delay_alu instid0(VALU_DEP_1) | instskip(SKIP_4) | instid1(VALU_DEP_1)
	v_add_f64 v[126:127], v[126:127], v[128:129]
	v_mov_b32_e32 v129, 0x100
	scratch_store_b64 v125, v[126:127], off
	scratch_load_b64 v[127:128], v124, off
	v_max_f64 v[125:126], v[10:11], v[10:11]
	v_min_f64 v[125:126], v[125:126], v[130:131]
	s_waitcnt vmcnt(0)
	s_delay_alu instid0(VALU_DEP_1) | instskip(SKIP_4) | instid1(VALU_DEP_1)
	v_add_f64 v[125:126], v[125:126], v[127:128]
	v_mov_b32_e32 v128, 0x108
	scratch_store_b64 v124, v[125:126], off
	scratch_load_b64 v[126:127], v123, off
	v_max_f64 v[124:125], v[12:13], v[12:13]
	v_min_f64 v[124:125], v[124:125], v[130:131]
	s_waitcnt vmcnt(0)
	s_delay_alu instid0(VALU_DEP_1) | instskip(SKIP_4) | instid1(VALU_DEP_1)
	v_add_f64 v[124:125], v[124:125], v[126:127]
	v_mov_b32_e32 v127, 0x110
	scratch_store_b64 v123, v[124:125], off
	scratch_load_b64 v[125:126], v122, off
	v_max_f64 v[123:124], v[14:15], v[14:15]
	v_min_f64 v[123:124], v[123:124], v[130:131]
	s_waitcnt vmcnt(0)
	s_delay_alu instid0(VALU_DEP_1) | instskip(SKIP_4) | instid1(VALU_DEP_1)
	v_add_f64 v[123:124], v[123:124], v[125:126]
	v_mov_b32_e32 v126, 0x118
	scratch_store_b64 v122, v[123:124], off
	scratch_load_b64 v[124:125], v121, off
	v_max_f64 v[122:123], v[16:17], v[16:17]
	v_min_f64 v[122:123], v[122:123], v[130:131]
	s_waitcnt vmcnt(0)
	s_delay_alu instid0(VALU_DEP_1) | instskip(SKIP_4) | instid1(VALU_DEP_1)
	v_add_f64 v[122:123], v[122:123], v[124:125]
	v_mov_b32_e32 v125, 0x120
	scratch_store_b64 v121, v[122:123], off
	scratch_load_b64 v[123:124], v120, off
	v_max_f64 v[121:122], v[18:19], v[18:19]
	v_min_f64 v[121:122], v[121:122], v[130:131]
	s_waitcnt vmcnt(0)
	s_delay_alu instid0(VALU_DEP_1) | instskip(SKIP_4) | instid1(VALU_DEP_1)
	v_add_f64 v[121:122], v[121:122], v[123:124]
	v_mov_b32_e32 v124, 0x128
	scratch_store_b64 v120, v[121:122], off
	scratch_load_b64 v[122:123], v119, off
	v_max_f64 v[120:121], v[20:21], v[20:21]
	v_min_f64 v[120:121], v[120:121], v[130:131]
	s_waitcnt vmcnt(0)
	s_delay_alu instid0(VALU_DEP_1) | instskip(SKIP_4) | instid1(VALU_DEP_1)
	v_add_f64 v[120:121], v[120:121], v[122:123]
	v_mov_b32_e32 v123, 0x130
	scratch_store_b64 v119, v[120:121], off
	scratch_load_b64 v[121:122], v118, off
	v_max_f64 v[119:120], v[22:23], v[22:23]
	v_min_f64 v[119:120], v[119:120], v[130:131]
	s_waitcnt vmcnt(0)
	s_delay_alu instid0(VALU_DEP_1) | instskip(SKIP_4) | instid1(VALU_DEP_1)
	v_add_f64 v[119:120], v[119:120], v[121:122]
	v_mov_b32_e32 v122, 0x138
	scratch_store_b64 v118, v[119:120], off
	scratch_load_b64 v[120:121], v117, off
	v_max_f64 v[118:119], v[24:25], v[24:25]
	v_min_f64 v[118:119], v[118:119], v[130:131]
	s_waitcnt vmcnt(0)
	s_delay_alu instid0(VALU_DEP_1) | instskip(SKIP_4) | instid1(VALU_DEP_1)
	v_add_f64 v[118:119], v[118:119], v[120:121]
	v_mov_b32_e32 v121, 0x140
	scratch_store_b64 v117, v[118:119], off
	scratch_load_b64 v[119:120], v116, off
	v_max_f64 v[117:118], v[26:27], v[26:27]
	v_min_f64 v[117:118], v[117:118], v[130:131]
	s_waitcnt vmcnt(0)
	s_delay_alu instid0(VALU_DEP_1) | instskip(SKIP_4) | instid1(VALU_DEP_1)
	v_add_f64 v[117:118], v[117:118], v[119:120]
	v_mov_b32_e32 v120, 0x148
	scratch_store_b64 v116, v[117:118], off
	scratch_load_b64 v[118:119], v115, off
	v_max_f64 v[116:117], v[28:29], v[28:29]
	v_min_f64 v[116:117], v[116:117], v[130:131]
	s_waitcnt vmcnt(0)
	s_delay_alu instid0(VALU_DEP_1) | instskip(SKIP_4) | instid1(VALU_DEP_1)
	v_add_f64 v[116:117], v[116:117], v[118:119]
	v_mov_b32_e32 v119, 0x150
	scratch_store_b64 v115, v[116:117], off
	scratch_load_b64 v[117:118], v114, off
	v_max_f64 v[115:116], v[30:31], v[30:31]
	v_min_f64 v[115:116], v[115:116], v[130:131]
	s_waitcnt vmcnt(0)
	s_delay_alu instid0(VALU_DEP_1) | instskip(SKIP_4) | instid1(VALU_DEP_1)
	v_add_f64 v[115:116], v[115:116], v[117:118]
	v_mov_b32_e32 v118, 0x158
	scratch_store_b64 v114, v[115:116], off
	scratch_load_b64 v[116:117], v113, off
	v_max_f64 v[114:115], v[32:33], v[32:33]
	v_min_f64 v[114:115], v[114:115], v[130:131]
	s_waitcnt vmcnt(0)
	s_delay_alu instid0(VALU_DEP_1) | instskip(SKIP_4) | instid1(VALU_DEP_1)
	v_add_f64 v[114:115], v[114:115], v[116:117]
	v_mov_b32_e32 v117, 0x160
	scratch_store_b64 v113, v[114:115], off
	scratch_load_b64 v[115:116], v112, off
	v_max_f64 v[113:114], v[34:35], v[34:35]
	v_min_f64 v[113:114], v[113:114], v[130:131]
	s_waitcnt vmcnt(0)
	s_delay_alu instid0(VALU_DEP_1) | instskip(SKIP_4) | instid1(VALU_DEP_1)
	v_add_f64 v[113:114], v[113:114], v[115:116]
	v_mov_b32_e32 v116, 0x168
	scratch_store_b64 v112, v[113:114], off
	scratch_load_b64 v[114:115], v111, off
	v_max_f64 v[112:113], v[36:37], v[36:37]
	v_min_f64 v[112:113], v[112:113], v[130:131]
	s_waitcnt vmcnt(0)
	s_delay_alu instid0(VALU_DEP_1) | instskip(SKIP_4) | instid1(VALU_DEP_1)
	v_add_f64 v[112:113], v[112:113], v[114:115]
	v_mov_b32_e32 v115, 0x170
	scratch_store_b64 v111, v[112:113], off
	scratch_load_b64 v[113:114], v110, off
	v_max_f64 v[111:112], v[38:39], v[38:39]
	v_min_f64 v[111:112], v[111:112], v[130:131]
	s_waitcnt vmcnt(0)
	s_delay_alu instid0(VALU_DEP_1) | instskip(SKIP_4) | instid1(VALU_DEP_1)
	v_add_f64 v[111:112], v[111:112], v[113:114]
	v_mov_b32_e32 v114, 0x178
	scratch_store_b64 v110, v[111:112], off
	scratch_load_b64 v[112:113], v109, off
	v_max_f64 v[110:111], v[40:41], v[40:41]
	v_min_f64 v[110:111], v[110:111], v[130:131]
	s_waitcnt vmcnt(0)
	s_delay_alu instid0(VALU_DEP_1) | instskip(SKIP_4) | instid1(VALU_DEP_1)
	v_add_f64 v[110:111], v[110:111], v[112:113]
	v_mov_b32_e32 v113, 0x180
	scratch_store_b64 v109, v[110:111], off
	scratch_load_b64 v[111:112], v108, off
	v_max_f64 v[109:110], v[42:43], v[42:43]
	v_min_f64 v[109:110], v[109:110], v[130:131]
	s_waitcnt vmcnt(0)
	s_delay_alu instid0(VALU_DEP_1) | instskip(SKIP_4) | instid1(VALU_DEP_1)
	v_add_f64 v[109:110], v[109:110], v[111:112]
	v_mov_b32_e32 v112, 0x188
	scratch_store_b64 v108, v[109:110], off
	scratch_load_b64 v[110:111], v107, off
	v_max_f64 v[108:109], v[44:45], v[44:45]
	v_min_f64 v[108:109], v[108:109], v[130:131]
	s_waitcnt vmcnt(0)
	s_delay_alu instid0(VALU_DEP_1) | instskip(SKIP_4) | instid1(VALU_DEP_1)
	v_add_f64 v[108:109], v[108:109], v[110:111]
	v_mov_b32_e32 v111, 0x190
	scratch_store_b64 v107, v[108:109], off
	scratch_load_b64 v[109:110], v106, off
	v_max_f64 v[107:108], v[46:47], v[46:47]
	v_min_f64 v[107:108], v[107:108], v[130:131]
	s_waitcnt vmcnt(0)
	s_delay_alu instid0(VALU_DEP_1) | instskip(SKIP_4) | instid1(VALU_DEP_1)
	v_add_f64 v[107:108], v[107:108], v[109:110]
	v_mov_b32_e32 v110, 0x198
	scratch_store_b64 v106, v[107:108], off
	scratch_load_b64 v[108:109], v105, off
	v_max_f64 v[106:107], v[48:49], v[48:49]
	v_min_f64 v[106:107], v[106:107], v[130:131]
	s_waitcnt vmcnt(0)
	s_delay_alu instid0(VALU_DEP_1) | instskip(SKIP_4) | instid1(VALU_DEP_1)
	v_add_f64 v[106:107], v[106:107], v[108:109]
	v_mov_b32_e32 v109, 0x1a0
	scratch_store_b64 v105, v[106:107], off
	scratch_load_b64 v[107:108], v104, off
	v_max_f64 v[105:106], v[50:51], v[50:51]
	v_min_f64 v[105:106], v[105:106], v[130:131]
	s_waitcnt vmcnt(0)
	s_delay_alu instid0(VALU_DEP_1) | instskip(SKIP_4) | instid1(VALU_DEP_1)
	v_add_f64 v[105:106], v[105:106], v[107:108]
	v_mov_b32_e32 v108, 0x1a8
	scratch_store_b64 v104, v[105:106], off
	scratch_load_b64 v[106:107], v103, off
	v_max_f64 v[104:105], v[52:53], v[52:53]
	v_min_f64 v[104:105], v[104:105], v[130:131]
	s_waitcnt vmcnt(0)
	s_delay_alu instid0(VALU_DEP_1) | instskip(SKIP_4) | instid1(VALU_DEP_1)
	v_add_f64 v[104:105], v[104:105], v[106:107]
	v_mov_b32_e32 v107, 0x1b0
	scratch_store_b64 v103, v[104:105], off
	scratch_load_b64 v[105:106], v102, off
	v_max_f64 v[103:104], v[54:55], v[54:55]
	v_min_f64 v[103:104], v[103:104], v[130:131]
	s_waitcnt vmcnt(0)
	s_delay_alu instid0(VALU_DEP_1) | instskip(SKIP_4) | instid1(VALU_DEP_1)
	v_add_f64 v[103:104], v[103:104], v[105:106]
	v_mov_b32_e32 v106, 0x1b8
	scratch_store_b64 v102, v[103:104], off
	scratch_load_b64 v[104:105], v101, off
	v_max_f64 v[102:103], v[56:57], v[56:57]
	v_min_f64 v[102:103], v[102:103], v[130:131]
	s_waitcnt vmcnt(0)
	s_delay_alu instid0(VALU_DEP_1) | instskip(SKIP_4) | instid1(VALU_DEP_1)
	v_add_f64 v[102:103], v[102:103], v[104:105]
	v_mov_b32_e32 v105, 0x1c0
	scratch_store_b64 v101, v[102:103], off
	scratch_load_b64 v[103:104], v100, off
	v_max_f64 v[101:102], v[58:59], v[58:59]
	v_min_f64 v[101:102], v[101:102], v[130:131]
	s_waitcnt vmcnt(0)
	s_delay_alu instid0(VALU_DEP_1) | instskip(SKIP_4) | instid1(VALU_DEP_1)
	v_add_f64 v[101:102], v[101:102], v[103:104]
	v_mov_b32_e32 v104, 0x1c8
	scratch_store_b64 v100, v[101:102], off
	scratch_load_b64 v[102:103], v99, off
	v_max_f64 v[100:101], v[60:61], v[60:61]
	v_min_f64 v[100:101], v[100:101], v[130:131]
	s_waitcnt vmcnt(0)
	s_delay_alu instid0(VALU_DEP_1) | instskip(SKIP_4) | instid1(VALU_DEP_1)
	v_add_f64 v[100:101], v[100:101], v[102:103]
	v_mov_b32_e32 v103, 0x1d0
	scratch_store_b64 v99, v[100:101], off
	scratch_load_b64 v[101:102], v98, off
	v_max_f64 v[99:100], v[62:63], v[62:63]
	v_min_f64 v[99:100], v[99:100], v[130:131]
	s_waitcnt vmcnt(0)
	s_delay_alu instid0(VALU_DEP_1)
	v_add_f64 v[99:100], v[99:100], v[101:102]
	v_mov_b32_e32 v102, 0x1d8
	v_mov_b32_e32 v101, 0x1e0
	scratch_store_b64 v98, v[99:100], off
	v_mov_b32_e32 v100, 0x1e8
	v_mov_b32_e32 v99, 0x1f0
	;; [unrolled: 1-line block ×3, first 2 shown]
	s_cbranch_vccnz .LBB140_61
; %bb.62:                               ;   in Loop: Header=BB140_34 Depth=1
	ds_load_2addr_b64 v[0:3], v87 offset0:2 offset1:18
	ds_load_2addr_b64 v[4:7], v87 offset0:34 offset1:50
	;; [unrolled: 1-line block ×12, first 2 shown]
	v_dual_mov_b32 v129, 0 :: v_dual_add_nc_u32 v64, 16, v91
	ds_load_2addr_b64 v[48:51], v97 offset0:130 offset1:146
	ds_load_2addr_b64 v[52:55], v97 offset0:162 offset1:178
	;; [unrolled: 1-line block ×4, first 2 shown]
	ds_load_2addr_stride64_b64 v[64:67], v64 offset1:4
	v_dual_mov_b32 v128, 8 :: v_dual_mov_b32 v127, 16
	v_dual_mov_b32 v126, 24 :: v_dual_mov_b32 v125, 32
	;; [unrolled: 1-line block ×4, first 2 shown]
	v_mov_b32_e32 v120, 0x48
	v_mov_b32_e32 v119, 0x50
	;; [unrolled: 1-line block ×23, first 2 shown]
	s_mov_b64 s[6:7], 0
	s_mov_b32 s23, -1
.LBB140_63:                             ;   Parent Loop BB140_34 Depth=1
                                        ; =>  This Inner Loop Header: Depth=2
	scratch_load_b64 v[134:135], v129, off
	s_cmp_eq_u32 s6, 1
	s_waitcnt lgkmcnt(16)
	v_max_f64 v[132:133], v[0:1], v[0:1]
	s_cselect_b32 vcc_lo, -1, 0
	s_mov_b64 s[6:7], 1
	s_waitcnt lgkmcnt(0)
	v_dual_cndmask_b32 v131, v65, v67 :: v_dual_cndmask_b32 v130, v64, v66
	s_and_b32 vcc_lo, exec_lo, s23
	s_mov_b32 s23, 0
	s_delay_alu instid0(VALU_DEP_1) | instskip(NEXT) | instid1(VALU_DEP_1)
	v_max_f64 v[130:131], v[130:131], v[130:131]
	v_min_f64 v[132:133], v[132:133], v[130:131]
	s_waitcnt vmcnt(0)
	s_delay_alu instid0(VALU_DEP_1) | instskip(SKIP_3) | instid1(VALU_DEP_1)
	v_add_f64 v[132:133], v[134:135], v[132:133]
	scratch_load_b64 v[134:135], v128, off
	scratch_store_b64 v129, v[132:133], off
	v_max_f64 v[132:133], v[2:3], v[2:3]
	v_min_f64 v[132:133], v[132:133], v[130:131]
	s_waitcnt vmcnt(0)
	s_delay_alu instid0(VALU_DEP_1) | instskip(SKIP_3) | instid1(VALU_DEP_1)
	v_add_f64 v[132:133], v[132:133], v[134:135]
	scratch_store_b64 v128, v[132:133], off
	scratch_load_b64 v[132:133], v127, off
	v_max_f64 v[128:129], v[4:5], v[4:5]
	v_min_f64 v[128:129], v[128:129], v[130:131]
	s_waitcnt vmcnt(0)
	s_delay_alu instid0(VALU_DEP_1) | instskip(SKIP_3) | instid1(VALU_DEP_1)
	v_add_f64 v[128:129], v[128:129], v[132:133]
	scratch_load_b64 v[132:133], v126, off
	scratch_store_b64 v127, v[128:129], off
	v_max_f64 v[127:128], v[6:7], v[6:7]
	v_min_f64 v[127:128], v[127:128], v[130:131]
	s_waitcnt vmcnt(0)
	s_delay_alu instid0(VALU_DEP_1) | instskip(SKIP_3) | instid1(VALU_DEP_1)
	v_add_f64 v[127:128], v[127:128], v[132:133]
	scratch_store_b64 v126, v[127:128], off
	scratch_load_b64 v[128:129], v125, off
	v_max_f64 v[126:127], v[8:9], v[8:9]
	v_min_f64 v[126:127], v[126:127], v[130:131]
	s_waitcnt vmcnt(0)
	s_delay_alu instid0(VALU_DEP_1) | instskip(SKIP_4) | instid1(VALU_DEP_1)
	v_add_f64 v[126:127], v[126:127], v[128:129]
	v_mov_b32_e32 v129, 0x100
	scratch_store_b64 v125, v[126:127], off
	scratch_load_b64 v[127:128], v124, off
	v_max_f64 v[125:126], v[10:11], v[10:11]
	v_min_f64 v[125:126], v[125:126], v[130:131]
	s_waitcnt vmcnt(0)
	s_delay_alu instid0(VALU_DEP_1) | instskip(SKIP_4) | instid1(VALU_DEP_1)
	v_add_f64 v[125:126], v[125:126], v[127:128]
	v_mov_b32_e32 v128, 0x108
	;; [unrolled: 8-line block ×27, first 2 shown]
	scratch_store_b64 v99, v[100:101], off
	scratch_load_b64 v[101:102], v98, off
	v_max_f64 v[99:100], v[62:63], v[62:63]
	v_min_f64 v[99:100], v[99:100], v[130:131]
	s_waitcnt vmcnt(0)
	s_delay_alu instid0(VALU_DEP_1)
	v_add_f64 v[99:100], v[99:100], v[101:102]
	v_mov_b32_e32 v102, 0x1d8
	v_mov_b32_e32 v101, 0x1e0
	scratch_store_b64 v98, v[99:100], off
	v_mov_b32_e32 v100, 0x1e8
	v_mov_b32_e32 v99, 0x1f0
	;; [unrolled: 1-line block ×3, first 2 shown]
	s_cbranch_vccnz .LBB140_63
; %bb.64:                               ;   in Loop: Header=BB140_34 Depth=1
	ds_load_2addr_b64 v[0:3], v87 offset0:3 offset1:19
	ds_load_2addr_b64 v[4:7], v87 offset0:35 offset1:51
	;; [unrolled: 1-line block ×12, first 2 shown]
	v_dual_mov_b32 v127, 8 :: v_dual_add_nc_u32 v64, 24, v91
	ds_load_2addr_b64 v[48:51], v97 offset0:131 offset1:147
	ds_load_2addr_b64 v[52:55], v97 offset0:163 offset1:179
	;; [unrolled: 1-line block ×4, first 2 shown]
	ds_load_2addr_stride64_b64 v[64:67], v64 offset1:4
	v_dual_mov_b32 v128, 0 :: v_dual_mov_b32 v125, 24
	v_dual_mov_b32 v126, 16 :: v_dual_mov_b32 v123, 40
	;; [unrolled: 1-line block ×5, first 2 shown]
	v_mov_b32_e32 v118, 0x50
	v_mov_b32_e32 v116, 0x60
	;; [unrolled: 1-line block ×21, first 2 shown]
	s_mov_b64 s[6:7], 0
	s_mov_b32 s23, -1
.LBB140_65:                             ;   Parent Loop BB140_34 Depth=1
                                        ; =>  This Inner Loop Header: Depth=2
	scratch_load_b64 v[133:134], v128, off
	s_cmp_eq_u32 s6, 1
	s_waitcnt lgkmcnt(16)
	v_max_f64 v[131:132], v[0:1], v[0:1]
	s_cselect_b32 vcc_lo, -1, 0
	s_mov_b64 s[6:7], 1
	s_waitcnt lgkmcnt(0)
	v_dual_cndmask_b32 v130, v65, v67 :: v_dual_cndmask_b32 v129, v64, v66
	s_and_b32 vcc_lo, exec_lo, s23
	s_mov_b32 s23, 0
	s_delay_alu instid0(VALU_DEP_1) | instskip(NEXT) | instid1(VALU_DEP_1)
	v_max_f64 v[129:130], v[129:130], v[129:130]
	v_min_f64 v[131:132], v[131:132], v[129:130]
	s_waitcnt vmcnt(0)
	s_delay_alu instid0(VALU_DEP_1) | instskip(SKIP_3) | instid1(VALU_DEP_1)
	v_add_f64 v[131:132], v[133:134], v[131:132]
	scratch_load_b64 v[133:134], v127, off
	scratch_store_b64 v128, v[131:132], off
	v_max_f64 v[131:132], v[2:3], v[2:3]
	v_min_f64 v[131:132], v[131:132], v[129:130]
	s_waitcnt vmcnt(0)
	s_delay_alu instid0(VALU_DEP_1) | instskip(SKIP_3) | instid1(VALU_DEP_1)
	v_add_f64 v[131:132], v[131:132], v[133:134]
	scratch_store_b64 v127, v[131:132], off
	scratch_load_b64 v[131:132], v126, off
	v_max_f64 v[127:128], v[4:5], v[4:5]
	v_min_f64 v[127:128], v[127:128], v[129:130]
	s_waitcnt vmcnt(0)
	s_delay_alu instid0(VALU_DEP_1) | instskip(SKIP_3) | instid1(VALU_DEP_1)
	v_add_f64 v[127:128], v[127:128], v[131:132]
	scratch_load_b64 v[131:132], v125, off
	scratch_store_b64 v126, v[127:128], off
	v_max_f64 v[126:127], v[6:7], v[6:7]
	v_min_f64 v[126:127], v[126:127], v[129:130]
	s_waitcnt vmcnt(0)
	s_delay_alu instid0(VALU_DEP_1) | instskip(SKIP_3) | instid1(VALU_DEP_1)
	v_add_f64 v[126:127], v[126:127], v[131:132]
	scratch_store_b64 v125, v[126:127], off
	scratch_load_b64 v[127:128], v124, off
	v_max_f64 v[125:126], v[8:9], v[8:9]
	v_min_f64 v[125:126], v[125:126], v[129:130]
	s_waitcnt vmcnt(0)
	s_delay_alu instid0(VALU_DEP_1) | instskip(SKIP_4) | instid1(VALU_DEP_1)
	v_add_f64 v[125:126], v[125:126], v[127:128]
	v_mov_b32_e32 v128, 0x100
	scratch_store_b64 v124, v[125:126], off
	scratch_load_b64 v[126:127], v123, off
	v_max_f64 v[124:125], v[10:11], v[10:11]
	v_min_f64 v[124:125], v[124:125], v[129:130]
	s_waitcnt vmcnt(0)
	s_delay_alu instid0(VALU_DEP_1) | instskip(SKIP_4) | instid1(VALU_DEP_1)
	v_add_f64 v[124:125], v[124:125], v[126:127]
	v_mov_b32_e32 v127, 0x108
	scratch_store_b64 v123, v[124:125], off
	scratch_load_b64 v[125:126], v122, off
	v_max_f64 v[123:124], v[12:13], v[12:13]
	v_min_f64 v[123:124], v[123:124], v[129:130]
	s_waitcnt vmcnt(0)
	s_delay_alu instid0(VALU_DEP_1) | instskip(SKIP_4) | instid1(VALU_DEP_1)
	v_add_f64 v[123:124], v[123:124], v[125:126]
	v_mov_b32_e32 v126, 0x110
	scratch_store_b64 v122, v[123:124], off
	scratch_load_b64 v[124:125], v121, off
	v_max_f64 v[122:123], v[14:15], v[14:15]
	v_min_f64 v[122:123], v[122:123], v[129:130]
	s_waitcnt vmcnt(0)
	s_delay_alu instid0(VALU_DEP_1) | instskip(SKIP_4) | instid1(VALU_DEP_1)
	v_add_f64 v[122:123], v[122:123], v[124:125]
	v_mov_b32_e32 v125, 0x118
	scratch_store_b64 v121, v[122:123], off
	scratch_load_b64 v[123:124], v120, off
	v_max_f64 v[121:122], v[16:17], v[16:17]
	v_min_f64 v[121:122], v[121:122], v[129:130]
	s_waitcnt vmcnt(0)
	s_delay_alu instid0(VALU_DEP_1) | instskip(SKIP_4) | instid1(VALU_DEP_1)
	v_add_f64 v[121:122], v[121:122], v[123:124]
	v_mov_b32_e32 v124, 0x120
	scratch_store_b64 v120, v[121:122], off
	scratch_load_b64 v[122:123], v119, off
	v_max_f64 v[120:121], v[18:19], v[18:19]
	v_min_f64 v[120:121], v[120:121], v[129:130]
	s_waitcnt vmcnt(0)
	s_delay_alu instid0(VALU_DEP_1) | instskip(SKIP_4) | instid1(VALU_DEP_1)
	v_add_f64 v[120:121], v[120:121], v[122:123]
	v_mov_b32_e32 v123, 0x128
	scratch_store_b64 v119, v[120:121], off
	scratch_load_b64 v[121:122], v118, off
	v_max_f64 v[119:120], v[20:21], v[20:21]
	v_min_f64 v[119:120], v[119:120], v[129:130]
	s_waitcnt vmcnt(0)
	s_delay_alu instid0(VALU_DEP_1) | instskip(SKIP_4) | instid1(VALU_DEP_1)
	v_add_f64 v[119:120], v[119:120], v[121:122]
	v_mov_b32_e32 v122, 0x130
	scratch_store_b64 v118, v[119:120], off
	scratch_load_b64 v[120:121], v117, off
	v_max_f64 v[118:119], v[22:23], v[22:23]
	v_min_f64 v[118:119], v[118:119], v[129:130]
	s_waitcnt vmcnt(0)
	s_delay_alu instid0(VALU_DEP_1) | instskip(SKIP_4) | instid1(VALU_DEP_1)
	v_add_f64 v[118:119], v[118:119], v[120:121]
	v_mov_b32_e32 v121, 0x138
	scratch_store_b64 v117, v[118:119], off
	scratch_load_b64 v[119:120], v116, off
	v_max_f64 v[117:118], v[24:25], v[24:25]
	v_min_f64 v[117:118], v[117:118], v[129:130]
	s_waitcnt vmcnt(0)
	s_delay_alu instid0(VALU_DEP_1) | instskip(SKIP_4) | instid1(VALU_DEP_1)
	v_add_f64 v[117:118], v[117:118], v[119:120]
	v_mov_b32_e32 v120, 0x140
	scratch_store_b64 v116, v[117:118], off
	scratch_load_b64 v[118:119], v115, off
	v_max_f64 v[116:117], v[26:27], v[26:27]
	v_min_f64 v[116:117], v[116:117], v[129:130]
	s_waitcnt vmcnt(0)
	s_delay_alu instid0(VALU_DEP_1) | instskip(SKIP_4) | instid1(VALU_DEP_1)
	v_add_f64 v[116:117], v[116:117], v[118:119]
	v_mov_b32_e32 v119, 0x148
	scratch_store_b64 v115, v[116:117], off
	scratch_load_b64 v[117:118], v114, off
	v_max_f64 v[115:116], v[28:29], v[28:29]
	v_min_f64 v[115:116], v[115:116], v[129:130]
	s_waitcnt vmcnt(0)
	s_delay_alu instid0(VALU_DEP_1) | instskip(SKIP_4) | instid1(VALU_DEP_1)
	v_add_f64 v[115:116], v[115:116], v[117:118]
	v_mov_b32_e32 v118, 0x150
	scratch_store_b64 v114, v[115:116], off
	scratch_load_b64 v[116:117], v113, off
	v_max_f64 v[114:115], v[30:31], v[30:31]
	v_min_f64 v[114:115], v[114:115], v[129:130]
	s_waitcnt vmcnt(0)
	s_delay_alu instid0(VALU_DEP_1) | instskip(SKIP_4) | instid1(VALU_DEP_1)
	v_add_f64 v[114:115], v[114:115], v[116:117]
	v_mov_b32_e32 v117, 0x158
	scratch_store_b64 v113, v[114:115], off
	scratch_load_b64 v[115:116], v112, off
	v_max_f64 v[113:114], v[32:33], v[32:33]
	v_min_f64 v[113:114], v[113:114], v[129:130]
	s_waitcnt vmcnt(0)
	s_delay_alu instid0(VALU_DEP_1) | instskip(SKIP_4) | instid1(VALU_DEP_1)
	v_add_f64 v[113:114], v[113:114], v[115:116]
	v_mov_b32_e32 v116, 0x160
	scratch_store_b64 v112, v[113:114], off
	scratch_load_b64 v[114:115], v111, off
	v_max_f64 v[112:113], v[34:35], v[34:35]
	v_min_f64 v[112:113], v[112:113], v[129:130]
	s_waitcnt vmcnt(0)
	s_delay_alu instid0(VALU_DEP_1) | instskip(SKIP_4) | instid1(VALU_DEP_1)
	v_add_f64 v[112:113], v[112:113], v[114:115]
	v_mov_b32_e32 v115, 0x168
	scratch_store_b64 v111, v[112:113], off
	scratch_load_b64 v[113:114], v110, off
	v_max_f64 v[111:112], v[36:37], v[36:37]
	v_min_f64 v[111:112], v[111:112], v[129:130]
	s_waitcnt vmcnt(0)
	s_delay_alu instid0(VALU_DEP_1) | instskip(SKIP_4) | instid1(VALU_DEP_1)
	v_add_f64 v[111:112], v[111:112], v[113:114]
	v_mov_b32_e32 v114, 0x170
	scratch_store_b64 v110, v[111:112], off
	scratch_load_b64 v[112:113], v109, off
	v_max_f64 v[110:111], v[38:39], v[38:39]
	v_min_f64 v[110:111], v[110:111], v[129:130]
	s_waitcnt vmcnt(0)
	s_delay_alu instid0(VALU_DEP_1) | instskip(SKIP_4) | instid1(VALU_DEP_1)
	v_add_f64 v[110:111], v[110:111], v[112:113]
	v_mov_b32_e32 v113, 0x178
	scratch_store_b64 v109, v[110:111], off
	scratch_load_b64 v[111:112], v108, off
	v_max_f64 v[109:110], v[40:41], v[40:41]
	v_min_f64 v[109:110], v[109:110], v[129:130]
	s_waitcnt vmcnt(0)
	s_delay_alu instid0(VALU_DEP_1) | instskip(SKIP_4) | instid1(VALU_DEP_1)
	v_add_f64 v[109:110], v[109:110], v[111:112]
	v_mov_b32_e32 v112, 0x180
	scratch_store_b64 v108, v[109:110], off
	scratch_load_b64 v[110:111], v107, off
	v_max_f64 v[108:109], v[42:43], v[42:43]
	v_min_f64 v[108:109], v[108:109], v[129:130]
	s_waitcnt vmcnt(0)
	s_delay_alu instid0(VALU_DEP_1) | instskip(SKIP_4) | instid1(VALU_DEP_1)
	v_add_f64 v[108:109], v[108:109], v[110:111]
	v_mov_b32_e32 v111, 0x188
	scratch_store_b64 v107, v[108:109], off
	scratch_load_b64 v[109:110], v106, off
	v_max_f64 v[107:108], v[44:45], v[44:45]
	v_min_f64 v[107:108], v[107:108], v[129:130]
	s_waitcnt vmcnt(0)
	s_delay_alu instid0(VALU_DEP_1) | instskip(SKIP_4) | instid1(VALU_DEP_1)
	v_add_f64 v[107:108], v[107:108], v[109:110]
	v_mov_b32_e32 v110, 0x190
	scratch_store_b64 v106, v[107:108], off
	scratch_load_b64 v[108:109], v105, off
	v_max_f64 v[106:107], v[46:47], v[46:47]
	v_min_f64 v[106:107], v[106:107], v[129:130]
	s_waitcnt vmcnt(0)
	s_delay_alu instid0(VALU_DEP_1) | instskip(SKIP_4) | instid1(VALU_DEP_1)
	v_add_f64 v[106:107], v[106:107], v[108:109]
	v_mov_b32_e32 v109, 0x198
	scratch_store_b64 v105, v[106:107], off
	scratch_load_b64 v[107:108], v104, off
	v_max_f64 v[105:106], v[48:49], v[48:49]
	v_min_f64 v[105:106], v[105:106], v[129:130]
	s_waitcnt vmcnt(0)
	s_delay_alu instid0(VALU_DEP_1) | instskip(SKIP_4) | instid1(VALU_DEP_1)
	v_add_f64 v[105:106], v[105:106], v[107:108]
	v_mov_b32_e32 v108, 0x1a0
	scratch_store_b64 v104, v[105:106], off
	scratch_load_b64 v[106:107], v103, off
	v_max_f64 v[104:105], v[50:51], v[50:51]
	v_min_f64 v[104:105], v[104:105], v[129:130]
	s_waitcnt vmcnt(0)
	s_delay_alu instid0(VALU_DEP_1) | instskip(SKIP_4) | instid1(VALU_DEP_1)
	v_add_f64 v[104:105], v[104:105], v[106:107]
	v_mov_b32_e32 v107, 0x1a8
	scratch_store_b64 v103, v[104:105], off
	scratch_load_b64 v[105:106], v102, off
	v_max_f64 v[103:104], v[52:53], v[52:53]
	v_min_f64 v[103:104], v[103:104], v[129:130]
	s_waitcnt vmcnt(0)
	s_delay_alu instid0(VALU_DEP_1) | instskip(SKIP_4) | instid1(VALU_DEP_1)
	v_add_f64 v[103:104], v[103:104], v[105:106]
	v_mov_b32_e32 v106, 0x1b0
	scratch_store_b64 v102, v[103:104], off
	scratch_load_b64 v[104:105], v101, off
	v_max_f64 v[102:103], v[54:55], v[54:55]
	v_min_f64 v[102:103], v[102:103], v[129:130]
	s_waitcnt vmcnt(0)
	s_delay_alu instid0(VALU_DEP_1) | instskip(SKIP_4) | instid1(VALU_DEP_1)
	v_add_f64 v[102:103], v[102:103], v[104:105]
	v_mov_b32_e32 v105, 0x1b8
	scratch_store_b64 v101, v[102:103], off
	scratch_load_b64 v[103:104], v100, off
	v_max_f64 v[101:102], v[56:57], v[56:57]
	v_min_f64 v[101:102], v[101:102], v[129:130]
	s_waitcnt vmcnt(0)
	s_delay_alu instid0(VALU_DEP_1) | instskip(SKIP_4) | instid1(VALU_DEP_1)
	v_add_f64 v[101:102], v[101:102], v[103:104]
	v_mov_b32_e32 v104, 0x1c0
	scratch_store_b64 v100, v[101:102], off
	scratch_load_b64 v[102:103], v99, off
	v_max_f64 v[100:101], v[58:59], v[58:59]
	v_min_f64 v[100:101], v[100:101], v[129:130]
	s_waitcnt vmcnt(0)
	s_delay_alu instid0(VALU_DEP_1) | instskip(SKIP_4) | instid1(VALU_DEP_1)
	v_add_f64 v[100:101], v[100:101], v[102:103]
	v_mov_b32_e32 v103, 0x1c8
	scratch_store_b64 v99, v[100:101], off
	scratch_load_b64 v[101:102], v98, off
	v_max_f64 v[99:100], v[60:61], v[60:61]
	v_min_f64 v[99:100], v[99:100], v[129:130]
	s_waitcnt vmcnt(0)
	s_delay_alu instid0(VALU_DEP_1) | instskip(SKIP_4) | instid1(VALU_DEP_1)
	v_add_f64 v[99:100], v[99:100], v[101:102]
	v_mov_b32_e32 v102, 0x1d0
	scratch_store_b64 v98, v[99:100], off
	scratch_load_b64 v[100:101], v97, off
	v_max_f64 v[98:99], v[62:63], v[62:63]
	v_min_f64 v[98:99], v[98:99], v[129:130]
	s_waitcnt vmcnt(0)
	s_delay_alu instid0(VALU_DEP_1)
	v_add_f64 v[98:99], v[98:99], v[100:101]
	v_mov_b32_e32 v101, 0x1d8
	v_mov_b32_e32 v100, 0x1e0
	scratch_store_b64 v97, v[98:99], off
	v_mov_b32_e32 v99, 0x1e8
	v_mov_b32_e32 v98, 0x1f0
	;; [unrolled: 1-line block ×3, first 2 shown]
	s_cbranch_vccnz .LBB140_65
; %bb.66:                               ;   in Loop: Header=BB140_34 Depth=1
	s_add_i32 s22, s22, 8
	s_add_i32 s20, s20, 8
	s_cmp_ge_i32 s22, s21
	ds_store_2addr_stride64_b64 v92, v[78:79], v[76:77] offset1:4
	ds_store_2addr_stride64_b64 v93, v[82:83], v[80:81] offset1:4
	s_waitcnt lgkmcnt(0)
	s_waitcnt_vscnt null, 0x0
	s_barrier
	buffer_gl0_inv
	s_cbranch_scc0 .LBB140_34
.LBB140_67:
	v_dual_mov_b32 v71, 8 :: v_dual_add_nc_u32 v28, 0x1000, v87
	v_dual_mov_b32 v75, 40 :: v_dual_add_nc_u32 v60, 0x1800, v87
	;; [unrolled: 1-line block ×3, first 2 shown]
	ds_load_2addr_b64 v[0:3], v28 offset1:16
	ds_load_2addr_b64 v[4:7], v28 offset0:32 offset1:48
	ds_load_2addr_b64 v[8:11], v28 offset0:64 offset1:80
	;; [unrolled: 1-line block ×7, first 2 shown]
	ds_load_2addr_b64 v[32:35], v60 offset1:16
	ds_load_2addr_b64 v[36:39], v60 offset0:32 offset1:48
	ds_load_2addr_b64 v[40:43], v60 offset0:64 offset1:80
	;; [unrolled: 1-line block ×7, first 2 shown]
	ds_load_2addr_stride64_b64 v[64:67], v89 offset0:24 offset1:28
	v_dual_mov_b32 v70, 0 :: v_dual_add_nc_u32 v69, 0x3000, v89
	v_dual_mov_b32 v72, 16 :: v_dual_mov_b32 v77, 56
	v_dual_mov_b32 v74, 32 :: v_dual_mov_b32 v79, 0x48
	;; [unrolled: 1-line block ×4, first 2 shown]
	v_mov_b32_e32 v80, 0x50
	v_mov_b32_e32 v82, 0x60
	;; [unrolled: 1-line block ×20, first 2 shown]
	s_mov_b64 s[2:3], 0
	s_mov_b32 s4, -1
.LBB140_68:                             ; =>This Inner Loop Header: Depth=1
	scratch_load_b64 v[104:105], v70, off
	scratch_load_b64 v[106:107], v71, off
	;; [unrolled: 1-line block ×32, first 2 shown]
	s_cmp_eq_u32 s2, 1
	s_waitcnt lgkmcnt(16)
	v_max_f64 v[170:171], v[0:1], v[0:1]
	s_cselect_b32 vcc_lo, -1, 0
	v_max_f64 v[172:173], v[2:3], v[2:3]
	s_waitcnt lgkmcnt(0)
	v_dual_cndmask_b32 v169, v65, v67 :: v_dual_cndmask_b32 v168, v64, v66
	v_max_f64 v[174:175], v[4:5], v[4:5]
	v_max_f64 v[176:177], v[6:7], v[6:7]
	;; [unrolled: 1-line block ×31, first 2 shown]
	s_mov_b64 s[2:3], 1
	s_and_b32 vcc_lo, exec_lo, s4
	s_mov_b32 s4, 0
	v_min_f64 v[170:171], v[170:171], v[168:169]
	v_min_f64 v[172:173], v[172:173], v[168:169]
	;; [unrolled: 1-line block ×32, first 2 shown]
	s_waitcnt vmcnt(31)
	v_add_f64 v[104:105], v[104:105], v[170:171]
	s_waitcnt vmcnt(30)
	v_add_f64 v[106:107], v[172:173], v[106:107]
	s_waitcnt vmcnt(29)
	v_add_f64 v[108:109], v[174:175], v[108:109]
	s_waitcnt vmcnt(28)
	v_add_f64 v[110:111], v[176:177], v[110:111]
	s_waitcnt vmcnt(27)
	v_add_f64 v[112:113], v[178:179], v[112:113]
	s_waitcnt vmcnt(26)
	v_add_f64 v[114:115], v[180:181], v[114:115]
	s_waitcnt vmcnt(25)
	v_add_f64 v[116:117], v[182:183], v[116:117]
	s_waitcnt vmcnt(24)
	v_add_f64 v[118:119], v[184:185], v[118:119]
	s_waitcnt vmcnt(23)
	v_add_f64 v[120:121], v[186:187], v[120:121]
	s_waitcnt vmcnt(22)
	v_add_f64 v[122:123], v[188:189], v[122:123]
	s_waitcnt vmcnt(21)
	v_add_f64 v[124:125], v[190:191], v[124:125]
	s_waitcnt vmcnt(20)
	v_add_f64 v[126:127], v[192:193], v[126:127]
	s_waitcnt vmcnt(19)
	v_add_f64 v[128:129], v[194:195], v[128:129]
	s_waitcnt vmcnt(18)
	v_add_f64 v[130:131], v[196:197], v[130:131]
	s_waitcnt vmcnt(17)
	v_add_f64 v[132:133], v[198:199], v[132:133]
	s_waitcnt vmcnt(16)
	v_add_f64 v[134:135], v[200:201], v[134:135]
	s_waitcnt vmcnt(15)
	v_add_f64 v[136:137], v[202:203], v[136:137]
	s_waitcnt vmcnt(14)
	v_add_f64 v[138:139], v[204:205], v[138:139]
	s_waitcnt vmcnt(13)
	v_add_f64 v[140:141], v[206:207], v[140:141]
	s_waitcnt vmcnt(12)
	v_add_f64 v[142:143], v[208:209], v[142:143]
	s_waitcnt vmcnt(11)
	v_add_f64 v[144:145], v[210:211], v[144:145]
	s_waitcnt vmcnt(10)
	v_add_f64 v[146:147], v[212:213], v[146:147]
	s_waitcnt vmcnt(9)
	v_add_f64 v[148:149], v[214:215], v[148:149]
	s_waitcnt vmcnt(8)
	v_add_f64 v[150:151], v[216:217], v[150:151]
	s_waitcnt vmcnt(7)
	v_add_f64 v[152:153], v[218:219], v[152:153]
	s_waitcnt vmcnt(6)
	v_add_f64 v[154:155], v[220:221], v[154:155]
	s_waitcnt vmcnt(5)
	v_add_f64 v[156:157], v[222:223], v[156:157]
	s_waitcnt vmcnt(4)
	v_add_f64 v[158:159], v[224:225], v[158:159]
	s_waitcnt vmcnt(3)
	v_add_f64 v[160:161], v[226:227], v[160:161]
	s_waitcnt vmcnt(2)
	v_add_f64 v[162:163], v[228:229], v[162:163]
	s_waitcnt vmcnt(1)
	v_add_f64 v[164:165], v[230:231], v[164:165]
	s_waitcnt vmcnt(0)
	v_add_f64 v[166:167], v[168:169], v[166:167]
	scratch_store_b64 v70, v[104:105], off
	scratch_store_b64 v71, v[106:107], off
	;; [unrolled: 1-line block ×32, first 2 shown]
	v_mov_b32_e32 v70, 0x100
	v_mov_b32_e32 v71, 0x108
	;; [unrolled: 1-line block ×32, first 2 shown]
	s_cbranch_vccnz .LBB140_68
; %bb.69:
	v_dual_mov_b32 v71, 8 :: v_dual_add_nc_u32 v60, 0x800, v68
	ds_load_2addr_b64 v[0:3], v68 offset0:1 offset1:17
	ds_load_2addr_b64 v[4:7], v68 offset0:33 offset1:49
	;; [unrolled: 1-line block ×12, first 2 shown]
	v_dual_mov_b32 v73, 24 :: v_dual_add_nc_u32 v64, 8, v69
	ds_load_2addr_b64 v[48:51], v60 offset0:129 offset1:145
	ds_load_2addr_b64 v[52:55], v60 offset0:161 offset1:177
	;; [unrolled: 1-line block ×4, first 2 shown]
	ds_load_2addr_stride64_b64 v[64:67], v64 offset1:4
	v_dual_mov_b32 v70, 0 :: v_dual_mov_b32 v75, 40
	v_dual_mov_b32 v72, 16 :: v_dual_mov_b32 v77, 56
	v_dual_mov_b32 v74, 32 :: v_dual_mov_b32 v79, 0x48
	v_dual_mov_b32 v76, 48 :: v_dual_mov_b32 v81, 0x58
	v_dual_mov_b32 v78, 64 :: v_dual_mov_b32 v83, 0x68
	v_mov_b32_e32 v80, 0x50
	v_mov_b32_e32 v82, 0x60
	;; [unrolled: 1-line block ×20, first 2 shown]
	s_mov_b64 s[2:3], 0
	s_mov_b32 s4, -1
.LBB140_70:                             ; =>This Inner Loop Header: Depth=1
	scratch_load_b64 v[104:105], v70, off
	scratch_load_b64 v[106:107], v71, off
	;; [unrolled: 1-line block ×32, first 2 shown]
	s_cmp_eq_u32 s2, 1
	s_waitcnt lgkmcnt(16)
	v_max_f64 v[170:171], v[0:1], v[0:1]
	s_cselect_b32 vcc_lo, -1, 0
	v_max_f64 v[172:173], v[2:3], v[2:3]
	s_waitcnt lgkmcnt(0)
	v_dual_cndmask_b32 v169, v65, v67 :: v_dual_cndmask_b32 v168, v64, v66
	v_max_f64 v[174:175], v[4:5], v[4:5]
	v_max_f64 v[176:177], v[6:7], v[6:7]
	;; [unrolled: 1-line block ×31, first 2 shown]
	s_mov_b64 s[2:3], 1
	s_and_b32 vcc_lo, exec_lo, s4
	s_mov_b32 s4, 0
	v_min_f64 v[170:171], v[170:171], v[168:169]
	v_min_f64 v[172:173], v[172:173], v[168:169]
	;; [unrolled: 1-line block ×32, first 2 shown]
	s_waitcnt vmcnt(31)
	v_add_f64 v[104:105], v[104:105], v[170:171]
	s_waitcnt vmcnt(30)
	v_add_f64 v[106:107], v[172:173], v[106:107]
	;; [unrolled: 2-line block ×32, first 2 shown]
	scratch_store_b64 v70, v[104:105], off
	scratch_store_b64 v71, v[106:107], off
	scratch_store_b64 v72, v[108:109], off
	scratch_store_b64 v73, v[110:111], off
	scratch_store_b64 v74, v[112:113], off
	scratch_store_b64 v75, v[114:115], off
	scratch_store_b64 v76, v[116:117], off
	scratch_store_b64 v77, v[118:119], off
	scratch_store_b64 v78, v[120:121], off
	scratch_store_b64 v79, v[122:123], off
	scratch_store_b64 v80, v[124:125], off
	scratch_store_b64 v81, v[126:127], off
	scratch_store_b64 v82, v[128:129], off
	scratch_store_b64 v83, v[130:131], off
	scratch_store_b64 v86, v[132:133], off
	scratch_store_b64 v87, v[134:135], off
	scratch_store_b64 v88, v[136:137], off
	scratch_store_b64 v89, v[138:139], off
	scratch_store_b64 v90, v[140:141], off
	scratch_store_b64 v91, v[142:143], off
	scratch_store_b64 v92, v[144:145], off
	scratch_store_b64 v93, v[146:147], off
	scratch_store_b64 v94, v[148:149], off
	scratch_store_b64 v95, v[150:151], off
	scratch_store_b64 v96, v[152:153], off
	scratch_store_b64 v97, v[154:155], off
	scratch_store_b64 v98, v[156:157], off
	scratch_store_b64 v99, v[158:159], off
	scratch_store_b64 v100, v[160:161], off
	scratch_store_b64 v101, v[162:163], off
	scratch_store_b64 v102, v[164:165], off
	scratch_store_b64 v103, v[166:167], off
	v_mov_b32_e32 v70, 0x100
	v_mov_b32_e32 v71, 0x108
	;; [unrolled: 1-line block ×32, first 2 shown]
	s_cbranch_vccnz .LBB140_70
; %bb.71:
	v_dual_mov_b32 v71, 8 :: v_dual_add_nc_u32 v60, 0x800, v68
	ds_load_2addr_b64 v[0:3], v68 offset0:2 offset1:18
	ds_load_2addr_b64 v[4:7], v68 offset0:34 offset1:50
	;; [unrolled: 1-line block ×12, first 2 shown]
	v_dual_mov_b32 v73, 24 :: v_dual_add_nc_u32 v64, 16, v69
	ds_load_2addr_b64 v[48:51], v60 offset0:130 offset1:146
	ds_load_2addr_b64 v[52:55], v60 offset0:162 offset1:178
	;; [unrolled: 1-line block ×4, first 2 shown]
	ds_load_2addr_stride64_b64 v[64:67], v64 offset1:4
	v_dual_mov_b32 v70, 0 :: v_dual_mov_b32 v75, 40
	v_dual_mov_b32 v72, 16 :: v_dual_mov_b32 v77, 56
	;; [unrolled: 1-line block ×5, first 2 shown]
	v_mov_b32_e32 v80, 0x50
	v_mov_b32_e32 v82, 0x60
	;; [unrolled: 1-line block ×20, first 2 shown]
	s_mov_b64 s[2:3], 0
	s_mov_b32 s4, -1
.LBB140_72:                             ; =>This Inner Loop Header: Depth=1
	scratch_load_b64 v[104:105], v70, off
	scratch_load_b64 v[106:107], v71, off
	;; [unrolled: 1-line block ×32, first 2 shown]
	s_cmp_eq_u32 s2, 1
	s_waitcnt lgkmcnt(16)
	v_max_f64 v[170:171], v[0:1], v[0:1]
	s_cselect_b32 vcc_lo, -1, 0
	v_max_f64 v[172:173], v[2:3], v[2:3]
	s_waitcnt lgkmcnt(0)
	v_dual_cndmask_b32 v169, v65, v67 :: v_dual_cndmask_b32 v168, v64, v66
	v_max_f64 v[174:175], v[4:5], v[4:5]
	v_max_f64 v[176:177], v[6:7], v[6:7]
	;; [unrolled: 1-line block ×31, first 2 shown]
	s_mov_b64 s[2:3], 1
	s_and_b32 vcc_lo, exec_lo, s4
	s_mov_b32 s4, 0
	v_min_f64 v[170:171], v[170:171], v[168:169]
	v_min_f64 v[172:173], v[172:173], v[168:169]
	;; [unrolled: 1-line block ×32, first 2 shown]
	s_waitcnt vmcnt(31)
	v_add_f64 v[104:105], v[104:105], v[170:171]
	s_waitcnt vmcnt(30)
	v_add_f64 v[106:107], v[172:173], v[106:107]
	;; [unrolled: 2-line block ×32, first 2 shown]
	scratch_store_b64 v70, v[104:105], off
	scratch_store_b64 v71, v[106:107], off
	;; [unrolled: 1-line block ×32, first 2 shown]
	v_mov_b32_e32 v70, 0x100
	v_mov_b32_e32 v71, 0x108
	;; [unrolled: 1-line block ×32, first 2 shown]
	s_cbranch_vccnz .LBB140_72
; %bb.73:
	v_add_nc_u32_e32 v60, 0x800, v68
	ds_load_2addr_b64 v[0:3], v68 offset0:3 offset1:19
	ds_load_2addr_b64 v[4:7], v68 offset0:35 offset1:51
	;; [unrolled: 1-line block ×4, first 2 shown]
	v_dual_mov_b32 v71, 24 :: v_dual_add_nc_u32 v64, 24, v69
	v_mov_b32_e32 v69, 8
	ds_load_2addr_b64 v[16:19], v68 offset0:131 offset1:147
	ds_load_2addr_b64 v[20:23], v68 offset0:163 offset1:179
	;; [unrolled: 1-line block ×12, first 2 shown]
	ds_load_2addr_stride64_b64 v[64:67], v64 offset1:4
	v_dual_mov_b32 v68, 0 :: v_dual_mov_b32 v73, 40
	v_dual_mov_b32 v70, 16 :: v_dual_mov_b32 v75, 56
	v_dual_mov_b32 v72, 32 :: v_dual_mov_b32 v77, 0x48
	v_dual_mov_b32 v74, 48 :: v_dual_mov_b32 v79, 0x58
	v_dual_mov_b32 v76, 64 :: v_dual_mov_b32 v81, 0x68
	v_mov_b32_e32 v78, 0x50
	v_mov_b32_e32 v80, 0x60
	;; [unrolled: 1-line block ×20, first 2 shown]
	s_mov_b64 s[2:3], 0
	s_mov_b32 s4, -1
.LBB140_74:                             ; =>This Inner Loop Header: Depth=1
	scratch_load_b64 v[102:103], v68, off
	scratch_load_b64 v[104:105], v69, off
	;; [unrolled: 1-line block ×32, first 2 shown]
	s_cmp_eq_u32 s2, 1
	s_waitcnt lgkmcnt(16)
	v_max_f64 v[168:169], v[0:1], v[0:1]
	s_cselect_b32 vcc_lo, -1, 0
	v_max_f64 v[170:171], v[2:3], v[2:3]
	s_waitcnt lgkmcnt(0)
	v_dual_cndmask_b32 v167, v65, v67 :: v_dual_cndmask_b32 v166, v64, v66
	v_max_f64 v[172:173], v[4:5], v[4:5]
	v_max_f64 v[174:175], v[6:7], v[6:7]
	;; [unrolled: 1-line block ×31, first 2 shown]
	s_mov_b64 s[2:3], 1
	s_and_b32 vcc_lo, exec_lo, s4
	s_mov_b32 s4, 0
	v_min_f64 v[168:169], v[168:169], v[166:167]
	v_min_f64 v[170:171], v[170:171], v[166:167]
	;; [unrolled: 1-line block ×32, first 2 shown]
	s_waitcnt vmcnt(31)
	v_add_f64 v[102:103], v[102:103], v[168:169]
	s_waitcnt vmcnt(30)
	v_add_f64 v[104:105], v[170:171], v[104:105]
	s_waitcnt vmcnt(29)
	v_add_f64 v[106:107], v[172:173], v[106:107]
	s_waitcnt vmcnt(28)
	v_add_f64 v[108:109], v[174:175], v[108:109]
	s_waitcnt vmcnt(27)
	v_add_f64 v[110:111], v[176:177], v[110:111]
	s_waitcnt vmcnt(26)
	v_add_f64 v[112:113], v[178:179], v[112:113]
	s_waitcnt vmcnt(25)
	v_add_f64 v[114:115], v[180:181], v[114:115]
	s_waitcnt vmcnt(24)
	v_add_f64 v[116:117], v[182:183], v[116:117]
	s_waitcnt vmcnt(23)
	v_add_f64 v[118:119], v[184:185], v[118:119]
	s_waitcnt vmcnt(22)
	v_add_f64 v[120:121], v[186:187], v[120:121]
	s_waitcnt vmcnt(21)
	v_add_f64 v[122:123], v[188:189], v[122:123]
	s_waitcnt vmcnt(20)
	v_add_f64 v[124:125], v[190:191], v[124:125]
	s_waitcnt vmcnt(19)
	v_add_f64 v[126:127], v[192:193], v[126:127]
	s_waitcnt vmcnt(18)
	v_add_f64 v[128:129], v[194:195], v[128:129]
	s_waitcnt vmcnt(17)
	v_add_f64 v[130:131], v[196:197], v[130:131]
	s_waitcnt vmcnt(16)
	v_add_f64 v[132:133], v[198:199], v[132:133]
	s_waitcnt vmcnt(15)
	v_add_f64 v[134:135], v[200:201], v[134:135]
	s_waitcnt vmcnt(14)
	v_add_f64 v[136:137], v[202:203], v[136:137]
	s_waitcnt vmcnt(13)
	v_add_f64 v[138:139], v[204:205], v[138:139]
	s_waitcnt vmcnt(12)
	v_add_f64 v[140:141], v[206:207], v[140:141]
	s_waitcnt vmcnt(11)
	v_add_f64 v[142:143], v[208:209], v[142:143]
	s_waitcnt vmcnt(10)
	v_add_f64 v[144:145], v[210:211], v[144:145]
	s_waitcnt vmcnt(9)
	v_add_f64 v[146:147], v[212:213], v[146:147]
	s_waitcnt vmcnt(8)
	v_add_f64 v[148:149], v[214:215], v[148:149]
	s_waitcnt vmcnt(7)
	v_add_f64 v[150:151], v[216:217], v[150:151]
	s_waitcnt vmcnt(6)
	v_add_f64 v[152:153], v[218:219], v[152:153]
	s_waitcnt vmcnt(5)
	v_add_f64 v[154:155], v[220:221], v[154:155]
	s_waitcnt vmcnt(4)
	v_add_f64 v[156:157], v[222:223], v[156:157]
	s_waitcnt vmcnt(3)
	v_add_f64 v[158:159], v[224:225], v[158:159]
	s_waitcnt vmcnt(2)
	v_add_f64 v[160:161], v[226:227], v[160:161]
	s_waitcnt vmcnt(1)
	v_add_f64 v[162:163], v[228:229], v[162:163]
	s_waitcnt vmcnt(0)
	v_add_f64 v[164:165], v[166:167], v[164:165]
	scratch_store_b64 v68, v[102:103], off
	scratch_store_b64 v69, v[104:105], off
	;; [unrolled: 1-line block ×32, first 2 shown]
	v_mov_b32_e32 v68, 0x100
	v_mov_b32_e32 v69, 0x108
	v_mov_b32_e32 v70, 0x110
	v_mov_b32_e32 v71, 0x118
	v_mov_b32_e32 v72, 0x120
	v_mov_b32_e32 v73, 0x128
	v_mov_b32_e32 v74, 0x130
	v_mov_b32_e32 v75, 0x138
	v_mov_b32_e32 v76, 0x140
	v_mov_b32_e32 v77, 0x148
	v_mov_b32_e32 v78, 0x150
	v_mov_b32_e32 v79, 0x158
	v_mov_b32_e32 v80, 0x160
	v_mov_b32_e32 v81, 0x168
	v_mov_b32_e32 v82, 0x170
	v_mov_b32_e32 v83, 0x178
	v_mov_b32_e32 v86, 0x180
	v_mov_b32_e32 v87, 0x188
	v_mov_b32_e32 v88, 0x190
	v_mov_b32_e32 v89, 0x198
	v_mov_b32_e32 v90, 0x1a0
	v_mov_b32_e32 v91, 0x1a8
	v_mov_b32_e32 v92, 0x1b0
	v_mov_b32_e32 v93, 0x1b8
	v_mov_b32_e32 v94, 0x1c0
	v_mov_b32_e32 v95, 0x1c8
	v_mov_b32_e32 v96, 0x1d0
	v_mov_b32_e32 v97, 0x1d8
	v_mov_b32_e32 v98, 0x1e0
	v_mov_b32_e32 v99, 0x1e8
	v_mov_b32_e32 v100, 0x1f0
	v_mov_b32_e32 v101, 0x1f8
	s_cbranch_vccnz .LBB140_74
; %bb.75:
	s_clause 0x2
	s_load_b32 s42, s[0:1], 0x58
	s_load_b32 s37, s[0:1], 0x70
	s_load_b64 s[2:3], s[0:1], 0x78
	v_add_nc_u32_e32 v71, s15, v85
	v_add_nc_u32_e32 v0, s14, v84
	v_cndmask_b32_e64 v70, 0, 1, s36
	s_delay_alu instid0(VALU_DEP_3) | instskip(NEXT) | instid1(VALU_DEP_3)
	v_cmp_gt_i32_e64 s11, s41, v71
	v_cmp_gt_i32_e64 s0, s40, v0
	s_waitcnt lgkmcnt(0)
	v_mad_i64_i32 v[1:2], null, v71, s42, 0
	v_mad_i64_i32 v[3:4], null, v71, s37, 0
	s_lshl_b64 s[2:3], s[2:3], 3
	s_delay_alu instid0(SALU_CYCLE_1) | instskip(SKIP_1) | instid1(VALU_DEP_2)
	s_add_u32 s43, s12, s2
	s_addc_u32 s44, s13, s3
	v_lshlrev_b64 v[5:6], 3, v[1:2]
	v_ashrrev_i32_e32 v1, 31, v0
	s_delay_alu instid0(VALU_DEP_3) | instskip(SKIP_1) | instid1(VALU_DEP_3)
	v_lshlrev_b64 v[2:3], 3, v[3:4]
	s_and_b32 s1, s11, s0
	v_add_co_u32 v68, vcc_lo, s34, v5
	s_delay_alu instid0(VALU_DEP_4) | instskip(NEXT) | instid1(VALU_DEP_3)
	v_add_co_ci_u32_e32 v69, vcc_lo, s35, v6, vcc_lo
	v_add_co_u32 v72, vcc_lo, s43, v2
	s_delay_alu instid0(VALU_DEP_4) | instskip(SKIP_1) | instid1(SALU_CYCLE_1)
	v_add_co_ci_u32_e32 v73, vcc_lo, s44, v3, vcc_lo
	s_and_saveexec_b32 s2, s1
	s_xor_b32 s1, exec_lo, s2
	s_cbranch_execz .LBB140_80
; %bb.76:
	scratch_load_b64 v[2:3], off, off
	v_lshlrev_b64 v[4:5], 3, v[0:1]
	s_and_not1_b32 vcc_lo, exec_lo, s36
	s_cbranch_vccnz .LBB140_78
; %bb.77:
	s_delay_alu instid0(VALU_DEP_1) | instskip(NEXT) | instid1(VALU_DEP_2)
	v_add_co_u32 v6, vcc_lo, v68, v4
	v_add_co_ci_u32_e32 v7, vcc_lo, v69, v5, vcc_lo
	flat_load_b64 v[6:7], v[6:7]
	s_waitcnt vmcnt(0) lgkmcnt(0)
	v_mul_f64 v[6:7], v[6:7], s[38:39]
	s_branch .LBB140_79
.LBB140_78:
	v_mov_b32_e32 v6, 0
	v_mov_b32_e32 v7, 0
.LBB140_79:
	s_waitcnt vmcnt(0)
	s_delay_alu instid0(VALU_DEP_1)
	v_add_f64 v[2:3], v[2:3], v[6:7]
	v_add_co_u32 v4, vcc_lo, v72, v4
	v_add_co_ci_u32_e32 v5, vcc_lo, v73, v5, vcc_lo
	global_store_b64 v[4:5], v[2:3], off
.LBB140_80:
	s_or_b32 exec_lo, exec_lo, s1
	v_add_nc_u32_e32 v2, 4, v0
	s_delay_alu instid0(VALU_DEP_1) | instskip(SKIP_1) | instid1(VALU_DEP_2)
	v_cmp_gt_i32_e64 s1, s40, v2
	v_ashrrev_i32_e32 v3, 31, v2
	s_and_b32 s3, s11, s1
	s_delay_alu instid0(SALU_CYCLE_1)
	s_and_saveexec_b32 s2, s3
	s_cbranch_execz .LBB140_85
; %bb.81:
	scratch_load_b64 v[4:5], off, off offset:8
	v_lshlrev_b64 v[6:7], 3, v[2:3]
	s_and_not1_b32 vcc_lo, exec_lo, s36
	s_cbranch_vccnz .LBB140_83
; %bb.82:
	s_delay_alu instid0(VALU_DEP_1) | instskip(NEXT) | instid1(VALU_DEP_2)
	v_add_co_u32 v8, vcc_lo, v68, v6
	v_add_co_ci_u32_e32 v9, vcc_lo, v69, v7, vcc_lo
	flat_load_b64 v[8:9], v[8:9]
	s_waitcnt vmcnt(0) lgkmcnt(0)
	v_mul_f64 v[8:9], v[8:9], s[38:39]
	s_branch .LBB140_84
.LBB140_83:
	v_mov_b32_e32 v8, 0
	v_mov_b32_e32 v9, 0
.LBB140_84:
	s_waitcnt vmcnt(0)
	s_delay_alu instid0(VALU_DEP_1)
	v_add_f64 v[4:5], v[4:5], v[8:9]
	v_add_co_u32 v6, vcc_lo, v72, v6
	v_add_co_ci_u32_e32 v7, vcc_lo, v73, v7, vcc_lo
	global_store_b64 v[6:7], v[4:5], off
.LBB140_85:
	s_or_b32 exec_lo, exec_lo, s2
	v_add_nc_u32_e32 v4, 8, v0
	s_delay_alu instid0(VALU_DEP_1) | instskip(SKIP_1) | instid1(VALU_DEP_2)
	v_cmp_gt_i32_e64 s2, s40, v4
	v_ashrrev_i32_e32 v5, 31, v4
	s_and_b32 s4, s11, s2
	s_delay_alu instid0(SALU_CYCLE_1)
	s_and_saveexec_b32 s3, s4
	s_cbranch_execz .LBB140_90
; %bb.86:
	scratch_load_b64 v[6:7], off, off offset:16
	v_lshlrev_b64 v[8:9], 3, v[4:5]
	s_and_not1_b32 vcc_lo, exec_lo, s36
	s_cbranch_vccnz .LBB140_88
; %bb.87:
	s_delay_alu instid0(VALU_DEP_1) | instskip(NEXT) | instid1(VALU_DEP_2)
	v_add_co_u32 v10, vcc_lo, v68, v8
	v_add_co_ci_u32_e32 v11, vcc_lo, v69, v9, vcc_lo
	flat_load_b64 v[10:11], v[10:11]
	s_waitcnt vmcnt(0) lgkmcnt(0)
	v_mul_f64 v[10:11], v[10:11], s[38:39]
	s_branch .LBB140_89
.LBB140_88:
	v_mov_b32_e32 v10, 0
	v_mov_b32_e32 v11, 0
.LBB140_89:
	s_waitcnt vmcnt(0)
	s_delay_alu instid0(VALU_DEP_1)
	v_add_f64 v[6:7], v[6:7], v[10:11]
	v_add_co_u32 v8, vcc_lo, v72, v8
	v_add_co_ci_u32_e32 v9, vcc_lo, v73, v9, vcc_lo
	global_store_b64 v[8:9], v[6:7], off
.LBB140_90:
	;; [unrolled: 33-line block ×31, first 2 shown]
	s_or_b32 exec_lo, exec_lo, s11
	v_add_nc_u32_e32 v68, 64, v71
	s_delay_alu instid0(VALU_DEP_1) | instskip(SKIP_2) | instid1(VALU_DEP_3)
	v_mad_i64_i32 v[64:65], null, v68, s42, 0
	v_mad_i64_i32 v[66:67], null, v68, s37, 0
	v_cmp_gt_i32_e64 s11, s41, v68
	v_lshlrev_b64 v[64:65], 3, v[64:65]
	s_delay_alu instid0(VALU_DEP_2) | instskip(NEXT) | instid1(VALU_DEP_3)
	s_and_b32 s0, s11, s0
	v_lshlrev_b64 v[66:67], 3, v[66:67]
	s_delay_alu instid0(VALU_DEP_2) | instskip(NEXT) | instid1(VALU_DEP_3)
	v_add_co_u32 v71, vcc_lo, s34, v64
	v_add_co_ci_u32_e32 v72, vcc_lo, s35, v65, vcc_lo
	s_delay_alu instid0(VALU_DEP_3) | instskip(NEXT) | instid1(VALU_DEP_4)
	v_add_co_u32 v68, vcc_lo, s43, v66
	v_add_co_ci_u32_e32 v69, vcc_lo, s44, v67, vcc_lo
	s_and_saveexec_b32 s34, s0
	s_delay_alu instid0(SALU_CYCLE_1)
	s_xor_b32 s0, exec_lo, s34
	s_cbranch_execnz .LBB140_268
; %bb.236:
	s_or_b32 exec_lo, exec_lo, s0
	s_and_b32 s1, s11, s1
	s_delay_alu instid0(SALU_CYCLE_1)
	s_and_saveexec_b32 s0, s1
	s_cbranch_execnz .LBB140_272
.LBB140_237:
	s_or_b32 exec_lo, exec_lo, s0
	s_and_b32 s1, s11, s2
	s_delay_alu instid0(SALU_CYCLE_1)
	s_and_saveexec_b32 s0, s1
	s_cbranch_execnz .LBB140_276
.LBB140_238:
	s_or_b32 exec_lo, exec_lo, s0
	s_and_b32 s1, s11, s3
	s_delay_alu instid0(SALU_CYCLE_1)
	s_and_saveexec_b32 s0, s1
	s_cbranch_execnz .LBB140_280
.LBB140_239:
	s_or_b32 exec_lo, exec_lo, s0
	s_and_b32 s1, s11, s4
	s_delay_alu instid0(SALU_CYCLE_1)
	s_and_saveexec_b32 s0, s1
	s_cbranch_execnz .LBB140_284
.LBB140_240:
	s_or_b32 exec_lo, exec_lo, s0
	s_and_b32 s1, s11, s5
	s_delay_alu instid0(SALU_CYCLE_1)
	s_and_saveexec_b32 s0, s1
	s_cbranch_execnz .LBB140_288
.LBB140_241:
	s_or_b32 exec_lo, exec_lo, s0
	s_and_b32 s1, s11, s6
	s_delay_alu instid0(SALU_CYCLE_1)
	s_and_saveexec_b32 s0, s1
	s_cbranch_execnz .LBB140_292
.LBB140_242:
	s_or_b32 exec_lo, exec_lo, s0
	s_and_b32 s1, s11, s7
	s_delay_alu instid0(SALU_CYCLE_1)
	s_and_saveexec_b32 s0, s1
	s_cbranch_execnz .LBB140_296
.LBB140_243:
	s_or_b32 exec_lo, exec_lo, s0
	s_and_b32 s1, s11, s8
	s_delay_alu instid0(SALU_CYCLE_1)
	s_and_saveexec_b32 s0, s1
	s_cbranch_execnz .LBB140_300
.LBB140_244:
	s_or_b32 exec_lo, exec_lo, s0
	s_and_b32 s1, s11, s9
	s_delay_alu instid0(SALU_CYCLE_1)
	s_and_saveexec_b32 s0, s1
	s_cbranch_execnz .LBB140_304
.LBB140_245:
	s_or_b32 exec_lo, exec_lo, s0
	s_and_b32 s1, s11, s10
	s_delay_alu instid0(SALU_CYCLE_1)
	s_and_saveexec_b32 s0, s1
	s_cbranch_execnz .LBB140_308
.LBB140_246:
	s_or_b32 exec_lo, exec_lo, s0
	s_and_b32 s1, s11, s12
	s_delay_alu instid0(SALU_CYCLE_1)
	s_and_saveexec_b32 s0, s1
	s_cbranch_execnz .LBB140_312
.LBB140_247:
	s_or_b32 exec_lo, exec_lo, s0
	s_and_b32 s1, s11, s13
	s_delay_alu instid0(SALU_CYCLE_1)
	s_and_saveexec_b32 s0, s1
	s_cbranch_execnz .LBB140_316
.LBB140_248:
	s_or_b32 exec_lo, exec_lo, s0
	s_and_b32 s1, s11, s14
	s_delay_alu instid0(SALU_CYCLE_1)
	s_and_saveexec_b32 s0, s1
	s_cbranch_execnz .LBB140_320
.LBB140_249:
	s_or_b32 exec_lo, exec_lo, s0
	s_and_b32 s1, s11, s15
	s_delay_alu instid0(SALU_CYCLE_1)
	s_and_saveexec_b32 s0, s1
	s_cbranch_execnz .LBB140_324
.LBB140_250:
	s_or_b32 exec_lo, exec_lo, s0
	s_and_b32 s1, s11, s16
	s_delay_alu instid0(SALU_CYCLE_1)
	s_and_saveexec_b32 s0, s1
	s_cbranch_execnz .LBB140_328
.LBB140_251:
	s_or_b32 exec_lo, exec_lo, s0
	s_and_b32 s1, s11, s17
	s_delay_alu instid0(SALU_CYCLE_1)
	s_and_saveexec_b32 s0, s1
	s_cbranch_execnz .LBB140_332
.LBB140_252:
	s_or_b32 exec_lo, exec_lo, s0
	s_and_b32 s1, s11, s18
	s_delay_alu instid0(SALU_CYCLE_1)
	s_and_saveexec_b32 s0, s1
	s_cbranch_execnz .LBB140_336
.LBB140_253:
	s_or_b32 exec_lo, exec_lo, s0
	s_and_b32 s1, s11, s19
	s_delay_alu instid0(SALU_CYCLE_1)
	s_and_saveexec_b32 s0, s1
	s_cbranch_execnz .LBB140_340
.LBB140_254:
	s_or_b32 exec_lo, exec_lo, s0
	s_and_b32 s1, s11, s20
	s_delay_alu instid0(SALU_CYCLE_1)
	s_and_saveexec_b32 s0, s1
	s_cbranch_execnz .LBB140_344
.LBB140_255:
	s_or_b32 exec_lo, exec_lo, s0
	s_and_b32 s1, s11, s21
	s_delay_alu instid0(SALU_CYCLE_1)
	s_and_saveexec_b32 s0, s1
	s_cbranch_execnz .LBB140_348
.LBB140_256:
	s_or_b32 exec_lo, exec_lo, s0
	s_and_b32 s1, s11, s22
	s_delay_alu instid0(SALU_CYCLE_1)
	s_and_saveexec_b32 s0, s1
	s_cbranch_execnz .LBB140_352
.LBB140_257:
	s_or_b32 exec_lo, exec_lo, s0
	s_and_b32 s1, s11, s23
	s_delay_alu instid0(SALU_CYCLE_1)
	s_and_saveexec_b32 s0, s1
	s_cbranch_execnz .LBB140_356
.LBB140_258:
	s_or_b32 exec_lo, exec_lo, s0
	s_and_b32 s1, s11, s24
	s_delay_alu instid0(SALU_CYCLE_1)
	s_and_saveexec_b32 s0, s1
	s_cbranch_execnz .LBB140_360
.LBB140_259:
	s_or_b32 exec_lo, exec_lo, s0
	s_and_b32 s1, s11, s25
	s_delay_alu instid0(SALU_CYCLE_1)
	s_and_saveexec_b32 s0, s1
	s_cbranch_execnz .LBB140_364
.LBB140_260:
	s_or_b32 exec_lo, exec_lo, s0
	s_and_b32 s1, s11, s26
	s_delay_alu instid0(SALU_CYCLE_1)
	s_and_saveexec_b32 s0, s1
	s_cbranch_execnz .LBB140_368
.LBB140_261:
	s_or_b32 exec_lo, exec_lo, s0
	s_and_b32 s1, s11, s27
	s_delay_alu instid0(SALU_CYCLE_1)
	s_and_saveexec_b32 s0, s1
	s_cbranch_execnz .LBB140_372
.LBB140_262:
	s_or_b32 exec_lo, exec_lo, s0
	s_and_b32 s1, s11, s28
	s_delay_alu instid0(SALU_CYCLE_1)
	s_and_saveexec_b32 s0, s1
	s_cbranch_execnz .LBB140_376
.LBB140_263:
	s_or_b32 exec_lo, exec_lo, s0
	s_and_b32 s1, s11, s29
	s_delay_alu instid0(SALU_CYCLE_1)
	s_and_saveexec_b32 s0, s1
	s_cbranch_execnz .LBB140_380
.LBB140_264:
	s_or_b32 exec_lo, exec_lo, s0
	s_and_b32 s1, s11, s30
	s_delay_alu instid0(SALU_CYCLE_1)
	s_and_saveexec_b32 s0, s1
	s_cbranch_execnz .LBB140_384
.LBB140_265:
	s_or_b32 exec_lo, exec_lo, s0
	s_and_b32 s1, s11, s31
	s_delay_alu instid0(SALU_CYCLE_1)
	s_and_saveexec_b32 s0, s1
	s_cbranch_execnz .LBB140_388
.LBB140_266:
	s_or_b32 exec_lo, exec_lo, s0
	s_and_b32 s0, s11, s33
	s_delay_alu instid0(SALU_CYCLE_1)
	s_and_saveexec_b32 s1, s0
	s_cbranch_execnz .LBB140_392
.LBB140_267:
	s_endpgm
.LBB140_268:
	scratch_load_b64 v[64:65], off, off offset:256
	v_lshlrev_b64 v[0:1], 3, v[0:1]
	s_and_not1_b32 vcc_lo, exec_lo, s36
	s_cbranch_vccnz .LBB140_270
; %bb.269:
	s_delay_alu instid0(VALU_DEP_1) | instskip(NEXT) | instid1(VALU_DEP_2)
	v_add_co_u32 v66, vcc_lo, v71, v0
	v_add_co_ci_u32_e32 v67, vcc_lo, v72, v1, vcc_lo
	flat_load_b64 v[66:67], v[66:67]
	s_waitcnt vmcnt(0) lgkmcnt(0)
	v_mul_f64 v[66:67], v[66:67], s[38:39]
	s_branch .LBB140_271
.LBB140_270:
	v_mov_b32_e32 v66, 0
	v_mov_b32_e32 v67, 0
.LBB140_271:
	s_waitcnt vmcnt(0)
	s_delay_alu instid0(VALU_DEP_1)
	v_add_f64 v[64:65], v[64:65], v[66:67]
	v_add_co_u32 v0, vcc_lo, v68, v0
	v_add_co_ci_u32_e32 v1, vcc_lo, v69, v1, vcc_lo
	global_store_b64 v[0:1], v[64:65], off
	s_or_b32 exec_lo, exec_lo, s0
	s_and_b32 s1, s11, s1
	s_delay_alu instid0(SALU_CYCLE_1)
	s_and_saveexec_b32 s0, s1
	s_cbranch_execz .LBB140_237
.LBB140_272:
	scratch_load_b64 v[0:1], off, off offset:264
	v_cmp_ne_u32_e32 vcc_lo, 1, v70
	v_lshlrev_b64 v[2:3], 3, v[2:3]
	s_cbranch_vccnz .LBB140_274
; %bb.273:
	s_delay_alu instid0(VALU_DEP_1) | instskip(NEXT) | instid1(VALU_DEP_2)
	v_add_co_u32 v64, vcc_lo, v71, v2
	v_add_co_ci_u32_e32 v65, vcc_lo, v72, v3, vcc_lo
	flat_load_b64 v[64:65], v[64:65]
	s_waitcnt vmcnt(0) lgkmcnt(0)
	v_mul_f64 v[64:65], v[64:65], s[38:39]
	s_branch .LBB140_275
.LBB140_274:
	v_mov_b32_e32 v64, 0
	v_mov_b32_e32 v65, 0
.LBB140_275:
	s_waitcnt vmcnt(0)
	s_delay_alu instid0(VALU_DEP_1)
	v_add_f64 v[0:1], v[0:1], v[64:65]
	v_add_co_u32 v2, vcc_lo, v68, v2
	v_add_co_ci_u32_e32 v3, vcc_lo, v69, v3, vcc_lo
	global_store_b64 v[2:3], v[0:1], off
	s_or_b32 exec_lo, exec_lo, s0
	s_and_b32 s1, s11, s2
	s_delay_alu instid0(SALU_CYCLE_1)
	s_and_saveexec_b32 s0, s1
	s_cbranch_execz .LBB140_238
.LBB140_276:
	scratch_load_b64 v[0:1], off, off offset:272
	v_cmp_ne_u32_e32 vcc_lo, 1, v70
	v_lshlrev_b64 v[2:3], 3, v[4:5]
	s_cbranch_vccnz .LBB140_278
; %bb.277:
	s_delay_alu instid0(VALU_DEP_1) | instskip(NEXT) | instid1(VALU_DEP_2)
	v_add_co_u32 v4, vcc_lo, v71, v2
	v_add_co_ci_u32_e32 v5, vcc_lo, v72, v3, vcc_lo
	flat_load_b64 v[4:5], v[4:5]
	s_waitcnt vmcnt(0) lgkmcnt(0)
	v_mul_f64 v[4:5], v[4:5], s[38:39]
	s_branch .LBB140_279
.LBB140_278:
	v_mov_b32_e32 v4, 0
	v_mov_b32_e32 v5, 0
.LBB140_279:
	s_waitcnt vmcnt(0)
	s_delay_alu instid0(VALU_DEP_1)
	v_add_f64 v[0:1], v[0:1], v[4:5]
	v_add_co_u32 v2, vcc_lo, v68, v2
	v_add_co_ci_u32_e32 v3, vcc_lo, v69, v3, vcc_lo
	global_store_b64 v[2:3], v[0:1], off
	s_or_b32 exec_lo, exec_lo, s0
	s_and_b32 s1, s11, s3
	s_delay_alu instid0(SALU_CYCLE_1)
	s_and_saveexec_b32 s0, s1
	s_cbranch_execz .LBB140_239
.LBB140_280:
	scratch_load_b64 v[0:1], off, off offset:280
	v_cmp_ne_u32_e32 vcc_lo, 1, v70
	v_lshlrev_b64 v[2:3], 3, v[6:7]
	s_cbranch_vccnz .LBB140_282
; %bb.281:
	s_delay_alu instid0(VALU_DEP_1) | instskip(NEXT) | instid1(VALU_DEP_2)
	v_add_co_u32 v4, vcc_lo, v71, v2
	v_add_co_ci_u32_e32 v5, vcc_lo, v72, v3, vcc_lo
	flat_load_b64 v[4:5], v[4:5]
	s_waitcnt vmcnt(0) lgkmcnt(0)
	v_mul_f64 v[4:5], v[4:5], s[38:39]
	s_branch .LBB140_283
.LBB140_282:
	v_mov_b32_e32 v4, 0
	v_mov_b32_e32 v5, 0
.LBB140_283:
	s_waitcnt vmcnt(0)
	s_delay_alu instid0(VALU_DEP_1)
	v_add_f64 v[0:1], v[0:1], v[4:5]
	v_add_co_u32 v2, vcc_lo, v68, v2
	v_add_co_ci_u32_e32 v3, vcc_lo, v69, v3, vcc_lo
	global_store_b64 v[2:3], v[0:1], off
	s_or_b32 exec_lo, exec_lo, s0
	s_and_b32 s1, s11, s4
	s_delay_alu instid0(SALU_CYCLE_1)
	s_and_saveexec_b32 s0, s1
	s_cbranch_execz .LBB140_240
.LBB140_284:
	scratch_load_b64 v[0:1], off, off offset:288
	v_cmp_ne_u32_e32 vcc_lo, 1, v70
	v_lshlrev_b64 v[2:3], 3, v[8:9]
	s_cbranch_vccnz .LBB140_286
; %bb.285:
	s_delay_alu instid0(VALU_DEP_1) | instskip(NEXT) | instid1(VALU_DEP_2)
	v_add_co_u32 v4, vcc_lo, v71, v2
	v_add_co_ci_u32_e32 v5, vcc_lo, v72, v3, vcc_lo
	flat_load_b64 v[4:5], v[4:5]
	s_waitcnt vmcnt(0) lgkmcnt(0)
	v_mul_f64 v[4:5], v[4:5], s[38:39]
	s_branch .LBB140_287
.LBB140_286:
	v_mov_b32_e32 v4, 0
	v_mov_b32_e32 v5, 0
.LBB140_287:
	s_waitcnt vmcnt(0)
	s_delay_alu instid0(VALU_DEP_1)
	v_add_f64 v[0:1], v[0:1], v[4:5]
	v_add_co_u32 v2, vcc_lo, v68, v2
	v_add_co_ci_u32_e32 v3, vcc_lo, v69, v3, vcc_lo
	global_store_b64 v[2:3], v[0:1], off
	s_or_b32 exec_lo, exec_lo, s0
	s_and_b32 s1, s11, s5
	s_delay_alu instid0(SALU_CYCLE_1)
	s_and_saveexec_b32 s0, s1
	s_cbranch_execz .LBB140_241
.LBB140_288:
	scratch_load_b64 v[0:1], off, off offset:296
	v_cmp_ne_u32_e32 vcc_lo, 1, v70
	v_lshlrev_b64 v[2:3], 3, v[10:11]
	s_cbranch_vccnz .LBB140_290
; %bb.289:
	s_delay_alu instid0(VALU_DEP_1) | instskip(NEXT) | instid1(VALU_DEP_2)
	v_add_co_u32 v4, vcc_lo, v71, v2
	v_add_co_ci_u32_e32 v5, vcc_lo, v72, v3, vcc_lo
	flat_load_b64 v[4:5], v[4:5]
	s_waitcnt vmcnt(0) lgkmcnt(0)
	v_mul_f64 v[4:5], v[4:5], s[38:39]
	s_branch .LBB140_291
.LBB140_290:
	v_mov_b32_e32 v4, 0
	v_mov_b32_e32 v5, 0
.LBB140_291:
	s_waitcnt vmcnt(0)
	s_delay_alu instid0(VALU_DEP_1)
	v_add_f64 v[0:1], v[0:1], v[4:5]
	v_add_co_u32 v2, vcc_lo, v68, v2
	v_add_co_ci_u32_e32 v3, vcc_lo, v69, v3, vcc_lo
	global_store_b64 v[2:3], v[0:1], off
	s_or_b32 exec_lo, exec_lo, s0
	s_and_b32 s1, s11, s6
	s_delay_alu instid0(SALU_CYCLE_1)
	s_and_saveexec_b32 s0, s1
	s_cbranch_execz .LBB140_242
.LBB140_292:
	scratch_load_b64 v[0:1], off, off offset:304
	v_cmp_ne_u32_e32 vcc_lo, 1, v70
	v_lshlrev_b64 v[2:3], 3, v[12:13]
	s_cbranch_vccnz .LBB140_294
; %bb.293:
	s_delay_alu instid0(VALU_DEP_1) | instskip(NEXT) | instid1(VALU_DEP_2)
	v_add_co_u32 v4, vcc_lo, v71, v2
	v_add_co_ci_u32_e32 v5, vcc_lo, v72, v3, vcc_lo
	flat_load_b64 v[4:5], v[4:5]
	s_waitcnt vmcnt(0) lgkmcnt(0)
	v_mul_f64 v[4:5], v[4:5], s[38:39]
	s_branch .LBB140_295
.LBB140_294:
	v_mov_b32_e32 v4, 0
	v_mov_b32_e32 v5, 0
.LBB140_295:
	s_waitcnt vmcnt(0)
	s_delay_alu instid0(VALU_DEP_1)
	v_add_f64 v[0:1], v[0:1], v[4:5]
	v_add_co_u32 v2, vcc_lo, v68, v2
	v_add_co_ci_u32_e32 v3, vcc_lo, v69, v3, vcc_lo
	global_store_b64 v[2:3], v[0:1], off
	s_or_b32 exec_lo, exec_lo, s0
	s_and_b32 s1, s11, s7
	s_delay_alu instid0(SALU_CYCLE_1)
	s_and_saveexec_b32 s0, s1
	s_cbranch_execz .LBB140_243
.LBB140_296:
	scratch_load_b64 v[0:1], off, off offset:312
	v_cmp_ne_u32_e32 vcc_lo, 1, v70
	v_lshlrev_b64 v[2:3], 3, v[14:15]
	s_cbranch_vccnz .LBB140_298
; %bb.297:
	s_delay_alu instid0(VALU_DEP_1) | instskip(NEXT) | instid1(VALU_DEP_2)
	v_add_co_u32 v4, vcc_lo, v71, v2
	v_add_co_ci_u32_e32 v5, vcc_lo, v72, v3, vcc_lo
	flat_load_b64 v[4:5], v[4:5]
	s_waitcnt vmcnt(0) lgkmcnt(0)
	v_mul_f64 v[4:5], v[4:5], s[38:39]
	s_branch .LBB140_299
.LBB140_298:
	v_mov_b32_e32 v4, 0
	v_mov_b32_e32 v5, 0
.LBB140_299:
	s_waitcnt vmcnt(0)
	s_delay_alu instid0(VALU_DEP_1)
	v_add_f64 v[0:1], v[0:1], v[4:5]
	v_add_co_u32 v2, vcc_lo, v68, v2
	v_add_co_ci_u32_e32 v3, vcc_lo, v69, v3, vcc_lo
	global_store_b64 v[2:3], v[0:1], off
	s_or_b32 exec_lo, exec_lo, s0
	s_and_b32 s1, s11, s8
	s_delay_alu instid0(SALU_CYCLE_1)
	s_and_saveexec_b32 s0, s1
	s_cbranch_execz .LBB140_244
.LBB140_300:
	scratch_load_b64 v[0:1], off, off offset:320
	v_cmp_ne_u32_e32 vcc_lo, 1, v70
	v_lshlrev_b64 v[2:3], 3, v[16:17]
	s_cbranch_vccnz .LBB140_302
; %bb.301:
	s_delay_alu instid0(VALU_DEP_1) | instskip(NEXT) | instid1(VALU_DEP_2)
	v_add_co_u32 v4, vcc_lo, v71, v2
	v_add_co_ci_u32_e32 v5, vcc_lo, v72, v3, vcc_lo
	flat_load_b64 v[4:5], v[4:5]
	s_waitcnt vmcnt(0) lgkmcnt(0)
	v_mul_f64 v[4:5], v[4:5], s[38:39]
	s_branch .LBB140_303
.LBB140_302:
	v_mov_b32_e32 v4, 0
	v_mov_b32_e32 v5, 0
.LBB140_303:
	s_waitcnt vmcnt(0)
	s_delay_alu instid0(VALU_DEP_1)
	v_add_f64 v[0:1], v[0:1], v[4:5]
	v_add_co_u32 v2, vcc_lo, v68, v2
	v_add_co_ci_u32_e32 v3, vcc_lo, v69, v3, vcc_lo
	global_store_b64 v[2:3], v[0:1], off
	s_or_b32 exec_lo, exec_lo, s0
	s_and_b32 s1, s11, s9
	s_delay_alu instid0(SALU_CYCLE_1)
	s_and_saveexec_b32 s0, s1
	s_cbranch_execz .LBB140_245
.LBB140_304:
	scratch_load_b64 v[0:1], off, off offset:328
	v_cmp_ne_u32_e32 vcc_lo, 1, v70
	v_lshlrev_b64 v[2:3], 3, v[18:19]
	s_cbranch_vccnz .LBB140_306
; %bb.305:
	s_delay_alu instid0(VALU_DEP_1) | instskip(NEXT) | instid1(VALU_DEP_2)
	v_add_co_u32 v4, vcc_lo, v71, v2
	v_add_co_ci_u32_e32 v5, vcc_lo, v72, v3, vcc_lo
	flat_load_b64 v[4:5], v[4:5]
	s_waitcnt vmcnt(0) lgkmcnt(0)
	v_mul_f64 v[4:5], v[4:5], s[38:39]
	s_branch .LBB140_307
.LBB140_306:
	v_mov_b32_e32 v4, 0
	v_mov_b32_e32 v5, 0
.LBB140_307:
	s_waitcnt vmcnt(0)
	s_delay_alu instid0(VALU_DEP_1)
	v_add_f64 v[0:1], v[0:1], v[4:5]
	v_add_co_u32 v2, vcc_lo, v68, v2
	v_add_co_ci_u32_e32 v3, vcc_lo, v69, v3, vcc_lo
	global_store_b64 v[2:3], v[0:1], off
	s_or_b32 exec_lo, exec_lo, s0
	s_and_b32 s1, s11, s10
	s_delay_alu instid0(SALU_CYCLE_1)
	s_and_saveexec_b32 s0, s1
	s_cbranch_execz .LBB140_246
.LBB140_308:
	scratch_load_b64 v[0:1], off, off offset:336
	v_cmp_ne_u32_e32 vcc_lo, 1, v70
	v_lshlrev_b64 v[2:3], 3, v[20:21]
	s_cbranch_vccnz .LBB140_310
; %bb.309:
	s_delay_alu instid0(VALU_DEP_1) | instskip(NEXT) | instid1(VALU_DEP_2)
	v_add_co_u32 v4, vcc_lo, v71, v2
	v_add_co_ci_u32_e32 v5, vcc_lo, v72, v3, vcc_lo
	flat_load_b64 v[4:5], v[4:5]
	s_waitcnt vmcnt(0) lgkmcnt(0)
	v_mul_f64 v[4:5], v[4:5], s[38:39]
	s_branch .LBB140_311
.LBB140_310:
	v_mov_b32_e32 v4, 0
	v_mov_b32_e32 v5, 0
.LBB140_311:
	s_waitcnt vmcnt(0)
	s_delay_alu instid0(VALU_DEP_1)
	v_add_f64 v[0:1], v[0:1], v[4:5]
	v_add_co_u32 v2, vcc_lo, v68, v2
	v_add_co_ci_u32_e32 v3, vcc_lo, v69, v3, vcc_lo
	global_store_b64 v[2:3], v[0:1], off
	s_or_b32 exec_lo, exec_lo, s0
	s_and_b32 s1, s11, s12
	s_delay_alu instid0(SALU_CYCLE_1)
	s_and_saveexec_b32 s0, s1
	s_cbranch_execz .LBB140_247
.LBB140_312:
	scratch_load_b64 v[0:1], off, off offset:344
	v_cmp_ne_u32_e32 vcc_lo, 1, v70
	v_lshlrev_b64 v[2:3], 3, v[22:23]
	s_cbranch_vccnz .LBB140_314
; %bb.313:
	s_delay_alu instid0(VALU_DEP_1) | instskip(NEXT) | instid1(VALU_DEP_2)
	v_add_co_u32 v4, vcc_lo, v71, v2
	v_add_co_ci_u32_e32 v5, vcc_lo, v72, v3, vcc_lo
	flat_load_b64 v[4:5], v[4:5]
	s_waitcnt vmcnt(0) lgkmcnt(0)
	v_mul_f64 v[4:5], v[4:5], s[38:39]
	s_branch .LBB140_315
.LBB140_314:
	v_mov_b32_e32 v4, 0
	v_mov_b32_e32 v5, 0
.LBB140_315:
	s_waitcnt vmcnt(0)
	s_delay_alu instid0(VALU_DEP_1)
	v_add_f64 v[0:1], v[0:1], v[4:5]
	v_add_co_u32 v2, vcc_lo, v68, v2
	v_add_co_ci_u32_e32 v3, vcc_lo, v69, v3, vcc_lo
	global_store_b64 v[2:3], v[0:1], off
	s_or_b32 exec_lo, exec_lo, s0
	s_and_b32 s1, s11, s13
	s_delay_alu instid0(SALU_CYCLE_1)
	s_and_saveexec_b32 s0, s1
	s_cbranch_execz .LBB140_248
.LBB140_316:
	scratch_load_b64 v[0:1], off, off offset:352
	v_cmp_ne_u32_e32 vcc_lo, 1, v70
	v_lshlrev_b64 v[2:3], 3, v[24:25]
	s_cbranch_vccnz .LBB140_318
; %bb.317:
	s_delay_alu instid0(VALU_DEP_1) | instskip(NEXT) | instid1(VALU_DEP_2)
	v_add_co_u32 v4, vcc_lo, v71, v2
	v_add_co_ci_u32_e32 v5, vcc_lo, v72, v3, vcc_lo
	flat_load_b64 v[4:5], v[4:5]
	s_waitcnt vmcnt(0) lgkmcnt(0)
	v_mul_f64 v[4:5], v[4:5], s[38:39]
	s_branch .LBB140_319
.LBB140_318:
	v_mov_b32_e32 v4, 0
	v_mov_b32_e32 v5, 0
.LBB140_319:
	s_waitcnt vmcnt(0)
	s_delay_alu instid0(VALU_DEP_1)
	v_add_f64 v[0:1], v[0:1], v[4:5]
	v_add_co_u32 v2, vcc_lo, v68, v2
	v_add_co_ci_u32_e32 v3, vcc_lo, v69, v3, vcc_lo
	global_store_b64 v[2:3], v[0:1], off
	s_or_b32 exec_lo, exec_lo, s0
	s_and_b32 s1, s11, s14
	s_delay_alu instid0(SALU_CYCLE_1)
	s_and_saveexec_b32 s0, s1
	s_cbranch_execz .LBB140_249
.LBB140_320:
	scratch_load_b64 v[0:1], off, off offset:360
	v_cmp_ne_u32_e32 vcc_lo, 1, v70
	v_lshlrev_b64 v[2:3], 3, v[26:27]
	s_cbranch_vccnz .LBB140_322
; %bb.321:
	s_delay_alu instid0(VALU_DEP_1) | instskip(NEXT) | instid1(VALU_DEP_2)
	v_add_co_u32 v4, vcc_lo, v71, v2
	v_add_co_ci_u32_e32 v5, vcc_lo, v72, v3, vcc_lo
	flat_load_b64 v[4:5], v[4:5]
	s_waitcnt vmcnt(0) lgkmcnt(0)
	v_mul_f64 v[4:5], v[4:5], s[38:39]
	s_branch .LBB140_323
.LBB140_322:
	v_mov_b32_e32 v4, 0
	v_mov_b32_e32 v5, 0
.LBB140_323:
	s_waitcnt vmcnt(0)
	s_delay_alu instid0(VALU_DEP_1)
	v_add_f64 v[0:1], v[0:1], v[4:5]
	v_add_co_u32 v2, vcc_lo, v68, v2
	v_add_co_ci_u32_e32 v3, vcc_lo, v69, v3, vcc_lo
	global_store_b64 v[2:3], v[0:1], off
	s_or_b32 exec_lo, exec_lo, s0
	s_and_b32 s1, s11, s15
	s_delay_alu instid0(SALU_CYCLE_1)
	s_and_saveexec_b32 s0, s1
	s_cbranch_execz .LBB140_250
.LBB140_324:
	scratch_load_b64 v[0:1], off, off offset:368
	v_cmp_ne_u32_e32 vcc_lo, 1, v70
	v_lshlrev_b64 v[2:3], 3, v[28:29]
	s_cbranch_vccnz .LBB140_326
; %bb.325:
	s_delay_alu instid0(VALU_DEP_1) | instskip(NEXT) | instid1(VALU_DEP_2)
	v_add_co_u32 v4, vcc_lo, v71, v2
	v_add_co_ci_u32_e32 v5, vcc_lo, v72, v3, vcc_lo
	flat_load_b64 v[4:5], v[4:5]
	s_waitcnt vmcnt(0) lgkmcnt(0)
	v_mul_f64 v[4:5], v[4:5], s[38:39]
	s_branch .LBB140_327
.LBB140_326:
	v_mov_b32_e32 v4, 0
	v_mov_b32_e32 v5, 0
.LBB140_327:
	s_waitcnt vmcnt(0)
	s_delay_alu instid0(VALU_DEP_1)
	v_add_f64 v[0:1], v[0:1], v[4:5]
	v_add_co_u32 v2, vcc_lo, v68, v2
	v_add_co_ci_u32_e32 v3, vcc_lo, v69, v3, vcc_lo
	global_store_b64 v[2:3], v[0:1], off
	s_or_b32 exec_lo, exec_lo, s0
	s_and_b32 s1, s11, s16
	s_delay_alu instid0(SALU_CYCLE_1)
	s_and_saveexec_b32 s0, s1
	s_cbranch_execz .LBB140_251
.LBB140_328:
	scratch_load_b64 v[0:1], off, off offset:376
	v_cmp_ne_u32_e32 vcc_lo, 1, v70
	v_lshlrev_b64 v[2:3], 3, v[30:31]
	s_cbranch_vccnz .LBB140_330
; %bb.329:
	s_delay_alu instid0(VALU_DEP_1) | instskip(NEXT) | instid1(VALU_DEP_2)
	v_add_co_u32 v4, vcc_lo, v71, v2
	v_add_co_ci_u32_e32 v5, vcc_lo, v72, v3, vcc_lo
	flat_load_b64 v[4:5], v[4:5]
	s_waitcnt vmcnt(0) lgkmcnt(0)
	v_mul_f64 v[4:5], v[4:5], s[38:39]
	s_branch .LBB140_331
.LBB140_330:
	v_mov_b32_e32 v4, 0
	v_mov_b32_e32 v5, 0
.LBB140_331:
	s_waitcnt vmcnt(0)
	s_delay_alu instid0(VALU_DEP_1)
	v_add_f64 v[0:1], v[0:1], v[4:5]
	v_add_co_u32 v2, vcc_lo, v68, v2
	v_add_co_ci_u32_e32 v3, vcc_lo, v69, v3, vcc_lo
	global_store_b64 v[2:3], v[0:1], off
	s_or_b32 exec_lo, exec_lo, s0
	s_and_b32 s1, s11, s17
	s_delay_alu instid0(SALU_CYCLE_1)
	s_and_saveexec_b32 s0, s1
	s_cbranch_execz .LBB140_252
.LBB140_332:
	scratch_load_b64 v[0:1], off, off offset:384
	v_cmp_ne_u32_e32 vcc_lo, 1, v70
	v_lshlrev_b64 v[2:3], 3, v[32:33]
	s_cbranch_vccnz .LBB140_334
; %bb.333:
	s_delay_alu instid0(VALU_DEP_1) | instskip(NEXT) | instid1(VALU_DEP_2)
	v_add_co_u32 v4, vcc_lo, v71, v2
	v_add_co_ci_u32_e32 v5, vcc_lo, v72, v3, vcc_lo
	flat_load_b64 v[4:5], v[4:5]
	s_waitcnt vmcnt(0) lgkmcnt(0)
	v_mul_f64 v[4:5], v[4:5], s[38:39]
	s_branch .LBB140_335
.LBB140_334:
	v_mov_b32_e32 v4, 0
	v_mov_b32_e32 v5, 0
.LBB140_335:
	s_waitcnt vmcnt(0)
	s_delay_alu instid0(VALU_DEP_1)
	v_add_f64 v[0:1], v[0:1], v[4:5]
	v_add_co_u32 v2, vcc_lo, v68, v2
	v_add_co_ci_u32_e32 v3, vcc_lo, v69, v3, vcc_lo
	global_store_b64 v[2:3], v[0:1], off
	s_or_b32 exec_lo, exec_lo, s0
	s_and_b32 s1, s11, s18
	s_delay_alu instid0(SALU_CYCLE_1)
	s_and_saveexec_b32 s0, s1
	s_cbranch_execz .LBB140_253
.LBB140_336:
	scratch_load_b64 v[0:1], off, off offset:392
	v_cmp_ne_u32_e32 vcc_lo, 1, v70
	v_lshlrev_b64 v[2:3], 3, v[34:35]
	s_cbranch_vccnz .LBB140_338
; %bb.337:
	s_delay_alu instid0(VALU_DEP_1) | instskip(NEXT) | instid1(VALU_DEP_2)
	v_add_co_u32 v4, vcc_lo, v71, v2
	v_add_co_ci_u32_e32 v5, vcc_lo, v72, v3, vcc_lo
	flat_load_b64 v[4:5], v[4:5]
	s_waitcnt vmcnt(0) lgkmcnt(0)
	v_mul_f64 v[4:5], v[4:5], s[38:39]
	s_branch .LBB140_339
.LBB140_338:
	v_mov_b32_e32 v4, 0
	v_mov_b32_e32 v5, 0
.LBB140_339:
	s_waitcnt vmcnt(0)
	s_delay_alu instid0(VALU_DEP_1)
	v_add_f64 v[0:1], v[0:1], v[4:5]
	v_add_co_u32 v2, vcc_lo, v68, v2
	v_add_co_ci_u32_e32 v3, vcc_lo, v69, v3, vcc_lo
	global_store_b64 v[2:3], v[0:1], off
	s_or_b32 exec_lo, exec_lo, s0
	s_and_b32 s1, s11, s19
	s_delay_alu instid0(SALU_CYCLE_1)
	s_and_saveexec_b32 s0, s1
	s_cbranch_execz .LBB140_254
.LBB140_340:
	scratch_load_b64 v[0:1], off, off offset:400
	v_cmp_ne_u32_e32 vcc_lo, 1, v70
	v_lshlrev_b64 v[2:3], 3, v[36:37]
	s_cbranch_vccnz .LBB140_342
; %bb.341:
	s_delay_alu instid0(VALU_DEP_1) | instskip(NEXT) | instid1(VALU_DEP_2)
	v_add_co_u32 v4, vcc_lo, v71, v2
	v_add_co_ci_u32_e32 v5, vcc_lo, v72, v3, vcc_lo
	flat_load_b64 v[4:5], v[4:5]
	s_waitcnt vmcnt(0) lgkmcnt(0)
	v_mul_f64 v[4:5], v[4:5], s[38:39]
	s_branch .LBB140_343
.LBB140_342:
	v_mov_b32_e32 v4, 0
	v_mov_b32_e32 v5, 0
.LBB140_343:
	s_waitcnt vmcnt(0)
	s_delay_alu instid0(VALU_DEP_1)
	v_add_f64 v[0:1], v[0:1], v[4:5]
	v_add_co_u32 v2, vcc_lo, v68, v2
	v_add_co_ci_u32_e32 v3, vcc_lo, v69, v3, vcc_lo
	global_store_b64 v[2:3], v[0:1], off
	s_or_b32 exec_lo, exec_lo, s0
	s_and_b32 s1, s11, s20
	s_delay_alu instid0(SALU_CYCLE_1)
	s_and_saveexec_b32 s0, s1
	s_cbranch_execz .LBB140_255
.LBB140_344:
	scratch_load_b64 v[0:1], off, off offset:408
	v_cmp_ne_u32_e32 vcc_lo, 1, v70
	v_lshlrev_b64 v[2:3], 3, v[38:39]
	s_cbranch_vccnz .LBB140_346
; %bb.345:
	s_delay_alu instid0(VALU_DEP_1) | instskip(NEXT) | instid1(VALU_DEP_2)
	v_add_co_u32 v4, vcc_lo, v71, v2
	v_add_co_ci_u32_e32 v5, vcc_lo, v72, v3, vcc_lo
	flat_load_b64 v[4:5], v[4:5]
	s_waitcnt vmcnt(0) lgkmcnt(0)
	v_mul_f64 v[4:5], v[4:5], s[38:39]
	s_branch .LBB140_347
.LBB140_346:
	v_mov_b32_e32 v4, 0
	v_mov_b32_e32 v5, 0
.LBB140_347:
	s_waitcnt vmcnt(0)
	s_delay_alu instid0(VALU_DEP_1)
	v_add_f64 v[0:1], v[0:1], v[4:5]
	v_add_co_u32 v2, vcc_lo, v68, v2
	v_add_co_ci_u32_e32 v3, vcc_lo, v69, v3, vcc_lo
	global_store_b64 v[2:3], v[0:1], off
	s_or_b32 exec_lo, exec_lo, s0
	s_and_b32 s1, s11, s21
	s_delay_alu instid0(SALU_CYCLE_1)
	s_and_saveexec_b32 s0, s1
	s_cbranch_execz .LBB140_256
.LBB140_348:
	scratch_load_b64 v[0:1], off, off offset:416
	v_cmp_ne_u32_e32 vcc_lo, 1, v70
	v_lshlrev_b64 v[2:3], 3, v[40:41]
	s_cbranch_vccnz .LBB140_350
; %bb.349:
	s_delay_alu instid0(VALU_DEP_1) | instskip(NEXT) | instid1(VALU_DEP_2)
	v_add_co_u32 v4, vcc_lo, v71, v2
	v_add_co_ci_u32_e32 v5, vcc_lo, v72, v3, vcc_lo
	flat_load_b64 v[4:5], v[4:5]
	s_waitcnt vmcnt(0) lgkmcnt(0)
	v_mul_f64 v[4:5], v[4:5], s[38:39]
	s_branch .LBB140_351
.LBB140_350:
	v_mov_b32_e32 v4, 0
	v_mov_b32_e32 v5, 0
.LBB140_351:
	s_waitcnt vmcnt(0)
	s_delay_alu instid0(VALU_DEP_1)
	v_add_f64 v[0:1], v[0:1], v[4:5]
	v_add_co_u32 v2, vcc_lo, v68, v2
	v_add_co_ci_u32_e32 v3, vcc_lo, v69, v3, vcc_lo
	global_store_b64 v[2:3], v[0:1], off
	s_or_b32 exec_lo, exec_lo, s0
	s_and_b32 s1, s11, s22
	s_delay_alu instid0(SALU_CYCLE_1)
	s_and_saveexec_b32 s0, s1
	s_cbranch_execz .LBB140_257
.LBB140_352:
	scratch_load_b64 v[0:1], off, off offset:424
	v_cmp_ne_u32_e32 vcc_lo, 1, v70
	v_lshlrev_b64 v[2:3], 3, v[42:43]
	s_cbranch_vccnz .LBB140_354
; %bb.353:
	s_delay_alu instid0(VALU_DEP_1) | instskip(NEXT) | instid1(VALU_DEP_2)
	v_add_co_u32 v4, vcc_lo, v71, v2
	v_add_co_ci_u32_e32 v5, vcc_lo, v72, v3, vcc_lo
	flat_load_b64 v[4:5], v[4:5]
	s_waitcnt vmcnt(0) lgkmcnt(0)
	v_mul_f64 v[4:5], v[4:5], s[38:39]
	s_branch .LBB140_355
.LBB140_354:
	v_mov_b32_e32 v4, 0
	v_mov_b32_e32 v5, 0
.LBB140_355:
	s_waitcnt vmcnt(0)
	s_delay_alu instid0(VALU_DEP_1)
	v_add_f64 v[0:1], v[0:1], v[4:5]
	v_add_co_u32 v2, vcc_lo, v68, v2
	v_add_co_ci_u32_e32 v3, vcc_lo, v69, v3, vcc_lo
	global_store_b64 v[2:3], v[0:1], off
	s_or_b32 exec_lo, exec_lo, s0
	s_and_b32 s1, s11, s23
	s_delay_alu instid0(SALU_CYCLE_1)
	s_and_saveexec_b32 s0, s1
	s_cbranch_execz .LBB140_258
.LBB140_356:
	scratch_load_b64 v[0:1], off, off offset:432
	v_cmp_ne_u32_e32 vcc_lo, 1, v70
	v_lshlrev_b64 v[2:3], 3, v[44:45]
	s_cbranch_vccnz .LBB140_358
; %bb.357:
	s_delay_alu instid0(VALU_DEP_1) | instskip(NEXT) | instid1(VALU_DEP_2)
	v_add_co_u32 v4, vcc_lo, v71, v2
	v_add_co_ci_u32_e32 v5, vcc_lo, v72, v3, vcc_lo
	flat_load_b64 v[4:5], v[4:5]
	s_waitcnt vmcnt(0) lgkmcnt(0)
	v_mul_f64 v[4:5], v[4:5], s[38:39]
	s_branch .LBB140_359
.LBB140_358:
	v_mov_b32_e32 v4, 0
	v_mov_b32_e32 v5, 0
.LBB140_359:
	s_waitcnt vmcnt(0)
	s_delay_alu instid0(VALU_DEP_1)
	v_add_f64 v[0:1], v[0:1], v[4:5]
	v_add_co_u32 v2, vcc_lo, v68, v2
	v_add_co_ci_u32_e32 v3, vcc_lo, v69, v3, vcc_lo
	global_store_b64 v[2:3], v[0:1], off
	s_or_b32 exec_lo, exec_lo, s0
	s_and_b32 s1, s11, s24
	s_delay_alu instid0(SALU_CYCLE_1)
	s_and_saveexec_b32 s0, s1
	s_cbranch_execz .LBB140_259
.LBB140_360:
	scratch_load_b64 v[0:1], off, off offset:440
	v_cmp_ne_u32_e32 vcc_lo, 1, v70
	v_lshlrev_b64 v[2:3], 3, v[46:47]
	s_cbranch_vccnz .LBB140_362
; %bb.361:
	s_delay_alu instid0(VALU_DEP_1) | instskip(NEXT) | instid1(VALU_DEP_2)
	v_add_co_u32 v4, vcc_lo, v71, v2
	v_add_co_ci_u32_e32 v5, vcc_lo, v72, v3, vcc_lo
	flat_load_b64 v[4:5], v[4:5]
	s_waitcnt vmcnt(0) lgkmcnt(0)
	v_mul_f64 v[4:5], v[4:5], s[38:39]
	s_branch .LBB140_363
.LBB140_362:
	v_mov_b32_e32 v4, 0
	v_mov_b32_e32 v5, 0
.LBB140_363:
	s_waitcnt vmcnt(0)
	s_delay_alu instid0(VALU_DEP_1)
	v_add_f64 v[0:1], v[0:1], v[4:5]
	v_add_co_u32 v2, vcc_lo, v68, v2
	v_add_co_ci_u32_e32 v3, vcc_lo, v69, v3, vcc_lo
	global_store_b64 v[2:3], v[0:1], off
	s_or_b32 exec_lo, exec_lo, s0
	s_and_b32 s1, s11, s25
	s_delay_alu instid0(SALU_CYCLE_1)
	s_and_saveexec_b32 s0, s1
	s_cbranch_execz .LBB140_260
.LBB140_364:
	scratch_load_b64 v[0:1], off, off offset:448
	v_cmp_ne_u32_e32 vcc_lo, 1, v70
	v_lshlrev_b64 v[2:3], 3, v[48:49]
	s_cbranch_vccnz .LBB140_366
; %bb.365:
	s_delay_alu instid0(VALU_DEP_1) | instskip(NEXT) | instid1(VALU_DEP_2)
	v_add_co_u32 v4, vcc_lo, v71, v2
	v_add_co_ci_u32_e32 v5, vcc_lo, v72, v3, vcc_lo
	flat_load_b64 v[4:5], v[4:5]
	s_waitcnt vmcnt(0) lgkmcnt(0)
	v_mul_f64 v[4:5], v[4:5], s[38:39]
	s_branch .LBB140_367
.LBB140_366:
	v_mov_b32_e32 v4, 0
	v_mov_b32_e32 v5, 0
.LBB140_367:
	s_waitcnt vmcnt(0)
	s_delay_alu instid0(VALU_DEP_1)
	v_add_f64 v[0:1], v[0:1], v[4:5]
	v_add_co_u32 v2, vcc_lo, v68, v2
	v_add_co_ci_u32_e32 v3, vcc_lo, v69, v3, vcc_lo
	global_store_b64 v[2:3], v[0:1], off
	s_or_b32 exec_lo, exec_lo, s0
	s_and_b32 s1, s11, s26
	s_delay_alu instid0(SALU_CYCLE_1)
	s_and_saveexec_b32 s0, s1
	s_cbranch_execz .LBB140_261
.LBB140_368:
	scratch_load_b64 v[0:1], off, off offset:456
	v_cmp_ne_u32_e32 vcc_lo, 1, v70
	v_lshlrev_b64 v[2:3], 3, v[50:51]
	s_cbranch_vccnz .LBB140_370
; %bb.369:
	s_delay_alu instid0(VALU_DEP_1) | instskip(NEXT) | instid1(VALU_DEP_2)
	v_add_co_u32 v4, vcc_lo, v71, v2
	v_add_co_ci_u32_e32 v5, vcc_lo, v72, v3, vcc_lo
	flat_load_b64 v[4:5], v[4:5]
	s_waitcnt vmcnt(0) lgkmcnt(0)
	v_mul_f64 v[4:5], v[4:5], s[38:39]
	s_branch .LBB140_371
.LBB140_370:
	v_mov_b32_e32 v4, 0
	v_mov_b32_e32 v5, 0
.LBB140_371:
	s_waitcnt vmcnt(0)
	s_delay_alu instid0(VALU_DEP_1)
	v_add_f64 v[0:1], v[0:1], v[4:5]
	v_add_co_u32 v2, vcc_lo, v68, v2
	v_add_co_ci_u32_e32 v3, vcc_lo, v69, v3, vcc_lo
	global_store_b64 v[2:3], v[0:1], off
	s_or_b32 exec_lo, exec_lo, s0
	s_and_b32 s1, s11, s27
	s_delay_alu instid0(SALU_CYCLE_1)
	s_and_saveexec_b32 s0, s1
	s_cbranch_execz .LBB140_262
.LBB140_372:
	scratch_load_b64 v[0:1], off, off offset:464
	v_cmp_ne_u32_e32 vcc_lo, 1, v70
	v_lshlrev_b64 v[2:3], 3, v[52:53]
	s_cbranch_vccnz .LBB140_374
; %bb.373:
	s_delay_alu instid0(VALU_DEP_1) | instskip(NEXT) | instid1(VALU_DEP_2)
	v_add_co_u32 v4, vcc_lo, v71, v2
	v_add_co_ci_u32_e32 v5, vcc_lo, v72, v3, vcc_lo
	flat_load_b64 v[4:5], v[4:5]
	s_waitcnt vmcnt(0) lgkmcnt(0)
	v_mul_f64 v[4:5], v[4:5], s[38:39]
	s_branch .LBB140_375
.LBB140_374:
	v_mov_b32_e32 v4, 0
	v_mov_b32_e32 v5, 0
.LBB140_375:
	s_waitcnt vmcnt(0)
	s_delay_alu instid0(VALU_DEP_1)
	v_add_f64 v[0:1], v[0:1], v[4:5]
	v_add_co_u32 v2, vcc_lo, v68, v2
	v_add_co_ci_u32_e32 v3, vcc_lo, v69, v3, vcc_lo
	global_store_b64 v[2:3], v[0:1], off
	s_or_b32 exec_lo, exec_lo, s0
	s_and_b32 s1, s11, s28
	s_delay_alu instid0(SALU_CYCLE_1)
	s_and_saveexec_b32 s0, s1
	s_cbranch_execz .LBB140_263
.LBB140_376:
	scratch_load_b64 v[0:1], off, off offset:472
	v_cmp_ne_u32_e32 vcc_lo, 1, v70
	v_lshlrev_b64 v[2:3], 3, v[54:55]
	s_cbranch_vccnz .LBB140_378
; %bb.377:
	s_delay_alu instid0(VALU_DEP_1) | instskip(NEXT) | instid1(VALU_DEP_2)
	v_add_co_u32 v4, vcc_lo, v71, v2
	v_add_co_ci_u32_e32 v5, vcc_lo, v72, v3, vcc_lo
	flat_load_b64 v[4:5], v[4:5]
	s_waitcnt vmcnt(0) lgkmcnt(0)
	v_mul_f64 v[4:5], v[4:5], s[38:39]
	s_branch .LBB140_379
.LBB140_378:
	v_mov_b32_e32 v4, 0
	v_mov_b32_e32 v5, 0
.LBB140_379:
	s_waitcnt vmcnt(0)
	s_delay_alu instid0(VALU_DEP_1)
	v_add_f64 v[0:1], v[0:1], v[4:5]
	v_add_co_u32 v2, vcc_lo, v68, v2
	v_add_co_ci_u32_e32 v3, vcc_lo, v69, v3, vcc_lo
	global_store_b64 v[2:3], v[0:1], off
	s_or_b32 exec_lo, exec_lo, s0
	s_and_b32 s1, s11, s29
	s_delay_alu instid0(SALU_CYCLE_1)
	s_and_saveexec_b32 s0, s1
	s_cbranch_execz .LBB140_264
.LBB140_380:
	scratch_load_b64 v[0:1], off, off offset:480
	v_cmp_ne_u32_e32 vcc_lo, 1, v70
	v_lshlrev_b64 v[2:3], 3, v[56:57]
	s_cbranch_vccnz .LBB140_382
; %bb.381:
	s_delay_alu instid0(VALU_DEP_1) | instskip(NEXT) | instid1(VALU_DEP_2)
	v_add_co_u32 v4, vcc_lo, v71, v2
	v_add_co_ci_u32_e32 v5, vcc_lo, v72, v3, vcc_lo
	flat_load_b64 v[4:5], v[4:5]
	s_waitcnt vmcnt(0) lgkmcnt(0)
	v_mul_f64 v[4:5], v[4:5], s[38:39]
	s_branch .LBB140_383
.LBB140_382:
	v_mov_b32_e32 v4, 0
	v_mov_b32_e32 v5, 0
.LBB140_383:
	s_waitcnt vmcnt(0)
	s_delay_alu instid0(VALU_DEP_1)
	v_add_f64 v[0:1], v[0:1], v[4:5]
	v_add_co_u32 v2, vcc_lo, v68, v2
	v_add_co_ci_u32_e32 v3, vcc_lo, v69, v3, vcc_lo
	global_store_b64 v[2:3], v[0:1], off
	s_or_b32 exec_lo, exec_lo, s0
	s_and_b32 s1, s11, s30
	s_delay_alu instid0(SALU_CYCLE_1)
	s_and_saveexec_b32 s0, s1
	s_cbranch_execz .LBB140_265
.LBB140_384:
	scratch_load_b64 v[0:1], off, off offset:488
	v_cmp_ne_u32_e32 vcc_lo, 1, v70
	v_lshlrev_b64 v[2:3], 3, v[58:59]
	s_cbranch_vccnz .LBB140_386
; %bb.385:
	s_delay_alu instid0(VALU_DEP_1) | instskip(NEXT) | instid1(VALU_DEP_2)
	v_add_co_u32 v4, vcc_lo, v71, v2
	v_add_co_ci_u32_e32 v5, vcc_lo, v72, v3, vcc_lo
	flat_load_b64 v[4:5], v[4:5]
	s_waitcnt vmcnt(0) lgkmcnt(0)
	v_mul_f64 v[4:5], v[4:5], s[38:39]
	s_branch .LBB140_387
.LBB140_386:
	v_mov_b32_e32 v4, 0
	v_mov_b32_e32 v5, 0
.LBB140_387:
	s_waitcnt vmcnt(0)
	s_delay_alu instid0(VALU_DEP_1)
	v_add_f64 v[0:1], v[0:1], v[4:5]
	v_add_co_u32 v2, vcc_lo, v68, v2
	v_add_co_ci_u32_e32 v3, vcc_lo, v69, v3, vcc_lo
	global_store_b64 v[2:3], v[0:1], off
	s_or_b32 exec_lo, exec_lo, s0
	s_and_b32 s1, s11, s31
	s_delay_alu instid0(SALU_CYCLE_1)
	s_and_saveexec_b32 s0, s1
	s_cbranch_execz .LBB140_266
.LBB140_388:
	scratch_load_b64 v[0:1], off, off offset:496
	v_cmp_ne_u32_e32 vcc_lo, 1, v70
	v_lshlrev_b64 v[2:3], 3, v[60:61]
	s_cbranch_vccnz .LBB140_390
; %bb.389:
	s_delay_alu instid0(VALU_DEP_1) | instskip(NEXT) | instid1(VALU_DEP_2)
	v_add_co_u32 v4, vcc_lo, v71, v2
	v_add_co_ci_u32_e32 v5, vcc_lo, v72, v3, vcc_lo
	flat_load_b64 v[4:5], v[4:5]
	s_waitcnt vmcnt(0) lgkmcnt(0)
	v_mul_f64 v[4:5], v[4:5], s[38:39]
	s_branch .LBB140_391
.LBB140_390:
	v_mov_b32_e32 v4, 0
	v_mov_b32_e32 v5, 0
.LBB140_391:
	s_waitcnt vmcnt(0)
	s_delay_alu instid0(VALU_DEP_1)
	v_add_f64 v[0:1], v[0:1], v[4:5]
	v_add_co_u32 v2, vcc_lo, v68, v2
	v_add_co_ci_u32_e32 v3, vcc_lo, v69, v3, vcc_lo
	global_store_b64 v[2:3], v[0:1], off
	s_or_b32 exec_lo, exec_lo, s0
	s_and_b32 s0, s11, s33
	s_delay_alu instid0(SALU_CYCLE_1)
	s_and_saveexec_b32 s1, s0
	s_cbranch_execz .LBB140_267
.LBB140_392:
	scratch_load_b64 v[0:1], off, off offset:504
	v_cmp_ne_u32_e32 vcc_lo, 1, v70
	v_lshlrev_b64 v[2:3], 3, v[62:63]
	s_cbranch_vccnz .LBB140_394
; %bb.393:
	s_delay_alu instid0(VALU_DEP_1) | instskip(NEXT) | instid1(VALU_DEP_2)
	v_add_co_u32 v4, vcc_lo, v71, v2
	v_add_co_ci_u32_e32 v5, vcc_lo, v72, v3, vcc_lo
	flat_load_b64 v[4:5], v[4:5]
	s_waitcnt vmcnt(0) lgkmcnt(0)
	v_mul_f64 v[4:5], v[4:5], s[38:39]
	s_branch .LBB140_395
.LBB140_394:
	v_mov_b32_e32 v4, 0
	v_mov_b32_e32 v5, 0
.LBB140_395:
	s_waitcnt vmcnt(0)
	s_delay_alu instid0(VALU_DEP_1)
	v_add_f64 v[0:1], v[0:1], v[4:5]
	v_add_co_u32 v2, vcc_lo, v68, v2
	v_add_co_ci_u32_e32 v3, vcc_lo, v69, v3, vcc_lo
	global_store_b64 v[2:3], v[0:1], off
	s_endpgm
	.section	.rodata,"a",@progbits
	.p2align	6, 0x0
	.amdhsa_kernel _ZN12_GLOBAL__N_120geam_min_plus_kernelIdddLi4ELi64ELi128ELi128ELi4ELi4ELi64ELi4ELi64ELc84ELc78ELb0ELb1ELb0EdKPKdKPdEEviiiT16_PT17_ilS8_ilS6_S8_ilPT18_ili26rocblas_geam_ex_operation_
		.amdhsa_group_segment_fixed_size 16384
		.amdhsa_private_segment_fixed_size 528
		.amdhsa_kernarg_size 136
		.amdhsa_user_sgpr_count 14
		.amdhsa_user_sgpr_dispatch_ptr 0
		.amdhsa_user_sgpr_queue_ptr 0
		.amdhsa_user_sgpr_kernarg_segment_ptr 1
		.amdhsa_user_sgpr_dispatch_id 0
		.amdhsa_user_sgpr_private_segment_size 0
		.amdhsa_wavefront_size32 1
		.amdhsa_uses_dynamic_stack 0
		.amdhsa_enable_private_segment 1
		.amdhsa_system_sgpr_workgroup_id_x 1
		.amdhsa_system_sgpr_workgroup_id_y 0
		.amdhsa_system_sgpr_workgroup_id_z 1
		.amdhsa_system_sgpr_workgroup_info 0
		.amdhsa_system_vgpr_workitem_id 1
		.amdhsa_next_free_vgpr 250
		.amdhsa_next_free_sgpr 46
		.amdhsa_reserve_vcc 1
		.amdhsa_float_round_mode_32 0
		.amdhsa_float_round_mode_16_64 0
		.amdhsa_float_denorm_mode_32 3
		.amdhsa_float_denorm_mode_16_64 3
		.amdhsa_dx10_clamp 1
		.amdhsa_ieee_mode 1
		.amdhsa_fp16_overflow 0
		.amdhsa_workgroup_processor_mode 1
		.amdhsa_memory_ordered 1
		.amdhsa_forward_progress 0
		.amdhsa_shared_vgpr_count 0
		.amdhsa_exception_fp_ieee_invalid_op 0
		.amdhsa_exception_fp_denorm_src 0
		.amdhsa_exception_fp_ieee_div_zero 0
		.amdhsa_exception_fp_ieee_overflow 0
		.amdhsa_exception_fp_ieee_underflow 0
		.amdhsa_exception_fp_ieee_inexact 0
		.amdhsa_exception_int_div_zero 0
	.end_amdhsa_kernel
	.section	.text._ZN12_GLOBAL__N_120geam_min_plus_kernelIdddLi4ELi64ELi128ELi128ELi4ELi4ELi64ELi4ELi64ELc84ELc78ELb0ELb1ELb0EdKPKdKPdEEviiiT16_PT17_ilS8_ilS6_S8_ilPT18_ili26rocblas_geam_ex_operation_,"axG",@progbits,_ZN12_GLOBAL__N_120geam_min_plus_kernelIdddLi4ELi64ELi128ELi128ELi4ELi4ELi64ELi4ELi64ELc84ELc78ELb0ELb1ELb0EdKPKdKPdEEviiiT16_PT17_ilS8_ilS6_S8_ilPT18_ili26rocblas_geam_ex_operation_,comdat
.Lfunc_end140:
	.size	_ZN12_GLOBAL__N_120geam_min_plus_kernelIdddLi4ELi64ELi128ELi128ELi4ELi4ELi64ELi4ELi64ELc84ELc78ELb0ELb1ELb0EdKPKdKPdEEviiiT16_PT17_ilS8_ilS6_S8_ilPT18_ili26rocblas_geam_ex_operation_, .Lfunc_end140-_ZN12_GLOBAL__N_120geam_min_plus_kernelIdddLi4ELi64ELi128ELi128ELi4ELi4ELi64ELi4ELi64ELc84ELc78ELb0ELb1ELb0EdKPKdKPdEEviiiT16_PT17_ilS8_ilS6_S8_ilPT18_ili26rocblas_geam_ex_operation_
                                        ; -- End function
	.section	.AMDGPU.csdata,"",@progbits
; Kernel info:
; codeLenInByte = 47316
; NumSgprs: 48
; NumVgprs: 250
; ScratchSize: 528
; MemoryBound: 1
; FloatMode: 240
; IeeeMode: 1
; LDSByteSize: 16384 bytes/workgroup (compile time only)
; SGPRBlocks: 5
; VGPRBlocks: 31
; NumSGPRsForWavesPerEU: 48
; NumVGPRsForWavesPerEU: 250
; Occupancy: 5
; WaveLimiterHint : 1
; COMPUTE_PGM_RSRC2:SCRATCH_EN: 1
; COMPUTE_PGM_RSRC2:USER_SGPR: 14
; COMPUTE_PGM_RSRC2:TRAP_HANDLER: 0
; COMPUTE_PGM_RSRC2:TGID_X_EN: 1
; COMPUTE_PGM_RSRC2:TGID_Y_EN: 0
; COMPUTE_PGM_RSRC2:TGID_Z_EN: 1
; COMPUTE_PGM_RSRC2:TIDIG_COMP_CNT: 1
	.section	.text._ZN12_GLOBAL__N_120geam_min_plus_kernelIdddLi4ELi64ELi128ELi128ELi4ELi64ELi4ELi64ELi4ELc78ELc84ELb0ELb0ELb0EPKdKS2_KPdEEviiiT16_PT17_ilS8_ilS6_S8_ilPT18_ili26rocblas_geam_ex_operation_,"axG",@progbits,_ZN12_GLOBAL__N_120geam_min_plus_kernelIdddLi4ELi64ELi128ELi128ELi4ELi64ELi4ELi64ELi4ELc78ELc84ELb0ELb0ELb0EPKdKS2_KPdEEviiiT16_PT17_ilS8_ilS6_S8_ilPT18_ili26rocblas_geam_ex_operation_,comdat
	.globl	_ZN12_GLOBAL__N_120geam_min_plus_kernelIdddLi4ELi64ELi128ELi128ELi4ELi64ELi4ELi64ELi4ELc78ELc84ELb0ELb0ELb0EPKdKS2_KPdEEviiiT16_PT17_ilS8_ilS6_S8_ilPT18_ili26rocblas_geam_ex_operation_ ; -- Begin function _ZN12_GLOBAL__N_120geam_min_plus_kernelIdddLi4ELi64ELi128ELi128ELi4ELi64ELi4ELi64ELi4ELc78ELc84ELb0ELb0ELb0EPKdKS2_KPdEEviiiT16_PT17_ilS8_ilS6_S8_ilPT18_ili26rocblas_geam_ex_operation_
	.p2align	8
	.type	_ZN12_GLOBAL__N_120geam_min_plus_kernelIdddLi4ELi64ELi128ELi128ELi4ELi64ELi4ELi64ELi4ELc78ELc84ELb0ELb0ELb0EPKdKS2_KPdEEviiiT16_PT17_ilS8_ilS6_S8_ilPT18_ili26rocblas_geam_ex_operation_,@function
_ZN12_GLOBAL__N_120geam_min_plus_kernelIdddLi4ELi64ELi128ELi128ELi4ELi64ELi4ELi64ELi4ELc78ELc84ELb0ELb0ELb0EPKdKS2_KPdEEviiiT16_PT17_ilS8_ilS6_S8_ilPT18_ili26rocblas_geam_ex_operation_: ; @_ZN12_GLOBAL__N_120geam_min_plus_kernelIdddLi4ELi64ELi128ELi128ELi4ELi64ELi4ELi64ELi4ELc78ELc84ELb0ELb0ELb0EPKdKS2_KPdEEviiiT16_PT17_ilS8_ilS6_S8_ilPT18_ili26rocblas_geam_ex_operation_
; %bb.0:
	s_clause 0x1
	s_load_b128 s[16:19], s[0:1], 0x10
	s_load_b128 s[4:7], s[0:1], 0x28
	s_mov_b32 s2, s15
	s_mov_b32 s3, 0
	s_mov_b64 s[20:21], 0
	s_lshl_b64 s[22:23], s[2:3], 3
	s_waitcnt lgkmcnt(0)
	s_add_u32 s2, s16, s22
	s_addc_u32 s3, s17, s23
	s_mov_b64 s[16:17], 0
	s_load_b64 s[12:13], s[2:3], 0x0
	s_clause 0x1
	s_load_b128 s[8:11], s[0:1], 0x40
	s_load_b64 s[24:25], s[0:1], 0x50
	s_waitcnt lgkmcnt(0)
	s_add_u32 s2, s10, s22
	v_cmp_eq_f64_e64 s15, s[12:13], 0
	v_cmp_neq_f64_e64 s26, s[12:13], 0
	s_addc_u32 s3, s11, s23
	s_delay_alu instid0(VALU_DEP_2)
	s_and_b32 vcc_lo, exec_lo, s15
	s_cbranch_vccnz .LBB141_2
; %bb.1:
	s_add_u32 s10, s18, s22
	s_addc_u32 s11, s19, s23
	s_lshl_b64 s[4:5], s[4:5], 3
	s_load_b64 s[10:11], s[10:11], 0x0
	s_waitcnt lgkmcnt(0)
	s_add_u32 s20, s10, s4
	s_addc_u32 s21, s11, s5
.LBB141_2:
	s_load_b64 s[10:11], s[2:3], 0x0
	s_delay_alu instid0(VALU_DEP_1) | instskip(SKIP_1) | instid1(VALU_DEP_1)
	v_cndmask_b32_e64 v1, 0, 1, s26
	s_and_not1_b32 vcc_lo, exec_lo, s26
	v_cmp_ne_u32_e64 s2, 1, v1
	s_cbranch_vccnz .LBB141_4
; %bb.3:
	s_add_u32 s4, s6, s22
	s_addc_u32 s5, s7, s23
	s_lshl_b64 s[6:7], s[8:9], 3
	s_load_b64 s[4:5], s[4:5], 0x0
	s_waitcnt lgkmcnt(0)
	s_add_u32 s16, s4, s6
	s_addc_u32 s17, s5, s7
.LBB141_4:
	s_waitcnt lgkmcnt(0)
	v_cmp_eq_f64_e64 s3, s[10:11], 0
	s_load_b128 s[4:7], s[0:1], 0x60
	s_mov_b64 s[8:9], 0
	s_delay_alu instid0(VALU_DEP_1)
	s_and_b32 vcc_lo, exec_lo, s3
	s_cbranch_vccnz .LBB141_6
; %bb.5:
	s_add_u32 s8, s24, s22
	s_addc_u32 s9, s25, s23
	s_waitcnt lgkmcnt(0)
	s_lshl_b64 s[4:5], s[4:5], 3
	s_load_b64 s[8:9], s[8:9], 0x0
	s_waitcnt lgkmcnt(0)
	s_add_u32 s8, s8, s4
	s_addc_u32 s9, s9, s5
.LBB141_6:
	s_clause 0x1
	s_load_b32 s3, s[0:1], 0x0
	s_load_b32 s19, s[0:1], 0x20
	s_waitcnt lgkmcnt(0)
	s_mov_b32 s4, 0
	v_bfe_u32 v81, v0, 10, 10
	s_mov_b32 s5, s4
	v_and_b32_e32 v80, 0x3ff, v0
	v_dual_mov_b32 v0, s4 :: v_dual_mov_b32 v1, s5
	s_delay_alu instid0(VALU_DEP_2) | instskip(NEXT) | instid1(VALU_DEP_1)
	v_lshl_add_u32 v2, v81, 2, v80
	v_and_b32_e32 v89, 63, v2
	v_lshrrev_b32_e32 v82, 6, v2
	s_ashr_i32 s24, s19, 31
	s_add_u32 s4, s6, s22
	s_addc_u32 s5, s7, s23
	s_add_i32 s3, s3, -1
	s_delay_alu instid0(SALU_CYCLE_1) | instskip(NEXT) | instid1(SALU_CYCLE_1)
	s_ashr_i32 s6, s3, 31
	s_lshr_b32 s6, s6, 25
	s_delay_alu instid0(SALU_CYCLE_1) | instskip(NEXT) | instid1(SALU_CYCLE_1)
	s_add_i32 s3, s3, s6
	s_ashr_i32 s3, s3, 7
	s_delay_alu instid0(SALU_CYCLE_1) | instskip(SKIP_2) | instid1(VALU_DEP_1)
	s_add_i32 s6, s3, 1
	s_not_b32 s3, s3
	v_cvt_f32_u32_e32 v3, s6
	v_rcp_iflag_f32_e32 v3, v3
	s_waitcnt_depctr 0xfff
	v_mul_f32_e32 v3, 0x4f7ffffe, v3
	s_clause 0xe
	scratch_store_b64 off, v[0:1], off
	scratch_store_b64 off, v[0:1], off offset:8
	scratch_store_b64 off, v[0:1], off offset:16
	;; [unrolled: 1-line block ×14, first 2 shown]
	v_cvt_u32_f32_e32 v3, v3
	s_clause 0xe
	scratch_store_b64 off, v[0:1], off offset:120
	scratch_store_b64 off, v[0:1], off offset:128
	;; [unrolled: 1-line block ×15, first 2 shown]
	v_readfirstlane_b32 s7, v3
	s_clause 0x9
	scratch_store_b64 off, v[0:1], off offset:240
	scratch_store_b64 off, v[0:1], off offset:248
	;; [unrolled: 1-line block ×10, first 2 shown]
	s_load_b64 s[4:5], s[4:5], 0x0
	s_mul_i32 s3, s3, s7
	s_clause 0x3
	scratch_store_b64 off, v[0:1], off offset:320
	scratch_store_b64 off, v[0:1], off offset:328
	scratch_store_b64 off, v[0:1], off offset:336
	scratch_store_b64 off, v[0:1], off offset:344
	s_mul_hi_u32 s3, s7, s3
	s_clause 0x3
	scratch_store_b64 off, v[0:1], off offset:352
	scratch_store_b64 off, v[0:1], off offset:360
	;; [unrolled: 1-line block ×4, first 2 shown]
	s_add_i32 s7, s7, s3
	s_clause 0x8
	scratch_store_b64 off, v[0:1], off offset:384
	scratch_store_b64 off, v[0:1], off offset:392
	;; [unrolled: 1-line block ×9, first 2 shown]
	s_mul_hi_u32 s3, s14, s7
	s_clause 0x3
	scratch_store_b64 off, v[0:1], off offset:456
	scratch_store_b64 off, v[0:1], off offset:464
	;; [unrolled: 1-line block ×4, first 2 shown]
	s_mul_i32 s7, s3, s6
	s_add_i32 s15, s3, 1
	s_sub_i32 s7, s14, s7
	scratch_store_b64 off, v[0:1], off offset:488
	s_sub_i32 s18, s7, s6
	s_cmp_ge_u32 s7, s6
	s_clause 0x1
	scratch_store_b64 off, v[0:1], off offset:496
	scratch_store_b64 off, v[0:1], off offset:504
	s_cselect_b32 s3, s15, s3
	s_cselect_b32 s7, s18, s7
	s_add_i32 s15, s3, 1
	s_cmp_ge_u32 s7, s6
	s_cselect_b32 s3, s15, s3
	s_and_b32 vcc_lo, exec_lo, s2
	s_mul_i32 s6, s3, s6
	s_delay_alu instid0(SALU_CYCLE_1) | instskip(NEXT) | instid1(SALU_CYCLE_1)
	s_sub_i32 s6, s14, s6
	s_lshl_b32 s14, s6, 7
	s_delay_alu instid0(SALU_CYCLE_1) | instskip(NEXT) | instid1(VALU_DEP_1)
	v_or_b32_e32 v68, s14, v89
	v_ashrrev_i32_e32 v69, 31, v68
	s_cbranch_vccnz .LBB141_8
; %bb.7:
	v_mad_i64_i32 v[0:1], null, s19, v82, 0
	s_delay_alu instid0(VALU_DEP_2) | instskip(NEXT) | instid1(VALU_DEP_2)
	v_lshlrev_b64 v[2:3], 3, v[68:69]
	v_lshlrev_b64 v[0:1], 3, v[0:1]
	s_delay_alu instid0(VALU_DEP_1) | instskip(NEXT) | instid1(VALU_DEP_2)
	v_add_co_u32 v0, vcc_lo, s20, v0
	v_add_co_ci_u32_e32 v1, vcc_lo, s21, v1, vcc_lo
	s_delay_alu instid0(VALU_DEP_2) | instskip(NEXT) | instid1(VALU_DEP_2)
	v_add_co_u32 v0, vcc_lo, v0, v2
	v_add_co_ci_u32_e32 v1, vcc_lo, v1, v3, vcc_lo
	s_clause 0x1
	flat_load_b64 v[2:3], v[0:1]
	flat_load_b64 v[4:5], v[0:1] offset:512
	s_waitcnt vmcnt(1) lgkmcnt(0)
	v_mul_f64 v[0:1], s[12:13], v[2:3]
	s_waitcnt vmcnt(0)
	v_mul_f64 v[2:3], s[12:13], v[4:5]
	s_branch .LBB141_9
.LBB141_8:
	v_mov_b32_e32 v0, 0
	v_dual_mov_b32 v1, 0 :: v_dual_mov_b32 v2, 0
	v_mov_b32_e32 v3, 0
.LBB141_9:
	s_load_b32 s22, s[0:1], 0x38
	s_lshl_b32 s15, s3, 7
	s_and_b32 vcc_lo, exec_lo, s2
	v_or_b32_e32 v70, s15, v89
	s_delay_alu instid0(VALU_DEP_1)
	v_ashrrev_i32_e32 v71, 31, v70
	s_waitcnt lgkmcnt(0)
	s_ashr_i32 s23, s22, 31
	s_cbranch_vccnz .LBB141_13
; %bb.10:
	v_mad_i64_i32 v[4:5], null, s22, v82, 0
	v_lshlrev_b64 v[6:7], 3, v[70:71]
	s_delay_alu instid0(VALU_DEP_2) | instskip(NEXT) | instid1(VALU_DEP_1)
	v_lshlrev_b64 v[4:5], 3, v[4:5]
	v_add_co_u32 v4, vcc_lo, s16, v4
	s_delay_alu instid0(VALU_DEP_2) | instskip(NEXT) | instid1(VALU_DEP_2)
	v_add_co_ci_u32_e32 v5, vcc_lo, s17, v5, vcc_lo
	v_add_co_u32 v4, vcc_lo, v4, v6
	s_delay_alu instid0(VALU_DEP_2)
	v_add_co_ci_u32_e32 v5, vcc_lo, v5, v7, vcc_lo
	s_clause 0x1
	flat_load_b64 v[6:7], v[4:5]
	flat_load_b64 v[8:9], v[4:5] offset:512
	s_waitcnt vmcnt(1) lgkmcnt(1)
	v_mul_f64 v[4:5], s[12:13], v[6:7]
	s_waitcnt vmcnt(0) lgkmcnt(0)
	v_mul_f64 v[6:7], s[12:13], v[8:9]
	v_add_nc_u32_e32 v83, 4, v82
	s_and_b32 vcc_lo, exec_lo, s2
	s_cbranch_vccnz .LBB141_14
.LBB141_11:
	s_delay_alu instid0(VALU_DEP_1) | instskip(SKIP_1) | instid1(VALU_DEP_2)
	v_mad_i64_i32 v[8:9], null, s19, v83, 0
	v_lshlrev_b64 v[10:11], 3, v[68:69]
	v_lshlrev_b64 v[8:9], 3, v[8:9]
	s_delay_alu instid0(VALU_DEP_1) | instskip(NEXT) | instid1(VALU_DEP_2)
	v_add_co_u32 v8, vcc_lo, s20, v8
	v_add_co_ci_u32_e32 v9, vcc_lo, s21, v9, vcc_lo
	s_delay_alu instid0(VALU_DEP_2) | instskip(NEXT) | instid1(VALU_DEP_2)
	v_add_co_u32 v8, vcc_lo, v8, v10
	v_add_co_ci_u32_e32 v9, vcc_lo, v9, v11, vcc_lo
	s_clause 0x1
	flat_load_b64 v[10:11], v[8:9]
	flat_load_b64 v[8:9], v[8:9] offset:512
	s_waitcnt vmcnt(1) lgkmcnt(1)
	v_mul_f64 v[72:73], s[12:13], v[10:11]
	s_waitcnt vmcnt(0) lgkmcnt(0)
	v_mul_f64 v[74:75], s[12:13], v[8:9]
	s_and_b32 vcc_lo, exec_lo, s2
	s_mov_b64 s[6:7], 0
	s_cbranch_vccnz .LBB141_15
.LBB141_12:
	v_mad_i64_i32 v[8:9], null, s22, v83, 0
	v_lshlrev_b64 v[10:11], 3, v[70:71]
	s_delay_alu instid0(VALU_DEP_2) | instskip(NEXT) | instid1(VALU_DEP_1)
	v_lshlrev_b64 v[8:9], 3, v[8:9]
	v_add_co_u32 v8, vcc_lo, s16, v8
	s_delay_alu instid0(VALU_DEP_2) | instskip(NEXT) | instid1(VALU_DEP_2)
	v_add_co_ci_u32_e32 v9, vcc_lo, s17, v9, vcc_lo
	v_add_co_u32 v8, vcc_lo, v8, v10
	s_delay_alu instid0(VALU_DEP_2)
	v_add_co_ci_u32_e32 v9, vcc_lo, v9, v11, vcc_lo
	s_clause 0x1
	flat_load_b64 v[10:11], v[8:9]
	flat_load_b64 v[8:9], v[8:9] offset:512
	s_waitcnt vmcnt(1) lgkmcnt(1)
	v_mul_f64 v[76:77], s[12:13], v[10:11]
	s_waitcnt vmcnt(0) lgkmcnt(0)
	v_mul_f64 v[78:79], s[12:13], v[8:9]
	s_branch .LBB141_16
.LBB141_13:
	v_mov_b32_e32 v4, 0
	v_dual_mov_b32 v5, 0 :: v_dual_mov_b32 v6, 0
	v_mov_b32_e32 v7, 0
	v_add_nc_u32_e32 v83, 4, v82
	s_and_b32 vcc_lo, exec_lo, s2
	s_cbranch_vccz .LBB141_11
.LBB141_14:
	v_mov_b32_e32 v72, 0
	v_dual_mov_b32 v73, 0 :: v_dual_mov_b32 v74, 0
	v_mov_b32_e32 v75, 0
	s_and_b32 vcc_lo, exec_lo, s2
	s_mov_b64 s[6:7], 0
	s_cbranch_vccz .LBB141_12
.LBB141_15:
	v_mov_b32_e32 v76, 0
	v_dual_mov_b32 v77, 0 :: v_dual_mov_b32 v78, 0
	v_mov_b32_e32 v79, 0
.LBB141_16:
	v_cmp_neq_f64_e64 s18, s[10:11], 0
	v_dual_mov_b32 v91, 8 :: v_dual_lshlrev_b32 v8, 3, v82
	v_dual_mov_b32 v93, 24 :: v_dual_lshlrev_b32 v84, 5, v80
	v_mov_b32_e32 v95, 40
	s_delay_alu instid0(VALU_DEP_3) | instskip(SKIP_1) | instid1(VALU_DEP_4)
	v_lshl_add_u32 v85, v89, 5, v8
	v_dual_mov_b32 v97, 56 :: v_dual_lshlrev_b32 v86, 5, v81
	v_add_nc_u32_e32 v48, 0x800, v84
	v_dual_mov_b32 v90, 0 :: v_dual_mov_b32 v99, 0x48
	ds_store_2addr_stride64_b64 v85, v[0:1], v[2:3] offset1:4
	ds_store_2addr_stride64_b64 v85, v[4:5], v[6:7] offset0:16 offset1:20
	s_waitcnt lgkmcnt(0)
	s_waitcnt_vscnt null, 0x0
	s_barrier
	buffer_gl0_inv
	ds_load_2addr_b64 v[0:3], v84 offset1:16
	ds_load_2addr_b64 v[4:7], v84 offset0:32 offset1:48
	ds_load_2addr_b64 v[8:11], v84 offset0:64 offset1:80
	;; [unrolled: 1-line block ×4, first 2 shown]
	ds_load_2addr_b64 v[20:23], v48 offset1:16
	ds_load_2addr_b64 v[24:27], v48 offset0:32 offset1:48
	ds_load_2addr_b64 v[28:31], v48 offset0:64 offset1:80
	;; [unrolled: 1-line block ×10, first 2 shown]
	ds_load_2addr_stride64_b64 v[64:67], v86 offset0:16 offset1:20
	v_or_b32_e32 v87, 0x2000, v85
	v_add_nc_u32_e32 v88, 0x2000, v86
	v_dual_mov_b32 v92, 16 :: v_dual_mov_b32 v101, 0x58
	v_dual_mov_b32 v94, 32 :: v_dual_mov_b32 v103, 0x68
	v_dual_mov_b32 v96, 48 :: v_dual_mov_b32 v105, 0x78
	v_dual_mov_b32 v98, 64 :: v_dual_mov_b32 v107, 0x88
	v_mov_b32_e32 v100, 0x50
	v_mov_b32_e32 v102, 0x60
	;; [unrolled: 1-line block ×18, first 2 shown]
	s_mov_b32 s3, -1
.LBB141_17:                             ; =>This Inner Loop Header: Depth=1
	scratch_load_b64 v[122:123], v90, off
	scratch_load_b64 v[124:125], v91, off
	;; [unrolled: 1-line block ×32, first 2 shown]
	s_cmp_eq_u32 s6, 1
	s_waitcnt lgkmcnt(16)
	v_max_f64 v[188:189], v[0:1], v[0:1]
	s_cselect_b32 vcc_lo, -1, 0
	v_max_f64 v[190:191], v[2:3], v[2:3]
	s_waitcnt lgkmcnt(0)
	v_dual_cndmask_b32 v187, v65, v67 :: v_dual_cndmask_b32 v186, v64, v66
	v_max_f64 v[192:193], v[4:5], v[4:5]
	v_max_f64 v[194:195], v[6:7], v[6:7]
	;; [unrolled: 1-line block ×31, first 2 shown]
	s_mov_b64 s[6:7], 1
	s_and_b32 vcc_lo, exec_lo, s3
	s_mov_b32 s3, 0
	v_min_f64 v[188:189], v[188:189], v[186:187]
	v_min_f64 v[190:191], v[190:191], v[186:187]
	;; [unrolled: 1-line block ×32, first 2 shown]
	s_waitcnt vmcnt(31)
	v_add_f64 v[122:123], v[122:123], v[188:189]
	s_waitcnt vmcnt(30)
	v_add_f64 v[124:125], v[190:191], v[124:125]
	;; [unrolled: 2-line block ×32, first 2 shown]
	scratch_store_b64 v90, v[122:123], off
	scratch_store_b64 v91, v[124:125], off
	;; [unrolled: 1-line block ×32, first 2 shown]
	v_mov_b32_e32 v90, 0x100
	v_mov_b32_e32 v91, 0x108
	;; [unrolled: 1-line block ×32, first 2 shown]
	s_cbranch_vccnz .LBB141_17
; %bb.18:
	v_dual_mov_b32 v91, 8 :: v_dual_add_nc_u32 v60, 0x800, v84
	ds_load_2addr_b64 v[0:3], v84 offset0:1 offset1:17
	ds_load_2addr_b64 v[4:7], v84 offset0:33 offset1:49
	;; [unrolled: 1-line block ×12, first 2 shown]
	v_dual_mov_b32 v93, 24 :: v_dual_add_nc_u32 v64, 8, v88
	ds_load_2addr_b64 v[48:51], v60 offset0:129 offset1:145
	ds_load_2addr_b64 v[52:55], v60 offset0:161 offset1:177
	;; [unrolled: 1-line block ×4, first 2 shown]
	ds_load_2addr_stride64_b64 v[64:67], v64 offset1:4
	v_dual_mov_b32 v90, 0 :: v_dual_mov_b32 v95, 40
	v_dual_mov_b32 v92, 16 :: v_dual_mov_b32 v97, 56
	;; [unrolled: 1-line block ×5, first 2 shown]
	v_mov_b32_e32 v100, 0x50
	v_mov_b32_e32 v102, 0x60
	;; [unrolled: 1-line block ×20, first 2 shown]
	s_mov_b64 s[6:7], 0
	s_mov_b32 s3, -1
.LBB141_19:                             ; =>This Inner Loop Header: Depth=1
	scratch_load_b64 v[122:123], v90, off
	scratch_load_b64 v[124:125], v91, off
	scratch_load_b64 v[126:127], v92, off
	scratch_load_b64 v[128:129], v93, off
	scratch_load_b64 v[130:131], v94, off
	scratch_load_b64 v[132:133], v95, off
	scratch_load_b64 v[134:135], v96, off
	scratch_load_b64 v[136:137], v97, off
	scratch_load_b64 v[138:139], v98, off
	scratch_load_b64 v[140:141], v99, off
	scratch_load_b64 v[142:143], v100, off
	scratch_load_b64 v[144:145], v101, off
	scratch_load_b64 v[146:147], v102, off
	scratch_load_b64 v[148:149], v103, off
	scratch_load_b64 v[150:151], v104, off
	scratch_load_b64 v[152:153], v105, off
	scratch_load_b64 v[154:155], v106, off
	scratch_load_b64 v[156:157], v107, off
	scratch_load_b64 v[158:159], v108, off
	scratch_load_b64 v[160:161], v109, off
	scratch_load_b64 v[162:163], v110, off
	scratch_load_b64 v[164:165], v111, off
	scratch_load_b64 v[166:167], v112, off
	scratch_load_b64 v[168:169], v113, off
	scratch_load_b64 v[170:171], v114, off
	scratch_load_b64 v[172:173], v115, off
	scratch_load_b64 v[174:175], v116, off
	scratch_load_b64 v[176:177], v117, off
	scratch_load_b64 v[178:179], v118, off
	scratch_load_b64 v[180:181], v119, off
	scratch_load_b64 v[182:183], v120, off
	scratch_load_b64 v[184:185], v121, off
	s_cmp_eq_u32 s6, 1
	s_waitcnt lgkmcnt(16)
	v_max_f64 v[188:189], v[0:1], v[0:1]
	s_cselect_b32 vcc_lo, -1, 0
	v_max_f64 v[190:191], v[2:3], v[2:3]
	s_waitcnt lgkmcnt(0)
	v_dual_cndmask_b32 v187, v65, v67 :: v_dual_cndmask_b32 v186, v64, v66
	v_max_f64 v[192:193], v[4:5], v[4:5]
	v_max_f64 v[194:195], v[6:7], v[6:7]
	v_max_f64 v[196:197], v[8:9], v[8:9]
	v_max_f64 v[198:199], v[10:11], v[10:11]
	v_max_f64 v[186:187], v[186:187], v[186:187]
	v_max_f64 v[200:201], v[12:13], v[12:13]
	v_max_f64 v[202:203], v[14:15], v[14:15]
	v_max_f64 v[204:205], v[16:17], v[16:17]
	v_max_f64 v[206:207], v[18:19], v[18:19]
	v_max_f64 v[208:209], v[20:21], v[20:21]
	v_max_f64 v[210:211], v[22:23], v[22:23]
	v_max_f64 v[212:213], v[24:25], v[24:25]
	v_max_f64 v[214:215], v[26:27], v[26:27]
	v_max_f64 v[216:217], v[28:29], v[28:29]
	v_max_f64 v[218:219], v[30:31], v[30:31]
	v_max_f64 v[220:221], v[32:33], v[32:33]
	v_max_f64 v[222:223], v[34:35], v[34:35]
	v_max_f64 v[224:225], v[36:37], v[36:37]
	v_max_f64 v[226:227], v[38:39], v[38:39]
	v_max_f64 v[228:229], v[40:41], v[40:41]
	v_max_f64 v[230:231], v[42:43], v[42:43]
	v_max_f64 v[232:233], v[44:45], v[44:45]
	v_max_f64 v[234:235], v[46:47], v[46:47]
	v_max_f64 v[236:237], v[48:49], v[48:49]
	v_max_f64 v[238:239], v[50:51], v[50:51]
	v_max_f64 v[240:241], v[52:53], v[52:53]
	v_max_f64 v[242:243], v[54:55], v[54:55]
	v_max_f64 v[244:245], v[56:57], v[56:57]
	v_max_f64 v[246:247], v[58:59], v[58:59]
	v_max_f64 v[248:249], v[60:61], v[60:61]
	v_max_f64 v[250:251], v[62:63], v[62:63]
	s_mov_b64 s[6:7], 1
	s_and_b32 vcc_lo, exec_lo, s3
	s_mov_b32 s3, 0
	v_min_f64 v[188:189], v[188:189], v[186:187]
	v_min_f64 v[190:191], v[190:191], v[186:187]
	;; [unrolled: 1-line block ×32, first 2 shown]
	s_waitcnt vmcnt(31)
	v_add_f64 v[122:123], v[122:123], v[188:189]
	s_waitcnt vmcnt(30)
	v_add_f64 v[124:125], v[190:191], v[124:125]
	;; [unrolled: 2-line block ×32, first 2 shown]
	scratch_store_b64 v90, v[122:123], off
	scratch_store_b64 v91, v[124:125], off
	;; [unrolled: 1-line block ×32, first 2 shown]
	v_mov_b32_e32 v90, 0x100
	v_mov_b32_e32 v91, 0x108
	;; [unrolled: 1-line block ×32, first 2 shown]
	s_cbranch_vccnz .LBB141_19
; %bb.20:
	v_dual_mov_b32 v91, 8 :: v_dual_add_nc_u32 v60, 0x800, v84
	ds_load_2addr_b64 v[0:3], v84 offset0:2 offset1:18
	ds_load_2addr_b64 v[4:7], v84 offset0:34 offset1:50
	;; [unrolled: 1-line block ×12, first 2 shown]
	v_dual_mov_b32 v93, 24 :: v_dual_add_nc_u32 v64, 16, v88
	ds_load_2addr_b64 v[48:51], v60 offset0:130 offset1:146
	ds_load_2addr_b64 v[52:55], v60 offset0:162 offset1:178
	;; [unrolled: 1-line block ×4, first 2 shown]
	ds_load_2addr_stride64_b64 v[64:67], v64 offset1:4
	v_dual_mov_b32 v90, 0 :: v_dual_mov_b32 v95, 40
	v_dual_mov_b32 v92, 16 :: v_dual_mov_b32 v97, 56
	;; [unrolled: 1-line block ×5, first 2 shown]
	v_mov_b32_e32 v100, 0x50
	v_mov_b32_e32 v102, 0x60
	;; [unrolled: 1-line block ×20, first 2 shown]
	s_mov_b64 s[6:7], 0
	s_mov_b32 s3, -1
.LBB141_21:                             ; =>This Inner Loop Header: Depth=1
	scratch_load_b64 v[122:123], v90, off
	scratch_load_b64 v[124:125], v91, off
	;; [unrolled: 1-line block ×32, first 2 shown]
	s_cmp_eq_u32 s6, 1
	s_waitcnt lgkmcnt(16)
	v_max_f64 v[188:189], v[0:1], v[0:1]
	s_cselect_b32 vcc_lo, -1, 0
	v_max_f64 v[190:191], v[2:3], v[2:3]
	s_waitcnt lgkmcnt(0)
	v_dual_cndmask_b32 v187, v65, v67 :: v_dual_cndmask_b32 v186, v64, v66
	v_max_f64 v[192:193], v[4:5], v[4:5]
	v_max_f64 v[194:195], v[6:7], v[6:7]
	v_max_f64 v[196:197], v[8:9], v[8:9]
	v_max_f64 v[198:199], v[10:11], v[10:11]
	v_max_f64 v[186:187], v[186:187], v[186:187]
	v_max_f64 v[200:201], v[12:13], v[12:13]
	v_max_f64 v[202:203], v[14:15], v[14:15]
	v_max_f64 v[204:205], v[16:17], v[16:17]
	v_max_f64 v[206:207], v[18:19], v[18:19]
	v_max_f64 v[208:209], v[20:21], v[20:21]
	v_max_f64 v[210:211], v[22:23], v[22:23]
	v_max_f64 v[212:213], v[24:25], v[24:25]
	v_max_f64 v[214:215], v[26:27], v[26:27]
	v_max_f64 v[216:217], v[28:29], v[28:29]
	v_max_f64 v[218:219], v[30:31], v[30:31]
	v_max_f64 v[220:221], v[32:33], v[32:33]
	v_max_f64 v[222:223], v[34:35], v[34:35]
	v_max_f64 v[224:225], v[36:37], v[36:37]
	v_max_f64 v[226:227], v[38:39], v[38:39]
	v_max_f64 v[228:229], v[40:41], v[40:41]
	v_max_f64 v[230:231], v[42:43], v[42:43]
	v_max_f64 v[232:233], v[44:45], v[44:45]
	v_max_f64 v[234:235], v[46:47], v[46:47]
	v_max_f64 v[236:237], v[48:49], v[48:49]
	v_max_f64 v[238:239], v[50:51], v[50:51]
	v_max_f64 v[240:241], v[52:53], v[52:53]
	v_max_f64 v[242:243], v[54:55], v[54:55]
	v_max_f64 v[244:245], v[56:57], v[56:57]
	v_max_f64 v[246:247], v[58:59], v[58:59]
	v_max_f64 v[248:249], v[60:61], v[60:61]
	v_max_f64 v[250:251], v[62:63], v[62:63]
	s_mov_b64 s[6:7], 1
	s_and_b32 vcc_lo, exec_lo, s3
	s_mov_b32 s3, 0
	v_min_f64 v[188:189], v[188:189], v[186:187]
	v_min_f64 v[190:191], v[190:191], v[186:187]
	;; [unrolled: 1-line block ×32, first 2 shown]
	s_waitcnt vmcnt(31)
	v_add_f64 v[122:123], v[122:123], v[188:189]
	s_waitcnt vmcnt(30)
	v_add_f64 v[124:125], v[190:191], v[124:125]
	;; [unrolled: 2-line block ×32, first 2 shown]
	scratch_store_b64 v90, v[122:123], off
	scratch_store_b64 v91, v[124:125], off
	;; [unrolled: 1-line block ×32, first 2 shown]
	v_mov_b32_e32 v90, 0x100
	v_mov_b32_e32 v91, 0x108
	;; [unrolled: 1-line block ×32, first 2 shown]
	s_cbranch_vccnz .LBB141_21
; %bb.22:
	v_dual_mov_b32 v91, 8 :: v_dual_add_nc_u32 v60, 0x800, v84
	ds_load_2addr_b64 v[0:3], v84 offset0:3 offset1:19
	ds_load_2addr_b64 v[4:7], v84 offset0:35 offset1:51
	;; [unrolled: 1-line block ×12, first 2 shown]
	v_dual_mov_b32 v93, 24 :: v_dual_add_nc_u32 v64, 24, v88
	ds_load_2addr_b64 v[48:51], v60 offset0:131 offset1:147
	ds_load_2addr_b64 v[52:55], v60 offset0:163 offset1:179
	;; [unrolled: 1-line block ×4, first 2 shown]
	ds_load_2addr_stride64_b64 v[64:67], v64 offset1:4
	v_dual_mov_b32 v90, 0 :: v_dual_mov_b32 v95, 40
	v_dual_mov_b32 v92, 16 :: v_dual_mov_b32 v97, 56
	;; [unrolled: 1-line block ×5, first 2 shown]
	v_mov_b32_e32 v100, 0x50
	v_mov_b32_e32 v102, 0x60
	;; [unrolled: 1-line block ×20, first 2 shown]
	s_mov_b64 s[6:7], 0
	s_mov_b32 s3, -1
.LBB141_23:                             ; =>This Inner Loop Header: Depth=1
	scratch_load_b64 v[122:123], v90, off
	scratch_load_b64 v[124:125], v91, off
	;; [unrolled: 1-line block ×32, first 2 shown]
	s_cmp_eq_u32 s6, 1
	s_waitcnt lgkmcnt(16)
	v_max_f64 v[188:189], v[0:1], v[0:1]
	s_cselect_b32 vcc_lo, -1, 0
	v_max_f64 v[190:191], v[2:3], v[2:3]
	s_waitcnt lgkmcnt(0)
	v_dual_cndmask_b32 v187, v65, v67 :: v_dual_cndmask_b32 v186, v64, v66
	v_max_f64 v[192:193], v[4:5], v[4:5]
	v_max_f64 v[194:195], v[6:7], v[6:7]
	;; [unrolled: 1-line block ×31, first 2 shown]
	s_mov_b64 s[6:7], 1
	s_and_b32 vcc_lo, exec_lo, s3
	s_mov_b32 s3, 0
	v_min_f64 v[188:189], v[188:189], v[186:187]
	v_min_f64 v[190:191], v[190:191], v[186:187]
	;; [unrolled: 1-line block ×32, first 2 shown]
	s_waitcnt vmcnt(31)
	v_add_f64 v[122:123], v[122:123], v[188:189]
	s_waitcnt vmcnt(30)
	v_add_f64 v[124:125], v[190:191], v[124:125]
	;; [unrolled: 2-line block ×32, first 2 shown]
	scratch_store_b64 v90, v[122:123], off
	scratch_store_b64 v91, v[124:125], off
	;; [unrolled: 1-line block ×32, first 2 shown]
	v_mov_b32_e32 v90, 0x100
	v_mov_b32_e32 v91, 0x108
	;; [unrolled: 1-line block ×32, first 2 shown]
	s_cbranch_vccnz .LBB141_23
; %bb.24:
	s_load_b32 s3, s[0:1], 0x8
	v_lshlrev_b32_e32 v0, 5, v89
	s_mov_b32 s25, 8
	s_delay_alu instid0(VALU_DEP_1)
	v_lshl_add_u32 v0, v82, 3, v0
	ds_store_2addr_stride64_b64 v0, v[72:73], v[74:75] offset0:8 offset1:12
	ds_store_2addr_stride64_b64 v0, v[76:77], v[78:79] offset0:24 offset1:28
	s_waitcnt lgkmcnt(0)
	s_waitcnt_vscnt null, 0x0
	s_barrier
	buffer_gl0_inv
	s_cmp_gt_i32 s3, 8
	s_cbranch_scc0 .LBB141_53
; %bb.25:
	v_lshlrev_b64 v[1:2], 3, v[68:69]
	v_lshlrev_b64 v[3:4], 3, v[70:71]
	v_lshl_add_u32 v78, v80, 5, 0x1000
	v_or_b32_e32 v76, 0x1000, v0
	v_or_b32_e32 v77, 0x3000, v0
	v_lshl_add_u32 v79, v81, 5, 0x3000
	v_add_co_u32 v89, vcc_lo, s20, v1
	v_add_co_ci_u32_e32 v90, vcc_lo, s21, v2, vcc_lo
	v_add_co_u32 v91, vcc_lo, s16, v3
	v_add_co_ci_u32_e32 v92, vcc_lo, s17, v4, vcc_lo
	v_add_nc_u32_e32 v93, 0x800, v78
	s_add_i32 s16, s3, -8
	s_mov_b32 s17, 0
	s_and_b32 s3, exec_lo, s26
.LBB141_26:                             ; =>This Loop Header: Depth=1
                                        ;     Child Loop BB141_32 Depth 2
                                        ;     Child Loop BB141_34 Depth 2
	;; [unrolled: 1-line block ×8, first 2 shown]
	v_add_nc_u32_e32 v0, s25, v82
	s_and_b32 vcc_lo, exec_lo, s2
	s_cbranch_vccnz .LBB141_29
; %bb.27:                               ;   in Loop: Header=BB141_26 Depth=1
	s_delay_alu instid0(VALU_DEP_1) | instskip(NEXT) | instid1(VALU_DEP_1)
	v_mad_u64_u32 v[1:2], null, v0, s19, 0
	v_mad_u64_u32 v[3:4], null, v0, s24, v[2:3]
	s_delay_alu instid0(VALU_DEP_1) | instskip(NEXT) | instid1(VALU_DEP_1)
	v_mov_b32_e32 v2, v3
	v_lshlrev_b64 v[1:2], 3, v[1:2]
	s_delay_alu instid0(VALU_DEP_1) | instskip(NEXT) | instid1(VALU_DEP_2)
	v_add_co_u32 v1, vcc_lo, v89, v1
	v_add_co_ci_u32_e32 v2, vcc_lo, v90, v2, vcc_lo
	s_clause 0x1
	flat_load_b64 v[3:4], v[1:2]
	flat_load_b64 v[1:2], v[1:2] offset:512
	s_waitcnt vmcnt(1) lgkmcnt(1)
	v_mul_f64 v[68:69], s[12:13], v[3:4]
	s_waitcnt vmcnt(0) lgkmcnt(0)
	v_mul_f64 v[70:71], s[12:13], v[1:2]
	s_and_b32 vcc_lo, exec_lo, s2
	s_mov_b64 s[6:7], 0
	s_cbranch_vccnz .LBB141_30
.LBB141_28:                             ;   in Loop: Header=BB141_26 Depth=1
	v_mad_u64_u32 v[1:2], null, v0, s22, 0
	s_delay_alu instid0(VALU_DEP_1) | instskip(NEXT) | instid1(VALU_DEP_1)
	v_mad_u64_u32 v[3:4], null, v0, s23, v[2:3]
	v_mov_b32_e32 v2, v3
	s_delay_alu instid0(VALU_DEP_1) | instskip(NEXT) | instid1(VALU_DEP_1)
	v_lshlrev_b64 v[0:1], 3, v[1:2]
	v_add_co_u32 v0, vcc_lo, v91, v0
	s_delay_alu instid0(VALU_DEP_2)
	v_add_co_ci_u32_e32 v1, vcc_lo, v92, v1, vcc_lo
	s_clause 0x1
	flat_load_b64 v[2:3], v[0:1]
	flat_load_b64 v[0:1], v[0:1] offset:512
	s_waitcnt vmcnt(1) lgkmcnt(1)
	v_mul_f64 v[72:73], s[12:13], v[2:3]
	s_waitcnt vmcnt(0) lgkmcnt(0)
	v_mul_f64 v[74:75], s[12:13], v[0:1]
	s_branch .LBB141_31
.LBB141_29:                             ;   in Loop: Header=BB141_26 Depth=1
	v_mov_b32_e32 v68, 0
	v_dual_mov_b32 v69, 0 :: v_dual_mov_b32 v70, 0
	v_mov_b32_e32 v71, 0
	s_and_b32 vcc_lo, exec_lo, s2
	s_mov_b64 s[6:7], 0
	s_cbranch_vccz .LBB141_28
.LBB141_30:                             ;   in Loop: Header=BB141_26 Depth=1
	v_mov_b32_e32 v72, 0
	v_dual_mov_b32 v73, 0 :: v_dual_mov_b32 v74, 0
	v_mov_b32_e32 v75, 0
.LBB141_31:                             ;   in Loop: Header=BB141_26 Depth=1
	ds_load_2addr_b64 v[0:3], v78 offset1:16
	ds_load_2addr_b64 v[4:7], v78 offset0:32 offset1:48
	ds_load_2addr_b64 v[8:11], v78 offset0:64 offset1:80
	;; [unrolled: 1-line block ×7, first 2 shown]
	ds_load_2addr_b64 v[32:35], v93 offset1:16
	ds_load_2addr_b64 v[36:39], v93 offset0:32 offset1:48
	ds_load_2addr_b64 v[40:43], v93 offset0:64 offset1:80
	ds_load_2addr_b64 v[44:47], v93 offset0:96 offset1:112
	ds_load_2addr_b64 v[48:51], v93 offset0:128 offset1:144
	ds_load_2addr_b64 v[52:55], v93 offset0:160 offset1:176
	ds_load_2addr_b64 v[56:59], v93 offset0:192 offset1:208
	ds_load_2addr_b64 v[60:63], v93 offset0:224 offset1:240
	ds_load_2addr_stride64_b64 v[64:67], v79 offset1:4
	v_dual_mov_b32 v125, 0 :: v_dual_mov_b32 v124, 8
	v_dual_mov_b32 v123, 16 :: v_dual_mov_b32 v122, 24
	;; [unrolled: 1-line block ×5, first 2 shown]
	v_mov_b32_e32 v115, 0x50
	v_mov_b32_e32 v114, 0x58
	;; [unrolled: 1-line block ×22, first 2 shown]
	s_mov_b32 s20, -1
.LBB141_32:                             ;   Parent Loop BB141_26 Depth=1
                                        ; =>  This Inner Loop Header: Depth=2
	scratch_load_b64 v[130:131], v125, off
	s_cmp_eq_u32 s6, 1
	s_waitcnt lgkmcnt(16)
	v_max_f64 v[128:129], v[0:1], v[0:1]
	s_cselect_b32 vcc_lo, -1, 0
	s_mov_b64 s[6:7], 1
	s_waitcnt lgkmcnt(0)
	v_dual_cndmask_b32 v127, v65, v67 :: v_dual_cndmask_b32 v126, v64, v66
	s_and_b32 vcc_lo, exec_lo, s20
	s_mov_b32 s20, 0
	s_delay_alu instid0(VALU_DEP_1) | instskip(NEXT) | instid1(VALU_DEP_1)
	v_max_f64 v[126:127], v[126:127], v[126:127]
	v_min_f64 v[128:129], v[128:129], v[126:127]
	s_waitcnt vmcnt(0)
	s_delay_alu instid0(VALU_DEP_1) | instskip(SKIP_3) | instid1(VALU_DEP_1)
	v_add_f64 v[128:129], v[130:131], v[128:129]
	scratch_load_b64 v[130:131], v124, off
	scratch_store_b64 v125, v[128:129], off
	v_max_f64 v[128:129], v[2:3], v[2:3]
	v_min_f64 v[128:129], v[128:129], v[126:127]
	s_waitcnt vmcnt(0)
	s_delay_alu instid0(VALU_DEP_1) | instskip(SKIP_3) | instid1(VALU_DEP_1)
	v_add_f64 v[128:129], v[128:129], v[130:131]
	scratch_store_b64 v124, v[128:129], off
	scratch_load_b64 v[128:129], v123, off
	v_max_f64 v[124:125], v[4:5], v[4:5]
	v_min_f64 v[124:125], v[124:125], v[126:127]
	s_waitcnt vmcnt(0)
	s_delay_alu instid0(VALU_DEP_1) | instskip(SKIP_3) | instid1(VALU_DEP_1)
	v_add_f64 v[124:125], v[124:125], v[128:129]
	scratch_load_b64 v[128:129], v122, off
	scratch_store_b64 v123, v[124:125], off
	v_max_f64 v[123:124], v[6:7], v[6:7]
	v_min_f64 v[123:124], v[123:124], v[126:127]
	s_waitcnt vmcnt(0)
	s_delay_alu instid0(VALU_DEP_1) | instskip(SKIP_3) | instid1(VALU_DEP_1)
	v_add_f64 v[123:124], v[123:124], v[128:129]
	scratch_store_b64 v122, v[123:124], off
	scratch_load_b64 v[124:125], v121, off
	v_max_f64 v[122:123], v[8:9], v[8:9]
	v_min_f64 v[122:123], v[122:123], v[126:127]
	s_waitcnt vmcnt(0)
	s_delay_alu instid0(VALU_DEP_1) | instskip(SKIP_4) | instid1(VALU_DEP_1)
	v_add_f64 v[122:123], v[122:123], v[124:125]
	v_mov_b32_e32 v125, 0x100
	scratch_store_b64 v121, v[122:123], off
	scratch_load_b64 v[123:124], v120, off
	v_max_f64 v[121:122], v[10:11], v[10:11]
	v_min_f64 v[121:122], v[121:122], v[126:127]
	s_waitcnt vmcnt(0)
	s_delay_alu instid0(VALU_DEP_1) | instskip(SKIP_4) | instid1(VALU_DEP_1)
	v_add_f64 v[121:122], v[121:122], v[123:124]
	v_mov_b32_e32 v124, 0x108
	;; [unrolled: 8-line block ×27, first 2 shown]
	scratch_store_b64 v95, v[96:97], off
	scratch_load_b64 v[97:98], v94, off
	v_max_f64 v[95:96], v[62:63], v[62:63]
	v_min_f64 v[95:96], v[95:96], v[126:127]
	s_waitcnt vmcnt(0)
	s_delay_alu instid0(VALU_DEP_1)
	v_add_f64 v[95:96], v[95:96], v[97:98]
	v_mov_b32_e32 v98, 0x1d8
	v_mov_b32_e32 v97, 0x1e0
	scratch_store_b64 v94, v[95:96], off
	v_mov_b32_e32 v96, 0x1e8
	v_mov_b32_e32 v95, 0x1f0
	;; [unrolled: 1-line block ×3, first 2 shown]
	s_cbranch_vccnz .LBB141_32
; %bb.33:                               ;   in Loop: Header=BB141_26 Depth=1
	ds_load_2addr_b64 v[0:3], v78 offset0:1 offset1:17
	ds_load_2addr_b64 v[4:7], v78 offset0:33 offset1:49
	;; [unrolled: 1-line block ×12, first 2 shown]
	v_dual_mov_b32 v125, 0 :: v_dual_add_nc_u32 v64, 8, v79
	ds_load_2addr_b64 v[48:51], v93 offset0:129 offset1:145
	ds_load_2addr_b64 v[52:55], v93 offset0:161 offset1:177
	;; [unrolled: 1-line block ×4, first 2 shown]
	ds_load_2addr_stride64_b64 v[64:67], v64 offset1:4
	v_dual_mov_b32 v124, 8 :: v_dual_mov_b32 v123, 16
	v_dual_mov_b32 v122, 24 :: v_dual_mov_b32 v121, 32
	;; [unrolled: 1-line block ×4, first 2 shown]
	v_mov_b32_e32 v116, 0x48
	v_mov_b32_e32 v115, 0x50
	;; [unrolled: 1-line block ×23, first 2 shown]
	s_mov_b64 s[6:7], 0
	s_mov_b32 s20, -1
.LBB141_34:                             ;   Parent Loop BB141_26 Depth=1
                                        ; =>  This Inner Loop Header: Depth=2
	scratch_load_b64 v[130:131], v125, off
	s_cmp_eq_u32 s6, 1
	s_waitcnt lgkmcnt(16)
	v_max_f64 v[128:129], v[0:1], v[0:1]
	s_cselect_b32 vcc_lo, -1, 0
	s_mov_b64 s[6:7], 1
	s_waitcnt lgkmcnt(0)
	v_dual_cndmask_b32 v127, v65, v67 :: v_dual_cndmask_b32 v126, v64, v66
	s_and_b32 vcc_lo, exec_lo, s20
	s_mov_b32 s20, 0
	s_delay_alu instid0(VALU_DEP_1) | instskip(NEXT) | instid1(VALU_DEP_1)
	v_max_f64 v[126:127], v[126:127], v[126:127]
	v_min_f64 v[128:129], v[128:129], v[126:127]
	s_waitcnt vmcnt(0)
	s_delay_alu instid0(VALU_DEP_1) | instskip(SKIP_3) | instid1(VALU_DEP_1)
	v_add_f64 v[128:129], v[130:131], v[128:129]
	scratch_load_b64 v[130:131], v124, off
	scratch_store_b64 v125, v[128:129], off
	v_max_f64 v[128:129], v[2:3], v[2:3]
	v_min_f64 v[128:129], v[128:129], v[126:127]
	s_waitcnt vmcnt(0)
	s_delay_alu instid0(VALU_DEP_1) | instskip(SKIP_3) | instid1(VALU_DEP_1)
	v_add_f64 v[128:129], v[128:129], v[130:131]
	scratch_store_b64 v124, v[128:129], off
	scratch_load_b64 v[128:129], v123, off
	v_max_f64 v[124:125], v[4:5], v[4:5]
	v_min_f64 v[124:125], v[124:125], v[126:127]
	s_waitcnt vmcnt(0)
	s_delay_alu instid0(VALU_DEP_1) | instskip(SKIP_3) | instid1(VALU_DEP_1)
	v_add_f64 v[124:125], v[124:125], v[128:129]
	scratch_load_b64 v[128:129], v122, off
	scratch_store_b64 v123, v[124:125], off
	v_max_f64 v[123:124], v[6:7], v[6:7]
	v_min_f64 v[123:124], v[123:124], v[126:127]
	s_waitcnt vmcnt(0)
	s_delay_alu instid0(VALU_DEP_1) | instskip(SKIP_3) | instid1(VALU_DEP_1)
	v_add_f64 v[123:124], v[123:124], v[128:129]
	scratch_store_b64 v122, v[123:124], off
	scratch_load_b64 v[124:125], v121, off
	v_max_f64 v[122:123], v[8:9], v[8:9]
	v_min_f64 v[122:123], v[122:123], v[126:127]
	s_waitcnt vmcnt(0)
	s_delay_alu instid0(VALU_DEP_1) | instskip(SKIP_4) | instid1(VALU_DEP_1)
	v_add_f64 v[122:123], v[122:123], v[124:125]
	v_mov_b32_e32 v125, 0x100
	scratch_store_b64 v121, v[122:123], off
	scratch_load_b64 v[123:124], v120, off
	v_max_f64 v[121:122], v[10:11], v[10:11]
	v_min_f64 v[121:122], v[121:122], v[126:127]
	s_waitcnt vmcnt(0)
	s_delay_alu instid0(VALU_DEP_1) | instskip(SKIP_4) | instid1(VALU_DEP_1)
	v_add_f64 v[121:122], v[121:122], v[123:124]
	v_mov_b32_e32 v124, 0x108
	;; [unrolled: 8-line block ×27, first 2 shown]
	scratch_store_b64 v95, v[96:97], off
	scratch_load_b64 v[97:98], v94, off
	v_max_f64 v[95:96], v[62:63], v[62:63]
	v_min_f64 v[95:96], v[95:96], v[126:127]
	s_waitcnt vmcnt(0)
	s_delay_alu instid0(VALU_DEP_1)
	v_add_f64 v[95:96], v[95:96], v[97:98]
	v_mov_b32_e32 v98, 0x1d8
	v_mov_b32_e32 v97, 0x1e0
	scratch_store_b64 v94, v[95:96], off
	v_mov_b32_e32 v96, 0x1e8
	v_mov_b32_e32 v95, 0x1f0
	;; [unrolled: 1-line block ×3, first 2 shown]
	s_cbranch_vccnz .LBB141_34
; %bb.35:                               ;   in Loop: Header=BB141_26 Depth=1
	ds_load_2addr_b64 v[0:3], v78 offset0:2 offset1:18
	ds_load_2addr_b64 v[4:7], v78 offset0:34 offset1:50
	;; [unrolled: 1-line block ×12, first 2 shown]
	v_dual_mov_b32 v125, 0 :: v_dual_add_nc_u32 v64, 16, v79
	ds_load_2addr_b64 v[48:51], v93 offset0:130 offset1:146
	ds_load_2addr_b64 v[52:55], v93 offset0:162 offset1:178
	;; [unrolled: 1-line block ×4, first 2 shown]
	ds_load_2addr_stride64_b64 v[64:67], v64 offset1:4
	v_dual_mov_b32 v124, 8 :: v_dual_mov_b32 v123, 16
	v_dual_mov_b32 v122, 24 :: v_dual_mov_b32 v121, 32
	v_dual_mov_b32 v120, 40 :: v_dual_mov_b32 v119, 48
	v_dual_mov_b32 v118, 56 :: v_dual_mov_b32 v117, 64
	v_mov_b32_e32 v116, 0x48
	v_mov_b32_e32 v115, 0x50
	;; [unrolled: 1-line block ×23, first 2 shown]
	s_mov_b64 s[6:7], 0
	s_mov_b32 s20, -1
.LBB141_36:                             ;   Parent Loop BB141_26 Depth=1
                                        ; =>  This Inner Loop Header: Depth=2
	scratch_load_b64 v[130:131], v125, off
	s_cmp_eq_u32 s6, 1
	s_waitcnt lgkmcnt(16)
	v_max_f64 v[128:129], v[0:1], v[0:1]
	s_cselect_b32 vcc_lo, -1, 0
	s_mov_b64 s[6:7], 1
	s_waitcnt lgkmcnt(0)
	v_dual_cndmask_b32 v127, v65, v67 :: v_dual_cndmask_b32 v126, v64, v66
	s_and_b32 vcc_lo, exec_lo, s20
	s_mov_b32 s20, 0
	s_delay_alu instid0(VALU_DEP_1) | instskip(NEXT) | instid1(VALU_DEP_1)
	v_max_f64 v[126:127], v[126:127], v[126:127]
	v_min_f64 v[128:129], v[128:129], v[126:127]
	s_waitcnt vmcnt(0)
	s_delay_alu instid0(VALU_DEP_1) | instskip(SKIP_3) | instid1(VALU_DEP_1)
	v_add_f64 v[128:129], v[130:131], v[128:129]
	scratch_load_b64 v[130:131], v124, off
	scratch_store_b64 v125, v[128:129], off
	v_max_f64 v[128:129], v[2:3], v[2:3]
	v_min_f64 v[128:129], v[128:129], v[126:127]
	s_waitcnt vmcnt(0)
	s_delay_alu instid0(VALU_DEP_1) | instskip(SKIP_3) | instid1(VALU_DEP_1)
	v_add_f64 v[128:129], v[128:129], v[130:131]
	scratch_store_b64 v124, v[128:129], off
	scratch_load_b64 v[128:129], v123, off
	v_max_f64 v[124:125], v[4:5], v[4:5]
	v_min_f64 v[124:125], v[124:125], v[126:127]
	s_waitcnt vmcnt(0)
	s_delay_alu instid0(VALU_DEP_1) | instskip(SKIP_3) | instid1(VALU_DEP_1)
	v_add_f64 v[124:125], v[124:125], v[128:129]
	scratch_load_b64 v[128:129], v122, off
	scratch_store_b64 v123, v[124:125], off
	v_max_f64 v[123:124], v[6:7], v[6:7]
	v_min_f64 v[123:124], v[123:124], v[126:127]
	s_waitcnt vmcnt(0)
	s_delay_alu instid0(VALU_DEP_1) | instskip(SKIP_3) | instid1(VALU_DEP_1)
	v_add_f64 v[123:124], v[123:124], v[128:129]
	scratch_store_b64 v122, v[123:124], off
	scratch_load_b64 v[124:125], v121, off
	v_max_f64 v[122:123], v[8:9], v[8:9]
	v_min_f64 v[122:123], v[122:123], v[126:127]
	s_waitcnt vmcnt(0)
	s_delay_alu instid0(VALU_DEP_1) | instskip(SKIP_4) | instid1(VALU_DEP_1)
	v_add_f64 v[122:123], v[122:123], v[124:125]
	v_mov_b32_e32 v125, 0x100
	scratch_store_b64 v121, v[122:123], off
	scratch_load_b64 v[123:124], v120, off
	v_max_f64 v[121:122], v[10:11], v[10:11]
	v_min_f64 v[121:122], v[121:122], v[126:127]
	s_waitcnt vmcnt(0)
	s_delay_alu instid0(VALU_DEP_1) | instskip(SKIP_4) | instid1(VALU_DEP_1)
	v_add_f64 v[121:122], v[121:122], v[123:124]
	v_mov_b32_e32 v124, 0x108
	;; [unrolled: 8-line block ×27, first 2 shown]
	scratch_store_b64 v95, v[96:97], off
	scratch_load_b64 v[97:98], v94, off
	v_max_f64 v[95:96], v[62:63], v[62:63]
	v_min_f64 v[95:96], v[95:96], v[126:127]
	s_waitcnt vmcnt(0)
	s_delay_alu instid0(VALU_DEP_1)
	v_add_f64 v[95:96], v[95:96], v[97:98]
	v_mov_b32_e32 v98, 0x1d8
	v_mov_b32_e32 v97, 0x1e0
	scratch_store_b64 v94, v[95:96], off
	v_mov_b32_e32 v96, 0x1e8
	v_mov_b32_e32 v95, 0x1f0
	;; [unrolled: 1-line block ×3, first 2 shown]
	s_cbranch_vccnz .LBB141_36
; %bb.37:                               ;   in Loop: Header=BB141_26 Depth=1
	ds_load_2addr_b64 v[0:3], v78 offset0:3 offset1:19
	ds_load_2addr_b64 v[4:7], v78 offset0:35 offset1:51
	;; [unrolled: 1-line block ×12, first 2 shown]
	v_dual_mov_b32 v125, 0 :: v_dual_add_nc_u32 v64, 24, v79
	ds_load_2addr_b64 v[48:51], v93 offset0:131 offset1:147
	ds_load_2addr_b64 v[52:55], v93 offset0:163 offset1:179
	;; [unrolled: 1-line block ×4, first 2 shown]
	ds_load_2addr_stride64_b64 v[64:67], v64 offset1:4
	v_dual_mov_b32 v124, 8 :: v_dual_mov_b32 v123, 16
	v_dual_mov_b32 v122, 24 :: v_dual_mov_b32 v121, 32
	;; [unrolled: 1-line block ×4, first 2 shown]
	v_mov_b32_e32 v116, 0x48
	v_mov_b32_e32 v115, 0x50
	;; [unrolled: 1-line block ×23, first 2 shown]
	s_mov_b64 s[6:7], 0
	s_mov_b32 s20, -1
.LBB141_38:                             ;   Parent Loop BB141_26 Depth=1
                                        ; =>  This Inner Loop Header: Depth=2
	scratch_load_b64 v[130:131], v125, off
	s_cmp_eq_u32 s6, 1
	s_waitcnt lgkmcnt(16)
	v_max_f64 v[128:129], v[0:1], v[0:1]
	s_cselect_b32 vcc_lo, -1, 0
	s_mov_b64 s[6:7], 1
	s_waitcnt lgkmcnt(0)
	v_dual_cndmask_b32 v127, v65, v67 :: v_dual_cndmask_b32 v126, v64, v66
	s_and_b32 vcc_lo, exec_lo, s20
	s_mov_b32 s20, 0
	s_delay_alu instid0(VALU_DEP_1) | instskip(NEXT) | instid1(VALU_DEP_1)
	v_max_f64 v[126:127], v[126:127], v[126:127]
	v_min_f64 v[128:129], v[128:129], v[126:127]
	s_waitcnt vmcnt(0)
	s_delay_alu instid0(VALU_DEP_1) | instskip(SKIP_3) | instid1(VALU_DEP_1)
	v_add_f64 v[128:129], v[130:131], v[128:129]
	scratch_load_b64 v[130:131], v124, off
	scratch_store_b64 v125, v[128:129], off
	v_max_f64 v[128:129], v[2:3], v[2:3]
	v_min_f64 v[128:129], v[128:129], v[126:127]
	s_waitcnt vmcnt(0)
	s_delay_alu instid0(VALU_DEP_1) | instskip(SKIP_3) | instid1(VALU_DEP_1)
	v_add_f64 v[128:129], v[128:129], v[130:131]
	scratch_store_b64 v124, v[128:129], off
	scratch_load_b64 v[128:129], v123, off
	v_max_f64 v[124:125], v[4:5], v[4:5]
	v_min_f64 v[124:125], v[124:125], v[126:127]
	s_waitcnt vmcnt(0)
	s_delay_alu instid0(VALU_DEP_1) | instskip(SKIP_3) | instid1(VALU_DEP_1)
	v_add_f64 v[124:125], v[124:125], v[128:129]
	scratch_load_b64 v[128:129], v122, off
	scratch_store_b64 v123, v[124:125], off
	v_max_f64 v[123:124], v[6:7], v[6:7]
	v_min_f64 v[123:124], v[123:124], v[126:127]
	s_waitcnt vmcnt(0)
	s_delay_alu instid0(VALU_DEP_1) | instskip(SKIP_3) | instid1(VALU_DEP_1)
	v_add_f64 v[123:124], v[123:124], v[128:129]
	scratch_store_b64 v122, v[123:124], off
	scratch_load_b64 v[124:125], v121, off
	v_max_f64 v[122:123], v[8:9], v[8:9]
	v_min_f64 v[122:123], v[122:123], v[126:127]
	s_waitcnt vmcnt(0)
	s_delay_alu instid0(VALU_DEP_1) | instskip(SKIP_4) | instid1(VALU_DEP_1)
	v_add_f64 v[122:123], v[122:123], v[124:125]
	v_mov_b32_e32 v125, 0x100
	scratch_store_b64 v121, v[122:123], off
	scratch_load_b64 v[123:124], v120, off
	v_max_f64 v[121:122], v[10:11], v[10:11]
	v_min_f64 v[121:122], v[121:122], v[126:127]
	s_waitcnt vmcnt(0)
	s_delay_alu instid0(VALU_DEP_1) | instskip(SKIP_4) | instid1(VALU_DEP_1)
	v_add_f64 v[121:122], v[121:122], v[123:124]
	v_mov_b32_e32 v124, 0x108
	;; [unrolled: 8-line block ×27, first 2 shown]
	scratch_store_b64 v95, v[96:97], off
	scratch_load_b64 v[97:98], v94, off
	v_max_f64 v[95:96], v[62:63], v[62:63]
	v_min_f64 v[95:96], v[95:96], v[126:127]
	s_waitcnt vmcnt(0)
	s_delay_alu instid0(VALU_DEP_1)
	v_add_f64 v[95:96], v[95:96], v[97:98]
	v_mov_b32_e32 v98, 0x1d8
	v_mov_b32_e32 v97, 0x1e0
	scratch_store_b64 v94, v[95:96], off
	v_mov_b32_e32 v96, 0x1e8
	v_mov_b32_e32 v95, 0x1f0
	;; [unrolled: 1-line block ×3, first 2 shown]
	s_cbranch_vccnz .LBB141_38
; %bb.39:                               ;   in Loop: Header=BB141_26 Depth=1
	v_add_nc_u32_e32 v0, s25, v83
	s_mov_b32 vcc_lo, s3
	ds_store_2addr_stride64_b64 v85, v[68:69], v[70:71] offset1:4
	ds_store_2addr_stride64_b64 v87, v[72:73], v[74:75] offset1:4
	s_waitcnt lgkmcnt(0)
	s_waitcnt_vscnt null, 0x0
	s_barrier
	buffer_gl0_inv
	s_cbranch_vccz .LBB141_42
; %bb.40:                               ;   in Loop: Header=BB141_26 Depth=1
	v_mad_u64_u32 v[1:2], null, v0, s19, 0
	s_delay_alu instid0(VALU_DEP_1) | instskip(NEXT) | instid1(VALU_DEP_1)
	v_mad_u64_u32 v[3:4], null, v0, s24, v[2:3]
	v_mov_b32_e32 v2, v3
	s_delay_alu instid0(VALU_DEP_1) | instskip(NEXT) | instid1(VALU_DEP_1)
	v_lshlrev_b64 v[1:2], 3, v[1:2]
	v_add_co_u32 v1, vcc_lo, v89, v1
	s_delay_alu instid0(VALU_DEP_2)
	v_add_co_ci_u32_e32 v2, vcc_lo, v90, v2, vcc_lo
	s_clause 0x1
	flat_load_b64 v[3:4], v[1:2]
	flat_load_b64 v[1:2], v[1:2] offset:512
	s_waitcnt vmcnt(1) lgkmcnt(1)
	v_mul_f64 v[68:69], s[12:13], v[3:4]
	s_waitcnt vmcnt(0) lgkmcnt(0)
	v_mul_f64 v[70:71], s[12:13], v[1:2]
	s_and_b32 vcc_lo, exec_lo, s2
	s_mov_b64 s[6:7], 0
	s_cbranch_vccnz .LBB141_43
.LBB141_41:                             ;   in Loop: Header=BB141_26 Depth=1
	v_mad_u64_u32 v[1:2], null, v0, s22, 0
	s_delay_alu instid0(VALU_DEP_1) | instskip(NEXT) | instid1(VALU_DEP_1)
	v_mad_u64_u32 v[3:4], null, v0, s23, v[2:3]
	v_mov_b32_e32 v2, v3
	s_delay_alu instid0(VALU_DEP_1) | instskip(NEXT) | instid1(VALU_DEP_1)
	v_lshlrev_b64 v[0:1], 3, v[1:2]
	v_add_co_u32 v0, vcc_lo, v91, v0
	s_delay_alu instid0(VALU_DEP_2)
	v_add_co_ci_u32_e32 v1, vcc_lo, v92, v1, vcc_lo
	s_clause 0x1
	flat_load_b64 v[2:3], v[0:1]
	flat_load_b64 v[0:1], v[0:1] offset:512
	s_waitcnt vmcnt(1) lgkmcnt(1)
	v_mul_f64 v[72:73], s[12:13], v[2:3]
	s_waitcnt vmcnt(0) lgkmcnt(0)
	v_mul_f64 v[74:75], s[12:13], v[0:1]
	s_branch .LBB141_44
.LBB141_42:                             ;   in Loop: Header=BB141_26 Depth=1
	v_mov_b32_e32 v68, 0
	v_dual_mov_b32 v69, 0 :: v_dual_mov_b32 v70, 0
	v_mov_b32_e32 v71, 0
	s_and_b32 vcc_lo, exec_lo, s2
	s_mov_b64 s[6:7], 0
	s_cbranch_vccz .LBB141_41
.LBB141_43:                             ;   in Loop: Header=BB141_26 Depth=1
	v_mov_b32_e32 v72, 0
	v_dual_mov_b32 v73, 0 :: v_dual_mov_b32 v74, 0
	v_mov_b32_e32 v75, 0
.LBB141_44:                             ;   in Loop: Header=BB141_26 Depth=1
	v_dual_mov_b32 v125, 8 :: v_dual_add_nc_u32 v94, 0x800, v84
	ds_load_2addr_b64 v[0:3], v84 offset1:16
	ds_load_2addr_b64 v[4:7], v84 offset0:32 offset1:48
	ds_load_2addr_b64 v[8:11], v84 offset0:64 offset1:80
	;; [unrolled: 1-line block ×7, first 2 shown]
	ds_load_2addr_b64 v[32:35], v94 offset1:16
	ds_load_2addr_b64 v[36:39], v94 offset0:32 offset1:48
	ds_load_2addr_b64 v[40:43], v94 offset0:64 offset1:80
	;; [unrolled: 1-line block ×7, first 2 shown]
	ds_load_2addr_stride64_b64 v[64:67], v88 offset1:4
	v_dual_mov_b32 v126, 0 :: v_dual_mov_b32 v123, 24
	v_dual_mov_b32 v124, 16 :: v_dual_mov_b32 v121, 40
	;; [unrolled: 1-line block ×5, first 2 shown]
	v_mov_b32_e32 v116, 0x50
	v_mov_b32_e32 v114, 0x60
	;; [unrolled: 1-line block ×21, first 2 shown]
	s_mov_b32 s20, -1
.LBB141_45:                             ;   Parent Loop BB141_26 Depth=1
                                        ; =>  This Inner Loop Header: Depth=2
	scratch_load_b64 v[131:132], v126, off
	s_cmp_eq_u32 s6, 1
	s_waitcnt lgkmcnt(16)
	v_max_f64 v[129:130], v[0:1], v[0:1]
	s_cselect_b32 vcc_lo, -1, 0
	s_mov_b64 s[6:7], 1
	s_waitcnt lgkmcnt(0)
	v_dual_cndmask_b32 v128, v65, v67 :: v_dual_cndmask_b32 v127, v64, v66
	s_and_b32 vcc_lo, exec_lo, s20
	s_mov_b32 s20, 0
	s_delay_alu instid0(VALU_DEP_1) | instskip(NEXT) | instid1(VALU_DEP_1)
	v_max_f64 v[127:128], v[127:128], v[127:128]
	v_min_f64 v[129:130], v[129:130], v[127:128]
	s_waitcnt vmcnt(0)
	s_delay_alu instid0(VALU_DEP_1) | instskip(SKIP_3) | instid1(VALU_DEP_1)
	v_add_f64 v[129:130], v[131:132], v[129:130]
	scratch_load_b64 v[131:132], v125, off
	scratch_store_b64 v126, v[129:130], off
	v_max_f64 v[129:130], v[2:3], v[2:3]
	v_min_f64 v[129:130], v[129:130], v[127:128]
	s_waitcnt vmcnt(0)
	s_delay_alu instid0(VALU_DEP_1) | instskip(SKIP_3) | instid1(VALU_DEP_1)
	v_add_f64 v[129:130], v[129:130], v[131:132]
	scratch_store_b64 v125, v[129:130], off
	scratch_load_b64 v[129:130], v124, off
	v_max_f64 v[125:126], v[4:5], v[4:5]
	v_min_f64 v[125:126], v[125:126], v[127:128]
	s_waitcnt vmcnt(0)
	s_delay_alu instid0(VALU_DEP_1) | instskip(SKIP_3) | instid1(VALU_DEP_1)
	v_add_f64 v[125:126], v[125:126], v[129:130]
	scratch_load_b64 v[129:130], v123, off
	scratch_store_b64 v124, v[125:126], off
	v_max_f64 v[124:125], v[6:7], v[6:7]
	v_min_f64 v[124:125], v[124:125], v[127:128]
	s_waitcnt vmcnt(0)
	s_delay_alu instid0(VALU_DEP_1) | instskip(SKIP_3) | instid1(VALU_DEP_1)
	v_add_f64 v[124:125], v[124:125], v[129:130]
	scratch_store_b64 v123, v[124:125], off
	scratch_load_b64 v[125:126], v122, off
	v_max_f64 v[123:124], v[8:9], v[8:9]
	v_min_f64 v[123:124], v[123:124], v[127:128]
	s_waitcnt vmcnt(0)
	s_delay_alu instid0(VALU_DEP_1) | instskip(SKIP_4) | instid1(VALU_DEP_1)
	v_add_f64 v[123:124], v[123:124], v[125:126]
	v_mov_b32_e32 v126, 0x100
	scratch_store_b64 v122, v[123:124], off
	scratch_load_b64 v[124:125], v121, off
	v_max_f64 v[122:123], v[10:11], v[10:11]
	v_min_f64 v[122:123], v[122:123], v[127:128]
	s_waitcnt vmcnt(0)
	s_delay_alu instid0(VALU_DEP_1) | instskip(SKIP_4) | instid1(VALU_DEP_1)
	v_add_f64 v[122:123], v[122:123], v[124:125]
	v_mov_b32_e32 v125, 0x108
	scratch_store_b64 v121, v[122:123], off
	scratch_load_b64 v[123:124], v120, off
	v_max_f64 v[121:122], v[12:13], v[12:13]
	v_min_f64 v[121:122], v[121:122], v[127:128]
	s_waitcnt vmcnt(0)
	s_delay_alu instid0(VALU_DEP_1) | instskip(SKIP_4) | instid1(VALU_DEP_1)
	v_add_f64 v[121:122], v[121:122], v[123:124]
	v_mov_b32_e32 v124, 0x110
	scratch_store_b64 v120, v[121:122], off
	scratch_load_b64 v[122:123], v119, off
	v_max_f64 v[120:121], v[14:15], v[14:15]
	v_min_f64 v[120:121], v[120:121], v[127:128]
	s_waitcnt vmcnt(0)
	s_delay_alu instid0(VALU_DEP_1) | instskip(SKIP_4) | instid1(VALU_DEP_1)
	v_add_f64 v[120:121], v[120:121], v[122:123]
	v_mov_b32_e32 v123, 0x118
	scratch_store_b64 v119, v[120:121], off
	scratch_load_b64 v[121:122], v118, off
	v_max_f64 v[119:120], v[16:17], v[16:17]
	v_min_f64 v[119:120], v[119:120], v[127:128]
	s_waitcnt vmcnt(0)
	s_delay_alu instid0(VALU_DEP_1) | instskip(SKIP_4) | instid1(VALU_DEP_1)
	v_add_f64 v[119:120], v[119:120], v[121:122]
	v_mov_b32_e32 v122, 0x120
	scratch_store_b64 v118, v[119:120], off
	scratch_load_b64 v[120:121], v117, off
	v_max_f64 v[118:119], v[18:19], v[18:19]
	v_min_f64 v[118:119], v[118:119], v[127:128]
	s_waitcnt vmcnt(0)
	s_delay_alu instid0(VALU_DEP_1) | instskip(SKIP_4) | instid1(VALU_DEP_1)
	v_add_f64 v[118:119], v[118:119], v[120:121]
	v_mov_b32_e32 v121, 0x128
	scratch_store_b64 v117, v[118:119], off
	scratch_load_b64 v[119:120], v116, off
	v_max_f64 v[117:118], v[20:21], v[20:21]
	v_min_f64 v[117:118], v[117:118], v[127:128]
	s_waitcnt vmcnt(0)
	s_delay_alu instid0(VALU_DEP_1) | instskip(SKIP_4) | instid1(VALU_DEP_1)
	v_add_f64 v[117:118], v[117:118], v[119:120]
	v_mov_b32_e32 v120, 0x130
	scratch_store_b64 v116, v[117:118], off
	scratch_load_b64 v[118:119], v115, off
	v_max_f64 v[116:117], v[22:23], v[22:23]
	v_min_f64 v[116:117], v[116:117], v[127:128]
	s_waitcnt vmcnt(0)
	s_delay_alu instid0(VALU_DEP_1) | instskip(SKIP_4) | instid1(VALU_DEP_1)
	v_add_f64 v[116:117], v[116:117], v[118:119]
	v_mov_b32_e32 v119, 0x138
	scratch_store_b64 v115, v[116:117], off
	scratch_load_b64 v[117:118], v114, off
	v_max_f64 v[115:116], v[24:25], v[24:25]
	v_min_f64 v[115:116], v[115:116], v[127:128]
	s_waitcnt vmcnt(0)
	s_delay_alu instid0(VALU_DEP_1) | instskip(SKIP_4) | instid1(VALU_DEP_1)
	v_add_f64 v[115:116], v[115:116], v[117:118]
	v_mov_b32_e32 v118, 0x140
	scratch_store_b64 v114, v[115:116], off
	scratch_load_b64 v[116:117], v113, off
	v_max_f64 v[114:115], v[26:27], v[26:27]
	v_min_f64 v[114:115], v[114:115], v[127:128]
	s_waitcnt vmcnt(0)
	s_delay_alu instid0(VALU_DEP_1) | instskip(SKIP_4) | instid1(VALU_DEP_1)
	v_add_f64 v[114:115], v[114:115], v[116:117]
	v_mov_b32_e32 v117, 0x148
	scratch_store_b64 v113, v[114:115], off
	scratch_load_b64 v[115:116], v112, off
	v_max_f64 v[113:114], v[28:29], v[28:29]
	v_min_f64 v[113:114], v[113:114], v[127:128]
	s_waitcnt vmcnt(0)
	s_delay_alu instid0(VALU_DEP_1) | instskip(SKIP_4) | instid1(VALU_DEP_1)
	v_add_f64 v[113:114], v[113:114], v[115:116]
	v_mov_b32_e32 v116, 0x150
	scratch_store_b64 v112, v[113:114], off
	scratch_load_b64 v[114:115], v111, off
	v_max_f64 v[112:113], v[30:31], v[30:31]
	v_min_f64 v[112:113], v[112:113], v[127:128]
	s_waitcnt vmcnt(0)
	s_delay_alu instid0(VALU_DEP_1) | instskip(SKIP_4) | instid1(VALU_DEP_1)
	v_add_f64 v[112:113], v[112:113], v[114:115]
	v_mov_b32_e32 v115, 0x158
	scratch_store_b64 v111, v[112:113], off
	scratch_load_b64 v[113:114], v110, off
	v_max_f64 v[111:112], v[32:33], v[32:33]
	v_min_f64 v[111:112], v[111:112], v[127:128]
	s_waitcnt vmcnt(0)
	s_delay_alu instid0(VALU_DEP_1) | instskip(SKIP_4) | instid1(VALU_DEP_1)
	v_add_f64 v[111:112], v[111:112], v[113:114]
	v_mov_b32_e32 v114, 0x160
	scratch_store_b64 v110, v[111:112], off
	scratch_load_b64 v[112:113], v109, off
	v_max_f64 v[110:111], v[34:35], v[34:35]
	v_min_f64 v[110:111], v[110:111], v[127:128]
	s_waitcnt vmcnt(0)
	s_delay_alu instid0(VALU_DEP_1) | instskip(SKIP_4) | instid1(VALU_DEP_1)
	v_add_f64 v[110:111], v[110:111], v[112:113]
	v_mov_b32_e32 v113, 0x168
	scratch_store_b64 v109, v[110:111], off
	scratch_load_b64 v[111:112], v108, off
	v_max_f64 v[109:110], v[36:37], v[36:37]
	v_min_f64 v[109:110], v[109:110], v[127:128]
	s_waitcnt vmcnt(0)
	s_delay_alu instid0(VALU_DEP_1) | instskip(SKIP_4) | instid1(VALU_DEP_1)
	v_add_f64 v[109:110], v[109:110], v[111:112]
	v_mov_b32_e32 v112, 0x170
	scratch_store_b64 v108, v[109:110], off
	scratch_load_b64 v[110:111], v107, off
	v_max_f64 v[108:109], v[38:39], v[38:39]
	v_min_f64 v[108:109], v[108:109], v[127:128]
	s_waitcnt vmcnt(0)
	s_delay_alu instid0(VALU_DEP_1) | instskip(SKIP_4) | instid1(VALU_DEP_1)
	v_add_f64 v[108:109], v[108:109], v[110:111]
	v_mov_b32_e32 v111, 0x178
	scratch_store_b64 v107, v[108:109], off
	scratch_load_b64 v[109:110], v106, off
	v_max_f64 v[107:108], v[40:41], v[40:41]
	v_min_f64 v[107:108], v[107:108], v[127:128]
	s_waitcnt vmcnt(0)
	s_delay_alu instid0(VALU_DEP_1) | instskip(SKIP_4) | instid1(VALU_DEP_1)
	v_add_f64 v[107:108], v[107:108], v[109:110]
	v_mov_b32_e32 v110, 0x180
	scratch_store_b64 v106, v[107:108], off
	scratch_load_b64 v[108:109], v105, off
	v_max_f64 v[106:107], v[42:43], v[42:43]
	v_min_f64 v[106:107], v[106:107], v[127:128]
	s_waitcnt vmcnt(0)
	s_delay_alu instid0(VALU_DEP_1) | instskip(SKIP_4) | instid1(VALU_DEP_1)
	v_add_f64 v[106:107], v[106:107], v[108:109]
	v_mov_b32_e32 v109, 0x188
	scratch_store_b64 v105, v[106:107], off
	scratch_load_b64 v[107:108], v104, off
	v_max_f64 v[105:106], v[44:45], v[44:45]
	v_min_f64 v[105:106], v[105:106], v[127:128]
	s_waitcnt vmcnt(0)
	s_delay_alu instid0(VALU_DEP_1) | instskip(SKIP_4) | instid1(VALU_DEP_1)
	v_add_f64 v[105:106], v[105:106], v[107:108]
	v_mov_b32_e32 v108, 0x190
	scratch_store_b64 v104, v[105:106], off
	scratch_load_b64 v[106:107], v103, off
	v_max_f64 v[104:105], v[46:47], v[46:47]
	v_min_f64 v[104:105], v[104:105], v[127:128]
	s_waitcnt vmcnt(0)
	s_delay_alu instid0(VALU_DEP_1) | instskip(SKIP_4) | instid1(VALU_DEP_1)
	v_add_f64 v[104:105], v[104:105], v[106:107]
	v_mov_b32_e32 v107, 0x198
	scratch_store_b64 v103, v[104:105], off
	scratch_load_b64 v[105:106], v102, off
	v_max_f64 v[103:104], v[48:49], v[48:49]
	v_min_f64 v[103:104], v[103:104], v[127:128]
	s_waitcnt vmcnt(0)
	s_delay_alu instid0(VALU_DEP_1) | instskip(SKIP_4) | instid1(VALU_DEP_1)
	v_add_f64 v[103:104], v[103:104], v[105:106]
	v_mov_b32_e32 v106, 0x1a0
	scratch_store_b64 v102, v[103:104], off
	scratch_load_b64 v[104:105], v101, off
	v_max_f64 v[102:103], v[50:51], v[50:51]
	v_min_f64 v[102:103], v[102:103], v[127:128]
	s_waitcnt vmcnt(0)
	s_delay_alu instid0(VALU_DEP_1) | instskip(SKIP_4) | instid1(VALU_DEP_1)
	v_add_f64 v[102:103], v[102:103], v[104:105]
	v_mov_b32_e32 v105, 0x1a8
	scratch_store_b64 v101, v[102:103], off
	scratch_load_b64 v[103:104], v100, off
	v_max_f64 v[101:102], v[52:53], v[52:53]
	v_min_f64 v[101:102], v[101:102], v[127:128]
	s_waitcnt vmcnt(0)
	s_delay_alu instid0(VALU_DEP_1) | instskip(SKIP_4) | instid1(VALU_DEP_1)
	v_add_f64 v[101:102], v[101:102], v[103:104]
	v_mov_b32_e32 v104, 0x1b0
	scratch_store_b64 v100, v[101:102], off
	scratch_load_b64 v[102:103], v99, off
	v_max_f64 v[100:101], v[54:55], v[54:55]
	v_min_f64 v[100:101], v[100:101], v[127:128]
	s_waitcnt vmcnt(0)
	s_delay_alu instid0(VALU_DEP_1) | instskip(SKIP_4) | instid1(VALU_DEP_1)
	v_add_f64 v[100:101], v[100:101], v[102:103]
	v_mov_b32_e32 v103, 0x1b8
	scratch_store_b64 v99, v[100:101], off
	scratch_load_b64 v[101:102], v98, off
	v_max_f64 v[99:100], v[56:57], v[56:57]
	v_min_f64 v[99:100], v[99:100], v[127:128]
	s_waitcnt vmcnt(0)
	s_delay_alu instid0(VALU_DEP_1) | instskip(SKIP_4) | instid1(VALU_DEP_1)
	v_add_f64 v[99:100], v[99:100], v[101:102]
	v_mov_b32_e32 v102, 0x1c0
	scratch_store_b64 v98, v[99:100], off
	scratch_load_b64 v[100:101], v97, off
	v_max_f64 v[98:99], v[58:59], v[58:59]
	v_min_f64 v[98:99], v[98:99], v[127:128]
	s_waitcnt vmcnt(0)
	s_delay_alu instid0(VALU_DEP_1) | instskip(SKIP_4) | instid1(VALU_DEP_1)
	v_add_f64 v[98:99], v[98:99], v[100:101]
	v_mov_b32_e32 v101, 0x1c8
	scratch_store_b64 v97, v[98:99], off
	scratch_load_b64 v[99:100], v96, off
	v_max_f64 v[97:98], v[60:61], v[60:61]
	v_min_f64 v[97:98], v[97:98], v[127:128]
	s_waitcnt vmcnt(0)
	s_delay_alu instid0(VALU_DEP_1) | instskip(SKIP_4) | instid1(VALU_DEP_1)
	v_add_f64 v[97:98], v[97:98], v[99:100]
	v_mov_b32_e32 v100, 0x1d0
	scratch_store_b64 v96, v[97:98], off
	scratch_load_b64 v[98:99], v95, off
	v_max_f64 v[96:97], v[62:63], v[62:63]
	v_min_f64 v[96:97], v[96:97], v[127:128]
	s_waitcnt vmcnt(0)
	s_delay_alu instid0(VALU_DEP_1)
	v_add_f64 v[96:97], v[96:97], v[98:99]
	v_mov_b32_e32 v99, 0x1d8
	v_mov_b32_e32 v98, 0x1e0
	scratch_store_b64 v95, v[96:97], off
	v_mov_b32_e32 v97, 0x1e8
	v_mov_b32_e32 v96, 0x1f0
	;; [unrolled: 1-line block ×3, first 2 shown]
	s_cbranch_vccnz .LBB141_45
; %bb.46:                               ;   in Loop: Header=BB141_26 Depth=1
	ds_load_2addr_b64 v[0:3], v84 offset0:1 offset1:17
	ds_load_2addr_b64 v[4:7], v84 offset0:33 offset1:49
	;; [unrolled: 1-line block ×12, first 2 shown]
	v_dual_mov_b32 v125, 8 :: v_dual_add_nc_u32 v64, 8, v88
	ds_load_2addr_b64 v[48:51], v94 offset0:129 offset1:145
	ds_load_2addr_b64 v[52:55], v94 offset0:161 offset1:177
	;; [unrolled: 1-line block ×4, first 2 shown]
	ds_load_2addr_stride64_b64 v[64:67], v64 offset1:4
	v_dual_mov_b32 v126, 0 :: v_dual_mov_b32 v123, 24
	v_dual_mov_b32 v124, 16 :: v_dual_mov_b32 v121, 40
	;; [unrolled: 1-line block ×5, first 2 shown]
	v_mov_b32_e32 v116, 0x50
	v_mov_b32_e32 v114, 0x60
	;; [unrolled: 1-line block ×21, first 2 shown]
	s_mov_b64 s[6:7], 0
	s_mov_b32 s20, -1
.LBB141_47:                             ;   Parent Loop BB141_26 Depth=1
                                        ; =>  This Inner Loop Header: Depth=2
	scratch_load_b64 v[131:132], v126, off
	s_cmp_eq_u32 s6, 1
	s_waitcnt lgkmcnt(16)
	v_max_f64 v[129:130], v[0:1], v[0:1]
	s_cselect_b32 vcc_lo, -1, 0
	s_mov_b64 s[6:7], 1
	s_waitcnt lgkmcnt(0)
	v_dual_cndmask_b32 v128, v65, v67 :: v_dual_cndmask_b32 v127, v64, v66
	s_and_b32 vcc_lo, exec_lo, s20
	s_mov_b32 s20, 0
	s_delay_alu instid0(VALU_DEP_1) | instskip(NEXT) | instid1(VALU_DEP_1)
	v_max_f64 v[127:128], v[127:128], v[127:128]
	v_min_f64 v[129:130], v[129:130], v[127:128]
	s_waitcnt vmcnt(0)
	s_delay_alu instid0(VALU_DEP_1) | instskip(SKIP_3) | instid1(VALU_DEP_1)
	v_add_f64 v[129:130], v[131:132], v[129:130]
	scratch_load_b64 v[131:132], v125, off
	scratch_store_b64 v126, v[129:130], off
	v_max_f64 v[129:130], v[2:3], v[2:3]
	v_min_f64 v[129:130], v[129:130], v[127:128]
	s_waitcnt vmcnt(0)
	s_delay_alu instid0(VALU_DEP_1) | instskip(SKIP_3) | instid1(VALU_DEP_1)
	v_add_f64 v[129:130], v[129:130], v[131:132]
	scratch_store_b64 v125, v[129:130], off
	scratch_load_b64 v[129:130], v124, off
	v_max_f64 v[125:126], v[4:5], v[4:5]
	v_min_f64 v[125:126], v[125:126], v[127:128]
	s_waitcnt vmcnt(0)
	s_delay_alu instid0(VALU_DEP_1) | instskip(SKIP_3) | instid1(VALU_DEP_1)
	v_add_f64 v[125:126], v[125:126], v[129:130]
	scratch_load_b64 v[129:130], v123, off
	scratch_store_b64 v124, v[125:126], off
	v_max_f64 v[124:125], v[6:7], v[6:7]
	v_min_f64 v[124:125], v[124:125], v[127:128]
	s_waitcnt vmcnt(0)
	s_delay_alu instid0(VALU_DEP_1) | instskip(SKIP_3) | instid1(VALU_DEP_1)
	v_add_f64 v[124:125], v[124:125], v[129:130]
	scratch_store_b64 v123, v[124:125], off
	scratch_load_b64 v[125:126], v122, off
	v_max_f64 v[123:124], v[8:9], v[8:9]
	v_min_f64 v[123:124], v[123:124], v[127:128]
	s_waitcnt vmcnt(0)
	s_delay_alu instid0(VALU_DEP_1) | instskip(SKIP_4) | instid1(VALU_DEP_1)
	v_add_f64 v[123:124], v[123:124], v[125:126]
	v_mov_b32_e32 v126, 0x100
	scratch_store_b64 v122, v[123:124], off
	scratch_load_b64 v[124:125], v121, off
	v_max_f64 v[122:123], v[10:11], v[10:11]
	v_min_f64 v[122:123], v[122:123], v[127:128]
	s_waitcnt vmcnt(0)
	s_delay_alu instid0(VALU_DEP_1) | instskip(SKIP_4) | instid1(VALU_DEP_1)
	v_add_f64 v[122:123], v[122:123], v[124:125]
	v_mov_b32_e32 v125, 0x108
	;; [unrolled: 8-line block ×27, first 2 shown]
	scratch_store_b64 v96, v[97:98], off
	scratch_load_b64 v[98:99], v95, off
	v_max_f64 v[96:97], v[62:63], v[62:63]
	v_min_f64 v[96:97], v[96:97], v[127:128]
	s_waitcnt vmcnt(0)
	s_delay_alu instid0(VALU_DEP_1)
	v_add_f64 v[96:97], v[96:97], v[98:99]
	v_mov_b32_e32 v99, 0x1d8
	v_mov_b32_e32 v98, 0x1e0
	scratch_store_b64 v95, v[96:97], off
	v_mov_b32_e32 v97, 0x1e8
	v_mov_b32_e32 v96, 0x1f0
	;; [unrolled: 1-line block ×3, first 2 shown]
	s_cbranch_vccnz .LBB141_47
; %bb.48:                               ;   in Loop: Header=BB141_26 Depth=1
	ds_load_2addr_b64 v[0:3], v84 offset0:2 offset1:18
	ds_load_2addr_b64 v[4:7], v84 offset0:34 offset1:50
	;; [unrolled: 1-line block ×12, first 2 shown]
	v_dual_mov_b32 v125, 8 :: v_dual_add_nc_u32 v64, 16, v88
	ds_load_2addr_b64 v[48:51], v94 offset0:130 offset1:146
	ds_load_2addr_b64 v[52:55], v94 offset0:162 offset1:178
	;; [unrolled: 1-line block ×4, first 2 shown]
	ds_load_2addr_stride64_b64 v[64:67], v64 offset1:4
	v_dual_mov_b32 v126, 0 :: v_dual_mov_b32 v123, 24
	v_dual_mov_b32 v124, 16 :: v_dual_mov_b32 v121, 40
	;; [unrolled: 1-line block ×5, first 2 shown]
	v_mov_b32_e32 v116, 0x50
	v_mov_b32_e32 v114, 0x60
	;; [unrolled: 1-line block ×21, first 2 shown]
	s_mov_b64 s[6:7], 0
	s_mov_b32 s20, -1
.LBB141_49:                             ;   Parent Loop BB141_26 Depth=1
                                        ; =>  This Inner Loop Header: Depth=2
	scratch_load_b64 v[131:132], v126, off
	s_cmp_eq_u32 s6, 1
	s_waitcnt lgkmcnt(16)
	v_max_f64 v[129:130], v[0:1], v[0:1]
	s_cselect_b32 vcc_lo, -1, 0
	s_mov_b64 s[6:7], 1
	s_waitcnt lgkmcnt(0)
	v_dual_cndmask_b32 v128, v65, v67 :: v_dual_cndmask_b32 v127, v64, v66
	s_and_b32 vcc_lo, exec_lo, s20
	s_mov_b32 s20, 0
	s_delay_alu instid0(VALU_DEP_1) | instskip(NEXT) | instid1(VALU_DEP_1)
	v_max_f64 v[127:128], v[127:128], v[127:128]
	v_min_f64 v[129:130], v[129:130], v[127:128]
	s_waitcnt vmcnt(0)
	s_delay_alu instid0(VALU_DEP_1) | instskip(SKIP_3) | instid1(VALU_DEP_1)
	v_add_f64 v[129:130], v[131:132], v[129:130]
	scratch_load_b64 v[131:132], v125, off
	scratch_store_b64 v126, v[129:130], off
	v_max_f64 v[129:130], v[2:3], v[2:3]
	v_min_f64 v[129:130], v[129:130], v[127:128]
	s_waitcnt vmcnt(0)
	s_delay_alu instid0(VALU_DEP_1) | instskip(SKIP_3) | instid1(VALU_DEP_1)
	v_add_f64 v[129:130], v[129:130], v[131:132]
	scratch_store_b64 v125, v[129:130], off
	scratch_load_b64 v[129:130], v124, off
	v_max_f64 v[125:126], v[4:5], v[4:5]
	v_min_f64 v[125:126], v[125:126], v[127:128]
	s_waitcnt vmcnt(0)
	s_delay_alu instid0(VALU_DEP_1) | instskip(SKIP_3) | instid1(VALU_DEP_1)
	v_add_f64 v[125:126], v[125:126], v[129:130]
	scratch_load_b64 v[129:130], v123, off
	scratch_store_b64 v124, v[125:126], off
	v_max_f64 v[124:125], v[6:7], v[6:7]
	v_min_f64 v[124:125], v[124:125], v[127:128]
	s_waitcnt vmcnt(0)
	s_delay_alu instid0(VALU_DEP_1) | instskip(SKIP_3) | instid1(VALU_DEP_1)
	v_add_f64 v[124:125], v[124:125], v[129:130]
	scratch_store_b64 v123, v[124:125], off
	scratch_load_b64 v[125:126], v122, off
	v_max_f64 v[123:124], v[8:9], v[8:9]
	v_min_f64 v[123:124], v[123:124], v[127:128]
	s_waitcnt vmcnt(0)
	s_delay_alu instid0(VALU_DEP_1) | instskip(SKIP_4) | instid1(VALU_DEP_1)
	v_add_f64 v[123:124], v[123:124], v[125:126]
	v_mov_b32_e32 v126, 0x100
	scratch_store_b64 v122, v[123:124], off
	scratch_load_b64 v[124:125], v121, off
	v_max_f64 v[122:123], v[10:11], v[10:11]
	v_min_f64 v[122:123], v[122:123], v[127:128]
	s_waitcnt vmcnt(0)
	s_delay_alu instid0(VALU_DEP_1) | instskip(SKIP_4) | instid1(VALU_DEP_1)
	v_add_f64 v[122:123], v[122:123], v[124:125]
	v_mov_b32_e32 v125, 0x108
	;; [unrolled: 8-line block ×27, first 2 shown]
	scratch_store_b64 v96, v[97:98], off
	scratch_load_b64 v[98:99], v95, off
	v_max_f64 v[96:97], v[62:63], v[62:63]
	v_min_f64 v[96:97], v[96:97], v[127:128]
	s_waitcnt vmcnt(0)
	s_delay_alu instid0(VALU_DEP_1)
	v_add_f64 v[96:97], v[96:97], v[98:99]
	v_mov_b32_e32 v99, 0x1d8
	v_mov_b32_e32 v98, 0x1e0
	scratch_store_b64 v95, v[96:97], off
	v_mov_b32_e32 v97, 0x1e8
	v_mov_b32_e32 v96, 0x1f0
	;; [unrolled: 1-line block ×3, first 2 shown]
	s_cbranch_vccnz .LBB141_49
; %bb.50:                               ;   in Loop: Header=BB141_26 Depth=1
	ds_load_2addr_b64 v[0:3], v84 offset0:3 offset1:19
	ds_load_2addr_b64 v[4:7], v84 offset0:35 offset1:51
	;; [unrolled: 1-line block ×12, first 2 shown]
	v_dual_mov_b32 v125, 0 :: v_dual_add_nc_u32 v64, 24, v88
	ds_load_2addr_b64 v[48:51], v94 offset0:131 offset1:147
	ds_load_2addr_b64 v[52:55], v94 offset0:163 offset1:179
	ds_load_2addr_b64 v[56:59], v94 offset0:195 offset1:211
	ds_load_2addr_b64 v[60:63], v94 offset0:227 offset1:243
	ds_load_2addr_stride64_b64 v[64:67], v64 offset1:4
	v_dual_mov_b32 v124, 8 :: v_dual_mov_b32 v123, 16
	v_dual_mov_b32 v122, 24 :: v_dual_mov_b32 v121, 32
	;; [unrolled: 1-line block ×4, first 2 shown]
	v_mov_b32_e32 v116, 0x48
	v_mov_b32_e32 v115, 0x50
	;; [unrolled: 1-line block ×23, first 2 shown]
	s_mov_b64 s[6:7], 0
	s_mov_b32 s20, -1
.LBB141_51:                             ;   Parent Loop BB141_26 Depth=1
                                        ; =>  This Inner Loop Header: Depth=2
	scratch_load_b64 v[130:131], v125, off
	s_cmp_eq_u32 s6, 1
	s_waitcnt lgkmcnt(16)
	v_max_f64 v[128:129], v[0:1], v[0:1]
	s_cselect_b32 vcc_lo, -1, 0
	s_mov_b64 s[6:7], 1
	s_waitcnt lgkmcnt(0)
	v_dual_cndmask_b32 v127, v65, v67 :: v_dual_cndmask_b32 v126, v64, v66
	s_and_b32 vcc_lo, exec_lo, s20
	s_mov_b32 s20, 0
	s_delay_alu instid0(VALU_DEP_1) | instskip(NEXT) | instid1(VALU_DEP_1)
	v_max_f64 v[126:127], v[126:127], v[126:127]
	v_min_f64 v[128:129], v[128:129], v[126:127]
	s_waitcnt vmcnt(0)
	s_delay_alu instid0(VALU_DEP_1) | instskip(SKIP_3) | instid1(VALU_DEP_1)
	v_add_f64 v[128:129], v[130:131], v[128:129]
	scratch_load_b64 v[130:131], v124, off
	scratch_store_b64 v125, v[128:129], off
	v_max_f64 v[128:129], v[2:3], v[2:3]
	v_min_f64 v[128:129], v[128:129], v[126:127]
	s_waitcnt vmcnt(0)
	s_delay_alu instid0(VALU_DEP_1) | instskip(SKIP_3) | instid1(VALU_DEP_1)
	v_add_f64 v[128:129], v[128:129], v[130:131]
	scratch_store_b64 v124, v[128:129], off
	scratch_load_b64 v[128:129], v123, off
	v_max_f64 v[124:125], v[4:5], v[4:5]
	v_min_f64 v[124:125], v[124:125], v[126:127]
	s_waitcnt vmcnt(0)
	s_delay_alu instid0(VALU_DEP_1) | instskip(SKIP_3) | instid1(VALU_DEP_1)
	v_add_f64 v[124:125], v[124:125], v[128:129]
	scratch_load_b64 v[128:129], v122, off
	scratch_store_b64 v123, v[124:125], off
	v_max_f64 v[123:124], v[6:7], v[6:7]
	v_min_f64 v[123:124], v[123:124], v[126:127]
	s_waitcnt vmcnt(0)
	s_delay_alu instid0(VALU_DEP_1) | instskip(SKIP_3) | instid1(VALU_DEP_1)
	v_add_f64 v[123:124], v[123:124], v[128:129]
	scratch_store_b64 v122, v[123:124], off
	scratch_load_b64 v[124:125], v121, off
	v_max_f64 v[122:123], v[8:9], v[8:9]
	v_min_f64 v[122:123], v[122:123], v[126:127]
	s_waitcnt vmcnt(0)
	s_delay_alu instid0(VALU_DEP_1) | instskip(SKIP_4) | instid1(VALU_DEP_1)
	v_add_f64 v[122:123], v[122:123], v[124:125]
	v_mov_b32_e32 v125, 0x100
	scratch_store_b64 v121, v[122:123], off
	scratch_load_b64 v[123:124], v120, off
	v_max_f64 v[121:122], v[10:11], v[10:11]
	v_min_f64 v[121:122], v[121:122], v[126:127]
	s_waitcnt vmcnt(0)
	s_delay_alu instid0(VALU_DEP_1) | instskip(SKIP_4) | instid1(VALU_DEP_1)
	v_add_f64 v[121:122], v[121:122], v[123:124]
	v_mov_b32_e32 v124, 0x108
	;; [unrolled: 8-line block ×27, first 2 shown]
	scratch_store_b64 v95, v[96:97], off
	scratch_load_b64 v[97:98], v94, off
	v_max_f64 v[95:96], v[62:63], v[62:63]
	v_min_f64 v[95:96], v[95:96], v[126:127]
	s_waitcnt vmcnt(0)
	s_delay_alu instid0(VALU_DEP_1)
	v_add_f64 v[95:96], v[95:96], v[97:98]
	v_mov_b32_e32 v98, 0x1d8
	v_mov_b32_e32 v97, 0x1e0
	scratch_store_b64 v94, v[95:96], off
	v_mov_b32_e32 v96, 0x1e8
	v_mov_b32_e32 v95, 0x1f0
	;; [unrolled: 1-line block ×3, first 2 shown]
	s_cbranch_vccnz .LBB141_51
; %bb.52:                               ;   in Loop: Header=BB141_26 Depth=1
	s_add_i32 s17, s17, 8
	s_add_i32 s25, s25, 8
	s_cmp_ge_i32 s17, s16
	ds_store_2addr_stride64_b64 v76, v[68:69], v[70:71] offset1:4
	ds_store_2addr_stride64_b64 v77, v[72:73], v[74:75] offset1:4
	s_waitcnt lgkmcnt(0)
	s_waitcnt_vscnt null, 0x0
	s_barrier
	buffer_gl0_inv
	s_cbranch_scc0 .LBB141_26
.LBB141_53:
	v_dual_mov_b32 v71, 8 :: v_dual_add_nc_u32 v28, 0x1000, v84
	v_dual_mov_b32 v75, 40 :: v_dual_add_nc_u32 v60, 0x1800, v84
	v_dual_mov_b32 v73, 24 :: v_dual_add_nc_u32 v68, 0x1000, v84
	ds_load_2addr_b64 v[0:3], v28 offset1:16
	ds_load_2addr_b64 v[4:7], v28 offset0:32 offset1:48
	ds_load_2addr_b64 v[8:11], v28 offset0:64 offset1:80
	;; [unrolled: 1-line block ×7, first 2 shown]
	ds_load_2addr_b64 v[32:35], v60 offset1:16
	ds_load_2addr_b64 v[36:39], v60 offset0:32 offset1:48
	ds_load_2addr_b64 v[40:43], v60 offset0:64 offset1:80
	;; [unrolled: 1-line block ×7, first 2 shown]
	ds_load_2addr_stride64_b64 v[64:67], v86 offset0:24 offset1:28
	v_dual_mov_b32 v70, 0 :: v_dual_add_nc_u32 v69, 0x3000, v86
	v_dual_mov_b32 v72, 16 :: v_dual_mov_b32 v77, 56
	v_dual_mov_b32 v74, 32 :: v_dual_mov_b32 v79, 0x48
	;; [unrolled: 1-line block ×4, first 2 shown]
	v_mov_b32_e32 v82, 0x50
	v_mov_b32_e32 v84, 0x60
	;; [unrolled: 1-line block ×20, first 2 shown]
	s_mov_b64 s[2:3], 0
	s_mov_b32 s6, -1
.LBB141_54:                             ; =>This Inner Loop Header: Depth=1
	scratch_load_b64 v[104:105], v70, off
	scratch_load_b64 v[106:107], v71, off
	;; [unrolled: 1-line block ×32, first 2 shown]
	s_cmp_eq_u32 s2, 1
	s_waitcnt lgkmcnt(16)
	v_max_f64 v[170:171], v[0:1], v[0:1]
	s_cselect_b32 vcc_lo, -1, 0
	v_max_f64 v[172:173], v[2:3], v[2:3]
	s_waitcnt lgkmcnt(0)
	v_dual_cndmask_b32 v169, v65, v67 :: v_dual_cndmask_b32 v168, v64, v66
	v_max_f64 v[174:175], v[4:5], v[4:5]
	v_max_f64 v[176:177], v[6:7], v[6:7]
	;; [unrolled: 1-line block ×31, first 2 shown]
	s_mov_b64 s[2:3], 1
	s_and_b32 vcc_lo, exec_lo, s6
	s_mov_b32 s6, 0
	v_min_f64 v[170:171], v[170:171], v[168:169]
	v_min_f64 v[172:173], v[172:173], v[168:169]
	;; [unrolled: 1-line block ×32, first 2 shown]
	s_waitcnt vmcnt(31)
	v_add_f64 v[104:105], v[104:105], v[170:171]
	s_waitcnt vmcnt(30)
	v_add_f64 v[106:107], v[172:173], v[106:107]
	;; [unrolled: 2-line block ×32, first 2 shown]
	scratch_store_b64 v70, v[104:105], off
	scratch_store_b64 v71, v[106:107], off
	;; [unrolled: 1-line block ×32, first 2 shown]
	v_mov_b32_e32 v70, 0x100
	v_mov_b32_e32 v71, 0x108
	;; [unrolled: 1-line block ×32, first 2 shown]
	s_cbranch_vccnz .LBB141_54
; %bb.55:
	v_dual_mov_b32 v71, 8 :: v_dual_add_nc_u32 v60, 0x800, v68
	ds_load_2addr_b64 v[0:3], v68 offset0:1 offset1:17
	ds_load_2addr_b64 v[4:7], v68 offset0:33 offset1:49
	;; [unrolled: 1-line block ×12, first 2 shown]
	v_dual_mov_b32 v73, 24 :: v_dual_add_nc_u32 v64, 8, v69
	ds_load_2addr_b64 v[48:51], v60 offset0:129 offset1:145
	ds_load_2addr_b64 v[52:55], v60 offset0:161 offset1:177
	;; [unrolled: 1-line block ×4, first 2 shown]
	ds_load_2addr_stride64_b64 v[64:67], v64 offset1:4
	v_dual_mov_b32 v70, 0 :: v_dual_mov_b32 v75, 40
	v_dual_mov_b32 v72, 16 :: v_dual_mov_b32 v77, 56
	;; [unrolled: 1-line block ×5, first 2 shown]
	v_mov_b32_e32 v82, 0x50
	v_mov_b32_e32 v84, 0x60
	;; [unrolled: 1-line block ×20, first 2 shown]
	s_mov_b64 s[2:3], 0
	s_mov_b32 s6, -1
.LBB141_56:                             ; =>This Inner Loop Header: Depth=1
	scratch_load_b64 v[104:105], v70, off
	scratch_load_b64 v[106:107], v71, off
	;; [unrolled: 1-line block ×32, first 2 shown]
	s_cmp_eq_u32 s2, 1
	s_waitcnt lgkmcnt(16)
	v_max_f64 v[170:171], v[0:1], v[0:1]
	s_cselect_b32 vcc_lo, -1, 0
	v_max_f64 v[172:173], v[2:3], v[2:3]
	s_waitcnt lgkmcnt(0)
	v_dual_cndmask_b32 v169, v65, v67 :: v_dual_cndmask_b32 v168, v64, v66
	v_max_f64 v[174:175], v[4:5], v[4:5]
	v_max_f64 v[176:177], v[6:7], v[6:7]
	;; [unrolled: 1-line block ×31, first 2 shown]
	s_mov_b64 s[2:3], 1
	s_and_b32 vcc_lo, exec_lo, s6
	s_mov_b32 s6, 0
	v_min_f64 v[170:171], v[170:171], v[168:169]
	v_min_f64 v[172:173], v[172:173], v[168:169]
	;; [unrolled: 1-line block ×32, first 2 shown]
	s_waitcnt vmcnt(31)
	v_add_f64 v[104:105], v[104:105], v[170:171]
	s_waitcnt vmcnt(30)
	v_add_f64 v[106:107], v[172:173], v[106:107]
	;; [unrolled: 2-line block ×32, first 2 shown]
	scratch_store_b64 v70, v[104:105], off
	scratch_store_b64 v71, v[106:107], off
	;; [unrolled: 1-line block ×32, first 2 shown]
	v_mov_b32_e32 v70, 0x100
	v_mov_b32_e32 v71, 0x108
	;; [unrolled: 1-line block ×32, first 2 shown]
	s_cbranch_vccnz .LBB141_56
; %bb.57:
	v_dual_mov_b32 v71, 8 :: v_dual_add_nc_u32 v60, 0x800, v68
	ds_load_2addr_b64 v[0:3], v68 offset0:2 offset1:18
	ds_load_2addr_b64 v[4:7], v68 offset0:34 offset1:50
	;; [unrolled: 1-line block ×12, first 2 shown]
	v_dual_mov_b32 v73, 24 :: v_dual_add_nc_u32 v64, 16, v69
	ds_load_2addr_b64 v[48:51], v60 offset0:130 offset1:146
	ds_load_2addr_b64 v[52:55], v60 offset0:162 offset1:178
	;; [unrolled: 1-line block ×4, first 2 shown]
	ds_load_2addr_stride64_b64 v[64:67], v64 offset1:4
	v_dual_mov_b32 v70, 0 :: v_dual_mov_b32 v75, 40
	v_dual_mov_b32 v72, 16 :: v_dual_mov_b32 v77, 56
	;; [unrolled: 1-line block ×5, first 2 shown]
	v_mov_b32_e32 v82, 0x50
	v_mov_b32_e32 v84, 0x60
	;; [unrolled: 1-line block ×20, first 2 shown]
	s_mov_b64 s[2:3], 0
	s_mov_b32 s6, -1
.LBB141_58:                             ; =>This Inner Loop Header: Depth=1
	scratch_load_b64 v[104:105], v70, off
	scratch_load_b64 v[106:107], v71, off
	;; [unrolled: 1-line block ×32, first 2 shown]
	s_cmp_eq_u32 s2, 1
	s_waitcnt lgkmcnt(16)
	v_max_f64 v[170:171], v[0:1], v[0:1]
	s_cselect_b32 vcc_lo, -1, 0
	v_max_f64 v[172:173], v[2:3], v[2:3]
	s_waitcnt lgkmcnt(0)
	v_dual_cndmask_b32 v169, v65, v67 :: v_dual_cndmask_b32 v168, v64, v66
	v_max_f64 v[174:175], v[4:5], v[4:5]
	v_max_f64 v[176:177], v[6:7], v[6:7]
	;; [unrolled: 1-line block ×31, first 2 shown]
	s_mov_b64 s[2:3], 1
	s_and_b32 vcc_lo, exec_lo, s6
	s_mov_b32 s6, 0
	v_min_f64 v[170:171], v[170:171], v[168:169]
	v_min_f64 v[172:173], v[172:173], v[168:169]
	;; [unrolled: 1-line block ×32, first 2 shown]
	s_waitcnt vmcnt(31)
	v_add_f64 v[104:105], v[104:105], v[170:171]
	s_waitcnt vmcnt(30)
	v_add_f64 v[106:107], v[172:173], v[106:107]
	;; [unrolled: 2-line block ×32, first 2 shown]
	scratch_store_b64 v70, v[104:105], off
	scratch_store_b64 v71, v[106:107], off
	;; [unrolled: 1-line block ×32, first 2 shown]
	v_mov_b32_e32 v70, 0x100
	v_mov_b32_e32 v71, 0x108
	;; [unrolled: 1-line block ×32, first 2 shown]
	s_cbranch_vccnz .LBB141_58
; %bb.59:
	v_add_nc_u32_e32 v60, 0x800, v68
	ds_load_2addr_b64 v[0:3], v68 offset0:3 offset1:19
	ds_load_2addr_b64 v[4:7], v68 offset0:35 offset1:51
	;; [unrolled: 1-line block ×4, first 2 shown]
	v_dual_mov_b32 v71, 24 :: v_dual_add_nc_u32 v64, 24, v69
	v_mov_b32_e32 v69, 8
	ds_load_2addr_b64 v[16:19], v68 offset0:131 offset1:147
	ds_load_2addr_b64 v[20:23], v68 offset0:163 offset1:179
	;; [unrolled: 1-line block ×12, first 2 shown]
	ds_load_2addr_stride64_b64 v[64:67], v64 offset1:4
	v_dual_mov_b32 v68, 0 :: v_dual_mov_b32 v73, 40
	v_dual_mov_b32 v70, 16 :: v_dual_mov_b32 v75, 56
	;; [unrolled: 1-line block ×5, first 2 shown]
	v_mov_b32_e32 v78, 0x50
	v_mov_b32_e32 v82, 0x60
	v_mov_b32_e32 v84, 0x70
	v_mov_b32_e32 v85, 0x78
	v_mov_b32_e32 v86, 0x80
	v_mov_b32_e32 v87, 0x88
	v_mov_b32_e32 v88, 0x90
	v_mov_b32_e32 v89, 0x98
	v_mov_b32_e32 v90, 0xa0
	v_mov_b32_e32 v91, 0xa8
	v_mov_b32_e32 v92, 0xb0
	v_mov_b32_e32 v93, 0xb8
	v_mov_b32_e32 v94, 0xc0
	v_mov_b32_e32 v95, 0xc8
	v_mov_b32_e32 v96, 0xd0
	v_mov_b32_e32 v97, 0xd8
	v_mov_b32_e32 v98, 0xe0
	v_mov_b32_e32 v99, 0xe8
	v_mov_b32_e32 v100, 0xf0
	v_mov_b32_e32 v101, 0xf8
	s_mov_b64 s[2:3], 0
	s_mov_b32 s6, -1
.LBB141_60:                             ; =>This Inner Loop Header: Depth=1
	scratch_load_b64 v[102:103], v68, off
	scratch_load_b64 v[104:105], v69, off
	;; [unrolled: 1-line block ×32, first 2 shown]
	s_cmp_eq_u32 s2, 1
	s_waitcnt lgkmcnt(16)
	v_max_f64 v[168:169], v[0:1], v[0:1]
	s_cselect_b32 vcc_lo, -1, 0
	v_max_f64 v[170:171], v[2:3], v[2:3]
	s_waitcnt lgkmcnt(0)
	v_dual_cndmask_b32 v167, v65, v67 :: v_dual_cndmask_b32 v166, v64, v66
	v_max_f64 v[172:173], v[4:5], v[4:5]
	v_max_f64 v[174:175], v[6:7], v[6:7]
	v_max_f64 v[176:177], v[8:9], v[8:9]
	v_max_f64 v[178:179], v[10:11], v[10:11]
	v_max_f64 v[166:167], v[166:167], v[166:167]
	v_max_f64 v[180:181], v[12:13], v[12:13]
	v_max_f64 v[182:183], v[14:15], v[14:15]
	v_max_f64 v[184:185], v[16:17], v[16:17]
	v_max_f64 v[186:187], v[18:19], v[18:19]
	v_max_f64 v[188:189], v[20:21], v[20:21]
	v_max_f64 v[190:191], v[22:23], v[22:23]
	v_max_f64 v[192:193], v[24:25], v[24:25]
	v_max_f64 v[194:195], v[26:27], v[26:27]
	v_max_f64 v[196:197], v[28:29], v[28:29]
	v_max_f64 v[198:199], v[30:31], v[30:31]
	v_max_f64 v[200:201], v[32:33], v[32:33]
	v_max_f64 v[202:203], v[34:35], v[34:35]
	v_max_f64 v[204:205], v[36:37], v[36:37]
	v_max_f64 v[206:207], v[38:39], v[38:39]
	v_max_f64 v[208:209], v[40:41], v[40:41]
	v_max_f64 v[210:211], v[42:43], v[42:43]
	v_max_f64 v[212:213], v[44:45], v[44:45]
	v_max_f64 v[214:215], v[46:47], v[46:47]
	v_max_f64 v[216:217], v[48:49], v[48:49]
	v_max_f64 v[218:219], v[50:51], v[50:51]
	v_max_f64 v[220:221], v[52:53], v[52:53]
	v_max_f64 v[222:223], v[54:55], v[54:55]
	v_max_f64 v[224:225], v[56:57], v[56:57]
	v_max_f64 v[226:227], v[58:59], v[58:59]
	v_max_f64 v[228:229], v[60:61], v[60:61]
	v_max_f64 v[230:231], v[62:63], v[62:63]
	s_mov_b64 s[2:3], 1
	s_and_b32 vcc_lo, exec_lo, s6
	s_mov_b32 s6, 0
	v_min_f64 v[168:169], v[168:169], v[166:167]
	v_min_f64 v[170:171], v[170:171], v[166:167]
	;; [unrolled: 1-line block ×32, first 2 shown]
	s_waitcnt vmcnt(31)
	v_add_f64 v[102:103], v[102:103], v[168:169]
	s_waitcnt vmcnt(30)
	v_add_f64 v[104:105], v[170:171], v[104:105]
	;; [unrolled: 2-line block ×32, first 2 shown]
	scratch_store_b64 v68, v[102:103], off
	scratch_store_b64 v69, v[104:105], off
	;; [unrolled: 1-line block ×32, first 2 shown]
	v_mov_b32_e32 v68, 0x100
	v_mov_b32_e32 v69, 0x108
	;; [unrolled: 1-line block ×32, first 2 shown]
	s_cbranch_vccnz .LBB141_60
; %bb.61:
	scratch_load_b64 v[2:3], off, off
	s_load_b32 s3, s[0:1], 0x58
	v_dual_mov_b32 v4, 0 :: v_dual_add_nc_u32 v71, s15, v81
	v_dual_mov_b32 v5, 0 :: v_dual_add_nc_u32 v16, s14, v80
	v_mov_b32_e32 v8, 0
	v_mov_b32_e32 v9, 0
	s_and_b32 s2, exec_lo, s18
	s_delay_alu instid0(VALU_DEP_3) | instskip(SKIP_2) | instid1(VALU_DEP_1)
	v_ashrrev_i32_e32 v17, 31, v16
	s_waitcnt lgkmcnt(0)
	v_mad_i64_i32 v[0:1], null, v71, s3, 0
	v_lshlrev_b64 v[0:1], 3, v[0:1]
	s_delay_alu instid0(VALU_DEP_1) | instskip(NEXT) | instid1(VALU_DEP_2)
	v_add_co_u32 v72, vcc_lo, s8, v0
	v_add_co_ci_u32_e32 v73, vcc_lo, s9, v1, vcc_lo
	v_lshlrev_b64 v[0:1], 3, v[16:17]
	s_mov_b32 vcc_lo, s2
	s_cbranch_vccz .LBB141_63
; %bb.62:
	s_delay_alu instid0(VALU_DEP_1) | instskip(NEXT) | instid1(VALU_DEP_2)
	v_add_co_u32 v6, vcc_lo, v72, v0
	v_add_co_ci_u32_e32 v7, vcc_lo, v73, v1, vcc_lo
	flat_load_b64 v[6:7], v[6:7]
	s_waitcnt vmcnt(0) lgkmcnt(0)
	v_mul_f64 v[8:9], s[10:11], v[6:7]
.LBB141_63:
	scratch_load_b64 v[6:7], off, off offset:8
	s_clause 0x1
	s_load_b32 s6, s[0:1], 0x70
	s_load_b64 s[0:1], s[0:1], 0x78
	s_waitcnt vmcnt(1)
	v_add_f64 v[8:9], v[2:3], v[8:9]
	v_add_nc_u32_e32 v10, 4, v16
	v_cndmask_b32_e64 v12, 0, 1, s18
	s_delay_alu instid0(VALU_DEP_2)
	v_ashrrev_i32_e32 v11, 31, v10
	s_waitcnt lgkmcnt(0)
	v_mad_i64_i32 v[2:3], null, v71, s6, 0
	s_lshl_b64 s[12:13], s[0:1], 3
	v_cmp_ne_u32_e64 s0, 1, v12
	s_add_u32 s1, s4, s12
	s_addc_u32 s4, s5, s13
	s_delay_alu instid0(VALU_DEP_2) | instskip(NEXT) | instid1(VALU_DEP_1)
	v_lshlrev_b64 v[2:3], 3, v[2:3]
	v_add_co_u32 v74, vcc_lo, s1, v2
	s_delay_alu instid0(VALU_DEP_2) | instskip(SKIP_1) | instid1(VALU_DEP_3)
	v_add_co_ci_u32_e32 v75, vcc_lo, s4, v3, vcc_lo
	v_lshlrev_b64 v[2:3], 3, v[10:11]
	v_add_co_u32 v12, vcc_lo, v74, v0
	s_delay_alu instid0(VALU_DEP_3)
	v_add_co_ci_u32_e32 v13, vcc_lo, v75, v1, vcc_lo
	s_and_not1_b32 vcc_lo, exec_lo, s18
	global_store_b64 v[12:13], v[8:9], off
	s_cbranch_vccnz .LBB141_65
; %bb.64:
	v_add_co_u32 v4, vcc_lo, v72, v2
	v_add_co_ci_u32_e32 v5, vcc_lo, v73, v3, vcc_lo
	flat_load_b64 v[4:5], v[4:5]
	s_waitcnt vmcnt(0) lgkmcnt(0)
	v_mul_f64 v[4:5], s[10:11], v[4:5]
.LBB141_65:
	scratch_load_b64 v[10:11], off, off offset:16
	s_waitcnt vmcnt(1)
	v_add_f64 v[12:13], v[6:7], v[4:5]
	v_add_nc_u32_e32 v4, 8, v16
	v_mov_b32_e32 v8, 0
	v_mov_b32_e32 v9, 0
	v_add_co_u32 v14, vcc_lo, v74, v2
	s_delay_alu instid0(VALU_DEP_4) | instskip(SKIP_3) | instid1(VALU_DEP_4)
	v_ashrrev_i32_e32 v5, 31, v4
	v_mov_b32_e32 v6, 0
	v_mov_b32_e32 v7, 0
	v_add_co_ci_u32_e32 v15, vcc_lo, v75, v3, vcc_lo
	v_lshlrev_b64 v[4:5], 3, v[4:5]
	s_and_b32 vcc_lo, exec_lo, s0
	global_store_b64 v[14:15], v[12:13], off
	s_cbranch_vccnz .LBB141_67
; %bb.66:
	v_add_co_u32 v6, vcc_lo, v72, v4
	v_add_co_ci_u32_e32 v7, vcc_lo, v73, v5, vcc_lo
	flat_load_b64 v[6:7], v[6:7]
	s_waitcnt vmcnt(0) lgkmcnt(0)
	v_mul_f64 v[6:7], s[10:11], v[6:7]
.LBB141_67:
	scratch_load_b64 v[12:13], off, off offset:24
	s_waitcnt vmcnt(1)
	v_add_f64 v[10:11], v[10:11], v[6:7]
	v_add_nc_u32_e32 v6, 12, v16
	v_add_co_u32 v14, vcc_lo, v74, v4
	v_add_co_ci_u32_e32 v15, vcc_lo, v75, v5, vcc_lo
	s_delay_alu instid0(VALU_DEP_3) | instskip(SKIP_1) | instid1(VALU_DEP_1)
	v_ashrrev_i32_e32 v7, 31, v6
	s_and_b32 vcc_lo, exec_lo, s0
	v_lshlrev_b64 v[6:7], 3, v[6:7]
	global_store_b64 v[14:15], v[10:11], off
	s_cbranch_vccnz .LBB141_69
; %bb.68:
	v_add_co_u32 v8, vcc_lo, v72, v6
	v_add_co_ci_u32_e32 v9, vcc_lo, v73, v7, vcc_lo
	flat_load_b64 v[8:9], v[8:9]
	s_waitcnt vmcnt(0) lgkmcnt(0)
	v_mul_f64 v[8:9], s[10:11], v[8:9]
.LBB141_69:
	scratch_load_b64 v[10:11], off, off offset:32
	s_waitcnt vmcnt(1)
	v_add_f64 v[17:18], v[12:13], v[8:9]
	v_add_nc_u32_e32 v8, 16, v16
	v_mov_b32_e32 v12, 0
	v_mov_b32_e32 v13, 0
	v_add_co_u32 v19, vcc_lo, v74, v6
	s_delay_alu instid0(VALU_DEP_4) | instskip(SKIP_3) | instid1(VALU_DEP_4)
	v_ashrrev_i32_e32 v9, 31, v8
	v_mov_b32_e32 v14, 0
	v_mov_b32_e32 v15, 0
	v_add_co_ci_u32_e32 v20, vcc_lo, v75, v7, vcc_lo
	v_lshlrev_b64 v[8:9], 3, v[8:9]
	s_and_b32 vcc_lo, exec_lo, s0
	global_store_b64 v[19:20], v[17:18], off
	s_cbranch_vccnz .LBB141_71
; %bb.70:
	v_add_co_u32 v14, vcc_lo, v72, v8
	v_add_co_ci_u32_e32 v15, vcc_lo, v73, v9, vcc_lo
	flat_load_b64 v[14:15], v[14:15]
	s_waitcnt vmcnt(0) lgkmcnt(0)
	v_mul_f64 v[14:15], s[10:11], v[14:15]
.LBB141_71:
	scratch_load_b64 v[17:18], off, off offset:40
	s_waitcnt vmcnt(1)
	v_add_f64 v[14:15], v[10:11], v[14:15]
	v_add_nc_u32_e32 v10, 20, v16
	v_add_co_u32 v19, vcc_lo, v74, v8
	v_add_co_ci_u32_e32 v20, vcc_lo, v75, v9, vcc_lo
	s_delay_alu instid0(VALU_DEP_3) | instskip(SKIP_1) | instid1(VALU_DEP_1)
	v_ashrrev_i32_e32 v11, 31, v10
	s_and_b32 vcc_lo, exec_lo, s0
	v_lshlrev_b64 v[10:11], 3, v[10:11]
	global_store_b64 v[19:20], v[14:15], off
	s_cbranch_vccnz .LBB141_73
; %bb.72:
	v_add_co_u32 v12, vcc_lo, v72, v10
	v_add_co_ci_u32_e32 v13, vcc_lo, v73, v11, vcc_lo
	flat_load_b64 v[12:13], v[12:13]
	s_waitcnt vmcnt(0) lgkmcnt(0)
	v_mul_f64 v[12:13], s[10:11], v[12:13]
.LBB141_73:
	scratch_load_b64 v[14:15], off, off offset:48
	s_waitcnt vmcnt(1)
	v_add_f64 v[21:22], v[17:18], v[12:13]
	v_dual_mov_b32 v17, 0 :: v_dual_add_nc_u32 v12, 24, v16
	v_add_co_u32 v23, vcc_lo, v74, v10
	v_dual_mov_b32 v18, 0 :: v_dual_mov_b32 v19, 0
	s_delay_alu instid0(VALU_DEP_3) | instskip(SKIP_3) | instid1(VALU_DEP_3)
	v_ashrrev_i32_e32 v13, 31, v12
	v_add_co_ci_u32_e32 v24, vcc_lo, v75, v11, vcc_lo
	v_mov_b32_e32 v20, 0
	s_and_b32 vcc_lo, exec_lo, s0
	v_lshlrev_b64 v[12:13], 3, v[12:13]
	global_store_b64 v[23:24], v[21:22], off
	s_cbranch_vccnz .LBB141_75
; %bb.74:
	v_add_co_u32 v19, vcc_lo, v72, v12
	v_add_co_ci_u32_e32 v20, vcc_lo, v73, v13, vcc_lo
	flat_load_b64 v[19:20], v[19:20]
	s_waitcnt vmcnt(0) lgkmcnt(0)
	v_mul_f64 v[19:20], s[10:11], v[19:20]
.LBB141_75:
	scratch_load_b64 v[21:22], off, off offset:56
	s_waitcnt vmcnt(1)
	v_add_f64 v[19:20], v[14:15], v[19:20]
	v_add_nc_u32_e32 v14, 28, v16
	v_add_co_u32 v23, vcc_lo, v74, v12
	v_add_co_ci_u32_e32 v24, vcc_lo, v75, v13, vcc_lo
	s_delay_alu instid0(VALU_DEP_3) | instskip(SKIP_1) | instid1(VALU_DEP_1)
	v_ashrrev_i32_e32 v15, 31, v14
	s_and_b32 vcc_lo, exec_lo, s0
	v_lshlrev_b64 v[14:15], 3, v[14:15]
	global_store_b64 v[23:24], v[19:20], off
	s_cbranch_vccnz .LBB141_77
; %bb.76:
	v_add_co_u32 v17, vcc_lo, v72, v14
	v_add_co_ci_u32_e32 v18, vcc_lo, v73, v15, vcc_lo
	flat_load_b64 v[17:18], v[17:18]
	s_waitcnt vmcnt(0) lgkmcnt(0)
	v_mul_f64 v[17:18], s[10:11], v[17:18]
.LBB141_77:
	scratch_load_b64 v[19:20], off, off offset:64
	s_waitcnt vmcnt(1)
	v_add_f64 v[25:26], v[21:22], v[17:18]
	v_add_nc_u32_e32 v17, 32, v16
	v_mov_b32_e32 v21, 0
	v_mov_b32_e32 v22, 0
	v_add_co_u32 v27, vcc_lo, v74, v14
	s_delay_alu instid0(VALU_DEP_4) | instskip(SKIP_3) | instid1(VALU_DEP_4)
	v_ashrrev_i32_e32 v18, 31, v17
	v_mov_b32_e32 v23, 0
	v_mov_b32_e32 v24, 0
	v_add_co_ci_u32_e32 v28, vcc_lo, v75, v15, vcc_lo
	v_lshlrev_b64 v[17:18], 3, v[17:18]
	s_and_b32 vcc_lo, exec_lo, s0
	global_store_b64 v[27:28], v[25:26], off
	s_cbranch_vccnz .LBB141_79
; %bb.78:
	v_add_co_u32 v23, vcc_lo, v72, v17
	v_add_co_ci_u32_e32 v24, vcc_lo, v73, v18, vcc_lo
	flat_load_b64 v[23:24], v[23:24]
	s_waitcnt vmcnt(0) lgkmcnt(0)
	v_mul_f64 v[23:24], s[10:11], v[23:24]
.LBB141_79:
	scratch_load_b64 v[25:26], off, off offset:72
	s_waitcnt vmcnt(1)
	v_add_f64 v[23:24], v[19:20], v[23:24]
	v_add_nc_u32_e32 v19, 36, v16
	v_add_co_u32 v27, vcc_lo, v74, v17
	v_add_co_ci_u32_e32 v28, vcc_lo, v75, v18, vcc_lo
	s_delay_alu instid0(VALU_DEP_3) | instskip(SKIP_1) | instid1(VALU_DEP_1)
	v_ashrrev_i32_e32 v20, 31, v19
	s_and_b32 vcc_lo, exec_lo, s0
	v_lshlrev_b64 v[19:20], 3, v[19:20]
	global_store_b64 v[27:28], v[23:24], off
	s_cbranch_vccnz .LBB141_81
; %bb.80:
	v_add_co_u32 v21, vcc_lo, v72, v19
	v_add_co_ci_u32_e32 v22, vcc_lo, v73, v20, vcc_lo
	flat_load_b64 v[21:22], v[21:22]
	s_waitcnt vmcnt(0) lgkmcnt(0)
	v_mul_f64 v[21:22], s[10:11], v[21:22]
.LBB141_81:
	scratch_load_b64 v[23:24], off, off offset:80
	s_waitcnt vmcnt(1)
	v_add_f64 v[29:30], v[25:26], v[21:22]
	v_add_nc_u32_e32 v21, 40, v16
	v_mov_b32_e32 v25, 0
	v_mov_b32_e32 v26, 0
	v_add_co_u32 v31, vcc_lo, v74, v19
	s_delay_alu instid0(VALU_DEP_4) | instskip(SKIP_3) | instid1(VALU_DEP_4)
	v_ashrrev_i32_e32 v22, 31, v21
	v_mov_b32_e32 v27, 0
	v_mov_b32_e32 v28, 0
	v_add_co_ci_u32_e32 v32, vcc_lo, v75, v20, vcc_lo
	v_lshlrev_b64 v[21:22], 3, v[21:22]
	s_and_b32 vcc_lo, exec_lo, s0
	;; [unrolled: 42-line block ×12, first 2 shown]
	global_store_b64 v[76:77], v[67:68], off
	s_cbranch_vccnz .LBB141_123
; %bb.122:
	v_add_co_u32 v67, vcc_lo, v72, v61
	v_add_co_ci_u32_e32 v68, vcc_lo, v73, v62, vcc_lo
	flat_load_b64 v[67:68], v[67:68]
	s_waitcnt vmcnt(0) lgkmcnt(0)
	v_mul_f64 v[69:70], s[10:11], v[67:68]
.LBB141_123:
	scratch_load_b64 v[67:68], off, off offset:248
	s_waitcnt vmcnt(1)
	v_add_f64 v[69:70], v[63:64], v[69:70]
	v_add_nc_u32_e32 v63, 0x7c, v16
	v_add_co_u32 v76, vcc_lo, v74, v61
	v_add_co_ci_u32_e32 v77, vcc_lo, v75, v62, vcc_lo
	s_delay_alu instid0(VALU_DEP_3) | instskip(SKIP_1) | instid1(VALU_DEP_1)
	v_ashrrev_i32_e32 v64, 31, v63
	s_and_b32 vcc_lo, exec_lo, s0
	v_lshlrev_b64 v[63:64], 3, v[63:64]
	global_store_b64 v[76:77], v[69:70], off
	s_cbranch_vccnz .LBB141_125
; %bb.124:
	v_add_co_u32 v65, vcc_lo, v72, v63
	v_add_co_ci_u32_e32 v66, vcc_lo, v73, v64, vcc_lo
	flat_load_b64 v[65:66], v[65:66]
	s_waitcnt vmcnt(0) lgkmcnt(0)
	v_mul_f64 v[65:66], s[10:11], v[65:66]
.LBB141_125:
	scratch_load_b64 v[69:70], off, off offset:256
	s_waitcnt vmcnt(1)
	v_add_f64 v[67:68], v[67:68], v[65:66]
	v_add_nc_u32_e32 v76, 64, v71
	v_add_co_u32 v74, vcc_lo, v74, v63
	v_add_co_ci_u32_e32 v75, vcc_lo, v75, v64, vcc_lo
	s_delay_alu instid0(VALU_DEP_3) | instskip(SKIP_2) | instid1(VALU_DEP_3)
	v_mad_i64_i32 v[65:66], null, v76, s3, 0
	v_mov_b32_e32 v71, 0
	v_mov_b32_e32 v72, 0
	v_lshlrev_b64 v[77:78], 3, v[65:66]
	v_mov_b32_e32 v65, 0
	v_mov_b32_e32 v66, 0
	s_delay_alu instid0(VALU_DEP_3) | instskip(NEXT) | instid1(VALU_DEP_4)
	v_add_co_u32 v16, vcc_lo, s8, v77
	v_add_co_ci_u32_e32 v73, vcc_lo, s9, v78, vcc_lo
	s_mov_b32 vcc_lo, s2
	global_store_b64 v[74:75], v[67:68], off
	s_cbranch_vccz .LBB141_127
; %bb.126:
	v_add_co_u32 v67, vcc_lo, v16, v0
	v_add_co_ci_u32_e32 v68, vcc_lo, v73, v1, vcc_lo
	flat_load_b64 v[67:68], v[67:68]
	s_waitcnt vmcnt(0) lgkmcnt(0)
	v_mul_f64 v[71:72], s[10:11], v[67:68]
.LBB141_127:
	scratch_load_b64 v[67:68], off, off offset:264
	s_waitcnt vmcnt(1)
	v_add_f64 v[69:70], v[69:70], v[71:72]
	v_mad_i64_i32 v[71:72], null, v76, s6, 0
	s_delay_alu instid0(VALU_DEP_1) | instskip(NEXT) | instid1(VALU_DEP_1)
	v_lshlrev_b64 v[71:72], 3, v[71:72]
	v_add_co_u32 v71, vcc_lo, s1, v71
	s_delay_alu instid0(VALU_DEP_2) | instskip(NEXT) | instid1(VALU_DEP_2)
	v_add_co_ci_u32_e32 v72, vcc_lo, s4, v72, vcc_lo
	v_add_co_u32 v0, vcc_lo, v71, v0
	s_delay_alu instid0(VALU_DEP_2)
	v_add_co_ci_u32_e32 v1, vcc_lo, v72, v1, vcc_lo
	s_and_b32 vcc_lo, exec_lo, s0
	global_store_b64 v[0:1], v[69:70], off
	s_cbranch_vccnz .LBB141_129
; %bb.128:
	v_add_co_u32 v0, vcc_lo, v16, v2
	v_add_co_ci_u32_e32 v1, vcc_lo, v73, v3, vcc_lo
	flat_load_b64 v[0:1], v[0:1]
	s_waitcnt vmcnt(0) lgkmcnt(0)
	v_mul_f64 v[65:66], s[10:11], v[0:1]
.LBB141_129:
	scratch_load_b64 v[69:70], off, off offset:272
	s_waitcnt vmcnt(1)
	v_add_f64 v[65:66], v[67:68], v[65:66]
	v_add_co_u32 v67, vcc_lo, v71, v2
	v_mov_b32_e32 v0, 0
	v_add_co_ci_u32_e32 v68, vcc_lo, v72, v3, vcc_lo
	v_dual_mov_b32 v1, 0 :: v_dual_mov_b32 v2, 0
	v_mov_b32_e32 v3, 0
	s_and_b32 vcc_lo, exec_lo, s0
	global_store_b64 v[67:68], v[65:66], off
	s_cbranch_vccnz .LBB141_131
; %bb.130:
	v_add_co_u32 v2, vcc_lo, v16, v4
	v_add_co_ci_u32_e32 v3, vcc_lo, v73, v5, vcc_lo
	flat_load_b64 v[2:3], v[2:3]
	s_waitcnt vmcnt(0) lgkmcnt(0)
	v_mul_f64 v[2:3], s[10:11], v[2:3]
.LBB141_131:
	scratch_load_b64 v[65:66], off, off offset:280
	s_waitcnt vmcnt(1)
	v_add_f64 v[2:3], v[69:70], v[2:3]
	v_add_co_u32 v4, vcc_lo, v71, v4
	v_add_co_ci_u32_e32 v5, vcc_lo, v72, v5, vcc_lo
	s_and_b32 vcc_lo, exec_lo, s0
	global_store_b64 v[4:5], v[2:3], off
	s_cbranch_vccnz .LBB141_133
; %bb.132:
	v_add_co_u32 v0, vcc_lo, v16, v6
	v_add_co_ci_u32_e32 v1, vcc_lo, v73, v7, vcc_lo
	flat_load_b64 v[0:1], v[0:1]
	s_waitcnt vmcnt(0) lgkmcnt(0)
	v_mul_f64 v[0:1], s[10:11], v[0:1]
.LBB141_133:
	scratch_load_b64 v[2:3], off, off offset:288
	s_waitcnt vmcnt(1)
	v_add_f64 v[4:5], v[65:66], v[0:1]
	v_add_co_u32 v65, vcc_lo, v71, v6
	v_mov_b32_e32 v0, 0
	v_add_co_ci_u32_e32 v66, vcc_lo, v72, v7, vcc_lo
	v_dual_mov_b32 v1, 0 :: v_dual_mov_b32 v6, 0
	v_mov_b32_e32 v7, 0
	s_and_b32 vcc_lo, exec_lo, s0
	global_store_b64 v[65:66], v[4:5], off
	s_cbranch_vccnz .LBB141_135
; %bb.134:
	v_add_co_u32 v4, vcc_lo, v16, v8
	v_add_co_ci_u32_e32 v5, vcc_lo, v73, v9, vcc_lo
	flat_load_b64 v[4:5], v[4:5]
	s_waitcnt vmcnt(0) lgkmcnt(0)
	v_mul_f64 v[6:7], s[10:11], v[4:5]
.LBB141_135:
	scratch_load_b64 v[4:5], off, off offset:296
	s_waitcnt vmcnt(1)
	v_add_f64 v[2:3], v[2:3], v[6:7]
	v_add_co_u32 v6, vcc_lo, v71, v8
	v_add_co_ci_u32_e32 v7, vcc_lo, v72, v9, vcc_lo
	s_and_b32 vcc_lo, exec_lo, s0
	global_store_b64 v[6:7], v[2:3], off
	s_cbranch_vccnz .LBB141_137
; %bb.136:
	v_add_co_u32 v0, vcc_lo, v16, v10
	v_add_co_ci_u32_e32 v1, vcc_lo, v73, v11, vcc_lo
	flat_load_b64 v[0:1], v[0:1]
	s_waitcnt vmcnt(0) lgkmcnt(0)
	v_mul_f64 v[0:1], s[10:11], v[0:1]
.LBB141_137:
	scratch_load_b64 v[2:3], off, off offset:304
	s_waitcnt vmcnt(1)
	v_add_f64 v[4:5], v[4:5], v[0:1]
	v_add_co_u32 v8, vcc_lo, v71, v10
	v_mov_b32_e32 v0, 0
	v_dual_mov_b32 v1, 0 :: v_dual_mov_b32 v6, 0
	v_add_co_ci_u32_e32 v9, vcc_lo, v72, v11, vcc_lo
	v_mov_b32_e32 v7, 0
	s_and_b32 vcc_lo, exec_lo, s0
	global_store_b64 v[8:9], v[4:5], off
	s_cbranch_vccnz .LBB141_139
; %bb.138:
	v_add_co_u32 v4, vcc_lo, v16, v12
	v_add_co_ci_u32_e32 v5, vcc_lo, v73, v13, vcc_lo
	flat_load_b64 v[4:5], v[4:5]
	s_waitcnt vmcnt(0) lgkmcnt(0)
	v_mul_f64 v[6:7], s[10:11], v[4:5]
.LBB141_139:
	scratch_load_b64 v[4:5], off, off offset:312
	s_waitcnt vmcnt(1)
	v_add_f64 v[2:3], v[2:3], v[6:7]
	v_add_co_u32 v6, vcc_lo, v71, v12
	v_add_co_ci_u32_e32 v7, vcc_lo, v72, v13, vcc_lo
	s_and_b32 vcc_lo, exec_lo, s0
	global_store_b64 v[6:7], v[2:3], off
	s_cbranch_vccnz .LBB141_141
; %bb.140:
	v_add_co_u32 v0, vcc_lo, v16, v14
	v_add_co_ci_u32_e32 v1, vcc_lo, v73, v15, vcc_lo
	flat_load_b64 v[0:1], v[0:1]
	s_waitcnt vmcnt(0) lgkmcnt(0)
	v_mul_f64 v[0:1], s[10:11], v[0:1]
.LBB141_141:
	scratch_load_b64 v[2:3], off, off offset:320
	s_waitcnt vmcnt(1)
	v_add_f64 v[4:5], v[4:5], v[0:1]
	v_add_co_u32 v8, vcc_lo, v71, v14
	v_mov_b32_e32 v0, 0
	v_dual_mov_b32 v1, 0 :: v_dual_mov_b32 v6, 0
	v_add_co_ci_u32_e32 v9, vcc_lo, v72, v15, vcc_lo
	;; [unrolled: 33-line block ×13, first 2 shown]
	v_mov_b32_e32 v7, 0
	s_and_b32 vcc_lo, exec_lo, s0
	global_store_b64 v[8:9], v[4:5], off
	s_cbranch_vccnz .LBB141_187
; %bb.186:
	v_add_co_u32 v4, vcc_lo, v16, v61
	v_add_co_ci_u32_e32 v5, vcc_lo, v73, v62, vcc_lo
	flat_load_b64 v[4:5], v[4:5]
	s_waitcnt vmcnt(0) lgkmcnt(0)
	v_mul_f64 v[6:7], s[10:11], v[4:5]
.LBB141_187:
	scratch_load_b64 v[4:5], off, off offset:504
	s_waitcnt vmcnt(1)
	v_add_f64 v[2:3], v[2:3], v[6:7]
	v_add_co_u32 v6, vcc_lo, v71, v61
	v_add_co_ci_u32_e32 v7, vcc_lo, v72, v62, vcc_lo
	s_and_b32 vcc_lo, exec_lo, s0
	global_store_b64 v[6:7], v[2:3], off
	s_cbranch_vccnz .LBB141_189
; %bb.188:
	v_add_co_u32 v0, vcc_lo, v16, v63
	v_add_co_ci_u32_e32 v1, vcc_lo, v73, v64, vcc_lo
	flat_load_b64 v[0:1], v[0:1]
	s_waitcnt vmcnt(0) lgkmcnt(0)
	v_mul_f64 v[0:1], s[10:11], v[0:1]
.LBB141_189:
	s_waitcnt vmcnt(0)
	s_delay_alu instid0(VALU_DEP_1)
	v_add_f64 v[0:1], v[4:5], v[0:1]
	v_add_co_u32 v2, vcc_lo, v71, v63
	v_add_co_ci_u32_e32 v3, vcc_lo, v72, v64, vcc_lo
	global_store_b64 v[2:3], v[0:1], off
	s_endpgm
	.section	.rodata,"a",@progbits
	.p2align	6, 0x0
	.amdhsa_kernel _ZN12_GLOBAL__N_120geam_min_plus_kernelIdddLi4ELi64ELi128ELi128ELi4ELi64ELi4ELi64ELi4ELc78ELc84ELb0ELb0ELb0EPKdKS2_KPdEEviiiT16_PT17_ilS8_ilS6_S8_ilPT18_ili26rocblas_geam_ex_operation_
		.amdhsa_group_segment_fixed_size 16384
		.amdhsa_private_segment_fixed_size 528
		.amdhsa_kernarg_size 136
		.amdhsa_user_sgpr_count 14
		.amdhsa_user_sgpr_dispatch_ptr 0
		.amdhsa_user_sgpr_queue_ptr 0
		.amdhsa_user_sgpr_kernarg_segment_ptr 1
		.amdhsa_user_sgpr_dispatch_id 0
		.amdhsa_user_sgpr_private_segment_size 0
		.amdhsa_wavefront_size32 1
		.amdhsa_uses_dynamic_stack 0
		.amdhsa_enable_private_segment 1
		.amdhsa_system_sgpr_workgroup_id_x 1
		.amdhsa_system_sgpr_workgroup_id_y 0
		.amdhsa_system_sgpr_workgroup_id_z 1
		.amdhsa_system_sgpr_workgroup_info 0
		.amdhsa_system_vgpr_workitem_id 1
		.amdhsa_next_free_vgpr 252
		.amdhsa_next_free_sgpr 27
		.amdhsa_reserve_vcc 1
		.amdhsa_float_round_mode_32 0
		.amdhsa_float_round_mode_16_64 0
		.amdhsa_float_denorm_mode_32 3
		.amdhsa_float_denorm_mode_16_64 3
		.amdhsa_dx10_clamp 1
		.amdhsa_ieee_mode 1
		.amdhsa_fp16_overflow 0
		.amdhsa_workgroup_processor_mode 1
		.amdhsa_memory_ordered 1
		.amdhsa_forward_progress 0
		.amdhsa_shared_vgpr_count 0
		.amdhsa_exception_fp_ieee_invalid_op 0
		.amdhsa_exception_fp_denorm_src 0
		.amdhsa_exception_fp_ieee_div_zero 0
		.amdhsa_exception_fp_ieee_overflow 0
		.amdhsa_exception_fp_ieee_underflow 0
		.amdhsa_exception_fp_ieee_inexact 0
		.amdhsa_exception_int_div_zero 0
	.end_amdhsa_kernel
	.section	.text._ZN12_GLOBAL__N_120geam_min_plus_kernelIdddLi4ELi64ELi128ELi128ELi4ELi64ELi4ELi64ELi4ELc78ELc84ELb0ELb0ELb0EPKdKS2_KPdEEviiiT16_PT17_ilS8_ilS6_S8_ilPT18_ili26rocblas_geam_ex_operation_,"axG",@progbits,_ZN12_GLOBAL__N_120geam_min_plus_kernelIdddLi4ELi64ELi128ELi128ELi4ELi64ELi4ELi64ELi4ELc78ELc84ELb0ELb0ELb0EPKdKS2_KPdEEviiiT16_PT17_ilS8_ilS6_S8_ilPT18_ili26rocblas_geam_ex_operation_,comdat
.Lfunc_end141:
	.size	_ZN12_GLOBAL__N_120geam_min_plus_kernelIdddLi4ELi64ELi128ELi128ELi4ELi64ELi4ELi64ELi4ELc78ELc84ELb0ELb0ELb0EPKdKS2_KPdEEviiiT16_PT17_ilS8_ilS6_S8_ilPT18_ili26rocblas_geam_ex_operation_, .Lfunc_end141-_ZN12_GLOBAL__N_120geam_min_plus_kernelIdddLi4ELi64ELi128ELi128ELi4ELi64ELi4ELi64ELi4ELc78ELc84ELb0ELb0ELb0EPKdKS2_KPdEEviiiT16_PT17_ilS8_ilS6_S8_ilPT18_ili26rocblas_geam_ex_operation_
                                        ; -- End function
	.section	.AMDGPU.csdata,"",@progbits
; Kernel info:
; codeLenInByte = 43512
; NumSgprs: 29
; NumVgprs: 252
; ScratchSize: 528
; MemoryBound: 1
; FloatMode: 240
; IeeeMode: 1
; LDSByteSize: 16384 bytes/workgroup (compile time only)
; SGPRBlocks: 3
; VGPRBlocks: 31
; NumSGPRsForWavesPerEU: 29
; NumVGPRsForWavesPerEU: 252
; Occupancy: 5
; WaveLimiterHint : 1
; COMPUTE_PGM_RSRC2:SCRATCH_EN: 1
; COMPUTE_PGM_RSRC2:USER_SGPR: 14
; COMPUTE_PGM_RSRC2:TRAP_HANDLER: 0
; COMPUTE_PGM_RSRC2:TGID_X_EN: 1
; COMPUTE_PGM_RSRC2:TGID_Y_EN: 0
; COMPUTE_PGM_RSRC2:TGID_Z_EN: 1
; COMPUTE_PGM_RSRC2:TIDIG_COMP_CNT: 1
	.section	.text._ZN12_GLOBAL__N_120geam_min_plus_kernelIdddLi4ELi64ELi128ELi128ELi4ELi64ELi4ELi64ELi4ELc78ELc84ELb1ELb0ELb0EdKPKdKPdEEviiiT16_PT17_ilS8_ilS6_S8_ilPT18_ili26rocblas_geam_ex_operation_,"axG",@progbits,_ZN12_GLOBAL__N_120geam_min_plus_kernelIdddLi4ELi64ELi128ELi128ELi4ELi64ELi4ELi64ELi4ELc78ELc84ELb1ELb0ELb0EdKPKdKPdEEviiiT16_PT17_ilS8_ilS6_S8_ilPT18_ili26rocblas_geam_ex_operation_,comdat
	.globl	_ZN12_GLOBAL__N_120geam_min_plus_kernelIdddLi4ELi64ELi128ELi128ELi4ELi64ELi4ELi64ELi4ELc78ELc84ELb1ELb0ELb0EdKPKdKPdEEviiiT16_PT17_ilS8_ilS6_S8_ilPT18_ili26rocblas_geam_ex_operation_ ; -- Begin function _ZN12_GLOBAL__N_120geam_min_plus_kernelIdddLi4ELi64ELi128ELi128ELi4ELi64ELi4ELi64ELi4ELc78ELc84ELb1ELb0ELb0EdKPKdKPdEEviiiT16_PT17_ilS8_ilS6_S8_ilPT18_ili26rocblas_geam_ex_operation_
	.p2align	8
	.type	_ZN12_GLOBAL__N_120geam_min_plus_kernelIdddLi4ELi64ELi128ELi128ELi4ELi64ELi4ELi64ELi4ELc78ELc84ELb1ELb0ELb0EdKPKdKPdEEviiiT16_PT17_ilS8_ilS6_S8_ilPT18_ili26rocblas_geam_ex_operation_,@function
_ZN12_GLOBAL__N_120geam_min_plus_kernelIdddLi4ELi64ELi128ELi128ELi4ELi64ELi4ELi64ELi4ELc78ELc84ELb1ELb0ELb0EdKPKdKPdEEviiiT16_PT17_ilS8_ilS6_S8_ilPT18_ili26rocblas_geam_ex_operation_: ; @_ZN12_GLOBAL__N_120geam_min_plus_kernelIdddLi4ELi64ELi128ELi128ELi4ELi64ELi4ELi64ELi4ELc78ELc84ELb1ELb0ELb0EdKPKdKPdEEviiiT16_PT17_ilS8_ilS6_S8_ilPT18_ili26rocblas_geam_ex_operation_
; %bb.0:
	s_clause 0x1
	s_load_b128 s[4:7], s[0:1], 0x10
	s_load_b128 s[8:11], s[0:1], 0x28
	s_mov_b32 s18, s15
	s_mov_b64 s[2:3], 0
	s_waitcnt lgkmcnt(0)
	v_cmp_eq_f64_e64 s12, s[4:5], 0
	s_delay_alu instid0(VALU_DEP_1)
	s_and_b32 vcc_lo, exec_lo, s12
	s_cbranch_vccnz .LBB142_2
; %bb.1:
	s_mov_b32 s19, 0
	s_delay_alu instid0(SALU_CYCLE_1) | instskip(NEXT) | instid1(SALU_CYCLE_1)
	s_lshl_b64 s[2:3], s[18:19], 3
	s_add_u32 s2, s6, s2
	s_addc_u32 s3, s7, s3
	s_lshl_b64 s[4:5], s[8:9], 3
	s_load_b64 s[2:3], s[2:3], 0x0
	s_waitcnt lgkmcnt(0)
	s_add_u32 s2, s2, s4
	s_addc_u32 s3, s3, s5
.LBB142_2:
	s_clause 0x1
	s_load_b128 s[4:7], s[0:1], 0x40
	s_load_b64 s[20:21], s[0:1], 0x50
	s_and_not1_b32 vcc_lo, exec_lo, s12
	s_cbranch_vccnz .LBB142_4
; %bb.3:
	s_mov_b32 s19, 0
	s_mov_b64 s[12:13], 0
	s_cbranch_execz .LBB142_5
	s_branch .LBB142_6
.LBB142_4:
	s_mov_b32 s19, -1
                                        ; implicit-def: $sgpr12_sgpr13
.LBB142_5:
	s_mov_b32 s19, 0
	s_delay_alu instid0(SALU_CYCLE_1) | instskip(NEXT) | instid1(SALU_CYCLE_1)
	s_lshl_b64 s[8:9], s[18:19], 3
	s_add_u32 s8, s10, s8
	s_addc_u32 s9, s11, s9
	s_waitcnt lgkmcnt(0)
	s_lshl_b64 s[4:5], s[4:5], 3
	s_load_b64 s[8:9], s[8:9], 0x0
	s_waitcnt lgkmcnt(0)
	s_add_u32 s12, s8, s4
	s_addc_u32 s13, s9, s5
.LBB142_6:
	s_waitcnt lgkmcnt(0)
	v_cmp_eq_f64_e64 s4, s[6:7], 0
	s_load_b128 s[8:11], s[0:1], 0x60
	s_mov_b64 s[16:17], 0
	s_delay_alu instid0(VALU_DEP_1)
	s_and_b32 vcc_lo, exec_lo, s4
	s_mov_b64 s[4:5], 0
	s_cbranch_vccnz .LBB142_8
; %bb.7:
	s_lshl_b64 s[4:5], s[18:19], 3
	s_delay_alu instid0(SALU_CYCLE_1)
	s_add_u32 s4, s20, s4
	s_addc_u32 s5, s21, s5
	s_waitcnt lgkmcnt(0)
	s_lshl_b64 s[8:9], s[8:9], 3
	s_load_b64 s[4:5], s[4:5], 0x0
	s_waitcnt lgkmcnt(0)
	s_add_u32 s4, s4, s8
	s_addc_u32 s5, s5, s9
.LBB142_8:
	s_clause 0x2
	s_load_b32 s20, s[0:1], 0x20
	s_load_b32 s21, s[0:1], 0x38
	;; [unrolled: 1-line block ×3, first 2 shown]
	s_waitcnt lgkmcnt(0)
	s_mov_b32 s8, 0
	v_bfe_u32 v81, v0, 10, 10
	s_mov_b32 s9, s8
	v_and_b32_e32 v80, 0x3ff, v0
	v_dual_mov_b32 v0, s8 :: v_dual_mov_b32 v1, s9
	s_lshl_b64 s[8:9], s[18:19], 3
	s_delay_alu instid0(VALU_DEP_2) | instskip(SKIP_3) | instid1(VALU_DEP_4)
	v_dual_mov_b32 v102, 0x60 :: v_dual_lshlrev_b32 v85, 5, v80
	v_lshl_add_u32 v2, v81, 2, v80
	v_dual_mov_b32 v101, 0x58 :: v_dual_lshlrev_b32 v84, 5, v81
	v_mov_b32_e32 v90, 0
	v_add_nc_u32_e32 v36, 0x800, v85
	s_delay_alu instid0(VALU_DEP_4)
	v_lshrrev_b32_e32 v82, 6, v2
	v_dual_mov_b32 v92, 16 :: v_dual_and_b32 v89, 63, v2
	s_ashr_i32 s19, s20, 31
	s_ashr_i32 s22, s21, 31
	s_add_u32 s8, s10, s8
	s_addc_u32 s9, s11, s9
	s_add_i32 s10, s15, -1
	v_mad_i64_i32 v[4:5], null, s21, v82, 0
	s_ashr_i32 s11, s10, 31
	v_add_nc_u32_e32 v83, 4, v82
	s_lshr_b32 s11, s11, 25
	v_mov_b32_e32 v99, 0x48
	s_add_i32 s10, s10, s11
	v_dual_mov_b32 v91, 8 :: v_dual_mov_b32 v94, 32
	s_ashr_i32 s10, s10, 7
	v_lshlrev_b64 v[4:5], 3, v[4:5]
	s_add_i32 s11, s10, 1
	s_not_b32 s10, s10
	v_cvt_f32_u32_e32 v3, s11
	v_dual_mov_b32 v93, 24 :: v_dual_mov_b32 v96, 48
	v_dual_mov_b32 v95, 40 :: v_dual_mov_b32 v98, 64
	s_delay_alu instid0(VALU_DEP_3)
	v_rcp_iflag_f32_e32 v3, v3
	v_dual_mov_b32 v97, 56 :: v_dual_mov_b32 v100, 0x50
	v_mov_b32_e32 v103, 0x68
	v_mov_b32_e32 v104, 0x70
	;; [unrolled: 1-line block ×7, first 2 shown]
	s_delay_alu instid0(TRANS32_DEP_1)
	v_mul_f32_e32 v3, 0x4f7ffffe, v3
	s_clause 0xb
	scratch_store_b64 off, v[0:1], off
	scratch_store_b64 off, v[0:1], off offset:8
	scratch_store_b64 off, v[0:1], off offset:16
	;; [unrolled: 1-line block ×11, first 2 shown]
	v_cvt_u32_f32_e32 v3, v3
	s_clause 0xe
	scratch_store_b64 off, v[0:1], off offset:96
	scratch_store_b64 off, v[0:1], off offset:104
	;; [unrolled: 1-line block ×15, first 2 shown]
	v_readfirstlane_b32 s15, v3
	v_mad_i64_i32 v[2:3], null, s20, v82, 0
	s_clause 0x7
	scratch_store_b64 off, v[0:1], off offset:216
	scratch_store_b64 off, v[0:1], off offset:224
	;; [unrolled: 1-line block ×8, first 2 shown]
	s_mul_i32 s10, s10, s15
	s_clause 0x1
	scratch_store_b64 off, v[0:1], off offset:280
	scratch_store_b64 off, v[0:1], off offset:288
	s_mul_hi_u32 s10, s15, s10
	s_clause 0x3
	scratch_store_b64 off, v[0:1], off offset:296
	scratch_store_b64 off, v[0:1], off offset:304
	;; [unrolled: 1-line block ×4, first 2 shown]
	s_add_i32 s15, s15, s10
	v_lshlrev_b64 v[2:3], 3, v[2:3]
	s_mul_hi_u32 s10, s14, s15
	s_clause 0x3
	scratch_store_b64 off, v[0:1], off offset:328
	scratch_store_b64 off, v[0:1], off offset:336
	;; [unrolled: 1-line block ×4, first 2 shown]
	s_mul_i32 s15, s10, s11
	s_add_i32 s17, s10, 1
	s_sub_i32 s15, s14, s15
	v_add_co_u32 v10, vcc_lo, s2, v2
	s_sub_i32 s18, s15, s11
	s_cmp_ge_u32 s15, s11
	v_add_co_ci_u32_e32 v11, vcc_lo, s3, v3, vcc_lo
	s_cselect_b32 s10, s17, s10
	s_cselect_b32 s15, s18, s15
	s_add_i32 s17, s10, 1
	s_cmp_ge_u32 s15, s11
	v_add_co_u32 v2, vcc_lo, s12, v4
	s_cselect_b32 s10, s17, s10
	v_add_co_ci_u32_e32 v3, vcc_lo, s13, v5, vcc_lo
	s_mul_i32 s11, s10, s11
	s_lshl_b32 s15, s10, 7
	s_sub_i32 s11, s14, s11
	v_or_b32_e32 v6, s15, v89
	s_lshl_b32 s14, s11, 7
	s_clause 0xb
	scratch_store_b64 off, v[0:1], off offset:360
	scratch_store_b64 off, v[0:1], off offset:368
	scratch_store_b64 off, v[0:1], off offset:376
	scratch_store_b64 off, v[0:1], off offset:384
	scratch_store_b64 off, v[0:1], off offset:392
	scratch_store_b64 off, v[0:1], off offset:400
	scratch_store_b64 off, v[0:1], off offset:408
	scratch_store_b64 off, v[0:1], off offset:416
	scratch_store_b64 off, v[0:1], off offset:424
	scratch_store_b64 off, v[0:1], off offset:432
	scratch_store_b64 off, v[0:1], off offset:440
	scratch_store_b64 off, v[0:1], off offset:448
	v_or_b32_e32 v8, s14, v89
	scratch_store_b64 off, v[0:1], off offset:456
	v_ashrrev_i32_e32 v7, 31, v6
	s_clause 0x3
	scratch_store_b64 off, v[0:1], off offset:464
	scratch_store_b64 off, v[0:1], off offset:472
	;; [unrolled: 1-line block ×4, first 2 shown]
	v_ashrrev_i32_e32 v9, 31, v8
	s_clause 0x1
	scratch_store_b64 off, v[0:1], off offset:496
	scratch_store_b64 off, v[0:1], off offset:504
	v_lshlrev_b64 v[68:69], 3, v[6:7]
	v_cmp_neq_f64_e64 s18, s[6:7], 0
	v_mov_b32_e32 v110, 0xa0
	v_lshlrev_b64 v[70:71], 3, v[8:9]
	v_mad_i64_i32 v[8:9], null, s21, v83, 0
	v_add_co_u32 v2, vcc_lo, v2, v68
	v_add_co_ci_u32_e32 v3, vcc_lo, v3, v69, vcc_lo
	s_delay_alu instid0(VALU_DEP_4)
	v_add_co_u32 v4, vcc_lo, v10, v70
	v_add_co_ci_u32_e32 v5, vcc_lo, v11, v71, vcc_lo
	s_clause 0x1
	flat_load_b64 v[0:1], v[2:3]
	flat_load_b64 v[2:3], v[2:3] offset:512
	s_clause 0x1
	flat_load_b64 v[6:7], v[4:5]
	flat_load_b64 v[4:5], v[4:5] offset:512
	v_mad_i64_i32 v[10:11], null, s20, v83, 0
	v_lshlrev_b64 v[8:9], 3, v[8:9]
	v_mov_b32_e32 v111, 0xa8
	v_mov_b32_e32 v112, 0xb0
	;; [unrolled: 1-line block ×5, first 2 shown]
	v_lshlrev_b64 v[10:11], 3, v[10:11]
	v_add_co_u32 v8, vcc_lo, s12, v8
	v_add_co_ci_u32_e32 v9, vcc_lo, s13, v9, vcc_lo
	v_mov_b32_e32 v116, 0xd0
	s_delay_alu instid0(VALU_DEP_4) | instskip(SKIP_3) | instid1(VALU_DEP_4)
	v_add_co_u32 v10, vcc_lo, s2, v10
	v_add_co_ci_u32_e32 v11, vcc_lo, s3, v11, vcc_lo
	v_add_co_u32 v8, vcc_lo, v8, v68
	v_add_co_ci_u32_e32 v9, vcc_lo, v9, v69, vcc_lo
	v_add_co_u32 v10, vcc_lo, v10, v70
	s_delay_alu instid0(VALU_DEP_4)
	v_add_co_ci_u32_e32 v11, vcc_lo, v11, v71, vcc_lo
	s_clause 0x1
	flat_load_b64 v[72:73], v[8:9]
	flat_load_b64 v[74:75], v[8:9] offset:512
	s_clause 0x1
	flat_load_b64 v[76:77], v[10:11]
	flat_load_b64 v[78:79], v[10:11] offset:512
	v_lshlrev_b32_e32 v8, 3, v82
	s_load_b64 s[8:9], s[8:9], 0x0
	v_mov_b32_e32 v117, 0xd8
	v_mov_b32_e32 v118, 0xe0
	;; [unrolled: 1-line block ×3, first 2 shown]
	v_lshl_add_u32 v86, v89, 5, v8
	v_mov_b32_e32 v120, 0xf0
	v_mov_b32_e32 v121, 0xf8
	v_add_nc_u32_e32 v87, 0x2000, v84
	s_mov_b32 s10, -1
	v_or_b32_e32 v88, 0x2000, v86
	s_waitcnt vmcnt(6) lgkmcnt(0)
	ds_store_2addr_stride64_b64 v86, v[0:1], v[2:3] offset0:16 offset1:20
	s_waitcnt vmcnt(4)
	ds_store_2addr_stride64_b64 v86, v[6:7], v[4:5] offset1:4
	s_waitcnt vmcnt(0) lgkmcnt(0)
	s_waitcnt_vscnt null, 0x0
	s_barrier
	buffer_gl0_inv
	ds_load_2addr_b64 v[0:3], v85 offset1:16
	ds_load_2addr_b64 v[4:7], v85 offset0:32 offset1:48
	ds_load_2addr_b64 v[8:11], v36 offset1:16
	ds_load_2addr_b64 v[12:15], v36 offset0:32 offset1:48
	ds_load_2addr_b64 v[16:19], v36 offset0:64 offset1:80
	;; [unrolled: 1-line block ×13, first 2 shown]
	ds_load_2addr_stride64_b64 v[64:67], v84 offset0:16 offset1:20
.LBB142_9:                              ; =>This Inner Loop Header: Depth=1
	scratch_load_b64 v[122:123], v90, off
	scratch_load_b64 v[124:125], v91, off
	;; [unrolled: 1-line block ×32, first 2 shown]
	s_cmp_eq_u32 s16, 1
	s_waitcnt lgkmcnt(16)
	v_max_f64 v[188:189], v[0:1], v[0:1]
	s_cselect_b32 vcc_lo, -1, 0
	v_max_f64 v[190:191], v[2:3], v[2:3]
	s_waitcnt lgkmcnt(0)
	v_dual_cndmask_b32 v187, v65, v67 :: v_dual_cndmask_b32 v186, v64, v66
	v_max_f64 v[192:193], v[4:5], v[4:5]
	v_max_f64 v[194:195], v[6:7], v[6:7]
	;; [unrolled: 1-line block ×31, first 2 shown]
	s_mov_b64 s[16:17], 1
	s_and_b32 vcc_lo, exec_lo, s10
	s_mov_b32 s10, 0
	v_min_f64 v[188:189], v[188:189], v[186:187]
	v_min_f64 v[190:191], v[190:191], v[186:187]
	;; [unrolled: 1-line block ×32, first 2 shown]
	s_waitcnt vmcnt(31)
	v_add_f64 v[122:123], v[122:123], v[188:189]
	s_waitcnt vmcnt(30)
	v_add_f64 v[124:125], v[190:191], v[124:125]
	;; [unrolled: 2-line block ×32, first 2 shown]
	scratch_store_b64 v90, v[122:123], off
	scratch_store_b64 v91, v[124:125], off
	;; [unrolled: 1-line block ×32, first 2 shown]
	v_mov_b32_e32 v90, 0x100
	v_mov_b32_e32 v91, 0x108
	;; [unrolled: 1-line block ×32, first 2 shown]
	s_cbranch_vccnz .LBB142_9
; %bb.10:
	v_dual_mov_b32 v91, 8 :: v_dual_add_nc_u32 v60, 0x800, v85
	ds_load_2addr_b64 v[0:3], v85 offset0:1 offset1:17
	ds_load_2addr_b64 v[4:7], v85 offset0:33 offset1:49
	;; [unrolled: 1-line block ×12, first 2 shown]
	v_dual_mov_b32 v93, 24 :: v_dual_add_nc_u32 v64, 8, v87
	ds_load_2addr_b64 v[48:51], v60 offset0:129 offset1:145
	ds_load_2addr_b64 v[52:55], v60 offset0:161 offset1:177
	;; [unrolled: 1-line block ×4, first 2 shown]
	ds_load_2addr_stride64_b64 v[64:67], v64 offset1:4
	v_dual_mov_b32 v90, 0 :: v_dual_mov_b32 v95, 40
	v_dual_mov_b32 v92, 16 :: v_dual_mov_b32 v97, 56
	;; [unrolled: 1-line block ×5, first 2 shown]
	v_mov_b32_e32 v100, 0x50
	v_mov_b32_e32 v102, 0x60
	;; [unrolled: 1-line block ×20, first 2 shown]
	s_mov_b64 s[10:11], 0
	s_mov_b32 s16, -1
.LBB142_11:                             ; =>This Inner Loop Header: Depth=1
	scratch_load_b64 v[122:123], v90, off
	scratch_load_b64 v[124:125], v91, off
	;; [unrolled: 1-line block ×32, first 2 shown]
	s_cmp_eq_u32 s10, 1
	s_waitcnt lgkmcnt(16)
	v_max_f64 v[188:189], v[0:1], v[0:1]
	s_cselect_b32 vcc_lo, -1, 0
	v_max_f64 v[190:191], v[2:3], v[2:3]
	s_waitcnt lgkmcnt(0)
	v_dual_cndmask_b32 v187, v65, v67 :: v_dual_cndmask_b32 v186, v64, v66
	v_max_f64 v[192:193], v[4:5], v[4:5]
	v_max_f64 v[194:195], v[6:7], v[6:7]
	;; [unrolled: 1-line block ×31, first 2 shown]
	s_mov_b64 s[10:11], 1
	s_and_b32 vcc_lo, exec_lo, s16
	s_mov_b32 s16, 0
	v_min_f64 v[188:189], v[188:189], v[186:187]
	v_min_f64 v[190:191], v[190:191], v[186:187]
	v_min_f64 v[192:193], v[192:193], v[186:187]
	v_min_f64 v[194:195], v[194:195], v[186:187]
	v_min_f64 v[196:197], v[196:197], v[186:187]
	v_min_f64 v[198:199], v[198:199], v[186:187]
	v_min_f64 v[200:201], v[200:201], v[186:187]
	v_min_f64 v[202:203], v[202:203], v[186:187]
	v_min_f64 v[204:205], v[204:205], v[186:187]
	v_min_f64 v[206:207], v[206:207], v[186:187]
	v_min_f64 v[208:209], v[208:209], v[186:187]
	v_min_f64 v[210:211], v[210:211], v[186:187]
	v_min_f64 v[212:213], v[212:213], v[186:187]
	v_min_f64 v[214:215], v[214:215], v[186:187]
	v_min_f64 v[216:217], v[216:217], v[186:187]
	v_min_f64 v[218:219], v[218:219], v[186:187]
	v_min_f64 v[220:221], v[220:221], v[186:187]
	v_min_f64 v[222:223], v[222:223], v[186:187]
	v_min_f64 v[224:225], v[224:225], v[186:187]
	v_min_f64 v[226:227], v[226:227], v[186:187]
	v_min_f64 v[228:229], v[228:229], v[186:187]
	v_min_f64 v[230:231], v[230:231], v[186:187]
	v_min_f64 v[232:233], v[232:233], v[186:187]
	v_min_f64 v[234:235], v[234:235], v[186:187]
	v_min_f64 v[236:237], v[236:237], v[186:187]
	v_min_f64 v[238:239], v[238:239], v[186:187]
	v_min_f64 v[240:241], v[240:241], v[186:187]
	v_min_f64 v[242:243], v[242:243], v[186:187]
	v_min_f64 v[244:245], v[244:245], v[186:187]
	v_min_f64 v[246:247], v[246:247], v[186:187]
	v_min_f64 v[248:249], v[248:249], v[186:187]
	v_min_f64 v[186:187], v[250:251], v[186:187]
	s_waitcnt vmcnt(31)
	v_add_f64 v[122:123], v[122:123], v[188:189]
	s_waitcnt vmcnt(30)
	v_add_f64 v[124:125], v[190:191], v[124:125]
	;; [unrolled: 2-line block ×32, first 2 shown]
	scratch_store_b64 v90, v[122:123], off
	scratch_store_b64 v91, v[124:125], off
	scratch_store_b64 v92, v[126:127], off
	scratch_store_b64 v93, v[128:129], off
	scratch_store_b64 v94, v[130:131], off
	scratch_store_b64 v95, v[132:133], off
	scratch_store_b64 v96, v[134:135], off
	scratch_store_b64 v97, v[136:137], off
	scratch_store_b64 v98, v[138:139], off
	scratch_store_b64 v99, v[140:141], off
	scratch_store_b64 v100, v[142:143], off
	scratch_store_b64 v101, v[144:145], off
	scratch_store_b64 v102, v[146:147], off
	scratch_store_b64 v103, v[148:149], off
	scratch_store_b64 v104, v[150:151], off
	scratch_store_b64 v105, v[152:153], off
	scratch_store_b64 v106, v[154:155], off
	scratch_store_b64 v107, v[156:157], off
	scratch_store_b64 v108, v[158:159], off
	scratch_store_b64 v109, v[160:161], off
	scratch_store_b64 v110, v[162:163], off
	scratch_store_b64 v111, v[164:165], off
	scratch_store_b64 v112, v[166:167], off
	scratch_store_b64 v113, v[168:169], off
	scratch_store_b64 v114, v[170:171], off
	scratch_store_b64 v115, v[172:173], off
	scratch_store_b64 v116, v[174:175], off
	scratch_store_b64 v117, v[176:177], off
	scratch_store_b64 v118, v[178:179], off
	scratch_store_b64 v119, v[180:181], off
	scratch_store_b64 v120, v[182:183], off
	scratch_store_b64 v121, v[184:185], off
	v_mov_b32_e32 v90, 0x100
	v_mov_b32_e32 v91, 0x108
	;; [unrolled: 1-line block ×32, first 2 shown]
	s_cbranch_vccnz .LBB142_11
; %bb.12:
	v_dual_mov_b32 v91, 8 :: v_dual_add_nc_u32 v60, 0x800, v85
	ds_load_2addr_b64 v[0:3], v85 offset0:2 offset1:18
	ds_load_2addr_b64 v[4:7], v85 offset0:34 offset1:50
	;; [unrolled: 1-line block ×12, first 2 shown]
	v_dual_mov_b32 v93, 24 :: v_dual_add_nc_u32 v64, 16, v87
	ds_load_2addr_b64 v[48:51], v60 offset0:130 offset1:146
	ds_load_2addr_b64 v[52:55], v60 offset0:162 offset1:178
	;; [unrolled: 1-line block ×4, first 2 shown]
	ds_load_2addr_stride64_b64 v[64:67], v64 offset1:4
	v_dual_mov_b32 v90, 0 :: v_dual_mov_b32 v95, 40
	v_dual_mov_b32 v92, 16 :: v_dual_mov_b32 v97, 56
	;; [unrolled: 1-line block ×5, first 2 shown]
	v_mov_b32_e32 v100, 0x50
	v_mov_b32_e32 v102, 0x60
	;; [unrolled: 1-line block ×20, first 2 shown]
	s_mov_b64 s[10:11], 0
	s_mov_b32 s16, -1
.LBB142_13:                             ; =>This Inner Loop Header: Depth=1
	scratch_load_b64 v[122:123], v90, off
	scratch_load_b64 v[124:125], v91, off
	;; [unrolled: 1-line block ×32, first 2 shown]
	s_cmp_eq_u32 s10, 1
	s_waitcnt lgkmcnt(16)
	v_max_f64 v[188:189], v[0:1], v[0:1]
	s_cselect_b32 vcc_lo, -1, 0
	v_max_f64 v[190:191], v[2:3], v[2:3]
	s_waitcnt lgkmcnt(0)
	v_dual_cndmask_b32 v187, v65, v67 :: v_dual_cndmask_b32 v186, v64, v66
	v_max_f64 v[192:193], v[4:5], v[4:5]
	v_max_f64 v[194:195], v[6:7], v[6:7]
	;; [unrolled: 1-line block ×31, first 2 shown]
	s_mov_b64 s[10:11], 1
	s_and_b32 vcc_lo, exec_lo, s16
	s_mov_b32 s16, 0
	v_min_f64 v[188:189], v[188:189], v[186:187]
	v_min_f64 v[190:191], v[190:191], v[186:187]
	;; [unrolled: 1-line block ×32, first 2 shown]
	s_waitcnt vmcnt(31)
	v_add_f64 v[122:123], v[122:123], v[188:189]
	s_waitcnt vmcnt(30)
	v_add_f64 v[124:125], v[190:191], v[124:125]
	;; [unrolled: 2-line block ×32, first 2 shown]
	scratch_store_b64 v90, v[122:123], off
	scratch_store_b64 v91, v[124:125], off
	;; [unrolled: 1-line block ×32, first 2 shown]
	v_mov_b32_e32 v90, 0x100
	v_mov_b32_e32 v91, 0x108
	;; [unrolled: 1-line block ×32, first 2 shown]
	s_cbranch_vccnz .LBB142_13
; %bb.14:
	v_dual_mov_b32 v91, 8 :: v_dual_add_nc_u32 v60, 0x800, v85
	ds_load_2addr_b64 v[0:3], v85 offset0:3 offset1:19
	ds_load_2addr_b64 v[4:7], v85 offset0:35 offset1:51
	;; [unrolled: 1-line block ×12, first 2 shown]
	v_dual_mov_b32 v93, 24 :: v_dual_add_nc_u32 v64, 24, v87
	ds_load_2addr_b64 v[48:51], v60 offset0:131 offset1:147
	ds_load_2addr_b64 v[52:55], v60 offset0:163 offset1:179
	;; [unrolled: 1-line block ×4, first 2 shown]
	ds_load_2addr_stride64_b64 v[64:67], v64 offset1:4
	v_dual_mov_b32 v90, 0 :: v_dual_mov_b32 v95, 40
	v_dual_mov_b32 v92, 16 :: v_dual_mov_b32 v97, 56
	;; [unrolled: 1-line block ×5, first 2 shown]
	v_mov_b32_e32 v100, 0x50
	v_mov_b32_e32 v102, 0x60
	;; [unrolled: 1-line block ×20, first 2 shown]
	s_mov_b64 s[10:11], 0
	s_mov_b32 s16, -1
.LBB142_15:                             ; =>This Inner Loop Header: Depth=1
	scratch_load_b64 v[122:123], v90, off
	scratch_load_b64 v[124:125], v91, off
	;; [unrolled: 1-line block ×32, first 2 shown]
	s_cmp_eq_u32 s10, 1
	s_waitcnt lgkmcnt(16)
	v_max_f64 v[188:189], v[0:1], v[0:1]
	s_cselect_b32 vcc_lo, -1, 0
	v_max_f64 v[190:191], v[2:3], v[2:3]
	s_waitcnt lgkmcnt(0)
	v_dual_cndmask_b32 v187, v65, v67 :: v_dual_cndmask_b32 v186, v64, v66
	v_max_f64 v[192:193], v[4:5], v[4:5]
	v_max_f64 v[194:195], v[6:7], v[6:7]
	;; [unrolled: 1-line block ×31, first 2 shown]
	s_mov_b64 s[10:11], 1
	s_and_b32 vcc_lo, exec_lo, s16
	s_mov_b32 s16, 0
	v_min_f64 v[188:189], v[188:189], v[186:187]
	v_min_f64 v[190:191], v[190:191], v[186:187]
	;; [unrolled: 1-line block ×32, first 2 shown]
	s_waitcnt vmcnt(31)
	v_add_f64 v[122:123], v[122:123], v[188:189]
	s_waitcnt vmcnt(30)
	v_add_f64 v[124:125], v[190:191], v[124:125]
	;; [unrolled: 2-line block ×32, first 2 shown]
	scratch_store_b64 v90, v[122:123], off
	scratch_store_b64 v91, v[124:125], off
	;; [unrolled: 1-line block ×32, first 2 shown]
	v_mov_b32_e32 v90, 0x100
	v_mov_b32_e32 v91, 0x108
	;; [unrolled: 1-line block ×32, first 2 shown]
	s_cbranch_vccnz .LBB142_15
; %bb.16:
	s_load_b32 s11, s[0:1], 0x8
	v_lshlrev_b32_e32 v0, 5, v89
	s_mov_b32 s10, 8
	s_delay_alu instid0(VALU_DEP_1)
	v_lshl_add_u32 v0, v82, 3, v0
	ds_store_2addr_stride64_b64 v0, v[76:77], v[78:79] offset0:8 offset1:12
	ds_store_2addr_stride64_b64 v0, v[72:73], v[74:75] offset0:24 offset1:28
	s_waitcnt lgkmcnt(0)
	s_waitcnt_vscnt null, 0x0
	s_barrier
	buffer_gl0_inv
	s_cmp_gt_i32 s11, 8
	s_cbranch_scc0 .LBB142_35
; %bb.17:
	v_lshl_add_u32 v78, v80, 5, 0x1000
	v_add_co_u32 v89, vcc_lo, s2, v70
	v_add_co_ci_u32_e32 v90, vcc_lo, s3, v71, vcc_lo
	v_add_co_u32 v91, vcc_lo, s12, v68
	v_or_b32_e32 v76, 0x1000, v0
	v_or_b32_e32 v77, 0x3000, v0
	v_lshl_add_u32 v79, v81, 5, 0x3000
	v_add_co_ci_u32_e32 v92, vcc_lo, s13, v69, vcc_lo
	v_add_nc_u32_e32 v93, 0x800, v78
	s_add_i32 s11, s11, -8
	s_mov_b32 s12, 0
.LBB142_18:                             ; =>This Loop Header: Depth=1
                                        ;     Child Loop BB142_19 Depth 2
                                        ;     Child Loop BB142_21 Depth 2
	;; [unrolled: 1-line block ×8, first 2 shown]
	v_dual_mov_b32 v124, 8 :: v_dual_add_nc_u32 v7, s10, v82
	v_dual_mov_b32 v125, 0 :: v_dual_mov_b32 v118, 56
	v_dual_mov_b32 v123, 16 :: v_dual_mov_b32 v116, 0x48
	s_delay_alu instid0(VALU_DEP_3) | instskip(SKIP_4) | instid1(VALU_DEP_4)
	v_mad_u64_u32 v[0:1], null, v7, s20, 0
	v_mad_u64_u32 v[2:3], null, v7, s21, 0
	v_dual_mov_b32 v121, 32 :: v_dual_mov_b32 v114, 0x58
	v_dual_mov_b32 v119, 48 :: v_dual_mov_b32 v112, 0x68
	;; [unrolled: 1-line block ×3, first 2 shown]
	v_mad_u64_u32 v[4:5], null, v7, s19, v[1:2]
	v_mov_b32_e32 v115, 0x50
	v_mov_b32_e32 v113, 0x60
	v_dual_mov_b32 v111, 0x70 :: v_dual_mov_b32 v122, 24
	v_mov_b32_e32 v109, 0x80
	v_mov_b32_e32 v108, 0x88
	v_mad_u64_u32 v[5:6], null, v7, s22, v[3:4]
	v_mov_b32_e32 v1, v4
	v_mov_b32_e32 v107, 0x90
	;; [unrolled: 1-line block ×3, first 2 shown]
	v_dual_mov_b32 v120, 40 :: v_dual_mov_b32 v105, 0xa0
	s_delay_alu instid0(VALU_DEP_4) | instskip(SKIP_4) | instid1(VALU_DEP_4)
	v_lshlrev_b64 v[0:1], 3, v[0:1]
	v_dual_mov_b32 v3, v5 :: v_dual_mov_b32 v104, 0xa8
	v_mov_b32_e32 v103, 0xb0
	v_mov_b32_e32 v102, 0xb8
	;; [unrolled: 1-line block ×3, first 2 shown]
	v_lshlrev_b64 v[2:3], 3, v[2:3]
	v_add_co_u32 v0, vcc_lo, v89, v0
	v_add_co_ci_u32_e32 v1, vcc_lo, v90, v1, vcc_lo
	v_mov_b32_e32 v100, 0xc8
	s_delay_alu instid0(VALU_DEP_4)
	v_add_co_u32 v2, vcc_lo, v91, v2
	v_add_co_ci_u32_e32 v3, vcc_lo, v92, v3, vcc_lo
	s_clause 0x1
	flat_load_b64 v[68:69], v[0:1]
	flat_load_b64 v[70:71], v[0:1] offset:512
	s_clause 0x1
	flat_load_b64 v[72:73], v[2:3]
	flat_load_b64 v[74:75], v[2:3] offset:512
	ds_load_2addr_b64 v[0:3], v78 offset1:16
	ds_load_2addr_b64 v[4:7], v78 offset0:32 offset1:48
	ds_load_2addr_b64 v[8:11], v78 offset0:64 offset1:80
	;; [unrolled: 1-line block ×7, first 2 shown]
	ds_load_2addr_b64 v[32:35], v93 offset1:16
	ds_load_2addr_b64 v[36:39], v93 offset0:32 offset1:48
	ds_load_2addr_b64 v[40:43], v93 offset0:64 offset1:80
	;; [unrolled: 1-line block ×7, first 2 shown]
	ds_load_2addr_stride64_b64 v[64:67], v79 offset1:4
	v_mov_b32_e32 v99, 0xd0
	v_mov_b32_e32 v98, 0xd8
	v_mov_b32_e32 v97, 0xe0
	v_mov_b32_e32 v96, 0xe8
	v_mov_b32_e32 v95, 0xf0
	v_mov_b32_e32 v94, 0xf8
	s_mov_b64 s[2:3], 0
	s_mov_b32 s13, -1
.LBB142_19:                             ;   Parent Loop BB142_18 Depth=1
                                        ; =>  This Inner Loop Header: Depth=2
	scratch_load_b64 v[130:131], v125, off
	s_cmp_eq_u32 s2, 1
	s_waitcnt lgkmcnt(16)
	v_max_f64 v[128:129], v[0:1], v[0:1]
	s_cselect_b32 vcc_lo, -1, 0
	s_mov_b64 s[2:3], 1
	s_waitcnt lgkmcnt(0)
	v_dual_cndmask_b32 v127, v65, v67 :: v_dual_cndmask_b32 v126, v64, v66
	s_and_b32 vcc_lo, exec_lo, s13
	s_mov_b32 s13, 0
	s_delay_alu instid0(VALU_DEP_1) | instskip(NEXT) | instid1(VALU_DEP_1)
	v_max_f64 v[126:127], v[126:127], v[126:127]
	v_min_f64 v[128:129], v[128:129], v[126:127]
	s_waitcnt vmcnt(0)
	s_delay_alu instid0(VALU_DEP_1) | instskip(SKIP_3) | instid1(VALU_DEP_1)
	v_add_f64 v[128:129], v[130:131], v[128:129]
	scratch_load_b64 v[130:131], v124, off
	scratch_store_b64 v125, v[128:129], off
	v_max_f64 v[128:129], v[2:3], v[2:3]
	v_min_f64 v[128:129], v[128:129], v[126:127]
	s_waitcnt vmcnt(0)
	s_delay_alu instid0(VALU_DEP_1) | instskip(SKIP_3) | instid1(VALU_DEP_1)
	v_add_f64 v[128:129], v[128:129], v[130:131]
	scratch_store_b64 v124, v[128:129], off
	scratch_load_b64 v[128:129], v123, off
	v_max_f64 v[124:125], v[4:5], v[4:5]
	v_min_f64 v[124:125], v[124:125], v[126:127]
	s_waitcnt vmcnt(0)
	s_delay_alu instid0(VALU_DEP_1) | instskip(SKIP_3) | instid1(VALU_DEP_1)
	v_add_f64 v[124:125], v[124:125], v[128:129]
	scratch_load_b64 v[128:129], v122, off
	scratch_store_b64 v123, v[124:125], off
	v_max_f64 v[123:124], v[6:7], v[6:7]
	v_min_f64 v[123:124], v[123:124], v[126:127]
	s_waitcnt vmcnt(0)
	s_delay_alu instid0(VALU_DEP_1) | instskip(SKIP_3) | instid1(VALU_DEP_1)
	v_add_f64 v[123:124], v[123:124], v[128:129]
	scratch_store_b64 v122, v[123:124], off
	scratch_load_b64 v[124:125], v121, off
	v_max_f64 v[122:123], v[8:9], v[8:9]
	v_min_f64 v[122:123], v[122:123], v[126:127]
	s_waitcnt vmcnt(0)
	s_delay_alu instid0(VALU_DEP_1) | instskip(SKIP_4) | instid1(VALU_DEP_1)
	v_add_f64 v[122:123], v[122:123], v[124:125]
	v_mov_b32_e32 v125, 0x100
	scratch_store_b64 v121, v[122:123], off
	scratch_load_b64 v[123:124], v120, off
	v_max_f64 v[121:122], v[10:11], v[10:11]
	v_min_f64 v[121:122], v[121:122], v[126:127]
	s_waitcnt vmcnt(0)
	s_delay_alu instid0(VALU_DEP_1) | instskip(SKIP_4) | instid1(VALU_DEP_1)
	v_add_f64 v[121:122], v[121:122], v[123:124]
	v_mov_b32_e32 v124, 0x108
	;; [unrolled: 8-line block ×27, first 2 shown]
	scratch_store_b64 v95, v[96:97], off
	scratch_load_b64 v[97:98], v94, off
	v_max_f64 v[95:96], v[62:63], v[62:63]
	v_min_f64 v[95:96], v[95:96], v[126:127]
	s_waitcnt vmcnt(0)
	s_delay_alu instid0(VALU_DEP_1)
	v_add_f64 v[95:96], v[95:96], v[97:98]
	v_mov_b32_e32 v98, 0x1d8
	v_mov_b32_e32 v97, 0x1e0
	scratch_store_b64 v94, v[95:96], off
	v_mov_b32_e32 v96, 0x1e8
	v_mov_b32_e32 v95, 0x1f0
	;; [unrolled: 1-line block ×3, first 2 shown]
	s_cbranch_vccnz .LBB142_19
; %bb.20:                               ;   in Loop: Header=BB142_18 Depth=1
	ds_load_2addr_b64 v[0:3], v78 offset0:1 offset1:17
	ds_load_2addr_b64 v[4:7], v78 offset0:33 offset1:49
	;; [unrolled: 1-line block ×12, first 2 shown]
	v_dual_mov_b32 v125, 0 :: v_dual_add_nc_u32 v64, 8, v79
	ds_load_2addr_b64 v[48:51], v93 offset0:129 offset1:145
	ds_load_2addr_b64 v[52:55], v93 offset0:161 offset1:177
	;; [unrolled: 1-line block ×4, first 2 shown]
	ds_load_2addr_stride64_b64 v[64:67], v64 offset1:4
	v_dual_mov_b32 v124, 8 :: v_dual_mov_b32 v123, 16
	v_dual_mov_b32 v122, 24 :: v_dual_mov_b32 v121, 32
	;; [unrolled: 1-line block ×4, first 2 shown]
	v_mov_b32_e32 v116, 0x48
	v_mov_b32_e32 v115, 0x50
	;; [unrolled: 1-line block ×23, first 2 shown]
	s_mov_b64 s[2:3], 0
	s_mov_b32 s13, -1
.LBB142_21:                             ;   Parent Loop BB142_18 Depth=1
                                        ; =>  This Inner Loop Header: Depth=2
	scratch_load_b64 v[130:131], v125, off
	s_cmp_eq_u32 s2, 1
	s_waitcnt lgkmcnt(16)
	v_max_f64 v[128:129], v[0:1], v[0:1]
	s_cselect_b32 vcc_lo, -1, 0
	s_mov_b64 s[2:3], 1
	s_waitcnt lgkmcnt(0)
	v_dual_cndmask_b32 v127, v65, v67 :: v_dual_cndmask_b32 v126, v64, v66
	s_and_b32 vcc_lo, exec_lo, s13
	s_mov_b32 s13, 0
	s_delay_alu instid0(VALU_DEP_1) | instskip(NEXT) | instid1(VALU_DEP_1)
	v_max_f64 v[126:127], v[126:127], v[126:127]
	v_min_f64 v[128:129], v[128:129], v[126:127]
	s_waitcnt vmcnt(0)
	s_delay_alu instid0(VALU_DEP_1) | instskip(SKIP_3) | instid1(VALU_DEP_1)
	v_add_f64 v[128:129], v[130:131], v[128:129]
	scratch_load_b64 v[130:131], v124, off
	scratch_store_b64 v125, v[128:129], off
	v_max_f64 v[128:129], v[2:3], v[2:3]
	v_min_f64 v[128:129], v[128:129], v[126:127]
	s_waitcnt vmcnt(0)
	s_delay_alu instid0(VALU_DEP_1) | instskip(SKIP_3) | instid1(VALU_DEP_1)
	v_add_f64 v[128:129], v[128:129], v[130:131]
	scratch_store_b64 v124, v[128:129], off
	scratch_load_b64 v[128:129], v123, off
	v_max_f64 v[124:125], v[4:5], v[4:5]
	v_min_f64 v[124:125], v[124:125], v[126:127]
	s_waitcnt vmcnt(0)
	s_delay_alu instid0(VALU_DEP_1) | instskip(SKIP_3) | instid1(VALU_DEP_1)
	v_add_f64 v[124:125], v[124:125], v[128:129]
	scratch_load_b64 v[128:129], v122, off
	scratch_store_b64 v123, v[124:125], off
	v_max_f64 v[123:124], v[6:7], v[6:7]
	v_min_f64 v[123:124], v[123:124], v[126:127]
	s_waitcnt vmcnt(0)
	s_delay_alu instid0(VALU_DEP_1) | instskip(SKIP_3) | instid1(VALU_DEP_1)
	v_add_f64 v[123:124], v[123:124], v[128:129]
	scratch_store_b64 v122, v[123:124], off
	scratch_load_b64 v[124:125], v121, off
	v_max_f64 v[122:123], v[8:9], v[8:9]
	v_min_f64 v[122:123], v[122:123], v[126:127]
	s_waitcnt vmcnt(0)
	s_delay_alu instid0(VALU_DEP_1) | instskip(SKIP_4) | instid1(VALU_DEP_1)
	v_add_f64 v[122:123], v[122:123], v[124:125]
	v_mov_b32_e32 v125, 0x100
	scratch_store_b64 v121, v[122:123], off
	scratch_load_b64 v[123:124], v120, off
	v_max_f64 v[121:122], v[10:11], v[10:11]
	v_min_f64 v[121:122], v[121:122], v[126:127]
	s_waitcnt vmcnt(0)
	s_delay_alu instid0(VALU_DEP_1) | instskip(SKIP_4) | instid1(VALU_DEP_1)
	v_add_f64 v[121:122], v[121:122], v[123:124]
	v_mov_b32_e32 v124, 0x108
	scratch_store_b64 v120, v[121:122], off
	scratch_load_b64 v[122:123], v119, off
	v_max_f64 v[120:121], v[12:13], v[12:13]
	v_min_f64 v[120:121], v[120:121], v[126:127]
	s_waitcnt vmcnt(0)
	s_delay_alu instid0(VALU_DEP_1) | instskip(SKIP_4) | instid1(VALU_DEP_1)
	v_add_f64 v[120:121], v[120:121], v[122:123]
	v_mov_b32_e32 v123, 0x110
	scratch_store_b64 v119, v[120:121], off
	scratch_load_b64 v[121:122], v118, off
	v_max_f64 v[119:120], v[14:15], v[14:15]
	v_min_f64 v[119:120], v[119:120], v[126:127]
	s_waitcnt vmcnt(0)
	s_delay_alu instid0(VALU_DEP_1) | instskip(SKIP_4) | instid1(VALU_DEP_1)
	v_add_f64 v[119:120], v[119:120], v[121:122]
	v_mov_b32_e32 v122, 0x118
	scratch_store_b64 v118, v[119:120], off
	scratch_load_b64 v[120:121], v117, off
	v_max_f64 v[118:119], v[16:17], v[16:17]
	v_min_f64 v[118:119], v[118:119], v[126:127]
	s_waitcnt vmcnt(0)
	s_delay_alu instid0(VALU_DEP_1) | instskip(SKIP_4) | instid1(VALU_DEP_1)
	v_add_f64 v[118:119], v[118:119], v[120:121]
	v_mov_b32_e32 v121, 0x120
	scratch_store_b64 v117, v[118:119], off
	scratch_load_b64 v[119:120], v116, off
	v_max_f64 v[117:118], v[18:19], v[18:19]
	v_min_f64 v[117:118], v[117:118], v[126:127]
	s_waitcnt vmcnt(0)
	s_delay_alu instid0(VALU_DEP_1) | instskip(SKIP_4) | instid1(VALU_DEP_1)
	v_add_f64 v[117:118], v[117:118], v[119:120]
	v_mov_b32_e32 v120, 0x128
	scratch_store_b64 v116, v[117:118], off
	scratch_load_b64 v[118:119], v115, off
	v_max_f64 v[116:117], v[20:21], v[20:21]
	v_min_f64 v[116:117], v[116:117], v[126:127]
	s_waitcnt vmcnt(0)
	s_delay_alu instid0(VALU_DEP_1) | instskip(SKIP_4) | instid1(VALU_DEP_1)
	v_add_f64 v[116:117], v[116:117], v[118:119]
	v_mov_b32_e32 v119, 0x130
	scratch_store_b64 v115, v[116:117], off
	scratch_load_b64 v[117:118], v114, off
	v_max_f64 v[115:116], v[22:23], v[22:23]
	v_min_f64 v[115:116], v[115:116], v[126:127]
	s_waitcnt vmcnt(0)
	s_delay_alu instid0(VALU_DEP_1) | instskip(SKIP_4) | instid1(VALU_DEP_1)
	v_add_f64 v[115:116], v[115:116], v[117:118]
	v_mov_b32_e32 v118, 0x138
	scratch_store_b64 v114, v[115:116], off
	scratch_load_b64 v[116:117], v113, off
	v_max_f64 v[114:115], v[24:25], v[24:25]
	v_min_f64 v[114:115], v[114:115], v[126:127]
	s_waitcnt vmcnt(0)
	s_delay_alu instid0(VALU_DEP_1) | instskip(SKIP_4) | instid1(VALU_DEP_1)
	v_add_f64 v[114:115], v[114:115], v[116:117]
	v_mov_b32_e32 v117, 0x140
	scratch_store_b64 v113, v[114:115], off
	scratch_load_b64 v[115:116], v112, off
	v_max_f64 v[113:114], v[26:27], v[26:27]
	v_min_f64 v[113:114], v[113:114], v[126:127]
	s_waitcnt vmcnt(0)
	s_delay_alu instid0(VALU_DEP_1) | instskip(SKIP_4) | instid1(VALU_DEP_1)
	v_add_f64 v[113:114], v[113:114], v[115:116]
	v_mov_b32_e32 v116, 0x148
	scratch_store_b64 v112, v[113:114], off
	scratch_load_b64 v[114:115], v111, off
	v_max_f64 v[112:113], v[28:29], v[28:29]
	v_min_f64 v[112:113], v[112:113], v[126:127]
	s_waitcnt vmcnt(0)
	s_delay_alu instid0(VALU_DEP_1) | instskip(SKIP_4) | instid1(VALU_DEP_1)
	v_add_f64 v[112:113], v[112:113], v[114:115]
	v_mov_b32_e32 v115, 0x150
	scratch_store_b64 v111, v[112:113], off
	scratch_load_b64 v[113:114], v110, off
	v_max_f64 v[111:112], v[30:31], v[30:31]
	v_min_f64 v[111:112], v[111:112], v[126:127]
	s_waitcnt vmcnt(0)
	s_delay_alu instid0(VALU_DEP_1) | instskip(SKIP_4) | instid1(VALU_DEP_1)
	v_add_f64 v[111:112], v[111:112], v[113:114]
	v_mov_b32_e32 v114, 0x158
	scratch_store_b64 v110, v[111:112], off
	scratch_load_b64 v[112:113], v109, off
	v_max_f64 v[110:111], v[32:33], v[32:33]
	v_min_f64 v[110:111], v[110:111], v[126:127]
	s_waitcnt vmcnt(0)
	s_delay_alu instid0(VALU_DEP_1) | instskip(SKIP_4) | instid1(VALU_DEP_1)
	v_add_f64 v[110:111], v[110:111], v[112:113]
	v_mov_b32_e32 v113, 0x160
	scratch_store_b64 v109, v[110:111], off
	scratch_load_b64 v[111:112], v108, off
	v_max_f64 v[109:110], v[34:35], v[34:35]
	v_min_f64 v[109:110], v[109:110], v[126:127]
	s_waitcnt vmcnt(0)
	s_delay_alu instid0(VALU_DEP_1) | instskip(SKIP_4) | instid1(VALU_DEP_1)
	v_add_f64 v[109:110], v[109:110], v[111:112]
	v_mov_b32_e32 v112, 0x168
	scratch_store_b64 v108, v[109:110], off
	scratch_load_b64 v[110:111], v107, off
	v_max_f64 v[108:109], v[36:37], v[36:37]
	v_min_f64 v[108:109], v[108:109], v[126:127]
	s_waitcnt vmcnt(0)
	s_delay_alu instid0(VALU_DEP_1) | instskip(SKIP_4) | instid1(VALU_DEP_1)
	v_add_f64 v[108:109], v[108:109], v[110:111]
	v_mov_b32_e32 v111, 0x170
	scratch_store_b64 v107, v[108:109], off
	scratch_load_b64 v[109:110], v106, off
	v_max_f64 v[107:108], v[38:39], v[38:39]
	v_min_f64 v[107:108], v[107:108], v[126:127]
	s_waitcnt vmcnt(0)
	s_delay_alu instid0(VALU_DEP_1) | instskip(SKIP_4) | instid1(VALU_DEP_1)
	v_add_f64 v[107:108], v[107:108], v[109:110]
	v_mov_b32_e32 v110, 0x178
	scratch_store_b64 v106, v[107:108], off
	scratch_load_b64 v[108:109], v105, off
	v_max_f64 v[106:107], v[40:41], v[40:41]
	v_min_f64 v[106:107], v[106:107], v[126:127]
	s_waitcnt vmcnt(0)
	s_delay_alu instid0(VALU_DEP_1) | instskip(SKIP_4) | instid1(VALU_DEP_1)
	v_add_f64 v[106:107], v[106:107], v[108:109]
	v_mov_b32_e32 v109, 0x180
	scratch_store_b64 v105, v[106:107], off
	scratch_load_b64 v[107:108], v104, off
	v_max_f64 v[105:106], v[42:43], v[42:43]
	v_min_f64 v[105:106], v[105:106], v[126:127]
	s_waitcnt vmcnt(0)
	s_delay_alu instid0(VALU_DEP_1) | instskip(SKIP_4) | instid1(VALU_DEP_1)
	v_add_f64 v[105:106], v[105:106], v[107:108]
	v_mov_b32_e32 v108, 0x188
	scratch_store_b64 v104, v[105:106], off
	scratch_load_b64 v[106:107], v103, off
	v_max_f64 v[104:105], v[44:45], v[44:45]
	v_min_f64 v[104:105], v[104:105], v[126:127]
	s_waitcnt vmcnt(0)
	s_delay_alu instid0(VALU_DEP_1) | instskip(SKIP_4) | instid1(VALU_DEP_1)
	v_add_f64 v[104:105], v[104:105], v[106:107]
	v_mov_b32_e32 v107, 0x190
	scratch_store_b64 v103, v[104:105], off
	scratch_load_b64 v[105:106], v102, off
	v_max_f64 v[103:104], v[46:47], v[46:47]
	v_min_f64 v[103:104], v[103:104], v[126:127]
	s_waitcnt vmcnt(0)
	s_delay_alu instid0(VALU_DEP_1) | instskip(SKIP_4) | instid1(VALU_DEP_1)
	v_add_f64 v[103:104], v[103:104], v[105:106]
	v_mov_b32_e32 v106, 0x198
	scratch_store_b64 v102, v[103:104], off
	scratch_load_b64 v[104:105], v101, off
	v_max_f64 v[102:103], v[48:49], v[48:49]
	v_min_f64 v[102:103], v[102:103], v[126:127]
	s_waitcnt vmcnt(0)
	s_delay_alu instid0(VALU_DEP_1) | instskip(SKIP_4) | instid1(VALU_DEP_1)
	v_add_f64 v[102:103], v[102:103], v[104:105]
	v_mov_b32_e32 v105, 0x1a0
	scratch_store_b64 v101, v[102:103], off
	scratch_load_b64 v[103:104], v100, off
	v_max_f64 v[101:102], v[50:51], v[50:51]
	v_min_f64 v[101:102], v[101:102], v[126:127]
	s_waitcnt vmcnt(0)
	s_delay_alu instid0(VALU_DEP_1) | instskip(SKIP_4) | instid1(VALU_DEP_1)
	v_add_f64 v[101:102], v[101:102], v[103:104]
	v_mov_b32_e32 v104, 0x1a8
	scratch_store_b64 v100, v[101:102], off
	scratch_load_b64 v[102:103], v99, off
	v_max_f64 v[100:101], v[52:53], v[52:53]
	v_min_f64 v[100:101], v[100:101], v[126:127]
	s_waitcnt vmcnt(0)
	s_delay_alu instid0(VALU_DEP_1) | instskip(SKIP_4) | instid1(VALU_DEP_1)
	v_add_f64 v[100:101], v[100:101], v[102:103]
	v_mov_b32_e32 v103, 0x1b0
	scratch_store_b64 v99, v[100:101], off
	scratch_load_b64 v[101:102], v98, off
	v_max_f64 v[99:100], v[54:55], v[54:55]
	v_min_f64 v[99:100], v[99:100], v[126:127]
	s_waitcnt vmcnt(0)
	s_delay_alu instid0(VALU_DEP_1) | instskip(SKIP_4) | instid1(VALU_DEP_1)
	v_add_f64 v[99:100], v[99:100], v[101:102]
	v_mov_b32_e32 v102, 0x1b8
	scratch_store_b64 v98, v[99:100], off
	scratch_load_b64 v[100:101], v97, off
	v_max_f64 v[98:99], v[56:57], v[56:57]
	v_min_f64 v[98:99], v[98:99], v[126:127]
	s_waitcnt vmcnt(0)
	s_delay_alu instid0(VALU_DEP_1) | instskip(SKIP_4) | instid1(VALU_DEP_1)
	v_add_f64 v[98:99], v[98:99], v[100:101]
	v_mov_b32_e32 v101, 0x1c0
	scratch_store_b64 v97, v[98:99], off
	scratch_load_b64 v[99:100], v96, off
	v_max_f64 v[97:98], v[58:59], v[58:59]
	v_min_f64 v[97:98], v[97:98], v[126:127]
	s_waitcnt vmcnt(0)
	s_delay_alu instid0(VALU_DEP_1) | instskip(SKIP_4) | instid1(VALU_DEP_1)
	v_add_f64 v[97:98], v[97:98], v[99:100]
	v_mov_b32_e32 v100, 0x1c8
	scratch_store_b64 v96, v[97:98], off
	scratch_load_b64 v[98:99], v95, off
	v_max_f64 v[96:97], v[60:61], v[60:61]
	v_min_f64 v[96:97], v[96:97], v[126:127]
	s_waitcnt vmcnt(0)
	s_delay_alu instid0(VALU_DEP_1) | instskip(SKIP_4) | instid1(VALU_DEP_1)
	v_add_f64 v[96:97], v[96:97], v[98:99]
	v_mov_b32_e32 v99, 0x1d0
	scratch_store_b64 v95, v[96:97], off
	scratch_load_b64 v[97:98], v94, off
	v_max_f64 v[95:96], v[62:63], v[62:63]
	v_min_f64 v[95:96], v[95:96], v[126:127]
	s_waitcnt vmcnt(0)
	s_delay_alu instid0(VALU_DEP_1)
	v_add_f64 v[95:96], v[95:96], v[97:98]
	v_mov_b32_e32 v98, 0x1d8
	v_mov_b32_e32 v97, 0x1e0
	scratch_store_b64 v94, v[95:96], off
	v_mov_b32_e32 v96, 0x1e8
	v_mov_b32_e32 v95, 0x1f0
	;; [unrolled: 1-line block ×3, first 2 shown]
	s_cbranch_vccnz .LBB142_21
; %bb.22:                               ;   in Loop: Header=BB142_18 Depth=1
	ds_load_2addr_b64 v[0:3], v78 offset0:2 offset1:18
	ds_load_2addr_b64 v[4:7], v78 offset0:34 offset1:50
	;; [unrolled: 1-line block ×12, first 2 shown]
	v_dual_mov_b32 v125, 0 :: v_dual_add_nc_u32 v64, 16, v79
	ds_load_2addr_b64 v[48:51], v93 offset0:130 offset1:146
	ds_load_2addr_b64 v[52:55], v93 offset0:162 offset1:178
	;; [unrolled: 1-line block ×4, first 2 shown]
	ds_load_2addr_stride64_b64 v[64:67], v64 offset1:4
	v_dual_mov_b32 v124, 8 :: v_dual_mov_b32 v123, 16
	v_dual_mov_b32 v122, 24 :: v_dual_mov_b32 v121, 32
	;; [unrolled: 1-line block ×4, first 2 shown]
	v_mov_b32_e32 v116, 0x48
	v_mov_b32_e32 v115, 0x50
	;; [unrolled: 1-line block ×23, first 2 shown]
	s_mov_b64 s[2:3], 0
	s_mov_b32 s13, -1
.LBB142_23:                             ;   Parent Loop BB142_18 Depth=1
                                        ; =>  This Inner Loop Header: Depth=2
	scratch_load_b64 v[130:131], v125, off
	s_cmp_eq_u32 s2, 1
	s_waitcnt lgkmcnt(16)
	v_max_f64 v[128:129], v[0:1], v[0:1]
	s_cselect_b32 vcc_lo, -1, 0
	s_mov_b64 s[2:3], 1
	s_waitcnt lgkmcnt(0)
	v_dual_cndmask_b32 v127, v65, v67 :: v_dual_cndmask_b32 v126, v64, v66
	s_and_b32 vcc_lo, exec_lo, s13
	s_mov_b32 s13, 0
	s_delay_alu instid0(VALU_DEP_1) | instskip(NEXT) | instid1(VALU_DEP_1)
	v_max_f64 v[126:127], v[126:127], v[126:127]
	v_min_f64 v[128:129], v[128:129], v[126:127]
	s_waitcnt vmcnt(0)
	s_delay_alu instid0(VALU_DEP_1) | instskip(SKIP_3) | instid1(VALU_DEP_1)
	v_add_f64 v[128:129], v[130:131], v[128:129]
	scratch_load_b64 v[130:131], v124, off
	scratch_store_b64 v125, v[128:129], off
	v_max_f64 v[128:129], v[2:3], v[2:3]
	v_min_f64 v[128:129], v[128:129], v[126:127]
	s_waitcnt vmcnt(0)
	s_delay_alu instid0(VALU_DEP_1) | instskip(SKIP_3) | instid1(VALU_DEP_1)
	v_add_f64 v[128:129], v[128:129], v[130:131]
	scratch_store_b64 v124, v[128:129], off
	scratch_load_b64 v[128:129], v123, off
	v_max_f64 v[124:125], v[4:5], v[4:5]
	v_min_f64 v[124:125], v[124:125], v[126:127]
	s_waitcnt vmcnt(0)
	s_delay_alu instid0(VALU_DEP_1) | instskip(SKIP_3) | instid1(VALU_DEP_1)
	v_add_f64 v[124:125], v[124:125], v[128:129]
	scratch_load_b64 v[128:129], v122, off
	scratch_store_b64 v123, v[124:125], off
	v_max_f64 v[123:124], v[6:7], v[6:7]
	v_min_f64 v[123:124], v[123:124], v[126:127]
	s_waitcnt vmcnt(0)
	s_delay_alu instid0(VALU_DEP_1) | instskip(SKIP_3) | instid1(VALU_DEP_1)
	v_add_f64 v[123:124], v[123:124], v[128:129]
	scratch_store_b64 v122, v[123:124], off
	scratch_load_b64 v[124:125], v121, off
	v_max_f64 v[122:123], v[8:9], v[8:9]
	v_min_f64 v[122:123], v[122:123], v[126:127]
	s_waitcnt vmcnt(0)
	s_delay_alu instid0(VALU_DEP_1) | instskip(SKIP_4) | instid1(VALU_DEP_1)
	v_add_f64 v[122:123], v[122:123], v[124:125]
	v_mov_b32_e32 v125, 0x100
	scratch_store_b64 v121, v[122:123], off
	scratch_load_b64 v[123:124], v120, off
	v_max_f64 v[121:122], v[10:11], v[10:11]
	v_min_f64 v[121:122], v[121:122], v[126:127]
	s_waitcnt vmcnt(0)
	s_delay_alu instid0(VALU_DEP_1) | instskip(SKIP_4) | instid1(VALU_DEP_1)
	v_add_f64 v[121:122], v[121:122], v[123:124]
	v_mov_b32_e32 v124, 0x108
	;; [unrolled: 8-line block ×27, first 2 shown]
	scratch_store_b64 v95, v[96:97], off
	scratch_load_b64 v[97:98], v94, off
	v_max_f64 v[95:96], v[62:63], v[62:63]
	v_min_f64 v[95:96], v[95:96], v[126:127]
	s_waitcnt vmcnt(0)
	s_delay_alu instid0(VALU_DEP_1)
	v_add_f64 v[95:96], v[95:96], v[97:98]
	v_mov_b32_e32 v98, 0x1d8
	v_mov_b32_e32 v97, 0x1e0
	scratch_store_b64 v94, v[95:96], off
	v_mov_b32_e32 v96, 0x1e8
	v_mov_b32_e32 v95, 0x1f0
	v_mov_b32_e32 v94, 0x1f8
	s_cbranch_vccnz .LBB142_23
; %bb.24:                               ;   in Loop: Header=BB142_18 Depth=1
	ds_load_2addr_b64 v[0:3], v78 offset0:3 offset1:19
	ds_load_2addr_b64 v[4:7], v78 offset0:35 offset1:51
	;; [unrolled: 1-line block ×12, first 2 shown]
	v_dual_mov_b32 v125, 0 :: v_dual_add_nc_u32 v64, 24, v79
	ds_load_2addr_b64 v[48:51], v93 offset0:131 offset1:147
	ds_load_2addr_b64 v[52:55], v93 offset0:163 offset1:179
	ds_load_2addr_b64 v[56:59], v93 offset0:195 offset1:211
	ds_load_2addr_b64 v[60:63], v93 offset0:227 offset1:243
	ds_load_2addr_stride64_b64 v[64:67], v64 offset1:4
	v_dual_mov_b32 v124, 8 :: v_dual_mov_b32 v123, 16
	v_dual_mov_b32 v122, 24 :: v_dual_mov_b32 v121, 32
	;; [unrolled: 1-line block ×4, first 2 shown]
	v_mov_b32_e32 v116, 0x48
	v_mov_b32_e32 v115, 0x50
	;; [unrolled: 1-line block ×23, first 2 shown]
	s_mov_b64 s[2:3], 0
	s_mov_b32 s13, -1
.LBB142_25:                             ;   Parent Loop BB142_18 Depth=1
                                        ; =>  This Inner Loop Header: Depth=2
	scratch_load_b64 v[130:131], v125, off
	s_cmp_eq_u32 s2, 1
	s_waitcnt lgkmcnt(16)
	v_max_f64 v[128:129], v[0:1], v[0:1]
	s_cselect_b32 vcc_lo, -1, 0
	s_mov_b64 s[2:3], 1
	s_waitcnt lgkmcnt(0)
	v_dual_cndmask_b32 v127, v65, v67 :: v_dual_cndmask_b32 v126, v64, v66
	s_and_b32 vcc_lo, exec_lo, s13
	s_mov_b32 s13, 0
	s_delay_alu instid0(VALU_DEP_1) | instskip(NEXT) | instid1(VALU_DEP_1)
	v_max_f64 v[126:127], v[126:127], v[126:127]
	v_min_f64 v[128:129], v[128:129], v[126:127]
	s_waitcnt vmcnt(0)
	s_delay_alu instid0(VALU_DEP_1) | instskip(SKIP_3) | instid1(VALU_DEP_1)
	v_add_f64 v[128:129], v[130:131], v[128:129]
	scratch_load_b64 v[130:131], v124, off
	scratch_store_b64 v125, v[128:129], off
	v_max_f64 v[128:129], v[2:3], v[2:3]
	v_min_f64 v[128:129], v[128:129], v[126:127]
	s_waitcnt vmcnt(0)
	s_delay_alu instid0(VALU_DEP_1) | instskip(SKIP_3) | instid1(VALU_DEP_1)
	v_add_f64 v[128:129], v[128:129], v[130:131]
	scratch_store_b64 v124, v[128:129], off
	scratch_load_b64 v[128:129], v123, off
	v_max_f64 v[124:125], v[4:5], v[4:5]
	v_min_f64 v[124:125], v[124:125], v[126:127]
	s_waitcnt vmcnt(0)
	s_delay_alu instid0(VALU_DEP_1) | instskip(SKIP_3) | instid1(VALU_DEP_1)
	v_add_f64 v[124:125], v[124:125], v[128:129]
	scratch_load_b64 v[128:129], v122, off
	scratch_store_b64 v123, v[124:125], off
	v_max_f64 v[123:124], v[6:7], v[6:7]
	v_min_f64 v[123:124], v[123:124], v[126:127]
	s_waitcnt vmcnt(0)
	s_delay_alu instid0(VALU_DEP_1) | instskip(SKIP_3) | instid1(VALU_DEP_1)
	v_add_f64 v[123:124], v[123:124], v[128:129]
	scratch_store_b64 v122, v[123:124], off
	scratch_load_b64 v[124:125], v121, off
	v_max_f64 v[122:123], v[8:9], v[8:9]
	v_min_f64 v[122:123], v[122:123], v[126:127]
	s_waitcnt vmcnt(0)
	s_delay_alu instid0(VALU_DEP_1) | instskip(SKIP_4) | instid1(VALU_DEP_1)
	v_add_f64 v[122:123], v[122:123], v[124:125]
	v_mov_b32_e32 v125, 0x100
	scratch_store_b64 v121, v[122:123], off
	scratch_load_b64 v[123:124], v120, off
	v_max_f64 v[121:122], v[10:11], v[10:11]
	v_min_f64 v[121:122], v[121:122], v[126:127]
	s_waitcnt vmcnt(0)
	s_delay_alu instid0(VALU_DEP_1) | instskip(SKIP_4) | instid1(VALU_DEP_1)
	v_add_f64 v[121:122], v[121:122], v[123:124]
	v_mov_b32_e32 v124, 0x108
	;; [unrolled: 8-line block ×27, first 2 shown]
	scratch_store_b64 v95, v[96:97], off
	scratch_load_b64 v[97:98], v94, off
	v_max_f64 v[95:96], v[62:63], v[62:63]
	v_min_f64 v[95:96], v[95:96], v[126:127]
	s_waitcnt vmcnt(0)
	s_delay_alu instid0(VALU_DEP_1)
	v_add_f64 v[95:96], v[95:96], v[97:98]
	v_mov_b32_e32 v98, 0x1d8
	v_mov_b32_e32 v97, 0x1e0
	scratch_store_b64 v94, v[95:96], off
	v_mov_b32_e32 v96, 0x1e8
	v_mov_b32_e32 v95, 0x1f0
	;; [unrolled: 1-line block ×3, first 2 shown]
	s_cbranch_vccnz .LBB142_25
; %bb.26:                               ;   in Loop: Header=BB142_18 Depth=1
	v_dual_mov_b32 v126, 0 :: v_dual_add_nc_u32 v7, s10, v83
	ds_store_2addr_stride64_b64 v86, v[68:69], v[70:71] offset1:4
	ds_store_2addr_stride64_b64 v88, v[72:73], v[74:75] offset1:4
	s_waitcnt lgkmcnt(0)
	s_waitcnt_vscnt null, 0x0
	s_barrier
	v_mad_u64_u32 v[0:1], null, v7, s20, 0
	v_mad_u64_u32 v[2:3], null, v7, s21, 0
	buffer_gl0_inv
	v_dual_mov_b32 v125, 8 :: v_dual_mov_b32 v122, 32
	v_dual_mov_b32 v123, 24 :: v_dual_mov_b32 v120, 48
	;; [unrolled: 1-line block ×3, first 2 shown]
	v_mad_u64_u32 v[4:5], null, v7, s19, v[1:2]
	v_dual_mov_b32 v119, 56 :: v_dual_mov_b32 v116, 0x50
	v_mov_b32_e32 v117, 0x48
	v_add_nc_u32_e32 v94, 0x800, v85
	v_mov_b32_e32 v115, 0x58
	v_mov_b32_e32 v114, 0x60
	v_mad_u64_u32 v[5:6], null, v7, s22, v[3:4]
	v_mov_b32_e32 v1, v4
	v_mov_b32_e32 v113, 0x68
	;; [unrolled: 1-line block ×3, first 2 shown]
	v_dual_mov_b32 v124, 16 :: v_dual_mov_b32 v111, 0x78
	s_delay_alu instid0(VALU_DEP_4) | instskip(SKIP_4) | instid1(VALU_DEP_4)
	v_lshlrev_b64 v[0:1], 3, v[0:1]
	v_dual_mov_b32 v3, v5 :: v_dual_mov_b32 v110, 0x80
	v_mov_b32_e32 v109, 0x88
	v_mov_b32_e32 v108, 0x90
	;; [unrolled: 1-line block ×3, first 2 shown]
	v_lshlrev_b64 v[2:3], 3, v[2:3]
	v_add_co_u32 v0, vcc_lo, v89, v0
	v_add_co_ci_u32_e32 v1, vcc_lo, v90, v1, vcc_lo
	v_mov_b32_e32 v106, 0xa0
	s_delay_alu instid0(VALU_DEP_4)
	v_add_co_u32 v2, vcc_lo, v91, v2
	v_add_co_ci_u32_e32 v3, vcc_lo, v92, v3, vcc_lo
	s_clause 0x1
	flat_load_b64 v[68:69], v[0:1]
	flat_load_b64 v[70:71], v[0:1] offset:512
	s_clause 0x1
	flat_load_b64 v[72:73], v[2:3]
	flat_load_b64 v[74:75], v[2:3] offset:512
	ds_load_2addr_b64 v[0:3], v85 offset1:16
	ds_load_2addr_b64 v[4:7], v85 offset0:32 offset1:48
	ds_load_2addr_b64 v[8:11], v85 offset0:64 offset1:80
	;; [unrolled: 1-line block ×7, first 2 shown]
	ds_load_2addr_b64 v[32:35], v94 offset1:16
	ds_load_2addr_b64 v[36:39], v94 offset0:32 offset1:48
	ds_load_2addr_b64 v[40:43], v94 offset0:64 offset1:80
	;; [unrolled: 1-line block ×7, first 2 shown]
	ds_load_2addr_stride64_b64 v[64:67], v87 offset1:4
	v_mov_b32_e32 v105, 0xa8
	v_mov_b32_e32 v104, 0xb0
	;; [unrolled: 1-line block ×11, first 2 shown]
	s_mov_b64 s[2:3], 0
	s_mov_b32 s13, -1
.LBB142_27:                             ;   Parent Loop BB142_18 Depth=1
                                        ; =>  This Inner Loop Header: Depth=2
	scratch_load_b64 v[131:132], v126, off
	s_cmp_eq_u32 s2, 1
	s_waitcnt lgkmcnt(16)
	v_max_f64 v[129:130], v[0:1], v[0:1]
	s_cselect_b32 vcc_lo, -1, 0
	s_mov_b64 s[2:3], 1
	s_waitcnt lgkmcnt(0)
	v_dual_cndmask_b32 v128, v65, v67 :: v_dual_cndmask_b32 v127, v64, v66
	s_and_b32 vcc_lo, exec_lo, s13
	s_mov_b32 s13, 0
	s_delay_alu instid0(VALU_DEP_1) | instskip(NEXT) | instid1(VALU_DEP_1)
	v_max_f64 v[127:128], v[127:128], v[127:128]
	v_min_f64 v[129:130], v[129:130], v[127:128]
	s_waitcnt vmcnt(0)
	s_delay_alu instid0(VALU_DEP_1) | instskip(SKIP_3) | instid1(VALU_DEP_1)
	v_add_f64 v[129:130], v[131:132], v[129:130]
	scratch_load_b64 v[131:132], v125, off
	scratch_store_b64 v126, v[129:130], off
	v_max_f64 v[129:130], v[2:3], v[2:3]
	v_min_f64 v[129:130], v[129:130], v[127:128]
	s_waitcnt vmcnt(0)
	s_delay_alu instid0(VALU_DEP_1) | instskip(SKIP_3) | instid1(VALU_DEP_1)
	v_add_f64 v[129:130], v[129:130], v[131:132]
	scratch_store_b64 v125, v[129:130], off
	scratch_load_b64 v[129:130], v124, off
	v_max_f64 v[125:126], v[4:5], v[4:5]
	v_min_f64 v[125:126], v[125:126], v[127:128]
	s_waitcnt vmcnt(0)
	s_delay_alu instid0(VALU_DEP_1) | instskip(SKIP_3) | instid1(VALU_DEP_1)
	v_add_f64 v[125:126], v[125:126], v[129:130]
	scratch_load_b64 v[129:130], v123, off
	scratch_store_b64 v124, v[125:126], off
	v_max_f64 v[124:125], v[6:7], v[6:7]
	v_min_f64 v[124:125], v[124:125], v[127:128]
	s_waitcnt vmcnt(0)
	s_delay_alu instid0(VALU_DEP_1) | instskip(SKIP_3) | instid1(VALU_DEP_1)
	v_add_f64 v[124:125], v[124:125], v[129:130]
	scratch_store_b64 v123, v[124:125], off
	scratch_load_b64 v[125:126], v122, off
	v_max_f64 v[123:124], v[8:9], v[8:9]
	v_min_f64 v[123:124], v[123:124], v[127:128]
	s_waitcnt vmcnt(0)
	s_delay_alu instid0(VALU_DEP_1) | instskip(SKIP_4) | instid1(VALU_DEP_1)
	v_add_f64 v[123:124], v[123:124], v[125:126]
	v_mov_b32_e32 v126, 0x100
	scratch_store_b64 v122, v[123:124], off
	scratch_load_b64 v[124:125], v121, off
	v_max_f64 v[122:123], v[10:11], v[10:11]
	v_min_f64 v[122:123], v[122:123], v[127:128]
	s_waitcnt vmcnt(0)
	s_delay_alu instid0(VALU_DEP_1) | instskip(SKIP_4) | instid1(VALU_DEP_1)
	v_add_f64 v[122:123], v[122:123], v[124:125]
	v_mov_b32_e32 v125, 0x108
	;; [unrolled: 8-line block ×27, first 2 shown]
	scratch_store_b64 v96, v[97:98], off
	scratch_load_b64 v[98:99], v95, off
	v_max_f64 v[96:97], v[62:63], v[62:63]
	v_min_f64 v[96:97], v[96:97], v[127:128]
	s_waitcnt vmcnt(0)
	s_delay_alu instid0(VALU_DEP_1)
	v_add_f64 v[96:97], v[96:97], v[98:99]
	v_mov_b32_e32 v99, 0x1d8
	v_mov_b32_e32 v98, 0x1e0
	scratch_store_b64 v95, v[96:97], off
	v_mov_b32_e32 v97, 0x1e8
	v_mov_b32_e32 v96, 0x1f0
	;; [unrolled: 1-line block ×3, first 2 shown]
	s_cbranch_vccnz .LBB142_27
; %bb.28:                               ;   in Loop: Header=BB142_18 Depth=1
	ds_load_2addr_b64 v[0:3], v85 offset0:1 offset1:17
	ds_load_2addr_b64 v[4:7], v85 offset0:33 offset1:49
	;; [unrolled: 1-line block ×12, first 2 shown]
	v_dual_mov_b32 v125, 8 :: v_dual_add_nc_u32 v64, 8, v87
	ds_load_2addr_b64 v[48:51], v94 offset0:129 offset1:145
	ds_load_2addr_b64 v[52:55], v94 offset0:161 offset1:177
	;; [unrolled: 1-line block ×4, first 2 shown]
	ds_load_2addr_stride64_b64 v[64:67], v64 offset1:4
	v_dual_mov_b32 v126, 0 :: v_dual_mov_b32 v123, 24
	v_dual_mov_b32 v124, 16 :: v_dual_mov_b32 v121, 40
	;; [unrolled: 1-line block ×5, first 2 shown]
	v_mov_b32_e32 v116, 0x50
	v_mov_b32_e32 v114, 0x60
	;; [unrolled: 1-line block ×21, first 2 shown]
	s_mov_b64 s[2:3], 0
	s_mov_b32 s13, -1
.LBB142_29:                             ;   Parent Loop BB142_18 Depth=1
                                        ; =>  This Inner Loop Header: Depth=2
	scratch_load_b64 v[131:132], v126, off
	s_cmp_eq_u32 s2, 1
	s_waitcnt lgkmcnt(16)
	v_max_f64 v[129:130], v[0:1], v[0:1]
	s_cselect_b32 vcc_lo, -1, 0
	s_mov_b64 s[2:3], 1
	s_waitcnt lgkmcnt(0)
	v_dual_cndmask_b32 v128, v65, v67 :: v_dual_cndmask_b32 v127, v64, v66
	s_and_b32 vcc_lo, exec_lo, s13
	s_mov_b32 s13, 0
	s_delay_alu instid0(VALU_DEP_1) | instskip(NEXT) | instid1(VALU_DEP_1)
	v_max_f64 v[127:128], v[127:128], v[127:128]
	v_min_f64 v[129:130], v[129:130], v[127:128]
	s_waitcnt vmcnt(0)
	s_delay_alu instid0(VALU_DEP_1) | instskip(SKIP_3) | instid1(VALU_DEP_1)
	v_add_f64 v[129:130], v[131:132], v[129:130]
	scratch_load_b64 v[131:132], v125, off
	scratch_store_b64 v126, v[129:130], off
	v_max_f64 v[129:130], v[2:3], v[2:3]
	v_min_f64 v[129:130], v[129:130], v[127:128]
	s_waitcnt vmcnt(0)
	s_delay_alu instid0(VALU_DEP_1) | instskip(SKIP_3) | instid1(VALU_DEP_1)
	v_add_f64 v[129:130], v[129:130], v[131:132]
	scratch_store_b64 v125, v[129:130], off
	scratch_load_b64 v[129:130], v124, off
	v_max_f64 v[125:126], v[4:5], v[4:5]
	v_min_f64 v[125:126], v[125:126], v[127:128]
	s_waitcnt vmcnt(0)
	s_delay_alu instid0(VALU_DEP_1) | instskip(SKIP_3) | instid1(VALU_DEP_1)
	v_add_f64 v[125:126], v[125:126], v[129:130]
	scratch_load_b64 v[129:130], v123, off
	scratch_store_b64 v124, v[125:126], off
	v_max_f64 v[124:125], v[6:7], v[6:7]
	v_min_f64 v[124:125], v[124:125], v[127:128]
	s_waitcnt vmcnt(0)
	s_delay_alu instid0(VALU_DEP_1) | instskip(SKIP_3) | instid1(VALU_DEP_1)
	v_add_f64 v[124:125], v[124:125], v[129:130]
	scratch_store_b64 v123, v[124:125], off
	scratch_load_b64 v[125:126], v122, off
	v_max_f64 v[123:124], v[8:9], v[8:9]
	v_min_f64 v[123:124], v[123:124], v[127:128]
	s_waitcnt vmcnt(0)
	s_delay_alu instid0(VALU_DEP_1) | instskip(SKIP_4) | instid1(VALU_DEP_1)
	v_add_f64 v[123:124], v[123:124], v[125:126]
	v_mov_b32_e32 v126, 0x100
	scratch_store_b64 v122, v[123:124], off
	scratch_load_b64 v[124:125], v121, off
	v_max_f64 v[122:123], v[10:11], v[10:11]
	v_min_f64 v[122:123], v[122:123], v[127:128]
	s_waitcnt vmcnt(0)
	s_delay_alu instid0(VALU_DEP_1) | instskip(SKIP_4) | instid1(VALU_DEP_1)
	v_add_f64 v[122:123], v[122:123], v[124:125]
	v_mov_b32_e32 v125, 0x108
	;; [unrolled: 8-line block ×27, first 2 shown]
	scratch_store_b64 v96, v[97:98], off
	scratch_load_b64 v[98:99], v95, off
	v_max_f64 v[96:97], v[62:63], v[62:63]
	v_min_f64 v[96:97], v[96:97], v[127:128]
	s_waitcnt vmcnt(0)
	s_delay_alu instid0(VALU_DEP_1)
	v_add_f64 v[96:97], v[96:97], v[98:99]
	v_mov_b32_e32 v99, 0x1d8
	v_mov_b32_e32 v98, 0x1e0
	scratch_store_b64 v95, v[96:97], off
	v_mov_b32_e32 v97, 0x1e8
	v_mov_b32_e32 v96, 0x1f0
	;; [unrolled: 1-line block ×3, first 2 shown]
	s_cbranch_vccnz .LBB142_29
; %bb.30:                               ;   in Loop: Header=BB142_18 Depth=1
	ds_load_2addr_b64 v[0:3], v85 offset0:2 offset1:18
	ds_load_2addr_b64 v[4:7], v85 offset0:34 offset1:50
	;; [unrolled: 1-line block ×12, first 2 shown]
	v_dual_mov_b32 v125, 8 :: v_dual_add_nc_u32 v64, 16, v87
	ds_load_2addr_b64 v[48:51], v94 offset0:130 offset1:146
	ds_load_2addr_b64 v[52:55], v94 offset0:162 offset1:178
	ds_load_2addr_b64 v[56:59], v94 offset0:194 offset1:210
	ds_load_2addr_b64 v[60:63], v94 offset0:226 offset1:242
	ds_load_2addr_stride64_b64 v[64:67], v64 offset1:4
	v_dual_mov_b32 v126, 0 :: v_dual_mov_b32 v123, 24
	v_dual_mov_b32 v124, 16 :: v_dual_mov_b32 v121, 40
	;; [unrolled: 1-line block ×5, first 2 shown]
	v_mov_b32_e32 v116, 0x50
	v_mov_b32_e32 v114, 0x60
	v_mov_b32_e32 v113, 0x68
	v_mov_b32_e32 v112, 0x70
	v_mov_b32_e32 v111, 0x78
	v_mov_b32_e32 v110, 0x80
	v_mov_b32_e32 v109, 0x88
	v_mov_b32_e32 v108, 0x90
	v_mov_b32_e32 v107, 0x98
	v_mov_b32_e32 v106, 0xa0
	v_mov_b32_e32 v105, 0xa8
	v_mov_b32_e32 v104, 0xb0
	v_mov_b32_e32 v103, 0xb8
	v_mov_b32_e32 v102, 0xc0
	v_mov_b32_e32 v101, 0xc8
	v_mov_b32_e32 v100, 0xd0
	v_mov_b32_e32 v99, 0xd8
	v_mov_b32_e32 v98, 0xe0
	v_mov_b32_e32 v97, 0xe8
	v_mov_b32_e32 v96, 0xf0
	v_mov_b32_e32 v95, 0xf8
	s_mov_b64 s[2:3], 0
	s_mov_b32 s13, -1
.LBB142_31:                             ;   Parent Loop BB142_18 Depth=1
                                        ; =>  This Inner Loop Header: Depth=2
	scratch_load_b64 v[131:132], v126, off
	s_cmp_eq_u32 s2, 1
	s_waitcnt lgkmcnt(16)
	v_max_f64 v[129:130], v[0:1], v[0:1]
	s_cselect_b32 vcc_lo, -1, 0
	s_mov_b64 s[2:3], 1
	s_waitcnt lgkmcnt(0)
	v_dual_cndmask_b32 v128, v65, v67 :: v_dual_cndmask_b32 v127, v64, v66
	s_and_b32 vcc_lo, exec_lo, s13
	s_mov_b32 s13, 0
	s_delay_alu instid0(VALU_DEP_1) | instskip(NEXT) | instid1(VALU_DEP_1)
	v_max_f64 v[127:128], v[127:128], v[127:128]
	v_min_f64 v[129:130], v[129:130], v[127:128]
	s_waitcnt vmcnt(0)
	s_delay_alu instid0(VALU_DEP_1) | instskip(SKIP_3) | instid1(VALU_DEP_1)
	v_add_f64 v[129:130], v[131:132], v[129:130]
	scratch_load_b64 v[131:132], v125, off
	scratch_store_b64 v126, v[129:130], off
	v_max_f64 v[129:130], v[2:3], v[2:3]
	v_min_f64 v[129:130], v[129:130], v[127:128]
	s_waitcnt vmcnt(0)
	s_delay_alu instid0(VALU_DEP_1) | instskip(SKIP_3) | instid1(VALU_DEP_1)
	v_add_f64 v[129:130], v[129:130], v[131:132]
	scratch_store_b64 v125, v[129:130], off
	scratch_load_b64 v[129:130], v124, off
	v_max_f64 v[125:126], v[4:5], v[4:5]
	v_min_f64 v[125:126], v[125:126], v[127:128]
	s_waitcnt vmcnt(0)
	s_delay_alu instid0(VALU_DEP_1) | instskip(SKIP_3) | instid1(VALU_DEP_1)
	v_add_f64 v[125:126], v[125:126], v[129:130]
	scratch_load_b64 v[129:130], v123, off
	scratch_store_b64 v124, v[125:126], off
	v_max_f64 v[124:125], v[6:7], v[6:7]
	v_min_f64 v[124:125], v[124:125], v[127:128]
	s_waitcnt vmcnt(0)
	s_delay_alu instid0(VALU_DEP_1) | instskip(SKIP_3) | instid1(VALU_DEP_1)
	v_add_f64 v[124:125], v[124:125], v[129:130]
	scratch_store_b64 v123, v[124:125], off
	scratch_load_b64 v[125:126], v122, off
	v_max_f64 v[123:124], v[8:9], v[8:9]
	v_min_f64 v[123:124], v[123:124], v[127:128]
	s_waitcnt vmcnt(0)
	s_delay_alu instid0(VALU_DEP_1) | instskip(SKIP_4) | instid1(VALU_DEP_1)
	v_add_f64 v[123:124], v[123:124], v[125:126]
	v_mov_b32_e32 v126, 0x100
	scratch_store_b64 v122, v[123:124], off
	scratch_load_b64 v[124:125], v121, off
	v_max_f64 v[122:123], v[10:11], v[10:11]
	v_min_f64 v[122:123], v[122:123], v[127:128]
	s_waitcnt vmcnt(0)
	s_delay_alu instid0(VALU_DEP_1) | instskip(SKIP_4) | instid1(VALU_DEP_1)
	v_add_f64 v[122:123], v[122:123], v[124:125]
	v_mov_b32_e32 v125, 0x108
	;; [unrolled: 8-line block ×27, first 2 shown]
	scratch_store_b64 v96, v[97:98], off
	scratch_load_b64 v[98:99], v95, off
	v_max_f64 v[96:97], v[62:63], v[62:63]
	v_min_f64 v[96:97], v[96:97], v[127:128]
	s_waitcnt vmcnt(0)
	s_delay_alu instid0(VALU_DEP_1)
	v_add_f64 v[96:97], v[96:97], v[98:99]
	v_mov_b32_e32 v99, 0x1d8
	v_mov_b32_e32 v98, 0x1e0
	scratch_store_b64 v95, v[96:97], off
	v_mov_b32_e32 v97, 0x1e8
	v_mov_b32_e32 v96, 0x1f0
	v_mov_b32_e32 v95, 0x1f8
	s_cbranch_vccnz .LBB142_31
; %bb.32:                               ;   in Loop: Header=BB142_18 Depth=1
	ds_load_2addr_b64 v[0:3], v85 offset0:3 offset1:19
	ds_load_2addr_b64 v[4:7], v85 offset0:35 offset1:51
	ds_load_2addr_b64 v[8:11], v85 offset0:67 offset1:83
	ds_load_2addr_b64 v[12:15], v85 offset0:99 offset1:115
	ds_load_2addr_b64 v[16:19], v85 offset0:131 offset1:147
	ds_load_2addr_b64 v[20:23], v85 offset0:163 offset1:179
	ds_load_2addr_b64 v[24:27], v85 offset0:195 offset1:211
	ds_load_2addr_b64 v[28:31], v85 offset0:227 offset1:243
	ds_load_2addr_b64 v[32:35], v94 offset0:3 offset1:19
	ds_load_2addr_b64 v[36:39], v94 offset0:35 offset1:51
	ds_load_2addr_b64 v[40:43], v94 offset0:67 offset1:83
	ds_load_2addr_b64 v[44:47], v94 offset0:99 offset1:115
	v_dual_mov_b32 v125, 0 :: v_dual_add_nc_u32 v64, 24, v87
	ds_load_2addr_b64 v[48:51], v94 offset0:131 offset1:147
	ds_load_2addr_b64 v[52:55], v94 offset0:163 offset1:179
	ds_load_2addr_b64 v[56:59], v94 offset0:195 offset1:211
	ds_load_2addr_b64 v[60:63], v94 offset0:227 offset1:243
	ds_load_2addr_stride64_b64 v[64:67], v64 offset1:4
	v_dual_mov_b32 v124, 8 :: v_dual_mov_b32 v123, 16
	v_dual_mov_b32 v122, 24 :: v_dual_mov_b32 v121, 32
	;; [unrolled: 1-line block ×4, first 2 shown]
	v_mov_b32_e32 v116, 0x48
	v_mov_b32_e32 v115, 0x50
	;; [unrolled: 1-line block ×23, first 2 shown]
	s_mov_b64 s[2:3], 0
	s_mov_b32 s13, -1
.LBB142_33:                             ;   Parent Loop BB142_18 Depth=1
                                        ; =>  This Inner Loop Header: Depth=2
	scratch_load_b64 v[130:131], v125, off
	s_cmp_eq_u32 s2, 1
	s_waitcnt lgkmcnt(16)
	v_max_f64 v[128:129], v[0:1], v[0:1]
	s_cselect_b32 vcc_lo, -1, 0
	s_mov_b64 s[2:3], 1
	s_waitcnt lgkmcnt(0)
	v_dual_cndmask_b32 v127, v65, v67 :: v_dual_cndmask_b32 v126, v64, v66
	s_and_b32 vcc_lo, exec_lo, s13
	s_mov_b32 s13, 0
	s_delay_alu instid0(VALU_DEP_1) | instskip(NEXT) | instid1(VALU_DEP_1)
	v_max_f64 v[126:127], v[126:127], v[126:127]
	v_min_f64 v[128:129], v[128:129], v[126:127]
	s_waitcnt vmcnt(0)
	s_delay_alu instid0(VALU_DEP_1) | instskip(SKIP_3) | instid1(VALU_DEP_1)
	v_add_f64 v[128:129], v[130:131], v[128:129]
	scratch_load_b64 v[130:131], v124, off
	scratch_store_b64 v125, v[128:129], off
	v_max_f64 v[128:129], v[2:3], v[2:3]
	v_min_f64 v[128:129], v[128:129], v[126:127]
	s_waitcnt vmcnt(0)
	s_delay_alu instid0(VALU_DEP_1) | instskip(SKIP_3) | instid1(VALU_DEP_1)
	v_add_f64 v[128:129], v[128:129], v[130:131]
	scratch_store_b64 v124, v[128:129], off
	scratch_load_b64 v[128:129], v123, off
	v_max_f64 v[124:125], v[4:5], v[4:5]
	v_min_f64 v[124:125], v[124:125], v[126:127]
	s_waitcnt vmcnt(0)
	s_delay_alu instid0(VALU_DEP_1) | instskip(SKIP_3) | instid1(VALU_DEP_1)
	v_add_f64 v[124:125], v[124:125], v[128:129]
	scratch_load_b64 v[128:129], v122, off
	scratch_store_b64 v123, v[124:125], off
	v_max_f64 v[123:124], v[6:7], v[6:7]
	v_min_f64 v[123:124], v[123:124], v[126:127]
	s_waitcnt vmcnt(0)
	s_delay_alu instid0(VALU_DEP_1) | instskip(SKIP_3) | instid1(VALU_DEP_1)
	v_add_f64 v[123:124], v[123:124], v[128:129]
	scratch_store_b64 v122, v[123:124], off
	scratch_load_b64 v[124:125], v121, off
	v_max_f64 v[122:123], v[8:9], v[8:9]
	v_min_f64 v[122:123], v[122:123], v[126:127]
	s_waitcnt vmcnt(0)
	s_delay_alu instid0(VALU_DEP_1) | instskip(SKIP_4) | instid1(VALU_DEP_1)
	v_add_f64 v[122:123], v[122:123], v[124:125]
	v_mov_b32_e32 v125, 0x100
	scratch_store_b64 v121, v[122:123], off
	scratch_load_b64 v[123:124], v120, off
	v_max_f64 v[121:122], v[10:11], v[10:11]
	v_min_f64 v[121:122], v[121:122], v[126:127]
	s_waitcnt vmcnt(0)
	s_delay_alu instid0(VALU_DEP_1) | instskip(SKIP_4) | instid1(VALU_DEP_1)
	v_add_f64 v[121:122], v[121:122], v[123:124]
	v_mov_b32_e32 v124, 0x108
	;; [unrolled: 8-line block ×27, first 2 shown]
	scratch_store_b64 v95, v[96:97], off
	scratch_load_b64 v[97:98], v94, off
	v_max_f64 v[95:96], v[62:63], v[62:63]
	v_min_f64 v[95:96], v[95:96], v[126:127]
	s_waitcnt vmcnt(0)
	s_delay_alu instid0(VALU_DEP_1)
	v_add_f64 v[95:96], v[95:96], v[97:98]
	v_mov_b32_e32 v98, 0x1d8
	v_mov_b32_e32 v97, 0x1e0
	scratch_store_b64 v94, v[95:96], off
	v_mov_b32_e32 v96, 0x1e8
	v_mov_b32_e32 v95, 0x1f0
	;; [unrolled: 1-line block ×3, first 2 shown]
	s_cbranch_vccnz .LBB142_33
; %bb.34:                               ;   in Loop: Header=BB142_18 Depth=1
	s_add_i32 s12, s12, 8
	s_add_i32 s10, s10, 8
	s_cmp_ge_i32 s12, s11
	ds_store_2addr_stride64_b64 v76, v[68:69], v[70:71] offset1:4
	ds_store_2addr_stride64_b64 v77, v[72:73], v[74:75] offset1:4
	s_waitcnt lgkmcnt(0)
	s_waitcnt_vscnt null, 0x0
	s_barrier
	buffer_gl0_inv
	s_cbranch_scc0 .LBB142_18
.LBB142_35:
	v_dual_mov_b32 v71, 8 :: v_dual_add_nc_u32 v28, 0x1000, v85
	v_dual_mov_b32 v75, 40 :: v_dual_add_nc_u32 v60, 0x1800, v85
	v_dual_mov_b32 v73, 24 :: v_dual_add_nc_u32 v68, 0x1000, v85
	ds_load_2addr_b64 v[0:3], v28 offset1:16
	ds_load_2addr_b64 v[4:7], v28 offset0:32 offset1:48
	ds_load_2addr_b64 v[8:11], v28 offset0:64 offset1:80
	;; [unrolled: 1-line block ×7, first 2 shown]
	ds_load_2addr_b64 v[32:35], v60 offset1:16
	ds_load_2addr_b64 v[36:39], v60 offset0:32 offset1:48
	ds_load_2addr_b64 v[40:43], v60 offset0:64 offset1:80
	;; [unrolled: 1-line block ×7, first 2 shown]
	ds_load_2addr_stride64_b64 v[64:67], v84 offset0:24 offset1:28
	v_dual_mov_b32 v70, 0 :: v_dual_add_nc_u32 v69, 0x3000, v84
	v_dual_mov_b32 v72, 16 :: v_dual_mov_b32 v77, 56
	v_dual_mov_b32 v74, 32 :: v_dual_mov_b32 v79, 0x48
	v_dual_mov_b32 v76, 48 :: v_dual_mov_b32 v83, 0x58
	v_dual_mov_b32 v78, 64 :: v_dual_mov_b32 v85, 0x68
	v_mov_b32_e32 v82, 0x50
	v_mov_b32_e32 v84, 0x60
	;; [unrolled: 1-line block ×20, first 2 shown]
	s_mov_b64 s[2:3], 0
	s_mov_b32 s10, -1
.LBB142_36:                             ; =>This Inner Loop Header: Depth=1
	scratch_load_b64 v[104:105], v70, off
	scratch_load_b64 v[106:107], v71, off
	;; [unrolled: 1-line block ×32, first 2 shown]
	s_cmp_eq_u32 s2, 1
	s_waitcnt lgkmcnt(16)
	v_max_f64 v[170:171], v[0:1], v[0:1]
	s_cselect_b32 vcc_lo, -1, 0
	v_max_f64 v[172:173], v[2:3], v[2:3]
	s_waitcnt lgkmcnt(0)
	v_dual_cndmask_b32 v169, v65, v67 :: v_dual_cndmask_b32 v168, v64, v66
	v_max_f64 v[174:175], v[4:5], v[4:5]
	v_max_f64 v[176:177], v[6:7], v[6:7]
	v_max_f64 v[178:179], v[8:9], v[8:9]
	v_max_f64 v[180:181], v[10:11], v[10:11]
	v_max_f64 v[168:169], v[168:169], v[168:169]
	v_max_f64 v[182:183], v[12:13], v[12:13]
	v_max_f64 v[184:185], v[14:15], v[14:15]
	v_max_f64 v[186:187], v[16:17], v[16:17]
	v_max_f64 v[188:189], v[18:19], v[18:19]
	v_max_f64 v[190:191], v[20:21], v[20:21]
	v_max_f64 v[192:193], v[22:23], v[22:23]
	v_max_f64 v[194:195], v[24:25], v[24:25]
	v_max_f64 v[196:197], v[26:27], v[26:27]
	v_max_f64 v[198:199], v[28:29], v[28:29]
	v_max_f64 v[200:201], v[30:31], v[30:31]
	v_max_f64 v[202:203], v[32:33], v[32:33]
	v_max_f64 v[204:205], v[34:35], v[34:35]
	v_max_f64 v[206:207], v[36:37], v[36:37]
	v_max_f64 v[208:209], v[38:39], v[38:39]
	v_max_f64 v[210:211], v[40:41], v[40:41]
	v_max_f64 v[212:213], v[42:43], v[42:43]
	v_max_f64 v[214:215], v[44:45], v[44:45]
	v_max_f64 v[216:217], v[46:47], v[46:47]
	v_max_f64 v[218:219], v[48:49], v[48:49]
	v_max_f64 v[220:221], v[50:51], v[50:51]
	v_max_f64 v[222:223], v[52:53], v[52:53]
	v_max_f64 v[224:225], v[54:55], v[54:55]
	v_max_f64 v[226:227], v[56:57], v[56:57]
	v_max_f64 v[228:229], v[58:59], v[58:59]
	v_max_f64 v[230:231], v[60:61], v[60:61]
	v_max_f64 v[232:233], v[62:63], v[62:63]
	s_mov_b64 s[2:3], 1
	s_and_b32 vcc_lo, exec_lo, s10
	s_mov_b32 s10, 0
	v_min_f64 v[170:171], v[170:171], v[168:169]
	v_min_f64 v[172:173], v[172:173], v[168:169]
	;; [unrolled: 1-line block ×32, first 2 shown]
	s_waitcnt vmcnt(31)
	v_add_f64 v[104:105], v[104:105], v[170:171]
	s_waitcnt vmcnt(30)
	v_add_f64 v[106:107], v[172:173], v[106:107]
	s_waitcnt vmcnt(29)
	v_add_f64 v[108:109], v[174:175], v[108:109]
	s_waitcnt vmcnt(28)
	v_add_f64 v[110:111], v[176:177], v[110:111]
	s_waitcnt vmcnt(27)
	v_add_f64 v[112:113], v[178:179], v[112:113]
	s_waitcnt vmcnt(26)
	v_add_f64 v[114:115], v[180:181], v[114:115]
	s_waitcnt vmcnt(25)
	v_add_f64 v[116:117], v[182:183], v[116:117]
	s_waitcnt vmcnt(24)
	v_add_f64 v[118:119], v[184:185], v[118:119]
	s_waitcnt vmcnt(23)
	v_add_f64 v[120:121], v[186:187], v[120:121]
	s_waitcnt vmcnt(22)
	v_add_f64 v[122:123], v[188:189], v[122:123]
	s_waitcnt vmcnt(21)
	v_add_f64 v[124:125], v[190:191], v[124:125]
	s_waitcnt vmcnt(20)
	v_add_f64 v[126:127], v[192:193], v[126:127]
	s_waitcnt vmcnt(19)
	v_add_f64 v[128:129], v[194:195], v[128:129]
	s_waitcnt vmcnt(18)
	v_add_f64 v[130:131], v[196:197], v[130:131]
	s_waitcnt vmcnt(17)
	v_add_f64 v[132:133], v[198:199], v[132:133]
	s_waitcnt vmcnt(16)
	v_add_f64 v[134:135], v[200:201], v[134:135]
	s_waitcnt vmcnt(15)
	v_add_f64 v[136:137], v[202:203], v[136:137]
	s_waitcnt vmcnt(14)
	v_add_f64 v[138:139], v[204:205], v[138:139]
	s_waitcnt vmcnt(13)
	v_add_f64 v[140:141], v[206:207], v[140:141]
	s_waitcnt vmcnt(12)
	v_add_f64 v[142:143], v[208:209], v[142:143]
	s_waitcnt vmcnt(11)
	v_add_f64 v[144:145], v[210:211], v[144:145]
	s_waitcnt vmcnt(10)
	v_add_f64 v[146:147], v[212:213], v[146:147]
	s_waitcnt vmcnt(9)
	v_add_f64 v[148:149], v[214:215], v[148:149]
	s_waitcnt vmcnt(8)
	v_add_f64 v[150:151], v[216:217], v[150:151]
	s_waitcnt vmcnt(7)
	v_add_f64 v[152:153], v[218:219], v[152:153]
	s_waitcnt vmcnt(6)
	v_add_f64 v[154:155], v[220:221], v[154:155]
	s_waitcnt vmcnt(5)
	v_add_f64 v[156:157], v[222:223], v[156:157]
	s_waitcnt vmcnt(4)
	v_add_f64 v[158:159], v[224:225], v[158:159]
	s_waitcnt vmcnt(3)
	v_add_f64 v[160:161], v[226:227], v[160:161]
	s_waitcnt vmcnt(2)
	v_add_f64 v[162:163], v[228:229], v[162:163]
	s_waitcnt vmcnt(1)
	v_add_f64 v[164:165], v[230:231], v[164:165]
	s_waitcnt vmcnt(0)
	v_add_f64 v[166:167], v[168:169], v[166:167]
	scratch_store_b64 v70, v[104:105], off
	scratch_store_b64 v71, v[106:107], off
	;; [unrolled: 1-line block ×32, first 2 shown]
	v_mov_b32_e32 v70, 0x100
	v_mov_b32_e32 v71, 0x108
	;; [unrolled: 1-line block ×32, first 2 shown]
	s_cbranch_vccnz .LBB142_36
; %bb.37:
	v_dual_mov_b32 v71, 8 :: v_dual_add_nc_u32 v60, 0x800, v68
	ds_load_2addr_b64 v[0:3], v68 offset0:1 offset1:17
	ds_load_2addr_b64 v[4:7], v68 offset0:33 offset1:49
	;; [unrolled: 1-line block ×12, first 2 shown]
	v_dual_mov_b32 v73, 24 :: v_dual_add_nc_u32 v64, 8, v69
	ds_load_2addr_b64 v[48:51], v60 offset0:129 offset1:145
	ds_load_2addr_b64 v[52:55], v60 offset0:161 offset1:177
	;; [unrolled: 1-line block ×4, first 2 shown]
	ds_load_2addr_stride64_b64 v[64:67], v64 offset1:4
	v_dual_mov_b32 v70, 0 :: v_dual_mov_b32 v75, 40
	v_dual_mov_b32 v72, 16 :: v_dual_mov_b32 v77, 56
	;; [unrolled: 1-line block ×5, first 2 shown]
	v_mov_b32_e32 v82, 0x50
	v_mov_b32_e32 v84, 0x60
	v_mov_b32_e32 v86, 0x70
	v_mov_b32_e32 v87, 0x78
	v_mov_b32_e32 v88, 0x80
	v_mov_b32_e32 v89, 0x88
	v_mov_b32_e32 v90, 0x90
	v_mov_b32_e32 v91, 0x98
	v_mov_b32_e32 v92, 0xa0
	v_mov_b32_e32 v93, 0xa8
	v_mov_b32_e32 v94, 0xb0
	v_mov_b32_e32 v95, 0xb8
	v_mov_b32_e32 v96, 0xc0
	v_mov_b32_e32 v97, 0xc8
	v_mov_b32_e32 v98, 0xd0
	v_mov_b32_e32 v99, 0xd8
	v_mov_b32_e32 v100, 0xe0
	v_mov_b32_e32 v101, 0xe8
	v_mov_b32_e32 v102, 0xf0
	v_mov_b32_e32 v103, 0xf8
	s_mov_b64 s[2:3], 0
	s_mov_b32 s10, -1
.LBB142_38:                             ; =>This Inner Loop Header: Depth=1
	scratch_load_b64 v[104:105], v70, off
	scratch_load_b64 v[106:107], v71, off
	;; [unrolled: 1-line block ×32, first 2 shown]
	s_cmp_eq_u32 s2, 1
	s_waitcnt lgkmcnt(16)
	v_max_f64 v[170:171], v[0:1], v[0:1]
	s_cselect_b32 vcc_lo, -1, 0
	v_max_f64 v[172:173], v[2:3], v[2:3]
	s_waitcnt lgkmcnt(0)
	v_dual_cndmask_b32 v169, v65, v67 :: v_dual_cndmask_b32 v168, v64, v66
	v_max_f64 v[174:175], v[4:5], v[4:5]
	v_max_f64 v[176:177], v[6:7], v[6:7]
	;; [unrolled: 1-line block ×31, first 2 shown]
	s_mov_b64 s[2:3], 1
	s_and_b32 vcc_lo, exec_lo, s10
	s_mov_b32 s10, 0
	v_min_f64 v[170:171], v[170:171], v[168:169]
	v_min_f64 v[172:173], v[172:173], v[168:169]
	v_min_f64 v[174:175], v[174:175], v[168:169]
	v_min_f64 v[176:177], v[176:177], v[168:169]
	v_min_f64 v[178:179], v[178:179], v[168:169]
	v_min_f64 v[180:181], v[180:181], v[168:169]
	v_min_f64 v[182:183], v[182:183], v[168:169]
	v_min_f64 v[184:185], v[184:185], v[168:169]
	v_min_f64 v[186:187], v[186:187], v[168:169]
	v_min_f64 v[188:189], v[188:189], v[168:169]
	v_min_f64 v[190:191], v[190:191], v[168:169]
	v_min_f64 v[192:193], v[192:193], v[168:169]
	v_min_f64 v[194:195], v[194:195], v[168:169]
	v_min_f64 v[196:197], v[196:197], v[168:169]
	v_min_f64 v[198:199], v[198:199], v[168:169]
	v_min_f64 v[200:201], v[200:201], v[168:169]
	v_min_f64 v[202:203], v[202:203], v[168:169]
	v_min_f64 v[204:205], v[204:205], v[168:169]
	v_min_f64 v[206:207], v[206:207], v[168:169]
	v_min_f64 v[208:209], v[208:209], v[168:169]
	v_min_f64 v[210:211], v[210:211], v[168:169]
	v_min_f64 v[212:213], v[212:213], v[168:169]
	v_min_f64 v[214:215], v[214:215], v[168:169]
	v_min_f64 v[216:217], v[216:217], v[168:169]
	v_min_f64 v[218:219], v[218:219], v[168:169]
	v_min_f64 v[220:221], v[220:221], v[168:169]
	v_min_f64 v[222:223], v[222:223], v[168:169]
	v_min_f64 v[224:225], v[224:225], v[168:169]
	v_min_f64 v[226:227], v[226:227], v[168:169]
	v_min_f64 v[228:229], v[228:229], v[168:169]
	v_min_f64 v[230:231], v[230:231], v[168:169]
	v_min_f64 v[168:169], v[232:233], v[168:169]
	s_waitcnt vmcnt(31)
	v_add_f64 v[104:105], v[104:105], v[170:171]
	s_waitcnt vmcnt(30)
	v_add_f64 v[106:107], v[172:173], v[106:107]
	;; [unrolled: 2-line block ×32, first 2 shown]
	scratch_store_b64 v70, v[104:105], off
	scratch_store_b64 v71, v[106:107], off
	;; [unrolled: 1-line block ×32, first 2 shown]
	v_mov_b32_e32 v70, 0x100
	v_mov_b32_e32 v71, 0x108
	;; [unrolled: 1-line block ×32, first 2 shown]
	s_cbranch_vccnz .LBB142_38
; %bb.39:
	v_dual_mov_b32 v71, 8 :: v_dual_add_nc_u32 v60, 0x800, v68
	ds_load_2addr_b64 v[0:3], v68 offset0:2 offset1:18
	ds_load_2addr_b64 v[4:7], v68 offset0:34 offset1:50
	;; [unrolled: 1-line block ×12, first 2 shown]
	v_dual_mov_b32 v73, 24 :: v_dual_add_nc_u32 v64, 16, v69
	ds_load_2addr_b64 v[48:51], v60 offset0:130 offset1:146
	ds_load_2addr_b64 v[52:55], v60 offset0:162 offset1:178
	;; [unrolled: 1-line block ×4, first 2 shown]
	ds_load_2addr_stride64_b64 v[64:67], v64 offset1:4
	v_dual_mov_b32 v70, 0 :: v_dual_mov_b32 v75, 40
	v_dual_mov_b32 v72, 16 :: v_dual_mov_b32 v77, 56
	;; [unrolled: 1-line block ×5, first 2 shown]
	v_mov_b32_e32 v82, 0x50
	v_mov_b32_e32 v84, 0x60
	;; [unrolled: 1-line block ×20, first 2 shown]
	s_mov_b64 s[2:3], 0
	s_mov_b32 s10, -1
.LBB142_40:                             ; =>This Inner Loop Header: Depth=1
	scratch_load_b64 v[104:105], v70, off
	scratch_load_b64 v[106:107], v71, off
	;; [unrolled: 1-line block ×32, first 2 shown]
	s_cmp_eq_u32 s2, 1
	s_waitcnt lgkmcnt(16)
	v_max_f64 v[170:171], v[0:1], v[0:1]
	s_cselect_b32 vcc_lo, -1, 0
	v_max_f64 v[172:173], v[2:3], v[2:3]
	s_waitcnt lgkmcnt(0)
	v_dual_cndmask_b32 v169, v65, v67 :: v_dual_cndmask_b32 v168, v64, v66
	v_max_f64 v[174:175], v[4:5], v[4:5]
	v_max_f64 v[176:177], v[6:7], v[6:7]
	;; [unrolled: 1-line block ×31, first 2 shown]
	s_mov_b64 s[2:3], 1
	s_and_b32 vcc_lo, exec_lo, s10
	s_mov_b32 s10, 0
	v_min_f64 v[170:171], v[170:171], v[168:169]
	v_min_f64 v[172:173], v[172:173], v[168:169]
	v_min_f64 v[174:175], v[174:175], v[168:169]
	v_min_f64 v[176:177], v[176:177], v[168:169]
	v_min_f64 v[178:179], v[178:179], v[168:169]
	v_min_f64 v[180:181], v[180:181], v[168:169]
	v_min_f64 v[182:183], v[182:183], v[168:169]
	v_min_f64 v[184:185], v[184:185], v[168:169]
	v_min_f64 v[186:187], v[186:187], v[168:169]
	v_min_f64 v[188:189], v[188:189], v[168:169]
	v_min_f64 v[190:191], v[190:191], v[168:169]
	v_min_f64 v[192:193], v[192:193], v[168:169]
	v_min_f64 v[194:195], v[194:195], v[168:169]
	v_min_f64 v[196:197], v[196:197], v[168:169]
	v_min_f64 v[198:199], v[198:199], v[168:169]
	v_min_f64 v[200:201], v[200:201], v[168:169]
	v_min_f64 v[202:203], v[202:203], v[168:169]
	v_min_f64 v[204:205], v[204:205], v[168:169]
	v_min_f64 v[206:207], v[206:207], v[168:169]
	v_min_f64 v[208:209], v[208:209], v[168:169]
	v_min_f64 v[210:211], v[210:211], v[168:169]
	v_min_f64 v[212:213], v[212:213], v[168:169]
	v_min_f64 v[214:215], v[214:215], v[168:169]
	v_min_f64 v[216:217], v[216:217], v[168:169]
	v_min_f64 v[218:219], v[218:219], v[168:169]
	v_min_f64 v[220:221], v[220:221], v[168:169]
	v_min_f64 v[222:223], v[222:223], v[168:169]
	v_min_f64 v[224:225], v[224:225], v[168:169]
	v_min_f64 v[226:227], v[226:227], v[168:169]
	v_min_f64 v[228:229], v[228:229], v[168:169]
	v_min_f64 v[230:231], v[230:231], v[168:169]
	v_min_f64 v[168:169], v[232:233], v[168:169]
	s_waitcnt vmcnt(31)
	v_add_f64 v[104:105], v[104:105], v[170:171]
	s_waitcnt vmcnt(30)
	v_add_f64 v[106:107], v[172:173], v[106:107]
	;; [unrolled: 2-line block ×32, first 2 shown]
	scratch_store_b64 v70, v[104:105], off
	scratch_store_b64 v71, v[106:107], off
	;; [unrolled: 1-line block ×32, first 2 shown]
	v_mov_b32_e32 v70, 0x100
	v_mov_b32_e32 v71, 0x108
	;; [unrolled: 1-line block ×32, first 2 shown]
	s_cbranch_vccnz .LBB142_40
; %bb.41:
	v_add_nc_u32_e32 v60, 0x800, v68
	ds_load_2addr_b64 v[0:3], v68 offset0:3 offset1:19
	ds_load_2addr_b64 v[4:7], v68 offset0:35 offset1:51
	;; [unrolled: 1-line block ×4, first 2 shown]
	v_dual_mov_b32 v71, 24 :: v_dual_add_nc_u32 v64, 24, v69
	v_mov_b32_e32 v69, 8
	ds_load_2addr_b64 v[16:19], v68 offset0:131 offset1:147
	ds_load_2addr_b64 v[20:23], v68 offset0:163 offset1:179
	;; [unrolled: 1-line block ×12, first 2 shown]
	ds_load_2addr_stride64_b64 v[64:67], v64 offset1:4
	v_dual_mov_b32 v68, 0 :: v_dual_mov_b32 v73, 40
	v_dual_mov_b32 v70, 16 :: v_dual_mov_b32 v75, 56
	;; [unrolled: 1-line block ×5, first 2 shown]
	v_mov_b32_e32 v78, 0x50
	v_mov_b32_e32 v82, 0x60
	;; [unrolled: 1-line block ×20, first 2 shown]
	s_mov_b64 s[2:3], 0
	s_mov_b32 s10, -1
.LBB142_42:                             ; =>This Inner Loop Header: Depth=1
	scratch_load_b64 v[102:103], v68, off
	scratch_load_b64 v[104:105], v69, off
	;; [unrolled: 1-line block ×32, first 2 shown]
	s_cmp_eq_u32 s2, 1
	s_waitcnt lgkmcnt(16)
	v_max_f64 v[168:169], v[0:1], v[0:1]
	s_cselect_b32 vcc_lo, -1, 0
	v_max_f64 v[170:171], v[2:3], v[2:3]
	s_waitcnt lgkmcnt(0)
	v_dual_cndmask_b32 v167, v65, v67 :: v_dual_cndmask_b32 v166, v64, v66
	v_max_f64 v[172:173], v[4:5], v[4:5]
	v_max_f64 v[174:175], v[6:7], v[6:7]
	;; [unrolled: 1-line block ×31, first 2 shown]
	s_mov_b64 s[2:3], 1
	s_and_b32 vcc_lo, exec_lo, s10
	s_mov_b32 s10, 0
	v_min_f64 v[168:169], v[168:169], v[166:167]
	v_min_f64 v[170:171], v[170:171], v[166:167]
	;; [unrolled: 1-line block ×32, first 2 shown]
	s_waitcnt vmcnt(31)
	v_add_f64 v[102:103], v[102:103], v[168:169]
	s_waitcnt vmcnt(30)
	v_add_f64 v[104:105], v[170:171], v[104:105]
	s_waitcnt vmcnt(29)
	v_add_f64 v[106:107], v[172:173], v[106:107]
	s_waitcnt vmcnt(28)
	v_add_f64 v[108:109], v[174:175], v[108:109]
	s_waitcnt vmcnt(27)
	v_add_f64 v[110:111], v[176:177], v[110:111]
	s_waitcnt vmcnt(26)
	v_add_f64 v[112:113], v[178:179], v[112:113]
	s_waitcnt vmcnt(25)
	v_add_f64 v[114:115], v[180:181], v[114:115]
	s_waitcnt vmcnt(24)
	v_add_f64 v[116:117], v[182:183], v[116:117]
	s_waitcnt vmcnt(23)
	v_add_f64 v[118:119], v[184:185], v[118:119]
	s_waitcnt vmcnt(22)
	v_add_f64 v[120:121], v[186:187], v[120:121]
	s_waitcnt vmcnt(21)
	v_add_f64 v[122:123], v[188:189], v[122:123]
	s_waitcnt vmcnt(20)
	v_add_f64 v[124:125], v[190:191], v[124:125]
	s_waitcnt vmcnt(19)
	v_add_f64 v[126:127], v[192:193], v[126:127]
	s_waitcnt vmcnt(18)
	v_add_f64 v[128:129], v[194:195], v[128:129]
	s_waitcnt vmcnt(17)
	v_add_f64 v[130:131], v[196:197], v[130:131]
	s_waitcnt vmcnt(16)
	v_add_f64 v[132:133], v[198:199], v[132:133]
	s_waitcnt vmcnt(15)
	v_add_f64 v[134:135], v[200:201], v[134:135]
	s_waitcnt vmcnt(14)
	v_add_f64 v[136:137], v[202:203], v[136:137]
	s_waitcnt vmcnt(13)
	v_add_f64 v[138:139], v[204:205], v[138:139]
	s_waitcnt vmcnt(12)
	v_add_f64 v[140:141], v[206:207], v[140:141]
	s_waitcnt vmcnt(11)
	v_add_f64 v[142:143], v[208:209], v[142:143]
	s_waitcnt vmcnt(10)
	v_add_f64 v[144:145], v[210:211], v[144:145]
	s_waitcnt vmcnt(9)
	v_add_f64 v[146:147], v[212:213], v[146:147]
	s_waitcnt vmcnt(8)
	v_add_f64 v[148:149], v[214:215], v[148:149]
	s_waitcnt vmcnt(7)
	v_add_f64 v[150:151], v[216:217], v[150:151]
	s_waitcnt vmcnt(6)
	v_add_f64 v[152:153], v[218:219], v[152:153]
	s_waitcnt vmcnt(5)
	v_add_f64 v[154:155], v[220:221], v[154:155]
	s_waitcnt vmcnt(4)
	v_add_f64 v[156:157], v[222:223], v[156:157]
	s_waitcnt vmcnt(3)
	v_add_f64 v[158:159], v[224:225], v[158:159]
	s_waitcnt vmcnt(2)
	v_add_f64 v[160:161], v[226:227], v[160:161]
	s_waitcnt vmcnt(1)
	v_add_f64 v[162:163], v[228:229], v[162:163]
	s_waitcnt vmcnt(0)
	v_add_f64 v[164:165], v[166:167], v[164:165]
	scratch_store_b64 v68, v[102:103], off
	scratch_store_b64 v69, v[104:105], off
	;; [unrolled: 1-line block ×32, first 2 shown]
	v_mov_b32_e32 v68, 0x100
	v_mov_b32_e32 v69, 0x108
	;; [unrolled: 1-line block ×32, first 2 shown]
	s_cbranch_vccnz .LBB142_42
; %bb.43:
	scratch_load_b64 v[2:3], off, off
	s_load_b32 s3, s[0:1], 0x58
	v_dual_mov_b32 v4, 0 :: v_dual_add_nc_u32 v71, s15, v81
	v_dual_mov_b32 v5, 0 :: v_dual_add_nc_u32 v16, s14, v80
	v_mov_b32_e32 v8, 0
	v_mov_b32_e32 v9, 0
	s_and_b32 s2, exec_lo, s18
	s_delay_alu instid0(VALU_DEP_3) | instskip(SKIP_2) | instid1(VALU_DEP_1)
	v_ashrrev_i32_e32 v17, 31, v16
	s_waitcnt lgkmcnt(0)
	v_mad_i64_i32 v[0:1], null, v71, s3, 0
	v_lshlrev_b64 v[0:1], 3, v[0:1]
	s_delay_alu instid0(VALU_DEP_1) | instskip(NEXT) | instid1(VALU_DEP_2)
	v_add_co_u32 v72, vcc_lo, s4, v0
	v_add_co_ci_u32_e32 v73, vcc_lo, s5, v1, vcc_lo
	v_lshlrev_b64 v[0:1], 3, v[16:17]
	s_mov_b32 vcc_lo, s2
	s_cbranch_vccz .LBB142_45
; %bb.44:
	s_delay_alu instid0(VALU_DEP_1) | instskip(NEXT) | instid1(VALU_DEP_2)
	v_add_co_u32 v6, vcc_lo, v72, v0
	v_add_co_ci_u32_e32 v7, vcc_lo, v73, v1, vcc_lo
	flat_load_b64 v[6:7], v[6:7]
	s_waitcnt vmcnt(0) lgkmcnt(0)
	v_mul_f64 v[8:9], v[6:7], s[6:7]
.LBB142_45:
	scratch_load_b64 v[6:7], off, off offset:8
	s_clause 0x1
	s_load_b32 s10, s[0:1], 0x70
	s_load_b64 s[0:1], s[0:1], 0x78
	s_waitcnt vmcnt(1)
	v_add_f64 v[8:9], v[2:3], v[8:9]
	v_add_nc_u32_e32 v10, 4, v16
	v_cndmask_b32_e64 v12, 0, 1, s18
	s_delay_alu instid0(VALU_DEP_2)
	v_ashrrev_i32_e32 v11, 31, v10
	s_waitcnt lgkmcnt(0)
	v_mad_i64_i32 v[2:3], null, v71, s10, 0
	s_lshl_b64 s[12:13], s[0:1], 3
	v_cmp_ne_u32_e64 s0, 1, v12
	s_add_u32 s1, s8, s12
	s_addc_u32 s8, s9, s13
	s_delay_alu instid0(VALU_DEP_2) | instskip(NEXT) | instid1(VALU_DEP_1)
	v_lshlrev_b64 v[2:3], 3, v[2:3]
	v_add_co_u32 v74, vcc_lo, s1, v2
	s_delay_alu instid0(VALU_DEP_2) | instskip(SKIP_1) | instid1(VALU_DEP_3)
	v_add_co_ci_u32_e32 v75, vcc_lo, s8, v3, vcc_lo
	v_lshlrev_b64 v[2:3], 3, v[10:11]
	v_add_co_u32 v12, vcc_lo, v74, v0
	s_delay_alu instid0(VALU_DEP_3)
	v_add_co_ci_u32_e32 v13, vcc_lo, v75, v1, vcc_lo
	s_and_not1_b32 vcc_lo, exec_lo, s18
	global_store_b64 v[12:13], v[8:9], off
	s_cbranch_vccnz .LBB142_47
; %bb.46:
	v_add_co_u32 v4, vcc_lo, v72, v2
	v_add_co_ci_u32_e32 v5, vcc_lo, v73, v3, vcc_lo
	flat_load_b64 v[4:5], v[4:5]
	s_waitcnt vmcnt(0) lgkmcnt(0)
	v_mul_f64 v[4:5], v[4:5], s[6:7]
.LBB142_47:
	scratch_load_b64 v[10:11], off, off offset:16
	s_waitcnt vmcnt(1)
	v_add_f64 v[12:13], v[6:7], v[4:5]
	v_add_nc_u32_e32 v4, 8, v16
	v_mov_b32_e32 v8, 0
	v_mov_b32_e32 v9, 0
	v_add_co_u32 v14, vcc_lo, v74, v2
	s_delay_alu instid0(VALU_DEP_4) | instskip(SKIP_3) | instid1(VALU_DEP_4)
	v_ashrrev_i32_e32 v5, 31, v4
	v_mov_b32_e32 v6, 0
	v_mov_b32_e32 v7, 0
	v_add_co_ci_u32_e32 v15, vcc_lo, v75, v3, vcc_lo
	v_lshlrev_b64 v[4:5], 3, v[4:5]
	s_and_b32 vcc_lo, exec_lo, s0
	global_store_b64 v[14:15], v[12:13], off
	s_cbranch_vccnz .LBB142_49
; %bb.48:
	v_add_co_u32 v6, vcc_lo, v72, v4
	v_add_co_ci_u32_e32 v7, vcc_lo, v73, v5, vcc_lo
	flat_load_b64 v[6:7], v[6:7]
	s_waitcnt vmcnt(0) lgkmcnt(0)
	v_mul_f64 v[6:7], v[6:7], s[6:7]
.LBB142_49:
	scratch_load_b64 v[12:13], off, off offset:24
	s_waitcnt vmcnt(1)
	v_add_f64 v[10:11], v[10:11], v[6:7]
	v_add_nc_u32_e32 v6, 12, v16
	v_add_co_u32 v14, vcc_lo, v74, v4
	v_add_co_ci_u32_e32 v15, vcc_lo, v75, v5, vcc_lo
	s_delay_alu instid0(VALU_DEP_3) | instskip(SKIP_1) | instid1(VALU_DEP_1)
	v_ashrrev_i32_e32 v7, 31, v6
	s_and_b32 vcc_lo, exec_lo, s0
	v_lshlrev_b64 v[6:7], 3, v[6:7]
	global_store_b64 v[14:15], v[10:11], off
	s_cbranch_vccnz .LBB142_51
; %bb.50:
	v_add_co_u32 v8, vcc_lo, v72, v6
	v_add_co_ci_u32_e32 v9, vcc_lo, v73, v7, vcc_lo
	flat_load_b64 v[8:9], v[8:9]
	s_waitcnt vmcnt(0) lgkmcnt(0)
	v_mul_f64 v[8:9], v[8:9], s[6:7]
.LBB142_51:
	scratch_load_b64 v[10:11], off, off offset:32
	s_waitcnt vmcnt(1)
	v_add_f64 v[17:18], v[12:13], v[8:9]
	v_add_nc_u32_e32 v8, 16, v16
	v_mov_b32_e32 v12, 0
	v_mov_b32_e32 v13, 0
	v_add_co_u32 v19, vcc_lo, v74, v6
	s_delay_alu instid0(VALU_DEP_4) | instskip(SKIP_3) | instid1(VALU_DEP_4)
	v_ashrrev_i32_e32 v9, 31, v8
	v_mov_b32_e32 v14, 0
	v_mov_b32_e32 v15, 0
	v_add_co_ci_u32_e32 v20, vcc_lo, v75, v7, vcc_lo
	v_lshlrev_b64 v[8:9], 3, v[8:9]
	s_and_b32 vcc_lo, exec_lo, s0
	global_store_b64 v[19:20], v[17:18], off
	s_cbranch_vccnz .LBB142_53
; %bb.52:
	v_add_co_u32 v14, vcc_lo, v72, v8
	v_add_co_ci_u32_e32 v15, vcc_lo, v73, v9, vcc_lo
	flat_load_b64 v[14:15], v[14:15]
	s_waitcnt vmcnt(0) lgkmcnt(0)
	v_mul_f64 v[14:15], v[14:15], s[6:7]
.LBB142_53:
	scratch_load_b64 v[17:18], off, off offset:40
	s_waitcnt vmcnt(1)
	v_add_f64 v[14:15], v[10:11], v[14:15]
	v_add_nc_u32_e32 v10, 20, v16
	v_add_co_u32 v19, vcc_lo, v74, v8
	v_add_co_ci_u32_e32 v20, vcc_lo, v75, v9, vcc_lo
	s_delay_alu instid0(VALU_DEP_3) | instskip(SKIP_1) | instid1(VALU_DEP_1)
	v_ashrrev_i32_e32 v11, 31, v10
	s_and_b32 vcc_lo, exec_lo, s0
	v_lshlrev_b64 v[10:11], 3, v[10:11]
	global_store_b64 v[19:20], v[14:15], off
	s_cbranch_vccnz .LBB142_55
; %bb.54:
	v_add_co_u32 v12, vcc_lo, v72, v10
	v_add_co_ci_u32_e32 v13, vcc_lo, v73, v11, vcc_lo
	flat_load_b64 v[12:13], v[12:13]
	s_waitcnt vmcnt(0) lgkmcnt(0)
	v_mul_f64 v[12:13], v[12:13], s[6:7]
.LBB142_55:
	scratch_load_b64 v[14:15], off, off offset:48
	s_waitcnt vmcnt(1)
	v_add_f64 v[21:22], v[17:18], v[12:13]
	v_dual_mov_b32 v17, 0 :: v_dual_add_nc_u32 v12, 24, v16
	v_add_co_u32 v23, vcc_lo, v74, v10
	v_dual_mov_b32 v18, 0 :: v_dual_mov_b32 v19, 0
	s_delay_alu instid0(VALU_DEP_3) | instskip(SKIP_3) | instid1(VALU_DEP_3)
	v_ashrrev_i32_e32 v13, 31, v12
	v_add_co_ci_u32_e32 v24, vcc_lo, v75, v11, vcc_lo
	v_mov_b32_e32 v20, 0
	s_and_b32 vcc_lo, exec_lo, s0
	v_lshlrev_b64 v[12:13], 3, v[12:13]
	global_store_b64 v[23:24], v[21:22], off
	s_cbranch_vccnz .LBB142_57
; %bb.56:
	v_add_co_u32 v19, vcc_lo, v72, v12
	v_add_co_ci_u32_e32 v20, vcc_lo, v73, v13, vcc_lo
	flat_load_b64 v[19:20], v[19:20]
	s_waitcnt vmcnt(0) lgkmcnt(0)
	v_mul_f64 v[19:20], v[19:20], s[6:7]
.LBB142_57:
	scratch_load_b64 v[21:22], off, off offset:56
	s_waitcnt vmcnt(1)
	v_add_f64 v[19:20], v[14:15], v[19:20]
	v_add_nc_u32_e32 v14, 28, v16
	v_add_co_u32 v23, vcc_lo, v74, v12
	v_add_co_ci_u32_e32 v24, vcc_lo, v75, v13, vcc_lo
	s_delay_alu instid0(VALU_DEP_3) | instskip(SKIP_1) | instid1(VALU_DEP_1)
	v_ashrrev_i32_e32 v15, 31, v14
	s_and_b32 vcc_lo, exec_lo, s0
	v_lshlrev_b64 v[14:15], 3, v[14:15]
	global_store_b64 v[23:24], v[19:20], off
	s_cbranch_vccnz .LBB142_59
; %bb.58:
	v_add_co_u32 v17, vcc_lo, v72, v14
	v_add_co_ci_u32_e32 v18, vcc_lo, v73, v15, vcc_lo
	flat_load_b64 v[17:18], v[17:18]
	s_waitcnt vmcnt(0) lgkmcnt(0)
	v_mul_f64 v[17:18], v[17:18], s[6:7]
.LBB142_59:
	scratch_load_b64 v[19:20], off, off offset:64
	s_waitcnt vmcnt(1)
	v_add_f64 v[25:26], v[21:22], v[17:18]
	v_add_nc_u32_e32 v17, 32, v16
	v_mov_b32_e32 v21, 0
	v_mov_b32_e32 v22, 0
	v_add_co_u32 v27, vcc_lo, v74, v14
	s_delay_alu instid0(VALU_DEP_4) | instskip(SKIP_3) | instid1(VALU_DEP_4)
	v_ashrrev_i32_e32 v18, 31, v17
	v_mov_b32_e32 v23, 0
	v_mov_b32_e32 v24, 0
	v_add_co_ci_u32_e32 v28, vcc_lo, v75, v15, vcc_lo
	v_lshlrev_b64 v[17:18], 3, v[17:18]
	s_and_b32 vcc_lo, exec_lo, s0
	global_store_b64 v[27:28], v[25:26], off
	s_cbranch_vccnz .LBB142_61
; %bb.60:
	v_add_co_u32 v23, vcc_lo, v72, v17
	v_add_co_ci_u32_e32 v24, vcc_lo, v73, v18, vcc_lo
	flat_load_b64 v[23:24], v[23:24]
	s_waitcnt vmcnt(0) lgkmcnt(0)
	v_mul_f64 v[23:24], v[23:24], s[6:7]
.LBB142_61:
	scratch_load_b64 v[25:26], off, off offset:72
	s_waitcnt vmcnt(1)
	v_add_f64 v[23:24], v[19:20], v[23:24]
	v_add_nc_u32_e32 v19, 36, v16
	v_add_co_u32 v27, vcc_lo, v74, v17
	v_add_co_ci_u32_e32 v28, vcc_lo, v75, v18, vcc_lo
	s_delay_alu instid0(VALU_DEP_3) | instskip(SKIP_1) | instid1(VALU_DEP_1)
	v_ashrrev_i32_e32 v20, 31, v19
	s_and_b32 vcc_lo, exec_lo, s0
	v_lshlrev_b64 v[19:20], 3, v[19:20]
	global_store_b64 v[27:28], v[23:24], off
	s_cbranch_vccnz .LBB142_63
; %bb.62:
	v_add_co_u32 v21, vcc_lo, v72, v19
	v_add_co_ci_u32_e32 v22, vcc_lo, v73, v20, vcc_lo
	flat_load_b64 v[21:22], v[21:22]
	s_waitcnt vmcnt(0) lgkmcnt(0)
	v_mul_f64 v[21:22], v[21:22], s[6:7]
.LBB142_63:
	scratch_load_b64 v[23:24], off, off offset:80
	s_waitcnt vmcnt(1)
	v_add_f64 v[29:30], v[25:26], v[21:22]
	v_add_nc_u32_e32 v21, 40, v16
	v_mov_b32_e32 v25, 0
	v_mov_b32_e32 v26, 0
	v_add_co_u32 v31, vcc_lo, v74, v19
	s_delay_alu instid0(VALU_DEP_4) | instskip(SKIP_3) | instid1(VALU_DEP_4)
	v_ashrrev_i32_e32 v22, 31, v21
	v_mov_b32_e32 v27, 0
	v_mov_b32_e32 v28, 0
	v_add_co_ci_u32_e32 v32, vcc_lo, v75, v20, vcc_lo
	v_lshlrev_b64 v[21:22], 3, v[21:22]
	s_and_b32 vcc_lo, exec_lo, s0
	;; [unrolled: 42-line block ×12, first 2 shown]
	global_store_b64 v[76:77], v[67:68], off
	s_cbranch_vccnz .LBB142_105
; %bb.104:
	v_add_co_u32 v67, vcc_lo, v72, v61
	v_add_co_ci_u32_e32 v68, vcc_lo, v73, v62, vcc_lo
	flat_load_b64 v[67:68], v[67:68]
	s_waitcnt vmcnt(0) lgkmcnt(0)
	v_mul_f64 v[69:70], v[67:68], s[6:7]
.LBB142_105:
	scratch_load_b64 v[67:68], off, off offset:248
	s_waitcnt vmcnt(1)
	v_add_f64 v[69:70], v[63:64], v[69:70]
	v_add_nc_u32_e32 v63, 0x7c, v16
	v_add_co_u32 v76, vcc_lo, v74, v61
	v_add_co_ci_u32_e32 v77, vcc_lo, v75, v62, vcc_lo
	s_delay_alu instid0(VALU_DEP_3) | instskip(SKIP_1) | instid1(VALU_DEP_1)
	v_ashrrev_i32_e32 v64, 31, v63
	s_and_b32 vcc_lo, exec_lo, s0
	v_lshlrev_b64 v[63:64], 3, v[63:64]
	global_store_b64 v[76:77], v[69:70], off
	s_cbranch_vccnz .LBB142_107
; %bb.106:
	v_add_co_u32 v65, vcc_lo, v72, v63
	v_add_co_ci_u32_e32 v66, vcc_lo, v73, v64, vcc_lo
	flat_load_b64 v[65:66], v[65:66]
	s_waitcnt vmcnt(0) lgkmcnt(0)
	v_mul_f64 v[65:66], v[65:66], s[6:7]
.LBB142_107:
	scratch_load_b64 v[69:70], off, off offset:256
	s_waitcnt vmcnt(1)
	v_add_f64 v[67:68], v[67:68], v[65:66]
	v_add_nc_u32_e32 v76, 64, v71
	v_add_co_u32 v74, vcc_lo, v74, v63
	v_add_co_ci_u32_e32 v75, vcc_lo, v75, v64, vcc_lo
	s_delay_alu instid0(VALU_DEP_3) | instskip(SKIP_2) | instid1(VALU_DEP_3)
	v_mad_i64_i32 v[65:66], null, v76, s3, 0
	v_mov_b32_e32 v71, 0
	v_mov_b32_e32 v72, 0
	v_lshlrev_b64 v[77:78], 3, v[65:66]
	v_mov_b32_e32 v65, 0
	v_mov_b32_e32 v66, 0
	s_delay_alu instid0(VALU_DEP_3) | instskip(NEXT) | instid1(VALU_DEP_4)
	v_add_co_u32 v16, vcc_lo, s4, v77
	v_add_co_ci_u32_e32 v73, vcc_lo, s5, v78, vcc_lo
	s_mov_b32 vcc_lo, s2
	global_store_b64 v[74:75], v[67:68], off
	s_cbranch_vccz .LBB142_109
; %bb.108:
	v_add_co_u32 v67, vcc_lo, v16, v0
	v_add_co_ci_u32_e32 v68, vcc_lo, v73, v1, vcc_lo
	flat_load_b64 v[67:68], v[67:68]
	s_waitcnt vmcnt(0) lgkmcnt(0)
	v_mul_f64 v[71:72], v[67:68], s[6:7]
.LBB142_109:
	scratch_load_b64 v[67:68], off, off offset:264
	s_waitcnt vmcnt(1)
	v_add_f64 v[69:70], v[69:70], v[71:72]
	v_mad_i64_i32 v[71:72], null, v76, s10, 0
	s_delay_alu instid0(VALU_DEP_1) | instskip(NEXT) | instid1(VALU_DEP_1)
	v_lshlrev_b64 v[71:72], 3, v[71:72]
	v_add_co_u32 v71, vcc_lo, s1, v71
	s_delay_alu instid0(VALU_DEP_2) | instskip(NEXT) | instid1(VALU_DEP_2)
	v_add_co_ci_u32_e32 v72, vcc_lo, s8, v72, vcc_lo
	v_add_co_u32 v0, vcc_lo, v71, v0
	s_delay_alu instid0(VALU_DEP_2)
	v_add_co_ci_u32_e32 v1, vcc_lo, v72, v1, vcc_lo
	s_and_b32 vcc_lo, exec_lo, s0
	global_store_b64 v[0:1], v[69:70], off
	s_cbranch_vccnz .LBB142_111
; %bb.110:
	v_add_co_u32 v0, vcc_lo, v16, v2
	v_add_co_ci_u32_e32 v1, vcc_lo, v73, v3, vcc_lo
	flat_load_b64 v[0:1], v[0:1]
	s_waitcnt vmcnt(0) lgkmcnt(0)
	v_mul_f64 v[65:66], v[0:1], s[6:7]
.LBB142_111:
	scratch_load_b64 v[69:70], off, off offset:272
	s_waitcnt vmcnt(1)
	v_add_f64 v[65:66], v[67:68], v[65:66]
	v_add_co_u32 v67, vcc_lo, v71, v2
	v_mov_b32_e32 v0, 0
	v_add_co_ci_u32_e32 v68, vcc_lo, v72, v3, vcc_lo
	v_dual_mov_b32 v1, 0 :: v_dual_mov_b32 v2, 0
	v_mov_b32_e32 v3, 0
	s_and_b32 vcc_lo, exec_lo, s0
	global_store_b64 v[67:68], v[65:66], off
	s_cbranch_vccnz .LBB142_113
; %bb.112:
	v_add_co_u32 v2, vcc_lo, v16, v4
	v_add_co_ci_u32_e32 v3, vcc_lo, v73, v5, vcc_lo
	flat_load_b64 v[2:3], v[2:3]
	s_waitcnt vmcnt(0) lgkmcnt(0)
	v_mul_f64 v[2:3], v[2:3], s[6:7]
.LBB142_113:
	scratch_load_b64 v[65:66], off, off offset:280
	s_waitcnt vmcnt(1)
	v_add_f64 v[2:3], v[69:70], v[2:3]
	v_add_co_u32 v4, vcc_lo, v71, v4
	v_add_co_ci_u32_e32 v5, vcc_lo, v72, v5, vcc_lo
	s_and_b32 vcc_lo, exec_lo, s0
	global_store_b64 v[4:5], v[2:3], off
	s_cbranch_vccnz .LBB142_115
; %bb.114:
	v_add_co_u32 v0, vcc_lo, v16, v6
	v_add_co_ci_u32_e32 v1, vcc_lo, v73, v7, vcc_lo
	flat_load_b64 v[0:1], v[0:1]
	s_waitcnt vmcnt(0) lgkmcnt(0)
	v_mul_f64 v[0:1], v[0:1], s[6:7]
.LBB142_115:
	scratch_load_b64 v[2:3], off, off offset:288
	s_waitcnt vmcnt(1)
	v_add_f64 v[4:5], v[65:66], v[0:1]
	v_add_co_u32 v65, vcc_lo, v71, v6
	v_mov_b32_e32 v0, 0
	v_add_co_ci_u32_e32 v66, vcc_lo, v72, v7, vcc_lo
	v_dual_mov_b32 v1, 0 :: v_dual_mov_b32 v6, 0
	v_mov_b32_e32 v7, 0
	s_and_b32 vcc_lo, exec_lo, s0
	global_store_b64 v[65:66], v[4:5], off
	s_cbranch_vccnz .LBB142_117
; %bb.116:
	v_add_co_u32 v4, vcc_lo, v16, v8
	v_add_co_ci_u32_e32 v5, vcc_lo, v73, v9, vcc_lo
	flat_load_b64 v[4:5], v[4:5]
	s_waitcnt vmcnt(0) lgkmcnt(0)
	v_mul_f64 v[6:7], v[4:5], s[6:7]
.LBB142_117:
	scratch_load_b64 v[4:5], off, off offset:296
	s_waitcnt vmcnt(1)
	v_add_f64 v[2:3], v[2:3], v[6:7]
	v_add_co_u32 v6, vcc_lo, v71, v8
	v_add_co_ci_u32_e32 v7, vcc_lo, v72, v9, vcc_lo
	s_and_b32 vcc_lo, exec_lo, s0
	global_store_b64 v[6:7], v[2:3], off
	s_cbranch_vccnz .LBB142_119
; %bb.118:
	v_add_co_u32 v0, vcc_lo, v16, v10
	v_add_co_ci_u32_e32 v1, vcc_lo, v73, v11, vcc_lo
	flat_load_b64 v[0:1], v[0:1]
	s_waitcnt vmcnt(0) lgkmcnt(0)
	v_mul_f64 v[0:1], v[0:1], s[6:7]
.LBB142_119:
	scratch_load_b64 v[2:3], off, off offset:304
	s_waitcnt vmcnt(1)
	v_add_f64 v[4:5], v[4:5], v[0:1]
	v_add_co_u32 v8, vcc_lo, v71, v10
	v_mov_b32_e32 v0, 0
	v_dual_mov_b32 v1, 0 :: v_dual_mov_b32 v6, 0
	v_add_co_ci_u32_e32 v9, vcc_lo, v72, v11, vcc_lo
	v_mov_b32_e32 v7, 0
	s_and_b32 vcc_lo, exec_lo, s0
	global_store_b64 v[8:9], v[4:5], off
	s_cbranch_vccnz .LBB142_121
; %bb.120:
	v_add_co_u32 v4, vcc_lo, v16, v12
	v_add_co_ci_u32_e32 v5, vcc_lo, v73, v13, vcc_lo
	flat_load_b64 v[4:5], v[4:5]
	s_waitcnt vmcnt(0) lgkmcnt(0)
	v_mul_f64 v[6:7], v[4:5], s[6:7]
.LBB142_121:
	scratch_load_b64 v[4:5], off, off offset:312
	s_waitcnt vmcnt(1)
	v_add_f64 v[2:3], v[2:3], v[6:7]
	v_add_co_u32 v6, vcc_lo, v71, v12
	v_add_co_ci_u32_e32 v7, vcc_lo, v72, v13, vcc_lo
	s_and_b32 vcc_lo, exec_lo, s0
	global_store_b64 v[6:7], v[2:3], off
	s_cbranch_vccnz .LBB142_123
; %bb.122:
	v_add_co_u32 v0, vcc_lo, v16, v14
	v_add_co_ci_u32_e32 v1, vcc_lo, v73, v15, vcc_lo
	flat_load_b64 v[0:1], v[0:1]
	s_waitcnt vmcnt(0) lgkmcnt(0)
	v_mul_f64 v[0:1], v[0:1], s[6:7]
.LBB142_123:
	scratch_load_b64 v[2:3], off, off offset:320
	s_waitcnt vmcnt(1)
	v_add_f64 v[4:5], v[4:5], v[0:1]
	v_add_co_u32 v8, vcc_lo, v71, v14
	v_mov_b32_e32 v0, 0
	v_dual_mov_b32 v1, 0 :: v_dual_mov_b32 v6, 0
	v_add_co_ci_u32_e32 v9, vcc_lo, v72, v15, vcc_lo
	;; [unrolled: 33-line block ×13, first 2 shown]
	v_mov_b32_e32 v7, 0
	s_and_b32 vcc_lo, exec_lo, s0
	global_store_b64 v[8:9], v[4:5], off
	s_cbranch_vccnz .LBB142_169
; %bb.168:
	v_add_co_u32 v4, vcc_lo, v16, v61
	v_add_co_ci_u32_e32 v5, vcc_lo, v73, v62, vcc_lo
	flat_load_b64 v[4:5], v[4:5]
	s_waitcnt vmcnt(0) lgkmcnt(0)
	v_mul_f64 v[6:7], v[4:5], s[6:7]
.LBB142_169:
	scratch_load_b64 v[4:5], off, off offset:504
	s_waitcnt vmcnt(1)
	v_add_f64 v[2:3], v[2:3], v[6:7]
	v_add_co_u32 v6, vcc_lo, v71, v61
	v_add_co_ci_u32_e32 v7, vcc_lo, v72, v62, vcc_lo
	s_and_b32 vcc_lo, exec_lo, s0
	global_store_b64 v[6:7], v[2:3], off
	s_cbranch_vccnz .LBB142_171
; %bb.170:
	v_add_co_u32 v0, vcc_lo, v16, v63
	v_add_co_ci_u32_e32 v1, vcc_lo, v73, v64, vcc_lo
	flat_load_b64 v[0:1], v[0:1]
	s_waitcnt vmcnt(0) lgkmcnt(0)
	v_mul_f64 v[0:1], v[0:1], s[6:7]
.LBB142_171:
	s_waitcnt vmcnt(0)
	s_delay_alu instid0(VALU_DEP_1)
	v_add_f64 v[0:1], v[4:5], v[0:1]
	v_add_co_u32 v2, vcc_lo, v71, v63
	v_add_co_ci_u32_e32 v3, vcc_lo, v72, v64, vcc_lo
	global_store_b64 v[2:3], v[0:1], off
	s_endpgm
	.section	.rodata,"a",@progbits
	.p2align	6, 0x0
	.amdhsa_kernel _ZN12_GLOBAL__N_120geam_min_plus_kernelIdddLi4ELi64ELi128ELi128ELi4ELi64ELi4ELi64ELi4ELc78ELc84ELb1ELb0ELb0EdKPKdKPdEEviiiT16_PT17_ilS8_ilS6_S8_ilPT18_ili26rocblas_geam_ex_operation_
		.amdhsa_group_segment_fixed_size 16384
		.amdhsa_private_segment_fixed_size 528
		.amdhsa_kernarg_size 136
		.amdhsa_user_sgpr_count 14
		.amdhsa_user_sgpr_dispatch_ptr 0
		.amdhsa_user_sgpr_queue_ptr 0
		.amdhsa_user_sgpr_kernarg_segment_ptr 1
		.amdhsa_user_sgpr_dispatch_id 0
		.amdhsa_user_sgpr_private_segment_size 0
		.amdhsa_wavefront_size32 1
		.amdhsa_uses_dynamic_stack 0
		.amdhsa_enable_private_segment 1
		.amdhsa_system_sgpr_workgroup_id_x 1
		.amdhsa_system_sgpr_workgroup_id_y 0
		.amdhsa_system_sgpr_workgroup_id_z 1
		.amdhsa_system_sgpr_workgroup_info 0
		.amdhsa_system_vgpr_workitem_id 1
		.amdhsa_next_free_vgpr 252
		.amdhsa_next_free_sgpr 23
		.amdhsa_reserve_vcc 1
		.amdhsa_float_round_mode_32 0
		.amdhsa_float_round_mode_16_64 0
		.amdhsa_float_denorm_mode_32 3
		.amdhsa_float_denorm_mode_16_64 3
		.amdhsa_dx10_clamp 1
		.amdhsa_ieee_mode 1
		.amdhsa_fp16_overflow 0
		.amdhsa_workgroup_processor_mode 1
		.amdhsa_memory_ordered 1
		.amdhsa_forward_progress 0
		.amdhsa_shared_vgpr_count 0
		.amdhsa_exception_fp_ieee_invalid_op 0
		.amdhsa_exception_fp_denorm_src 0
		.amdhsa_exception_fp_ieee_div_zero 0
		.amdhsa_exception_fp_ieee_overflow 0
		.amdhsa_exception_fp_ieee_underflow 0
		.amdhsa_exception_fp_ieee_inexact 0
		.amdhsa_exception_int_div_zero 0
	.end_amdhsa_kernel
	.section	.text._ZN12_GLOBAL__N_120geam_min_plus_kernelIdddLi4ELi64ELi128ELi128ELi4ELi64ELi4ELi64ELi4ELc78ELc84ELb1ELb0ELb0EdKPKdKPdEEviiiT16_PT17_ilS8_ilS6_S8_ilPT18_ili26rocblas_geam_ex_operation_,"axG",@progbits,_ZN12_GLOBAL__N_120geam_min_plus_kernelIdddLi4ELi64ELi128ELi128ELi4ELi64ELi4ELi64ELi4ELc78ELc84ELb1ELb0ELb0EdKPKdKPdEEviiiT16_PT17_ilS8_ilS6_S8_ilPT18_ili26rocblas_geam_ex_operation_,comdat
.Lfunc_end142:
	.size	_ZN12_GLOBAL__N_120geam_min_plus_kernelIdddLi4ELi64ELi128ELi128ELi4ELi64ELi4ELi64ELi4ELc78ELc84ELb1ELb0ELb0EdKPKdKPdEEviiiT16_PT17_ilS8_ilS6_S8_ilPT18_ili26rocblas_geam_ex_operation_, .Lfunc_end142-_ZN12_GLOBAL__N_120geam_min_plus_kernelIdddLi4ELi64ELi128ELi128ELi4ELi64ELi4ELi64ELi4ELc78ELc84ELb1ELb0ELb0EdKPKdKPdEEviiiT16_PT17_ilS8_ilS6_S8_ilPT18_ili26rocblas_geam_ex_operation_
                                        ; -- End function
	.section	.AMDGPU.csdata,"",@progbits
; Kernel info:
; codeLenInByte = 42936
; NumSgprs: 25
; NumVgprs: 252
; ScratchSize: 528
; MemoryBound: 1
; FloatMode: 240
; IeeeMode: 1
; LDSByteSize: 16384 bytes/workgroup (compile time only)
; SGPRBlocks: 3
; VGPRBlocks: 31
; NumSGPRsForWavesPerEU: 25
; NumVGPRsForWavesPerEU: 252
; Occupancy: 5
; WaveLimiterHint : 1
; COMPUTE_PGM_RSRC2:SCRATCH_EN: 1
; COMPUTE_PGM_RSRC2:USER_SGPR: 14
; COMPUTE_PGM_RSRC2:TRAP_HANDLER: 0
; COMPUTE_PGM_RSRC2:TGID_X_EN: 1
; COMPUTE_PGM_RSRC2:TGID_Y_EN: 0
; COMPUTE_PGM_RSRC2:TGID_Z_EN: 1
; COMPUTE_PGM_RSRC2:TIDIG_COMP_CNT: 1
	.section	.text._ZN12_GLOBAL__N_120geam_min_plus_kernelIdddLi4ELi64ELi128ELi128ELi4ELi64ELi4ELi64ELi4ELc78ELc84ELb0ELb0ELb0EdKPKdKPdEEviiiT16_PT17_ilS8_ilS6_S8_ilPT18_ili26rocblas_geam_ex_operation_,"axG",@progbits,_ZN12_GLOBAL__N_120geam_min_plus_kernelIdddLi4ELi64ELi128ELi128ELi4ELi64ELi4ELi64ELi4ELc78ELc84ELb0ELb0ELb0EdKPKdKPdEEviiiT16_PT17_ilS8_ilS6_S8_ilPT18_ili26rocblas_geam_ex_operation_,comdat
	.globl	_ZN12_GLOBAL__N_120geam_min_plus_kernelIdddLi4ELi64ELi128ELi128ELi4ELi64ELi4ELi64ELi4ELc78ELc84ELb0ELb0ELb0EdKPKdKPdEEviiiT16_PT17_ilS8_ilS6_S8_ilPT18_ili26rocblas_geam_ex_operation_ ; -- Begin function _ZN12_GLOBAL__N_120geam_min_plus_kernelIdddLi4ELi64ELi128ELi128ELi4ELi64ELi4ELi64ELi4ELc78ELc84ELb0ELb0ELb0EdKPKdKPdEEviiiT16_PT17_ilS8_ilS6_S8_ilPT18_ili26rocblas_geam_ex_operation_
	.p2align	8
	.type	_ZN12_GLOBAL__N_120geam_min_plus_kernelIdddLi4ELi64ELi128ELi128ELi4ELi64ELi4ELi64ELi4ELc78ELc84ELb0ELb0ELb0EdKPKdKPdEEviiiT16_PT17_ilS8_ilS6_S8_ilPT18_ili26rocblas_geam_ex_operation_,@function
_ZN12_GLOBAL__N_120geam_min_plus_kernelIdddLi4ELi64ELi128ELi128ELi4ELi64ELi4ELi64ELi4ELc78ELc84ELb0ELb0ELb0EdKPKdKPdEEviiiT16_PT17_ilS8_ilS6_S8_ilPT18_ili26rocblas_geam_ex_operation_: ; @_ZN12_GLOBAL__N_120geam_min_plus_kernelIdddLi4ELi64ELi128ELi128ELi4ELi64ELi4ELi64ELi4ELc78ELc84ELb0ELb0ELb0EdKPKdKPdEEviiiT16_PT17_ilS8_ilS6_S8_ilPT18_ili26rocblas_geam_ex_operation_
; %bb.0:
	s_clause 0x1
	s_load_b128 s[8:11], s[0:1], 0x10
	s_load_b128 s[16:19], s[0:1], 0x28
	s_mov_b32 s2, s15
	s_mov_b64 s[12:13], 0
	s_waitcnt lgkmcnt(0)
	v_cmp_eq_f64_e64 s15, s[8:9], 0
	s_delay_alu instid0(VALU_DEP_1)
	s_and_b32 vcc_lo, exec_lo, s15
	s_cbranch_vccnz .LBB143_2
; %bb.1:
	s_mov_b32 s3, 0
	s_delay_alu instid0(SALU_CYCLE_1) | instskip(NEXT) | instid1(SALU_CYCLE_1)
	s_lshl_b64 s[4:5], s[2:3], 3
	s_add_u32 s4, s10, s4
	s_addc_u32 s5, s11, s5
	s_lshl_b64 s[6:7], s[16:17], 3
	s_load_b64 s[4:5], s[4:5], 0x0
	s_waitcnt lgkmcnt(0)
	s_add_u32 s12, s4, s6
	s_addc_u32 s13, s5, s7
.LBB143_2:
	s_clause 0x1
	s_load_b128 s[4:7], s[0:1], 0x40
	s_load_b64 s[10:11], s[0:1], 0x50
	s_and_not1_b32 vcc_lo, exec_lo, s15
	s_cbranch_vccnz .LBB143_4
; %bb.3:
	s_mov_b32 s3, 0
	s_mov_b64 s[20:21], 0
	s_cbranch_execz .LBB143_5
	s_branch .LBB143_6
.LBB143_4:
	s_mov_b32 s3, -1
                                        ; implicit-def: $sgpr20_sgpr21
.LBB143_5:
	s_mov_b32 s3, 0
	s_delay_alu instid0(SALU_CYCLE_1) | instskip(NEXT) | instid1(SALU_CYCLE_1)
	s_lshl_b64 s[16:17], s[2:3], 3
	s_add_u32 s16, s18, s16
	s_addc_u32 s17, s19, s17
	s_waitcnt lgkmcnt(0)
	s_lshl_b64 s[4:5], s[4:5], 3
	s_load_b64 s[16:17], s[16:17], 0x0
	s_waitcnt lgkmcnt(0)
	s_add_u32 s20, s16, s4
	s_addc_u32 s21, s17, s5
.LBB143_6:
	s_waitcnt lgkmcnt(0)
	v_cmp_eq_f64_e64 s4, s[6:7], 0
	v_cmp_neq_f64_e64 s25, s[8:9], 0
	s_load_b128 s[16:19], s[0:1], 0x60
	s_delay_alu instid0(VALU_DEP_2)
	s_and_b32 vcc_lo, exec_lo, s4
	s_mov_b64 s[4:5], 0
	s_cbranch_vccnz .LBB143_8
; %bb.7:
	s_lshl_b64 s[4:5], s[2:3], 3
	s_delay_alu instid0(SALU_CYCLE_1)
	s_add_u32 s4, s10, s4
	s_addc_u32 s5, s11, s5
	s_waitcnt lgkmcnt(0)
	s_lshl_b64 s[10:11], s[16:17], 3
	s_load_b64 s[4:5], s[4:5], 0x0
	s_waitcnt lgkmcnt(0)
	s_add_u32 s4, s4, s10
	s_addc_u32 s5, s5, s11
.LBB143_8:
	s_clause 0x1
	s_load_b32 s15, s[0:1], 0x0
	s_load_b32 s22, s[0:1], 0x20
	s_mov_b32 s10, 0
	s_lshl_b64 s[2:3], s[2:3], 3
	s_mov_b32 s11, s10
	v_and_b32_e32 v80, 0x3ff, v0
	v_bfe_u32 v81, v0, 10, 10
	v_dual_mov_b32 v0, s10 :: v_dual_mov_b32 v1, s11
	s_delay_alu instid0(VALU_DEP_2) | instskip(NEXT) | instid1(VALU_DEP_1)
	v_lshl_add_u32 v2, v81, 2, v80
	v_and_b32_e32 v89, 63, v2
	v_lshrrev_b32_e32 v82, 6, v2
	v_cndmask_b32_e64 v2, 0, 1, s25
	s_waitcnt lgkmcnt(0)
	s_ashr_i32 s23, s22, 31
	s_add_u32 s10, s18, s2
	s_addc_u32 s11, s19, s3
	s_add_i32 s2, s15, -1
	s_delay_alu instid0(SALU_CYCLE_1) | instskip(NEXT) | instid1(SALU_CYCLE_1)
	s_ashr_i32 s3, s2, 31
	s_lshr_b32 s3, s3, 25
	s_delay_alu instid0(SALU_CYCLE_1) | instskip(NEXT) | instid1(SALU_CYCLE_1)
	s_add_i32 s2, s2, s3
	s_ashr_i32 s2, s2, 7
	s_delay_alu instid0(SALU_CYCLE_1) | instskip(SKIP_2) | instid1(VALU_DEP_1)
	s_add_i32 s15, s2, 1
	s_not_b32 s2, s2
	v_cvt_f32_u32_e32 v3, s15
	v_rcp_iflag_f32_e32 v3, v3
	s_waitcnt_depctr 0xfff
	v_mul_f32_e32 v3, 0x4f7ffffe, v3
	s_clause 0xd
	scratch_store_b64 off, v[0:1], off
	scratch_store_b64 off, v[0:1], off offset:8
	scratch_store_b64 off, v[0:1], off offset:16
	;; [unrolled: 1-line block ×13, first 2 shown]
	v_cvt_u32_f32_e32 v3, v3
	s_clause 0xe
	scratch_store_b64 off, v[0:1], off offset:112
	scratch_store_b64 off, v[0:1], off offset:120
	;; [unrolled: 1-line block ×15, first 2 shown]
	v_readfirstlane_b32 s3, v3
	s_clause 0x9
	scratch_store_b64 off, v[0:1], off offset:232
	scratch_store_b64 off, v[0:1], off offset:240
	;; [unrolled: 1-line block ×10, first 2 shown]
	s_load_b64 s[10:11], s[10:11], 0x0
	s_mul_i32 s2, s2, s3
	s_clause 0x3
	scratch_store_b64 off, v[0:1], off offset:312
	scratch_store_b64 off, v[0:1], off offset:320
	;; [unrolled: 1-line block ×4, first 2 shown]
	s_mul_hi_u32 s2, s3, s2
	s_clause 0x3
	scratch_store_b64 off, v[0:1], off offset:344
	scratch_store_b64 off, v[0:1], off offset:352
	;; [unrolled: 1-line block ×4, first 2 shown]
	s_add_i32 s3, s3, s2
	s_clause 0x8
	scratch_store_b64 off, v[0:1], off offset:376
	scratch_store_b64 off, v[0:1], off offset:384
	;; [unrolled: 1-line block ×9, first 2 shown]
	s_mul_hi_u32 s2, s14, s3
	s_clause 0x1
	scratch_store_b64 off, v[0:1], off offset:448
	scratch_store_b64 off, v[0:1], off offset:456
	s_mul_i32 s3, s2, s15
	s_add_i32 s16, s2, 1
	s_sub_i32 s3, s14, s3
	scratch_store_b64 off, v[0:1], off offset:464
	s_sub_i32 s17, s3, s15
	s_cmp_ge_u32 s3, s15
	s_clause 0x1
	scratch_store_b64 off, v[0:1], off offset:472
	scratch_store_b64 off, v[0:1], off offset:480
	s_cselect_b32 s2, s16, s2
	s_cselect_b32 s3, s17, s3
	s_add_i32 s16, s2, 1
	s_cmp_ge_u32 s3, s15
	scratch_store_b64 off, v[0:1], off offset:488
	s_cselect_b32 s3, s16, s2
	s_and_not1_b32 vcc_lo, exec_lo, s25
	s_mul_i32 s2, s3, s15
	s_clause 0x1
	scratch_store_b64 off, v[0:1], off offset:496
	scratch_store_b64 off, v[0:1], off offset:504
	s_sub_i32 s2, s14, s2
	s_delay_alu instid0(SALU_CYCLE_1) | instskip(SKIP_2) | instid1(VALU_DEP_1)
	s_lshl_b32 s16, s2, 7
	v_cmp_ne_u32_e64 s2, 1, v2
	v_or_b32_e32 v68, s16, v89
	v_ashrrev_i32_e32 v69, 31, v68
	s_cbranch_vccnz .LBB143_10
; %bb.9:
	v_mad_i64_i32 v[0:1], null, s22, v82, 0
	s_delay_alu instid0(VALU_DEP_2) | instskip(NEXT) | instid1(VALU_DEP_2)
	v_lshlrev_b64 v[2:3], 3, v[68:69]
	v_lshlrev_b64 v[0:1], 3, v[0:1]
	s_delay_alu instid0(VALU_DEP_1) | instskip(NEXT) | instid1(VALU_DEP_2)
	v_add_co_u32 v0, vcc_lo, s12, v0
	v_add_co_ci_u32_e32 v1, vcc_lo, s13, v1, vcc_lo
	s_delay_alu instid0(VALU_DEP_2) | instskip(NEXT) | instid1(VALU_DEP_2)
	v_add_co_u32 v0, vcc_lo, v0, v2
	v_add_co_ci_u32_e32 v1, vcc_lo, v1, v3, vcc_lo
	s_clause 0x1
	flat_load_b64 v[2:3], v[0:1]
	flat_load_b64 v[4:5], v[0:1] offset:512
	s_waitcnt vmcnt(1) lgkmcnt(0)
	v_mul_f64 v[0:1], v[2:3], s[8:9]
	s_waitcnt vmcnt(0)
	v_mul_f64 v[2:3], v[4:5], s[8:9]
	s_branch .LBB143_11
.LBB143_10:
	v_mov_b32_e32 v0, 0
	v_dual_mov_b32 v1, 0 :: v_dual_mov_b32 v2, 0
	v_mov_b32_e32 v3, 0
.LBB143_11:
	s_load_b32 s19, s[0:1], 0x38
	s_lshl_b32 s17, s3, 7
	s_and_b32 vcc_lo, exec_lo, s2
	v_or_b32_e32 v70, s17, v89
	s_delay_alu instid0(VALU_DEP_1)
	v_ashrrev_i32_e32 v71, 31, v70
	s_waitcnt lgkmcnt(0)
	s_ashr_i32 s24, s19, 31
	s_cbranch_vccnz .LBB143_15
; %bb.12:
	v_mad_i64_i32 v[4:5], null, s19, v82, 0
	v_lshlrev_b64 v[6:7], 3, v[70:71]
	s_delay_alu instid0(VALU_DEP_2) | instskip(NEXT) | instid1(VALU_DEP_1)
	v_lshlrev_b64 v[4:5], 3, v[4:5]
	v_add_co_u32 v4, vcc_lo, s20, v4
	s_delay_alu instid0(VALU_DEP_2) | instskip(NEXT) | instid1(VALU_DEP_2)
	v_add_co_ci_u32_e32 v5, vcc_lo, s21, v5, vcc_lo
	v_add_co_u32 v4, vcc_lo, v4, v6
	s_delay_alu instid0(VALU_DEP_2)
	v_add_co_ci_u32_e32 v5, vcc_lo, v5, v7, vcc_lo
	s_clause 0x1
	flat_load_b64 v[6:7], v[4:5]
	flat_load_b64 v[8:9], v[4:5] offset:512
	s_waitcnt vmcnt(1) lgkmcnt(1)
	v_mul_f64 v[4:5], v[6:7], s[8:9]
	s_waitcnt vmcnt(0) lgkmcnt(0)
	v_mul_f64 v[6:7], v[8:9], s[8:9]
	v_add_nc_u32_e32 v83, 4, v82
	s_and_b32 vcc_lo, exec_lo, s2
	s_cbranch_vccnz .LBB143_16
.LBB143_13:
	s_delay_alu instid0(VALU_DEP_1) | instskip(SKIP_1) | instid1(VALU_DEP_2)
	v_mad_i64_i32 v[8:9], null, s22, v83, 0
	v_lshlrev_b64 v[10:11], 3, v[68:69]
	v_lshlrev_b64 v[8:9], 3, v[8:9]
	s_delay_alu instid0(VALU_DEP_1) | instskip(NEXT) | instid1(VALU_DEP_2)
	v_add_co_u32 v8, vcc_lo, s12, v8
	v_add_co_ci_u32_e32 v9, vcc_lo, s13, v9, vcc_lo
	s_delay_alu instid0(VALU_DEP_2) | instskip(NEXT) | instid1(VALU_DEP_2)
	v_add_co_u32 v8, vcc_lo, v8, v10
	v_add_co_ci_u32_e32 v9, vcc_lo, v9, v11, vcc_lo
	s_clause 0x1
	flat_load_b64 v[10:11], v[8:9]
	flat_load_b64 v[8:9], v[8:9] offset:512
	s_waitcnt vmcnt(1) lgkmcnt(1)
	v_mul_f64 v[72:73], v[10:11], s[8:9]
	s_waitcnt vmcnt(0) lgkmcnt(0)
	v_mul_f64 v[74:75], v[8:9], s[8:9]
	s_and_b32 vcc_lo, exec_lo, s2
	s_mov_b64 s[14:15], 0
	s_cbranch_vccnz .LBB143_17
.LBB143_14:
	v_mad_i64_i32 v[8:9], null, s19, v83, 0
	v_lshlrev_b64 v[10:11], 3, v[70:71]
	s_delay_alu instid0(VALU_DEP_2) | instskip(NEXT) | instid1(VALU_DEP_1)
	v_lshlrev_b64 v[8:9], 3, v[8:9]
	v_add_co_u32 v8, vcc_lo, s20, v8
	s_delay_alu instid0(VALU_DEP_2) | instskip(NEXT) | instid1(VALU_DEP_2)
	v_add_co_ci_u32_e32 v9, vcc_lo, s21, v9, vcc_lo
	v_add_co_u32 v8, vcc_lo, v8, v10
	s_delay_alu instid0(VALU_DEP_2)
	v_add_co_ci_u32_e32 v9, vcc_lo, v9, v11, vcc_lo
	s_clause 0x1
	flat_load_b64 v[10:11], v[8:9]
	flat_load_b64 v[8:9], v[8:9] offset:512
	s_waitcnt vmcnt(1) lgkmcnt(1)
	v_mul_f64 v[76:77], v[10:11], s[8:9]
	s_waitcnt vmcnt(0) lgkmcnt(0)
	v_mul_f64 v[78:79], v[8:9], s[8:9]
	s_branch .LBB143_18
.LBB143_15:
	v_mov_b32_e32 v4, 0
	v_dual_mov_b32 v5, 0 :: v_dual_mov_b32 v6, 0
	v_mov_b32_e32 v7, 0
	v_add_nc_u32_e32 v83, 4, v82
	s_and_b32 vcc_lo, exec_lo, s2
	s_cbranch_vccz .LBB143_13
.LBB143_16:
	v_mov_b32_e32 v72, 0
	v_dual_mov_b32 v73, 0 :: v_dual_mov_b32 v74, 0
	v_mov_b32_e32 v75, 0
	s_and_b32 vcc_lo, exec_lo, s2
	s_mov_b64 s[14:15], 0
	s_cbranch_vccz .LBB143_14
.LBB143_17:
	v_mov_b32_e32 v76, 0
	v_dual_mov_b32 v77, 0 :: v_dual_mov_b32 v78, 0
	v_mov_b32_e32 v79, 0
.LBB143_18:
	v_cmp_neq_f64_e64 s18, s[6:7], 0
	v_dual_mov_b32 v91, 8 :: v_dual_lshlrev_b32 v8, 3, v82
	v_dual_mov_b32 v93, 24 :: v_dual_lshlrev_b32 v84, 5, v80
	v_mov_b32_e32 v95, 40
	s_delay_alu instid0(VALU_DEP_3) | instskip(SKIP_1) | instid1(VALU_DEP_4)
	v_lshl_add_u32 v85, v89, 5, v8
	v_dual_mov_b32 v97, 56 :: v_dual_lshlrev_b32 v86, 5, v81
	v_add_nc_u32_e32 v48, 0x800, v84
	v_dual_mov_b32 v90, 0 :: v_dual_mov_b32 v99, 0x48
	ds_store_2addr_stride64_b64 v85, v[0:1], v[2:3] offset1:4
	ds_store_2addr_stride64_b64 v85, v[4:5], v[6:7] offset0:16 offset1:20
	s_waitcnt lgkmcnt(0)
	s_waitcnt_vscnt null, 0x0
	s_barrier
	buffer_gl0_inv
	ds_load_2addr_b64 v[0:3], v84 offset1:16
	ds_load_2addr_b64 v[4:7], v84 offset0:32 offset1:48
	ds_load_2addr_b64 v[8:11], v84 offset0:64 offset1:80
	;; [unrolled: 1-line block ×4, first 2 shown]
	ds_load_2addr_b64 v[20:23], v48 offset1:16
	ds_load_2addr_b64 v[24:27], v48 offset0:32 offset1:48
	ds_load_2addr_b64 v[28:31], v48 offset0:64 offset1:80
	;; [unrolled: 1-line block ×10, first 2 shown]
	ds_load_2addr_stride64_b64 v[64:67], v86 offset0:16 offset1:20
	v_or_b32_e32 v87, 0x2000, v85
	v_add_nc_u32_e32 v88, 0x2000, v86
	v_dual_mov_b32 v92, 16 :: v_dual_mov_b32 v101, 0x58
	v_dual_mov_b32 v94, 32 :: v_dual_mov_b32 v103, 0x68
	;; [unrolled: 1-line block ×4, first 2 shown]
	v_mov_b32_e32 v100, 0x50
	v_mov_b32_e32 v102, 0x60
	;; [unrolled: 1-line block ×18, first 2 shown]
	s_mov_b32 s3, -1
.LBB143_19:                             ; =>This Inner Loop Header: Depth=1
	scratch_load_b64 v[122:123], v90, off
	scratch_load_b64 v[124:125], v91, off
	scratch_load_b64 v[126:127], v92, off
	scratch_load_b64 v[128:129], v93, off
	scratch_load_b64 v[130:131], v94, off
	scratch_load_b64 v[132:133], v95, off
	scratch_load_b64 v[134:135], v96, off
	scratch_load_b64 v[136:137], v97, off
	scratch_load_b64 v[138:139], v98, off
	scratch_load_b64 v[140:141], v99, off
	scratch_load_b64 v[142:143], v100, off
	scratch_load_b64 v[144:145], v101, off
	scratch_load_b64 v[146:147], v102, off
	scratch_load_b64 v[148:149], v103, off
	scratch_load_b64 v[150:151], v104, off
	scratch_load_b64 v[152:153], v105, off
	scratch_load_b64 v[154:155], v106, off
	scratch_load_b64 v[156:157], v107, off
	scratch_load_b64 v[158:159], v108, off
	scratch_load_b64 v[160:161], v109, off
	scratch_load_b64 v[162:163], v110, off
	scratch_load_b64 v[164:165], v111, off
	scratch_load_b64 v[166:167], v112, off
	scratch_load_b64 v[168:169], v113, off
	scratch_load_b64 v[170:171], v114, off
	scratch_load_b64 v[172:173], v115, off
	scratch_load_b64 v[174:175], v116, off
	scratch_load_b64 v[176:177], v117, off
	scratch_load_b64 v[178:179], v118, off
	scratch_load_b64 v[180:181], v119, off
	scratch_load_b64 v[182:183], v120, off
	scratch_load_b64 v[184:185], v121, off
	s_cmp_eq_u32 s14, 1
	s_waitcnt lgkmcnt(16)
	v_max_f64 v[188:189], v[0:1], v[0:1]
	s_cselect_b32 vcc_lo, -1, 0
	v_max_f64 v[190:191], v[2:3], v[2:3]
	s_waitcnt lgkmcnt(0)
	v_dual_cndmask_b32 v187, v65, v67 :: v_dual_cndmask_b32 v186, v64, v66
	v_max_f64 v[192:193], v[4:5], v[4:5]
	v_max_f64 v[194:195], v[6:7], v[6:7]
	;; [unrolled: 1-line block ×31, first 2 shown]
	s_mov_b64 s[14:15], 1
	s_and_b32 vcc_lo, exec_lo, s3
	s_mov_b32 s3, 0
	v_min_f64 v[188:189], v[188:189], v[186:187]
	v_min_f64 v[190:191], v[190:191], v[186:187]
	;; [unrolled: 1-line block ×32, first 2 shown]
	s_waitcnt vmcnt(31)
	v_add_f64 v[122:123], v[122:123], v[188:189]
	s_waitcnt vmcnt(30)
	v_add_f64 v[124:125], v[190:191], v[124:125]
	;; [unrolled: 2-line block ×32, first 2 shown]
	scratch_store_b64 v90, v[122:123], off
	scratch_store_b64 v91, v[124:125], off
	;; [unrolled: 1-line block ×32, first 2 shown]
	v_mov_b32_e32 v90, 0x100
	v_mov_b32_e32 v91, 0x108
	;; [unrolled: 1-line block ×32, first 2 shown]
	s_cbranch_vccnz .LBB143_19
; %bb.20:
	v_dual_mov_b32 v91, 8 :: v_dual_add_nc_u32 v60, 0x800, v84
	ds_load_2addr_b64 v[0:3], v84 offset0:1 offset1:17
	ds_load_2addr_b64 v[4:7], v84 offset0:33 offset1:49
	;; [unrolled: 1-line block ×12, first 2 shown]
	v_dual_mov_b32 v93, 24 :: v_dual_add_nc_u32 v64, 8, v88
	ds_load_2addr_b64 v[48:51], v60 offset0:129 offset1:145
	ds_load_2addr_b64 v[52:55], v60 offset0:161 offset1:177
	;; [unrolled: 1-line block ×4, first 2 shown]
	ds_load_2addr_stride64_b64 v[64:67], v64 offset1:4
	v_dual_mov_b32 v90, 0 :: v_dual_mov_b32 v95, 40
	v_dual_mov_b32 v92, 16 :: v_dual_mov_b32 v97, 56
	v_dual_mov_b32 v94, 32 :: v_dual_mov_b32 v99, 0x48
	v_dual_mov_b32 v96, 48 :: v_dual_mov_b32 v101, 0x58
	v_dual_mov_b32 v98, 64 :: v_dual_mov_b32 v103, 0x68
	v_mov_b32_e32 v100, 0x50
	v_mov_b32_e32 v102, 0x60
	;; [unrolled: 1-line block ×20, first 2 shown]
	s_mov_b64 s[14:15], 0
	s_mov_b32 s3, -1
.LBB143_21:                             ; =>This Inner Loop Header: Depth=1
	scratch_load_b64 v[122:123], v90, off
	scratch_load_b64 v[124:125], v91, off
	;; [unrolled: 1-line block ×32, first 2 shown]
	s_cmp_eq_u32 s14, 1
	s_waitcnt lgkmcnt(16)
	v_max_f64 v[188:189], v[0:1], v[0:1]
	s_cselect_b32 vcc_lo, -1, 0
	v_max_f64 v[190:191], v[2:3], v[2:3]
	s_waitcnt lgkmcnt(0)
	v_dual_cndmask_b32 v187, v65, v67 :: v_dual_cndmask_b32 v186, v64, v66
	v_max_f64 v[192:193], v[4:5], v[4:5]
	v_max_f64 v[194:195], v[6:7], v[6:7]
	;; [unrolled: 1-line block ×31, first 2 shown]
	s_mov_b64 s[14:15], 1
	s_and_b32 vcc_lo, exec_lo, s3
	s_mov_b32 s3, 0
	v_min_f64 v[188:189], v[188:189], v[186:187]
	v_min_f64 v[190:191], v[190:191], v[186:187]
	;; [unrolled: 1-line block ×32, first 2 shown]
	s_waitcnt vmcnt(31)
	v_add_f64 v[122:123], v[122:123], v[188:189]
	s_waitcnt vmcnt(30)
	v_add_f64 v[124:125], v[190:191], v[124:125]
	;; [unrolled: 2-line block ×32, first 2 shown]
	scratch_store_b64 v90, v[122:123], off
	scratch_store_b64 v91, v[124:125], off
	scratch_store_b64 v92, v[126:127], off
	scratch_store_b64 v93, v[128:129], off
	scratch_store_b64 v94, v[130:131], off
	scratch_store_b64 v95, v[132:133], off
	scratch_store_b64 v96, v[134:135], off
	scratch_store_b64 v97, v[136:137], off
	scratch_store_b64 v98, v[138:139], off
	scratch_store_b64 v99, v[140:141], off
	scratch_store_b64 v100, v[142:143], off
	scratch_store_b64 v101, v[144:145], off
	scratch_store_b64 v102, v[146:147], off
	scratch_store_b64 v103, v[148:149], off
	scratch_store_b64 v104, v[150:151], off
	scratch_store_b64 v105, v[152:153], off
	scratch_store_b64 v106, v[154:155], off
	scratch_store_b64 v107, v[156:157], off
	scratch_store_b64 v108, v[158:159], off
	scratch_store_b64 v109, v[160:161], off
	scratch_store_b64 v110, v[162:163], off
	scratch_store_b64 v111, v[164:165], off
	scratch_store_b64 v112, v[166:167], off
	scratch_store_b64 v113, v[168:169], off
	scratch_store_b64 v114, v[170:171], off
	scratch_store_b64 v115, v[172:173], off
	scratch_store_b64 v116, v[174:175], off
	scratch_store_b64 v117, v[176:177], off
	scratch_store_b64 v118, v[178:179], off
	scratch_store_b64 v119, v[180:181], off
	scratch_store_b64 v120, v[182:183], off
	scratch_store_b64 v121, v[184:185], off
	v_mov_b32_e32 v90, 0x100
	v_mov_b32_e32 v91, 0x108
	;; [unrolled: 1-line block ×32, first 2 shown]
	s_cbranch_vccnz .LBB143_21
; %bb.22:
	v_dual_mov_b32 v91, 8 :: v_dual_add_nc_u32 v60, 0x800, v84
	ds_load_2addr_b64 v[0:3], v84 offset0:2 offset1:18
	ds_load_2addr_b64 v[4:7], v84 offset0:34 offset1:50
	;; [unrolled: 1-line block ×12, first 2 shown]
	v_dual_mov_b32 v93, 24 :: v_dual_add_nc_u32 v64, 16, v88
	ds_load_2addr_b64 v[48:51], v60 offset0:130 offset1:146
	ds_load_2addr_b64 v[52:55], v60 offset0:162 offset1:178
	;; [unrolled: 1-line block ×4, first 2 shown]
	ds_load_2addr_stride64_b64 v[64:67], v64 offset1:4
	v_dual_mov_b32 v90, 0 :: v_dual_mov_b32 v95, 40
	v_dual_mov_b32 v92, 16 :: v_dual_mov_b32 v97, 56
	v_dual_mov_b32 v94, 32 :: v_dual_mov_b32 v99, 0x48
	v_dual_mov_b32 v96, 48 :: v_dual_mov_b32 v101, 0x58
	v_dual_mov_b32 v98, 64 :: v_dual_mov_b32 v103, 0x68
	v_mov_b32_e32 v100, 0x50
	v_mov_b32_e32 v102, 0x60
	;; [unrolled: 1-line block ×20, first 2 shown]
	s_mov_b64 s[14:15], 0
	s_mov_b32 s3, -1
.LBB143_23:                             ; =>This Inner Loop Header: Depth=1
	scratch_load_b64 v[122:123], v90, off
	scratch_load_b64 v[124:125], v91, off
	;; [unrolled: 1-line block ×32, first 2 shown]
	s_cmp_eq_u32 s14, 1
	s_waitcnt lgkmcnt(16)
	v_max_f64 v[188:189], v[0:1], v[0:1]
	s_cselect_b32 vcc_lo, -1, 0
	v_max_f64 v[190:191], v[2:3], v[2:3]
	s_waitcnt lgkmcnt(0)
	v_dual_cndmask_b32 v187, v65, v67 :: v_dual_cndmask_b32 v186, v64, v66
	v_max_f64 v[192:193], v[4:5], v[4:5]
	v_max_f64 v[194:195], v[6:7], v[6:7]
	;; [unrolled: 1-line block ×31, first 2 shown]
	s_mov_b64 s[14:15], 1
	s_and_b32 vcc_lo, exec_lo, s3
	s_mov_b32 s3, 0
	v_min_f64 v[188:189], v[188:189], v[186:187]
	v_min_f64 v[190:191], v[190:191], v[186:187]
	;; [unrolled: 1-line block ×32, first 2 shown]
	s_waitcnt vmcnt(31)
	v_add_f64 v[122:123], v[122:123], v[188:189]
	s_waitcnt vmcnt(30)
	v_add_f64 v[124:125], v[190:191], v[124:125]
	;; [unrolled: 2-line block ×32, first 2 shown]
	scratch_store_b64 v90, v[122:123], off
	scratch_store_b64 v91, v[124:125], off
	scratch_store_b64 v92, v[126:127], off
	scratch_store_b64 v93, v[128:129], off
	scratch_store_b64 v94, v[130:131], off
	scratch_store_b64 v95, v[132:133], off
	scratch_store_b64 v96, v[134:135], off
	scratch_store_b64 v97, v[136:137], off
	scratch_store_b64 v98, v[138:139], off
	scratch_store_b64 v99, v[140:141], off
	scratch_store_b64 v100, v[142:143], off
	scratch_store_b64 v101, v[144:145], off
	scratch_store_b64 v102, v[146:147], off
	scratch_store_b64 v103, v[148:149], off
	scratch_store_b64 v104, v[150:151], off
	scratch_store_b64 v105, v[152:153], off
	scratch_store_b64 v106, v[154:155], off
	scratch_store_b64 v107, v[156:157], off
	scratch_store_b64 v108, v[158:159], off
	scratch_store_b64 v109, v[160:161], off
	scratch_store_b64 v110, v[162:163], off
	scratch_store_b64 v111, v[164:165], off
	scratch_store_b64 v112, v[166:167], off
	scratch_store_b64 v113, v[168:169], off
	scratch_store_b64 v114, v[170:171], off
	scratch_store_b64 v115, v[172:173], off
	scratch_store_b64 v116, v[174:175], off
	scratch_store_b64 v117, v[176:177], off
	scratch_store_b64 v118, v[178:179], off
	scratch_store_b64 v119, v[180:181], off
	scratch_store_b64 v120, v[182:183], off
	scratch_store_b64 v121, v[184:185], off
	v_mov_b32_e32 v90, 0x100
	v_mov_b32_e32 v91, 0x108
	;; [unrolled: 1-line block ×32, first 2 shown]
	s_cbranch_vccnz .LBB143_23
; %bb.24:
	v_dual_mov_b32 v91, 8 :: v_dual_add_nc_u32 v60, 0x800, v84
	ds_load_2addr_b64 v[0:3], v84 offset0:3 offset1:19
	ds_load_2addr_b64 v[4:7], v84 offset0:35 offset1:51
	;; [unrolled: 1-line block ×12, first 2 shown]
	v_dual_mov_b32 v93, 24 :: v_dual_add_nc_u32 v64, 24, v88
	ds_load_2addr_b64 v[48:51], v60 offset0:131 offset1:147
	ds_load_2addr_b64 v[52:55], v60 offset0:163 offset1:179
	;; [unrolled: 1-line block ×4, first 2 shown]
	ds_load_2addr_stride64_b64 v[64:67], v64 offset1:4
	v_dual_mov_b32 v90, 0 :: v_dual_mov_b32 v95, 40
	v_dual_mov_b32 v92, 16 :: v_dual_mov_b32 v97, 56
	;; [unrolled: 1-line block ×5, first 2 shown]
	v_mov_b32_e32 v100, 0x50
	v_mov_b32_e32 v102, 0x60
	;; [unrolled: 1-line block ×20, first 2 shown]
	s_mov_b64 s[14:15], 0
	s_mov_b32 s3, -1
.LBB143_25:                             ; =>This Inner Loop Header: Depth=1
	scratch_load_b64 v[122:123], v90, off
	scratch_load_b64 v[124:125], v91, off
	scratch_load_b64 v[126:127], v92, off
	scratch_load_b64 v[128:129], v93, off
	scratch_load_b64 v[130:131], v94, off
	scratch_load_b64 v[132:133], v95, off
	scratch_load_b64 v[134:135], v96, off
	scratch_load_b64 v[136:137], v97, off
	scratch_load_b64 v[138:139], v98, off
	scratch_load_b64 v[140:141], v99, off
	scratch_load_b64 v[142:143], v100, off
	scratch_load_b64 v[144:145], v101, off
	scratch_load_b64 v[146:147], v102, off
	scratch_load_b64 v[148:149], v103, off
	scratch_load_b64 v[150:151], v104, off
	scratch_load_b64 v[152:153], v105, off
	scratch_load_b64 v[154:155], v106, off
	scratch_load_b64 v[156:157], v107, off
	scratch_load_b64 v[158:159], v108, off
	scratch_load_b64 v[160:161], v109, off
	scratch_load_b64 v[162:163], v110, off
	scratch_load_b64 v[164:165], v111, off
	scratch_load_b64 v[166:167], v112, off
	scratch_load_b64 v[168:169], v113, off
	scratch_load_b64 v[170:171], v114, off
	scratch_load_b64 v[172:173], v115, off
	scratch_load_b64 v[174:175], v116, off
	scratch_load_b64 v[176:177], v117, off
	scratch_load_b64 v[178:179], v118, off
	scratch_load_b64 v[180:181], v119, off
	scratch_load_b64 v[182:183], v120, off
	scratch_load_b64 v[184:185], v121, off
	s_cmp_eq_u32 s14, 1
	s_waitcnt lgkmcnt(16)
	v_max_f64 v[188:189], v[0:1], v[0:1]
	s_cselect_b32 vcc_lo, -1, 0
	v_max_f64 v[190:191], v[2:3], v[2:3]
	s_waitcnt lgkmcnt(0)
	v_dual_cndmask_b32 v187, v65, v67 :: v_dual_cndmask_b32 v186, v64, v66
	v_max_f64 v[192:193], v[4:5], v[4:5]
	v_max_f64 v[194:195], v[6:7], v[6:7]
	;; [unrolled: 1-line block ×31, first 2 shown]
	s_mov_b64 s[14:15], 1
	s_and_b32 vcc_lo, exec_lo, s3
	s_mov_b32 s3, 0
	v_min_f64 v[188:189], v[188:189], v[186:187]
	v_min_f64 v[190:191], v[190:191], v[186:187]
	;; [unrolled: 1-line block ×32, first 2 shown]
	s_waitcnt vmcnt(31)
	v_add_f64 v[122:123], v[122:123], v[188:189]
	s_waitcnt vmcnt(30)
	v_add_f64 v[124:125], v[190:191], v[124:125]
	;; [unrolled: 2-line block ×32, first 2 shown]
	scratch_store_b64 v90, v[122:123], off
	scratch_store_b64 v91, v[124:125], off
	;; [unrolled: 1-line block ×32, first 2 shown]
	v_mov_b32_e32 v90, 0x100
	v_mov_b32_e32 v91, 0x108
	;; [unrolled: 1-line block ×32, first 2 shown]
	s_cbranch_vccnz .LBB143_25
; %bb.26:
	s_load_b32 s15, s[0:1], 0x8
	v_lshlrev_b32_e32 v0, 5, v89
	s_mov_b32 s14, 8
	s_delay_alu instid0(VALU_DEP_1)
	v_lshl_add_u32 v0, v82, 3, v0
	ds_store_2addr_stride64_b64 v0, v[72:73], v[74:75] offset0:8 offset1:12
	ds_store_2addr_stride64_b64 v0, v[76:77], v[78:79] offset0:24 offset1:28
	s_waitcnt lgkmcnt(0)
	s_waitcnt_vscnt null, 0x0
	s_barrier
	buffer_gl0_inv
	s_cmp_gt_i32 s15, 8
	s_cbranch_scc0 .LBB143_55
; %bb.27:
	v_lshlrev_b64 v[1:2], 3, v[68:69]
	v_lshlrev_b64 v[3:4], 3, v[70:71]
	v_lshl_add_u32 v78, v80, 5, 0x1000
	v_or_b32_e32 v76, 0x1000, v0
	v_or_b32_e32 v77, 0x3000, v0
	v_lshl_add_u32 v79, v81, 5, 0x3000
	v_add_co_u32 v89, vcc_lo, s12, v1
	v_add_co_ci_u32_e32 v90, vcc_lo, s13, v2, vcc_lo
	v_add_co_u32 v91, vcc_lo, s20, v3
	v_add_co_ci_u32_e32 v92, vcc_lo, s21, v4, vcc_lo
	v_add_nc_u32_e32 v93, 0x800, v78
	s_add_i32 s15, s15, -8
	s_mov_b32 s20, 0
	s_and_b32 s3, exec_lo, s25
.LBB143_28:                             ; =>This Loop Header: Depth=1
                                        ;     Child Loop BB143_34 Depth 2
                                        ;     Child Loop BB143_36 Depth 2
	;; [unrolled: 1-line block ×8, first 2 shown]
	v_add_nc_u32_e32 v0, s14, v82
	s_and_b32 vcc_lo, exec_lo, s2
	s_cbranch_vccnz .LBB143_31
; %bb.29:                               ;   in Loop: Header=BB143_28 Depth=1
	s_delay_alu instid0(VALU_DEP_1) | instskip(NEXT) | instid1(VALU_DEP_1)
	v_mad_u64_u32 v[1:2], null, v0, s22, 0
	v_mad_u64_u32 v[3:4], null, v0, s23, v[2:3]
	s_delay_alu instid0(VALU_DEP_1) | instskip(NEXT) | instid1(VALU_DEP_1)
	v_mov_b32_e32 v2, v3
	v_lshlrev_b64 v[1:2], 3, v[1:2]
	s_delay_alu instid0(VALU_DEP_1) | instskip(NEXT) | instid1(VALU_DEP_2)
	v_add_co_u32 v1, vcc_lo, v89, v1
	v_add_co_ci_u32_e32 v2, vcc_lo, v90, v2, vcc_lo
	s_clause 0x1
	flat_load_b64 v[3:4], v[1:2]
	flat_load_b64 v[1:2], v[1:2] offset:512
	s_waitcnt vmcnt(1) lgkmcnt(1)
	v_mul_f64 v[68:69], v[3:4], s[8:9]
	s_waitcnt vmcnt(0) lgkmcnt(0)
	v_mul_f64 v[70:71], v[1:2], s[8:9]
	s_and_b32 vcc_lo, exec_lo, s2
	s_mov_b64 s[12:13], 0
	s_cbranch_vccnz .LBB143_32
.LBB143_30:                             ;   in Loop: Header=BB143_28 Depth=1
	v_mad_u64_u32 v[1:2], null, v0, s19, 0
	s_delay_alu instid0(VALU_DEP_1) | instskip(NEXT) | instid1(VALU_DEP_1)
	v_mad_u64_u32 v[3:4], null, v0, s24, v[2:3]
	v_mov_b32_e32 v2, v3
	s_delay_alu instid0(VALU_DEP_1) | instskip(NEXT) | instid1(VALU_DEP_1)
	v_lshlrev_b64 v[0:1], 3, v[1:2]
	v_add_co_u32 v0, vcc_lo, v91, v0
	s_delay_alu instid0(VALU_DEP_2)
	v_add_co_ci_u32_e32 v1, vcc_lo, v92, v1, vcc_lo
	s_clause 0x1
	flat_load_b64 v[2:3], v[0:1]
	flat_load_b64 v[0:1], v[0:1] offset:512
	s_waitcnt vmcnt(1) lgkmcnt(1)
	v_mul_f64 v[72:73], v[2:3], s[8:9]
	s_waitcnt vmcnt(0) lgkmcnt(0)
	v_mul_f64 v[74:75], v[0:1], s[8:9]
	s_branch .LBB143_33
.LBB143_31:                             ;   in Loop: Header=BB143_28 Depth=1
	v_mov_b32_e32 v68, 0
	v_dual_mov_b32 v69, 0 :: v_dual_mov_b32 v70, 0
	v_mov_b32_e32 v71, 0
	s_and_b32 vcc_lo, exec_lo, s2
	s_mov_b64 s[12:13], 0
	s_cbranch_vccz .LBB143_30
.LBB143_32:                             ;   in Loop: Header=BB143_28 Depth=1
	v_mov_b32_e32 v72, 0
	v_dual_mov_b32 v73, 0 :: v_dual_mov_b32 v74, 0
	v_mov_b32_e32 v75, 0
.LBB143_33:                             ;   in Loop: Header=BB143_28 Depth=1
	ds_load_2addr_b64 v[0:3], v78 offset1:16
	ds_load_2addr_b64 v[4:7], v78 offset0:32 offset1:48
	ds_load_2addr_b64 v[8:11], v78 offset0:64 offset1:80
	ds_load_2addr_b64 v[12:15], v78 offset0:96 offset1:112
	ds_load_2addr_b64 v[16:19], v78 offset0:128 offset1:144
	ds_load_2addr_b64 v[20:23], v78 offset0:160 offset1:176
	ds_load_2addr_b64 v[24:27], v78 offset0:192 offset1:208
	ds_load_2addr_b64 v[28:31], v78 offset0:224 offset1:240
	ds_load_2addr_b64 v[32:35], v93 offset1:16
	ds_load_2addr_b64 v[36:39], v93 offset0:32 offset1:48
	ds_load_2addr_b64 v[40:43], v93 offset0:64 offset1:80
	;; [unrolled: 1-line block ×7, first 2 shown]
	ds_load_2addr_stride64_b64 v[64:67], v79 offset1:4
	v_dual_mov_b32 v125, 0 :: v_dual_mov_b32 v124, 8
	v_dual_mov_b32 v123, 16 :: v_dual_mov_b32 v122, 24
	;; [unrolled: 1-line block ×5, first 2 shown]
	v_mov_b32_e32 v115, 0x50
	v_mov_b32_e32 v114, 0x58
	;; [unrolled: 1-line block ×22, first 2 shown]
	s_mov_b32 s21, -1
.LBB143_34:                             ;   Parent Loop BB143_28 Depth=1
                                        ; =>  This Inner Loop Header: Depth=2
	scratch_load_b64 v[130:131], v125, off
	s_cmp_eq_u32 s12, 1
	s_waitcnt lgkmcnt(16)
	v_max_f64 v[128:129], v[0:1], v[0:1]
	s_cselect_b32 vcc_lo, -1, 0
	s_mov_b64 s[12:13], 1
	s_waitcnt lgkmcnt(0)
	v_dual_cndmask_b32 v127, v65, v67 :: v_dual_cndmask_b32 v126, v64, v66
	s_and_b32 vcc_lo, exec_lo, s21
	s_mov_b32 s21, 0
	s_delay_alu instid0(VALU_DEP_1) | instskip(NEXT) | instid1(VALU_DEP_1)
	v_max_f64 v[126:127], v[126:127], v[126:127]
	v_min_f64 v[128:129], v[128:129], v[126:127]
	s_waitcnt vmcnt(0)
	s_delay_alu instid0(VALU_DEP_1) | instskip(SKIP_3) | instid1(VALU_DEP_1)
	v_add_f64 v[128:129], v[130:131], v[128:129]
	scratch_load_b64 v[130:131], v124, off
	scratch_store_b64 v125, v[128:129], off
	v_max_f64 v[128:129], v[2:3], v[2:3]
	v_min_f64 v[128:129], v[128:129], v[126:127]
	s_waitcnt vmcnt(0)
	s_delay_alu instid0(VALU_DEP_1) | instskip(SKIP_3) | instid1(VALU_DEP_1)
	v_add_f64 v[128:129], v[128:129], v[130:131]
	scratch_store_b64 v124, v[128:129], off
	scratch_load_b64 v[128:129], v123, off
	v_max_f64 v[124:125], v[4:5], v[4:5]
	v_min_f64 v[124:125], v[124:125], v[126:127]
	s_waitcnt vmcnt(0)
	s_delay_alu instid0(VALU_DEP_1) | instskip(SKIP_3) | instid1(VALU_DEP_1)
	v_add_f64 v[124:125], v[124:125], v[128:129]
	scratch_load_b64 v[128:129], v122, off
	scratch_store_b64 v123, v[124:125], off
	v_max_f64 v[123:124], v[6:7], v[6:7]
	v_min_f64 v[123:124], v[123:124], v[126:127]
	s_waitcnt vmcnt(0)
	s_delay_alu instid0(VALU_DEP_1) | instskip(SKIP_3) | instid1(VALU_DEP_1)
	v_add_f64 v[123:124], v[123:124], v[128:129]
	scratch_store_b64 v122, v[123:124], off
	scratch_load_b64 v[124:125], v121, off
	v_max_f64 v[122:123], v[8:9], v[8:9]
	v_min_f64 v[122:123], v[122:123], v[126:127]
	s_waitcnt vmcnt(0)
	s_delay_alu instid0(VALU_DEP_1) | instskip(SKIP_4) | instid1(VALU_DEP_1)
	v_add_f64 v[122:123], v[122:123], v[124:125]
	v_mov_b32_e32 v125, 0x100
	scratch_store_b64 v121, v[122:123], off
	scratch_load_b64 v[123:124], v120, off
	v_max_f64 v[121:122], v[10:11], v[10:11]
	v_min_f64 v[121:122], v[121:122], v[126:127]
	s_waitcnt vmcnt(0)
	s_delay_alu instid0(VALU_DEP_1) | instskip(SKIP_4) | instid1(VALU_DEP_1)
	v_add_f64 v[121:122], v[121:122], v[123:124]
	v_mov_b32_e32 v124, 0x108
	;; [unrolled: 8-line block ×27, first 2 shown]
	scratch_store_b64 v95, v[96:97], off
	scratch_load_b64 v[97:98], v94, off
	v_max_f64 v[95:96], v[62:63], v[62:63]
	v_min_f64 v[95:96], v[95:96], v[126:127]
	s_waitcnt vmcnt(0)
	s_delay_alu instid0(VALU_DEP_1)
	v_add_f64 v[95:96], v[95:96], v[97:98]
	v_mov_b32_e32 v98, 0x1d8
	v_mov_b32_e32 v97, 0x1e0
	scratch_store_b64 v94, v[95:96], off
	v_mov_b32_e32 v96, 0x1e8
	v_mov_b32_e32 v95, 0x1f0
	;; [unrolled: 1-line block ×3, first 2 shown]
	s_cbranch_vccnz .LBB143_34
; %bb.35:                               ;   in Loop: Header=BB143_28 Depth=1
	ds_load_2addr_b64 v[0:3], v78 offset0:1 offset1:17
	ds_load_2addr_b64 v[4:7], v78 offset0:33 offset1:49
	;; [unrolled: 1-line block ×12, first 2 shown]
	v_dual_mov_b32 v125, 0 :: v_dual_add_nc_u32 v64, 8, v79
	ds_load_2addr_b64 v[48:51], v93 offset0:129 offset1:145
	ds_load_2addr_b64 v[52:55], v93 offset0:161 offset1:177
	;; [unrolled: 1-line block ×4, first 2 shown]
	ds_load_2addr_stride64_b64 v[64:67], v64 offset1:4
	v_dual_mov_b32 v124, 8 :: v_dual_mov_b32 v123, 16
	v_dual_mov_b32 v122, 24 :: v_dual_mov_b32 v121, 32
	;; [unrolled: 1-line block ×4, first 2 shown]
	v_mov_b32_e32 v116, 0x48
	v_mov_b32_e32 v115, 0x50
	;; [unrolled: 1-line block ×23, first 2 shown]
	s_mov_b64 s[12:13], 0
	s_mov_b32 s21, -1
.LBB143_36:                             ;   Parent Loop BB143_28 Depth=1
                                        ; =>  This Inner Loop Header: Depth=2
	scratch_load_b64 v[130:131], v125, off
	s_cmp_eq_u32 s12, 1
	s_waitcnt lgkmcnt(16)
	v_max_f64 v[128:129], v[0:1], v[0:1]
	s_cselect_b32 vcc_lo, -1, 0
	s_mov_b64 s[12:13], 1
	s_waitcnt lgkmcnt(0)
	v_dual_cndmask_b32 v127, v65, v67 :: v_dual_cndmask_b32 v126, v64, v66
	s_and_b32 vcc_lo, exec_lo, s21
	s_mov_b32 s21, 0
	s_delay_alu instid0(VALU_DEP_1) | instskip(NEXT) | instid1(VALU_DEP_1)
	v_max_f64 v[126:127], v[126:127], v[126:127]
	v_min_f64 v[128:129], v[128:129], v[126:127]
	s_waitcnt vmcnt(0)
	s_delay_alu instid0(VALU_DEP_1) | instskip(SKIP_3) | instid1(VALU_DEP_1)
	v_add_f64 v[128:129], v[130:131], v[128:129]
	scratch_load_b64 v[130:131], v124, off
	scratch_store_b64 v125, v[128:129], off
	v_max_f64 v[128:129], v[2:3], v[2:3]
	v_min_f64 v[128:129], v[128:129], v[126:127]
	s_waitcnt vmcnt(0)
	s_delay_alu instid0(VALU_DEP_1) | instskip(SKIP_3) | instid1(VALU_DEP_1)
	v_add_f64 v[128:129], v[128:129], v[130:131]
	scratch_store_b64 v124, v[128:129], off
	scratch_load_b64 v[128:129], v123, off
	v_max_f64 v[124:125], v[4:5], v[4:5]
	v_min_f64 v[124:125], v[124:125], v[126:127]
	s_waitcnt vmcnt(0)
	s_delay_alu instid0(VALU_DEP_1) | instskip(SKIP_3) | instid1(VALU_DEP_1)
	v_add_f64 v[124:125], v[124:125], v[128:129]
	scratch_load_b64 v[128:129], v122, off
	scratch_store_b64 v123, v[124:125], off
	v_max_f64 v[123:124], v[6:7], v[6:7]
	v_min_f64 v[123:124], v[123:124], v[126:127]
	s_waitcnt vmcnt(0)
	s_delay_alu instid0(VALU_DEP_1) | instskip(SKIP_3) | instid1(VALU_DEP_1)
	v_add_f64 v[123:124], v[123:124], v[128:129]
	scratch_store_b64 v122, v[123:124], off
	scratch_load_b64 v[124:125], v121, off
	v_max_f64 v[122:123], v[8:9], v[8:9]
	v_min_f64 v[122:123], v[122:123], v[126:127]
	s_waitcnt vmcnt(0)
	s_delay_alu instid0(VALU_DEP_1) | instskip(SKIP_4) | instid1(VALU_DEP_1)
	v_add_f64 v[122:123], v[122:123], v[124:125]
	v_mov_b32_e32 v125, 0x100
	scratch_store_b64 v121, v[122:123], off
	scratch_load_b64 v[123:124], v120, off
	v_max_f64 v[121:122], v[10:11], v[10:11]
	v_min_f64 v[121:122], v[121:122], v[126:127]
	s_waitcnt vmcnt(0)
	s_delay_alu instid0(VALU_DEP_1) | instskip(SKIP_4) | instid1(VALU_DEP_1)
	v_add_f64 v[121:122], v[121:122], v[123:124]
	v_mov_b32_e32 v124, 0x108
	;; [unrolled: 8-line block ×27, first 2 shown]
	scratch_store_b64 v95, v[96:97], off
	scratch_load_b64 v[97:98], v94, off
	v_max_f64 v[95:96], v[62:63], v[62:63]
	v_min_f64 v[95:96], v[95:96], v[126:127]
	s_waitcnt vmcnt(0)
	s_delay_alu instid0(VALU_DEP_1)
	v_add_f64 v[95:96], v[95:96], v[97:98]
	v_mov_b32_e32 v98, 0x1d8
	v_mov_b32_e32 v97, 0x1e0
	scratch_store_b64 v94, v[95:96], off
	v_mov_b32_e32 v96, 0x1e8
	v_mov_b32_e32 v95, 0x1f0
	;; [unrolled: 1-line block ×3, first 2 shown]
	s_cbranch_vccnz .LBB143_36
; %bb.37:                               ;   in Loop: Header=BB143_28 Depth=1
	ds_load_2addr_b64 v[0:3], v78 offset0:2 offset1:18
	ds_load_2addr_b64 v[4:7], v78 offset0:34 offset1:50
	;; [unrolled: 1-line block ×12, first 2 shown]
	v_dual_mov_b32 v125, 0 :: v_dual_add_nc_u32 v64, 16, v79
	ds_load_2addr_b64 v[48:51], v93 offset0:130 offset1:146
	ds_load_2addr_b64 v[52:55], v93 offset0:162 offset1:178
	;; [unrolled: 1-line block ×4, first 2 shown]
	ds_load_2addr_stride64_b64 v[64:67], v64 offset1:4
	v_dual_mov_b32 v124, 8 :: v_dual_mov_b32 v123, 16
	v_dual_mov_b32 v122, 24 :: v_dual_mov_b32 v121, 32
	;; [unrolled: 1-line block ×4, first 2 shown]
	v_mov_b32_e32 v116, 0x48
	v_mov_b32_e32 v115, 0x50
	;; [unrolled: 1-line block ×23, first 2 shown]
	s_mov_b64 s[12:13], 0
	s_mov_b32 s21, -1
.LBB143_38:                             ;   Parent Loop BB143_28 Depth=1
                                        ; =>  This Inner Loop Header: Depth=2
	scratch_load_b64 v[130:131], v125, off
	s_cmp_eq_u32 s12, 1
	s_waitcnt lgkmcnt(16)
	v_max_f64 v[128:129], v[0:1], v[0:1]
	s_cselect_b32 vcc_lo, -1, 0
	s_mov_b64 s[12:13], 1
	s_waitcnt lgkmcnt(0)
	v_dual_cndmask_b32 v127, v65, v67 :: v_dual_cndmask_b32 v126, v64, v66
	s_and_b32 vcc_lo, exec_lo, s21
	s_mov_b32 s21, 0
	s_delay_alu instid0(VALU_DEP_1) | instskip(NEXT) | instid1(VALU_DEP_1)
	v_max_f64 v[126:127], v[126:127], v[126:127]
	v_min_f64 v[128:129], v[128:129], v[126:127]
	s_waitcnt vmcnt(0)
	s_delay_alu instid0(VALU_DEP_1) | instskip(SKIP_3) | instid1(VALU_DEP_1)
	v_add_f64 v[128:129], v[130:131], v[128:129]
	scratch_load_b64 v[130:131], v124, off
	scratch_store_b64 v125, v[128:129], off
	v_max_f64 v[128:129], v[2:3], v[2:3]
	v_min_f64 v[128:129], v[128:129], v[126:127]
	s_waitcnt vmcnt(0)
	s_delay_alu instid0(VALU_DEP_1) | instskip(SKIP_3) | instid1(VALU_DEP_1)
	v_add_f64 v[128:129], v[128:129], v[130:131]
	scratch_store_b64 v124, v[128:129], off
	scratch_load_b64 v[128:129], v123, off
	v_max_f64 v[124:125], v[4:5], v[4:5]
	v_min_f64 v[124:125], v[124:125], v[126:127]
	s_waitcnt vmcnt(0)
	s_delay_alu instid0(VALU_DEP_1) | instskip(SKIP_3) | instid1(VALU_DEP_1)
	v_add_f64 v[124:125], v[124:125], v[128:129]
	scratch_load_b64 v[128:129], v122, off
	scratch_store_b64 v123, v[124:125], off
	v_max_f64 v[123:124], v[6:7], v[6:7]
	v_min_f64 v[123:124], v[123:124], v[126:127]
	s_waitcnt vmcnt(0)
	s_delay_alu instid0(VALU_DEP_1) | instskip(SKIP_3) | instid1(VALU_DEP_1)
	v_add_f64 v[123:124], v[123:124], v[128:129]
	scratch_store_b64 v122, v[123:124], off
	scratch_load_b64 v[124:125], v121, off
	v_max_f64 v[122:123], v[8:9], v[8:9]
	v_min_f64 v[122:123], v[122:123], v[126:127]
	s_waitcnt vmcnt(0)
	s_delay_alu instid0(VALU_DEP_1) | instskip(SKIP_4) | instid1(VALU_DEP_1)
	v_add_f64 v[122:123], v[122:123], v[124:125]
	v_mov_b32_e32 v125, 0x100
	scratch_store_b64 v121, v[122:123], off
	scratch_load_b64 v[123:124], v120, off
	v_max_f64 v[121:122], v[10:11], v[10:11]
	v_min_f64 v[121:122], v[121:122], v[126:127]
	s_waitcnt vmcnt(0)
	s_delay_alu instid0(VALU_DEP_1) | instskip(SKIP_4) | instid1(VALU_DEP_1)
	v_add_f64 v[121:122], v[121:122], v[123:124]
	v_mov_b32_e32 v124, 0x108
	;; [unrolled: 8-line block ×27, first 2 shown]
	scratch_store_b64 v95, v[96:97], off
	scratch_load_b64 v[97:98], v94, off
	v_max_f64 v[95:96], v[62:63], v[62:63]
	v_min_f64 v[95:96], v[95:96], v[126:127]
	s_waitcnt vmcnt(0)
	s_delay_alu instid0(VALU_DEP_1)
	v_add_f64 v[95:96], v[95:96], v[97:98]
	v_mov_b32_e32 v98, 0x1d8
	v_mov_b32_e32 v97, 0x1e0
	scratch_store_b64 v94, v[95:96], off
	v_mov_b32_e32 v96, 0x1e8
	v_mov_b32_e32 v95, 0x1f0
	;; [unrolled: 1-line block ×3, first 2 shown]
	s_cbranch_vccnz .LBB143_38
; %bb.39:                               ;   in Loop: Header=BB143_28 Depth=1
	ds_load_2addr_b64 v[0:3], v78 offset0:3 offset1:19
	ds_load_2addr_b64 v[4:7], v78 offset0:35 offset1:51
	ds_load_2addr_b64 v[8:11], v78 offset0:67 offset1:83
	ds_load_2addr_b64 v[12:15], v78 offset0:99 offset1:115
	ds_load_2addr_b64 v[16:19], v78 offset0:131 offset1:147
	ds_load_2addr_b64 v[20:23], v78 offset0:163 offset1:179
	ds_load_2addr_b64 v[24:27], v78 offset0:195 offset1:211
	ds_load_2addr_b64 v[28:31], v78 offset0:227 offset1:243
	ds_load_2addr_b64 v[32:35], v93 offset0:3 offset1:19
	ds_load_2addr_b64 v[36:39], v93 offset0:35 offset1:51
	ds_load_2addr_b64 v[40:43], v93 offset0:67 offset1:83
	ds_load_2addr_b64 v[44:47], v93 offset0:99 offset1:115
	v_dual_mov_b32 v125, 0 :: v_dual_add_nc_u32 v64, 24, v79
	ds_load_2addr_b64 v[48:51], v93 offset0:131 offset1:147
	ds_load_2addr_b64 v[52:55], v93 offset0:163 offset1:179
	;; [unrolled: 1-line block ×4, first 2 shown]
	ds_load_2addr_stride64_b64 v[64:67], v64 offset1:4
	v_dual_mov_b32 v124, 8 :: v_dual_mov_b32 v123, 16
	v_dual_mov_b32 v122, 24 :: v_dual_mov_b32 v121, 32
	;; [unrolled: 1-line block ×4, first 2 shown]
	v_mov_b32_e32 v116, 0x48
	v_mov_b32_e32 v115, 0x50
	;; [unrolled: 1-line block ×23, first 2 shown]
	s_mov_b64 s[12:13], 0
	s_mov_b32 s21, -1
.LBB143_40:                             ;   Parent Loop BB143_28 Depth=1
                                        ; =>  This Inner Loop Header: Depth=2
	scratch_load_b64 v[130:131], v125, off
	s_cmp_eq_u32 s12, 1
	s_waitcnt lgkmcnt(16)
	v_max_f64 v[128:129], v[0:1], v[0:1]
	s_cselect_b32 vcc_lo, -1, 0
	s_mov_b64 s[12:13], 1
	s_waitcnt lgkmcnt(0)
	v_dual_cndmask_b32 v127, v65, v67 :: v_dual_cndmask_b32 v126, v64, v66
	s_and_b32 vcc_lo, exec_lo, s21
	s_mov_b32 s21, 0
	s_delay_alu instid0(VALU_DEP_1) | instskip(NEXT) | instid1(VALU_DEP_1)
	v_max_f64 v[126:127], v[126:127], v[126:127]
	v_min_f64 v[128:129], v[128:129], v[126:127]
	s_waitcnt vmcnt(0)
	s_delay_alu instid0(VALU_DEP_1) | instskip(SKIP_3) | instid1(VALU_DEP_1)
	v_add_f64 v[128:129], v[130:131], v[128:129]
	scratch_load_b64 v[130:131], v124, off
	scratch_store_b64 v125, v[128:129], off
	v_max_f64 v[128:129], v[2:3], v[2:3]
	v_min_f64 v[128:129], v[128:129], v[126:127]
	s_waitcnt vmcnt(0)
	s_delay_alu instid0(VALU_DEP_1) | instskip(SKIP_3) | instid1(VALU_DEP_1)
	v_add_f64 v[128:129], v[128:129], v[130:131]
	scratch_store_b64 v124, v[128:129], off
	scratch_load_b64 v[128:129], v123, off
	v_max_f64 v[124:125], v[4:5], v[4:5]
	v_min_f64 v[124:125], v[124:125], v[126:127]
	s_waitcnt vmcnt(0)
	s_delay_alu instid0(VALU_DEP_1) | instskip(SKIP_3) | instid1(VALU_DEP_1)
	v_add_f64 v[124:125], v[124:125], v[128:129]
	scratch_load_b64 v[128:129], v122, off
	scratch_store_b64 v123, v[124:125], off
	v_max_f64 v[123:124], v[6:7], v[6:7]
	v_min_f64 v[123:124], v[123:124], v[126:127]
	s_waitcnt vmcnt(0)
	s_delay_alu instid0(VALU_DEP_1) | instskip(SKIP_3) | instid1(VALU_DEP_1)
	v_add_f64 v[123:124], v[123:124], v[128:129]
	scratch_store_b64 v122, v[123:124], off
	scratch_load_b64 v[124:125], v121, off
	v_max_f64 v[122:123], v[8:9], v[8:9]
	v_min_f64 v[122:123], v[122:123], v[126:127]
	s_waitcnt vmcnt(0)
	s_delay_alu instid0(VALU_DEP_1) | instskip(SKIP_4) | instid1(VALU_DEP_1)
	v_add_f64 v[122:123], v[122:123], v[124:125]
	v_mov_b32_e32 v125, 0x100
	scratch_store_b64 v121, v[122:123], off
	scratch_load_b64 v[123:124], v120, off
	v_max_f64 v[121:122], v[10:11], v[10:11]
	v_min_f64 v[121:122], v[121:122], v[126:127]
	s_waitcnt vmcnt(0)
	s_delay_alu instid0(VALU_DEP_1) | instskip(SKIP_4) | instid1(VALU_DEP_1)
	v_add_f64 v[121:122], v[121:122], v[123:124]
	v_mov_b32_e32 v124, 0x108
	scratch_store_b64 v120, v[121:122], off
	scratch_load_b64 v[122:123], v119, off
	v_max_f64 v[120:121], v[12:13], v[12:13]
	v_min_f64 v[120:121], v[120:121], v[126:127]
	s_waitcnt vmcnt(0)
	s_delay_alu instid0(VALU_DEP_1) | instskip(SKIP_4) | instid1(VALU_DEP_1)
	v_add_f64 v[120:121], v[120:121], v[122:123]
	v_mov_b32_e32 v123, 0x110
	scratch_store_b64 v119, v[120:121], off
	scratch_load_b64 v[121:122], v118, off
	v_max_f64 v[119:120], v[14:15], v[14:15]
	v_min_f64 v[119:120], v[119:120], v[126:127]
	s_waitcnt vmcnt(0)
	s_delay_alu instid0(VALU_DEP_1) | instskip(SKIP_4) | instid1(VALU_DEP_1)
	v_add_f64 v[119:120], v[119:120], v[121:122]
	v_mov_b32_e32 v122, 0x118
	scratch_store_b64 v118, v[119:120], off
	scratch_load_b64 v[120:121], v117, off
	v_max_f64 v[118:119], v[16:17], v[16:17]
	v_min_f64 v[118:119], v[118:119], v[126:127]
	s_waitcnt vmcnt(0)
	s_delay_alu instid0(VALU_DEP_1) | instskip(SKIP_4) | instid1(VALU_DEP_1)
	v_add_f64 v[118:119], v[118:119], v[120:121]
	v_mov_b32_e32 v121, 0x120
	scratch_store_b64 v117, v[118:119], off
	scratch_load_b64 v[119:120], v116, off
	v_max_f64 v[117:118], v[18:19], v[18:19]
	v_min_f64 v[117:118], v[117:118], v[126:127]
	s_waitcnt vmcnt(0)
	s_delay_alu instid0(VALU_DEP_1) | instskip(SKIP_4) | instid1(VALU_DEP_1)
	v_add_f64 v[117:118], v[117:118], v[119:120]
	v_mov_b32_e32 v120, 0x128
	scratch_store_b64 v116, v[117:118], off
	scratch_load_b64 v[118:119], v115, off
	v_max_f64 v[116:117], v[20:21], v[20:21]
	v_min_f64 v[116:117], v[116:117], v[126:127]
	s_waitcnt vmcnt(0)
	s_delay_alu instid0(VALU_DEP_1) | instskip(SKIP_4) | instid1(VALU_DEP_1)
	v_add_f64 v[116:117], v[116:117], v[118:119]
	v_mov_b32_e32 v119, 0x130
	scratch_store_b64 v115, v[116:117], off
	scratch_load_b64 v[117:118], v114, off
	v_max_f64 v[115:116], v[22:23], v[22:23]
	v_min_f64 v[115:116], v[115:116], v[126:127]
	s_waitcnt vmcnt(0)
	s_delay_alu instid0(VALU_DEP_1) | instskip(SKIP_4) | instid1(VALU_DEP_1)
	v_add_f64 v[115:116], v[115:116], v[117:118]
	v_mov_b32_e32 v118, 0x138
	scratch_store_b64 v114, v[115:116], off
	scratch_load_b64 v[116:117], v113, off
	v_max_f64 v[114:115], v[24:25], v[24:25]
	v_min_f64 v[114:115], v[114:115], v[126:127]
	s_waitcnt vmcnt(0)
	s_delay_alu instid0(VALU_DEP_1) | instskip(SKIP_4) | instid1(VALU_DEP_1)
	v_add_f64 v[114:115], v[114:115], v[116:117]
	v_mov_b32_e32 v117, 0x140
	scratch_store_b64 v113, v[114:115], off
	scratch_load_b64 v[115:116], v112, off
	v_max_f64 v[113:114], v[26:27], v[26:27]
	v_min_f64 v[113:114], v[113:114], v[126:127]
	s_waitcnt vmcnt(0)
	s_delay_alu instid0(VALU_DEP_1) | instskip(SKIP_4) | instid1(VALU_DEP_1)
	v_add_f64 v[113:114], v[113:114], v[115:116]
	v_mov_b32_e32 v116, 0x148
	scratch_store_b64 v112, v[113:114], off
	scratch_load_b64 v[114:115], v111, off
	v_max_f64 v[112:113], v[28:29], v[28:29]
	v_min_f64 v[112:113], v[112:113], v[126:127]
	s_waitcnt vmcnt(0)
	s_delay_alu instid0(VALU_DEP_1) | instskip(SKIP_4) | instid1(VALU_DEP_1)
	v_add_f64 v[112:113], v[112:113], v[114:115]
	v_mov_b32_e32 v115, 0x150
	scratch_store_b64 v111, v[112:113], off
	scratch_load_b64 v[113:114], v110, off
	v_max_f64 v[111:112], v[30:31], v[30:31]
	v_min_f64 v[111:112], v[111:112], v[126:127]
	s_waitcnt vmcnt(0)
	s_delay_alu instid0(VALU_DEP_1) | instskip(SKIP_4) | instid1(VALU_DEP_1)
	v_add_f64 v[111:112], v[111:112], v[113:114]
	v_mov_b32_e32 v114, 0x158
	scratch_store_b64 v110, v[111:112], off
	scratch_load_b64 v[112:113], v109, off
	v_max_f64 v[110:111], v[32:33], v[32:33]
	v_min_f64 v[110:111], v[110:111], v[126:127]
	s_waitcnt vmcnt(0)
	s_delay_alu instid0(VALU_DEP_1) | instskip(SKIP_4) | instid1(VALU_DEP_1)
	v_add_f64 v[110:111], v[110:111], v[112:113]
	v_mov_b32_e32 v113, 0x160
	scratch_store_b64 v109, v[110:111], off
	scratch_load_b64 v[111:112], v108, off
	v_max_f64 v[109:110], v[34:35], v[34:35]
	v_min_f64 v[109:110], v[109:110], v[126:127]
	s_waitcnt vmcnt(0)
	s_delay_alu instid0(VALU_DEP_1) | instskip(SKIP_4) | instid1(VALU_DEP_1)
	v_add_f64 v[109:110], v[109:110], v[111:112]
	v_mov_b32_e32 v112, 0x168
	scratch_store_b64 v108, v[109:110], off
	scratch_load_b64 v[110:111], v107, off
	v_max_f64 v[108:109], v[36:37], v[36:37]
	v_min_f64 v[108:109], v[108:109], v[126:127]
	s_waitcnt vmcnt(0)
	s_delay_alu instid0(VALU_DEP_1) | instskip(SKIP_4) | instid1(VALU_DEP_1)
	v_add_f64 v[108:109], v[108:109], v[110:111]
	v_mov_b32_e32 v111, 0x170
	scratch_store_b64 v107, v[108:109], off
	scratch_load_b64 v[109:110], v106, off
	v_max_f64 v[107:108], v[38:39], v[38:39]
	v_min_f64 v[107:108], v[107:108], v[126:127]
	s_waitcnt vmcnt(0)
	s_delay_alu instid0(VALU_DEP_1) | instskip(SKIP_4) | instid1(VALU_DEP_1)
	v_add_f64 v[107:108], v[107:108], v[109:110]
	v_mov_b32_e32 v110, 0x178
	scratch_store_b64 v106, v[107:108], off
	scratch_load_b64 v[108:109], v105, off
	v_max_f64 v[106:107], v[40:41], v[40:41]
	v_min_f64 v[106:107], v[106:107], v[126:127]
	s_waitcnt vmcnt(0)
	s_delay_alu instid0(VALU_DEP_1) | instskip(SKIP_4) | instid1(VALU_DEP_1)
	v_add_f64 v[106:107], v[106:107], v[108:109]
	v_mov_b32_e32 v109, 0x180
	scratch_store_b64 v105, v[106:107], off
	scratch_load_b64 v[107:108], v104, off
	v_max_f64 v[105:106], v[42:43], v[42:43]
	v_min_f64 v[105:106], v[105:106], v[126:127]
	s_waitcnt vmcnt(0)
	s_delay_alu instid0(VALU_DEP_1) | instskip(SKIP_4) | instid1(VALU_DEP_1)
	v_add_f64 v[105:106], v[105:106], v[107:108]
	v_mov_b32_e32 v108, 0x188
	scratch_store_b64 v104, v[105:106], off
	scratch_load_b64 v[106:107], v103, off
	v_max_f64 v[104:105], v[44:45], v[44:45]
	v_min_f64 v[104:105], v[104:105], v[126:127]
	s_waitcnt vmcnt(0)
	s_delay_alu instid0(VALU_DEP_1) | instskip(SKIP_4) | instid1(VALU_DEP_1)
	v_add_f64 v[104:105], v[104:105], v[106:107]
	v_mov_b32_e32 v107, 0x190
	scratch_store_b64 v103, v[104:105], off
	scratch_load_b64 v[105:106], v102, off
	v_max_f64 v[103:104], v[46:47], v[46:47]
	v_min_f64 v[103:104], v[103:104], v[126:127]
	s_waitcnt vmcnt(0)
	s_delay_alu instid0(VALU_DEP_1) | instskip(SKIP_4) | instid1(VALU_DEP_1)
	v_add_f64 v[103:104], v[103:104], v[105:106]
	v_mov_b32_e32 v106, 0x198
	scratch_store_b64 v102, v[103:104], off
	scratch_load_b64 v[104:105], v101, off
	v_max_f64 v[102:103], v[48:49], v[48:49]
	v_min_f64 v[102:103], v[102:103], v[126:127]
	s_waitcnt vmcnt(0)
	s_delay_alu instid0(VALU_DEP_1) | instskip(SKIP_4) | instid1(VALU_DEP_1)
	v_add_f64 v[102:103], v[102:103], v[104:105]
	v_mov_b32_e32 v105, 0x1a0
	scratch_store_b64 v101, v[102:103], off
	scratch_load_b64 v[103:104], v100, off
	v_max_f64 v[101:102], v[50:51], v[50:51]
	v_min_f64 v[101:102], v[101:102], v[126:127]
	s_waitcnt vmcnt(0)
	s_delay_alu instid0(VALU_DEP_1) | instskip(SKIP_4) | instid1(VALU_DEP_1)
	v_add_f64 v[101:102], v[101:102], v[103:104]
	v_mov_b32_e32 v104, 0x1a8
	scratch_store_b64 v100, v[101:102], off
	scratch_load_b64 v[102:103], v99, off
	v_max_f64 v[100:101], v[52:53], v[52:53]
	v_min_f64 v[100:101], v[100:101], v[126:127]
	s_waitcnt vmcnt(0)
	s_delay_alu instid0(VALU_DEP_1) | instskip(SKIP_4) | instid1(VALU_DEP_1)
	v_add_f64 v[100:101], v[100:101], v[102:103]
	v_mov_b32_e32 v103, 0x1b0
	scratch_store_b64 v99, v[100:101], off
	scratch_load_b64 v[101:102], v98, off
	v_max_f64 v[99:100], v[54:55], v[54:55]
	v_min_f64 v[99:100], v[99:100], v[126:127]
	s_waitcnt vmcnt(0)
	s_delay_alu instid0(VALU_DEP_1) | instskip(SKIP_4) | instid1(VALU_DEP_1)
	v_add_f64 v[99:100], v[99:100], v[101:102]
	v_mov_b32_e32 v102, 0x1b8
	scratch_store_b64 v98, v[99:100], off
	scratch_load_b64 v[100:101], v97, off
	v_max_f64 v[98:99], v[56:57], v[56:57]
	v_min_f64 v[98:99], v[98:99], v[126:127]
	s_waitcnt vmcnt(0)
	s_delay_alu instid0(VALU_DEP_1) | instskip(SKIP_4) | instid1(VALU_DEP_1)
	v_add_f64 v[98:99], v[98:99], v[100:101]
	v_mov_b32_e32 v101, 0x1c0
	scratch_store_b64 v97, v[98:99], off
	scratch_load_b64 v[99:100], v96, off
	v_max_f64 v[97:98], v[58:59], v[58:59]
	v_min_f64 v[97:98], v[97:98], v[126:127]
	s_waitcnt vmcnt(0)
	s_delay_alu instid0(VALU_DEP_1) | instskip(SKIP_4) | instid1(VALU_DEP_1)
	v_add_f64 v[97:98], v[97:98], v[99:100]
	v_mov_b32_e32 v100, 0x1c8
	scratch_store_b64 v96, v[97:98], off
	scratch_load_b64 v[98:99], v95, off
	v_max_f64 v[96:97], v[60:61], v[60:61]
	v_min_f64 v[96:97], v[96:97], v[126:127]
	s_waitcnt vmcnt(0)
	s_delay_alu instid0(VALU_DEP_1) | instskip(SKIP_4) | instid1(VALU_DEP_1)
	v_add_f64 v[96:97], v[96:97], v[98:99]
	v_mov_b32_e32 v99, 0x1d0
	scratch_store_b64 v95, v[96:97], off
	scratch_load_b64 v[97:98], v94, off
	v_max_f64 v[95:96], v[62:63], v[62:63]
	v_min_f64 v[95:96], v[95:96], v[126:127]
	s_waitcnt vmcnt(0)
	s_delay_alu instid0(VALU_DEP_1)
	v_add_f64 v[95:96], v[95:96], v[97:98]
	v_mov_b32_e32 v98, 0x1d8
	v_mov_b32_e32 v97, 0x1e0
	scratch_store_b64 v94, v[95:96], off
	v_mov_b32_e32 v96, 0x1e8
	v_mov_b32_e32 v95, 0x1f0
	;; [unrolled: 1-line block ×3, first 2 shown]
	s_cbranch_vccnz .LBB143_40
; %bb.41:                               ;   in Loop: Header=BB143_28 Depth=1
	v_add_nc_u32_e32 v0, s14, v83
	s_mov_b32 vcc_lo, s3
	ds_store_2addr_stride64_b64 v85, v[68:69], v[70:71] offset1:4
	ds_store_2addr_stride64_b64 v87, v[72:73], v[74:75] offset1:4
	s_waitcnt lgkmcnt(0)
	s_waitcnt_vscnt null, 0x0
	s_barrier
	buffer_gl0_inv
	s_cbranch_vccz .LBB143_44
; %bb.42:                               ;   in Loop: Header=BB143_28 Depth=1
	v_mad_u64_u32 v[1:2], null, v0, s22, 0
	s_delay_alu instid0(VALU_DEP_1) | instskip(NEXT) | instid1(VALU_DEP_1)
	v_mad_u64_u32 v[3:4], null, v0, s23, v[2:3]
	v_mov_b32_e32 v2, v3
	s_delay_alu instid0(VALU_DEP_1) | instskip(NEXT) | instid1(VALU_DEP_1)
	v_lshlrev_b64 v[1:2], 3, v[1:2]
	v_add_co_u32 v1, vcc_lo, v89, v1
	s_delay_alu instid0(VALU_DEP_2)
	v_add_co_ci_u32_e32 v2, vcc_lo, v90, v2, vcc_lo
	s_clause 0x1
	flat_load_b64 v[3:4], v[1:2]
	flat_load_b64 v[1:2], v[1:2] offset:512
	s_waitcnt vmcnt(1) lgkmcnt(1)
	v_mul_f64 v[68:69], v[3:4], s[8:9]
	s_waitcnt vmcnt(0) lgkmcnt(0)
	v_mul_f64 v[70:71], v[1:2], s[8:9]
	s_and_b32 vcc_lo, exec_lo, s2
	s_mov_b64 s[12:13], 0
	s_cbranch_vccnz .LBB143_45
.LBB143_43:                             ;   in Loop: Header=BB143_28 Depth=1
	v_mad_u64_u32 v[1:2], null, v0, s19, 0
	s_delay_alu instid0(VALU_DEP_1) | instskip(NEXT) | instid1(VALU_DEP_1)
	v_mad_u64_u32 v[3:4], null, v0, s24, v[2:3]
	v_mov_b32_e32 v2, v3
	s_delay_alu instid0(VALU_DEP_1) | instskip(NEXT) | instid1(VALU_DEP_1)
	v_lshlrev_b64 v[0:1], 3, v[1:2]
	v_add_co_u32 v0, vcc_lo, v91, v0
	s_delay_alu instid0(VALU_DEP_2)
	v_add_co_ci_u32_e32 v1, vcc_lo, v92, v1, vcc_lo
	s_clause 0x1
	flat_load_b64 v[2:3], v[0:1]
	flat_load_b64 v[0:1], v[0:1] offset:512
	s_waitcnt vmcnt(1) lgkmcnt(1)
	v_mul_f64 v[72:73], v[2:3], s[8:9]
	s_waitcnt vmcnt(0) lgkmcnt(0)
	v_mul_f64 v[74:75], v[0:1], s[8:9]
	s_branch .LBB143_46
.LBB143_44:                             ;   in Loop: Header=BB143_28 Depth=1
	v_mov_b32_e32 v68, 0
	v_dual_mov_b32 v69, 0 :: v_dual_mov_b32 v70, 0
	v_mov_b32_e32 v71, 0
	s_and_b32 vcc_lo, exec_lo, s2
	s_mov_b64 s[12:13], 0
	s_cbranch_vccz .LBB143_43
.LBB143_45:                             ;   in Loop: Header=BB143_28 Depth=1
	v_mov_b32_e32 v72, 0
	v_dual_mov_b32 v73, 0 :: v_dual_mov_b32 v74, 0
	v_mov_b32_e32 v75, 0
.LBB143_46:                             ;   in Loop: Header=BB143_28 Depth=1
	v_dual_mov_b32 v125, 8 :: v_dual_add_nc_u32 v94, 0x800, v84
	ds_load_2addr_b64 v[0:3], v84 offset1:16
	ds_load_2addr_b64 v[4:7], v84 offset0:32 offset1:48
	ds_load_2addr_b64 v[8:11], v84 offset0:64 offset1:80
	;; [unrolled: 1-line block ×7, first 2 shown]
	ds_load_2addr_b64 v[32:35], v94 offset1:16
	ds_load_2addr_b64 v[36:39], v94 offset0:32 offset1:48
	ds_load_2addr_b64 v[40:43], v94 offset0:64 offset1:80
	;; [unrolled: 1-line block ×7, first 2 shown]
	ds_load_2addr_stride64_b64 v[64:67], v88 offset1:4
	v_dual_mov_b32 v126, 0 :: v_dual_mov_b32 v123, 24
	v_dual_mov_b32 v124, 16 :: v_dual_mov_b32 v121, 40
	;; [unrolled: 1-line block ×5, first 2 shown]
	v_mov_b32_e32 v116, 0x50
	v_mov_b32_e32 v114, 0x60
	;; [unrolled: 1-line block ×21, first 2 shown]
	s_mov_b32 s21, -1
.LBB143_47:                             ;   Parent Loop BB143_28 Depth=1
                                        ; =>  This Inner Loop Header: Depth=2
	scratch_load_b64 v[131:132], v126, off
	s_cmp_eq_u32 s12, 1
	s_waitcnt lgkmcnt(16)
	v_max_f64 v[129:130], v[0:1], v[0:1]
	s_cselect_b32 vcc_lo, -1, 0
	s_mov_b64 s[12:13], 1
	s_waitcnt lgkmcnt(0)
	v_dual_cndmask_b32 v128, v65, v67 :: v_dual_cndmask_b32 v127, v64, v66
	s_and_b32 vcc_lo, exec_lo, s21
	s_mov_b32 s21, 0
	s_delay_alu instid0(VALU_DEP_1) | instskip(NEXT) | instid1(VALU_DEP_1)
	v_max_f64 v[127:128], v[127:128], v[127:128]
	v_min_f64 v[129:130], v[129:130], v[127:128]
	s_waitcnt vmcnt(0)
	s_delay_alu instid0(VALU_DEP_1) | instskip(SKIP_3) | instid1(VALU_DEP_1)
	v_add_f64 v[129:130], v[131:132], v[129:130]
	scratch_load_b64 v[131:132], v125, off
	scratch_store_b64 v126, v[129:130], off
	v_max_f64 v[129:130], v[2:3], v[2:3]
	v_min_f64 v[129:130], v[129:130], v[127:128]
	s_waitcnt vmcnt(0)
	s_delay_alu instid0(VALU_DEP_1) | instskip(SKIP_3) | instid1(VALU_DEP_1)
	v_add_f64 v[129:130], v[129:130], v[131:132]
	scratch_store_b64 v125, v[129:130], off
	scratch_load_b64 v[129:130], v124, off
	v_max_f64 v[125:126], v[4:5], v[4:5]
	v_min_f64 v[125:126], v[125:126], v[127:128]
	s_waitcnt vmcnt(0)
	s_delay_alu instid0(VALU_DEP_1) | instskip(SKIP_3) | instid1(VALU_DEP_1)
	v_add_f64 v[125:126], v[125:126], v[129:130]
	scratch_load_b64 v[129:130], v123, off
	scratch_store_b64 v124, v[125:126], off
	v_max_f64 v[124:125], v[6:7], v[6:7]
	v_min_f64 v[124:125], v[124:125], v[127:128]
	s_waitcnt vmcnt(0)
	s_delay_alu instid0(VALU_DEP_1) | instskip(SKIP_3) | instid1(VALU_DEP_1)
	v_add_f64 v[124:125], v[124:125], v[129:130]
	scratch_store_b64 v123, v[124:125], off
	scratch_load_b64 v[125:126], v122, off
	v_max_f64 v[123:124], v[8:9], v[8:9]
	v_min_f64 v[123:124], v[123:124], v[127:128]
	s_waitcnt vmcnt(0)
	s_delay_alu instid0(VALU_DEP_1) | instskip(SKIP_4) | instid1(VALU_DEP_1)
	v_add_f64 v[123:124], v[123:124], v[125:126]
	v_mov_b32_e32 v126, 0x100
	scratch_store_b64 v122, v[123:124], off
	scratch_load_b64 v[124:125], v121, off
	v_max_f64 v[122:123], v[10:11], v[10:11]
	v_min_f64 v[122:123], v[122:123], v[127:128]
	s_waitcnt vmcnt(0)
	s_delay_alu instid0(VALU_DEP_1) | instskip(SKIP_4) | instid1(VALU_DEP_1)
	v_add_f64 v[122:123], v[122:123], v[124:125]
	v_mov_b32_e32 v125, 0x108
	scratch_store_b64 v121, v[122:123], off
	scratch_load_b64 v[123:124], v120, off
	v_max_f64 v[121:122], v[12:13], v[12:13]
	v_min_f64 v[121:122], v[121:122], v[127:128]
	s_waitcnt vmcnt(0)
	s_delay_alu instid0(VALU_DEP_1) | instskip(SKIP_4) | instid1(VALU_DEP_1)
	v_add_f64 v[121:122], v[121:122], v[123:124]
	v_mov_b32_e32 v124, 0x110
	scratch_store_b64 v120, v[121:122], off
	scratch_load_b64 v[122:123], v119, off
	v_max_f64 v[120:121], v[14:15], v[14:15]
	v_min_f64 v[120:121], v[120:121], v[127:128]
	s_waitcnt vmcnt(0)
	s_delay_alu instid0(VALU_DEP_1) | instskip(SKIP_4) | instid1(VALU_DEP_1)
	v_add_f64 v[120:121], v[120:121], v[122:123]
	v_mov_b32_e32 v123, 0x118
	scratch_store_b64 v119, v[120:121], off
	scratch_load_b64 v[121:122], v118, off
	v_max_f64 v[119:120], v[16:17], v[16:17]
	v_min_f64 v[119:120], v[119:120], v[127:128]
	s_waitcnt vmcnt(0)
	s_delay_alu instid0(VALU_DEP_1) | instskip(SKIP_4) | instid1(VALU_DEP_1)
	v_add_f64 v[119:120], v[119:120], v[121:122]
	v_mov_b32_e32 v122, 0x120
	scratch_store_b64 v118, v[119:120], off
	scratch_load_b64 v[120:121], v117, off
	v_max_f64 v[118:119], v[18:19], v[18:19]
	v_min_f64 v[118:119], v[118:119], v[127:128]
	s_waitcnt vmcnt(0)
	s_delay_alu instid0(VALU_DEP_1) | instskip(SKIP_4) | instid1(VALU_DEP_1)
	v_add_f64 v[118:119], v[118:119], v[120:121]
	v_mov_b32_e32 v121, 0x128
	scratch_store_b64 v117, v[118:119], off
	scratch_load_b64 v[119:120], v116, off
	v_max_f64 v[117:118], v[20:21], v[20:21]
	v_min_f64 v[117:118], v[117:118], v[127:128]
	s_waitcnt vmcnt(0)
	s_delay_alu instid0(VALU_DEP_1) | instskip(SKIP_4) | instid1(VALU_DEP_1)
	v_add_f64 v[117:118], v[117:118], v[119:120]
	v_mov_b32_e32 v120, 0x130
	scratch_store_b64 v116, v[117:118], off
	scratch_load_b64 v[118:119], v115, off
	v_max_f64 v[116:117], v[22:23], v[22:23]
	v_min_f64 v[116:117], v[116:117], v[127:128]
	s_waitcnt vmcnt(0)
	s_delay_alu instid0(VALU_DEP_1) | instskip(SKIP_4) | instid1(VALU_DEP_1)
	v_add_f64 v[116:117], v[116:117], v[118:119]
	v_mov_b32_e32 v119, 0x138
	scratch_store_b64 v115, v[116:117], off
	scratch_load_b64 v[117:118], v114, off
	v_max_f64 v[115:116], v[24:25], v[24:25]
	v_min_f64 v[115:116], v[115:116], v[127:128]
	s_waitcnt vmcnt(0)
	s_delay_alu instid0(VALU_DEP_1) | instskip(SKIP_4) | instid1(VALU_DEP_1)
	v_add_f64 v[115:116], v[115:116], v[117:118]
	v_mov_b32_e32 v118, 0x140
	scratch_store_b64 v114, v[115:116], off
	scratch_load_b64 v[116:117], v113, off
	v_max_f64 v[114:115], v[26:27], v[26:27]
	v_min_f64 v[114:115], v[114:115], v[127:128]
	s_waitcnt vmcnt(0)
	s_delay_alu instid0(VALU_DEP_1) | instskip(SKIP_4) | instid1(VALU_DEP_1)
	v_add_f64 v[114:115], v[114:115], v[116:117]
	v_mov_b32_e32 v117, 0x148
	scratch_store_b64 v113, v[114:115], off
	scratch_load_b64 v[115:116], v112, off
	v_max_f64 v[113:114], v[28:29], v[28:29]
	v_min_f64 v[113:114], v[113:114], v[127:128]
	s_waitcnt vmcnt(0)
	s_delay_alu instid0(VALU_DEP_1) | instskip(SKIP_4) | instid1(VALU_DEP_1)
	v_add_f64 v[113:114], v[113:114], v[115:116]
	v_mov_b32_e32 v116, 0x150
	scratch_store_b64 v112, v[113:114], off
	scratch_load_b64 v[114:115], v111, off
	v_max_f64 v[112:113], v[30:31], v[30:31]
	v_min_f64 v[112:113], v[112:113], v[127:128]
	s_waitcnt vmcnt(0)
	s_delay_alu instid0(VALU_DEP_1) | instskip(SKIP_4) | instid1(VALU_DEP_1)
	v_add_f64 v[112:113], v[112:113], v[114:115]
	v_mov_b32_e32 v115, 0x158
	scratch_store_b64 v111, v[112:113], off
	scratch_load_b64 v[113:114], v110, off
	v_max_f64 v[111:112], v[32:33], v[32:33]
	v_min_f64 v[111:112], v[111:112], v[127:128]
	s_waitcnt vmcnt(0)
	s_delay_alu instid0(VALU_DEP_1) | instskip(SKIP_4) | instid1(VALU_DEP_1)
	v_add_f64 v[111:112], v[111:112], v[113:114]
	v_mov_b32_e32 v114, 0x160
	scratch_store_b64 v110, v[111:112], off
	scratch_load_b64 v[112:113], v109, off
	v_max_f64 v[110:111], v[34:35], v[34:35]
	v_min_f64 v[110:111], v[110:111], v[127:128]
	s_waitcnt vmcnt(0)
	s_delay_alu instid0(VALU_DEP_1) | instskip(SKIP_4) | instid1(VALU_DEP_1)
	v_add_f64 v[110:111], v[110:111], v[112:113]
	v_mov_b32_e32 v113, 0x168
	scratch_store_b64 v109, v[110:111], off
	scratch_load_b64 v[111:112], v108, off
	v_max_f64 v[109:110], v[36:37], v[36:37]
	v_min_f64 v[109:110], v[109:110], v[127:128]
	s_waitcnt vmcnt(0)
	s_delay_alu instid0(VALU_DEP_1) | instskip(SKIP_4) | instid1(VALU_DEP_1)
	v_add_f64 v[109:110], v[109:110], v[111:112]
	v_mov_b32_e32 v112, 0x170
	scratch_store_b64 v108, v[109:110], off
	scratch_load_b64 v[110:111], v107, off
	v_max_f64 v[108:109], v[38:39], v[38:39]
	v_min_f64 v[108:109], v[108:109], v[127:128]
	s_waitcnt vmcnt(0)
	s_delay_alu instid0(VALU_DEP_1) | instskip(SKIP_4) | instid1(VALU_DEP_1)
	v_add_f64 v[108:109], v[108:109], v[110:111]
	v_mov_b32_e32 v111, 0x178
	scratch_store_b64 v107, v[108:109], off
	scratch_load_b64 v[109:110], v106, off
	v_max_f64 v[107:108], v[40:41], v[40:41]
	v_min_f64 v[107:108], v[107:108], v[127:128]
	s_waitcnt vmcnt(0)
	s_delay_alu instid0(VALU_DEP_1) | instskip(SKIP_4) | instid1(VALU_DEP_1)
	v_add_f64 v[107:108], v[107:108], v[109:110]
	v_mov_b32_e32 v110, 0x180
	scratch_store_b64 v106, v[107:108], off
	scratch_load_b64 v[108:109], v105, off
	v_max_f64 v[106:107], v[42:43], v[42:43]
	v_min_f64 v[106:107], v[106:107], v[127:128]
	s_waitcnt vmcnt(0)
	s_delay_alu instid0(VALU_DEP_1) | instskip(SKIP_4) | instid1(VALU_DEP_1)
	v_add_f64 v[106:107], v[106:107], v[108:109]
	v_mov_b32_e32 v109, 0x188
	scratch_store_b64 v105, v[106:107], off
	scratch_load_b64 v[107:108], v104, off
	v_max_f64 v[105:106], v[44:45], v[44:45]
	v_min_f64 v[105:106], v[105:106], v[127:128]
	s_waitcnt vmcnt(0)
	s_delay_alu instid0(VALU_DEP_1) | instskip(SKIP_4) | instid1(VALU_DEP_1)
	v_add_f64 v[105:106], v[105:106], v[107:108]
	v_mov_b32_e32 v108, 0x190
	scratch_store_b64 v104, v[105:106], off
	scratch_load_b64 v[106:107], v103, off
	v_max_f64 v[104:105], v[46:47], v[46:47]
	v_min_f64 v[104:105], v[104:105], v[127:128]
	s_waitcnt vmcnt(0)
	s_delay_alu instid0(VALU_DEP_1) | instskip(SKIP_4) | instid1(VALU_DEP_1)
	v_add_f64 v[104:105], v[104:105], v[106:107]
	v_mov_b32_e32 v107, 0x198
	scratch_store_b64 v103, v[104:105], off
	scratch_load_b64 v[105:106], v102, off
	v_max_f64 v[103:104], v[48:49], v[48:49]
	v_min_f64 v[103:104], v[103:104], v[127:128]
	s_waitcnt vmcnt(0)
	s_delay_alu instid0(VALU_DEP_1) | instskip(SKIP_4) | instid1(VALU_DEP_1)
	v_add_f64 v[103:104], v[103:104], v[105:106]
	v_mov_b32_e32 v106, 0x1a0
	scratch_store_b64 v102, v[103:104], off
	scratch_load_b64 v[104:105], v101, off
	v_max_f64 v[102:103], v[50:51], v[50:51]
	v_min_f64 v[102:103], v[102:103], v[127:128]
	s_waitcnt vmcnt(0)
	s_delay_alu instid0(VALU_DEP_1) | instskip(SKIP_4) | instid1(VALU_DEP_1)
	v_add_f64 v[102:103], v[102:103], v[104:105]
	v_mov_b32_e32 v105, 0x1a8
	scratch_store_b64 v101, v[102:103], off
	scratch_load_b64 v[103:104], v100, off
	v_max_f64 v[101:102], v[52:53], v[52:53]
	v_min_f64 v[101:102], v[101:102], v[127:128]
	s_waitcnt vmcnt(0)
	s_delay_alu instid0(VALU_DEP_1) | instskip(SKIP_4) | instid1(VALU_DEP_1)
	v_add_f64 v[101:102], v[101:102], v[103:104]
	v_mov_b32_e32 v104, 0x1b0
	scratch_store_b64 v100, v[101:102], off
	scratch_load_b64 v[102:103], v99, off
	v_max_f64 v[100:101], v[54:55], v[54:55]
	v_min_f64 v[100:101], v[100:101], v[127:128]
	s_waitcnt vmcnt(0)
	s_delay_alu instid0(VALU_DEP_1) | instskip(SKIP_4) | instid1(VALU_DEP_1)
	v_add_f64 v[100:101], v[100:101], v[102:103]
	v_mov_b32_e32 v103, 0x1b8
	scratch_store_b64 v99, v[100:101], off
	scratch_load_b64 v[101:102], v98, off
	v_max_f64 v[99:100], v[56:57], v[56:57]
	v_min_f64 v[99:100], v[99:100], v[127:128]
	s_waitcnt vmcnt(0)
	s_delay_alu instid0(VALU_DEP_1) | instskip(SKIP_4) | instid1(VALU_DEP_1)
	v_add_f64 v[99:100], v[99:100], v[101:102]
	v_mov_b32_e32 v102, 0x1c0
	scratch_store_b64 v98, v[99:100], off
	scratch_load_b64 v[100:101], v97, off
	v_max_f64 v[98:99], v[58:59], v[58:59]
	v_min_f64 v[98:99], v[98:99], v[127:128]
	s_waitcnt vmcnt(0)
	s_delay_alu instid0(VALU_DEP_1) | instskip(SKIP_4) | instid1(VALU_DEP_1)
	v_add_f64 v[98:99], v[98:99], v[100:101]
	v_mov_b32_e32 v101, 0x1c8
	scratch_store_b64 v97, v[98:99], off
	scratch_load_b64 v[99:100], v96, off
	v_max_f64 v[97:98], v[60:61], v[60:61]
	v_min_f64 v[97:98], v[97:98], v[127:128]
	s_waitcnt vmcnt(0)
	s_delay_alu instid0(VALU_DEP_1) | instskip(SKIP_4) | instid1(VALU_DEP_1)
	v_add_f64 v[97:98], v[97:98], v[99:100]
	v_mov_b32_e32 v100, 0x1d0
	scratch_store_b64 v96, v[97:98], off
	scratch_load_b64 v[98:99], v95, off
	v_max_f64 v[96:97], v[62:63], v[62:63]
	v_min_f64 v[96:97], v[96:97], v[127:128]
	s_waitcnt vmcnt(0)
	s_delay_alu instid0(VALU_DEP_1)
	v_add_f64 v[96:97], v[96:97], v[98:99]
	v_mov_b32_e32 v99, 0x1d8
	v_mov_b32_e32 v98, 0x1e0
	scratch_store_b64 v95, v[96:97], off
	v_mov_b32_e32 v97, 0x1e8
	v_mov_b32_e32 v96, 0x1f0
	;; [unrolled: 1-line block ×3, first 2 shown]
	s_cbranch_vccnz .LBB143_47
; %bb.48:                               ;   in Loop: Header=BB143_28 Depth=1
	ds_load_2addr_b64 v[0:3], v84 offset0:1 offset1:17
	ds_load_2addr_b64 v[4:7], v84 offset0:33 offset1:49
	;; [unrolled: 1-line block ×12, first 2 shown]
	v_dual_mov_b32 v125, 8 :: v_dual_add_nc_u32 v64, 8, v88
	ds_load_2addr_b64 v[48:51], v94 offset0:129 offset1:145
	ds_load_2addr_b64 v[52:55], v94 offset0:161 offset1:177
	;; [unrolled: 1-line block ×4, first 2 shown]
	ds_load_2addr_stride64_b64 v[64:67], v64 offset1:4
	v_dual_mov_b32 v126, 0 :: v_dual_mov_b32 v123, 24
	v_dual_mov_b32 v124, 16 :: v_dual_mov_b32 v121, 40
	;; [unrolled: 1-line block ×5, first 2 shown]
	v_mov_b32_e32 v116, 0x50
	v_mov_b32_e32 v114, 0x60
	;; [unrolled: 1-line block ×21, first 2 shown]
	s_mov_b64 s[12:13], 0
	s_mov_b32 s21, -1
.LBB143_49:                             ;   Parent Loop BB143_28 Depth=1
                                        ; =>  This Inner Loop Header: Depth=2
	scratch_load_b64 v[131:132], v126, off
	s_cmp_eq_u32 s12, 1
	s_waitcnt lgkmcnt(16)
	v_max_f64 v[129:130], v[0:1], v[0:1]
	s_cselect_b32 vcc_lo, -1, 0
	s_mov_b64 s[12:13], 1
	s_waitcnt lgkmcnt(0)
	v_dual_cndmask_b32 v128, v65, v67 :: v_dual_cndmask_b32 v127, v64, v66
	s_and_b32 vcc_lo, exec_lo, s21
	s_mov_b32 s21, 0
	s_delay_alu instid0(VALU_DEP_1) | instskip(NEXT) | instid1(VALU_DEP_1)
	v_max_f64 v[127:128], v[127:128], v[127:128]
	v_min_f64 v[129:130], v[129:130], v[127:128]
	s_waitcnt vmcnt(0)
	s_delay_alu instid0(VALU_DEP_1) | instskip(SKIP_3) | instid1(VALU_DEP_1)
	v_add_f64 v[129:130], v[131:132], v[129:130]
	scratch_load_b64 v[131:132], v125, off
	scratch_store_b64 v126, v[129:130], off
	v_max_f64 v[129:130], v[2:3], v[2:3]
	v_min_f64 v[129:130], v[129:130], v[127:128]
	s_waitcnt vmcnt(0)
	s_delay_alu instid0(VALU_DEP_1) | instskip(SKIP_3) | instid1(VALU_DEP_1)
	v_add_f64 v[129:130], v[129:130], v[131:132]
	scratch_store_b64 v125, v[129:130], off
	scratch_load_b64 v[129:130], v124, off
	v_max_f64 v[125:126], v[4:5], v[4:5]
	v_min_f64 v[125:126], v[125:126], v[127:128]
	s_waitcnt vmcnt(0)
	s_delay_alu instid0(VALU_DEP_1) | instskip(SKIP_3) | instid1(VALU_DEP_1)
	v_add_f64 v[125:126], v[125:126], v[129:130]
	scratch_load_b64 v[129:130], v123, off
	scratch_store_b64 v124, v[125:126], off
	v_max_f64 v[124:125], v[6:7], v[6:7]
	v_min_f64 v[124:125], v[124:125], v[127:128]
	s_waitcnt vmcnt(0)
	s_delay_alu instid0(VALU_DEP_1) | instskip(SKIP_3) | instid1(VALU_DEP_1)
	v_add_f64 v[124:125], v[124:125], v[129:130]
	scratch_store_b64 v123, v[124:125], off
	scratch_load_b64 v[125:126], v122, off
	v_max_f64 v[123:124], v[8:9], v[8:9]
	v_min_f64 v[123:124], v[123:124], v[127:128]
	s_waitcnt vmcnt(0)
	s_delay_alu instid0(VALU_DEP_1) | instskip(SKIP_4) | instid1(VALU_DEP_1)
	v_add_f64 v[123:124], v[123:124], v[125:126]
	v_mov_b32_e32 v126, 0x100
	scratch_store_b64 v122, v[123:124], off
	scratch_load_b64 v[124:125], v121, off
	v_max_f64 v[122:123], v[10:11], v[10:11]
	v_min_f64 v[122:123], v[122:123], v[127:128]
	s_waitcnt vmcnt(0)
	s_delay_alu instid0(VALU_DEP_1) | instskip(SKIP_4) | instid1(VALU_DEP_1)
	v_add_f64 v[122:123], v[122:123], v[124:125]
	v_mov_b32_e32 v125, 0x108
	;; [unrolled: 8-line block ×27, first 2 shown]
	scratch_store_b64 v96, v[97:98], off
	scratch_load_b64 v[98:99], v95, off
	v_max_f64 v[96:97], v[62:63], v[62:63]
	v_min_f64 v[96:97], v[96:97], v[127:128]
	s_waitcnt vmcnt(0)
	s_delay_alu instid0(VALU_DEP_1)
	v_add_f64 v[96:97], v[96:97], v[98:99]
	v_mov_b32_e32 v99, 0x1d8
	v_mov_b32_e32 v98, 0x1e0
	scratch_store_b64 v95, v[96:97], off
	v_mov_b32_e32 v97, 0x1e8
	v_mov_b32_e32 v96, 0x1f0
	;; [unrolled: 1-line block ×3, first 2 shown]
	s_cbranch_vccnz .LBB143_49
; %bb.50:                               ;   in Loop: Header=BB143_28 Depth=1
	ds_load_2addr_b64 v[0:3], v84 offset0:2 offset1:18
	ds_load_2addr_b64 v[4:7], v84 offset0:34 offset1:50
	;; [unrolled: 1-line block ×12, first 2 shown]
	v_dual_mov_b32 v125, 8 :: v_dual_add_nc_u32 v64, 16, v88
	ds_load_2addr_b64 v[48:51], v94 offset0:130 offset1:146
	ds_load_2addr_b64 v[52:55], v94 offset0:162 offset1:178
	;; [unrolled: 1-line block ×4, first 2 shown]
	ds_load_2addr_stride64_b64 v[64:67], v64 offset1:4
	v_dual_mov_b32 v126, 0 :: v_dual_mov_b32 v123, 24
	v_dual_mov_b32 v124, 16 :: v_dual_mov_b32 v121, 40
	;; [unrolled: 1-line block ×5, first 2 shown]
	v_mov_b32_e32 v116, 0x50
	v_mov_b32_e32 v114, 0x60
	;; [unrolled: 1-line block ×21, first 2 shown]
	s_mov_b64 s[12:13], 0
	s_mov_b32 s21, -1
.LBB143_51:                             ;   Parent Loop BB143_28 Depth=1
                                        ; =>  This Inner Loop Header: Depth=2
	scratch_load_b64 v[131:132], v126, off
	s_cmp_eq_u32 s12, 1
	s_waitcnt lgkmcnt(16)
	v_max_f64 v[129:130], v[0:1], v[0:1]
	s_cselect_b32 vcc_lo, -1, 0
	s_mov_b64 s[12:13], 1
	s_waitcnt lgkmcnt(0)
	v_dual_cndmask_b32 v128, v65, v67 :: v_dual_cndmask_b32 v127, v64, v66
	s_and_b32 vcc_lo, exec_lo, s21
	s_mov_b32 s21, 0
	s_delay_alu instid0(VALU_DEP_1) | instskip(NEXT) | instid1(VALU_DEP_1)
	v_max_f64 v[127:128], v[127:128], v[127:128]
	v_min_f64 v[129:130], v[129:130], v[127:128]
	s_waitcnt vmcnt(0)
	s_delay_alu instid0(VALU_DEP_1) | instskip(SKIP_3) | instid1(VALU_DEP_1)
	v_add_f64 v[129:130], v[131:132], v[129:130]
	scratch_load_b64 v[131:132], v125, off
	scratch_store_b64 v126, v[129:130], off
	v_max_f64 v[129:130], v[2:3], v[2:3]
	v_min_f64 v[129:130], v[129:130], v[127:128]
	s_waitcnt vmcnt(0)
	s_delay_alu instid0(VALU_DEP_1) | instskip(SKIP_3) | instid1(VALU_DEP_1)
	v_add_f64 v[129:130], v[129:130], v[131:132]
	scratch_store_b64 v125, v[129:130], off
	scratch_load_b64 v[129:130], v124, off
	v_max_f64 v[125:126], v[4:5], v[4:5]
	v_min_f64 v[125:126], v[125:126], v[127:128]
	s_waitcnt vmcnt(0)
	s_delay_alu instid0(VALU_DEP_1) | instskip(SKIP_3) | instid1(VALU_DEP_1)
	v_add_f64 v[125:126], v[125:126], v[129:130]
	scratch_load_b64 v[129:130], v123, off
	scratch_store_b64 v124, v[125:126], off
	v_max_f64 v[124:125], v[6:7], v[6:7]
	v_min_f64 v[124:125], v[124:125], v[127:128]
	s_waitcnt vmcnt(0)
	s_delay_alu instid0(VALU_DEP_1) | instskip(SKIP_3) | instid1(VALU_DEP_1)
	v_add_f64 v[124:125], v[124:125], v[129:130]
	scratch_store_b64 v123, v[124:125], off
	scratch_load_b64 v[125:126], v122, off
	v_max_f64 v[123:124], v[8:9], v[8:9]
	v_min_f64 v[123:124], v[123:124], v[127:128]
	s_waitcnt vmcnt(0)
	s_delay_alu instid0(VALU_DEP_1) | instskip(SKIP_4) | instid1(VALU_DEP_1)
	v_add_f64 v[123:124], v[123:124], v[125:126]
	v_mov_b32_e32 v126, 0x100
	scratch_store_b64 v122, v[123:124], off
	scratch_load_b64 v[124:125], v121, off
	v_max_f64 v[122:123], v[10:11], v[10:11]
	v_min_f64 v[122:123], v[122:123], v[127:128]
	s_waitcnt vmcnt(0)
	s_delay_alu instid0(VALU_DEP_1) | instskip(SKIP_4) | instid1(VALU_DEP_1)
	v_add_f64 v[122:123], v[122:123], v[124:125]
	v_mov_b32_e32 v125, 0x108
	;; [unrolled: 8-line block ×27, first 2 shown]
	scratch_store_b64 v96, v[97:98], off
	scratch_load_b64 v[98:99], v95, off
	v_max_f64 v[96:97], v[62:63], v[62:63]
	v_min_f64 v[96:97], v[96:97], v[127:128]
	s_waitcnt vmcnt(0)
	s_delay_alu instid0(VALU_DEP_1)
	v_add_f64 v[96:97], v[96:97], v[98:99]
	v_mov_b32_e32 v99, 0x1d8
	v_mov_b32_e32 v98, 0x1e0
	scratch_store_b64 v95, v[96:97], off
	v_mov_b32_e32 v97, 0x1e8
	v_mov_b32_e32 v96, 0x1f0
	;; [unrolled: 1-line block ×3, first 2 shown]
	s_cbranch_vccnz .LBB143_51
; %bb.52:                               ;   in Loop: Header=BB143_28 Depth=1
	ds_load_2addr_b64 v[0:3], v84 offset0:3 offset1:19
	ds_load_2addr_b64 v[4:7], v84 offset0:35 offset1:51
	;; [unrolled: 1-line block ×12, first 2 shown]
	v_dual_mov_b32 v125, 0 :: v_dual_add_nc_u32 v64, 24, v88
	ds_load_2addr_b64 v[48:51], v94 offset0:131 offset1:147
	ds_load_2addr_b64 v[52:55], v94 offset0:163 offset1:179
	;; [unrolled: 1-line block ×4, first 2 shown]
	ds_load_2addr_stride64_b64 v[64:67], v64 offset1:4
	v_dual_mov_b32 v124, 8 :: v_dual_mov_b32 v123, 16
	v_dual_mov_b32 v122, 24 :: v_dual_mov_b32 v121, 32
	;; [unrolled: 1-line block ×4, first 2 shown]
	v_mov_b32_e32 v116, 0x48
	v_mov_b32_e32 v115, 0x50
	;; [unrolled: 1-line block ×23, first 2 shown]
	s_mov_b64 s[12:13], 0
	s_mov_b32 s21, -1
.LBB143_53:                             ;   Parent Loop BB143_28 Depth=1
                                        ; =>  This Inner Loop Header: Depth=2
	scratch_load_b64 v[130:131], v125, off
	s_cmp_eq_u32 s12, 1
	s_waitcnt lgkmcnt(16)
	v_max_f64 v[128:129], v[0:1], v[0:1]
	s_cselect_b32 vcc_lo, -1, 0
	s_mov_b64 s[12:13], 1
	s_waitcnt lgkmcnt(0)
	v_dual_cndmask_b32 v127, v65, v67 :: v_dual_cndmask_b32 v126, v64, v66
	s_and_b32 vcc_lo, exec_lo, s21
	s_mov_b32 s21, 0
	s_delay_alu instid0(VALU_DEP_1) | instskip(NEXT) | instid1(VALU_DEP_1)
	v_max_f64 v[126:127], v[126:127], v[126:127]
	v_min_f64 v[128:129], v[128:129], v[126:127]
	s_waitcnt vmcnt(0)
	s_delay_alu instid0(VALU_DEP_1) | instskip(SKIP_3) | instid1(VALU_DEP_1)
	v_add_f64 v[128:129], v[130:131], v[128:129]
	scratch_load_b64 v[130:131], v124, off
	scratch_store_b64 v125, v[128:129], off
	v_max_f64 v[128:129], v[2:3], v[2:3]
	v_min_f64 v[128:129], v[128:129], v[126:127]
	s_waitcnt vmcnt(0)
	s_delay_alu instid0(VALU_DEP_1) | instskip(SKIP_3) | instid1(VALU_DEP_1)
	v_add_f64 v[128:129], v[128:129], v[130:131]
	scratch_store_b64 v124, v[128:129], off
	scratch_load_b64 v[128:129], v123, off
	v_max_f64 v[124:125], v[4:5], v[4:5]
	v_min_f64 v[124:125], v[124:125], v[126:127]
	s_waitcnt vmcnt(0)
	s_delay_alu instid0(VALU_DEP_1) | instskip(SKIP_3) | instid1(VALU_DEP_1)
	v_add_f64 v[124:125], v[124:125], v[128:129]
	scratch_load_b64 v[128:129], v122, off
	scratch_store_b64 v123, v[124:125], off
	v_max_f64 v[123:124], v[6:7], v[6:7]
	v_min_f64 v[123:124], v[123:124], v[126:127]
	s_waitcnt vmcnt(0)
	s_delay_alu instid0(VALU_DEP_1) | instskip(SKIP_3) | instid1(VALU_DEP_1)
	v_add_f64 v[123:124], v[123:124], v[128:129]
	scratch_store_b64 v122, v[123:124], off
	scratch_load_b64 v[124:125], v121, off
	v_max_f64 v[122:123], v[8:9], v[8:9]
	v_min_f64 v[122:123], v[122:123], v[126:127]
	s_waitcnt vmcnt(0)
	s_delay_alu instid0(VALU_DEP_1) | instskip(SKIP_4) | instid1(VALU_DEP_1)
	v_add_f64 v[122:123], v[122:123], v[124:125]
	v_mov_b32_e32 v125, 0x100
	scratch_store_b64 v121, v[122:123], off
	scratch_load_b64 v[123:124], v120, off
	v_max_f64 v[121:122], v[10:11], v[10:11]
	v_min_f64 v[121:122], v[121:122], v[126:127]
	s_waitcnt vmcnt(0)
	s_delay_alu instid0(VALU_DEP_1) | instskip(SKIP_4) | instid1(VALU_DEP_1)
	v_add_f64 v[121:122], v[121:122], v[123:124]
	v_mov_b32_e32 v124, 0x108
	scratch_store_b64 v120, v[121:122], off
	scratch_load_b64 v[122:123], v119, off
	v_max_f64 v[120:121], v[12:13], v[12:13]
	v_min_f64 v[120:121], v[120:121], v[126:127]
	s_waitcnt vmcnt(0)
	s_delay_alu instid0(VALU_DEP_1) | instskip(SKIP_4) | instid1(VALU_DEP_1)
	v_add_f64 v[120:121], v[120:121], v[122:123]
	v_mov_b32_e32 v123, 0x110
	scratch_store_b64 v119, v[120:121], off
	scratch_load_b64 v[121:122], v118, off
	v_max_f64 v[119:120], v[14:15], v[14:15]
	v_min_f64 v[119:120], v[119:120], v[126:127]
	s_waitcnt vmcnt(0)
	s_delay_alu instid0(VALU_DEP_1) | instskip(SKIP_4) | instid1(VALU_DEP_1)
	v_add_f64 v[119:120], v[119:120], v[121:122]
	v_mov_b32_e32 v122, 0x118
	scratch_store_b64 v118, v[119:120], off
	scratch_load_b64 v[120:121], v117, off
	v_max_f64 v[118:119], v[16:17], v[16:17]
	v_min_f64 v[118:119], v[118:119], v[126:127]
	s_waitcnt vmcnt(0)
	s_delay_alu instid0(VALU_DEP_1) | instskip(SKIP_4) | instid1(VALU_DEP_1)
	v_add_f64 v[118:119], v[118:119], v[120:121]
	v_mov_b32_e32 v121, 0x120
	scratch_store_b64 v117, v[118:119], off
	scratch_load_b64 v[119:120], v116, off
	v_max_f64 v[117:118], v[18:19], v[18:19]
	v_min_f64 v[117:118], v[117:118], v[126:127]
	s_waitcnt vmcnt(0)
	s_delay_alu instid0(VALU_DEP_1) | instskip(SKIP_4) | instid1(VALU_DEP_1)
	v_add_f64 v[117:118], v[117:118], v[119:120]
	v_mov_b32_e32 v120, 0x128
	scratch_store_b64 v116, v[117:118], off
	scratch_load_b64 v[118:119], v115, off
	v_max_f64 v[116:117], v[20:21], v[20:21]
	v_min_f64 v[116:117], v[116:117], v[126:127]
	s_waitcnt vmcnt(0)
	s_delay_alu instid0(VALU_DEP_1) | instskip(SKIP_4) | instid1(VALU_DEP_1)
	v_add_f64 v[116:117], v[116:117], v[118:119]
	v_mov_b32_e32 v119, 0x130
	scratch_store_b64 v115, v[116:117], off
	scratch_load_b64 v[117:118], v114, off
	v_max_f64 v[115:116], v[22:23], v[22:23]
	v_min_f64 v[115:116], v[115:116], v[126:127]
	s_waitcnt vmcnt(0)
	s_delay_alu instid0(VALU_DEP_1) | instskip(SKIP_4) | instid1(VALU_DEP_1)
	v_add_f64 v[115:116], v[115:116], v[117:118]
	v_mov_b32_e32 v118, 0x138
	scratch_store_b64 v114, v[115:116], off
	scratch_load_b64 v[116:117], v113, off
	v_max_f64 v[114:115], v[24:25], v[24:25]
	v_min_f64 v[114:115], v[114:115], v[126:127]
	s_waitcnt vmcnt(0)
	s_delay_alu instid0(VALU_DEP_1) | instskip(SKIP_4) | instid1(VALU_DEP_1)
	v_add_f64 v[114:115], v[114:115], v[116:117]
	v_mov_b32_e32 v117, 0x140
	scratch_store_b64 v113, v[114:115], off
	scratch_load_b64 v[115:116], v112, off
	v_max_f64 v[113:114], v[26:27], v[26:27]
	v_min_f64 v[113:114], v[113:114], v[126:127]
	s_waitcnt vmcnt(0)
	s_delay_alu instid0(VALU_DEP_1) | instskip(SKIP_4) | instid1(VALU_DEP_1)
	v_add_f64 v[113:114], v[113:114], v[115:116]
	v_mov_b32_e32 v116, 0x148
	scratch_store_b64 v112, v[113:114], off
	scratch_load_b64 v[114:115], v111, off
	v_max_f64 v[112:113], v[28:29], v[28:29]
	v_min_f64 v[112:113], v[112:113], v[126:127]
	s_waitcnt vmcnt(0)
	s_delay_alu instid0(VALU_DEP_1) | instskip(SKIP_4) | instid1(VALU_DEP_1)
	v_add_f64 v[112:113], v[112:113], v[114:115]
	v_mov_b32_e32 v115, 0x150
	scratch_store_b64 v111, v[112:113], off
	scratch_load_b64 v[113:114], v110, off
	v_max_f64 v[111:112], v[30:31], v[30:31]
	v_min_f64 v[111:112], v[111:112], v[126:127]
	s_waitcnt vmcnt(0)
	s_delay_alu instid0(VALU_DEP_1) | instskip(SKIP_4) | instid1(VALU_DEP_1)
	v_add_f64 v[111:112], v[111:112], v[113:114]
	v_mov_b32_e32 v114, 0x158
	scratch_store_b64 v110, v[111:112], off
	scratch_load_b64 v[112:113], v109, off
	v_max_f64 v[110:111], v[32:33], v[32:33]
	v_min_f64 v[110:111], v[110:111], v[126:127]
	s_waitcnt vmcnt(0)
	s_delay_alu instid0(VALU_DEP_1) | instskip(SKIP_4) | instid1(VALU_DEP_1)
	v_add_f64 v[110:111], v[110:111], v[112:113]
	v_mov_b32_e32 v113, 0x160
	scratch_store_b64 v109, v[110:111], off
	scratch_load_b64 v[111:112], v108, off
	v_max_f64 v[109:110], v[34:35], v[34:35]
	v_min_f64 v[109:110], v[109:110], v[126:127]
	s_waitcnt vmcnt(0)
	s_delay_alu instid0(VALU_DEP_1) | instskip(SKIP_4) | instid1(VALU_DEP_1)
	v_add_f64 v[109:110], v[109:110], v[111:112]
	v_mov_b32_e32 v112, 0x168
	scratch_store_b64 v108, v[109:110], off
	scratch_load_b64 v[110:111], v107, off
	v_max_f64 v[108:109], v[36:37], v[36:37]
	v_min_f64 v[108:109], v[108:109], v[126:127]
	s_waitcnt vmcnt(0)
	s_delay_alu instid0(VALU_DEP_1) | instskip(SKIP_4) | instid1(VALU_DEP_1)
	v_add_f64 v[108:109], v[108:109], v[110:111]
	v_mov_b32_e32 v111, 0x170
	scratch_store_b64 v107, v[108:109], off
	scratch_load_b64 v[109:110], v106, off
	v_max_f64 v[107:108], v[38:39], v[38:39]
	v_min_f64 v[107:108], v[107:108], v[126:127]
	s_waitcnt vmcnt(0)
	s_delay_alu instid0(VALU_DEP_1) | instskip(SKIP_4) | instid1(VALU_DEP_1)
	v_add_f64 v[107:108], v[107:108], v[109:110]
	v_mov_b32_e32 v110, 0x178
	scratch_store_b64 v106, v[107:108], off
	scratch_load_b64 v[108:109], v105, off
	v_max_f64 v[106:107], v[40:41], v[40:41]
	v_min_f64 v[106:107], v[106:107], v[126:127]
	s_waitcnt vmcnt(0)
	s_delay_alu instid0(VALU_DEP_1) | instskip(SKIP_4) | instid1(VALU_DEP_1)
	v_add_f64 v[106:107], v[106:107], v[108:109]
	v_mov_b32_e32 v109, 0x180
	scratch_store_b64 v105, v[106:107], off
	scratch_load_b64 v[107:108], v104, off
	v_max_f64 v[105:106], v[42:43], v[42:43]
	v_min_f64 v[105:106], v[105:106], v[126:127]
	s_waitcnt vmcnt(0)
	s_delay_alu instid0(VALU_DEP_1) | instskip(SKIP_4) | instid1(VALU_DEP_1)
	v_add_f64 v[105:106], v[105:106], v[107:108]
	v_mov_b32_e32 v108, 0x188
	scratch_store_b64 v104, v[105:106], off
	scratch_load_b64 v[106:107], v103, off
	v_max_f64 v[104:105], v[44:45], v[44:45]
	v_min_f64 v[104:105], v[104:105], v[126:127]
	s_waitcnt vmcnt(0)
	s_delay_alu instid0(VALU_DEP_1) | instskip(SKIP_4) | instid1(VALU_DEP_1)
	v_add_f64 v[104:105], v[104:105], v[106:107]
	v_mov_b32_e32 v107, 0x190
	scratch_store_b64 v103, v[104:105], off
	scratch_load_b64 v[105:106], v102, off
	v_max_f64 v[103:104], v[46:47], v[46:47]
	v_min_f64 v[103:104], v[103:104], v[126:127]
	s_waitcnt vmcnt(0)
	s_delay_alu instid0(VALU_DEP_1) | instskip(SKIP_4) | instid1(VALU_DEP_1)
	v_add_f64 v[103:104], v[103:104], v[105:106]
	v_mov_b32_e32 v106, 0x198
	scratch_store_b64 v102, v[103:104], off
	scratch_load_b64 v[104:105], v101, off
	v_max_f64 v[102:103], v[48:49], v[48:49]
	v_min_f64 v[102:103], v[102:103], v[126:127]
	s_waitcnt vmcnt(0)
	s_delay_alu instid0(VALU_DEP_1) | instskip(SKIP_4) | instid1(VALU_DEP_1)
	v_add_f64 v[102:103], v[102:103], v[104:105]
	v_mov_b32_e32 v105, 0x1a0
	scratch_store_b64 v101, v[102:103], off
	scratch_load_b64 v[103:104], v100, off
	v_max_f64 v[101:102], v[50:51], v[50:51]
	v_min_f64 v[101:102], v[101:102], v[126:127]
	s_waitcnt vmcnt(0)
	s_delay_alu instid0(VALU_DEP_1) | instskip(SKIP_4) | instid1(VALU_DEP_1)
	v_add_f64 v[101:102], v[101:102], v[103:104]
	v_mov_b32_e32 v104, 0x1a8
	scratch_store_b64 v100, v[101:102], off
	scratch_load_b64 v[102:103], v99, off
	v_max_f64 v[100:101], v[52:53], v[52:53]
	v_min_f64 v[100:101], v[100:101], v[126:127]
	s_waitcnt vmcnt(0)
	s_delay_alu instid0(VALU_DEP_1) | instskip(SKIP_4) | instid1(VALU_DEP_1)
	v_add_f64 v[100:101], v[100:101], v[102:103]
	v_mov_b32_e32 v103, 0x1b0
	scratch_store_b64 v99, v[100:101], off
	scratch_load_b64 v[101:102], v98, off
	v_max_f64 v[99:100], v[54:55], v[54:55]
	v_min_f64 v[99:100], v[99:100], v[126:127]
	s_waitcnt vmcnt(0)
	s_delay_alu instid0(VALU_DEP_1) | instskip(SKIP_4) | instid1(VALU_DEP_1)
	v_add_f64 v[99:100], v[99:100], v[101:102]
	v_mov_b32_e32 v102, 0x1b8
	scratch_store_b64 v98, v[99:100], off
	scratch_load_b64 v[100:101], v97, off
	v_max_f64 v[98:99], v[56:57], v[56:57]
	v_min_f64 v[98:99], v[98:99], v[126:127]
	s_waitcnt vmcnt(0)
	s_delay_alu instid0(VALU_DEP_1) | instskip(SKIP_4) | instid1(VALU_DEP_1)
	v_add_f64 v[98:99], v[98:99], v[100:101]
	v_mov_b32_e32 v101, 0x1c0
	scratch_store_b64 v97, v[98:99], off
	scratch_load_b64 v[99:100], v96, off
	v_max_f64 v[97:98], v[58:59], v[58:59]
	v_min_f64 v[97:98], v[97:98], v[126:127]
	s_waitcnt vmcnt(0)
	s_delay_alu instid0(VALU_DEP_1) | instskip(SKIP_4) | instid1(VALU_DEP_1)
	v_add_f64 v[97:98], v[97:98], v[99:100]
	v_mov_b32_e32 v100, 0x1c8
	scratch_store_b64 v96, v[97:98], off
	scratch_load_b64 v[98:99], v95, off
	v_max_f64 v[96:97], v[60:61], v[60:61]
	v_min_f64 v[96:97], v[96:97], v[126:127]
	s_waitcnt vmcnt(0)
	s_delay_alu instid0(VALU_DEP_1) | instskip(SKIP_4) | instid1(VALU_DEP_1)
	v_add_f64 v[96:97], v[96:97], v[98:99]
	v_mov_b32_e32 v99, 0x1d0
	scratch_store_b64 v95, v[96:97], off
	scratch_load_b64 v[97:98], v94, off
	v_max_f64 v[95:96], v[62:63], v[62:63]
	v_min_f64 v[95:96], v[95:96], v[126:127]
	s_waitcnt vmcnt(0)
	s_delay_alu instid0(VALU_DEP_1)
	v_add_f64 v[95:96], v[95:96], v[97:98]
	v_mov_b32_e32 v98, 0x1d8
	v_mov_b32_e32 v97, 0x1e0
	scratch_store_b64 v94, v[95:96], off
	v_mov_b32_e32 v96, 0x1e8
	v_mov_b32_e32 v95, 0x1f0
	;; [unrolled: 1-line block ×3, first 2 shown]
	s_cbranch_vccnz .LBB143_53
; %bb.54:                               ;   in Loop: Header=BB143_28 Depth=1
	s_add_i32 s20, s20, 8
	s_add_i32 s14, s14, 8
	s_cmp_ge_i32 s20, s15
	ds_store_2addr_stride64_b64 v76, v[68:69], v[70:71] offset1:4
	ds_store_2addr_stride64_b64 v77, v[72:73], v[74:75] offset1:4
	s_waitcnt lgkmcnt(0)
	s_waitcnt_vscnt null, 0x0
	s_barrier
	buffer_gl0_inv
	s_cbranch_scc0 .LBB143_28
.LBB143_55:
	v_dual_mov_b32 v71, 8 :: v_dual_add_nc_u32 v28, 0x1000, v84
	v_dual_mov_b32 v75, 40 :: v_dual_add_nc_u32 v60, 0x1800, v84
	;; [unrolled: 1-line block ×3, first 2 shown]
	ds_load_2addr_b64 v[0:3], v28 offset1:16
	ds_load_2addr_b64 v[4:7], v28 offset0:32 offset1:48
	ds_load_2addr_b64 v[8:11], v28 offset0:64 offset1:80
	;; [unrolled: 1-line block ×7, first 2 shown]
	ds_load_2addr_b64 v[32:35], v60 offset1:16
	ds_load_2addr_b64 v[36:39], v60 offset0:32 offset1:48
	ds_load_2addr_b64 v[40:43], v60 offset0:64 offset1:80
	;; [unrolled: 1-line block ×7, first 2 shown]
	ds_load_2addr_stride64_b64 v[64:67], v86 offset0:24 offset1:28
	v_dual_mov_b32 v70, 0 :: v_dual_add_nc_u32 v69, 0x3000, v86
	v_dual_mov_b32 v72, 16 :: v_dual_mov_b32 v77, 56
	v_dual_mov_b32 v74, 32 :: v_dual_mov_b32 v79, 0x48
	;; [unrolled: 1-line block ×4, first 2 shown]
	v_mov_b32_e32 v82, 0x50
	v_mov_b32_e32 v84, 0x60
	;; [unrolled: 1-line block ×20, first 2 shown]
	s_mov_b64 s[2:3], 0
	s_mov_b32 s8, -1
.LBB143_56:                             ; =>This Inner Loop Header: Depth=1
	scratch_load_b64 v[104:105], v70, off
	scratch_load_b64 v[106:107], v71, off
	;; [unrolled: 1-line block ×32, first 2 shown]
	s_cmp_eq_u32 s2, 1
	s_waitcnt lgkmcnt(16)
	v_max_f64 v[170:171], v[0:1], v[0:1]
	s_cselect_b32 vcc_lo, -1, 0
	v_max_f64 v[172:173], v[2:3], v[2:3]
	s_waitcnt lgkmcnt(0)
	v_dual_cndmask_b32 v169, v65, v67 :: v_dual_cndmask_b32 v168, v64, v66
	v_max_f64 v[174:175], v[4:5], v[4:5]
	v_max_f64 v[176:177], v[6:7], v[6:7]
	;; [unrolled: 1-line block ×31, first 2 shown]
	s_mov_b64 s[2:3], 1
	s_and_b32 vcc_lo, exec_lo, s8
	s_mov_b32 s8, 0
	v_min_f64 v[170:171], v[170:171], v[168:169]
	v_min_f64 v[172:173], v[172:173], v[168:169]
	;; [unrolled: 1-line block ×32, first 2 shown]
	s_waitcnt vmcnt(31)
	v_add_f64 v[104:105], v[104:105], v[170:171]
	s_waitcnt vmcnt(30)
	v_add_f64 v[106:107], v[172:173], v[106:107]
	;; [unrolled: 2-line block ×32, first 2 shown]
	scratch_store_b64 v70, v[104:105], off
	scratch_store_b64 v71, v[106:107], off
	;; [unrolled: 1-line block ×32, first 2 shown]
	v_mov_b32_e32 v70, 0x100
	v_mov_b32_e32 v71, 0x108
	v_mov_b32_e32 v72, 0x110
	v_mov_b32_e32 v73, 0x118
	v_mov_b32_e32 v74, 0x120
	v_mov_b32_e32 v75, 0x128
	v_mov_b32_e32 v76, 0x130
	v_mov_b32_e32 v77, 0x138
	v_mov_b32_e32 v78, 0x140
	v_mov_b32_e32 v79, 0x148
	v_mov_b32_e32 v82, 0x150
	v_mov_b32_e32 v83, 0x158
	v_mov_b32_e32 v84, 0x160
	v_mov_b32_e32 v85, 0x168
	v_mov_b32_e32 v86, 0x170
	v_mov_b32_e32 v87, 0x178
	v_mov_b32_e32 v88, 0x180
	v_mov_b32_e32 v89, 0x188
	v_mov_b32_e32 v90, 0x190
	v_mov_b32_e32 v91, 0x198
	v_mov_b32_e32 v92, 0x1a0
	v_mov_b32_e32 v93, 0x1a8
	v_mov_b32_e32 v94, 0x1b0
	v_mov_b32_e32 v95, 0x1b8
	v_mov_b32_e32 v96, 0x1c0
	v_mov_b32_e32 v97, 0x1c8
	v_mov_b32_e32 v98, 0x1d0
	v_mov_b32_e32 v99, 0x1d8
	v_mov_b32_e32 v100, 0x1e0
	v_mov_b32_e32 v101, 0x1e8
	v_mov_b32_e32 v102, 0x1f0
	v_mov_b32_e32 v103, 0x1f8
	s_cbranch_vccnz .LBB143_56
; %bb.57:
	v_dual_mov_b32 v71, 8 :: v_dual_add_nc_u32 v60, 0x800, v68
	ds_load_2addr_b64 v[0:3], v68 offset0:1 offset1:17
	ds_load_2addr_b64 v[4:7], v68 offset0:33 offset1:49
	;; [unrolled: 1-line block ×12, first 2 shown]
	v_dual_mov_b32 v73, 24 :: v_dual_add_nc_u32 v64, 8, v69
	ds_load_2addr_b64 v[48:51], v60 offset0:129 offset1:145
	ds_load_2addr_b64 v[52:55], v60 offset0:161 offset1:177
	;; [unrolled: 1-line block ×4, first 2 shown]
	ds_load_2addr_stride64_b64 v[64:67], v64 offset1:4
	v_dual_mov_b32 v70, 0 :: v_dual_mov_b32 v75, 40
	v_dual_mov_b32 v72, 16 :: v_dual_mov_b32 v77, 56
	;; [unrolled: 1-line block ×5, first 2 shown]
	v_mov_b32_e32 v82, 0x50
	v_mov_b32_e32 v84, 0x60
	;; [unrolled: 1-line block ×20, first 2 shown]
	s_mov_b64 s[2:3], 0
	s_mov_b32 s8, -1
.LBB143_58:                             ; =>This Inner Loop Header: Depth=1
	scratch_load_b64 v[104:105], v70, off
	scratch_load_b64 v[106:107], v71, off
	;; [unrolled: 1-line block ×32, first 2 shown]
	s_cmp_eq_u32 s2, 1
	s_waitcnt lgkmcnt(16)
	v_max_f64 v[170:171], v[0:1], v[0:1]
	s_cselect_b32 vcc_lo, -1, 0
	v_max_f64 v[172:173], v[2:3], v[2:3]
	s_waitcnt lgkmcnt(0)
	v_dual_cndmask_b32 v169, v65, v67 :: v_dual_cndmask_b32 v168, v64, v66
	v_max_f64 v[174:175], v[4:5], v[4:5]
	v_max_f64 v[176:177], v[6:7], v[6:7]
	v_max_f64 v[178:179], v[8:9], v[8:9]
	v_max_f64 v[180:181], v[10:11], v[10:11]
	v_max_f64 v[168:169], v[168:169], v[168:169]
	v_max_f64 v[182:183], v[12:13], v[12:13]
	v_max_f64 v[184:185], v[14:15], v[14:15]
	v_max_f64 v[186:187], v[16:17], v[16:17]
	v_max_f64 v[188:189], v[18:19], v[18:19]
	v_max_f64 v[190:191], v[20:21], v[20:21]
	v_max_f64 v[192:193], v[22:23], v[22:23]
	v_max_f64 v[194:195], v[24:25], v[24:25]
	v_max_f64 v[196:197], v[26:27], v[26:27]
	v_max_f64 v[198:199], v[28:29], v[28:29]
	v_max_f64 v[200:201], v[30:31], v[30:31]
	v_max_f64 v[202:203], v[32:33], v[32:33]
	v_max_f64 v[204:205], v[34:35], v[34:35]
	v_max_f64 v[206:207], v[36:37], v[36:37]
	v_max_f64 v[208:209], v[38:39], v[38:39]
	v_max_f64 v[210:211], v[40:41], v[40:41]
	v_max_f64 v[212:213], v[42:43], v[42:43]
	v_max_f64 v[214:215], v[44:45], v[44:45]
	v_max_f64 v[216:217], v[46:47], v[46:47]
	v_max_f64 v[218:219], v[48:49], v[48:49]
	v_max_f64 v[220:221], v[50:51], v[50:51]
	v_max_f64 v[222:223], v[52:53], v[52:53]
	v_max_f64 v[224:225], v[54:55], v[54:55]
	v_max_f64 v[226:227], v[56:57], v[56:57]
	v_max_f64 v[228:229], v[58:59], v[58:59]
	v_max_f64 v[230:231], v[60:61], v[60:61]
	v_max_f64 v[232:233], v[62:63], v[62:63]
	s_mov_b64 s[2:3], 1
	s_and_b32 vcc_lo, exec_lo, s8
	s_mov_b32 s8, 0
	v_min_f64 v[170:171], v[170:171], v[168:169]
	v_min_f64 v[172:173], v[172:173], v[168:169]
	;; [unrolled: 1-line block ×32, first 2 shown]
	s_waitcnt vmcnt(31)
	v_add_f64 v[104:105], v[104:105], v[170:171]
	s_waitcnt vmcnt(30)
	v_add_f64 v[106:107], v[172:173], v[106:107]
	;; [unrolled: 2-line block ×32, first 2 shown]
	scratch_store_b64 v70, v[104:105], off
	scratch_store_b64 v71, v[106:107], off
	;; [unrolled: 1-line block ×32, first 2 shown]
	v_mov_b32_e32 v70, 0x100
	v_mov_b32_e32 v71, 0x108
	v_mov_b32_e32 v72, 0x110
	v_mov_b32_e32 v73, 0x118
	v_mov_b32_e32 v74, 0x120
	v_mov_b32_e32 v75, 0x128
	v_mov_b32_e32 v76, 0x130
	v_mov_b32_e32 v77, 0x138
	v_mov_b32_e32 v78, 0x140
	v_mov_b32_e32 v79, 0x148
	v_mov_b32_e32 v82, 0x150
	v_mov_b32_e32 v83, 0x158
	v_mov_b32_e32 v84, 0x160
	v_mov_b32_e32 v85, 0x168
	v_mov_b32_e32 v86, 0x170
	v_mov_b32_e32 v87, 0x178
	v_mov_b32_e32 v88, 0x180
	v_mov_b32_e32 v89, 0x188
	v_mov_b32_e32 v90, 0x190
	v_mov_b32_e32 v91, 0x198
	v_mov_b32_e32 v92, 0x1a0
	v_mov_b32_e32 v93, 0x1a8
	v_mov_b32_e32 v94, 0x1b0
	v_mov_b32_e32 v95, 0x1b8
	v_mov_b32_e32 v96, 0x1c0
	v_mov_b32_e32 v97, 0x1c8
	v_mov_b32_e32 v98, 0x1d0
	v_mov_b32_e32 v99, 0x1d8
	v_mov_b32_e32 v100, 0x1e0
	v_mov_b32_e32 v101, 0x1e8
	v_mov_b32_e32 v102, 0x1f0
	v_mov_b32_e32 v103, 0x1f8
	s_cbranch_vccnz .LBB143_58
; %bb.59:
	v_dual_mov_b32 v71, 8 :: v_dual_add_nc_u32 v60, 0x800, v68
	ds_load_2addr_b64 v[0:3], v68 offset0:2 offset1:18
	ds_load_2addr_b64 v[4:7], v68 offset0:34 offset1:50
	ds_load_2addr_b64 v[8:11], v68 offset0:66 offset1:82
	ds_load_2addr_b64 v[12:15], v68 offset0:98 offset1:114
	ds_load_2addr_b64 v[16:19], v68 offset0:130 offset1:146
	ds_load_2addr_b64 v[20:23], v68 offset0:162 offset1:178
	ds_load_2addr_b64 v[24:27], v68 offset0:194 offset1:210
	ds_load_2addr_b64 v[28:31], v68 offset0:226 offset1:242
	ds_load_2addr_b64 v[32:35], v60 offset0:2 offset1:18
	ds_load_2addr_b64 v[36:39], v60 offset0:34 offset1:50
	ds_load_2addr_b64 v[40:43], v60 offset0:66 offset1:82
	ds_load_2addr_b64 v[44:47], v60 offset0:98 offset1:114
	v_dual_mov_b32 v73, 24 :: v_dual_add_nc_u32 v64, 16, v69
	ds_load_2addr_b64 v[48:51], v60 offset0:130 offset1:146
	ds_load_2addr_b64 v[52:55], v60 offset0:162 offset1:178
	;; [unrolled: 1-line block ×4, first 2 shown]
	ds_load_2addr_stride64_b64 v[64:67], v64 offset1:4
	v_dual_mov_b32 v70, 0 :: v_dual_mov_b32 v75, 40
	v_dual_mov_b32 v72, 16 :: v_dual_mov_b32 v77, 56
	;; [unrolled: 1-line block ×5, first 2 shown]
	v_mov_b32_e32 v82, 0x50
	v_mov_b32_e32 v84, 0x60
	;; [unrolled: 1-line block ×20, first 2 shown]
	s_mov_b64 s[2:3], 0
	s_mov_b32 s8, -1
.LBB143_60:                             ; =>This Inner Loop Header: Depth=1
	scratch_load_b64 v[104:105], v70, off
	scratch_load_b64 v[106:107], v71, off
	scratch_load_b64 v[108:109], v72, off
	scratch_load_b64 v[110:111], v73, off
	scratch_load_b64 v[112:113], v74, off
	scratch_load_b64 v[114:115], v75, off
	scratch_load_b64 v[116:117], v76, off
	scratch_load_b64 v[118:119], v77, off
	scratch_load_b64 v[120:121], v78, off
	scratch_load_b64 v[122:123], v79, off
	scratch_load_b64 v[124:125], v82, off
	scratch_load_b64 v[126:127], v83, off
	scratch_load_b64 v[128:129], v84, off
	scratch_load_b64 v[130:131], v85, off
	scratch_load_b64 v[132:133], v86, off
	scratch_load_b64 v[134:135], v87, off
	scratch_load_b64 v[136:137], v88, off
	scratch_load_b64 v[138:139], v89, off
	scratch_load_b64 v[140:141], v90, off
	scratch_load_b64 v[142:143], v91, off
	scratch_load_b64 v[144:145], v92, off
	scratch_load_b64 v[146:147], v93, off
	scratch_load_b64 v[148:149], v94, off
	scratch_load_b64 v[150:151], v95, off
	scratch_load_b64 v[152:153], v96, off
	scratch_load_b64 v[154:155], v97, off
	scratch_load_b64 v[156:157], v98, off
	scratch_load_b64 v[158:159], v99, off
	scratch_load_b64 v[160:161], v100, off
	scratch_load_b64 v[162:163], v101, off
	scratch_load_b64 v[164:165], v102, off
	scratch_load_b64 v[166:167], v103, off
	s_cmp_eq_u32 s2, 1
	s_waitcnt lgkmcnt(16)
	v_max_f64 v[170:171], v[0:1], v[0:1]
	s_cselect_b32 vcc_lo, -1, 0
	v_max_f64 v[172:173], v[2:3], v[2:3]
	s_waitcnt lgkmcnt(0)
	v_dual_cndmask_b32 v169, v65, v67 :: v_dual_cndmask_b32 v168, v64, v66
	v_max_f64 v[174:175], v[4:5], v[4:5]
	v_max_f64 v[176:177], v[6:7], v[6:7]
	;; [unrolled: 1-line block ×31, first 2 shown]
	s_mov_b64 s[2:3], 1
	s_and_b32 vcc_lo, exec_lo, s8
	s_mov_b32 s8, 0
	v_min_f64 v[170:171], v[170:171], v[168:169]
	v_min_f64 v[172:173], v[172:173], v[168:169]
	;; [unrolled: 1-line block ×32, first 2 shown]
	s_waitcnt vmcnt(31)
	v_add_f64 v[104:105], v[104:105], v[170:171]
	s_waitcnt vmcnt(30)
	v_add_f64 v[106:107], v[172:173], v[106:107]
	;; [unrolled: 2-line block ×32, first 2 shown]
	scratch_store_b64 v70, v[104:105], off
	scratch_store_b64 v71, v[106:107], off
	;; [unrolled: 1-line block ×32, first 2 shown]
	v_mov_b32_e32 v70, 0x100
	v_mov_b32_e32 v71, 0x108
	;; [unrolled: 1-line block ×32, first 2 shown]
	s_cbranch_vccnz .LBB143_60
; %bb.61:
	v_add_nc_u32_e32 v60, 0x800, v68
	ds_load_2addr_b64 v[0:3], v68 offset0:3 offset1:19
	ds_load_2addr_b64 v[4:7], v68 offset0:35 offset1:51
	;; [unrolled: 1-line block ×4, first 2 shown]
	v_dual_mov_b32 v71, 24 :: v_dual_add_nc_u32 v64, 24, v69
	v_mov_b32_e32 v69, 8
	ds_load_2addr_b64 v[16:19], v68 offset0:131 offset1:147
	ds_load_2addr_b64 v[20:23], v68 offset0:163 offset1:179
	;; [unrolled: 1-line block ×12, first 2 shown]
	ds_load_2addr_stride64_b64 v[64:67], v64 offset1:4
	v_dual_mov_b32 v68, 0 :: v_dual_mov_b32 v73, 40
	v_dual_mov_b32 v70, 16 :: v_dual_mov_b32 v75, 56
	v_dual_mov_b32 v72, 32 :: v_dual_mov_b32 v77, 0x48
	v_dual_mov_b32 v74, 48 :: v_dual_mov_b32 v79, 0x58
	v_dual_mov_b32 v76, 64 :: v_dual_mov_b32 v83, 0x68
	v_mov_b32_e32 v78, 0x50
	v_mov_b32_e32 v82, 0x60
	;; [unrolled: 1-line block ×20, first 2 shown]
	s_mov_b64 s[2:3], 0
	s_mov_b32 s8, -1
.LBB143_62:                             ; =>This Inner Loop Header: Depth=1
	scratch_load_b64 v[102:103], v68, off
	scratch_load_b64 v[104:105], v69, off
	;; [unrolled: 1-line block ×32, first 2 shown]
	s_cmp_eq_u32 s2, 1
	s_waitcnt lgkmcnt(16)
	v_max_f64 v[168:169], v[0:1], v[0:1]
	s_cselect_b32 vcc_lo, -1, 0
	v_max_f64 v[170:171], v[2:3], v[2:3]
	s_waitcnt lgkmcnt(0)
	v_dual_cndmask_b32 v167, v65, v67 :: v_dual_cndmask_b32 v166, v64, v66
	v_max_f64 v[172:173], v[4:5], v[4:5]
	v_max_f64 v[174:175], v[6:7], v[6:7]
	;; [unrolled: 1-line block ×31, first 2 shown]
	s_mov_b64 s[2:3], 1
	s_and_b32 vcc_lo, exec_lo, s8
	s_mov_b32 s8, 0
	v_min_f64 v[168:169], v[168:169], v[166:167]
	v_min_f64 v[170:171], v[170:171], v[166:167]
	;; [unrolled: 1-line block ×32, first 2 shown]
	s_waitcnt vmcnt(31)
	v_add_f64 v[102:103], v[102:103], v[168:169]
	s_waitcnt vmcnt(30)
	v_add_f64 v[104:105], v[170:171], v[104:105]
	;; [unrolled: 2-line block ×32, first 2 shown]
	scratch_store_b64 v68, v[102:103], off
	scratch_store_b64 v69, v[104:105], off
	;; [unrolled: 1-line block ×32, first 2 shown]
	v_mov_b32_e32 v68, 0x100
	v_mov_b32_e32 v69, 0x108
	;; [unrolled: 1-line block ×32, first 2 shown]
	s_cbranch_vccnz .LBB143_62
; %bb.63:
	scratch_load_b64 v[2:3], off, off
	s_load_b32 s3, s[0:1], 0x58
	v_dual_mov_b32 v4, 0 :: v_dual_add_nc_u32 v71, s17, v81
	v_dual_mov_b32 v5, 0 :: v_dual_add_nc_u32 v16, s16, v80
	v_mov_b32_e32 v8, 0
	v_mov_b32_e32 v9, 0
	s_and_b32 s2, exec_lo, s18
	s_delay_alu instid0(VALU_DEP_3) | instskip(SKIP_2) | instid1(VALU_DEP_1)
	v_ashrrev_i32_e32 v17, 31, v16
	s_waitcnt lgkmcnt(0)
	v_mad_i64_i32 v[0:1], null, v71, s3, 0
	v_lshlrev_b64 v[0:1], 3, v[0:1]
	s_delay_alu instid0(VALU_DEP_1) | instskip(NEXT) | instid1(VALU_DEP_2)
	v_add_co_u32 v72, vcc_lo, s4, v0
	v_add_co_ci_u32_e32 v73, vcc_lo, s5, v1, vcc_lo
	v_lshlrev_b64 v[0:1], 3, v[16:17]
	s_mov_b32 vcc_lo, s2
	s_cbranch_vccz .LBB143_65
; %bb.64:
	s_delay_alu instid0(VALU_DEP_1) | instskip(NEXT) | instid1(VALU_DEP_2)
	v_add_co_u32 v6, vcc_lo, v72, v0
	v_add_co_ci_u32_e32 v7, vcc_lo, v73, v1, vcc_lo
	flat_load_b64 v[6:7], v[6:7]
	s_waitcnt vmcnt(0) lgkmcnt(0)
	v_mul_f64 v[8:9], v[6:7], s[6:7]
.LBB143_65:
	scratch_load_b64 v[6:7], off, off offset:8
	s_clause 0x1
	s_load_b32 s8, s[0:1], 0x70
	s_load_b64 s[0:1], s[0:1], 0x78
	s_waitcnt vmcnt(1)
	v_add_f64 v[8:9], v[2:3], v[8:9]
	v_add_nc_u32_e32 v10, 4, v16
	v_cndmask_b32_e64 v12, 0, 1, s18
	s_delay_alu instid0(VALU_DEP_2)
	v_ashrrev_i32_e32 v11, 31, v10
	s_waitcnt lgkmcnt(0)
	v_mad_i64_i32 v[2:3], null, v71, s8, 0
	s_lshl_b64 s[12:13], s[0:1], 3
	v_cmp_ne_u32_e64 s0, 1, v12
	s_add_u32 s1, s10, s12
	s_addc_u32 s9, s11, s13
	s_delay_alu instid0(VALU_DEP_2) | instskip(NEXT) | instid1(VALU_DEP_1)
	v_lshlrev_b64 v[2:3], 3, v[2:3]
	v_add_co_u32 v74, vcc_lo, s1, v2
	s_delay_alu instid0(VALU_DEP_2) | instskip(SKIP_1) | instid1(VALU_DEP_3)
	v_add_co_ci_u32_e32 v75, vcc_lo, s9, v3, vcc_lo
	v_lshlrev_b64 v[2:3], 3, v[10:11]
	v_add_co_u32 v12, vcc_lo, v74, v0
	s_delay_alu instid0(VALU_DEP_3)
	v_add_co_ci_u32_e32 v13, vcc_lo, v75, v1, vcc_lo
	s_and_not1_b32 vcc_lo, exec_lo, s18
	global_store_b64 v[12:13], v[8:9], off
	s_cbranch_vccnz .LBB143_67
; %bb.66:
	v_add_co_u32 v4, vcc_lo, v72, v2
	v_add_co_ci_u32_e32 v5, vcc_lo, v73, v3, vcc_lo
	flat_load_b64 v[4:5], v[4:5]
	s_waitcnt vmcnt(0) lgkmcnt(0)
	v_mul_f64 v[4:5], v[4:5], s[6:7]
.LBB143_67:
	scratch_load_b64 v[10:11], off, off offset:16
	s_waitcnt vmcnt(1)
	v_add_f64 v[12:13], v[6:7], v[4:5]
	v_add_nc_u32_e32 v4, 8, v16
	v_mov_b32_e32 v8, 0
	v_mov_b32_e32 v9, 0
	v_add_co_u32 v14, vcc_lo, v74, v2
	s_delay_alu instid0(VALU_DEP_4) | instskip(SKIP_3) | instid1(VALU_DEP_4)
	v_ashrrev_i32_e32 v5, 31, v4
	v_mov_b32_e32 v6, 0
	v_mov_b32_e32 v7, 0
	v_add_co_ci_u32_e32 v15, vcc_lo, v75, v3, vcc_lo
	v_lshlrev_b64 v[4:5], 3, v[4:5]
	s_and_b32 vcc_lo, exec_lo, s0
	global_store_b64 v[14:15], v[12:13], off
	s_cbranch_vccnz .LBB143_69
; %bb.68:
	v_add_co_u32 v6, vcc_lo, v72, v4
	v_add_co_ci_u32_e32 v7, vcc_lo, v73, v5, vcc_lo
	flat_load_b64 v[6:7], v[6:7]
	s_waitcnt vmcnt(0) lgkmcnt(0)
	v_mul_f64 v[6:7], v[6:7], s[6:7]
.LBB143_69:
	scratch_load_b64 v[12:13], off, off offset:24
	s_waitcnt vmcnt(1)
	v_add_f64 v[10:11], v[10:11], v[6:7]
	v_add_nc_u32_e32 v6, 12, v16
	v_add_co_u32 v14, vcc_lo, v74, v4
	v_add_co_ci_u32_e32 v15, vcc_lo, v75, v5, vcc_lo
	s_delay_alu instid0(VALU_DEP_3) | instskip(SKIP_1) | instid1(VALU_DEP_1)
	v_ashrrev_i32_e32 v7, 31, v6
	s_and_b32 vcc_lo, exec_lo, s0
	v_lshlrev_b64 v[6:7], 3, v[6:7]
	global_store_b64 v[14:15], v[10:11], off
	s_cbranch_vccnz .LBB143_71
; %bb.70:
	v_add_co_u32 v8, vcc_lo, v72, v6
	v_add_co_ci_u32_e32 v9, vcc_lo, v73, v7, vcc_lo
	flat_load_b64 v[8:9], v[8:9]
	s_waitcnt vmcnt(0) lgkmcnt(0)
	v_mul_f64 v[8:9], v[8:9], s[6:7]
.LBB143_71:
	scratch_load_b64 v[10:11], off, off offset:32
	s_waitcnt vmcnt(1)
	v_add_f64 v[17:18], v[12:13], v[8:9]
	v_add_nc_u32_e32 v8, 16, v16
	v_mov_b32_e32 v12, 0
	v_mov_b32_e32 v13, 0
	v_add_co_u32 v19, vcc_lo, v74, v6
	s_delay_alu instid0(VALU_DEP_4) | instskip(SKIP_3) | instid1(VALU_DEP_4)
	v_ashrrev_i32_e32 v9, 31, v8
	v_mov_b32_e32 v14, 0
	v_mov_b32_e32 v15, 0
	v_add_co_ci_u32_e32 v20, vcc_lo, v75, v7, vcc_lo
	v_lshlrev_b64 v[8:9], 3, v[8:9]
	s_and_b32 vcc_lo, exec_lo, s0
	global_store_b64 v[19:20], v[17:18], off
	s_cbranch_vccnz .LBB143_73
; %bb.72:
	v_add_co_u32 v14, vcc_lo, v72, v8
	v_add_co_ci_u32_e32 v15, vcc_lo, v73, v9, vcc_lo
	flat_load_b64 v[14:15], v[14:15]
	s_waitcnt vmcnt(0) lgkmcnt(0)
	v_mul_f64 v[14:15], v[14:15], s[6:7]
.LBB143_73:
	scratch_load_b64 v[17:18], off, off offset:40
	s_waitcnt vmcnt(1)
	v_add_f64 v[14:15], v[10:11], v[14:15]
	v_add_nc_u32_e32 v10, 20, v16
	v_add_co_u32 v19, vcc_lo, v74, v8
	v_add_co_ci_u32_e32 v20, vcc_lo, v75, v9, vcc_lo
	s_delay_alu instid0(VALU_DEP_3) | instskip(SKIP_1) | instid1(VALU_DEP_1)
	v_ashrrev_i32_e32 v11, 31, v10
	s_and_b32 vcc_lo, exec_lo, s0
	v_lshlrev_b64 v[10:11], 3, v[10:11]
	global_store_b64 v[19:20], v[14:15], off
	s_cbranch_vccnz .LBB143_75
; %bb.74:
	v_add_co_u32 v12, vcc_lo, v72, v10
	v_add_co_ci_u32_e32 v13, vcc_lo, v73, v11, vcc_lo
	flat_load_b64 v[12:13], v[12:13]
	s_waitcnt vmcnt(0) lgkmcnt(0)
	v_mul_f64 v[12:13], v[12:13], s[6:7]
.LBB143_75:
	scratch_load_b64 v[14:15], off, off offset:48
	s_waitcnt vmcnt(1)
	v_add_f64 v[21:22], v[17:18], v[12:13]
	v_dual_mov_b32 v17, 0 :: v_dual_add_nc_u32 v12, 24, v16
	v_add_co_u32 v23, vcc_lo, v74, v10
	v_dual_mov_b32 v18, 0 :: v_dual_mov_b32 v19, 0
	s_delay_alu instid0(VALU_DEP_3) | instskip(SKIP_3) | instid1(VALU_DEP_3)
	v_ashrrev_i32_e32 v13, 31, v12
	v_add_co_ci_u32_e32 v24, vcc_lo, v75, v11, vcc_lo
	v_mov_b32_e32 v20, 0
	s_and_b32 vcc_lo, exec_lo, s0
	v_lshlrev_b64 v[12:13], 3, v[12:13]
	global_store_b64 v[23:24], v[21:22], off
	s_cbranch_vccnz .LBB143_77
; %bb.76:
	v_add_co_u32 v19, vcc_lo, v72, v12
	v_add_co_ci_u32_e32 v20, vcc_lo, v73, v13, vcc_lo
	flat_load_b64 v[19:20], v[19:20]
	s_waitcnt vmcnt(0) lgkmcnt(0)
	v_mul_f64 v[19:20], v[19:20], s[6:7]
.LBB143_77:
	scratch_load_b64 v[21:22], off, off offset:56
	s_waitcnt vmcnt(1)
	v_add_f64 v[19:20], v[14:15], v[19:20]
	v_add_nc_u32_e32 v14, 28, v16
	v_add_co_u32 v23, vcc_lo, v74, v12
	v_add_co_ci_u32_e32 v24, vcc_lo, v75, v13, vcc_lo
	s_delay_alu instid0(VALU_DEP_3) | instskip(SKIP_1) | instid1(VALU_DEP_1)
	v_ashrrev_i32_e32 v15, 31, v14
	s_and_b32 vcc_lo, exec_lo, s0
	v_lshlrev_b64 v[14:15], 3, v[14:15]
	global_store_b64 v[23:24], v[19:20], off
	s_cbranch_vccnz .LBB143_79
; %bb.78:
	v_add_co_u32 v17, vcc_lo, v72, v14
	v_add_co_ci_u32_e32 v18, vcc_lo, v73, v15, vcc_lo
	flat_load_b64 v[17:18], v[17:18]
	s_waitcnt vmcnt(0) lgkmcnt(0)
	v_mul_f64 v[17:18], v[17:18], s[6:7]
.LBB143_79:
	scratch_load_b64 v[19:20], off, off offset:64
	s_waitcnt vmcnt(1)
	v_add_f64 v[25:26], v[21:22], v[17:18]
	v_add_nc_u32_e32 v17, 32, v16
	v_mov_b32_e32 v21, 0
	v_mov_b32_e32 v22, 0
	v_add_co_u32 v27, vcc_lo, v74, v14
	s_delay_alu instid0(VALU_DEP_4) | instskip(SKIP_3) | instid1(VALU_DEP_4)
	v_ashrrev_i32_e32 v18, 31, v17
	v_mov_b32_e32 v23, 0
	v_mov_b32_e32 v24, 0
	v_add_co_ci_u32_e32 v28, vcc_lo, v75, v15, vcc_lo
	v_lshlrev_b64 v[17:18], 3, v[17:18]
	s_and_b32 vcc_lo, exec_lo, s0
	global_store_b64 v[27:28], v[25:26], off
	s_cbranch_vccnz .LBB143_81
; %bb.80:
	v_add_co_u32 v23, vcc_lo, v72, v17
	v_add_co_ci_u32_e32 v24, vcc_lo, v73, v18, vcc_lo
	flat_load_b64 v[23:24], v[23:24]
	s_waitcnt vmcnt(0) lgkmcnt(0)
	v_mul_f64 v[23:24], v[23:24], s[6:7]
.LBB143_81:
	scratch_load_b64 v[25:26], off, off offset:72
	s_waitcnt vmcnt(1)
	v_add_f64 v[23:24], v[19:20], v[23:24]
	v_add_nc_u32_e32 v19, 36, v16
	v_add_co_u32 v27, vcc_lo, v74, v17
	v_add_co_ci_u32_e32 v28, vcc_lo, v75, v18, vcc_lo
	s_delay_alu instid0(VALU_DEP_3) | instskip(SKIP_1) | instid1(VALU_DEP_1)
	v_ashrrev_i32_e32 v20, 31, v19
	s_and_b32 vcc_lo, exec_lo, s0
	v_lshlrev_b64 v[19:20], 3, v[19:20]
	global_store_b64 v[27:28], v[23:24], off
	s_cbranch_vccnz .LBB143_83
; %bb.82:
	v_add_co_u32 v21, vcc_lo, v72, v19
	v_add_co_ci_u32_e32 v22, vcc_lo, v73, v20, vcc_lo
	flat_load_b64 v[21:22], v[21:22]
	s_waitcnt vmcnt(0) lgkmcnt(0)
	v_mul_f64 v[21:22], v[21:22], s[6:7]
.LBB143_83:
	scratch_load_b64 v[23:24], off, off offset:80
	s_waitcnt vmcnt(1)
	v_add_f64 v[29:30], v[25:26], v[21:22]
	v_add_nc_u32_e32 v21, 40, v16
	v_mov_b32_e32 v25, 0
	v_mov_b32_e32 v26, 0
	v_add_co_u32 v31, vcc_lo, v74, v19
	s_delay_alu instid0(VALU_DEP_4) | instskip(SKIP_3) | instid1(VALU_DEP_4)
	v_ashrrev_i32_e32 v22, 31, v21
	v_mov_b32_e32 v27, 0
	v_mov_b32_e32 v28, 0
	v_add_co_ci_u32_e32 v32, vcc_lo, v75, v20, vcc_lo
	v_lshlrev_b64 v[21:22], 3, v[21:22]
	s_and_b32 vcc_lo, exec_lo, s0
	;; [unrolled: 42-line block ×12, first 2 shown]
	global_store_b64 v[76:77], v[67:68], off
	s_cbranch_vccnz .LBB143_125
; %bb.124:
	v_add_co_u32 v67, vcc_lo, v72, v61
	v_add_co_ci_u32_e32 v68, vcc_lo, v73, v62, vcc_lo
	flat_load_b64 v[67:68], v[67:68]
	s_waitcnt vmcnt(0) lgkmcnt(0)
	v_mul_f64 v[69:70], v[67:68], s[6:7]
.LBB143_125:
	scratch_load_b64 v[67:68], off, off offset:248
	s_waitcnt vmcnt(1)
	v_add_f64 v[69:70], v[63:64], v[69:70]
	v_add_nc_u32_e32 v63, 0x7c, v16
	v_add_co_u32 v76, vcc_lo, v74, v61
	v_add_co_ci_u32_e32 v77, vcc_lo, v75, v62, vcc_lo
	s_delay_alu instid0(VALU_DEP_3) | instskip(SKIP_1) | instid1(VALU_DEP_1)
	v_ashrrev_i32_e32 v64, 31, v63
	s_and_b32 vcc_lo, exec_lo, s0
	v_lshlrev_b64 v[63:64], 3, v[63:64]
	global_store_b64 v[76:77], v[69:70], off
	s_cbranch_vccnz .LBB143_127
; %bb.126:
	v_add_co_u32 v65, vcc_lo, v72, v63
	v_add_co_ci_u32_e32 v66, vcc_lo, v73, v64, vcc_lo
	flat_load_b64 v[65:66], v[65:66]
	s_waitcnt vmcnt(0) lgkmcnt(0)
	v_mul_f64 v[65:66], v[65:66], s[6:7]
.LBB143_127:
	scratch_load_b64 v[69:70], off, off offset:256
	s_waitcnt vmcnt(1)
	v_add_f64 v[67:68], v[67:68], v[65:66]
	v_add_nc_u32_e32 v76, 64, v71
	v_add_co_u32 v74, vcc_lo, v74, v63
	v_add_co_ci_u32_e32 v75, vcc_lo, v75, v64, vcc_lo
	s_delay_alu instid0(VALU_DEP_3) | instskip(SKIP_2) | instid1(VALU_DEP_3)
	v_mad_i64_i32 v[65:66], null, v76, s3, 0
	v_mov_b32_e32 v71, 0
	v_mov_b32_e32 v72, 0
	v_lshlrev_b64 v[77:78], 3, v[65:66]
	v_mov_b32_e32 v65, 0
	v_mov_b32_e32 v66, 0
	s_delay_alu instid0(VALU_DEP_3) | instskip(NEXT) | instid1(VALU_DEP_4)
	v_add_co_u32 v16, vcc_lo, s4, v77
	v_add_co_ci_u32_e32 v73, vcc_lo, s5, v78, vcc_lo
	s_mov_b32 vcc_lo, s2
	global_store_b64 v[74:75], v[67:68], off
	s_cbranch_vccz .LBB143_129
; %bb.128:
	v_add_co_u32 v67, vcc_lo, v16, v0
	v_add_co_ci_u32_e32 v68, vcc_lo, v73, v1, vcc_lo
	flat_load_b64 v[67:68], v[67:68]
	s_waitcnt vmcnt(0) lgkmcnt(0)
	v_mul_f64 v[71:72], v[67:68], s[6:7]
.LBB143_129:
	scratch_load_b64 v[67:68], off, off offset:264
	s_waitcnt vmcnt(1)
	v_add_f64 v[69:70], v[69:70], v[71:72]
	v_mad_i64_i32 v[71:72], null, v76, s8, 0
	s_delay_alu instid0(VALU_DEP_1) | instskip(NEXT) | instid1(VALU_DEP_1)
	v_lshlrev_b64 v[71:72], 3, v[71:72]
	v_add_co_u32 v71, vcc_lo, s1, v71
	s_delay_alu instid0(VALU_DEP_2) | instskip(NEXT) | instid1(VALU_DEP_2)
	v_add_co_ci_u32_e32 v72, vcc_lo, s9, v72, vcc_lo
	v_add_co_u32 v0, vcc_lo, v71, v0
	s_delay_alu instid0(VALU_DEP_2)
	v_add_co_ci_u32_e32 v1, vcc_lo, v72, v1, vcc_lo
	s_and_b32 vcc_lo, exec_lo, s0
	global_store_b64 v[0:1], v[69:70], off
	s_cbranch_vccnz .LBB143_131
; %bb.130:
	v_add_co_u32 v0, vcc_lo, v16, v2
	v_add_co_ci_u32_e32 v1, vcc_lo, v73, v3, vcc_lo
	flat_load_b64 v[0:1], v[0:1]
	s_waitcnt vmcnt(0) lgkmcnt(0)
	v_mul_f64 v[65:66], v[0:1], s[6:7]
.LBB143_131:
	scratch_load_b64 v[69:70], off, off offset:272
	s_waitcnt vmcnt(1)
	v_add_f64 v[65:66], v[67:68], v[65:66]
	v_add_co_u32 v67, vcc_lo, v71, v2
	v_mov_b32_e32 v0, 0
	v_add_co_ci_u32_e32 v68, vcc_lo, v72, v3, vcc_lo
	v_dual_mov_b32 v1, 0 :: v_dual_mov_b32 v2, 0
	v_mov_b32_e32 v3, 0
	s_and_b32 vcc_lo, exec_lo, s0
	global_store_b64 v[67:68], v[65:66], off
	s_cbranch_vccnz .LBB143_133
; %bb.132:
	v_add_co_u32 v2, vcc_lo, v16, v4
	v_add_co_ci_u32_e32 v3, vcc_lo, v73, v5, vcc_lo
	flat_load_b64 v[2:3], v[2:3]
	s_waitcnt vmcnt(0) lgkmcnt(0)
	v_mul_f64 v[2:3], v[2:3], s[6:7]
.LBB143_133:
	scratch_load_b64 v[65:66], off, off offset:280
	s_waitcnt vmcnt(1)
	v_add_f64 v[2:3], v[69:70], v[2:3]
	v_add_co_u32 v4, vcc_lo, v71, v4
	v_add_co_ci_u32_e32 v5, vcc_lo, v72, v5, vcc_lo
	s_and_b32 vcc_lo, exec_lo, s0
	global_store_b64 v[4:5], v[2:3], off
	s_cbranch_vccnz .LBB143_135
; %bb.134:
	v_add_co_u32 v0, vcc_lo, v16, v6
	v_add_co_ci_u32_e32 v1, vcc_lo, v73, v7, vcc_lo
	flat_load_b64 v[0:1], v[0:1]
	s_waitcnt vmcnt(0) lgkmcnt(0)
	v_mul_f64 v[0:1], v[0:1], s[6:7]
.LBB143_135:
	scratch_load_b64 v[2:3], off, off offset:288
	s_waitcnt vmcnt(1)
	v_add_f64 v[4:5], v[65:66], v[0:1]
	v_add_co_u32 v65, vcc_lo, v71, v6
	v_mov_b32_e32 v0, 0
	v_add_co_ci_u32_e32 v66, vcc_lo, v72, v7, vcc_lo
	v_dual_mov_b32 v1, 0 :: v_dual_mov_b32 v6, 0
	v_mov_b32_e32 v7, 0
	s_and_b32 vcc_lo, exec_lo, s0
	global_store_b64 v[65:66], v[4:5], off
	s_cbranch_vccnz .LBB143_137
; %bb.136:
	v_add_co_u32 v4, vcc_lo, v16, v8
	v_add_co_ci_u32_e32 v5, vcc_lo, v73, v9, vcc_lo
	flat_load_b64 v[4:5], v[4:5]
	s_waitcnt vmcnt(0) lgkmcnt(0)
	v_mul_f64 v[6:7], v[4:5], s[6:7]
.LBB143_137:
	scratch_load_b64 v[4:5], off, off offset:296
	s_waitcnt vmcnt(1)
	v_add_f64 v[2:3], v[2:3], v[6:7]
	v_add_co_u32 v6, vcc_lo, v71, v8
	v_add_co_ci_u32_e32 v7, vcc_lo, v72, v9, vcc_lo
	s_and_b32 vcc_lo, exec_lo, s0
	global_store_b64 v[6:7], v[2:3], off
	s_cbranch_vccnz .LBB143_139
; %bb.138:
	v_add_co_u32 v0, vcc_lo, v16, v10
	v_add_co_ci_u32_e32 v1, vcc_lo, v73, v11, vcc_lo
	flat_load_b64 v[0:1], v[0:1]
	s_waitcnt vmcnt(0) lgkmcnt(0)
	v_mul_f64 v[0:1], v[0:1], s[6:7]
.LBB143_139:
	scratch_load_b64 v[2:3], off, off offset:304
	s_waitcnt vmcnt(1)
	v_add_f64 v[4:5], v[4:5], v[0:1]
	v_add_co_u32 v8, vcc_lo, v71, v10
	v_mov_b32_e32 v0, 0
	v_dual_mov_b32 v1, 0 :: v_dual_mov_b32 v6, 0
	v_add_co_ci_u32_e32 v9, vcc_lo, v72, v11, vcc_lo
	v_mov_b32_e32 v7, 0
	s_and_b32 vcc_lo, exec_lo, s0
	global_store_b64 v[8:9], v[4:5], off
	s_cbranch_vccnz .LBB143_141
; %bb.140:
	v_add_co_u32 v4, vcc_lo, v16, v12
	v_add_co_ci_u32_e32 v5, vcc_lo, v73, v13, vcc_lo
	flat_load_b64 v[4:5], v[4:5]
	s_waitcnt vmcnt(0) lgkmcnt(0)
	v_mul_f64 v[6:7], v[4:5], s[6:7]
.LBB143_141:
	scratch_load_b64 v[4:5], off, off offset:312
	s_waitcnt vmcnt(1)
	v_add_f64 v[2:3], v[2:3], v[6:7]
	v_add_co_u32 v6, vcc_lo, v71, v12
	v_add_co_ci_u32_e32 v7, vcc_lo, v72, v13, vcc_lo
	s_and_b32 vcc_lo, exec_lo, s0
	global_store_b64 v[6:7], v[2:3], off
	s_cbranch_vccnz .LBB143_143
; %bb.142:
	v_add_co_u32 v0, vcc_lo, v16, v14
	v_add_co_ci_u32_e32 v1, vcc_lo, v73, v15, vcc_lo
	flat_load_b64 v[0:1], v[0:1]
	s_waitcnt vmcnt(0) lgkmcnt(0)
	v_mul_f64 v[0:1], v[0:1], s[6:7]
.LBB143_143:
	scratch_load_b64 v[2:3], off, off offset:320
	s_waitcnt vmcnt(1)
	v_add_f64 v[4:5], v[4:5], v[0:1]
	v_add_co_u32 v8, vcc_lo, v71, v14
	v_mov_b32_e32 v0, 0
	v_dual_mov_b32 v1, 0 :: v_dual_mov_b32 v6, 0
	v_add_co_ci_u32_e32 v9, vcc_lo, v72, v15, vcc_lo
	;; [unrolled: 33-line block ×13, first 2 shown]
	v_mov_b32_e32 v7, 0
	s_and_b32 vcc_lo, exec_lo, s0
	global_store_b64 v[8:9], v[4:5], off
	s_cbranch_vccnz .LBB143_189
; %bb.188:
	v_add_co_u32 v4, vcc_lo, v16, v61
	v_add_co_ci_u32_e32 v5, vcc_lo, v73, v62, vcc_lo
	flat_load_b64 v[4:5], v[4:5]
	s_waitcnt vmcnt(0) lgkmcnt(0)
	v_mul_f64 v[6:7], v[4:5], s[6:7]
.LBB143_189:
	scratch_load_b64 v[4:5], off, off offset:504
	s_waitcnt vmcnt(1)
	v_add_f64 v[2:3], v[2:3], v[6:7]
	v_add_co_u32 v6, vcc_lo, v71, v61
	v_add_co_ci_u32_e32 v7, vcc_lo, v72, v62, vcc_lo
	s_and_b32 vcc_lo, exec_lo, s0
	global_store_b64 v[6:7], v[2:3], off
	s_cbranch_vccnz .LBB143_191
; %bb.190:
	v_add_co_u32 v0, vcc_lo, v16, v63
	v_add_co_ci_u32_e32 v1, vcc_lo, v73, v64, vcc_lo
	flat_load_b64 v[0:1], v[0:1]
	s_waitcnt vmcnt(0) lgkmcnt(0)
	v_mul_f64 v[0:1], v[0:1], s[6:7]
.LBB143_191:
	s_waitcnt vmcnt(0)
	s_delay_alu instid0(VALU_DEP_1)
	v_add_f64 v[0:1], v[4:5], v[0:1]
	v_add_co_u32 v2, vcc_lo, v71, v63
	v_add_co_ci_u32_e32 v3, vcc_lo, v72, v64, vcc_lo
	global_store_b64 v[2:3], v[0:1], off
	s_endpgm
	.section	.rodata,"a",@progbits
	.p2align	6, 0x0
	.amdhsa_kernel _ZN12_GLOBAL__N_120geam_min_plus_kernelIdddLi4ELi64ELi128ELi128ELi4ELi64ELi4ELi64ELi4ELc78ELc84ELb0ELb0ELb0EdKPKdKPdEEviiiT16_PT17_ilS8_ilS6_S8_ilPT18_ili26rocblas_geam_ex_operation_
		.amdhsa_group_segment_fixed_size 16384
		.amdhsa_private_segment_fixed_size 528
		.amdhsa_kernarg_size 136
		.amdhsa_user_sgpr_count 14
		.amdhsa_user_sgpr_dispatch_ptr 0
		.amdhsa_user_sgpr_queue_ptr 0
		.amdhsa_user_sgpr_kernarg_segment_ptr 1
		.amdhsa_user_sgpr_dispatch_id 0
		.amdhsa_user_sgpr_private_segment_size 0
		.amdhsa_wavefront_size32 1
		.amdhsa_uses_dynamic_stack 0
		.amdhsa_enable_private_segment 1
		.amdhsa_system_sgpr_workgroup_id_x 1
		.amdhsa_system_sgpr_workgroup_id_y 0
		.amdhsa_system_sgpr_workgroup_id_z 1
		.amdhsa_system_sgpr_workgroup_info 0
		.amdhsa_system_vgpr_workitem_id 1
		.amdhsa_next_free_vgpr 252
		.amdhsa_next_free_sgpr 26
		.amdhsa_reserve_vcc 1
		.amdhsa_float_round_mode_32 0
		.amdhsa_float_round_mode_16_64 0
		.amdhsa_float_denorm_mode_32 3
		.amdhsa_float_denorm_mode_16_64 3
		.amdhsa_dx10_clamp 1
		.amdhsa_ieee_mode 1
		.amdhsa_fp16_overflow 0
		.amdhsa_workgroup_processor_mode 1
		.amdhsa_memory_ordered 1
		.amdhsa_forward_progress 0
		.amdhsa_shared_vgpr_count 0
		.amdhsa_exception_fp_ieee_invalid_op 0
		.amdhsa_exception_fp_denorm_src 0
		.amdhsa_exception_fp_ieee_div_zero 0
		.amdhsa_exception_fp_ieee_overflow 0
		.amdhsa_exception_fp_ieee_underflow 0
		.amdhsa_exception_fp_ieee_inexact 0
		.amdhsa_exception_int_div_zero 0
	.end_amdhsa_kernel
	.section	.text._ZN12_GLOBAL__N_120geam_min_plus_kernelIdddLi4ELi64ELi128ELi128ELi4ELi64ELi4ELi64ELi4ELc78ELc84ELb0ELb0ELb0EdKPKdKPdEEviiiT16_PT17_ilS8_ilS6_S8_ilPT18_ili26rocblas_geam_ex_operation_,"axG",@progbits,_ZN12_GLOBAL__N_120geam_min_plus_kernelIdddLi4ELi64ELi128ELi128ELi4ELi64ELi4ELi64ELi4ELc78ELc84ELb0ELb0ELb0EdKPKdKPdEEviiiT16_PT17_ilS8_ilS6_S8_ilPT18_ili26rocblas_geam_ex_operation_,comdat
.Lfunc_end143:
	.size	_ZN12_GLOBAL__N_120geam_min_plus_kernelIdddLi4ELi64ELi128ELi128ELi4ELi64ELi4ELi64ELi4ELc78ELc84ELb0ELb0ELb0EdKPKdKPdEEviiiT16_PT17_ilS8_ilS6_S8_ilPT18_ili26rocblas_geam_ex_operation_, .Lfunc_end143-_ZN12_GLOBAL__N_120geam_min_plus_kernelIdddLi4ELi64ELi128ELi128ELi4ELi64ELi4ELi64ELi4ELc78ELc84ELb0ELb0ELb0EdKPKdKPdEEviiiT16_PT17_ilS8_ilS6_S8_ilPT18_ili26rocblas_geam_ex_operation_
                                        ; -- End function
	.section	.AMDGPU.csdata,"",@progbits
; Kernel info:
; codeLenInByte = 43520
; NumSgprs: 28
; NumVgprs: 252
; ScratchSize: 528
; MemoryBound: 1
; FloatMode: 240
; IeeeMode: 1
; LDSByteSize: 16384 bytes/workgroup (compile time only)
; SGPRBlocks: 3
; VGPRBlocks: 31
; NumSGPRsForWavesPerEU: 28
; NumVGPRsForWavesPerEU: 252
; Occupancy: 5
; WaveLimiterHint : 1
; COMPUTE_PGM_RSRC2:SCRATCH_EN: 1
; COMPUTE_PGM_RSRC2:USER_SGPR: 14
; COMPUTE_PGM_RSRC2:TRAP_HANDLER: 0
; COMPUTE_PGM_RSRC2:TGID_X_EN: 1
; COMPUTE_PGM_RSRC2:TGID_Y_EN: 0
; COMPUTE_PGM_RSRC2:TGID_Z_EN: 1
; COMPUTE_PGM_RSRC2:TIDIG_COMP_CNT: 1
	.section	.text._ZN12_GLOBAL__N_120geam_min_plus_kernelIdddLi4ELi64ELi128ELi128ELi4ELi64ELi4ELi64ELi4ELc78ELc84ELb0ELb1ELb0EPKdKS2_KPdEEviiiT16_PT17_ilS8_ilS6_S8_ilPT18_ili26rocblas_geam_ex_operation_,"axG",@progbits,_ZN12_GLOBAL__N_120geam_min_plus_kernelIdddLi4ELi64ELi128ELi128ELi4ELi64ELi4ELi64ELi4ELc78ELc84ELb0ELb1ELb0EPKdKS2_KPdEEviiiT16_PT17_ilS8_ilS6_S8_ilPT18_ili26rocblas_geam_ex_operation_,comdat
	.globl	_ZN12_GLOBAL__N_120geam_min_plus_kernelIdddLi4ELi64ELi128ELi128ELi4ELi64ELi4ELi64ELi4ELc78ELc84ELb0ELb1ELb0EPKdKS2_KPdEEviiiT16_PT17_ilS8_ilS6_S8_ilPT18_ili26rocblas_geam_ex_operation_ ; -- Begin function _ZN12_GLOBAL__N_120geam_min_plus_kernelIdddLi4ELi64ELi128ELi128ELi4ELi64ELi4ELi64ELi4ELc78ELc84ELb0ELb1ELb0EPKdKS2_KPdEEviiiT16_PT17_ilS8_ilS6_S8_ilPT18_ili26rocblas_geam_ex_operation_
	.p2align	8
	.type	_ZN12_GLOBAL__N_120geam_min_plus_kernelIdddLi4ELi64ELi128ELi128ELi4ELi64ELi4ELi64ELi4ELc78ELc84ELb0ELb1ELb0EPKdKS2_KPdEEviiiT16_PT17_ilS8_ilS6_S8_ilPT18_ili26rocblas_geam_ex_operation_,@function
_ZN12_GLOBAL__N_120geam_min_plus_kernelIdddLi4ELi64ELi128ELi128ELi4ELi64ELi4ELi64ELi4ELc78ELc84ELb0ELb1ELb0EPKdKS2_KPdEEviiiT16_PT17_ilS8_ilS6_S8_ilPT18_ili26rocblas_geam_ex_operation_: ; @_ZN12_GLOBAL__N_120geam_min_plus_kernelIdddLi4ELi64ELi128ELi128ELi4ELi64ELi4ELi64ELi4ELc78ELc84ELb0ELb1ELb0EPKdKS2_KPdEEviiiT16_PT17_ilS8_ilS6_S8_ilPT18_ili26rocblas_geam_ex_operation_
; %bb.0:
	s_clause 0x1
	s_load_b128 s[16:19], s[0:1], 0x10
	s_load_b128 s[4:7], s[0:1], 0x28
	s_mov_b32 s2, s15
	s_mov_b32 s3, 0
	s_delay_alu instid0(SALU_CYCLE_1)
	s_lshl_b64 s[2:3], s[2:3], 3
	s_waitcnt lgkmcnt(0)
	s_add_u32 s8, s16, s2
	s_addc_u32 s9, s17, s3
	s_load_b64 s[12:13], s[8:9], 0x0
	s_clause 0x1
	s_load_b128 s[8:11], s[0:1], 0x40
	s_load_b64 s[20:21], s[0:1], 0x50
	s_waitcnt lgkmcnt(0)
	s_add_u32 s22, s10, s2
	v_cmp_eq_f64_e64 s16, s[12:13], 0
	v_cmp_neq_f64_e64 s15, s[12:13], 0
	s_addc_u32 s23, s11, s3
	s_mov_b64 s[10:11], 0
	s_delay_alu instid0(VALU_DEP_2)
	s_and_b32 vcc_lo, exec_lo, s16
	s_mov_b64 s[16:17], 0
	s_cbranch_vccnz .LBB144_2
; %bb.1:
	s_add_u32 s16, s18, s2
	s_addc_u32 s17, s19, s3
	s_lshl_b64 s[4:5], s[4:5], 3
	s_load_b64 s[16:17], s[16:17], 0x0
	s_waitcnt lgkmcnt(0)
	s_add_u32 s16, s16, s4
	s_addc_u32 s17, s17, s5
.LBB144_2:
	s_load_b64 s[34:35], s[22:23], 0x0
	s_delay_alu instid0(VALU_DEP_1)
	s_and_not1_b32 vcc_lo, exec_lo, s15
	s_cbranch_vccnz .LBB144_4
; %bb.3:
	s_add_u32 s4, s6, s2
	s_addc_u32 s5, s7, s3
	s_lshl_b64 s[6:7], s[8:9], 3
	s_load_b64 s[4:5], s[4:5], 0x0
	s_waitcnt lgkmcnt(0)
	s_add_u32 s10, s4, s6
	s_addc_u32 s11, s5, s7
.LBB144_4:
	s_waitcnt lgkmcnt(0)
	v_cmp_eq_f64_e64 s8, s[34:35], 0
	v_cmp_neq_f64_e64 s42, s[34:35], 0
	s_load_b128 s[4:7], s[0:1], 0x60
	s_mov_b64 s[40:41], 0
	s_delay_alu instid0(VALU_DEP_2)
	s_and_b32 vcc_lo, exec_lo, s8
	s_cbranch_vccnz .LBB144_6
; %bb.5:
	s_add_u32 s8, s20, s2
	s_addc_u32 s9, s21, s3
	s_waitcnt lgkmcnt(0)
	s_lshl_b64 s[4:5], s[4:5], 3
	s_load_b64 s[8:9], s[8:9], 0x0
	s_waitcnt lgkmcnt(0)
	s_add_u32 s40, s8, s4
	s_addc_u32 s41, s9, s5
.LBB144_6:
	s_clause 0x1
	s_load_b128 s[36:39], s[0:1], 0x0
	s_load_b32 s18, s[0:1], 0x20
	s_waitcnt lgkmcnt(0)
	s_add_u32 s2, s6, s2
	s_addc_u32 s3, s7, s3
	s_mov_b32 s4, 0
	s_load_b64 s[8:9], s[2:3], 0x0
	s_mov_b32 s5, s4
	v_and_b32_e32 v80, 0x3ff, v0
	v_bfe_u32 v81, v0, 10, 10
	v_cmp_eq_f64_e64 s19, s[12:13], 0
	s_add_i32 s2, s36, -1
	s_delay_alu instid0(SALU_CYCLE_1) | instskip(NEXT) | instid1(SALU_CYCLE_1)
	s_ashr_i32 s3, s2, 31
	s_lshr_b32 s3, s3, 25
	s_delay_alu instid0(SALU_CYCLE_1) | instskip(NEXT) | instid1(SALU_CYCLE_1)
	s_add_i32 s2, s2, s3
	s_ashr_i32 s2, s2, 7
	s_delay_alu instid0(SALU_CYCLE_1) | instskip(SKIP_2) | instid1(VALU_DEP_1)
	s_add_i32 s3, s2, 1
	s_not_b32 s2, s2
	v_cvt_f32_u32_e32 v1, s3
	v_rcp_iflag_f32_e32 v1, v1
	v_dual_mov_b32 v4, s4 :: v_dual_mov_b32 v5, s5
	v_lshl_add_u32 v0, v81, 2, v80
	s_delay_alu instid0(VALU_DEP_1)
	v_lshrrev_b32_e32 v82, 6, v0
	s_waitcnt_depctr 0xfff
	v_dual_mul_f32 v1, 0x4f7ffffe, v1 :: v_dual_and_b32 v88, 63, v0
	s_clause 0xb
	scratch_store_b64 off, v[4:5], off
	scratch_store_b64 off, v[4:5], off offset:8
	scratch_store_b64 off, v[4:5], off offset:16
	;; [unrolled: 1-line block ×11, first 2 shown]
	v_cvt_u32_f32_e32 v1, v1
	v_cmp_le_i32_e32 vcc_lo, s38, v82
	s_clause 0x5
	scratch_store_b64 off, v[4:5], off offset:96
	scratch_store_b64 off, v[4:5], off offset:104
	;; [unrolled: 1-line block ×6, first 2 shown]
	v_readfirstlane_b32 s4, v1
	s_clause 0x12
	scratch_store_b64 off, v[4:5], off offset:144
	scratch_store_b64 off, v[4:5], off offset:152
	;; [unrolled: 1-line block ×19, first 2 shown]
	s_mul_i32 s2, s2, s4
	s_clause 0x3
	scratch_store_b64 off, v[4:5], off offset:296
	scratch_store_b64 off, v[4:5], off offset:304
	scratch_store_b64 off, v[4:5], off offset:312
	scratch_store_b64 off, v[4:5], off offset:320
	s_mul_hi_u32 s2, s4, s2
	s_clause 0x3
	scratch_store_b64 off, v[4:5], off offset:328
	scratch_store_b64 off, v[4:5], off offset:336
	;; [unrolled: 1-line block ×4, first 2 shown]
	s_add_i32 s4, s4, s2
	scratch_store_b64 off, v[4:5], off offset:360
	s_mul_hi_u32 s2, s14, s4
	s_clause 0x4
	scratch_store_b64 off, v[4:5], off offset:368
	scratch_store_b64 off, v[4:5], off offset:376
	;; [unrolled: 1-line block ×5, first 2 shown]
	s_mul_i32 s4, s2, s3
	s_add_i32 s5, s2, 1
	s_sub_i32 s4, s14, s4
	scratch_store_b64 off, v[4:5], off offset:408
	s_sub_i32 s6, s4, s3
	s_cmp_ge_u32 s4, s3
	s_clause 0x2
	scratch_store_b64 off, v[4:5], off offset:416
	scratch_store_b64 off, v[4:5], off offset:424
	;; [unrolled: 1-line block ×3, first 2 shown]
	s_cselect_b32 s2, s5, s2
	s_cselect_b32 s4, s6, s4
	s_add_i32 s5, s2, 1
	s_cmp_ge_u32 s4, s3
	s_clause 0x4
	scratch_store_b64 off, v[4:5], off offset:440
	scratch_store_b64 off, v[4:5], off offset:448
	;; [unrolled: 1-line block ×5, first 2 shown]
	s_cselect_b32 s5, s5, s2
	s_add_i32 s20, s38, -1
	s_mul_i32 s2, s5, s3
	v_min_i32_e32 v6, s20, v82
	s_sub_i32 s2, s14, s2
	s_clause 0x3
	scratch_store_b64 off, v[4:5], off offset:480
	scratch_store_b64 off, v[4:5], off offset:488
	;; [unrolled: 1-line block ×4, first 2 shown]
	v_mad_i64_i32 v[0:1], null, s18, v6, 0
	s_lshl_b32 s14, s2, 7
	s_delay_alu instid0(VALU_DEP_1) | instskip(SKIP_3) | instid1(VALU_DEP_4)
	v_lshlrev_b64 v[2:3], 3, v[0:1]
	v_mov_b32_e32 v0, 0
	v_mov_b32_e32 v1, 0
	v_or_b32_e32 v68, s14, v88
	v_add_co_u32 v7, s3, s16, v2
	s_delay_alu instid0(VALU_DEP_2) | instskip(SKIP_3) | instid1(VALU_DEP_4)
	v_cmp_le_i32_e64 s2, s36, v68
	v_add_co_ci_u32_e64 v8, s3, s17, v3, s3
	v_ashrrev_i32_e32 v69, 31, v68
	v_dual_mov_b32 v3, v1 :: v_dual_mov_b32 v2, v0
	s_or_b32 s3, s2, vcc_lo
	s_delay_alu instid0(SALU_CYCLE_1) | instskip(NEXT) | instid1(SALU_CYCLE_1)
	s_or_b32 s3, s19, s3
	s_xor_b32 s3, s3, -1
	s_delay_alu instid0(SALU_CYCLE_1)
	s_and_saveexec_b32 s4, s3
	s_cbranch_execz .LBB144_8
; %bb.7:
	v_lshlrev_b64 v[2:3], 3, v[68:69]
	s_delay_alu instid0(VALU_DEP_1) | instskip(NEXT) | instid1(VALU_DEP_1)
	v_add_co_u32 v2, s3, v7, v2
	v_add_co_ci_u32_e64 v3, s3, v8, v3, s3
	flat_load_b64 v[2:3], v[2:3]
	s_waitcnt vmcnt(0) lgkmcnt(0)
	v_mul_f64 v[2:3], s[12:13], v[2:3]
.LBB144_8:
	s_or_b32 exec_lo, exec_lo, s4
	v_or_b32_e32 v4, 64, v68
	s_delay_alu instid0(VALU_DEP_1) | instskip(SKIP_1) | instid1(VALU_DEP_2)
	v_cmp_le_i32_e64 s3, s36, v4
	v_dual_mov_b32 v5, v1 :: v_dual_mov_b32 v4, v0
	s_or_b32 s4, s3, vcc_lo
	s_delay_alu instid0(SALU_CYCLE_1) | instskip(NEXT) | instid1(SALU_CYCLE_1)
	s_or_b32 s4, s19, s4
	s_xor_b32 s4, s4, -1
	s_delay_alu instid0(SALU_CYCLE_1)
	s_and_saveexec_b32 s6, s4
	s_cbranch_execz .LBB144_10
; %bb.9:
	v_lshlrev_b64 v[4:5], 3, v[68:69]
	s_delay_alu instid0(VALU_DEP_1) | instskip(NEXT) | instid1(VALU_DEP_1)
	v_add_co_u32 v4, s4, v7, v4
	v_add_co_ci_u32_e64 v5, s4, v8, v5, s4
	flat_load_b64 v[4:5], v[4:5] offset:512
	s_waitcnt vmcnt(0) lgkmcnt(0)
	v_mul_f64 v[4:5], s[12:13], v[4:5]
.LBB144_10:
	s_or_b32 exec_lo, exec_lo, s6
	s_load_b32 s21, s[0:1], 0x38
	s_lshl_b32 s15, s5, 7
	s_delay_alu instid0(SALU_CYCLE_1) | instskip(NEXT) | instid1(VALU_DEP_1)
	v_or_b32_e32 v70, s15, v88
	v_cmp_le_i32_e64 s4, s37, v70
	v_ashrrev_i32_e32 v71, 31, v70
	s_delay_alu instid0(VALU_DEP_2) | instskip(SKIP_2) | instid1(VALU_DEP_1)
	s_or_b32 s6, s4, vcc_lo
	s_waitcnt lgkmcnt(0)
	v_mad_i64_i32 v[7:8], null, s21, v6, 0
	v_lshlrev_b64 v[6:7], 3, v[7:8]
	s_delay_alu instid0(VALU_DEP_1) | instskip(NEXT) | instid1(VALU_DEP_1)
	v_add_co_u32 v8, s5, s10, v6
	v_add_co_ci_u32_e64 v9, s5, s11, v7, s5
	s_or_b32 s5, s19, s6
	s_delay_alu instid0(SALU_CYCLE_1) | instskip(NEXT) | instid1(SALU_CYCLE_1)
	s_xor_b32 s5, s5, -1
	s_and_saveexec_b32 s6, s5
	s_cbranch_execz .LBB144_12
; %bb.11:
	v_lshlrev_b64 v[0:1], 3, v[70:71]
	s_delay_alu instid0(VALU_DEP_1) | instskip(NEXT) | instid1(VALU_DEP_1)
	v_add_co_u32 v0, s5, v8, v0
	v_add_co_ci_u32_e64 v1, s5, v9, v1, s5
	flat_load_b64 v[0:1], v[0:1]
	s_waitcnt vmcnt(0) lgkmcnt(0)
	v_mul_f64 v[0:1], s[12:13], v[0:1]
.LBB144_12:
	s_or_b32 exec_lo, exec_lo, s6
	v_or_b32_e32 v6, 64, v70
	v_mov_b32_e32 v72, 0
	v_mov_b32_e32 v73, 0
	s_delay_alu instid0(VALU_DEP_3) | instskip(NEXT) | instid1(VALU_DEP_2)
	v_cmp_le_i32_e64 s5, s37, v6
	v_dual_mov_b32 v6, v72 :: v_dual_mov_b32 v7, v73
	s_delay_alu instid0(VALU_DEP_2) | instskip(NEXT) | instid1(SALU_CYCLE_1)
	s_or_b32 s6, s5, vcc_lo
	s_or_b32 s6, s19, s6
	s_delay_alu instid0(SALU_CYCLE_1) | instskip(NEXT) | instid1(SALU_CYCLE_1)
	s_xor_b32 s7, s6, -1
	s_and_saveexec_b32 s6, s7
	s_cbranch_execz .LBB144_14
; %bb.13:
	v_lshlrev_b64 v[6:7], 3, v[70:71]
	s_delay_alu instid0(VALU_DEP_1) | instskip(NEXT) | instid1(VALU_DEP_2)
	v_add_co_u32 v6, vcc_lo, v8, v6
	v_add_co_ci_u32_e32 v7, vcc_lo, v9, v7, vcc_lo
	flat_load_b64 v[6:7], v[6:7] offset:512
	s_waitcnt vmcnt(0) lgkmcnt(0)
	v_mul_f64 v[6:7], s[12:13], v[6:7]
.LBB144_14:
	s_or_b32 exec_lo, exec_lo, s6
	v_add_nc_u32_e32 v11, 4, v82
	s_delay_alu instid0(VALU_DEP_1) | instskip(SKIP_1) | instid1(VALU_DEP_2)
	v_min_i32_e32 v8, s20, v11
	v_cmp_le_i32_e32 vcc_lo, s38, v11
	v_mad_i64_i32 v[9:10], null, s18, v8, 0
	s_or_b32 s7, s2, vcc_lo
	s_delay_alu instid0(VALU_DEP_1) | instskip(NEXT) | instid1(VALU_DEP_1)
	v_lshlrev_b64 v[9:10], 3, v[9:10]
	v_add_co_u32 v9, s6, s16, v9
	s_delay_alu instid0(VALU_DEP_1) | instskip(SKIP_1) | instid1(SALU_CYCLE_1)
	v_add_co_ci_u32_e64 v10, s6, s17, v10, s6
	s_or_b32 s6, s19, s7
	s_xor_b32 s6, s6, -1
	s_delay_alu instid0(SALU_CYCLE_1)
	s_and_saveexec_b32 s7, s6
	s_cbranch_execz .LBB144_16
; %bb.15:
	v_lshlrev_b64 v[11:12], 3, v[68:69]
	s_delay_alu instid0(VALU_DEP_1) | instskip(NEXT) | instid1(VALU_DEP_1)
	v_add_co_u32 v11, s6, v9, v11
	v_add_co_ci_u32_e64 v12, s6, v10, v12, s6
	flat_load_b64 v[11:12], v[11:12]
	s_waitcnt vmcnt(0) lgkmcnt(0)
	v_mul_f64 v[72:73], s[12:13], v[11:12]
.LBB144_16:
	s_or_b32 exec_lo, exec_lo, s7
	v_mov_b32_e32 v74, 0
	v_mov_b32_e32 v75, 0
	s_or_b32 s6, s3, vcc_lo
	s_delay_alu instid0(SALU_CYCLE_1) | instskip(NEXT) | instid1(SALU_CYCLE_1)
	s_or_b32 s6, s19, s6
	s_xor_b32 s6, s6, -1
	s_delay_alu instid0(VALU_DEP_1)
	v_dual_mov_b32 v77, v75 :: v_dual_mov_b32 v76, v74
	s_and_saveexec_b32 s7, s6
	s_cbranch_execz .LBB144_18
; %bb.17:
	v_lshlrev_b64 v[11:12], 3, v[68:69]
	s_delay_alu instid0(VALU_DEP_1) | instskip(NEXT) | instid1(VALU_DEP_1)
	v_add_co_u32 v9, s6, v9, v11
	v_add_co_ci_u32_e64 v10, s6, v10, v12, s6
	flat_load_b64 v[9:10], v[9:10] offset:512
	s_waitcnt vmcnt(0) lgkmcnt(0)
	v_mul_f64 v[76:77], s[12:13], v[9:10]
.LBB144_18:
	s_or_b32 exec_lo, exec_lo, s7
	v_mad_i64_i32 v[9:10], null, s21, v8, 0
	s_or_b32 s7, s4, vcc_lo
	s_delay_alu instid0(VALU_DEP_1) | instskip(NEXT) | instid1(VALU_DEP_1)
	v_lshlrev_b64 v[8:9], 3, v[9:10]
	v_add_co_u32 v8, s6, s10, v8
	s_delay_alu instid0(VALU_DEP_1) | instskip(SKIP_1) | instid1(SALU_CYCLE_1)
	v_add_co_ci_u32_e64 v9, s6, s11, v9, s6
	s_or_b32 s6, s19, s7
	s_xor_b32 s6, s6, -1
	s_delay_alu instid0(SALU_CYCLE_1)
	s_and_saveexec_b32 s7, s6
	s_cbranch_execz .LBB144_20
; %bb.19:
	v_lshlrev_b64 v[10:11], 3, v[70:71]
	s_delay_alu instid0(VALU_DEP_1) | instskip(NEXT) | instid1(VALU_DEP_1)
	v_add_co_u32 v10, s6, v8, v10
	v_add_co_ci_u32_e64 v11, s6, v9, v11, s6
	flat_load_b64 v[10:11], v[10:11]
	s_waitcnt vmcnt(0) lgkmcnt(0)
	v_mul_f64 v[74:75], s[12:13], v[10:11]
.LBB144_20:
	s_or_b32 exec_lo, exec_lo, s7
	s_or_b32 s6, s5, vcc_lo
	v_mov_b32_e32 v78, 0
	v_mov_b32_e32 v79, 0
	s_or_b32 s6, s19, s6
	s_delay_alu instid0(SALU_CYCLE_1) | instskip(NEXT) | instid1(SALU_CYCLE_1)
	s_xor_b32 s7, s6, -1
	s_and_saveexec_b32 s6, s7
	s_cbranch_execz .LBB144_22
; %bb.21:
	v_lshlrev_b64 v[10:11], 3, v[70:71]
	s_delay_alu instid0(VALU_DEP_1) | instskip(NEXT) | instid1(VALU_DEP_2)
	v_add_co_u32 v8, vcc_lo, v8, v10
	v_add_co_ci_u32_e32 v9, vcc_lo, v9, v11, vcc_lo
	flat_load_b64 v[8:9], v[8:9] offset:512
	s_waitcnt vmcnt(0) lgkmcnt(0)
	v_mul_f64 v[78:79], s[12:13], v[8:9]
.LBB144_22:
	s_or_b32 exec_lo, exec_lo, s6
	v_dual_mov_b32 v89, 0 :: v_dual_lshlrev_b32 v8, 3, v82
	v_dual_mov_b32 v90, 8 :: v_dual_lshlrev_b32 v83, 5, v80
	;; [unrolled: 1-line block ×3, first 2 shown]
	s_delay_alu instid0(VALU_DEP_3) | instskip(NEXT) | instid1(VALU_DEP_3)
	v_lshl_add_u32 v84, v88, 5, v8
	v_dual_mov_b32 v91, 16 :: v_dual_add_nc_u32 v48, 0x800, v83
	s_delay_alu instid0(VALU_DEP_3)
	v_dual_mov_b32 v94, 40 :: v_dual_add_nc_u32 v87, 0x2000, v85
	ds_store_2addr_stride64_b64 v84, v[2:3], v[4:5] offset1:4
	ds_store_2addr_stride64_b64 v84, v[0:1], v[6:7] offset0:16 offset1:20
	s_waitcnt lgkmcnt(0)
	s_waitcnt_vscnt null, 0x0
	s_barrier
	buffer_gl0_inv
	ds_load_2addr_b64 v[0:3], v83 offset1:16
	ds_load_2addr_b64 v[4:7], v83 offset0:32 offset1:48
	ds_load_2addr_b64 v[8:11], v83 offset0:64 offset1:80
	;; [unrolled: 1-line block ×4, first 2 shown]
	ds_load_2addr_b64 v[20:23], v48 offset1:16
	ds_load_2addr_b64 v[24:27], v48 offset0:32 offset1:48
	ds_load_2addr_b64 v[28:31], v48 offset0:64 offset1:80
	;; [unrolled: 1-line block ×10, first 2 shown]
	ds_load_2addr_stride64_b64 v[64:67], v85 offset0:16 offset1:20
	v_or_b32_e32 v86, 0x2000, v84
	v_dual_mov_b32 v93, 32 :: v_dual_mov_b32 v96, 56
	v_dual_mov_b32 v95, 48 :: v_dual_mov_b32 v98, 0x48
	;; [unrolled: 1-line block ×3, first 2 shown]
	v_mov_b32_e32 v99, 0x50
	v_mov_b32_e32 v101, 0x60
	;; [unrolled: 1-line block ×21, first 2 shown]
	s_mov_b64 s[6:7], 0
	s_mov_b32 s22, -1
.LBB144_23:                             ; =>This Inner Loop Header: Depth=1
	scratch_load_b64 v[121:122], v89, off
	scratch_load_b64 v[123:124], v90, off
	;; [unrolled: 1-line block ×32, first 2 shown]
	s_cmp_eq_u32 s6, 1
	s_waitcnt lgkmcnt(16)
	v_max_f64 v[187:188], v[0:1], v[0:1]
	s_cselect_b32 vcc_lo, -1, 0
	v_max_f64 v[189:190], v[2:3], v[2:3]
	s_waitcnt lgkmcnt(0)
	v_dual_cndmask_b32 v186, v65, v67 :: v_dual_cndmask_b32 v185, v64, v66
	v_max_f64 v[191:192], v[4:5], v[4:5]
	v_max_f64 v[193:194], v[6:7], v[6:7]
	;; [unrolled: 1-line block ×31, first 2 shown]
	s_mov_b64 s[6:7], 1
	s_and_b32 vcc_lo, exec_lo, s22
	s_mov_b32 s22, 0
	v_min_f64 v[187:188], v[187:188], v[185:186]
	v_min_f64 v[189:190], v[189:190], v[185:186]
	;; [unrolled: 1-line block ×32, first 2 shown]
	s_waitcnt vmcnt(31)
	v_add_f64 v[121:122], v[121:122], v[187:188]
	s_waitcnt vmcnt(30)
	v_add_f64 v[123:124], v[189:190], v[123:124]
	;; [unrolled: 2-line block ×32, first 2 shown]
	scratch_store_b64 v89, v[121:122], off
	scratch_store_b64 v90, v[123:124], off
	;; [unrolled: 1-line block ×32, first 2 shown]
	v_mov_b32_e32 v89, 0x100
	v_mov_b32_e32 v90, 0x108
	v_mov_b32_e32 v91, 0x110
	v_mov_b32_e32 v92, 0x118
	v_mov_b32_e32 v93, 0x120
	v_mov_b32_e32 v94, 0x128
	v_mov_b32_e32 v95, 0x130
	v_mov_b32_e32 v96, 0x138
	v_mov_b32_e32 v97, 0x140
	v_mov_b32_e32 v98, 0x148
	v_mov_b32_e32 v99, 0x150
	v_mov_b32_e32 v100, 0x158
	v_mov_b32_e32 v101, 0x160
	v_mov_b32_e32 v102, 0x168
	v_mov_b32_e32 v103, 0x170
	v_mov_b32_e32 v104, 0x178
	v_mov_b32_e32 v105, 0x180
	v_mov_b32_e32 v106, 0x188
	v_mov_b32_e32 v107, 0x190
	v_mov_b32_e32 v108, 0x198
	v_mov_b32_e32 v109, 0x1a0
	v_mov_b32_e32 v110, 0x1a8
	v_mov_b32_e32 v111, 0x1b0
	v_mov_b32_e32 v112, 0x1b8
	v_mov_b32_e32 v113, 0x1c0
	v_mov_b32_e32 v114, 0x1c8
	v_mov_b32_e32 v115, 0x1d0
	v_mov_b32_e32 v116, 0x1d8
	v_mov_b32_e32 v117, 0x1e0
	v_mov_b32_e32 v118, 0x1e8
	v_mov_b32_e32 v119, 0x1f0
	v_mov_b32_e32 v120, 0x1f8
	s_cbranch_vccnz .LBB144_23
; %bb.24:
	v_dual_mov_b32 v89, 0 :: v_dual_add_nc_u32 v60, 0x800, v83
	ds_load_2addr_b64 v[0:3], v83 offset0:1 offset1:17
	ds_load_2addr_b64 v[4:7], v83 offset0:33 offset1:49
	;; [unrolled: 1-line block ×12, first 2 shown]
	v_dual_mov_b32 v91, 16 :: v_dual_add_nc_u32 v64, 8, v87
	ds_load_2addr_b64 v[48:51], v60 offset0:129 offset1:145
	ds_load_2addr_b64 v[52:55], v60 offset0:161 offset1:177
	;; [unrolled: 1-line block ×4, first 2 shown]
	ds_load_2addr_stride64_b64 v[64:67], v64 offset1:4
	v_dual_mov_b32 v90, 8 :: v_dual_mov_b32 v93, 32
	v_dual_mov_b32 v92, 24 :: v_dual_mov_b32 v95, 48
	;; [unrolled: 1-line block ×4, first 2 shown]
	v_mov_b32_e32 v98, 0x48
	v_mov_b32_e32 v100, 0x58
	;; [unrolled: 1-line block ×22, first 2 shown]
	s_mov_b64 s[6:7], 0
	s_mov_b32 s22, -1
.LBB144_25:                             ; =>This Inner Loop Header: Depth=1
	scratch_load_b64 v[121:122], v89, off
	scratch_load_b64 v[123:124], v90, off
	;; [unrolled: 1-line block ×32, first 2 shown]
	s_cmp_eq_u32 s6, 1
	s_waitcnt lgkmcnt(16)
	v_max_f64 v[187:188], v[0:1], v[0:1]
	s_cselect_b32 vcc_lo, -1, 0
	v_max_f64 v[189:190], v[2:3], v[2:3]
	s_waitcnt lgkmcnt(0)
	v_dual_cndmask_b32 v186, v65, v67 :: v_dual_cndmask_b32 v185, v64, v66
	v_max_f64 v[191:192], v[4:5], v[4:5]
	v_max_f64 v[193:194], v[6:7], v[6:7]
	;; [unrolled: 1-line block ×31, first 2 shown]
	s_mov_b64 s[6:7], 1
	s_and_b32 vcc_lo, exec_lo, s22
	s_mov_b32 s22, 0
	v_min_f64 v[187:188], v[187:188], v[185:186]
	v_min_f64 v[189:190], v[189:190], v[185:186]
	;; [unrolled: 1-line block ×32, first 2 shown]
	s_waitcnt vmcnt(31)
	v_add_f64 v[121:122], v[121:122], v[187:188]
	s_waitcnt vmcnt(30)
	v_add_f64 v[123:124], v[189:190], v[123:124]
	;; [unrolled: 2-line block ×32, first 2 shown]
	scratch_store_b64 v89, v[121:122], off
	scratch_store_b64 v90, v[123:124], off
	;; [unrolled: 1-line block ×32, first 2 shown]
	v_mov_b32_e32 v89, 0x100
	v_mov_b32_e32 v90, 0x108
	;; [unrolled: 1-line block ×32, first 2 shown]
	s_cbranch_vccnz .LBB144_25
; %bb.26:
	v_dual_mov_b32 v89, 0 :: v_dual_add_nc_u32 v60, 0x800, v83
	ds_load_2addr_b64 v[0:3], v83 offset0:2 offset1:18
	ds_load_2addr_b64 v[4:7], v83 offset0:34 offset1:50
	;; [unrolled: 1-line block ×12, first 2 shown]
	v_dual_mov_b32 v91, 16 :: v_dual_add_nc_u32 v64, 16, v87
	ds_load_2addr_b64 v[48:51], v60 offset0:130 offset1:146
	ds_load_2addr_b64 v[52:55], v60 offset0:162 offset1:178
	;; [unrolled: 1-line block ×4, first 2 shown]
	ds_load_2addr_stride64_b64 v[64:67], v64 offset1:4
	v_dual_mov_b32 v90, 8 :: v_dual_mov_b32 v93, 32
	v_dual_mov_b32 v92, 24 :: v_dual_mov_b32 v95, 48
	v_dual_mov_b32 v94, 40 :: v_dual_mov_b32 v97, 64
	v_dual_mov_b32 v96, 56 :: v_dual_mov_b32 v99, 0x50
	v_mov_b32_e32 v98, 0x48
	v_mov_b32_e32 v100, 0x58
	;; [unrolled: 1-line block ×22, first 2 shown]
	s_mov_b64 s[6:7], 0
	s_mov_b32 s22, -1
.LBB144_27:                             ; =>This Inner Loop Header: Depth=1
	scratch_load_b64 v[121:122], v89, off
	scratch_load_b64 v[123:124], v90, off
	;; [unrolled: 1-line block ×32, first 2 shown]
	s_cmp_eq_u32 s6, 1
	s_waitcnt lgkmcnt(16)
	v_max_f64 v[187:188], v[0:1], v[0:1]
	s_cselect_b32 vcc_lo, -1, 0
	v_max_f64 v[189:190], v[2:3], v[2:3]
	s_waitcnt lgkmcnt(0)
	v_dual_cndmask_b32 v186, v65, v67 :: v_dual_cndmask_b32 v185, v64, v66
	v_max_f64 v[191:192], v[4:5], v[4:5]
	v_max_f64 v[193:194], v[6:7], v[6:7]
	;; [unrolled: 1-line block ×31, first 2 shown]
	s_mov_b64 s[6:7], 1
	s_and_b32 vcc_lo, exec_lo, s22
	s_mov_b32 s22, 0
	v_min_f64 v[187:188], v[187:188], v[185:186]
	v_min_f64 v[189:190], v[189:190], v[185:186]
	;; [unrolled: 1-line block ×32, first 2 shown]
	s_waitcnt vmcnt(31)
	v_add_f64 v[121:122], v[121:122], v[187:188]
	s_waitcnt vmcnt(30)
	v_add_f64 v[123:124], v[189:190], v[123:124]
	;; [unrolled: 2-line block ×32, first 2 shown]
	scratch_store_b64 v89, v[121:122], off
	scratch_store_b64 v90, v[123:124], off
	;; [unrolled: 1-line block ×32, first 2 shown]
	v_mov_b32_e32 v89, 0x100
	v_mov_b32_e32 v90, 0x108
	v_mov_b32_e32 v91, 0x110
	v_mov_b32_e32 v92, 0x118
	v_mov_b32_e32 v93, 0x120
	v_mov_b32_e32 v94, 0x128
	v_mov_b32_e32 v95, 0x130
	v_mov_b32_e32 v96, 0x138
	v_mov_b32_e32 v97, 0x140
	v_mov_b32_e32 v98, 0x148
	v_mov_b32_e32 v99, 0x150
	v_mov_b32_e32 v100, 0x158
	v_mov_b32_e32 v101, 0x160
	v_mov_b32_e32 v102, 0x168
	v_mov_b32_e32 v103, 0x170
	v_mov_b32_e32 v104, 0x178
	v_mov_b32_e32 v105, 0x180
	v_mov_b32_e32 v106, 0x188
	v_mov_b32_e32 v107, 0x190
	v_mov_b32_e32 v108, 0x198
	v_mov_b32_e32 v109, 0x1a0
	v_mov_b32_e32 v110, 0x1a8
	v_mov_b32_e32 v111, 0x1b0
	v_mov_b32_e32 v112, 0x1b8
	v_mov_b32_e32 v113, 0x1c0
	v_mov_b32_e32 v114, 0x1c8
	v_mov_b32_e32 v115, 0x1d0
	v_mov_b32_e32 v116, 0x1d8
	v_mov_b32_e32 v117, 0x1e0
	v_mov_b32_e32 v118, 0x1e8
	v_mov_b32_e32 v119, 0x1f0
	v_mov_b32_e32 v120, 0x1f8
	s_cbranch_vccnz .LBB144_27
; %bb.28:
	v_dual_mov_b32 v89, 0 :: v_dual_add_nc_u32 v60, 0x800, v83
	ds_load_2addr_b64 v[0:3], v83 offset0:3 offset1:19
	ds_load_2addr_b64 v[4:7], v83 offset0:35 offset1:51
	;; [unrolled: 1-line block ×12, first 2 shown]
	v_dual_mov_b32 v91, 16 :: v_dual_add_nc_u32 v64, 24, v87
	ds_load_2addr_b64 v[48:51], v60 offset0:131 offset1:147
	ds_load_2addr_b64 v[52:55], v60 offset0:163 offset1:179
	;; [unrolled: 1-line block ×4, first 2 shown]
	ds_load_2addr_stride64_b64 v[64:67], v64 offset1:4
	v_dual_mov_b32 v90, 8 :: v_dual_mov_b32 v93, 32
	v_dual_mov_b32 v92, 24 :: v_dual_mov_b32 v95, 48
	;; [unrolled: 1-line block ×4, first 2 shown]
	v_mov_b32_e32 v98, 0x48
	v_mov_b32_e32 v100, 0x58
	v_mov_b32_e32 v101, 0x60
	v_mov_b32_e32 v102, 0x68
	v_mov_b32_e32 v103, 0x70
	v_mov_b32_e32 v104, 0x78
	v_mov_b32_e32 v105, 0x80
	v_mov_b32_e32 v106, 0x88
	v_mov_b32_e32 v107, 0x90
	v_mov_b32_e32 v108, 0x98
	v_mov_b32_e32 v109, 0xa0
	v_mov_b32_e32 v110, 0xa8
	v_mov_b32_e32 v111, 0xb0
	v_mov_b32_e32 v112, 0xb8
	v_mov_b32_e32 v113, 0xc0
	v_mov_b32_e32 v114, 0xc8
	v_mov_b32_e32 v115, 0xd0
	v_mov_b32_e32 v116, 0xd8
	v_mov_b32_e32 v117, 0xe0
	v_mov_b32_e32 v118, 0xe8
	v_mov_b32_e32 v119, 0xf0
	v_mov_b32_e32 v120, 0xf8
	s_mov_b64 s[6:7], 0
	s_mov_b32 s22, -1
.LBB144_29:                             ; =>This Inner Loop Header: Depth=1
	scratch_load_b64 v[121:122], v89, off
	scratch_load_b64 v[123:124], v90, off
	;; [unrolled: 1-line block ×32, first 2 shown]
	s_cmp_eq_u32 s6, 1
	s_waitcnt lgkmcnt(16)
	v_max_f64 v[187:188], v[0:1], v[0:1]
	s_cselect_b32 vcc_lo, -1, 0
	v_max_f64 v[189:190], v[2:3], v[2:3]
	s_waitcnt lgkmcnt(0)
	v_dual_cndmask_b32 v186, v65, v67 :: v_dual_cndmask_b32 v185, v64, v66
	v_max_f64 v[191:192], v[4:5], v[4:5]
	v_max_f64 v[193:194], v[6:7], v[6:7]
	;; [unrolled: 1-line block ×31, first 2 shown]
	s_mov_b64 s[6:7], 1
	s_and_b32 vcc_lo, exec_lo, s22
	s_mov_b32 s22, 0
	v_min_f64 v[187:188], v[187:188], v[185:186]
	v_min_f64 v[189:190], v[189:190], v[185:186]
	;; [unrolled: 1-line block ×32, first 2 shown]
	s_waitcnt vmcnt(31)
	v_add_f64 v[121:122], v[121:122], v[187:188]
	s_waitcnt vmcnt(30)
	v_add_f64 v[123:124], v[189:190], v[123:124]
	;; [unrolled: 2-line block ×32, first 2 shown]
	scratch_store_b64 v89, v[121:122], off
	scratch_store_b64 v90, v[123:124], off
	;; [unrolled: 1-line block ×32, first 2 shown]
	v_mov_b32_e32 v89, 0x100
	v_mov_b32_e32 v90, 0x108
	;; [unrolled: 1-line block ×32, first 2 shown]
	s_cbranch_vccnz .LBB144_29
; %bb.30:
	v_lshlrev_b32_e32 v0, 5, v88
	s_mov_b32 s22, 8
	s_cmp_gt_i32 s38, 8
	s_delay_alu instid0(VALU_DEP_1)
	v_lshl_add_u32 v0, v82, 3, v0
	ds_store_2addr_stride64_b64 v0, v[72:73], v[76:77] offset0:8 offset1:12
	ds_store_2addr_stride64_b64 v0, v[74:75], v[78:79] offset0:24 offset1:28
	s_waitcnt lgkmcnt(0)
	s_waitcnt_vscnt null, 0x0
	s_barrier
	buffer_gl0_inv
	s_cbranch_scc0 .LBB144_65
; %bb.31:
	v_lshl_add_u32 v89, v80, 5, 0x1000
	v_lshlrev_b64 v[68:69], 3, v[68:69]
	v_lshlrev_b64 v[70:71], 3, v[70:71]
	v_or_b32_e32 v88, 0x1000, v0
	v_or_b32_e32 v90, 0x3000, v0
	v_lshl_add_u32 v91, v81, 5, 0x3000
	v_add_nc_u32_e32 v92, 0x800, v89
	s_add_i32 s23, s38, -8
	s_mov_b32 s24, 0
.LBB144_32:                             ; =>This Loop Header: Depth=1
                                        ;     Child Loop BB144_41 Depth 2
                                        ;     Child Loop BB144_43 Depth 2
	;; [unrolled: 1-line block ×8, first 2 shown]
	v_dual_mov_b32 v72, 0 :: v_dual_add_nc_u32 v3, s22, v82
	v_mov_b32_e32 v73, 0
	s_delay_alu instid0(VALU_DEP_2) | instskip(SKIP_1) | instid1(VALU_DEP_3)
	v_min_i32_e32 v0, s20, v3
	v_cmp_le_i32_e32 vcc_lo, s38, v3
	v_dual_mov_b32 v75, v73 :: v_dual_mov_b32 v74, v72
	s_delay_alu instid0(VALU_DEP_3) | instskip(SKIP_1) | instid1(VALU_DEP_1)
	v_mad_i64_i32 v[1:2], null, v0, s18, 0
	s_or_b32 s7, s2, vcc_lo
	v_lshlrev_b64 v[1:2], 3, v[1:2]
	s_delay_alu instid0(VALU_DEP_1) | instskip(NEXT) | instid1(VALU_DEP_1)
	v_add_co_u32 v1, s6, s16, v1
	v_add_co_ci_u32_e64 v2, s6, s17, v2, s6
	s_or_b32 s6, s19, s7
	s_delay_alu instid0(SALU_CYCLE_1) | instskip(NEXT) | instid1(SALU_CYCLE_1)
	s_xor_b32 s6, s6, -1
	s_and_saveexec_b32 s7, s6
	s_cbranch_execz .LBB144_34
; %bb.33:                               ;   in Loop: Header=BB144_32 Depth=1
	v_add_co_u32 v3, s6, v1, v68
	s_delay_alu instid0(VALU_DEP_1)
	v_add_co_ci_u32_e64 v4, s6, v2, v69, s6
	flat_load_b64 v[3:4], v[3:4]
	s_waitcnt vmcnt(0) lgkmcnt(0)
	v_mul_f64 v[74:75], s[12:13], v[3:4]
.LBB144_34:                             ;   in Loop: Header=BB144_32 Depth=1
	s_or_b32 exec_lo, exec_lo, s7
	s_or_b32 s6, s3, vcc_lo
	s_delay_alu instid0(SALU_CYCLE_1) | instskip(NEXT) | instid1(SALU_CYCLE_1)
	s_or_b32 s6, s19, s6
	s_xor_b32 s6, s6, -1
	s_delay_alu instid0(SALU_CYCLE_1)
	s_and_saveexec_b32 s7, s6
	s_cbranch_execz .LBB144_36
; %bb.35:                               ;   in Loop: Header=BB144_32 Depth=1
	v_add_co_u32 v1, s6, v1, v68
	s_delay_alu instid0(VALU_DEP_1)
	v_add_co_ci_u32_e64 v2, s6, v2, v69, s6
	flat_load_b64 v[1:2], v[1:2] offset:512
	s_waitcnt vmcnt(0) lgkmcnt(0)
	v_mul_f64 v[72:73], s[12:13], v[1:2]
.LBB144_36:                             ;   in Loop: Header=BB144_32 Depth=1
	s_or_b32 exec_lo, exec_lo, s7
	v_mad_i64_i32 v[1:2], null, v0, s21, 0
	v_mov_b32_e32 v76, 0
	v_mov_b32_e32 v77, 0
	s_or_b32 s7, s4, vcc_lo
	s_delay_alu instid0(VALU_DEP_1) | instskip(NEXT) | instid1(VALU_DEP_4)
	v_dual_mov_b32 v79, v77 :: v_dual_mov_b32 v78, v76
	v_lshlrev_b64 v[0:1], 3, v[1:2]
	s_delay_alu instid0(VALU_DEP_1) | instskip(NEXT) | instid1(VALU_DEP_1)
	v_add_co_u32 v0, s6, s10, v0
	v_add_co_ci_u32_e64 v1, s6, s11, v1, s6
	s_or_b32 s6, s19, s7
	s_delay_alu instid0(SALU_CYCLE_1) | instskip(NEXT) | instid1(SALU_CYCLE_1)
	s_xor_b32 s6, s6, -1
	s_and_saveexec_b32 s7, s6
	s_cbranch_execz .LBB144_38
; %bb.37:                               ;   in Loop: Header=BB144_32 Depth=1
	v_add_co_u32 v2, s6, v0, v70
	s_delay_alu instid0(VALU_DEP_1)
	v_add_co_ci_u32_e64 v3, s6, v1, v71, s6
	flat_load_b64 v[2:3], v[2:3]
	s_waitcnt vmcnt(0) lgkmcnt(0)
	v_mul_f64 v[78:79], s[12:13], v[2:3]
.LBB144_38:                             ;   in Loop: Header=BB144_32 Depth=1
	s_or_b32 exec_lo, exec_lo, s7
	s_or_b32 s6, s5, vcc_lo
	s_delay_alu instid0(SALU_CYCLE_1) | instskip(NEXT) | instid1(SALU_CYCLE_1)
	s_or_b32 s6, s19, s6
	s_xor_b32 s7, s6, -1
	s_delay_alu instid0(SALU_CYCLE_1)
	s_and_saveexec_b32 s6, s7
	s_cbranch_execz .LBB144_40
; %bb.39:                               ;   in Loop: Header=BB144_32 Depth=1
	v_add_co_u32 v0, vcc_lo, v0, v70
	v_add_co_ci_u32_e32 v1, vcc_lo, v1, v71, vcc_lo
	flat_load_b64 v[0:1], v[0:1] offset:512
	s_waitcnt vmcnt(0) lgkmcnt(0)
	v_mul_f64 v[76:77], s[12:13], v[0:1]
.LBB144_40:                             ;   in Loop: Header=BB144_32 Depth=1
	s_or_b32 exec_lo, exec_lo, s6
	ds_load_2addr_b64 v[0:3], v89 offset1:16
	ds_load_2addr_b64 v[4:7], v89 offset0:32 offset1:48
	ds_load_2addr_b64 v[8:11], v89 offset0:64 offset1:80
	;; [unrolled: 1-line block ×7, first 2 shown]
	ds_load_2addr_b64 v[32:35], v92 offset1:16
	ds_load_2addr_b64 v[36:39], v92 offset0:32 offset1:48
	ds_load_2addr_b64 v[40:43], v92 offset0:64 offset1:80
	;; [unrolled: 1-line block ×7, first 2 shown]
	ds_load_2addr_stride64_b64 v[64:67], v91 offset1:4
	v_dual_mov_b32 v124, 0 :: v_dual_mov_b32 v123, 8
	v_dual_mov_b32 v122, 16 :: v_dual_mov_b32 v121, 24
	;; [unrolled: 1-line block ×5, first 2 shown]
	v_mov_b32_e32 v114, 0x50
	v_mov_b32_e32 v113, 0x58
	;; [unrolled: 1-line block ×22, first 2 shown]
	s_mov_b64 s[6:7], 0
	s_mov_b32 s25, -1
.LBB144_41:                             ;   Parent Loop BB144_32 Depth=1
                                        ; =>  This Inner Loop Header: Depth=2
	scratch_load_b64 v[129:130], v124, off
	s_cmp_eq_u32 s6, 1
	s_waitcnt lgkmcnt(16)
	v_max_f64 v[127:128], v[0:1], v[0:1]
	s_cselect_b32 vcc_lo, -1, 0
	s_mov_b64 s[6:7], 1
	s_waitcnt lgkmcnt(0)
	v_dual_cndmask_b32 v126, v65, v67 :: v_dual_cndmask_b32 v125, v64, v66
	s_and_b32 vcc_lo, exec_lo, s25
	s_mov_b32 s25, 0
	s_delay_alu instid0(VALU_DEP_1) | instskip(NEXT) | instid1(VALU_DEP_1)
	v_max_f64 v[125:126], v[125:126], v[125:126]
	v_min_f64 v[127:128], v[127:128], v[125:126]
	s_waitcnt vmcnt(0)
	s_delay_alu instid0(VALU_DEP_1) | instskip(SKIP_3) | instid1(VALU_DEP_1)
	v_add_f64 v[127:128], v[129:130], v[127:128]
	scratch_load_b64 v[129:130], v123, off
	scratch_store_b64 v124, v[127:128], off
	v_max_f64 v[127:128], v[2:3], v[2:3]
	v_min_f64 v[127:128], v[127:128], v[125:126]
	s_waitcnt vmcnt(0)
	s_delay_alu instid0(VALU_DEP_1) | instskip(SKIP_3) | instid1(VALU_DEP_1)
	v_add_f64 v[127:128], v[127:128], v[129:130]
	scratch_store_b64 v123, v[127:128], off
	scratch_load_b64 v[127:128], v122, off
	v_max_f64 v[123:124], v[4:5], v[4:5]
	v_min_f64 v[123:124], v[123:124], v[125:126]
	s_waitcnt vmcnt(0)
	s_delay_alu instid0(VALU_DEP_1) | instskip(SKIP_3) | instid1(VALU_DEP_1)
	v_add_f64 v[123:124], v[123:124], v[127:128]
	scratch_load_b64 v[127:128], v121, off
	scratch_store_b64 v122, v[123:124], off
	v_max_f64 v[122:123], v[6:7], v[6:7]
	v_min_f64 v[122:123], v[122:123], v[125:126]
	s_waitcnt vmcnt(0)
	s_delay_alu instid0(VALU_DEP_1) | instskip(SKIP_3) | instid1(VALU_DEP_1)
	v_add_f64 v[122:123], v[122:123], v[127:128]
	scratch_store_b64 v121, v[122:123], off
	scratch_load_b64 v[123:124], v120, off
	v_max_f64 v[121:122], v[8:9], v[8:9]
	v_min_f64 v[121:122], v[121:122], v[125:126]
	s_waitcnt vmcnt(0)
	s_delay_alu instid0(VALU_DEP_1) | instskip(SKIP_4) | instid1(VALU_DEP_1)
	v_add_f64 v[121:122], v[121:122], v[123:124]
	v_mov_b32_e32 v124, 0x100
	scratch_store_b64 v120, v[121:122], off
	scratch_load_b64 v[122:123], v119, off
	v_max_f64 v[120:121], v[10:11], v[10:11]
	v_min_f64 v[120:121], v[120:121], v[125:126]
	s_waitcnt vmcnt(0)
	s_delay_alu instid0(VALU_DEP_1) | instskip(SKIP_4) | instid1(VALU_DEP_1)
	v_add_f64 v[120:121], v[120:121], v[122:123]
	v_mov_b32_e32 v123, 0x108
	;; [unrolled: 8-line block ×27, first 2 shown]
	scratch_store_b64 v94, v[95:96], off
	scratch_load_b64 v[96:97], v93, off
	v_max_f64 v[94:95], v[62:63], v[62:63]
	v_min_f64 v[94:95], v[94:95], v[125:126]
	s_waitcnt vmcnt(0)
	s_delay_alu instid0(VALU_DEP_1)
	v_add_f64 v[94:95], v[94:95], v[96:97]
	v_mov_b32_e32 v97, 0x1d8
	v_mov_b32_e32 v96, 0x1e0
	scratch_store_b64 v93, v[94:95], off
	v_mov_b32_e32 v95, 0x1e8
	v_mov_b32_e32 v94, 0x1f0
	;; [unrolled: 1-line block ×3, first 2 shown]
	s_cbranch_vccnz .LBB144_41
; %bb.42:                               ;   in Loop: Header=BB144_32 Depth=1
	ds_load_2addr_b64 v[0:3], v89 offset0:1 offset1:17
	ds_load_2addr_b64 v[4:7], v89 offset0:33 offset1:49
	;; [unrolled: 1-line block ×12, first 2 shown]
	v_dual_mov_b32 v123, 8 :: v_dual_add_nc_u32 v64, 8, v91
	ds_load_2addr_b64 v[48:51], v92 offset0:129 offset1:145
	ds_load_2addr_b64 v[52:55], v92 offset0:161 offset1:177
	;; [unrolled: 1-line block ×4, first 2 shown]
	ds_load_2addr_stride64_b64 v[64:67], v64 offset1:4
	v_dual_mov_b32 v124, 0 :: v_dual_mov_b32 v121, 24
	v_dual_mov_b32 v122, 16 :: v_dual_mov_b32 v119, 40
	;; [unrolled: 1-line block ×5, first 2 shown]
	v_mov_b32_e32 v114, 0x50
	v_mov_b32_e32 v112, 0x60
	;; [unrolled: 1-line block ×21, first 2 shown]
	s_mov_b64 s[6:7], 0
	s_mov_b32 s25, -1
.LBB144_43:                             ;   Parent Loop BB144_32 Depth=1
                                        ; =>  This Inner Loop Header: Depth=2
	scratch_load_b64 v[129:130], v124, off
	s_cmp_eq_u32 s6, 1
	s_waitcnt lgkmcnt(16)
	v_max_f64 v[127:128], v[0:1], v[0:1]
	s_cselect_b32 vcc_lo, -1, 0
	s_mov_b64 s[6:7], 1
	s_waitcnt lgkmcnt(0)
	v_dual_cndmask_b32 v126, v65, v67 :: v_dual_cndmask_b32 v125, v64, v66
	s_and_b32 vcc_lo, exec_lo, s25
	s_mov_b32 s25, 0
	s_delay_alu instid0(VALU_DEP_1) | instskip(NEXT) | instid1(VALU_DEP_1)
	v_max_f64 v[125:126], v[125:126], v[125:126]
	v_min_f64 v[127:128], v[127:128], v[125:126]
	s_waitcnt vmcnt(0)
	s_delay_alu instid0(VALU_DEP_1) | instskip(SKIP_3) | instid1(VALU_DEP_1)
	v_add_f64 v[127:128], v[129:130], v[127:128]
	scratch_load_b64 v[129:130], v123, off
	scratch_store_b64 v124, v[127:128], off
	v_max_f64 v[127:128], v[2:3], v[2:3]
	v_min_f64 v[127:128], v[127:128], v[125:126]
	s_waitcnt vmcnt(0)
	s_delay_alu instid0(VALU_DEP_1) | instskip(SKIP_3) | instid1(VALU_DEP_1)
	v_add_f64 v[127:128], v[127:128], v[129:130]
	scratch_store_b64 v123, v[127:128], off
	scratch_load_b64 v[127:128], v122, off
	v_max_f64 v[123:124], v[4:5], v[4:5]
	v_min_f64 v[123:124], v[123:124], v[125:126]
	s_waitcnt vmcnt(0)
	s_delay_alu instid0(VALU_DEP_1) | instskip(SKIP_3) | instid1(VALU_DEP_1)
	v_add_f64 v[123:124], v[123:124], v[127:128]
	scratch_load_b64 v[127:128], v121, off
	scratch_store_b64 v122, v[123:124], off
	v_max_f64 v[122:123], v[6:7], v[6:7]
	v_min_f64 v[122:123], v[122:123], v[125:126]
	s_waitcnt vmcnt(0)
	s_delay_alu instid0(VALU_DEP_1) | instskip(SKIP_3) | instid1(VALU_DEP_1)
	v_add_f64 v[122:123], v[122:123], v[127:128]
	scratch_store_b64 v121, v[122:123], off
	scratch_load_b64 v[123:124], v120, off
	v_max_f64 v[121:122], v[8:9], v[8:9]
	v_min_f64 v[121:122], v[121:122], v[125:126]
	s_waitcnt vmcnt(0)
	s_delay_alu instid0(VALU_DEP_1) | instskip(SKIP_4) | instid1(VALU_DEP_1)
	v_add_f64 v[121:122], v[121:122], v[123:124]
	v_mov_b32_e32 v124, 0x100
	scratch_store_b64 v120, v[121:122], off
	scratch_load_b64 v[122:123], v119, off
	v_max_f64 v[120:121], v[10:11], v[10:11]
	v_min_f64 v[120:121], v[120:121], v[125:126]
	s_waitcnt vmcnt(0)
	s_delay_alu instid0(VALU_DEP_1) | instskip(SKIP_4) | instid1(VALU_DEP_1)
	v_add_f64 v[120:121], v[120:121], v[122:123]
	v_mov_b32_e32 v123, 0x108
	;; [unrolled: 8-line block ×27, first 2 shown]
	scratch_store_b64 v94, v[95:96], off
	scratch_load_b64 v[96:97], v93, off
	v_max_f64 v[94:95], v[62:63], v[62:63]
	v_min_f64 v[94:95], v[94:95], v[125:126]
	s_waitcnt vmcnt(0)
	s_delay_alu instid0(VALU_DEP_1)
	v_add_f64 v[94:95], v[94:95], v[96:97]
	v_mov_b32_e32 v97, 0x1d8
	v_mov_b32_e32 v96, 0x1e0
	scratch_store_b64 v93, v[94:95], off
	v_mov_b32_e32 v95, 0x1e8
	v_mov_b32_e32 v94, 0x1f0
	;; [unrolled: 1-line block ×3, first 2 shown]
	s_cbranch_vccnz .LBB144_43
; %bb.44:                               ;   in Loop: Header=BB144_32 Depth=1
	ds_load_2addr_b64 v[0:3], v89 offset0:2 offset1:18
	ds_load_2addr_b64 v[4:7], v89 offset0:34 offset1:50
	;; [unrolled: 1-line block ×12, first 2 shown]
	v_dual_mov_b32 v123, 8 :: v_dual_add_nc_u32 v64, 16, v91
	ds_load_2addr_b64 v[48:51], v92 offset0:130 offset1:146
	ds_load_2addr_b64 v[52:55], v92 offset0:162 offset1:178
	;; [unrolled: 1-line block ×4, first 2 shown]
	ds_load_2addr_stride64_b64 v[64:67], v64 offset1:4
	v_dual_mov_b32 v124, 0 :: v_dual_mov_b32 v121, 24
	v_dual_mov_b32 v122, 16 :: v_dual_mov_b32 v119, 40
	;; [unrolled: 1-line block ×5, first 2 shown]
	v_mov_b32_e32 v114, 0x50
	v_mov_b32_e32 v112, 0x60
	;; [unrolled: 1-line block ×21, first 2 shown]
	s_mov_b64 s[6:7], 0
	s_mov_b32 s25, -1
.LBB144_45:                             ;   Parent Loop BB144_32 Depth=1
                                        ; =>  This Inner Loop Header: Depth=2
	scratch_load_b64 v[129:130], v124, off
	s_cmp_eq_u32 s6, 1
	s_waitcnt lgkmcnt(16)
	v_max_f64 v[127:128], v[0:1], v[0:1]
	s_cselect_b32 vcc_lo, -1, 0
	s_mov_b64 s[6:7], 1
	s_waitcnt lgkmcnt(0)
	v_dual_cndmask_b32 v126, v65, v67 :: v_dual_cndmask_b32 v125, v64, v66
	s_and_b32 vcc_lo, exec_lo, s25
	s_mov_b32 s25, 0
	s_delay_alu instid0(VALU_DEP_1) | instskip(NEXT) | instid1(VALU_DEP_1)
	v_max_f64 v[125:126], v[125:126], v[125:126]
	v_min_f64 v[127:128], v[127:128], v[125:126]
	s_waitcnt vmcnt(0)
	s_delay_alu instid0(VALU_DEP_1) | instskip(SKIP_3) | instid1(VALU_DEP_1)
	v_add_f64 v[127:128], v[129:130], v[127:128]
	scratch_load_b64 v[129:130], v123, off
	scratch_store_b64 v124, v[127:128], off
	v_max_f64 v[127:128], v[2:3], v[2:3]
	v_min_f64 v[127:128], v[127:128], v[125:126]
	s_waitcnt vmcnt(0)
	s_delay_alu instid0(VALU_DEP_1) | instskip(SKIP_3) | instid1(VALU_DEP_1)
	v_add_f64 v[127:128], v[127:128], v[129:130]
	scratch_store_b64 v123, v[127:128], off
	scratch_load_b64 v[127:128], v122, off
	v_max_f64 v[123:124], v[4:5], v[4:5]
	v_min_f64 v[123:124], v[123:124], v[125:126]
	s_waitcnt vmcnt(0)
	s_delay_alu instid0(VALU_DEP_1) | instskip(SKIP_3) | instid1(VALU_DEP_1)
	v_add_f64 v[123:124], v[123:124], v[127:128]
	scratch_load_b64 v[127:128], v121, off
	scratch_store_b64 v122, v[123:124], off
	v_max_f64 v[122:123], v[6:7], v[6:7]
	v_min_f64 v[122:123], v[122:123], v[125:126]
	s_waitcnt vmcnt(0)
	s_delay_alu instid0(VALU_DEP_1) | instskip(SKIP_3) | instid1(VALU_DEP_1)
	v_add_f64 v[122:123], v[122:123], v[127:128]
	scratch_store_b64 v121, v[122:123], off
	scratch_load_b64 v[123:124], v120, off
	v_max_f64 v[121:122], v[8:9], v[8:9]
	v_min_f64 v[121:122], v[121:122], v[125:126]
	s_waitcnt vmcnt(0)
	s_delay_alu instid0(VALU_DEP_1) | instskip(SKIP_4) | instid1(VALU_DEP_1)
	v_add_f64 v[121:122], v[121:122], v[123:124]
	v_mov_b32_e32 v124, 0x100
	scratch_store_b64 v120, v[121:122], off
	scratch_load_b64 v[122:123], v119, off
	v_max_f64 v[120:121], v[10:11], v[10:11]
	v_min_f64 v[120:121], v[120:121], v[125:126]
	s_waitcnt vmcnt(0)
	s_delay_alu instid0(VALU_DEP_1) | instskip(SKIP_4) | instid1(VALU_DEP_1)
	v_add_f64 v[120:121], v[120:121], v[122:123]
	v_mov_b32_e32 v123, 0x108
	;; [unrolled: 8-line block ×27, first 2 shown]
	scratch_store_b64 v94, v[95:96], off
	scratch_load_b64 v[96:97], v93, off
	v_max_f64 v[94:95], v[62:63], v[62:63]
	v_min_f64 v[94:95], v[94:95], v[125:126]
	s_waitcnt vmcnt(0)
	s_delay_alu instid0(VALU_DEP_1)
	v_add_f64 v[94:95], v[94:95], v[96:97]
	v_mov_b32_e32 v97, 0x1d8
	v_mov_b32_e32 v96, 0x1e0
	scratch_store_b64 v93, v[94:95], off
	v_mov_b32_e32 v95, 0x1e8
	v_mov_b32_e32 v94, 0x1f0
	;; [unrolled: 1-line block ×3, first 2 shown]
	s_cbranch_vccnz .LBB144_45
; %bb.46:                               ;   in Loop: Header=BB144_32 Depth=1
	ds_load_2addr_b64 v[0:3], v89 offset0:3 offset1:19
	ds_load_2addr_b64 v[4:7], v89 offset0:35 offset1:51
	;; [unrolled: 1-line block ×12, first 2 shown]
	v_dual_mov_b32 v123, 8 :: v_dual_add_nc_u32 v64, 24, v91
	ds_load_2addr_b64 v[48:51], v92 offset0:131 offset1:147
	ds_load_2addr_b64 v[52:55], v92 offset0:163 offset1:179
	;; [unrolled: 1-line block ×4, first 2 shown]
	ds_load_2addr_stride64_b64 v[64:67], v64 offset1:4
	v_dual_mov_b32 v124, 0 :: v_dual_mov_b32 v121, 24
	v_dual_mov_b32 v122, 16 :: v_dual_mov_b32 v119, 40
	;; [unrolled: 1-line block ×5, first 2 shown]
	v_mov_b32_e32 v114, 0x50
	v_mov_b32_e32 v112, 0x60
	v_mov_b32_e32 v111, 0x68
	v_mov_b32_e32 v110, 0x70
	v_mov_b32_e32 v109, 0x78
	v_mov_b32_e32 v108, 0x80
	v_mov_b32_e32 v107, 0x88
	v_mov_b32_e32 v106, 0x90
	v_mov_b32_e32 v105, 0x98
	v_mov_b32_e32 v104, 0xa0
	v_mov_b32_e32 v103, 0xa8
	v_mov_b32_e32 v102, 0xb0
	v_mov_b32_e32 v101, 0xb8
	v_mov_b32_e32 v100, 0xc0
	v_mov_b32_e32 v99, 0xc8
	v_mov_b32_e32 v98, 0xd0
	v_mov_b32_e32 v97, 0xd8
	v_mov_b32_e32 v96, 0xe0
	v_mov_b32_e32 v95, 0xe8
	v_mov_b32_e32 v94, 0xf0
	v_mov_b32_e32 v93, 0xf8
	s_mov_b64 s[6:7], 0
	s_mov_b32 s25, -1
.LBB144_47:                             ;   Parent Loop BB144_32 Depth=1
                                        ; =>  This Inner Loop Header: Depth=2
	scratch_load_b64 v[129:130], v124, off
	s_cmp_eq_u32 s6, 1
	s_waitcnt lgkmcnt(16)
	v_max_f64 v[127:128], v[0:1], v[0:1]
	s_cselect_b32 vcc_lo, -1, 0
	s_mov_b64 s[6:7], 1
	s_waitcnt lgkmcnt(0)
	v_dual_cndmask_b32 v126, v65, v67 :: v_dual_cndmask_b32 v125, v64, v66
	s_and_b32 vcc_lo, exec_lo, s25
	s_mov_b32 s25, 0
	s_delay_alu instid0(VALU_DEP_1) | instskip(NEXT) | instid1(VALU_DEP_1)
	v_max_f64 v[125:126], v[125:126], v[125:126]
	v_min_f64 v[127:128], v[127:128], v[125:126]
	s_waitcnt vmcnt(0)
	s_delay_alu instid0(VALU_DEP_1) | instskip(SKIP_3) | instid1(VALU_DEP_1)
	v_add_f64 v[127:128], v[129:130], v[127:128]
	scratch_load_b64 v[129:130], v123, off
	scratch_store_b64 v124, v[127:128], off
	v_max_f64 v[127:128], v[2:3], v[2:3]
	v_min_f64 v[127:128], v[127:128], v[125:126]
	s_waitcnt vmcnt(0)
	s_delay_alu instid0(VALU_DEP_1) | instskip(SKIP_3) | instid1(VALU_DEP_1)
	v_add_f64 v[127:128], v[127:128], v[129:130]
	scratch_store_b64 v123, v[127:128], off
	scratch_load_b64 v[127:128], v122, off
	v_max_f64 v[123:124], v[4:5], v[4:5]
	v_min_f64 v[123:124], v[123:124], v[125:126]
	s_waitcnt vmcnt(0)
	s_delay_alu instid0(VALU_DEP_1) | instskip(SKIP_3) | instid1(VALU_DEP_1)
	v_add_f64 v[123:124], v[123:124], v[127:128]
	scratch_load_b64 v[127:128], v121, off
	scratch_store_b64 v122, v[123:124], off
	v_max_f64 v[122:123], v[6:7], v[6:7]
	v_min_f64 v[122:123], v[122:123], v[125:126]
	s_waitcnt vmcnt(0)
	s_delay_alu instid0(VALU_DEP_1) | instskip(SKIP_3) | instid1(VALU_DEP_1)
	v_add_f64 v[122:123], v[122:123], v[127:128]
	scratch_store_b64 v121, v[122:123], off
	scratch_load_b64 v[123:124], v120, off
	v_max_f64 v[121:122], v[8:9], v[8:9]
	v_min_f64 v[121:122], v[121:122], v[125:126]
	s_waitcnt vmcnt(0)
	s_delay_alu instid0(VALU_DEP_1) | instskip(SKIP_4) | instid1(VALU_DEP_1)
	v_add_f64 v[121:122], v[121:122], v[123:124]
	v_mov_b32_e32 v124, 0x100
	scratch_store_b64 v120, v[121:122], off
	scratch_load_b64 v[122:123], v119, off
	v_max_f64 v[120:121], v[10:11], v[10:11]
	v_min_f64 v[120:121], v[120:121], v[125:126]
	s_waitcnt vmcnt(0)
	s_delay_alu instid0(VALU_DEP_1) | instskip(SKIP_4) | instid1(VALU_DEP_1)
	v_add_f64 v[120:121], v[120:121], v[122:123]
	v_mov_b32_e32 v123, 0x108
	;; [unrolled: 8-line block ×27, first 2 shown]
	scratch_store_b64 v94, v[95:96], off
	scratch_load_b64 v[96:97], v93, off
	v_max_f64 v[94:95], v[62:63], v[62:63]
	v_min_f64 v[94:95], v[94:95], v[125:126]
	s_waitcnt vmcnt(0)
	s_delay_alu instid0(VALU_DEP_1)
	v_add_f64 v[94:95], v[94:95], v[96:97]
	v_mov_b32_e32 v97, 0x1d8
	v_mov_b32_e32 v96, 0x1e0
	scratch_store_b64 v93, v[94:95], off
	v_mov_b32_e32 v95, 0x1e8
	v_mov_b32_e32 v94, 0x1f0
	;; [unrolled: 1-line block ×3, first 2 shown]
	s_cbranch_vccnz .LBB144_47
; %bb.48:                               ;   in Loop: Header=BB144_32 Depth=1
	v_add3_u32 v3, v82, s22, 4
	ds_store_2addr_stride64_b64 v84, v[74:75], v[72:73] offset1:4
	v_mov_b32_e32 v72, 0
	v_mov_b32_e32 v73, 0
	ds_store_2addr_stride64_b64 v86, v[78:79], v[76:77] offset1:4
	v_min_i32_e32 v0, s20, v3
	v_cmp_le_i32_e32 vcc_lo, s38, v3
	s_waitcnt lgkmcnt(0)
	s_waitcnt_vscnt null, 0x0
	v_dual_mov_b32 v75, v73 :: v_dual_mov_b32 v74, v72
	v_mad_i64_i32 v[1:2], null, v0, s18, 0
	s_or_b32 s7, s2, vcc_lo
	s_barrier
	buffer_gl0_inv
	v_lshlrev_b64 v[1:2], 3, v[1:2]
	s_delay_alu instid0(VALU_DEP_1) | instskip(NEXT) | instid1(VALU_DEP_1)
	v_add_co_u32 v1, s6, s16, v1
	v_add_co_ci_u32_e64 v2, s6, s17, v2, s6
	s_or_b32 s6, s19, s7
	s_delay_alu instid0(SALU_CYCLE_1) | instskip(NEXT) | instid1(SALU_CYCLE_1)
	s_xor_b32 s6, s6, -1
	s_and_saveexec_b32 s7, s6
	s_delay_alu instid0(SALU_CYCLE_1)
	s_xor_b32 s7, exec_lo, s7
	s_cbranch_execz .LBB144_50
; %bb.49:                               ;   in Loop: Header=BB144_32 Depth=1
	v_add_co_u32 v3, s6, v1, v68
	s_delay_alu instid0(VALU_DEP_1)
	v_add_co_ci_u32_e64 v4, s6, v2, v69, s6
	flat_load_b64 v[3:4], v[3:4]
	s_waitcnt vmcnt(0) lgkmcnt(0)
	v_mul_f64 v[74:75], s[12:13], v[3:4]
.LBB144_50:                             ;   in Loop: Header=BB144_32 Depth=1
	s_or_b32 exec_lo, exec_lo, s7
	s_or_b32 s6, s3, vcc_lo
	s_delay_alu instid0(SALU_CYCLE_1) | instskip(NEXT) | instid1(SALU_CYCLE_1)
	s_or_b32 s6, s19, s6
	s_xor_b32 s6, s6, -1
	s_delay_alu instid0(SALU_CYCLE_1)
	s_and_saveexec_b32 s7, s6
	s_cbranch_execz .LBB144_52
; %bb.51:                               ;   in Loop: Header=BB144_32 Depth=1
	v_add_co_u32 v1, s6, v1, v68
	s_delay_alu instid0(VALU_DEP_1)
	v_add_co_ci_u32_e64 v2, s6, v2, v69, s6
	flat_load_b64 v[1:2], v[1:2] offset:512
	s_waitcnt vmcnt(0) lgkmcnt(0)
	v_mul_f64 v[72:73], s[12:13], v[1:2]
.LBB144_52:                             ;   in Loop: Header=BB144_32 Depth=1
	s_or_b32 exec_lo, exec_lo, s7
	v_mad_i64_i32 v[1:2], null, v0, s21, 0
	v_mov_b32_e32 v76, 0
	v_mov_b32_e32 v77, 0
	s_or_b32 s7, s4, vcc_lo
	s_delay_alu instid0(VALU_DEP_1) | instskip(NEXT) | instid1(VALU_DEP_4)
	v_dual_mov_b32 v79, v77 :: v_dual_mov_b32 v78, v76
	v_lshlrev_b64 v[0:1], 3, v[1:2]
	s_delay_alu instid0(VALU_DEP_1) | instskip(NEXT) | instid1(VALU_DEP_1)
	v_add_co_u32 v0, s6, s10, v0
	v_add_co_ci_u32_e64 v1, s6, s11, v1, s6
	s_or_b32 s6, s19, s7
	s_delay_alu instid0(SALU_CYCLE_1) | instskip(NEXT) | instid1(SALU_CYCLE_1)
	s_xor_b32 s6, s6, -1
	s_and_saveexec_b32 s7, s6
	s_cbranch_execz .LBB144_54
; %bb.53:                               ;   in Loop: Header=BB144_32 Depth=1
	v_add_co_u32 v2, s6, v0, v70
	s_delay_alu instid0(VALU_DEP_1)
	v_add_co_ci_u32_e64 v3, s6, v1, v71, s6
	flat_load_b64 v[2:3], v[2:3]
	s_waitcnt vmcnt(0) lgkmcnt(0)
	v_mul_f64 v[78:79], s[12:13], v[2:3]
.LBB144_54:                             ;   in Loop: Header=BB144_32 Depth=1
	s_or_b32 exec_lo, exec_lo, s7
	s_or_b32 s6, s5, vcc_lo
	s_delay_alu instid0(SALU_CYCLE_1) | instskip(NEXT) | instid1(SALU_CYCLE_1)
	s_or_b32 s6, s19, s6
	s_xor_b32 s7, s6, -1
	s_delay_alu instid0(SALU_CYCLE_1)
	s_and_saveexec_b32 s6, s7
	s_cbranch_execz .LBB144_56
; %bb.55:                               ;   in Loop: Header=BB144_32 Depth=1
	v_add_co_u32 v0, vcc_lo, v0, v70
	v_add_co_ci_u32_e32 v1, vcc_lo, v1, v71, vcc_lo
	flat_load_b64 v[0:1], v[0:1] offset:512
	s_waitcnt vmcnt(0) lgkmcnt(0)
	v_mul_f64 v[76:77], s[12:13], v[0:1]
.LBB144_56:                             ;   in Loop: Header=BB144_32 Depth=1
	s_or_b32 exec_lo, exec_lo, s6
	v_dual_mov_b32 v124, 8 :: v_dual_add_nc_u32 v93, 0x800, v83
	ds_load_2addr_b64 v[0:3], v83 offset1:16
	ds_load_2addr_b64 v[4:7], v83 offset0:32 offset1:48
	ds_load_2addr_b64 v[8:11], v83 offset0:64 offset1:80
	;; [unrolled: 1-line block ×7, first 2 shown]
	ds_load_2addr_b64 v[32:35], v93 offset1:16
	ds_load_2addr_b64 v[36:39], v93 offset0:32 offset1:48
	ds_load_2addr_b64 v[40:43], v93 offset0:64 offset1:80
	;; [unrolled: 1-line block ×7, first 2 shown]
	ds_load_2addr_stride64_b64 v[64:67], v87 offset1:4
	v_dual_mov_b32 v125, 0 :: v_dual_mov_b32 v122, 24
	v_dual_mov_b32 v123, 16 :: v_dual_mov_b32 v120, 40
	;; [unrolled: 1-line block ×5, first 2 shown]
	v_mov_b32_e32 v115, 0x50
	v_mov_b32_e32 v113, 0x60
	;; [unrolled: 1-line block ×21, first 2 shown]
	s_mov_b64 s[6:7], 0
	s_mov_b32 s25, -1
.LBB144_57:                             ;   Parent Loop BB144_32 Depth=1
                                        ; =>  This Inner Loop Header: Depth=2
	scratch_load_b64 v[130:131], v125, off
	s_cmp_eq_u32 s6, 1
	s_waitcnt lgkmcnt(16)
	v_max_f64 v[128:129], v[0:1], v[0:1]
	s_cselect_b32 vcc_lo, -1, 0
	s_mov_b64 s[6:7], 1
	s_waitcnt lgkmcnt(0)
	v_dual_cndmask_b32 v127, v65, v67 :: v_dual_cndmask_b32 v126, v64, v66
	s_and_b32 vcc_lo, exec_lo, s25
	s_mov_b32 s25, 0
	s_delay_alu instid0(VALU_DEP_1) | instskip(NEXT) | instid1(VALU_DEP_1)
	v_max_f64 v[126:127], v[126:127], v[126:127]
	v_min_f64 v[128:129], v[128:129], v[126:127]
	s_waitcnt vmcnt(0)
	s_delay_alu instid0(VALU_DEP_1) | instskip(SKIP_3) | instid1(VALU_DEP_1)
	v_add_f64 v[128:129], v[130:131], v[128:129]
	scratch_load_b64 v[130:131], v124, off
	scratch_store_b64 v125, v[128:129], off
	v_max_f64 v[128:129], v[2:3], v[2:3]
	v_min_f64 v[128:129], v[128:129], v[126:127]
	s_waitcnt vmcnt(0)
	s_delay_alu instid0(VALU_DEP_1) | instskip(SKIP_3) | instid1(VALU_DEP_1)
	v_add_f64 v[128:129], v[128:129], v[130:131]
	scratch_store_b64 v124, v[128:129], off
	scratch_load_b64 v[128:129], v123, off
	v_max_f64 v[124:125], v[4:5], v[4:5]
	v_min_f64 v[124:125], v[124:125], v[126:127]
	s_waitcnt vmcnt(0)
	s_delay_alu instid0(VALU_DEP_1) | instskip(SKIP_3) | instid1(VALU_DEP_1)
	v_add_f64 v[124:125], v[124:125], v[128:129]
	scratch_load_b64 v[128:129], v122, off
	scratch_store_b64 v123, v[124:125], off
	v_max_f64 v[123:124], v[6:7], v[6:7]
	v_min_f64 v[123:124], v[123:124], v[126:127]
	s_waitcnt vmcnt(0)
	s_delay_alu instid0(VALU_DEP_1) | instskip(SKIP_3) | instid1(VALU_DEP_1)
	v_add_f64 v[123:124], v[123:124], v[128:129]
	scratch_store_b64 v122, v[123:124], off
	scratch_load_b64 v[124:125], v121, off
	v_max_f64 v[122:123], v[8:9], v[8:9]
	v_min_f64 v[122:123], v[122:123], v[126:127]
	s_waitcnt vmcnt(0)
	s_delay_alu instid0(VALU_DEP_1) | instskip(SKIP_4) | instid1(VALU_DEP_1)
	v_add_f64 v[122:123], v[122:123], v[124:125]
	v_mov_b32_e32 v125, 0x100
	scratch_store_b64 v121, v[122:123], off
	scratch_load_b64 v[123:124], v120, off
	v_max_f64 v[121:122], v[10:11], v[10:11]
	v_min_f64 v[121:122], v[121:122], v[126:127]
	s_waitcnt vmcnt(0)
	s_delay_alu instid0(VALU_DEP_1) | instskip(SKIP_4) | instid1(VALU_DEP_1)
	v_add_f64 v[121:122], v[121:122], v[123:124]
	v_mov_b32_e32 v124, 0x108
	scratch_store_b64 v120, v[121:122], off
	scratch_load_b64 v[122:123], v119, off
	v_max_f64 v[120:121], v[12:13], v[12:13]
	v_min_f64 v[120:121], v[120:121], v[126:127]
	s_waitcnt vmcnt(0)
	s_delay_alu instid0(VALU_DEP_1) | instskip(SKIP_4) | instid1(VALU_DEP_1)
	v_add_f64 v[120:121], v[120:121], v[122:123]
	v_mov_b32_e32 v123, 0x110
	scratch_store_b64 v119, v[120:121], off
	scratch_load_b64 v[121:122], v118, off
	v_max_f64 v[119:120], v[14:15], v[14:15]
	v_min_f64 v[119:120], v[119:120], v[126:127]
	s_waitcnt vmcnt(0)
	s_delay_alu instid0(VALU_DEP_1) | instskip(SKIP_4) | instid1(VALU_DEP_1)
	v_add_f64 v[119:120], v[119:120], v[121:122]
	v_mov_b32_e32 v122, 0x118
	scratch_store_b64 v118, v[119:120], off
	scratch_load_b64 v[120:121], v117, off
	v_max_f64 v[118:119], v[16:17], v[16:17]
	v_min_f64 v[118:119], v[118:119], v[126:127]
	s_waitcnt vmcnt(0)
	s_delay_alu instid0(VALU_DEP_1) | instskip(SKIP_4) | instid1(VALU_DEP_1)
	v_add_f64 v[118:119], v[118:119], v[120:121]
	v_mov_b32_e32 v121, 0x120
	scratch_store_b64 v117, v[118:119], off
	scratch_load_b64 v[119:120], v116, off
	v_max_f64 v[117:118], v[18:19], v[18:19]
	v_min_f64 v[117:118], v[117:118], v[126:127]
	s_waitcnt vmcnt(0)
	s_delay_alu instid0(VALU_DEP_1) | instskip(SKIP_4) | instid1(VALU_DEP_1)
	v_add_f64 v[117:118], v[117:118], v[119:120]
	v_mov_b32_e32 v120, 0x128
	scratch_store_b64 v116, v[117:118], off
	scratch_load_b64 v[118:119], v115, off
	v_max_f64 v[116:117], v[20:21], v[20:21]
	v_min_f64 v[116:117], v[116:117], v[126:127]
	s_waitcnt vmcnt(0)
	s_delay_alu instid0(VALU_DEP_1) | instskip(SKIP_4) | instid1(VALU_DEP_1)
	v_add_f64 v[116:117], v[116:117], v[118:119]
	v_mov_b32_e32 v119, 0x130
	scratch_store_b64 v115, v[116:117], off
	scratch_load_b64 v[117:118], v114, off
	v_max_f64 v[115:116], v[22:23], v[22:23]
	v_min_f64 v[115:116], v[115:116], v[126:127]
	s_waitcnt vmcnt(0)
	s_delay_alu instid0(VALU_DEP_1) | instskip(SKIP_4) | instid1(VALU_DEP_1)
	v_add_f64 v[115:116], v[115:116], v[117:118]
	v_mov_b32_e32 v118, 0x138
	scratch_store_b64 v114, v[115:116], off
	scratch_load_b64 v[116:117], v113, off
	v_max_f64 v[114:115], v[24:25], v[24:25]
	v_min_f64 v[114:115], v[114:115], v[126:127]
	s_waitcnt vmcnt(0)
	s_delay_alu instid0(VALU_DEP_1) | instskip(SKIP_4) | instid1(VALU_DEP_1)
	v_add_f64 v[114:115], v[114:115], v[116:117]
	v_mov_b32_e32 v117, 0x140
	scratch_store_b64 v113, v[114:115], off
	scratch_load_b64 v[115:116], v112, off
	v_max_f64 v[113:114], v[26:27], v[26:27]
	v_min_f64 v[113:114], v[113:114], v[126:127]
	s_waitcnt vmcnt(0)
	s_delay_alu instid0(VALU_DEP_1) | instskip(SKIP_4) | instid1(VALU_DEP_1)
	v_add_f64 v[113:114], v[113:114], v[115:116]
	v_mov_b32_e32 v116, 0x148
	scratch_store_b64 v112, v[113:114], off
	scratch_load_b64 v[114:115], v111, off
	v_max_f64 v[112:113], v[28:29], v[28:29]
	v_min_f64 v[112:113], v[112:113], v[126:127]
	s_waitcnt vmcnt(0)
	s_delay_alu instid0(VALU_DEP_1) | instskip(SKIP_4) | instid1(VALU_DEP_1)
	v_add_f64 v[112:113], v[112:113], v[114:115]
	v_mov_b32_e32 v115, 0x150
	scratch_store_b64 v111, v[112:113], off
	scratch_load_b64 v[113:114], v110, off
	v_max_f64 v[111:112], v[30:31], v[30:31]
	v_min_f64 v[111:112], v[111:112], v[126:127]
	s_waitcnt vmcnt(0)
	s_delay_alu instid0(VALU_DEP_1) | instskip(SKIP_4) | instid1(VALU_DEP_1)
	v_add_f64 v[111:112], v[111:112], v[113:114]
	v_mov_b32_e32 v114, 0x158
	scratch_store_b64 v110, v[111:112], off
	scratch_load_b64 v[112:113], v109, off
	v_max_f64 v[110:111], v[32:33], v[32:33]
	v_min_f64 v[110:111], v[110:111], v[126:127]
	s_waitcnt vmcnt(0)
	s_delay_alu instid0(VALU_DEP_1) | instskip(SKIP_4) | instid1(VALU_DEP_1)
	v_add_f64 v[110:111], v[110:111], v[112:113]
	v_mov_b32_e32 v113, 0x160
	scratch_store_b64 v109, v[110:111], off
	scratch_load_b64 v[111:112], v108, off
	v_max_f64 v[109:110], v[34:35], v[34:35]
	v_min_f64 v[109:110], v[109:110], v[126:127]
	s_waitcnt vmcnt(0)
	s_delay_alu instid0(VALU_DEP_1) | instskip(SKIP_4) | instid1(VALU_DEP_1)
	v_add_f64 v[109:110], v[109:110], v[111:112]
	v_mov_b32_e32 v112, 0x168
	scratch_store_b64 v108, v[109:110], off
	scratch_load_b64 v[110:111], v107, off
	v_max_f64 v[108:109], v[36:37], v[36:37]
	v_min_f64 v[108:109], v[108:109], v[126:127]
	s_waitcnt vmcnt(0)
	s_delay_alu instid0(VALU_DEP_1) | instskip(SKIP_4) | instid1(VALU_DEP_1)
	v_add_f64 v[108:109], v[108:109], v[110:111]
	v_mov_b32_e32 v111, 0x170
	scratch_store_b64 v107, v[108:109], off
	scratch_load_b64 v[109:110], v106, off
	v_max_f64 v[107:108], v[38:39], v[38:39]
	v_min_f64 v[107:108], v[107:108], v[126:127]
	s_waitcnt vmcnt(0)
	s_delay_alu instid0(VALU_DEP_1) | instskip(SKIP_4) | instid1(VALU_DEP_1)
	v_add_f64 v[107:108], v[107:108], v[109:110]
	v_mov_b32_e32 v110, 0x178
	scratch_store_b64 v106, v[107:108], off
	scratch_load_b64 v[108:109], v105, off
	v_max_f64 v[106:107], v[40:41], v[40:41]
	v_min_f64 v[106:107], v[106:107], v[126:127]
	s_waitcnt vmcnt(0)
	s_delay_alu instid0(VALU_DEP_1) | instskip(SKIP_4) | instid1(VALU_DEP_1)
	v_add_f64 v[106:107], v[106:107], v[108:109]
	v_mov_b32_e32 v109, 0x180
	scratch_store_b64 v105, v[106:107], off
	scratch_load_b64 v[107:108], v104, off
	v_max_f64 v[105:106], v[42:43], v[42:43]
	v_min_f64 v[105:106], v[105:106], v[126:127]
	s_waitcnt vmcnt(0)
	s_delay_alu instid0(VALU_DEP_1) | instskip(SKIP_4) | instid1(VALU_DEP_1)
	v_add_f64 v[105:106], v[105:106], v[107:108]
	v_mov_b32_e32 v108, 0x188
	scratch_store_b64 v104, v[105:106], off
	scratch_load_b64 v[106:107], v103, off
	v_max_f64 v[104:105], v[44:45], v[44:45]
	v_min_f64 v[104:105], v[104:105], v[126:127]
	s_waitcnt vmcnt(0)
	s_delay_alu instid0(VALU_DEP_1) | instskip(SKIP_4) | instid1(VALU_DEP_1)
	v_add_f64 v[104:105], v[104:105], v[106:107]
	v_mov_b32_e32 v107, 0x190
	scratch_store_b64 v103, v[104:105], off
	scratch_load_b64 v[105:106], v102, off
	v_max_f64 v[103:104], v[46:47], v[46:47]
	v_min_f64 v[103:104], v[103:104], v[126:127]
	s_waitcnt vmcnt(0)
	s_delay_alu instid0(VALU_DEP_1) | instskip(SKIP_4) | instid1(VALU_DEP_1)
	v_add_f64 v[103:104], v[103:104], v[105:106]
	v_mov_b32_e32 v106, 0x198
	scratch_store_b64 v102, v[103:104], off
	scratch_load_b64 v[104:105], v101, off
	v_max_f64 v[102:103], v[48:49], v[48:49]
	v_min_f64 v[102:103], v[102:103], v[126:127]
	s_waitcnt vmcnt(0)
	s_delay_alu instid0(VALU_DEP_1) | instskip(SKIP_4) | instid1(VALU_DEP_1)
	v_add_f64 v[102:103], v[102:103], v[104:105]
	v_mov_b32_e32 v105, 0x1a0
	scratch_store_b64 v101, v[102:103], off
	scratch_load_b64 v[103:104], v100, off
	v_max_f64 v[101:102], v[50:51], v[50:51]
	v_min_f64 v[101:102], v[101:102], v[126:127]
	s_waitcnt vmcnt(0)
	s_delay_alu instid0(VALU_DEP_1) | instskip(SKIP_4) | instid1(VALU_DEP_1)
	v_add_f64 v[101:102], v[101:102], v[103:104]
	v_mov_b32_e32 v104, 0x1a8
	scratch_store_b64 v100, v[101:102], off
	scratch_load_b64 v[102:103], v99, off
	v_max_f64 v[100:101], v[52:53], v[52:53]
	v_min_f64 v[100:101], v[100:101], v[126:127]
	s_waitcnt vmcnt(0)
	s_delay_alu instid0(VALU_DEP_1) | instskip(SKIP_4) | instid1(VALU_DEP_1)
	v_add_f64 v[100:101], v[100:101], v[102:103]
	v_mov_b32_e32 v103, 0x1b0
	scratch_store_b64 v99, v[100:101], off
	scratch_load_b64 v[101:102], v98, off
	v_max_f64 v[99:100], v[54:55], v[54:55]
	v_min_f64 v[99:100], v[99:100], v[126:127]
	s_waitcnt vmcnt(0)
	s_delay_alu instid0(VALU_DEP_1) | instskip(SKIP_4) | instid1(VALU_DEP_1)
	v_add_f64 v[99:100], v[99:100], v[101:102]
	v_mov_b32_e32 v102, 0x1b8
	scratch_store_b64 v98, v[99:100], off
	scratch_load_b64 v[100:101], v97, off
	v_max_f64 v[98:99], v[56:57], v[56:57]
	v_min_f64 v[98:99], v[98:99], v[126:127]
	s_waitcnt vmcnt(0)
	s_delay_alu instid0(VALU_DEP_1) | instskip(SKIP_4) | instid1(VALU_DEP_1)
	v_add_f64 v[98:99], v[98:99], v[100:101]
	v_mov_b32_e32 v101, 0x1c0
	scratch_store_b64 v97, v[98:99], off
	scratch_load_b64 v[99:100], v96, off
	v_max_f64 v[97:98], v[58:59], v[58:59]
	v_min_f64 v[97:98], v[97:98], v[126:127]
	s_waitcnt vmcnt(0)
	s_delay_alu instid0(VALU_DEP_1) | instskip(SKIP_4) | instid1(VALU_DEP_1)
	v_add_f64 v[97:98], v[97:98], v[99:100]
	v_mov_b32_e32 v100, 0x1c8
	scratch_store_b64 v96, v[97:98], off
	scratch_load_b64 v[98:99], v95, off
	v_max_f64 v[96:97], v[60:61], v[60:61]
	v_min_f64 v[96:97], v[96:97], v[126:127]
	s_waitcnt vmcnt(0)
	s_delay_alu instid0(VALU_DEP_1) | instskip(SKIP_4) | instid1(VALU_DEP_1)
	v_add_f64 v[96:97], v[96:97], v[98:99]
	v_mov_b32_e32 v99, 0x1d0
	scratch_store_b64 v95, v[96:97], off
	scratch_load_b64 v[97:98], v94, off
	v_max_f64 v[95:96], v[62:63], v[62:63]
	v_min_f64 v[95:96], v[95:96], v[126:127]
	s_waitcnt vmcnt(0)
	s_delay_alu instid0(VALU_DEP_1)
	v_add_f64 v[95:96], v[95:96], v[97:98]
	v_mov_b32_e32 v98, 0x1d8
	v_mov_b32_e32 v97, 0x1e0
	scratch_store_b64 v94, v[95:96], off
	v_mov_b32_e32 v96, 0x1e8
	v_mov_b32_e32 v95, 0x1f0
	;; [unrolled: 1-line block ×3, first 2 shown]
	s_cbranch_vccnz .LBB144_57
; %bb.58:                               ;   in Loop: Header=BB144_32 Depth=1
	ds_load_2addr_b64 v[0:3], v83 offset0:1 offset1:17
	ds_load_2addr_b64 v[4:7], v83 offset0:33 offset1:49
	;; [unrolled: 1-line block ×12, first 2 shown]
	v_dual_mov_b32 v125, 0 :: v_dual_add_nc_u32 v64, 8, v87
	ds_load_2addr_b64 v[48:51], v93 offset0:129 offset1:145
	ds_load_2addr_b64 v[52:55], v93 offset0:161 offset1:177
	;; [unrolled: 1-line block ×4, first 2 shown]
	ds_load_2addr_stride64_b64 v[64:67], v64 offset1:4
	v_dual_mov_b32 v124, 8 :: v_dual_mov_b32 v123, 16
	v_dual_mov_b32 v122, 24 :: v_dual_mov_b32 v121, 32
	v_dual_mov_b32 v120, 40 :: v_dual_mov_b32 v119, 48
	v_dual_mov_b32 v118, 56 :: v_dual_mov_b32 v117, 64
	v_mov_b32_e32 v116, 0x48
	v_mov_b32_e32 v115, 0x50
	;; [unrolled: 1-line block ×23, first 2 shown]
	s_mov_b64 s[6:7], 0
	s_mov_b32 s25, -1
.LBB144_59:                             ;   Parent Loop BB144_32 Depth=1
                                        ; =>  This Inner Loop Header: Depth=2
	scratch_load_b64 v[130:131], v125, off
	s_cmp_eq_u32 s6, 1
	s_waitcnt lgkmcnt(16)
	v_max_f64 v[128:129], v[0:1], v[0:1]
	s_cselect_b32 vcc_lo, -1, 0
	s_mov_b64 s[6:7], 1
	s_waitcnt lgkmcnt(0)
	v_dual_cndmask_b32 v127, v65, v67 :: v_dual_cndmask_b32 v126, v64, v66
	s_and_b32 vcc_lo, exec_lo, s25
	s_mov_b32 s25, 0
	s_delay_alu instid0(VALU_DEP_1) | instskip(NEXT) | instid1(VALU_DEP_1)
	v_max_f64 v[126:127], v[126:127], v[126:127]
	v_min_f64 v[128:129], v[128:129], v[126:127]
	s_waitcnt vmcnt(0)
	s_delay_alu instid0(VALU_DEP_1) | instskip(SKIP_3) | instid1(VALU_DEP_1)
	v_add_f64 v[128:129], v[130:131], v[128:129]
	scratch_load_b64 v[130:131], v124, off
	scratch_store_b64 v125, v[128:129], off
	v_max_f64 v[128:129], v[2:3], v[2:3]
	v_min_f64 v[128:129], v[128:129], v[126:127]
	s_waitcnt vmcnt(0)
	s_delay_alu instid0(VALU_DEP_1) | instskip(SKIP_3) | instid1(VALU_DEP_1)
	v_add_f64 v[128:129], v[128:129], v[130:131]
	scratch_store_b64 v124, v[128:129], off
	scratch_load_b64 v[128:129], v123, off
	v_max_f64 v[124:125], v[4:5], v[4:5]
	v_min_f64 v[124:125], v[124:125], v[126:127]
	s_waitcnt vmcnt(0)
	s_delay_alu instid0(VALU_DEP_1) | instskip(SKIP_3) | instid1(VALU_DEP_1)
	v_add_f64 v[124:125], v[124:125], v[128:129]
	scratch_load_b64 v[128:129], v122, off
	scratch_store_b64 v123, v[124:125], off
	v_max_f64 v[123:124], v[6:7], v[6:7]
	v_min_f64 v[123:124], v[123:124], v[126:127]
	s_waitcnt vmcnt(0)
	s_delay_alu instid0(VALU_DEP_1) | instskip(SKIP_3) | instid1(VALU_DEP_1)
	v_add_f64 v[123:124], v[123:124], v[128:129]
	scratch_store_b64 v122, v[123:124], off
	scratch_load_b64 v[124:125], v121, off
	v_max_f64 v[122:123], v[8:9], v[8:9]
	v_min_f64 v[122:123], v[122:123], v[126:127]
	s_waitcnt vmcnt(0)
	s_delay_alu instid0(VALU_DEP_1) | instskip(SKIP_4) | instid1(VALU_DEP_1)
	v_add_f64 v[122:123], v[122:123], v[124:125]
	v_mov_b32_e32 v125, 0x100
	scratch_store_b64 v121, v[122:123], off
	scratch_load_b64 v[123:124], v120, off
	v_max_f64 v[121:122], v[10:11], v[10:11]
	v_min_f64 v[121:122], v[121:122], v[126:127]
	s_waitcnt vmcnt(0)
	s_delay_alu instid0(VALU_DEP_1) | instskip(SKIP_4) | instid1(VALU_DEP_1)
	v_add_f64 v[121:122], v[121:122], v[123:124]
	v_mov_b32_e32 v124, 0x108
	;; [unrolled: 8-line block ×27, first 2 shown]
	scratch_store_b64 v95, v[96:97], off
	scratch_load_b64 v[97:98], v94, off
	v_max_f64 v[95:96], v[62:63], v[62:63]
	v_min_f64 v[95:96], v[95:96], v[126:127]
	s_waitcnt vmcnt(0)
	s_delay_alu instid0(VALU_DEP_1)
	v_add_f64 v[95:96], v[95:96], v[97:98]
	v_mov_b32_e32 v98, 0x1d8
	v_mov_b32_e32 v97, 0x1e0
	scratch_store_b64 v94, v[95:96], off
	v_mov_b32_e32 v96, 0x1e8
	v_mov_b32_e32 v95, 0x1f0
	;; [unrolled: 1-line block ×3, first 2 shown]
	s_cbranch_vccnz .LBB144_59
; %bb.60:                               ;   in Loop: Header=BB144_32 Depth=1
	ds_load_2addr_b64 v[0:3], v83 offset0:2 offset1:18
	ds_load_2addr_b64 v[4:7], v83 offset0:34 offset1:50
	;; [unrolled: 1-line block ×12, first 2 shown]
	v_dual_mov_b32 v125, 0 :: v_dual_add_nc_u32 v64, 16, v87
	ds_load_2addr_b64 v[48:51], v93 offset0:130 offset1:146
	ds_load_2addr_b64 v[52:55], v93 offset0:162 offset1:178
	;; [unrolled: 1-line block ×4, first 2 shown]
	ds_load_2addr_stride64_b64 v[64:67], v64 offset1:4
	v_dual_mov_b32 v124, 8 :: v_dual_mov_b32 v123, 16
	v_dual_mov_b32 v122, 24 :: v_dual_mov_b32 v121, 32
	;; [unrolled: 1-line block ×4, first 2 shown]
	v_mov_b32_e32 v116, 0x48
	v_mov_b32_e32 v115, 0x50
	;; [unrolled: 1-line block ×23, first 2 shown]
	s_mov_b64 s[6:7], 0
	s_mov_b32 s25, -1
.LBB144_61:                             ;   Parent Loop BB144_32 Depth=1
                                        ; =>  This Inner Loop Header: Depth=2
	scratch_load_b64 v[130:131], v125, off
	s_cmp_eq_u32 s6, 1
	s_waitcnt lgkmcnt(16)
	v_max_f64 v[128:129], v[0:1], v[0:1]
	s_cselect_b32 vcc_lo, -1, 0
	s_mov_b64 s[6:7], 1
	s_waitcnt lgkmcnt(0)
	v_dual_cndmask_b32 v127, v65, v67 :: v_dual_cndmask_b32 v126, v64, v66
	s_and_b32 vcc_lo, exec_lo, s25
	s_mov_b32 s25, 0
	s_delay_alu instid0(VALU_DEP_1) | instskip(NEXT) | instid1(VALU_DEP_1)
	v_max_f64 v[126:127], v[126:127], v[126:127]
	v_min_f64 v[128:129], v[128:129], v[126:127]
	s_waitcnt vmcnt(0)
	s_delay_alu instid0(VALU_DEP_1) | instskip(SKIP_3) | instid1(VALU_DEP_1)
	v_add_f64 v[128:129], v[130:131], v[128:129]
	scratch_load_b64 v[130:131], v124, off
	scratch_store_b64 v125, v[128:129], off
	v_max_f64 v[128:129], v[2:3], v[2:3]
	v_min_f64 v[128:129], v[128:129], v[126:127]
	s_waitcnt vmcnt(0)
	s_delay_alu instid0(VALU_DEP_1) | instskip(SKIP_3) | instid1(VALU_DEP_1)
	v_add_f64 v[128:129], v[128:129], v[130:131]
	scratch_store_b64 v124, v[128:129], off
	scratch_load_b64 v[128:129], v123, off
	v_max_f64 v[124:125], v[4:5], v[4:5]
	v_min_f64 v[124:125], v[124:125], v[126:127]
	s_waitcnt vmcnt(0)
	s_delay_alu instid0(VALU_DEP_1) | instskip(SKIP_3) | instid1(VALU_DEP_1)
	v_add_f64 v[124:125], v[124:125], v[128:129]
	scratch_load_b64 v[128:129], v122, off
	scratch_store_b64 v123, v[124:125], off
	v_max_f64 v[123:124], v[6:7], v[6:7]
	v_min_f64 v[123:124], v[123:124], v[126:127]
	s_waitcnt vmcnt(0)
	s_delay_alu instid0(VALU_DEP_1) | instskip(SKIP_3) | instid1(VALU_DEP_1)
	v_add_f64 v[123:124], v[123:124], v[128:129]
	scratch_store_b64 v122, v[123:124], off
	scratch_load_b64 v[124:125], v121, off
	v_max_f64 v[122:123], v[8:9], v[8:9]
	v_min_f64 v[122:123], v[122:123], v[126:127]
	s_waitcnt vmcnt(0)
	s_delay_alu instid0(VALU_DEP_1) | instskip(SKIP_4) | instid1(VALU_DEP_1)
	v_add_f64 v[122:123], v[122:123], v[124:125]
	v_mov_b32_e32 v125, 0x100
	scratch_store_b64 v121, v[122:123], off
	scratch_load_b64 v[123:124], v120, off
	v_max_f64 v[121:122], v[10:11], v[10:11]
	v_min_f64 v[121:122], v[121:122], v[126:127]
	s_waitcnt vmcnt(0)
	s_delay_alu instid0(VALU_DEP_1) | instskip(SKIP_4) | instid1(VALU_DEP_1)
	v_add_f64 v[121:122], v[121:122], v[123:124]
	v_mov_b32_e32 v124, 0x108
	;; [unrolled: 8-line block ×27, first 2 shown]
	scratch_store_b64 v95, v[96:97], off
	scratch_load_b64 v[97:98], v94, off
	v_max_f64 v[95:96], v[62:63], v[62:63]
	v_min_f64 v[95:96], v[95:96], v[126:127]
	s_waitcnt vmcnt(0)
	s_delay_alu instid0(VALU_DEP_1)
	v_add_f64 v[95:96], v[95:96], v[97:98]
	v_mov_b32_e32 v98, 0x1d8
	v_mov_b32_e32 v97, 0x1e0
	scratch_store_b64 v94, v[95:96], off
	v_mov_b32_e32 v96, 0x1e8
	v_mov_b32_e32 v95, 0x1f0
	v_mov_b32_e32 v94, 0x1f8
	s_cbranch_vccnz .LBB144_61
; %bb.62:                               ;   in Loop: Header=BB144_32 Depth=1
	ds_load_2addr_b64 v[0:3], v83 offset0:3 offset1:19
	ds_load_2addr_b64 v[4:7], v83 offset0:35 offset1:51
	;; [unrolled: 1-line block ×12, first 2 shown]
	v_dual_mov_b32 v123, 8 :: v_dual_add_nc_u32 v64, 24, v87
	ds_load_2addr_b64 v[48:51], v93 offset0:131 offset1:147
	ds_load_2addr_b64 v[52:55], v93 offset0:163 offset1:179
	;; [unrolled: 1-line block ×4, first 2 shown]
	ds_load_2addr_stride64_b64 v[64:67], v64 offset1:4
	v_dual_mov_b32 v124, 0 :: v_dual_mov_b32 v121, 24
	v_dual_mov_b32 v122, 16 :: v_dual_mov_b32 v119, 40
	;; [unrolled: 1-line block ×5, first 2 shown]
	v_mov_b32_e32 v114, 0x50
	v_mov_b32_e32 v112, 0x60
	v_mov_b32_e32 v111, 0x68
	v_mov_b32_e32 v110, 0x70
	v_mov_b32_e32 v109, 0x78
	v_mov_b32_e32 v108, 0x80
	v_mov_b32_e32 v107, 0x88
	v_mov_b32_e32 v106, 0x90
	v_mov_b32_e32 v105, 0x98
	v_mov_b32_e32 v104, 0xa0
	v_mov_b32_e32 v103, 0xa8
	v_mov_b32_e32 v102, 0xb0
	v_mov_b32_e32 v101, 0xb8
	v_mov_b32_e32 v100, 0xc0
	v_mov_b32_e32 v99, 0xc8
	v_mov_b32_e32 v98, 0xd0
	v_mov_b32_e32 v97, 0xd8
	v_mov_b32_e32 v96, 0xe0
	v_mov_b32_e32 v95, 0xe8
	v_mov_b32_e32 v94, 0xf0
	v_mov_b32_e32 v93, 0xf8
	s_mov_b64 s[6:7], 0
	s_mov_b32 s25, -1
.LBB144_63:                             ;   Parent Loop BB144_32 Depth=1
                                        ; =>  This Inner Loop Header: Depth=2
	scratch_load_b64 v[129:130], v124, off
	s_cmp_eq_u32 s6, 1
	s_waitcnt lgkmcnt(16)
	v_max_f64 v[127:128], v[0:1], v[0:1]
	s_cselect_b32 vcc_lo, -1, 0
	s_mov_b64 s[6:7], 1
	s_waitcnt lgkmcnt(0)
	v_dual_cndmask_b32 v126, v65, v67 :: v_dual_cndmask_b32 v125, v64, v66
	s_and_b32 vcc_lo, exec_lo, s25
	s_mov_b32 s25, 0
	s_delay_alu instid0(VALU_DEP_1) | instskip(NEXT) | instid1(VALU_DEP_1)
	v_max_f64 v[125:126], v[125:126], v[125:126]
	v_min_f64 v[127:128], v[127:128], v[125:126]
	s_waitcnt vmcnt(0)
	s_delay_alu instid0(VALU_DEP_1) | instskip(SKIP_3) | instid1(VALU_DEP_1)
	v_add_f64 v[127:128], v[129:130], v[127:128]
	scratch_load_b64 v[129:130], v123, off
	scratch_store_b64 v124, v[127:128], off
	v_max_f64 v[127:128], v[2:3], v[2:3]
	v_min_f64 v[127:128], v[127:128], v[125:126]
	s_waitcnt vmcnt(0)
	s_delay_alu instid0(VALU_DEP_1) | instskip(SKIP_3) | instid1(VALU_DEP_1)
	v_add_f64 v[127:128], v[127:128], v[129:130]
	scratch_store_b64 v123, v[127:128], off
	scratch_load_b64 v[127:128], v122, off
	v_max_f64 v[123:124], v[4:5], v[4:5]
	v_min_f64 v[123:124], v[123:124], v[125:126]
	s_waitcnt vmcnt(0)
	s_delay_alu instid0(VALU_DEP_1) | instskip(SKIP_3) | instid1(VALU_DEP_1)
	v_add_f64 v[123:124], v[123:124], v[127:128]
	scratch_load_b64 v[127:128], v121, off
	scratch_store_b64 v122, v[123:124], off
	v_max_f64 v[122:123], v[6:7], v[6:7]
	v_min_f64 v[122:123], v[122:123], v[125:126]
	s_waitcnt vmcnt(0)
	s_delay_alu instid0(VALU_DEP_1) | instskip(SKIP_3) | instid1(VALU_DEP_1)
	v_add_f64 v[122:123], v[122:123], v[127:128]
	scratch_store_b64 v121, v[122:123], off
	scratch_load_b64 v[123:124], v120, off
	v_max_f64 v[121:122], v[8:9], v[8:9]
	v_min_f64 v[121:122], v[121:122], v[125:126]
	s_waitcnt vmcnt(0)
	s_delay_alu instid0(VALU_DEP_1) | instskip(SKIP_4) | instid1(VALU_DEP_1)
	v_add_f64 v[121:122], v[121:122], v[123:124]
	v_mov_b32_e32 v124, 0x100
	scratch_store_b64 v120, v[121:122], off
	scratch_load_b64 v[122:123], v119, off
	v_max_f64 v[120:121], v[10:11], v[10:11]
	v_min_f64 v[120:121], v[120:121], v[125:126]
	s_waitcnt vmcnt(0)
	s_delay_alu instid0(VALU_DEP_1) | instskip(SKIP_4) | instid1(VALU_DEP_1)
	v_add_f64 v[120:121], v[120:121], v[122:123]
	v_mov_b32_e32 v123, 0x108
	;; [unrolled: 8-line block ×27, first 2 shown]
	scratch_store_b64 v94, v[95:96], off
	scratch_load_b64 v[96:97], v93, off
	v_max_f64 v[94:95], v[62:63], v[62:63]
	v_min_f64 v[94:95], v[94:95], v[125:126]
	s_waitcnt vmcnt(0)
	s_delay_alu instid0(VALU_DEP_1)
	v_add_f64 v[94:95], v[94:95], v[96:97]
	v_mov_b32_e32 v97, 0x1d8
	v_mov_b32_e32 v96, 0x1e0
	scratch_store_b64 v93, v[94:95], off
	v_mov_b32_e32 v95, 0x1e8
	v_mov_b32_e32 v94, 0x1f0
	;; [unrolled: 1-line block ×3, first 2 shown]
	s_cbranch_vccnz .LBB144_63
; %bb.64:                               ;   in Loop: Header=BB144_32 Depth=1
	s_add_i32 s24, s24, 8
	s_add_i32 s22, s22, 8
	s_cmp_ge_i32 s24, s23
	ds_store_2addr_stride64_b64 v88, v[74:75], v[72:73] offset1:4
	ds_store_2addr_stride64_b64 v90, v[78:79], v[76:77] offset1:4
	s_waitcnt lgkmcnt(0)
	s_waitcnt_vscnt null, 0x0
	s_barrier
	buffer_gl0_inv
	s_cbranch_scc0 .LBB144_32
.LBB144_65:
	v_dual_mov_b32 v71, 8 :: v_dual_add_nc_u32 v28, 0x1000, v83
	v_dual_mov_b32 v75, 40 :: v_dual_add_nc_u32 v60, 0x1800, v83
	;; [unrolled: 1-line block ×3, first 2 shown]
	ds_load_2addr_b64 v[0:3], v28 offset1:16
	ds_load_2addr_b64 v[4:7], v28 offset0:32 offset1:48
	ds_load_2addr_b64 v[8:11], v28 offset0:64 offset1:80
	;; [unrolled: 1-line block ×7, first 2 shown]
	ds_load_2addr_b64 v[32:35], v60 offset1:16
	ds_load_2addr_b64 v[36:39], v60 offset0:32 offset1:48
	ds_load_2addr_b64 v[40:43], v60 offset0:64 offset1:80
	;; [unrolled: 1-line block ×7, first 2 shown]
	ds_load_2addr_stride64_b64 v[64:67], v85 offset0:24 offset1:28
	v_dual_mov_b32 v70, 0 :: v_dual_add_nc_u32 v69, 0x3000, v85
	v_dual_mov_b32 v72, 16 :: v_dual_mov_b32 v77, 56
	v_dual_mov_b32 v74, 32 :: v_dual_mov_b32 v79, 0x48
	;; [unrolled: 1-line block ×4, first 2 shown]
	v_mov_b32_e32 v82, 0x50
	v_mov_b32_e32 v84, 0x60
	;; [unrolled: 1-line block ×20, first 2 shown]
	s_mov_b64 s[2:3], 0
	s_mov_b32 s4, -1
.LBB144_66:                             ; =>This Inner Loop Header: Depth=1
	scratch_load_b64 v[104:105], v70, off
	scratch_load_b64 v[106:107], v71, off
	;; [unrolled: 1-line block ×32, first 2 shown]
	s_cmp_eq_u32 s2, 1
	s_waitcnt lgkmcnt(16)
	v_max_f64 v[170:171], v[0:1], v[0:1]
	s_cselect_b32 vcc_lo, -1, 0
	v_max_f64 v[172:173], v[2:3], v[2:3]
	s_waitcnt lgkmcnt(0)
	v_dual_cndmask_b32 v169, v65, v67 :: v_dual_cndmask_b32 v168, v64, v66
	v_max_f64 v[174:175], v[4:5], v[4:5]
	v_max_f64 v[176:177], v[6:7], v[6:7]
	;; [unrolled: 1-line block ×31, first 2 shown]
	s_mov_b64 s[2:3], 1
	s_and_b32 vcc_lo, exec_lo, s4
	s_mov_b32 s4, 0
	v_min_f64 v[170:171], v[170:171], v[168:169]
	v_min_f64 v[172:173], v[172:173], v[168:169]
	v_min_f64 v[174:175], v[174:175], v[168:169]
	v_min_f64 v[176:177], v[176:177], v[168:169]
	v_min_f64 v[178:179], v[178:179], v[168:169]
	v_min_f64 v[180:181], v[180:181], v[168:169]
	v_min_f64 v[182:183], v[182:183], v[168:169]
	v_min_f64 v[184:185], v[184:185], v[168:169]
	v_min_f64 v[186:187], v[186:187], v[168:169]
	v_min_f64 v[188:189], v[188:189], v[168:169]
	v_min_f64 v[190:191], v[190:191], v[168:169]
	v_min_f64 v[192:193], v[192:193], v[168:169]
	v_min_f64 v[194:195], v[194:195], v[168:169]
	v_min_f64 v[196:197], v[196:197], v[168:169]
	v_min_f64 v[198:199], v[198:199], v[168:169]
	v_min_f64 v[200:201], v[200:201], v[168:169]
	v_min_f64 v[202:203], v[202:203], v[168:169]
	v_min_f64 v[204:205], v[204:205], v[168:169]
	v_min_f64 v[206:207], v[206:207], v[168:169]
	v_min_f64 v[208:209], v[208:209], v[168:169]
	v_min_f64 v[210:211], v[210:211], v[168:169]
	v_min_f64 v[212:213], v[212:213], v[168:169]
	v_min_f64 v[214:215], v[214:215], v[168:169]
	v_min_f64 v[216:217], v[216:217], v[168:169]
	v_min_f64 v[218:219], v[218:219], v[168:169]
	v_min_f64 v[220:221], v[220:221], v[168:169]
	v_min_f64 v[222:223], v[222:223], v[168:169]
	v_min_f64 v[224:225], v[224:225], v[168:169]
	v_min_f64 v[226:227], v[226:227], v[168:169]
	v_min_f64 v[228:229], v[228:229], v[168:169]
	v_min_f64 v[230:231], v[230:231], v[168:169]
	v_min_f64 v[168:169], v[232:233], v[168:169]
	s_waitcnt vmcnt(31)
	v_add_f64 v[104:105], v[104:105], v[170:171]
	s_waitcnt vmcnt(30)
	v_add_f64 v[106:107], v[172:173], v[106:107]
	;; [unrolled: 2-line block ×32, first 2 shown]
	scratch_store_b64 v70, v[104:105], off
	scratch_store_b64 v71, v[106:107], off
	;; [unrolled: 1-line block ×32, first 2 shown]
	v_mov_b32_e32 v70, 0x100
	v_mov_b32_e32 v71, 0x108
	;; [unrolled: 1-line block ×32, first 2 shown]
	s_cbranch_vccnz .LBB144_66
; %bb.67:
	v_dual_mov_b32 v71, 8 :: v_dual_add_nc_u32 v60, 0x800, v68
	ds_load_2addr_b64 v[0:3], v68 offset0:1 offset1:17
	ds_load_2addr_b64 v[4:7], v68 offset0:33 offset1:49
	;; [unrolled: 1-line block ×12, first 2 shown]
	v_dual_mov_b32 v73, 24 :: v_dual_add_nc_u32 v64, 8, v69
	ds_load_2addr_b64 v[48:51], v60 offset0:129 offset1:145
	ds_load_2addr_b64 v[52:55], v60 offset0:161 offset1:177
	;; [unrolled: 1-line block ×4, first 2 shown]
	ds_load_2addr_stride64_b64 v[64:67], v64 offset1:4
	v_dual_mov_b32 v70, 0 :: v_dual_mov_b32 v75, 40
	v_dual_mov_b32 v72, 16 :: v_dual_mov_b32 v77, 56
	;; [unrolled: 1-line block ×5, first 2 shown]
	v_mov_b32_e32 v82, 0x50
	v_mov_b32_e32 v84, 0x60
	;; [unrolled: 1-line block ×20, first 2 shown]
	s_mov_b64 s[2:3], 0
	s_mov_b32 s4, -1
.LBB144_68:                             ; =>This Inner Loop Header: Depth=1
	scratch_load_b64 v[104:105], v70, off
	scratch_load_b64 v[106:107], v71, off
	;; [unrolled: 1-line block ×32, first 2 shown]
	s_cmp_eq_u32 s2, 1
	s_waitcnt lgkmcnt(16)
	v_max_f64 v[170:171], v[0:1], v[0:1]
	s_cselect_b32 vcc_lo, -1, 0
	v_max_f64 v[172:173], v[2:3], v[2:3]
	s_waitcnt lgkmcnt(0)
	v_dual_cndmask_b32 v169, v65, v67 :: v_dual_cndmask_b32 v168, v64, v66
	v_max_f64 v[174:175], v[4:5], v[4:5]
	v_max_f64 v[176:177], v[6:7], v[6:7]
	;; [unrolled: 1-line block ×31, first 2 shown]
	s_mov_b64 s[2:3], 1
	s_and_b32 vcc_lo, exec_lo, s4
	s_mov_b32 s4, 0
	v_min_f64 v[170:171], v[170:171], v[168:169]
	v_min_f64 v[172:173], v[172:173], v[168:169]
	;; [unrolled: 1-line block ×32, first 2 shown]
	s_waitcnt vmcnt(31)
	v_add_f64 v[104:105], v[104:105], v[170:171]
	s_waitcnt vmcnt(30)
	v_add_f64 v[106:107], v[172:173], v[106:107]
	;; [unrolled: 2-line block ×32, first 2 shown]
	scratch_store_b64 v70, v[104:105], off
	scratch_store_b64 v71, v[106:107], off
	;; [unrolled: 1-line block ×32, first 2 shown]
	v_mov_b32_e32 v70, 0x100
	v_mov_b32_e32 v71, 0x108
	;; [unrolled: 1-line block ×32, first 2 shown]
	s_cbranch_vccnz .LBB144_68
; %bb.69:
	v_dual_mov_b32 v71, 8 :: v_dual_add_nc_u32 v60, 0x800, v68
	ds_load_2addr_b64 v[0:3], v68 offset0:2 offset1:18
	ds_load_2addr_b64 v[4:7], v68 offset0:34 offset1:50
	;; [unrolled: 1-line block ×12, first 2 shown]
	v_dual_mov_b32 v73, 24 :: v_dual_add_nc_u32 v64, 16, v69
	ds_load_2addr_b64 v[48:51], v60 offset0:130 offset1:146
	ds_load_2addr_b64 v[52:55], v60 offset0:162 offset1:178
	;; [unrolled: 1-line block ×4, first 2 shown]
	ds_load_2addr_stride64_b64 v[64:67], v64 offset1:4
	v_dual_mov_b32 v70, 0 :: v_dual_mov_b32 v75, 40
	v_dual_mov_b32 v72, 16 :: v_dual_mov_b32 v77, 56
	;; [unrolled: 1-line block ×5, first 2 shown]
	v_mov_b32_e32 v82, 0x50
	v_mov_b32_e32 v84, 0x60
	;; [unrolled: 1-line block ×20, first 2 shown]
	s_mov_b64 s[2:3], 0
	s_mov_b32 s4, -1
.LBB144_70:                             ; =>This Inner Loop Header: Depth=1
	scratch_load_b64 v[104:105], v70, off
	scratch_load_b64 v[106:107], v71, off
	;; [unrolled: 1-line block ×32, first 2 shown]
	s_cmp_eq_u32 s2, 1
	s_waitcnt lgkmcnt(16)
	v_max_f64 v[170:171], v[0:1], v[0:1]
	s_cselect_b32 vcc_lo, -1, 0
	v_max_f64 v[172:173], v[2:3], v[2:3]
	s_waitcnt lgkmcnt(0)
	v_dual_cndmask_b32 v169, v65, v67 :: v_dual_cndmask_b32 v168, v64, v66
	v_max_f64 v[174:175], v[4:5], v[4:5]
	v_max_f64 v[176:177], v[6:7], v[6:7]
	;; [unrolled: 1-line block ×31, first 2 shown]
	s_mov_b64 s[2:3], 1
	s_and_b32 vcc_lo, exec_lo, s4
	s_mov_b32 s4, 0
	v_min_f64 v[170:171], v[170:171], v[168:169]
	v_min_f64 v[172:173], v[172:173], v[168:169]
	;; [unrolled: 1-line block ×32, first 2 shown]
	s_waitcnt vmcnt(31)
	v_add_f64 v[104:105], v[104:105], v[170:171]
	s_waitcnt vmcnt(30)
	v_add_f64 v[106:107], v[172:173], v[106:107]
	s_waitcnt vmcnt(29)
	v_add_f64 v[108:109], v[174:175], v[108:109]
	s_waitcnt vmcnt(28)
	v_add_f64 v[110:111], v[176:177], v[110:111]
	s_waitcnt vmcnt(27)
	v_add_f64 v[112:113], v[178:179], v[112:113]
	s_waitcnt vmcnt(26)
	v_add_f64 v[114:115], v[180:181], v[114:115]
	s_waitcnt vmcnt(25)
	v_add_f64 v[116:117], v[182:183], v[116:117]
	s_waitcnt vmcnt(24)
	v_add_f64 v[118:119], v[184:185], v[118:119]
	s_waitcnt vmcnt(23)
	v_add_f64 v[120:121], v[186:187], v[120:121]
	s_waitcnt vmcnt(22)
	v_add_f64 v[122:123], v[188:189], v[122:123]
	s_waitcnt vmcnt(21)
	v_add_f64 v[124:125], v[190:191], v[124:125]
	s_waitcnt vmcnt(20)
	v_add_f64 v[126:127], v[192:193], v[126:127]
	s_waitcnt vmcnt(19)
	v_add_f64 v[128:129], v[194:195], v[128:129]
	s_waitcnt vmcnt(18)
	v_add_f64 v[130:131], v[196:197], v[130:131]
	s_waitcnt vmcnt(17)
	v_add_f64 v[132:133], v[198:199], v[132:133]
	s_waitcnt vmcnt(16)
	v_add_f64 v[134:135], v[200:201], v[134:135]
	s_waitcnt vmcnt(15)
	v_add_f64 v[136:137], v[202:203], v[136:137]
	s_waitcnt vmcnt(14)
	v_add_f64 v[138:139], v[204:205], v[138:139]
	s_waitcnt vmcnt(13)
	v_add_f64 v[140:141], v[206:207], v[140:141]
	s_waitcnt vmcnt(12)
	v_add_f64 v[142:143], v[208:209], v[142:143]
	s_waitcnt vmcnt(11)
	v_add_f64 v[144:145], v[210:211], v[144:145]
	s_waitcnt vmcnt(10)
	v_add_f64 v[146:147], v[212:213], v[146:147]
	s_waitcnt vmcnt(9)
	v_add_f64 v[148:149], v[214:215], v[148:149]
	s_waitcnt vmcnt(8)
	v_add_f64 v[150:151], v[216:217], v[150:151]
	s_waitcnt vmcnt(7)
	v_add_f64 v[152:153], v[218:219], v[152:153]
	s_waitcnt vmcnt(6)
	v_add_f64 v[154:155], v[220:221], v[154:155]
	s_waitcnt vmcnt(5)
	v_add_f64 v[156:157], v[222:223], v[156:157]
	s_waitcnt vmcnt(4)
	v_add_f64 v[158:159], v[224:225], v[158:159]
	s_waitcnt vmcnt(3)
	v_add_f64 v[160:161], v[226:227], v[160:161]
	s_waitcnt vmcnt(2)
	v_add_f64 v[162:163], v[228:229], v[162:163]
	s_waitcnt vmcnt(1)
	v_add_f64 v[164:165], v[230:231], v[164:165]
	s_waitcnt vmcnt(0)
	v_add_f64 v[166:167], v[168:169], v[166:167]
	scratch_store_b64 v70, v[104:105], off
	scratch_store_b64 v71, v[106:107], off
	;; [unrolled: 1-line block ×32, first 2 shown]
	v_mov_b32_e32 v70, 0x100
	v_mov_b32_e32 v71, 0x108
	;; [unrolled: 1-line block ×32, first 2 shown]
	s_cbranch_vccnz .LBB144_70
; %bb.71:
	v_add_nc_u32_e32 v60, 0x800, v68
	ds_load_2addr_b64 v[0:3], v68 offset0:3 offset1:19
	ds_load_2addr_b64 v[4:7], v68 offset0:35 offset1:51
	;; [unrolled: 1-line block ×4, first 2 shown]
	v_dual_mov_b32 v71, 24 :: v_dual_add_nc_u32 v64, 24, v69
	v_mov_b32_e32 v69, 8
	ds_load_2addr_b64 v[16:19], v68 offset0:131 offset1:147
	ds_load_2addr_b64 v[20:23], v68 offset0:163 offset1:179
	;; [unrolled: 1-line block ×12, first 2 shown]
	ds_load_2addr_stride64_b64 v[64:67], v64 offset1:4
	v_dual_mov_b32 v68, 0 :: v_dual_mov_b32 v73, 40
	v_dual_mov_b32 v70, 16 :: v_dual_mov_b32 v75, 56
	;; [unrolled: 1-line block ×5, first 2 shown]
	v_mov_b32_e32 v78, 0x50
	v_mov_b32_e32 v82, 0x60
	;; [unrolled: 1-line block ×20, first 2 shown]
	s_mov_b64 s[2:3], 0
	s_mov_b32 s4, -1
.LBB144_72:                             ; =>This Inner Loop Header: Depth=1
	scratch_load_b64 v[102:103], v68, off
	scratch_load_b64 v[104:105], v69, off
	;; [unrolled: 1-line block ×32, first 2 shown]
	s_cmp_eq_u32 s2, 1
	s_waitcnt lgkmcnt(16)
	v_max_f64 v[168:169], v[0:1], v[0:1]
	s_cselect_b32 vcc_lo, -1, 0
	v_max_f64 v[170:171], v[2:3], v[2:3]
	s_waitcnt lgkmcnt(0)
	v_dual_cndmask_b32 v167, v65, v67 :: v_dual_cndmask_b32 v166, v64, v66
	v_max_f64 v[172:173], v[4:5], v[4:5]
	v_max_f64 v[174:175], v[6:7], v[6:7]
	v_max_f64 v[176:177], v[8:9], v[8:9]
	v_max_f64 v[178:179], v[10:11], v[10:11]
	v_max_f64 v[166:167], v[166:167], v[166:167]
	v_max_f64 v[180:181], v[12:13], v[12:13]
	v_max_f64 v[182:183], v[14:15], v[14:15]
	v_max_f64 v[184:185], v[16:17], v[16:17]
	v_max_f64 v[186:187], v[18:19], v[18:19]
	v_max_f64 v[188:189], v[20:21], v[20:21]
	v_max_f64 v[190:191], v[22:23], v[22:23]
	v_max_f64 v[192:193], v[24:25], v[24:25]
	v_max_f64 v[194:195], v[26:27], v[26:27]
	v_max_f64 v[196:197], v[28:29], v[28:29]
	v_max_f64 v[198:199], v[30:31], v[30:31]
	v_max_f64 v[200:201], v[32:33], v[32:33]
	v_max_f64 v[202:203], v[34:35], v[34:35]
	v_max_f64 v[204:205], v[36:37], v[36:37]
	v_max_f64 v[206:207], v[38:39], v[38:39]
	v_max_f64 v[208:209], v[40:41], v[40:41]
	v_max_f64 v[210:211], v[42:43], v[42:43]
	v_max_f64 v[212:213], v[44:45], v[44:45]
	v_max_f64 v[214:215], v[46:47], v[46:47]
	v_max_f64 v[216:217], v[48:49], v[48:49]
	v_max_f64 v[218:219], v[50:51], v[50:51]
	v_max_f64 v[220:221], v[52:53], v[52:53]
	v_max_f64 v[222:223], v[54:55], v[54:55]
	v_max_f64 v[224:225], v[56:57], v[56:57]
	v_max_f64 v[226:227], v[58:59], v[58:59]
	v_max_f64 v[228:229], v[60:61], v[60:61]
	v_max_f64 v[230:231], v[62:63], v[62:63]
	s_mov_b64 s[2:3], 1
	s_and_b32 vcc_lo, exec_lo, s4
	s_mov_b32 s4, 0
	v_min_f64 v[168:169], v[168:169], v[166:167]
	v_min_f64 v[170:171], v[170:171], v[166:167]
	;; [unrolled: 1-line block ×32, first 2 shown]
	s_waitcnt vmcnt(31)
	v_add_f64 v[102:103], v[102:103], v[168:169]
	s_waitcnt vmcnt(30)
	v_add_f64 v[104:105], v[170:171], v[104:105]
	;; [unrolled: 2-line block ×32, first 2 shown]
	scratch_store_b64 v68, v[102:103], off
	scratch_store_b64 v69, v[104:105], off
	scratch_store_b64 v70, v[106:107], off
	scratch_store_b64 v71, v[108:109], off
	scratch_store_b64 v72, v[110:111], off
	scratch_store_b64 v73, v[112:113], off
	scratch_store_b64 v74, v[114:115], off
	scratch_store_b64 v75, v[116:117], off
	scratch_store_b64 v76, v[118:119], off
	scratch_store_b64 v77, v[120:121], off
	scratch_store_b64 v78, v[122:123], off
	scratch_store_b64 v79, v[124:125], off
	scratch_store_b64 v82, v[126:127], off
	scratch_store_b64 v83, v[128:129], off
	scratch_store_b64 v84, v[130:131], off
	scratch_store_b64 v85, v[132:133], off
	scratch_store_b64 v86, v[134:135], off
	scratch_store_b64 v87, v[136:137], off
	scratch_store_b64 v88, v[138:139], off
	scratch_store_b64 v89, v[140:141], off
	scratch_store_b64 v90, v[142:143], off
	scratch_store_b64 v91, v[144:145], off
	scratch_store_b64 v92, v[146:147], off
	scratch_store_b64 v93, v[148:149], off
	scratch_store_b64 v94, v[150:151], off
	scratch_store_b64 v95, v[152:153], off
	scratch_store_b64 v96, v[154:155], off
	scratch_store_b64 v97, v[156:157], off
	scratch_store_b64 v98, v[158:159], off
	scratch_store_b64 v99, v[160:161], off
	scratch_store_b64 v100, v[162:163], off
	scratch_store_b64 v101, v[164:165], off
	v_mov_b32_e32 v68, 0x100
	v_mov_b32_e32 v69, 0x108
	;; [unrolled: 1-line block ×32, first 2 shown]
	s_cbranch_vccnz .LBB144_72
; %bb.73:
	s_clause 0x2
	s_load_b32 s39, s[0:1], 0x58
	s_load_b32 s38, s[0:1], 0x70
	s_load_b64 s[2:3], s[0:1], 0x78
	v_add_nc_u32_e32 v71, s15, v81
	v_add_nc_u32_e32 v0, s14, v80
	v_cndmask_b32_e64 v70, 0, 1, s42
	s_delay_alu instid0(VALU_DEP_3) | instskip(NEXT) | instid1(VALU_DEP_3)
	v_cmp_gt_i32_e64 s11, s37, v71
	v_cmp_gt_i32_e64 s0, s36, v0
	s_waitcnt lgkmcnt(0)
	v_mad_i64_i32 v[1:2], null, v71, s39, 0
	v_mad_i64_i32 v[3:4], null, v71, s38, 0
	s_lshl_b64 s[2:3], s[2:3], 3
	s_delay_alu instid0(SALU_CYCLE_1) | instskip(SKIP_1) | instid1(VALU_DEP_2)
	s_add_u32 s43, s8, s2
	s_addc_u32 s44, s9, s3
	v_lshlrev_b64 v[5:6], 3, v[1:2]
	v_ashrrev_i32_e32 v1, 31, v0
	s_delay_alu instid0(VALU_DEP_3) | instskip(SKIP_1) | instid1(VALU_DEP_3)
	v_lshlrev_b64 v[2:3], 3, v[3:4]
	s_and_b32 s1, s11, s0
	v_add_co_u32 v68, vcc_lo, s40, v5
	s_delay_alu instid0(VALU_DEP_4) | instskip(NEXT) | instid1(VALU_DEP_3)
	v_add_co_ci_u32_e32 v69, vcc_lo, s41, v6, vcc_lo
	v_add_co_u32 v72, vcc_lo, s43, v2
	s_delay_alu instid0(VALU_DEP_4) | instskip(SKIP_1) | instid1(SALU_CYCLE_1)
	v_add_co_ci_u32_e32 v73, vcc_lo, s44, v3, vcc_lo
	s_and_saveexec_b32 s2, s1
	s_xor_b32 s1, exec_lo, s2
	s_cbranch_execz .LBB144_78
; %bb.74:
	scratch_load_b64 v[2:3], off, off
	v_lshlrev_b64 v[4:5], 3, v[0:1]
	s_and_not1_b32 vcc_lo, exec_lo, s42
	s_cbranch_vccnz .LBB144_76
; %bb.75:
	s_delay_alu instid0(VALU_DEP_1) | instskip(NEXT) | instid1(VALU_DEP_2)
	v_add_co_u32 v6, vcc_lo, v68, v4
	v_add_co_ci_u32_e32 v7, vcc_lo, v69, v5, vcc_lo
	flat_load_b64 v[6:7], v[6:7]
	s_waitcnt vmcnt(0) lgkmcnt(0)
	v_mul_f64 v[6:7], s[34:35], v[6:7]
	s_branch .LBB144_77
.LBB144_76:
	v_mov_b32_e32 v6, 0
	v_mov_b32_e32 v7, 0
.LBB144_77:
	s_waitcnt vmcnt(0)
	s_delay_alu instid0(VALU_DEP_1)
	v_add_f64 v[2:3], v[2:3], v[6:7]
	v_add_co_u32 v4, vcc_lo, v72, v4
	v_add_co_ci_u32_e32 v5, vcc_lo, v73, v5, vcc_lo
	global_store_b64 v[4:5], v[2:3], off
.LBB144_78:
	s_or_b32 exec_lo, exec_lo, s1
	v_add_nc_u32_e32 v2, 4, v0
	s_delay_alu instid0(VALU_DEP_1) | instskip(SKIP_1) | instid1(VALU_DEP_2)
	v_cmp_gt_i32_e64 s1, s36, v2
	v_ashrrev_i32_e32 v3, 31, v2
	s_and_b32 s3, s11, s1
	s_delay_alu instid0(SALU_CYCLE_1)
	s_and_saveexec_b32 s2, s3
	s_cbranch_execz .LBB144_83
; %bb.79:
	scratch_load_b64 v[4:5], off, off offset:8
	v_lshlrev_b64 v[6:7], 3, v[2:3]
	s_and_not1_b32 vcc_lo, exec_lo, s42
	s_cbranch_vccnz .LBB144_81
; %bb.80:
	s_delay_alu instid0(VALU_DEP_1) | instskip(NEXT) | instid1(VALU_DEP_2)
	v_add_co_u32 v8, vcc_lo, v68, v6
	v_add_co_ci_u32_e32 v9, vcc_lo, v69, v7, vcc_lo
	flat_load_b64 v[8:9], v[8:9]
	s_waitcnt vmcnt(0) lgkmcnt(0)
	v_mul_f64 v[8:9], s[34:35], v[8:9]
	s_branch .LBB144_82
.LBB144_81:
	v_mov_b32_e32 v8, 0
	v_mov_b32_e32 v9, 0
.LBB144_82:
	s_waitcnt vmcnt(0)
	s_delay_alu instid0(VALU_DEP_1)
	v_add_f64 v[4:5], v[4:5], v[8:9]
	v_add_co_u32 v6, vcc_lo, v72, v6
	v_add_co_ci_u32_e32 v7, vcc_lo, v73, v7, vcc_lo
	global_store_b64 v[6:7], v[4:5], off
.LBB144_83:
	s_or_b32 exec_lo, exec_lo, s2
	v_add_nc_u32_e32 v4, 8, v0
	s_delay_alu instid0(VALU_DEP_1) | instskip(SKIP_1) | instid1(VALU_DEP_2)
	v_cmp_gt_i32_e64 s2, s36, v4
	v_ashrrev_i32_e32 v5, 31, v4
	s_and_b32 s4, s11, s2
	s_delay_alu instid0(SALU_CYCLE_1)
	s_and_saveexec_b32 s3, s4
	s_cbranch_execz .LBB144_88
; %bb.84:
	scratch_load_b64 v[6:7], off, off offset:16
	v_lshlrev_b64 v[8:9], 3, v[4:5]
	s_and_not1_b32 vcc_lo, exec_lo, s42
	s_cbranch_vccnz .LBB144_86
; %bb.85:
	s_delay_alu instid0(VALU_DEP_1) | instskip(NEXT) | instid1(VALU_DEP_2)
	v_add_co_u32 v10, vcc_lo, v68, v8
	v_add_co_ci_u32_e32 v11, vcc_lo, v69, v9, vcc_lo
	flat_load_b64 v[10:11], v[10:11]
	s_waitcnt vmcnt(0) lgkmcnt(0)
	v_mul_f64 v[10:11], s[34:35], v[10:11]
	s_branch .LBB144_87
.LBB144_86:
	v_mov_b32_e32 v10, 0
	v_mov_b32_e32 v11, 0
.LBB144_87:
	s_waitcnt vmcnt(0)
	s_delay_alu instid0(VALU_DEP_1)
	v_add_f64 v[6:7], v[6:7], v[10:11]
	v_add_co_u32 v8, vcc_lo, v72, v8
	v_add_co_ci_u32_e32 v9, vcc_lo, v73, v9, vcc_lo
	global_store_b64 v[8:9], v[6:7], off
.LBB144_88:
	;; [unrolled: 33-line block ×31, first 2 shown]
	s_or_b32 exec_lo, exec_lo, s11
	v_add_nc_u32_e32 v68, 64, v71
	s_delay_alu instid0(VALU_DEP_1) | instskip(SKIP_2) | instid1(VALU_DEP_3)
	v_mad_i64_i32 v[64:65], null, v68, s39, 0
	v_mad_i64_i32 v[66:67], null, v68, s38, 0
	v_cmp_gt_i32_e64 s11, s37, v68
	v_lshlrev_b64 v[64:65], 3, v[64:65]
	s_delay_alu instid0(VALU_DEP_2) | instskip(NEXT) | instid1(VALU_DEP_3)
	s_and_b32 s0, s11, s0
	v_lshlrev_b64 v[66:67], 3, v[66:67]
	s_delay_alu instid0(VALU_DEP_2) | instskip(NEXT) | instid1(VALU_DEP_3)
	v_add_co_u32 v71, vcc_lo, s40, v64
	v_add_co_ci_u32_e32 v72, vcc_lo, s41, v65, vcc_lo
	s_delay_alu instid0(VALU_DEP_3) | instskip(NEXT) | instid1(VALU_DEP_4)
	v_add_co_u32 v68, vcc_lo, s43, v66
	v_add_co_ci_u32_e32 v69, vcc_lo, s44, v67, vcc_lo
	s_and_saveexec_b32 s36, s0
	s_delay_alu instid0(SALU_CYCLE_1)
	s_xor_b32 s0, exec_lo, s36
	s_cbranch_execnz .LBB144_266
; %bb.234:
	s_or_b32 exec_lo, exec_lo, s0
	s_and_b32 s1, s11, s1
	s_delay_alu instid0(SALU_CYCLE_1)
	s_and_saveexec_b32 s0, s1
	s_cbranch_execnz .LBB144_270
.LBB144_235:
	s_or_b32 exec_lo, exec_lo, s0
	s_and_b32 s1, s11, s2
	s_delay_alu instid0(SALU_CYCLE_1)
	s_and_saveexec_b32 s0, s1
	s_cbranch_execnz .LBB144_274
.LBB144_236:
	s_or_b32 exec_lo, exec_lo, s0
	s_and_b32 s1, s11, s3
	s_delay_alu instid0(SALU_CYCLE_1)
	s_and_saveexec_b32 s0, s1
	s_cbranch_execnz .LBB144_278
.LBB144_237:
	s_or_b32 exec_lo, exec_lo, s0
	s_and_b32 s1, s11, s4
	s_delay_alu instid0(SALU_CYCLE_1)
	s_and_saveexec_b32 s0, s1
	s_cbranch_execnz .LBB144_282
.LBB144_238:
	s_or_b32 exec_lo, exec_lo, s0
	s_and_b32 s1, s11, s5
	s_delay_alu instid0(SALU_CYCLE_1)
	s_and_saveexec_b32 s0, s1
	s_cbranch_execnz .LBB144_286
.LBB144_239:
	s_or_b32 exec_lo, exec_lo, s0
	s_and_b32 s1, s11, s6
	s_delay_alu instid0(SALU_CYCLE_1)
	s_and_saveexec_b32 s0, s1
	s_cbranch_execnz .LBB144_290
.LBB144_240:
	s_or_b32 exec_lo, exec_lo, s0
	s_and_b32 s1, s11, s7
	s_delay_alu instid0(SALU_CYCLE_1)
	s_and_saveexec_b32 s0, s1
	s_cbranch_execnz .LBB144_294
.LBB144_241:
	s_or_b32 exec_lo, exec_lo, s0
	s_and_b32 s1, s11, s8
	s_delay_alu instid0(SALU_CYCLE_1)
	s_and_saveexec_b32 s0, s1
	s_cbranch_execnz .LBB144_298
.LBB144_242:
	s_or_b32 exec_lo, exec_lo, s0
	s_and_b32 s1, s11, s9
	s_delay_alu instid0(SALU_CYCLE_1)
	s_and_saveexec_b32 s0, s1
	s_cbranch_execnz .LBB144_302
.LBB144_243:
	s_or_b32 exec_lo, exec_lo, s0
	s_and_b32 s1, s11, s10
	s_delay_alu instid0(SALU_CYCLE_1)
	s_and_saveexec_b32 s0, s1
	s_cbranch_execnz .LBB144_306
.LBB144_244:
	s_or_b32 exec_lo, exec_lo, s0
	s_and_b32 s1, s11, s12
	s_delay_alu instid0(SALU_CYCLE_1)
	s_and_saveexec_b32 s0, s1
	s_cbranch_execnz .LBB144_310
.LBB144_245:
	s_or_b32 exec_lo, exec_lo, s0
	s_and_b32 s1, s11, s13
	s_delay_alu instid0(SALU_CYCLE_1)
	s_and_saveexec_b32 s0, s1
	s_cbranch_execnz .LBB144_314
.LBB144_246:
	s_or_b32 exec_lo, exec_lo, s0
	s_and_b32 s1, s11, s14
	s_delay_alu instid0(SALU_CYCLE_1)
	s_and_saveexec_b32 s0, s1
	s_cbranch_execnz .LBB144_318
.LBB144_247:
	s_or_b32 exec_lo, exec_lo, s0
	s_and_b32 s1, s11, s15
	s_delay_alu instid0(SALU_CYCLE_1)
	s_and_saveexec_b32 s0, s1
	s_cbranch_execnz .LBB144_322
.LBB144_248:
	s_or_b32 exec_lo, exec_lo, s0
	s_and_b32 s1, s11, s16
	s_delay_alu instid0(SALU_CYCLE_1)
	s_and_saveexec_b32 s0, s1
	s_cbranch_execnz .LBB144_326
.LBB144_249:
	s_or_b32 exec_lo, exec_lo, s0
	s_and_b32 s1, s11, s17
	s_delay_alu instid0(SALU_CYCLE_1)
	s_and_saveexec_b32 s0, s1
	s_cbranch_execnz .LBB144_330
.LBB144_250:
	s_or_b32 exec_lo, exec_lo, s0
	s_and_b32 s1, s11, s18
	s_delay_alu instid0(SALU_CYCLE_1)
	s_and_saveexec_b32 s0, s1
	s_cbranch_execnz .LBB144_334
.LBB144_251:
	s_or_b32 exec_lo, exec_lo, s0
	s_and_b32 s1, s11, s19
	s_delay_alu instid0(SALU_CYCLE_1)
	s_and_saveexec_b32 s0, s1
	s_cbranch_execnz .LBB144_338
.LBB144_252:
	s_or_b32 exec_lo, exec_lo, s0
	s_and_b32 s1, s11, s20
	s_delay_alu instid0(SALU_CYCLE_1)
	s_and_saveexec_b32 s0, s1
	s_cbranch_execnz .LBB144_342
.LBB144_253:
	s_or_b32 exec_lo, exec_lo, s0
	s_and_b32 s1, s11, s21
	s_delay_alu instid0(SALU_CYCLE_1)
	s_and_saveexec_b32 s0, s1
	s_cbranch_execnz .LBB144_346
.LBB144_254:
	s_or_b32 exec_lo, exec_lo, s0
	s_and_b32 s1, s11, s22
	s_delay_alu instid0(SALU_CYCLE_1)
	s_and_saveexec_b32 s0, s1
	s_cbranch_execnz .LBB144_350
.LBB144_255:
	s_or_b32 exec_lo, exec_lo, s0
	s_and_b32 s1, s11, s23
	s_delay_alu instid0(SALU_CYCLE_1)
	s_and_saveexec_b32 s0, s1
	s_cbranch_execnz .LBB144_354
.LBB144_256:
	s_or_b32 exec_lo, exec_lo, s0
	s_and_b32 s1, s11, s24
	s_delay_alu instid0(SALU_CYCLE_1)
	s_and_saveexec_b32 s0, s1
	s_cbranch_execnz .LBB144_358
.LBB144_257:
	s_or_b32 exec_lo, exec_lo, s0
	s_and_b32 s1, s11, s25
	s_delay_alu instid0(SALU_CYCLE_1)
	s_and_saveexec_b32 s0, s1
	s_cbranch_execnz .LBB144_362
.LBB144_258:
	s_or_b32 exec_lo, exec_lo, s0
	s_and_b32 s1, s11, s26
	s_delay_alu instid0(SALU_CYCLE_1)
	s_and_saveexec_b32 s0, s1
	s_cbranch_execnz .LBB144_366
.LBB144_259:
	s_or_b32 exec_lo, exec_lo, s0
	s_and_b32 s1, s11, s27
	s_delay_alu instid0(SALU_CYCLE_1)
	s_and_saveexec_b32 s0, s1
	s_cbranch_execnz .LBB144_370
.LBB144_260:
	s_or_b32 exec_lo, exec_lo, s0
	s_and_b32 s1, s11, s28
	s_delay_alu instid0(SALU_CYCLE_1)
	s_and_saveexec_b32 s0, s1
	s_cbranch_execnz .LBB144_374
.LBB144_261:
	s_or_b32 exec_lo, exec_lo, s0
	s_and_b32 s1, s11, s29
	s_delay_alu instid0(SALU_CYCLE_1)
	s_and_saveexec_b32 s0, s1
	s_cbranch_execnz .LBB144_378
.LBB144_262:
	s_or_b32 exec_lo, exec_lo, s0
	s_and_b32 s1, s11, s30
	s_delay_alu instid0(SALU_CYCLE_1)
	s_and_saveexec_b32 s0, s1
	s_cbranch_execnz .LBB144_382
.LBB144_263:
	s_or_b32 exec_lo, exec_lo, s0
	s_and_b32 s1, s11, s31
	s_delay_alu instid0(SALU_CYCLE_1)
	s_and_saveexec_b32 s0, s1
	s_cbranch_execnz .LBB144_386
.LBB144_264:
	s_or_b32 exec_lo, exec_lo, s0
	s_and_b32 s0, s11, s33
	s_delay_alu instid0(SALU_CYCLE_1)
	s_and_saveexec_b32 s1, s0
	s_cbranch_execnz .LBB144_390
.LBB144_265:
	s_endpgm
.LBB144_266:
	scratch_load_b64 v[64:65], off, off offset:256
	v_lshlrev_b64 v[0:1], 3, v[0:1]
	s_and_not1_b32 vcc_lo, exec_lo, s42
	s_cbranch_vccnz .LBB144_268
; %bb.267:
	s_delay_alu instid0(VALU_DEP_1) | instskip(NEXT) | instid1(VALU_DEP_2)
	v_add_co_u32 v66, vcc_lo, v71, v0
	v_add_co_ci_u32_e32 v67, vcc_lo, v72, v1, vcc_lo
	flat_load_b64 v[66:67], v[66:67]
	s_waitcnt vmcnt(0) lgkmcnt(0)
	v_mul_f64 v[66:67], s[34:35], v[66:67]
	s_branch .LBB144_269
.LBB144_268:
	v_mov_b32_e32 v66, 0
	v_mov_b32_e32 v67, 0
.LBB144_269:
	s_waitcnt vmcnt(0)
	s_delay_alu instid0(VALU_DEP_1)
	v_add_f64 v[64:65], v[64:65], v[66:67]
	v_add_co_u32 v0, vcc_lo, v68, v0
	v_add_co_ci_u32_e32 v1, vcc_lo, v69, v1, vcc_lo
	global_store_b64 v[0:1], v[64:65], off
	s_or_b32 exec_lo, exec_lo, s0
	s_and_b32 s1, s11, s1
	s_delay_alu instid0(SALU_CYCLE_1)
	s_and_saveexec_b32 s0, s1
	s_cbranch_execz .LBB144_235
.LBB144_270:
	scratch_load_b64 v[0:1], off, off offset:264
	v_cmp_ne_u32_e32 vcc_lo, 1, v70
	v_lshlrev_b64 v[2:3], 3, v[2:3]
	s_cbranch_vccnz .LBB144_272
; %bb.271:
	s_delay_alu instid0(VALU_DEP_1) | instskip(NEXT) | instid1(VALU_DEP_2)
	v_add_co_u32 v64, vcc_lo, v71, v2
	v_add_co_ci_u32_e32 v65, vcc_lo, v72, v3, vcc_lo
	flat_load_b64 v[64:65], v[64:65]
	s_waitcnt vmcnt(0) lgkmcnt(0)
	v_mul_f64 v[64:65], s[34:35], v[64:65]
	s_branch .LBB144_273
.LBB144_272:
	v_mov_b32_e32 v64, 0
	v_mov_b32_e32 v65, 0
.LBB144_273:
	s_waitcnt vmcnt(0)
	s_delay_alu instid0(VALU_DEP_1)
	v_add_f64 v[0:1], v[0:1], v[64:65]
	v_add_co_u32 v2, vcc_lo, v68, v2
	v_add_co_ci_u32_e32 v3, vcc_lo, v69, v3, vcc_lo
	global_store_b64 v[2:3], v[0:1], off
	s_or_b32 exec_lo, exec_lo, s0
	s_and_b32 s1, s11, s2
	s_delay_alu instid0(SALU_CYCLE_1)
	s_and_saveexec_b32 s0, s1
	s_cbranch_execz .LBB144_236
.LBB144_274:
	scratch_load_b64 v[0:1], off, off offset:272
	v_cmp_ne_u32_e32 vcc_lo, 1, v70
	v_lshlrev_b64 v[2:3], 3, v[4:5]
	s_cbranch_vccnz .LBB144_276
; %bb.275:
	s_delay_alu instid0(VALU_DEP_1) | instskip(NEXT) | instid1(VALU_DEP_2)
	v_add_co_u32 v4, vcc_lo, v71, v2
	v_add_co_ci_u32_e32 v5, vcc_lo, v72, v3, vcc_lo
	flat_load_b64 v[4:5], v[4:5]
	s_waitcnt vmcnt(0) lgkmcnt(0)
	v_mul_f64 v[4:5], s[34:35], v[4:5]
	s_branch .LBB144_277
.LBB144_276:
	v_mov_b32_e32 v4, 0
	v_mov_b32_e32 v5, 0
.LBB144_277:
	s_waitcnt vmcnt(0)
	s_delay_alu instid0(VALU_DEP_1)
	v_add_f64 v[0:1], v[0:1], v[4:5]
	v_add_co_u32 v2, vcc_lo, v68, v2
	v_add_co_ci_u32_e32 v3, vcc_lo, v69, v3, vcc_lo
	global_store_b64 v[2:3], v[0:1], off
	s_or_b32 exec_lo, exec_lo, s0
	s_and_b32 s1, s11, s3
	s_delay_alu instid0(SALU_CYCLE_1)
	s_and_saveexec_b32 s0, s1
	s_cbranch_execz .LBB144_237
.LBB144_278:
	scratch_load_b64 v[0:1], off, off offset:280
	v_cmp_ne_u32_e32 vcc_lo, 1, v70
	v_lshlrev_b64 v[2:3], 3, v[6:7]
	s_cbranch_vccnz .LBB144_280
; %bb.279:
	s_delay_alu instid0(VALU_DEP_1) | instskip(NEXT) | instid1(VALU_DEP_2)
	v_add_co_u32 v4, vcc_lo, v71, v2
	v_add_co_ci_u32_e32 v5, vcc_lo, v72, v3, vcc_lo
	flat_load_b64 v[4:5], v[4:5]
	s_waitcnt vmcnt(0) lgkmcnt(0)
	v_mul_f64 v[4:5], s[34:35], v[4:5]
	s_branch .LBB144_281
.LBB144_280:
	v_mov_b32_e32 v4, 0
	v_mov_b32_e32 v5, 0
.LBB144_281:
	s_waitcnt vmcnt(0)
	s_delay_alu instid0(VALU_DEP_1)
	v_add_f64 v[0:1], v[0:1], v[4:5]
	v_add_co_u32 v2, vcc_lo, v68, v2
	v_add_co_ci_u32_e32 v3, vcc_lo, v69, v3, vcc_lo
	global_store_b64 v[2:3], v[0:1], off
	s_or_b32 exec_lo, exec_lo, s0
	s_and_b32 s1, s11, s4
	s_delay_alu instid0(SALU_CYCLE_1)
	s_and_saveexec_b32 s0, s1
	s_cbranch_execz .LBB144_238
.LBB144_282:
	scratch_load_b64 v[0:1], off, off offset:288
	v_cmp_ne_u32_e32 vcc_lo, 1, v70
	v_lshlrev_b64 v[2:3], 3, v[8:9]
	s_cbranch_vccnz .LBB144_284
; %bb.283:
	s_delay_alu instid0(VALU_DEP_1) | instskip(NEXT) | instid1(VALU_DEP_2)
	v_add_co_u32 v4, vcc_lo, v71, v2
	v_add_co_ci_u32_e32 v5, vcc_lo, v72, v3, vcc_lo
	flat_load_b64 v[4:5], v[4:5]
	s_waitcnt vmcnt(0) lgkmcnt(0)
	v_mul_f64 v[4:5], s[34:35], v[4:5]
	s_branch .LBB144_285
.LBB144_284:
	v_mov_b32_e32 v4, 0
	v_mov_b32_e32 v5, 0
.LBB144_285:
	s_waitcnt vmcnt(0)
	s_delay_alu instid0(VALU_DEP_1)
	v_add_f64 v[0:1], v[0:1], v[4:5]
	v_add_co_u32 v2, vcc_lo, v68, v2
	v_add_co_ci_u32_e32 v3, vcc_lo, v69, v3, vcc_lo
	global_store_b64 v[2:3], v[0:1], off
	s_or_b32 exec_lo, exec_lo, s0
	s_and_b32 s1, s11, s5
	s_delay_alu instid0(SALU_CYCLE_1)
	s_and_saveexec_b32 s0, s1
	s_cbranch_execz .LBB144_239
.LBB144_286:
	scratch_load_b64 v[0:1], off, off offset:296
	v_cmp_ne_u32_e32 vcc_lo, 1, v70
	v_lshlrev_b64 v[2:3], 3, v[10:11]
	s_cbranch_vccnz .LBB144_288
; %bb.287:
	s_delay_alu instid0(VALU_DEP_1) | instskip(NEXT) | instid1(VALU_DEP_2)
	v_add_co_u32 v4, vcc_lo, v71, v2
	v_add_co_ci_u32_e32 v5, vcc_lo, v72, v3, vcc_lo
	flat_load_b64 v[4:5], v[4:5]
	s_waitcnt vmcnt(0) lgkmcnt(0)
	v_mul_f64 v[4:5], s[34:35], v[4:5]
	s_branch .LBB144_289
.LBB144_288:
	v_mov_b32_e32 v4, 0
	v_mov_b32_e32 v5, 0
.LBB144_289:
	s_waitcnt vmcnt(0)
	s_delay_alu instid0(VALU_DEP_1)
	v_add_f64 v[0:1], v[0:1], v[4:5]
	v_add_co_u32 v2, vcc_lo, v68, v2
	v_add_co_ci_u32_e32 v3, vcc_lo, v69, v3, vcc_lo
	global_store_b64 v[2:3], v[0:1], off
	s_or_b32 exec_lo, exec_lo, s0
	s_and_b32 s1, s11, s6
	s_delay_alu instid0(SALU_CYCLE_1)
	s_and_saveexec_b32 s0, s1
	s_cbranch_execz .LBB144_240
.LBB144_290:
	scratch_load_b64 v[0:1], off, off offset:304
	v_cmp_ne_u32_e32 vcc_lo, 1, v70
	v_lshlrev_b64 v[2:3], 3, v[12:13]
	s_cbranch_vccnz .LBB144_292
; %bb.291:
	s_delay_alu instid0(VALU_DEP_1) | instskip(NEXT) | instid1(VALU_DEP_2)
	v_add_co_u32 v4, vcc_lo, v71, v2
	v_add_co_ci_u32_e32 v5, vcc_lo, v72, v3, vcc_lo
	flat_load_b64 v[4:5], v[4:5]
	s_waitcnt vmcnt(0) lgkmcnt(0)
	v_mul_f64 v[4:5], s[34:35], v[4:5]
	s_branch .LBB144_293
.LBB144_292:
	v_mov_b32_e32 v4, 0
	v_mov_b32_e32 v5, 0
.LBB144_293:
	s_waitcnt vmcnt(0)
	s_delay_alu instid0(VALU_DEP_1)
	v_add_f64 v[0:1], v[0:1], v[4:5]
	v_add_co_u32 v2, vcc_lo, v68, v2
	v_add_co_ci_u32_e32 v3, vcc_lo, v69, v3, vcc_lo
	global_store_b64 v[2:3], v[0:1], off
	s_or_b32 exec_lo, exec_lo, s0
	s_and_b32 s1, s11, s7
	s_delay_alu instid0(SALU_CYCLE_1)
	s_and_saveexec_b32 s0, s1
	s_cbranch_execz .LBB144_241
.LBB144_294:
	scratch_load_b64 v[0:1], off, off offset:312
	v_cmp_ne_u32_e32 vcc_lo, 1, v70
	v_lshlrev_b64 v[2:3], 3, v[14:15]
	s_cbranch_vccnz .LBB144_296
; %bb.295:
	s_delay_alu instid0(VALU_DEP_1) | instskip(NEXT) | instid1(VALU_DEP_2)
	v_add_co_u32 v4, vcc_lo, v71, v2
	v_add_co_ci_u32_e32 v5, vcc_lo, v72, v3, vcc_lo
	flat_load_b64 v[4:5], v[4:5]
	s_waitcnt vmcnt(0) lgkmcnt(0)
	v_mul_f64 v[4:5], s[34:35], v[4:5]
	s_branch .LBB144_297
.LBB144_296:
	v_mov_b32_e32 v4, 0
	v_mov_b32_e32 v5, 0
.LBB144_297:
	s_waitcnt vmcnt(0)
	s_delay_alu instid0(VALU_DEP_1)
	v_add_f64 v[0:1], v[0:1], v[4:5]
	v_add_co_u32 v2, vcc_lo, v68, v2
	v_add_co_ci_u32_e32 v3, vcc_lo, v69, v3, vcc_lo
	global_store_b64 v[2:3], v[0:1], off
	s_or_b32 exec_lo, exec_lo, s0
	s_and_b32 s1, s11, s8
	s_delay_alu instid0(SALU_CYCLE_1)
	s_and_saveexec_b32 s0, s1
	s_cbranch_execz .LBB144_242
.LBB144_298:
	scratch_load_b64 v[0:1], off, off offset:320
	v_cmp_ne_u32_e32 vcc_lo, 1, v70
	v_lshlrev_b64 v[2:3], 3, v[16:17]
	s_cbranch_vccnz .LBB144_300
; %bb.299:
	s_delay_alu instid0(VALU_DEP_1) | instskip(NEXT) | instid1(VALU_DEP_2)
	v_add_co_u32 v4, vcc_lo, v71, v2
	v_add_co_ci_u32_e32 v5, vcc_lo, v72, v3, vcc_lo
	flat_load_b64 v[4:5], v[4:5]
	s_waitcnt vmcnt(0) lgkmcnt(0)
	v_mul_f64 v[4:5], s[34:35], v[4:5]
	s_branch .LBB144_301
.LBB144_300:
	v_mov_b32_e32 v4, 0
	v_mov_b32_e32 v5, 0
.LBB144_301:
	s_waitcnt vmcnt(0)
	s_delay_alu instid0(VALU_DEP_1)
	v_add_f64 v[0:1], v[0:1], v[4:5]
	v_add_co_u32 v2, vcc_lo, v68, v2
	v_add_co_ci_u32_e32 v3, vcc_lo, v69, v3, vcc_lo
	global_store_b64 v[2:3], v[0:1], off
	s_or_b32 exec_lo, exec_lo, s0
	s_and_b32 s1, s11, s9
	s_delay_alu instid0(SALU_CYCLE_1)
	s_and_saveexec_b32 s0, s1
	s_cbranch_execz .LBB144_243
.LBB144_302:
	scratch_load_b64 v[0:1], off, off offset:328
	v_cmp_ne_u32_e32 vcc_lo, 1, v70
	v_lshlrev_b64 v[2:3], 3, v[18:19]
	s_cbranch_vccnz .LBB144_304
; %bb.303:
	s_delay_alu instid0(VALU_DEP_1) | instskip(NEXT) | instid1(VALU_DEP_2)
	v_add_co_u32 v4, vcc_lo, v71, v2
	v_add_co_ci_u32_e32 v5, vcc_lo, v72, v3, vcc_lo
	flat_load_b64 v[4:5], v[4:5]
	s_waitcnt vmcnt(0) lgkmcnt(0)
	v_mul_f64 v[4:5], s[34:35], v[4:5]
	s_branch .LBB144_305
.LBB144_304:
	v_mov_b32_e32 v4, 0
	v_mov_b32_e32 v5, 0
.LBB144_305:
	s_waitcnt vmcnt(0)
	s_delay_alu instid0(VALU_DEP_1)
	v_add_f64 v[0:1], v[0:1], v[4:5]
	v_add_co_u32 v2, vcc_lo, v68, v2
	v_add_co_ci_u32_e32 v3, vcc_lo, v69, v3, vcc_lo
	global_store_b64 v[2:3], v[0:1], off
	s_or_b32 exec_lo, exec_lo, s0
	s_and_b32 s1, s11, s10
	s_delay_alu instid0(SALU_CYCLE_1)
	s_and_saveexec_b32 s0, s1
	s_cbranch_execz .LBB144_244
.LBB144_306:
	scratch_load_b64 v[0:1], off, off offset:336
	v_cmp_ne_u32_e32 vcc_lo, 1, v70
	v_lshlrev_b64 v[2:3], 3, v[20:21]
	s_cbranch_vccnz .LBB144_308
; %bb.307:
	s_delay_alu instid0(VALU_DEP_1) | instskip(NEXT) | instid1(VALU_DEP_2)
	v_add_co_u32 v4, vcc_lo, v71, v2
	v_add_co_ci_u32_e32 v5, vcc_lo, v72, v3, vcc_lo
	flat_load_b64 v[4:5], v[4:5]
	s_waitcnt vmcnt(0) lgkmcnt(0)
	v_mul_f64 v[4:5], s[34:35], v[4:5]
	s_branch .LBB144_309
.LBB144_308:
	v_mov_b32_e32 v4, 0
	v_mov_b32_e32 v5, 0
.LBB144_309:
	s_waitcnt vmcnt(0)
	s_delay_alu instid0(VALU_DEP_1)
	v_add_f64 v[0:1], v[0:1], v[4:5]
	v_add_co_u32 v2, vcc_lo, v68, v2
	v_add_co_ci_u32_e32 v3, vcc_lo, v69, v3, vcc_lo
	global_store_b64 v[2:3], v[0:1], off
	s_or_b32 exec_lo, exec_lo, s0
	s_and_b32 s1, s11, s12
	s_delay_alu instid0(SALU_CYCLE_1)
	s_and_saveexec_b32 s0, s1
	s_cbranch_execz .LBB144_245
.LBB144_310:
	scratch_load_b64 v[0:1], off, off offset:344
	v_cmp_ne_u32_e32 vcc_lo, 1, v70
	v_lshlrev_b64 v[2:3], 3, v[22:23]
	s_cbranch_vccnz .LBB144_312
; %bb.311:
	s_delay_alu instid0(VALU_DEP_1) | instskip(NEXT) | instid1(VALU_DEP_2)
	v_add_co_u32 v4, vcc_lo, v71, v2
	v_add_co_ci_u32_e32 v5, vcc_lo, v72, v3, vcc_lo
	flat_load_b64 v[4:5], v[4:5]
	s_waitcnt vmcnt(0) lgkmcnt(0)
	v_mul_f64 v[4:5], s[34:35], v[4:5]
	s_branch .LBB144_313
.LBB144_312:
	v_mov_b32_e32 v4, 0
	v_mov_b32_e32 v5, 0
.LBB144_313:
	s_waitcnt vmcnt(0)
	s_delay_alu instid0(VALU_DEP_1)
	v_add_f64 v[0:1], v[0:1], v[4:5]
	v_add_co_u32 v2, vcc_lo, v68, v2
	v_add_co_ci_u32_e32 v3, vcc_lo, v69, v3, vcc_lo
	global_store_b64 v[2:3], v[0:1], off
	s_or_b32 exec_lo, exec_lo, s0
	s_and_b32 s1, s11, s13
	s_delay_alu instid0(SALU_CYCLE_1)
	s_and_saveexec_b32 s0, s1
	s_cbranch_execz .LBB144_246
.LBB144_314:
	scratch_load_b64 v[0:1], off, off offset:352
	v_cmp_ne_u32_e32 vcc_lo, 1, v70
	v_lshlrev_b64 v[2:3], 3, v[24:25]
	s_cbranch_vccnz .LBB144_316
; %bb.315:
	s_delay_alu instid0(VALU_DEP_1) | instskip(NEXT) | instid1(VALU_DEP_2)
	v_add_co_u32 v4, vcc_lo, v71, v2
	v_add_co_ci_u32_e32 v5, vcc_lo, v72, v3, vcc_lo
	flat_load_b64 v[4:5], v[4:5]
	s_waitcnt vmcnt(0) lgkmcnt(0)
	v_mul_f64 v[4:5], s[34:35], v[4:5]
	s_branch .LBB144_317
.LBB144_316:
	v_mov_b32_e32 v4, 0
	v_mov_b32_e32 v5, 0
.LBB144_317:
	s_waitcnt vmcnt(0)
	s_delay_alu instid0(VALU_DEP_1)
	v_add_f64 v[0:1], v[0:1], v[4:5]
	v_add_co_u32 v2, vcc_lo, v68, v2
	v_add_co_ci_u32_e32 v3, vcc_lo, v69, v3, vcc_lo
	global_store_b64 v[2:3], v[0:1], off
	s_or_b32 exec_lo, exec_lo, s0
	s_and_b32 s1, s11, s14
	s_delay_alu instid0(SALU_CYCLE_1)
	s_and_saveexec_b32 s0, s1
	s_cbranch_execz .LBB144_247
.LBB144_318:
	scratch_load_b64 v[0:1], off, off offset:360
	v_cmp_ne_u32_e32 vcc_lo, 1, v70
	v_lshlrev_b64 v[2:3], 3, v[26:27]
	s_cbranch_vccnz .LBB144_320
; %bb.319:
	s_delay_alu instid0(VALU_DEP_1) | instskip(NEXT) | instid1(VALU_DEP_2)
	v_add_co_u32 v4, vcc_lo, v71, v2
	v_add_co_ci_u32_e32 v5, vcc_lo, v72, v3, vcc_lo
	flat_load_b64 v[4:5], v[4:5]
	s_waitcnt vmcnt(0) lgkmcnt(0)
	v_mul_f64 v[4:5], s[34:35], v[4:5]
	s_branch .LBB144_321
.LBB144_320:
	v_mov_b32_e32 v4, 0
	v_mov_b32_e32 v5, 0
.LBB144_321:
	s_waitcnt vmcnt(0)
	s_delay_alu instid0(VALU_DEP_1)
	v_add_f64 v[0:1], v[0:1], v[4:5]
	v_add_co_u32 v2, vcc_lo, v68, v2
	v_add_co_ci_u32_e32 v3, vcc_lo, v69, v3, vcc_lo
	global_store_b64 v[2:3], v[0:1], off
	s_or_b32 exec_lo, exec_lo, s0
	s_and_b32 s1, s11, s15
	s_delay_alu instid0(SALU_CYCLE_1)
	s_and_saveexec_b32 s0, s1
	s_cbranch_execz .LBB144_248
.LBB144_322:
	scratch_load_b64 v[0:1], off, off offset:368
	v_cmp_ne_u32_e32 vcc_lo, 1, v70
	v_lshlrev_b64 v[2:3], 3, v[28:29]
	s_cbranch_vccnz .LBB144_324
; %bb.323:
	s_delay_alu instid0(VALU_DEP_1) | instskip(NEXT) | instid1(VALU_DEP_2)
	v_add_co_u32 v4, vcc_lo, v71, v2
	v_add_co_ci_u32_e32 v5, vcc_lo, v72, v3, vcc_lo
	flat_load_b64 v[4:5], v[4:5]
	s_waitcnt vmcnt(0) lgkmcnt(0)
	v_mul_f64 v[4:5], s[34:35], v[4:5]
	s_branch .LBB144_325
.LBB144_324:
	v_mov_b32_e32 v4, 0
	v_mov_b32_e32 v5, 0
.LBB144_325:
	s_waitcnt vmcnt(0)
	s_delay_alu instid0(VALU_DEP_1)
	v_add_f64 v[0:1], v[0:1], v[4:5]
	v_add_co_u32 v2, vcc_lo, v68, v2
	v_add_co_ci_u32_e32 v3, vcc_lo, v69, v3, vcc_lo
	global_store_b64 v[2:3], v[0:1], off
	s_or_b32 exec_lo, exec_lo, s0
	s_and_b32 s1, s11, s16
	s_delay_alu instid0(SALU_CYCLE_1)
	s_and_saveexec_b32 s0, s1
	s_cbranch_execz .LBB144_249
.LBB144_326:
	scratch_load_b64 v[0:1], off, off offset:376
	v_cmp_ne_u32_e32 vcc_lo, 1, v70
	v_lshlrev_b64 v[2:3], 3, v[30:31]
	s_cbranch_vccnz .LBB144_328
; %bb.327:
	s_delay_alu instid0(VALU_DEP_1) | instskip(NEXT) | instid1(VALU_DEP_2)
	v_add_co_u32 v4, vcc_lo, v71, v2
	v_add_co_ci_u32_e32 v5, vcc_lo, v72, v3, vcc_lo
	flat_load_b64 v[4:5], v[4:5]
	s_waitcnt vmcnt(0) lgkmcnt(0)
	v_mul_f64 v[4:5], s[34:35], v[4:5]
	s_branch .LBB144_329
.LBB144_328:
	v_mov_b32_e32 v4, 0
	v_mov_b32_e32 v5, 0
.LBB144_329:
	s_waitcnt vmcnt(0)
	s_delay_alu instid0(VALU_DEP_1)
	v_add_f64 v[0:1], v[0:1], v[4:5]
	v_add_co_u32 v2, vcc_lo, v68, v2
	v_add_co_ci_u32_e32 v3, vcc_lo, v69, v3, vcc_lo
	global_store_b64 v[2:3], v[0:1], off
	s_or_b32 exec_lo, exec_lo, s0
	s_and_b32 s1, s11, s17
	s_delay_alu instid0(SALU_CYCLE_1)
	s_and_saveexec_b32 s0, s1
	s_cbranch_execz .LBB144_250
.LBB144_330:
	scratch_load_b64 v[0:1], off, off offset:384
	v_cmp_ne_u32_e32 vcc_lo, 1, v70
	v_lshlrev_b64 v[2:3], 3, v[32:33]
	s_cbranch_vccnz .LBB144_332
; %bb.331:
	s_delay_alu instid0(VALU_DEP_1) | instskip(NEXT) | instid1(VALU_DEP_2)
	v_add_co_u32 v4, vcc_lo, v71, v2
	v_add_co_ci_u32_e32 v5, vcc_lo, v72, v3, vcc_lo
	flat_load_b64 v[4:5], v[4:5]
	s_waitcnt vmcnt(0) lgkmcnt(0)
	v_mul_f64 v[4:5], s[34:35], v[4:5]
	s_branch .LBB144_333
.LBB144_332:
	v_mov_b32_e32 v4, 0
	v_mov_b32_e32 v5, 0
.LBB144_333:
	s_waitcnt vmcnt(0)
	s_delay_alu instid0(VALU_DEP_1)
	v_add_f64 v[0:1], v[0:1], v[4:5]
	v_add_co_u32 v2, vcc_lo, v68, v2
	v_add_co_ci_u32_e32 v3, vcc_lo, v69, v3, vcc_lo
	global_store_b64 v[2:3], v[0:1], off
	s_or_b32 exec_lo, exec_lo, s0
	s_and_b32 s1, s11, s18
	s_delay_alu instid0(SALU_CYCLE_1)
	s_and_saveexec_b32 s0, s1
	s_cbranch_execz .LBB144_251
.LBB144_334:
	scratch_load_b64 v[0:1], off, off offset:392
	v_cmp_ne_u32_e32 vcc_lo, 1, v70
	v_lshlrev_b64 v[2:3], 3, v[34:35]
	s_cbranch_vccnz .LBB144_336
; %bb.335:
	s_delay_alu instid0(VALU_DEP_1) | instskip(NEXT) | instid1(VALU_DEP_2)
	v_add_co_u32 v4, vcc_lo, v71, v2
	v_add_co_ci_u32_e32 v5, vcc_lo, v72, v3, vcc_lo
	flat_load_b64 v[4:5], v[4:5]
	s_waitcnt vmcnt(0) lgkmcnt(0)
	v_mul_f64 v[4:5], s[34:35], v[4:5]
	s_branch .LBB144_337
.LBB144_336:
	v_mov_b32_e32 v4, 0
	v_mov_b32_e32 v5, 0
.LBB144_337:
	s_waitcnt vmcnt(0)
	s_delay_alu instid0(VALU_DEP_1)
	v_add_f64 v[0:1], v[0:1], v[4:5]
	v_add_co_u32 v2, vcc_lo, v68, v2
	v_add_co_ci_u32_e32 v3, vcc_lo, v69, v3, vcc_lo
	global_store_b64 v[2:3], v[0:1], off
	s_or_b32 exec_lo, exec_lo, s0
	s_and_b32 s1, s11, s19
	s_delay_alu instid0(SALU_CYCLE_1)
	s_and_saveexec_b32 s0, s1
	s_cbranch_execz .LBB144_252
.LBB144_338:
	scratch_load_b64 v[0:1], off, off offset:400
	v_cmp_ne_u32_e32 vcc_lo, 1, v70
	v_lshlrev_b64 v[2:3], 3, v[36:37]
	s_cbranch_vccnz .LBB144_340
; %bb.339:
	s_delay_alu instid0(VALU_DEP_1) | instskip(NEXT) | instid1(VALU_DEP_2)
	v_add_co_u32 v4, vcc_lo, v71, v2
	v_add_co_ci_u32_e32 v5, vcc_lo, v72, v3, vcc_lo
	flat_load_b64 v[4:5], v[4:5]
	s_waitcnt vmcnt(0) lgkmcnt(0)
	v_mul_f64 v[4:5], s[34:35], v[4:5]
	s_branch .LBB144_341
.LBB144_340:
	v_mov_b32_e32 v4, 0
	v_mov_b32_e32 v5, 0
.LBB144_341:
	s_waitcnt vmcnt(0)
	s_delay_alu instid0(VALU_DEP_1)
	v_add_f64 v[0:1], v[0:1], v[4:5]
	v_add_co_u32 v2, vcc_lo, v68, v2
	v_add_co_ci_u32_e32 v3, vcc_lo, v69, v3, vcc_lo
	global_store_b64 v[2:3], v[0:1], off
	s_or_b32 exec_lo, exec_lo, s0
	s_and_b32 s1, s11, s20
	s_delay_alu instid0(SALU_CYCLE_1)
	s_and_saveexec_b32 s0, s1
	s_cbranch_execz .LBB144_253
.LBB144_342:
	scratch_load_b64 v[0:1], off, off offset:408
	v_cmp_ne_u32_e32 vcc_lo, 1, v70
	v_lshlrev_b64 v[2:3], 3, v[38:39]
	s_cbranch_vccnz .LBB144_344
; %bb.343:
	s_delay_alu instid0(VALU_DEP_1) | instskip(NEXT) | instid1(VALU_DEP_2)
	v_add_co_u32 v4, vcc_lo, v71, v2
	v_add_co_ci_u32_e32 v5, vcc_lo, v72, v3, vcc_lo
	flat_load_b64 v[4:5], v[4:5]
	s_waitcnt vmcnt(0) lgkmcnt(0)
	v_mul_f64 v[4:5], s[34:35], v[4:5]
	s_branch .LBB144_345
.LBB144_344:
	v_mov_b32_e32 v4, 0
	v_mov_b32_e32 v5, 0
.LBB144_345:
	s_waitcnt vmcnt(0)
	s_delay_alu instid0(VALU_DEP_1)
	v_add_f64 v[0:1], v[0:1], v[4:5]
	v_add_co_u32 v2, vcc_lo, v68, v2
	v_add_co_ci_u32_e32 v3, vcc_lo, v69, v3, vcc_lo
	global_store_b64 v[2:3], v[0:1], off
	s_or_b32 exec_lo, exec_lo, s0
	s_and_b32 s1, s11, s21
	s_delay_alu instid0(SALU_CYCLE_1)
	s_and_saveexec_b32 s0, s1
	s_cbranch_execz .LBB144_254
.LBB144_346:
	scratch_load_b64 v[0:1], off, off offset:416
	v_cmp_ne_u32_e32 vcc_lo, 1, v70
	v_lshlrev_b64 v[2:3], 3, v[40:41]
	s_cbranch_vccnz .LBB144_348
; %bb.347:
	s_delay_alu instid0(VALU_DEP_1) | instskip(NEXT) | instid1(VALU_DEP_2)
	v_add_co_u32 v4, vcc_lo, v71, v2
	v_add_co_ci_u32_e32 v5, vcc_lo, v72, v3, vcc_lo
	flat_load_b64 v[4:5], v[4:5]
	s_waitcnt vmcnt(0) lgkmcnt(0)
	v_mul_f64 v[4:5], s[34:35], v[4:5]
	s_branch .LBB144_349
.LBB144_348:
	v_mov_b32_e32 v4, 0
	v_mov_b32_e32 v5, 0
.LBB144_349:
	s_waitcnt vmcnt(0)
	s_delay_alu instid0(VALU_DEP_1)
	v_add_f64 v[0:1], v[0:1], v[4:5]
	v_add_co_u32 v2, vcc_lo, v68, v2
	v_add_co_ci_u32_e32 v3, vcc_lo, v69, v3, vcc_lo
	global_store_b64 v[2:3], v[0:1], off
	s_or_b32 exec_lo, exec_lo, s0
	s_and_b32 s1, s11, s22
	s_delay_alu instid0(SALU_CYCLE_1)
	s_and_saveexec_b32 s0, s1
	s_cbranch_execz .LBB144_255
.LBB144_350:
	scratch_load_b64 v[0:1], off, off offset:424
	v_cmp_ne_u32_e32 vcc_lo, 1, v70
	v_lshlrev_b64 v[2:3], 3, v[42:43]
	s_cbranch_vccnz .LBB144_352
; %bb.351:
	s_delay_alu instid0(VALU_DEP_1) | instskip(NEXT) | instid1(VALU_DEP_2)
	v_add_co_u32 v4, vcc_lo, v71, v2
	v_add_co_ci_u32_e32 v5, vcc_lo, v72, v3, vcc_lo
	flat_load_b64 v[4:5], v[4:5]
	s_waitcnt vmcnt(0) lgkmcnt(0)
	v_mul_f64 v[4:5], s[34:35], v[4:5]
	s_branch .LBB144_353
.LBB144_352:
	v_mov_b32_e32 v4, 0
	v_mov_b32_e32 v5, 0
.LBB144_353:
	s_waitcnt vmcnt(0)
	s_delay_alu instid0(VALU_DEP_1)
	v_add_f64 v[0:1], v[0:1], v[4:5]
	v_add_co_u32 v2, vcc_lo, v68, v2
	v_add_co_ci_u32_e32 v3, vcc_lo, v69, v3, vcc_lo
	global_store_b64 v[2:3], v[0:1], off
	s_or_b32 exec_lo, exec_lo, s0
	s_and_b32 s1, s11, s23
	s_delay_alu instid0(SALU_CYCLE_1)
	s_and_saveexec_b32 s0, s1
	s_cbranch_execz .LBB144_256
.LBB144_354:
	scratch_load_b64 v[0:1], off, off offset:432
	v_cmp_ne_u32_e32 vcc_lo, 1, v70
	v_lshlrev_b64 v[2:3], 3, v[44:45]
	s_cbranch_vccnz .LBB144_356
; %bb.355:
	s_delay_alu instid0(VALU_DEP_1) | instskip(NEXT) | instid1(VALU_DEP_2)
	v_add_co_u32 v4, vcc_lo, v71, v2
	v_add_co_ci_u32_e32 v5, vcc_lo, v72, v3, vcc_lo
	flat_load_b64 v[4:5], v[4:5]
	s_waitcnt vmcnt(0) lgkmcnt(0)
	v_mul_f64 v[4:5], s[34:35], v[4:5]
	s_branch .LBB144_357
.LBB144_356:
	v_mov_b32_e32 v4, 0
	v_mov_b32_e32 v5, 0
.LBB144_357:
	s_waitcnt vmcnt(0)
	s_delay_alu instid0(VALU_DEP_1)
	v_add_f64 v[0:1], v[0:1], v[4:5]
	v_add_co_u32 v2, vcc_lo, v68, v2
	v_add_co_ci_u32_e32 v3, vcc_lo, v69, v3, vcc_lo
	global_store_b64 v[2:3], v[0:1], off
	s_or_b32 exec_lo, exec_lo, s0
	s_and_b32 s1, s11, s24
	s_delay_alu instid0(SALU_CYCLE_1)
	s_and_saveexec_b32 s0, s1
	s_cbranch_execz .LBB144_257
.LBB144_358:
	scratch_load_b64 v[0:1], off, off offset:440
	v_cmp_ne_u32_e32 vcc_lo, 1, v70
	v_lshlrev_b64 v[2:3], 3, v[46:47]
	s_cbranch_vccnz .LBB144_360
; %bb.359:
	s_delay_alu instid0(VALU_DEP_1) | instskip(NEXT) | instid1(VALU_DEP_2)
	v_add_co_u32 v4, vcc_lo, v71, v2
	v_add_co_ci_u32_e32 v5, vcc_lo, v72, v3, vcc_lo
	flat_load_b64 v[4:5], v[4:5]
	s_waitcnt vmcnt(0) lgkmcnt(0)
	v_mul_f64 v[4:5], s[34:35], v[4:5]
	s_branch .LBB144_361
.LBB144_360:
	v_mov_b32_e32 v4, 0
	v_mov_b32_e32 v5, 0
.LBB144_361:
	s_waitcnt vmcnt(0)
	s_delay_alu instid0(VALU_DEP_1)
	v_add_f64 v[0:1], v[0:1], v[4:5]
	v_add_co_u32 v2, vcc_lo, v68, v2
	v_add_co_ci_u32_e32 v3, vcc_lo, v69, v3, vcc_lo
	global_store_b64 v[2:3], v[0:1], off
	s_or_b32 exec_lo, exec_lo, s0
	s_and_b32 s1, s11, s25
	s_delay_alu instid0(SALU_CYCLE_1)
	s_and_saveexec_b32 s0, s1
	s_cbranch_execz .LBB144_258
.LBB144_362:
	scratch_load_b64 v[0:1], off, off offset:448
	v_cmp_ne_u32_e32 vcc_lo, 1, v70
	v_lshlrev_b64 v[2:3], 3, v[48:49]
	s_cbranch_vccnz .LBB144_364
; %bb.363:
	s_delay_alu instid0(VALU_DEP_1) | instskip(NEXT) | instid1(VALU_DEP_2)
	v_add_co_u32 v4, vcc_lo, v71, v2
	v_add_co_ci_u32_e32 v5, vcc_lo, v72, v3, vcc_lo
	flat_load_b64 v[4:5], v[4:5]
	s_waitcnt vmcnt(0) lgkmcnt(0)
	v_mul_f64 v[4:5], s[34:35], v[4:5]
	s_branch .LBB144_365
.LBB144_364:
	v_mov_b32_e32 v4, 0
	v_mov_b32_e32 v5, 0
.LBB144_365:
	s_waitcnt vmcnt(0)
	s_delay_alu instid0(VALU_DEP_1)
	v_add_f64 v[0:1], v[0:1], v[4:5]
	v_add_co_u32 v2, vcc_lo, v68, v2
	v_add_co_ci_u32_e32 v3, vcc_lo, v69, v3, vcc_lo
	global_store_b64 v[2:3], v[0:1], off
	s_or_b32 exec_lo, exec_lo, s0
	s_and_b32 s1, s11, s26
	s_delay_alu instid0(SALU_CYCLE_1)
	s_and_saveexec_b32 s0, s1
	s_cbranch_execz .LBB144_259
.LBB144_366:
	scratch_load_b64 v[0:1], off, off offset:456
	v_cmp_ne_u32_e32 vcc_lo, 1, v70
	v_lshlrev_b64 v[2:3], 3, v[50:51]
	s_cbranch_vccnz .LBB144_368
; %bb.367:
	s_delay_alu instid0(VALU_DEP_1) | instskip(NEXT) | instid1(VALU_DEP_2)
	v_add_co_u32 v4, vcc_lo, v71, v2
	v_add_co_ci_u32_e32 v5, vcc_lo, v72, v3, vcc_lo
	flat_load_b64 v[4:5], v[4:5]
	s_waitcnt vmcnt(0) lgkmcnt(0)
	v_mul_f64 v[4:5], s[34:35], v[4:5]
	s_branch .LBB144_369
.LBB144_368:
	v_mov_b32_e32 v4, 0
	v_mov_b32_e32 v5, 0
.LBB144_369:
	s_waitcnt vmcnt(0)
	s_delay_alu instid0(VALU_DEP_1)
	v_add_f64 v[0:1], v[0:1], v[4:5]
	v_add_co_u32 v2, vcc_lo, v68, v2
	v_add_co_ci_u32_e32 v3, vcc_lo, v69, v3, vcc_lo
	global_store_b64 v[2:3], v[0:1], off
	s_or_b32 exec_lo, exec_lo, s0
	s_and_b32 s1, s11, s27
	s_delay_alu instid0(SALU_CYCLE_1)
	s_and_saveexec_b32 s0, s1
	s_cbranch_execz .LBB144_260
.LBB144_370:
	scratch_load_b64 v[0:1], off, off offset:464
	v_cmp_ne_u32_e32 vcc_lo, 1, v70
	v_lshlrev_b64 v[2:3], 3, v[52:53]
	s_cbranch_vccnz .LBB144_372
; %bb.371:
	s_delay_alu instid0(VALU_DEP_1) | instskip(NEXT) | instid1(VALU_DEP_2)
	v_add_co_u32 v4, vcc_lo, v71, v2
	v_add_co_ci_u32_e32 v5, vcc_lo, v72, v3, vcc_lo
	flat_load_b64 v[4:5], v[4:5]
	s_waitcnt vmcnt(0) lgkmcnt(0)
	v_mul_f64 v[4:5], s[34:35], v[4:5]
	s_branch .LBB144_373
.LBB144_372:
	v_mov_b32_e32 v4, 0
	v_mov_b32_e32 v5, 0
.LBB144_373:
	s_waitcnt vmcnt(0)
	s_delay_alu instid0(VALU_DEP_1)
	v_add_f64 v[0:1], v[0:1], v[4:5]
	v_add_co_u32 v2, vcc_lo, v68, v2
	v_add_co_ci_u32_e32 v3, vcc_lo, v69, v3, vcc_lo
	global_store_b64 v[2:3], v[0:1], off
	s_or_b32 exec_lo, exec_lo, s0
	s_and_b32 s1, s11, s28
	s_delay_alu instid0(SALU_CYCLE_1)
	s_and_saveexec_b32 s0, s1
	s_cbranch_execz .LBB144_261
.LBB144_374:
	scratch_load_b64 v[0:1], off, off offset:472
	v_cmp_ne_u32_e32 vcc_lo, 1, v70
	v_lshlrev_b64 v[2:3], 3, v[54:55]
	s_cbranch_vccnz .LBB144_376
; %bb.375:
	s_delay_alu instid0(VALU_DEP_1) | instskip(NEXT) | instid1(VALU_DEP_2)
	v_add_co_u32 v4, vcc_lo, v71, v2
	v_add_co_ci_u32_e32 v5, vcc_lo, v72, v3, vcc_lo
	flat_load_b64 v[4:5], v[4:5]
	s_waitcnt vmcnt(0) lgkmcnt(0)
	v_mul_f64 v[4:5], s[34:35], v[4:5]
	s_branch .LBB144_377
.LBB144_376:
	v_mov_b32_e32 v4, 0
	v_mov_b32_e32 v5, 0
.LBB144_377:
	s_waitcnt vmcnt(0)
	s_delay_alu instid0(VALU_DEP_1)
	v_add_f64 v[0:1], v[0:1], v[4:5]
	v_add_co_u32 v2, vcc_lo, v68, v2
	v_add_co_ci_u32_e32 v3, vcc_lo, v69, v3, vcc_lo
	global_store_b64 v[2:3], v[0:1], off
	s_or_b32 exec_lo, exec_lo, s0
	s_and_b32 s1, s11, s29
	s_delay_alu instid0(SALU_CYCLE_1)
	s_and_saveexec_b32 s0, s1
	s_cbranch_execz .LBB144_262
.LBB144_378:
	scratch_load_b64 v[0:1], off, off offset:480
	v_cmp_ne_u32_e32 vcc_lo, 1, v70
	v_lshlrev_b64 v[2:3], 3, v[56:57]
	s_cbranch_vccnz .LBB144_380
; %bb.379:
	s_delay_alu instid0(VALU_DEP_1) | instskip(NEXT) | instid1(VALU_DEP_2)
	v_add_co_u32 v4, vcc_lo, v71, v2
	v_add_co_ci_u32_e32 v5, vcc_lo, v72, v3, vcc_lo
	flat_load_b64 v[4:5], v[4:5]
	s_waitcnt vmcnt(0) lgkmcnt(0)
	v_mul_f64 v[4:5], s[34:35], v[4:5]
	s_branch .LBB144_381
.LBB144_380:
	v_mov_b32_e32 v4, 0
	v_mov_b32_e32 v5, 0
.LBB144_381:
	s_waitcnt vmcnt(0)
	s_delay_alu instid0(VALU_DEP_1)
	v_add_f64 v[0:1], v[0:1], v[4:5]
	v_add_co_u32 v2, vcc_lo, v68, v2
	v_add_co_ci_u32_e32 v3, vcc_lo, v69, v3, vcc_lo
	global_store_b64 v[2:3], v[0:1], off
	s_or_b32 exec_lo, exec_lo, s0
	s_and_b32 s1, s11, s30
	s_delay_alu instid0(SALU_CYCLE_1)
	s_and_saveexec_b32 s0, s1
	s_cbranch_execz .LBB144_263
.LBB144_382:
	scratch_load_b64 v[0:1], off, off offset:488
	v_cmp_ne_u32_e32 vcc_lo, 1, v70
	v_lshlrev_b64 v[2:3], 3, v[58:59]
	s_cbranch_vccnz .LBB144_384
; %bb.383:
	s_delay_alu instid0(VALU_DEP_1) | instskip(NEXT) | instid1(VALU_DEP_2)
	v_add_co_u32 v4, vcc_lo, v71, v2
	v_add_co_ci_u32_e32 v5, vcc_lo, v72, v3, vcc_lo
	flat_load_b64 v[4:5], v[4:5]
	s_waitcnt vmcnt(0) lgkmcnt(0)
	v_mul_f64 v[4:5], s[34:35], v[4:5]
	s_branch .LBB144_385
.LBB144_384:
	v_mov_b32_e32 v4, 0
	v_mov_b32_e32 v5, 0
.LBB144_385:
	s_waitcnt vmcnt(0)
	s_delay_alu instid0(VALU_DEP_1)
	v_add_f64 v[0:1], v[0:1], v[4:5]
	v_add_co_u32 v2, vcc_lo, v68, v2
	v_add_co_ci_u32_e32 v3, vcc_lo, v69, v3, vcc_lo
	global_store_b64 v[2:3], v[0:1], off
	s_or_b32 exec_lo, exec_lo, s0
	s_and_b32 s1, s11, s31
	s_delay_alu instid0(SALU_CYCLE_1)
	s_and_saveexec_b32 s0, s1
	s_cbranch_execz .LBB144_264
.LBB144_386:
	scratch_load_b64 v[0:1], off, off offset:496
	v_cmp_ne_u32_e32 vcc_lo, 1, v70
	v_lshlrev_b64 v[2:3], 3, v[60:61]
	s_cbranch_vccnz .LBB144_388
; %bb.387:
	s_delay_alu instid0(VALU_DEP_1) | instskip(NEXT) | instid1(VALU_DEP_2)
	v_add_co_u32 v4, vcc_lo, v71, v2
	v_add_co_ci_u32_e32 v5, vcc_lo, v72, v3, vcc_lo
	flat_load_b64 v[4:5], v[4:5]
	s_waitcnt vmcnt(0) lgkmcnt(0)
	v_mul_f64 v[4:5], s[34:35], v[4:5]
	s_branch .LBB144_389
.LBB144_388:
	v_mov_b32_e32 v4, 0
	v_mov_b32_e32 v5, 0
.LBB144_389:
	s_waitcnt vmcnt(0)
	s_delay_alu instid0(VALU_DEP_1)
	v_add_f64 v[0:1], v[0:1], v[4:5]
	v_add_co_u32 v2, vcc_lo, v68, v2
	v_add_co_ci_u32_e32 v3, vcc_lo, v69, v3, vcc_lo
	global_store_b64 v[2:3], v[0:1], off
	s_or_b32 exec_lo, exec_lo, s0
	s_and_b32 s0, s11, s33
	s_delay_alu instid0(SALU_CYCLE_1)
	s_and_saveexec_b32 s1, s0
	s_cbranch_execz .LBB144_265
.LBB144_390:
	scratch_load_b64 v[0:1], off, off offset:504
	v_cmp_ne_u32_e32 vcc_lo, 1, v70
	v_lshlrev_b64 v[2:3], 3, v[62:63]
	s_cbranch_vccnz .LBB144_392
; %bb.391:
	s_delay_alu instid0(VALU_DEP_1) | instskip(NEXT) | instid1(VALU_DEP_2)
	v_add_co_u32 v4, vcc_lo, v71, v2
	v_add_co_ci_u32_e32 v5, vcc_lo, v72, v3, vcc_lo
	flat_load_b64 v[4:5], v[4:5]
	s_waitcnt vmcnt(0) lgkmcnt(0)
	v_mul_f64 v[4:5], s[34:35], v[4:5]
	s_branch .LBB144_393
.LBB144_392:
	v_mov_b32_e32 v4, 0
	v_mov_b32_e32 v5, 0
.LBB144_393:
	s_waitcnt vmcnt(0)
	s_delay_alu instid0(VALU_DEP_1)
	v_add_f64 v[0:1], v[0:1], v[4:5]
	v_add_co_u32 v2, vcc_lo, v68, v2
	v_add_co_ci_u32_e32 v3, vcc_lo, v69, v3, vcc_lo
	global_store_b64 v[2:3], v[0:1], off
	s_endpgm
	.section	.rodata,"a",@progbits
	.p2align	6, 0x0
	.amdhsa_kernel _ZN12_GLOBAL__N_120geam_min_plus_kernelIdddLi4ELi64ELi128ELi128ELi4ELi64ELi4ELi64ELi4ELc78ELc84ELb0ELb1ELb0EPKdKS2_KPdEEviiiT16_PT17_ilS8_ilS6_S8_ilPT18_ili26rocblas_geam_ex_operation_
		.amdhsa_group_segment_fixed_size 16384
		.amdhsa_private_segment_fixed_size 528
		.amdhsa_kernarg_size 136
		.amdhsa_user_sgpr_count 14
		.amdhsa_user_sgpr_dispatch_ptr 0
		.amdhsa_user_sgpr_queue_ptr 0
		.amdhsa_user_sgpr_kernarg_segment_ptr 1
		.amdhsa_user_sgpr_dispatch_id 0
		.amdhsa_user_sgpr_private_segment_size 0
		.amdhsa_wavefront_size32 1
		.amdhsa_uses_dynamic_stack 0
		.amdhsa_enable_private_segment 1
		.amdhsa_system_sgpr_workgroup_id_x 1
		.amdhsa_system_sgpr_workgroup_id_y 0
		.amdhsa_system_sgpr_workgroup_id_z 1
		.amdhsa_system_sgpr_workgroup_info 0
		.amdhsa_system_vgpr_workitem_id 1
		.amdhsa_next_free_vgpr 251
		.amdhsa_next_free_sgpr 46
		.amdhsa_reserve_vcc 1
		.amdhsa_float_round_mode_32 0
		.amdhsa_float_round_mode_16_64 0
		.amdhsa_float_denorm_mode_32 3
		.amdhsa_float_denorm_mode_16_64 3
		.amdhsa_dx10_clamp 1
		.amdhsa_ieee_mode 1
		.amdhsa_fp16_overflow 0
		.amdhsa_workgroup_processor_mode 1
		.amdhsa_memory_ordered 1
		.amdhsa_forward_progress 0
		.amdhsa_shared_vgpr_count 0
		.amdhsa_exception_fp_ieee_invalid_op 0
		.amdhsa_exception_fp_denorm_src 0
		.amdhsa_exception_fp_ieee_div_zero 0
		.amdhsa_exception_fp_ieee_overflow 0
		.amdhsa_exception_fp_ieee_underflow 0
		.amdhsa_exception_fp_ieee_inexact 0
		.amdhsa_exception_int_div_zero 0
	.end_amdhsa_kernel
	.section	.text._ZN12_GLOBAL__N_120geam_min_plus_kernelIdddLi4ELi64ELi128ELi128ELi4ELi64ELi4ELi64ELi4ELc78ELc84ELb0ELb1ELb0EPKdKS2_KPdEEviiiT16_PT17_ilS8_ilS6_S8_ilPT18_ili26rocblas_geam_ex_operation_,"axG",@progbits,_ZN12_GLOBAL__N_120geam_min_plus_kernelIdddLi4ELi64ELi128ELi128ELi4ELi64ELi4ELi64ELi4ELc78ELc84ELb0ELb1ELb0EPKdKS2_KPdEEviiiT16_PT17_ilS8_ilS6_S8_ilPT18_ili26rocblas_geam_ex_operation_,comdat
.Lfunc_end144:
	.size	_ZN12_GLOBAL__N_120geam_min_plus_kernelIdddLi4ELi64ELi128ELi128ELi4ELi64ELi4ELi64ELi4ELc78ELc84ELb0ELb1ELb0EPKdKS2_KPdEEviiiT16_PT17_ilS8_ilS6_S8_ilPT18_ili26rocblas_geam_ex_operation_, .Lfunc_end144-_ZN12_GLOBAL__N_120geam_min_plus_kernelIdddLi4ELi64ELi128ELi128ELi4ELi64ELi4ELi64ELi4ELc78ELc84ELb0ELb1ELb0EPKdKS2_KPdEEviiiT16_PT17_ilS8_ilS6_S8_ilPT18_ili26rocblas_geam_ex_operation_
                                        ; -- End function
	.section	.AMDGPU.csdata,"",@progbits
; Kernel info:
; codeLenInByte = 47288
; NumSgprs: 48
; NumVgprs: 251
; ScratchSize: 528
; MemoryBound: 1
; FloatMode: 240
; IeeeMode: 1
; LDSByteSize: 16384 bytes/workgroup (compile time only)
; SGPRBlocks: 5
; VGPRBlocks: 31
; NumSGPRsForWavesPerEU: 48
; NumVGPRsForWavesPerEU: 251
; Occupancy: 5
; WaveLimiterHint : 1
; COMPUTE_PGM_RSRC2:SCRATCH_EN: 1
; COMPUTE_PGM_RSRC2:USER_SGPR: 14
; COMPUTE_PGM_RSRC2:TRAP_HANDLER: 0
; COMPUTE_PGM_RSRC2:TGID_X_EN: 1
; COMPUTE_PGM_RSRC2:TGID_Y_EN: 0
; COMPUTE_PGM_RSRC2:TGID_Z_EN: 1
; COMPUTE_PGM_RSRC2:TIDIG_COMP_CNT: 1
	.section	.text._ZN12_GLOBAL__N_120geam_min_plus_kernelIdddLi4ELi64ELi128ELi128ELi4ELi64ELi4ELi64ELi4ELc78ELc84ELb1ELb1ELb0EdKPKdKPdEEviiiT16_PT17_ilS8_ilS6_S8_ilPT18_ili26rocblas_geam_ex_operation_,"axG",@progbits,_ZN12_GLOBAL__N_120geam_min_plus_kernelIdddLi4ELi64ELi128ELi128ELi4ELi64ELi4ELi64ELi4ELc78ELc84ELb1ELb1ELb0EdKPKdKPdEEviiiT16_PT17_ilS8_ilS6_S8_ilPT18_ili26rocblas_geam_ex_operation_,comdat
	.globl	_ZN12_GLOBAL__N_120geam_min_plus_kernelIdddLi4ELi64ELi128ELi128ELi4ELi64ELi4ELi64ELi4ELc78ELc84ELb1ELb1ELb0EdKPKdKPdEEviiiT16_PT17_ilS8_ilS6_S8_ilPT18_ili26rocblas_geam_ex_operation_ ; -- Begin function _ZN12_GLOBAL__N_120geam_min_plus_kernelIdddLi4ELi64ELi128ELi128ELi4ELi64ELi4ELi64ELi4ELc78ELc84ELb1ELb1ELb0EdKPKdKPdEEviiiT16_PT17_ilS8_ilS6_S8_ilPT18_ili26rocblas_geam_ex_operation_
	.p2align	8
	.type	_ZN12_GLOBAL__N_120geam_min_plus_kernelIdddLi4ELi64ELi128ELi128ELi4ELi64ELi4ELi64ELi4ELc78ELc84ELb1ELb1ELb0EdKPKdKPdEEviiiT16_PT17_ilS8_ilS6_S8_ilPT18_ili26rocblas_geam_ex_operation_,@function
_ZN12_GLOBAL__N_120geam_min_plus_kernelIdddLi4ELi64ELi128ELi128ELi4ELi64ELi4ELi64ELi4ELc78ELc84ELb1ELb1ELb0EdKPKdKPdEEviiiT16_PT17_ilS8_ilS6_S8_ilPT18_ili26rocblas_geam_ex_operation_: ; @_ZN12_GLOBAL__N_120geam_min_plus_kernelIdddLi4ELi64ELi128ELi128ELi4ELi64ELi4ELi64ELi4ELc78ELc84ELb1ELb1ELb0EdKPKdKPdEEviiiT16_PT17_ilS8_ilS6_S8_ilPT18_ili26rocblas_geam_ex_operation_
; %bb.0:
	s_clause 0x1
	s_load_b128 s[8:11], s[0:1], 0x10
	s_load_b128 s[4:7], s[0:1], 0x28
	s_mov_b32 s2, s15
	s_mov_b64 s[12:13], 0
	s_waitcnt lgkmcnt(0)
	v_cmp_eq_f64_e64 s15, s[8:9], 0
	s_delay_alu instid0(VALU_DEP_1)
	s_and_b32 vcc_lo, exec_lo, s15
	s_cbranch_vccnz .LBB145_2
; %bb.1:
	s_mov_b32 s3, 0
	s_delay_alu instid0(SALU_CYCLE_1) | instskip(NEXT) | instid1(SALU_CYCLE_1)
	s_lshl_b64 s[8:9], s[2:3], 3
	s_add_u32 s8, s10, s8
	s_addc_u32 s9, s11, s9
	s_lshl_b64 s[4:5], s[4:5], 3
	s_load_b64 s[8:9], s[8:9], 0x0
	s_waitcnt lgkmcnt(0)
	s_add_u32 s12, s8, s4
	s_addc_u32 s13, s9, s5
.LBB145_2:
	s_clause 0x1
	s_load_b128 s[36:39], s[0:1], 0x40
	s_load_b64 s[8:9], s[0:1], 0x50
	s_and_not1_b32 vcc_lo, exec_lo, s15
	s_cbranch_vccnz .LBB145_4
; %bb.3:
	s_mov_b32 s3, 0
	s_mov_b64 s[10:11], 0
	s_cbranch_execz .LBB145_5
	s_branch .LBB145_6
.LBB145_4:
	s_mov_b32 s3, -1
                                        ; implicit-def: $sgpr10_sgpr11
.LBB145_5:
	s_mov_b32 s3, 0
	s_delay_alu instid0(SALU_CYCLE_1) | instskip(NEXT) | instid1(SALU_CYCLE_1)
	s_lshl_b64 s[4:5], s[2:3], 3
	s_add_u32 s4, s6, s4
	s_addc_u32 s5, s7, s5
	s_waitcnt lgkmcnt(0)
	s_lshl_b64 s[6:7], s[36:37], 3
	s_load_b64 s[4:5], s[4:5], 0x0
	s_waitcnt lgkmcnt(0)
	s_add_u32 s10, s4, s6
	s_addc_u32 s11, s5, s7
.LBB145_6:
	s_waitcnt lgkmcnt(0)
	v_cmp_eq_f64_e64 s15, s[38:39], 0
	v_cmp_neq_f64_e64 s36, s[38:39], 0
	s_load_b128 s[4:7], s[0:1], 0x60
	s_mov_b64 s[34:35], 0
	s_delay_alu instid0(VALU_DEP_2)
	s_and_b32 vcc_lo, exec_lo, s15
	s_cbranch_vccnz .LBB145_8
; %bb.7:
	s_lshl_b64 s[16:17], s[2:3], 3
	s_delay_alu instid0(SALU_CYCLE_1)
	s_add_u32 s8, s8, s16
	s_addc_u32 s9, s9, s17
	s_waitcnt lgkmcnt(0)
	s_lshl_b64 s[4:5], s[4:5], 3
	s_load_b64 s[8:9], s[8:9], 0x0
	s_waitcnt lgkmcnt(0)
	s_add_u32 s34, s8, s4
	s_addc_u32 s35, s9, s5
.LBB145_8:
	s_load_b128 s[40:43], s[0:1], 0x0
	s_lshl_b64 s[2:3], s[2:3], 3
	s_waitcnt lgkmcnt(0)
	s_mov_b32 s4, 0
	s_add_u32 s2, s6, s2
	s_addc_u32 s3, s7, s3
	s_load_b32 s16, s[0:1], 0x20
	s_load_b64 s[8:9], s[2:3], 0x0
	s_mov_b32 s5, s4
	s_delay_alu instid0(SALU_CYCLE_1) | instskip(SKIP_1) | instid1(VALU_DEP_1)
	v_dual_mov_b32 v7, s5 :: v_dual_and_b32 v80, 0x3ff, v0
	v_bfe_u32 v81, v0, 10, 10
	v_lshl_add_u32 v0, v81, 2, v80
	s_delay_alu instid0(VALU_DEP_1) | instskip(SKIP_3) | instid1(VALU_DEP_2)
	v_lshrrev_b32_e32 v82, 6, v0
	s_add_i32 s2, s40, -1
	v_and_b32_e32 v88, 63, v0
	s_ashr_i32 s3, s2, 31
	v_cmp_le_i32_e32 vcc_lo, s42, v82
	s_lshr_b32 s3, s3, 25
	s_delay_alu instid0(SALU_CYCLE_1) | instskip(NEXT) | instid1(SALU_CYCLE_1)
	s_add_i32 s2, s2, s3
	s_ashr_i32 s2, s2, 7
	s_delay_alu instid0(SALU_CYCLE_1) | instskip(SKIP_2) | instid1(VALU_DEP_1)
	s_add_i32 s3, s2, 1
	s_not_b32 s2, s2
	v_cvt_f32_u32_e32 v1, s3
	v_rcp_iflag_f32_e32 v1, v1
	s_waitcnt_depctr 0xfff
	v_dual_mov_b32 v6, s4 :: v_dual_mul_f32 v1, 0x4f7ffffe, v1
	s_clause 0xb
	scratch_store_b64 off, v[6:7], off
	scratch_store_b64 off, v[6:7], off offset:8
	scratch_store_b64 off, v[6:7], off offset:16
	;; [unrolled: 1-line block ×11, first 2 shown]
	v_cvt_u32_f32_e32 v1, v1
	s_clause 0xe
	scratch_store_b64 off, v[6:7], off offset:96
	scratch_store_b64 off, v[6:7], off offset:104
	;; [unrolled: 1-line block ×15, first 2 shown]
	v_readfirstlane_b32 s4, v1
	s_waitcnt lgkmcnt(0)
	v_mad_i64_i32 v[0:1], null, s16, v82, 0
	s_clause 0x7
	scratch_store_b64 off, v[6:7], off offset:216
	scratch_store_b64 off, v[6:7], off offset:224
	;; [unrolled: 1-line block ×8, first 2 shown]
	s_mul_i32 s2, s2, s4
	s_clause 0x1
	scratch_store_b64 off, v[6:7], off offset:280
	scratch_store_b64 off, v[6:7], off offset:288
	s_mul_hi_u32 s2, s4, s2
	s_clause 0x3
	scratch_store_b64 off, v[6:7], off offset:296
	scratch_store_b64 off, v[6:7], off offset:304
	;; [unrolled: 1-line block ×4, first 2 shown]
	s_add_i32 s4, s4, s2
	v_lshlrev_b64 v[2:3], 3, v[0:1]
	s_mul_hi_u32 s2, s14, s4
	v_mov_b32_e32 v0, 0
	s_mul_i32 s4, s2, s3
	s_add_i32 s5, s2, 1
	s_sub_i32 s4, s14, s4
	v_mov_b32_e32 v1, 0
	s_sub_i32 s6, s4, s3
	s_cmp_ge_u32 s4, s3
	s_clause 0x3
	scratch_store_b64 off, v[6:7], off offset:328
	scratch_store_b64 off, v[6:7], off offset:336
	;; [unrolled: 1-line block ×4, first 2 shown]
	s_cselect_b32 s2, s5, s2
	s_cselect_b32 s4, s6, s4
	s_add_i32 s5, s2, 1
	s_cmp_ge_u32 s4, s3
	scratch_store_b64 off, v[6:7], off offset:360
	s_cselect_b32 s5, s5, s2
	s_clause 0x8
	scratch_store_b64 off, v[6:7], off offset:368
	scratch_store_b64 off, v[6:7], off offset:376
	;; [unrolled: 1-line block ×9, first 2 shown]
	s_mul_i32 s2, s5, s3
	v_add_co_u32 v4, s3, s12, v2
	s_sub_i32 s2, s14, s2
	v_add_co_ci_u32_e64 v5, s3, s13, v3, s3
	s_lshl_b32 s14, s2, 7
	v_dual_mov_b32 v3, v1 :: v_dual_mov_b32 v2, v0
	v_or_b32_e32 v68, s14, v88
	s_clause 0x8
	scratch_store_b64 off, v[6:7], off offset:440
	scratch_store_b64 off, v[6:7], off offset:448
	;; [unrolled: 1-line block ×9, first 2 shown]
	v_cmp_le_i32_e64 s2, s40, v68
	v_ashrrev_i32_e32 v69, 31, v68
	s_delay_alu instid0(VALU_DEP_2) | instskip(NEXT) | instid1(SALU_CYCLE_1)
	s_or_b32 s3, s2, vcc_lo
	s_xor_b32 s3, s3, -1
	s_delay_alu instid0(SALU_CYCLE_1)
	s_and_saveexec_b32 s4, s3
	s_cbranch_execz .LBB145_10
; %bb.9:
	v_lshlrev_b64 v[2:3], 3, v[68:69]
	s_delay_alu instid0(VALU_DEP_1) | instskip(NEXT) | instid1(VALU_DEP_1)
	v_add_co_u32 v2, s3, v4, v2
	v_add_co_ci_u32_e64 v3, s3, v5, v3, s3
	flat_load_b64 v[2:3], v[2:3]
.LBB145_10:
	s_or_b32 exec_lo, exec_lo, s4
	v_or_b32_e32 v6, 64, v68
	s_ashr_i32 s17, s16, 31
	s_delay_alu instid0(VALU_DEP_1) | instskip(NEXT) | instid1(VALU_DEP_1)
	v_cmp_le_i32_e64 s3, s40, v6
	s_or_b32 s4, s3, vcc_lo
	s_delay_alu instid0(SALU_CYCLE_1) | instskip(NEXT) | instid1(SALU_CYCLE_1)
	s_xor_b32 s4, s4, -1
	s_and_saveexec_b32 s6, s4
	s_cbranch_execz .LBB145_12
; %bb.11:
	v_lshlrev_b64 v[0:1], 3, v[68:69]
	s_delay_alu instid0(VALU_DEP_1) | instskip(NEXT) | instid1(VALU_DEP_1)
	v_add_co_u32 v0, s4, v4, v0
	v_add_co_ci_u32_e64 v1, s4, v5, v1, s4
	flat_load_b64 v[0:1], v[0:1] offset:512
.LBB145_12:
	s_or_b32 exec_lo, exec_lo, s6
	s_load_b32 s18, s[0:1], 0x38
	s_lshl_b32 s15, s5, 7
	s_delay_alu instid0(SALU_CYCLE_1) | instskip(NEXT) | instid1(VALU_DEP_1)
	v_or_b32_e32 v70, s15, v88
	v_cmp_le_i32_e64 s4, s41, v70
	v_ashrrev_i32_e32 v71, 31, v70
	s_waitcnt lgkmcnt(0)
	v_mad_i64_i32 v[4:5], null, s18, v82, 0
	s_delay_alu instid0(VALU_DEP_1) | instskip(SKIP_2) | instid1(VALU_DEP_3)
	v_lshlrev_b64 v[6:7], 3, v[4:5]
	v_mov_b32_e32 v4, 0
	v_mov_b32_e32 v5, 0
	v_add_co_u32 v8, s5, s10, v6
	s_delay_alu instid0(VALU_DEP_1) | instskip(NEXT) | instid1(VALU_DEP_3)
	v_add_co_ci_u32_e64 v9, s5, s11, v7, s5
	v_dual_mov_b32 v7, v5 :: v_dual_mov_b32 v6, v4
	s_or_b32 s5, s4, vcc_lo
	s_delay_alu instid0(SALU_CYCLE_1) | instskip(NEXT) | instid1(SALU_CYCLE_1)
	s_xor_b32 s5, s5, -1
	s_and_saveexec_b32 s6, s5
	s_cbranch_execz .LBB145_14
; %bb.13:
	v_lshlrev_b64 v[6:7], 3, v[70:71]
	s_delay_alu instid0(VALU_DEP_1) | instskip(NEXT) | instid1(VALU_DEP_1)
	v_add_co_u32 v6, s5, v8, v6
	v_add_co_ci_u32_e64 v7, s5, v9, v7, s5
	flat_load_b64 v[6:7], v[6:7]
.LBB145_14:
	s_or_b32 exec_lo, exec_lo, s6
	v_or_b32_e32 v10, 64, v70
	s_ashr_i32 s19, s18, 31
	s_delay_alu instid0(VALU_DEP_1) | instskip(NEXT) | instid1(VALU_DEP_1)
	v_cmp_le_i32_e64 s5, s41, v10
	s_or_b32 s6, s5, vcc_lo
	s_delay_alu instid0(SALU_CYCLE_1) | instskip(NEXT) | instid1(SALU_CYCLE_1)
	s_xor_b32 s7, s6, -1
	s_and_saveexec_b32 s6, s7
	s_cbranch_execz .LBB145_16
; %bb.15:
	v_lshlrev_b64 v[4:5], 3, v[70:71]
	s_delay_alu instid0(VALU_DEP_1) | instskip(NEXT) | instid1(VALU_DEP_2)
	v_add_co_u32 v4, vcc_lo, v8, v4
	v_add_co_ci_u32_e32 v5, vcc_lo, v9, v5, vcc_lo
	flat_load_b64 v[4:5], v[4:5] offset:512
.LBB145_16:
	s_or_b32 exec_lo, exec_lo, s6
	v_add_nc_u32_e32 v8, 4, v82
	v_mov_b32_e32 v72, 0
	v_mov_b32_e32 v73, 0
	s_delay_alu instid0(VALU_DEP_3) | instskip(SKIP_1) | instid1(VALU_DEP_3)
	v_mad_i64_i32 v[9:10], null, s16, v8, 0
	v_cmp_le_i32_e32 vcc_lo, s42, v8
	v_dual_mov_b32 v75, v73 :: v_dual_mov_b32 v74, v72
	s_delay_alu instid0(VALU_DEP_3) | instskip(NEXT) | instid1(VALU_DEP_1)
	v_lshlrev_b64 v[9:10], 3, v[9:10]
	v_add_co_u32 v9, s6, s12, v9
	s_delay_alu instid0(VALU_DEP_1) | instskip(SKIP_1) | instid1(SALU_CYCLE_1)
	v_add_co_ci_u32_e64 v10, s6, s13, v10, s6
	s_or_b32 s6, s2, vcc_lo
	s_xor_b32 s6, s6, -1
	s_delay_alu instid0(SALU_CYCLE_1)
	s_and_saveexec_b32 s7, s6
	s_cbranch_execz .LBB145_18
; %bb.17:
	v_lshlrev_b64 v[11:12], 3, v[68:69]
	s_delay_alu instid0(VALU_DEP_1) | instskip(NEXT) | instid1(VALU_DEP_1)
	v_add_co_u32 v11, s6, v9, v11
	v_add_co_ci_u32_e64 v12, s6, v10, v12, s6
	flat_load_b64 v[74:75], v[11:12]
.LBB145_18:
	s_or_b32 exec_lo, exec_lo, s7
	s_or_b32 s6, s3, vcc_lo
	s_delay_alu instid0(SALU_CYCLE_1) | instskip(NEXT) | instid1(SALU_CYCLE_1)
	s_xor_b32 s6, s6, -1
	s_and_saveexec_b32 s7, s6
	s_cbranch_execz .LBB145_20
; %bb.19:
	v_lshlrev_b64 v[11:12], 3, v[68:69]
	s_delay_alu instid0(VALU_DEP_1) | instskip(NEXT) | instid1(VALU_DEP_1)
	v_add_co_u32 v9, s6, v9, v11
	v_add_co_ci_u32_e64 v10, s6, v10, v12, s6
	flat_load_b64 v[72:73], v[9:10] offset:512
.LBB145_20:
	s_or_b32 exec_lo, exec_lo, s7
	v_mad_i64_i32 v[9:10], null, s18, v8, 0
	v_mov_b32_e32 v76, 0
	v_mov_b32_e32 v77, 0
	s_delay_alu instid0(VALU_DEP_1) | instskip(NEXT) | instid1(VALU_DEP_4)
	v_dual_mov_b32 v79, v77 :: v_dual_mov_b32 v78, v76
	v_lshlrev_b64 v[8:9], 3, v[9:10]
	s_delay_alu instid0(VALU_DEP_1) | instskip(NEXT) | instid1(VALU_DEP_1)
	v_add_co_u32 v8, s6, s10, v8
	v_add_co_ci_u32_e64 v9, s6, s11, v9, s6
	s_or_b32 s6, s4, vcc_lo
	s_delay_alu instid0(SALU_CYCLE_1) | instskip(NEXT) | instid1(SALU_CYCLE_1)
	s_xor_b32 s6, s6, -1
	s_and_saveexec_b32 s7, s6
	s_cbranch_execz .LBB145_22
; %bb.21:
	v_lshlrev_b64 v[10:11], 3, v[70:71]
	s_delay_alu instid0(VALU_DEP_1) | instskip(NEXT) | instid1(VALU_DEP_1)
	v_add_co_u32 v10, s6, v8, v10
	v_add_co_ci_u32_e64 v11, s6, v9, v11, s6
	flat_load_b64 v[78:79], v[10:11]
.LBB145_22:
	s_or_b32 exec_lo, exec_lo, s7
	s_or_b32 s6, s5, vcc_lo
	s_delay_alu instid0(SALU_CYCLE_1) | instskip(NEXT) | instid1(SALU_CYCLE_1)
	s_xor_b32 s7, s6, -1
	s_and_saveexec_b32 s6, s7
	s_cbranch_execz .LBB145_24
; %bb.23:
	v_lshlrev_b64 v[10:11], 3, v[70:71]
	s_delay_alu instid0(VALU_DEP_1) | instskip(NEXT) | instid1(VALU_DEP_2)
	v_add_co_u32 v8, vcc_lo, v8, v10
	v_add_co_ci_u32_e32 v9, vcc_lo, v9, v11, vcc_lo
	flat_load_b64 v[76:77], v[8:9] offset:512
.LBB145_24:
	s_or_b32 exec_lo, exec_lo, s6
	v_dual_mov_b32 v89, 0 :: v_dual_lshlrev_b32 v8, 3, v82
	v_dual_mov_b32 v90, 8 :: v_dual_lshlrev_b32 v83, 5, v80
	;; [unrolled: 1-line block ×3, first 2 shown]
	s_delay_alu instid0(VALU_DEP_3) | instskip(NEXT) | instid1(VALU_DEP_3)
	v_lshl_add_u32 v84, v88, 5, v8
	v_dual_mov_b32 v91, 16 :: v_dual_add_nc_u32 v48, 0x800, v83
	s_delay_alu instid0(VALU_DEP_3)
	v_dual_mov_b32 v94, 40 :: v_dual_add_nc_u32 v87, 0x2000, v85
	s_waitcnt vmcnt(0)
	ds_store_2addr_stride64_b64 v84, v[2:3], v[0:1] offset1:4
	s_waitcnt lgkmcnt(1)
	ds_store_2addr_stride64_b64 v84, v[6:7], v[4:5] offset0:16 offset1:20
	s_waitcnt lgkmcnt(0)
	s_waitcnt_vscnt null, 0x0
	s_barrier
	buffer_gl0_inv
	ds_load_2addr_b64 v[0:3], v83 offset1:16
	ds_load_2addr_b64 v[4:7], v83 offset0:32 offset1:48
	ds_load_2addr_b64 v[8:11], v83 offset0:64 offset1:80
	;; [unrolled: 1-line block ×4, first 2 shown]
	ds_load_2addr_b64 v[20:23], v48 offset1:16
	ds_load_2addr_b64 v[24:27], v48 offset0:32 offset1:48
	ds_load_2addr_b64 v[28:31], v48 offset0:64 offset1:80
	;; [unrolled: 1-line block ×10, first 2 shown]
	ds_load_2addr_stride64_b64 v[64:67], v85 offset0:16 offset1:20
	v_or_b32_e32 v86, 0x2000, v84
	v_dual_mov_b32 v93, 32 :: v_dual_mov_b32 v96, 56
	v_dual_mov_b32 v95, 48 :: v_dual_mov_b32 v98, 0x48
	v_dual_mov_b32 v97, 64 :: v_dual_mov_b32 v100, 0x58
	v_mov_b32_e32 v99, 0x50
	v_mov_b32_e32 v101, 0x60
	;; [unrolled: 1-line block ×21, first 2 shown]
	s_mov_b64 s[6:7], 0
	s_mov_b32 s20, -1
.LBB145_25:                             ; =>This Inner Loop Header: Depth=1
	scratch_load_b64 v[121:122], v89, off
	scratch_load_b64 v[123:124], v90, off
	;; [unrolled: 1-line block ×32, first 2 shown]
	s_cmp_eq_u32 s6, 1
	s_waitcnt lgkmcnt(16)
	v_max_f64 v[187:188], v[0:1], v[0:1]
	s_cselect_b32 vcc_lo, -1, 0
	v_max_f64 v[189:190], v[2:3], v[2:3]
	s_waitcnt lgkmcnt(0)
	v_dual_cndmask_b32 v186, v65, v67 :: v_dual_cndmask_b32 v185, v64, v66
	v_max_f64 v[191:192], v[4:5], v[4:5]
	v_max_f64 v[193:194], v[6:7], v[6:7]
	;; [unrolled: 1-line block ×31, first 2 shown]
	s_mov_b64 s[6:7], 1
	s_and_b32 vcc_lo, exec_lo, s20
	s_mov_b32 s20, 0
	v_min_f64 v[187:188], v[187:188], v[185:186]
	v_min_f64 v[189:190], v[189:190], v[185:186]
	;; [unrolled: 1-line block ×32, first 2 shown]
	s_waitcnt vmcnt(31)
	v_add_f64 v[121:122], v[121:122], v[187:188]
	s_waitcnt vmcnt(30)
	v_add_f64 v[123:124], v[189:190], v[123:124]
	;; [unrolled: 2-line block ×32, first 2 shown]
	scratch_store_b64 v89, v[121:122], off
	scratch_store_b64 v90, v[123:124], off
	;; [unrolled: 1-line block ×32, first 2 shown]
	v_mov_b32_e32 v89, 0x100
	v_mov_b32_e32 v90, 0x108
	;; [unrolled: 1-line block ×32, first 2 shown]
	s_cbranch_vccnz .LBB145_25
; %bb.26:
	v_dual_mov_b32 v89, 0 :: v_dual_add_nc_u32 v60, 0x800, v83
	ds_load_2addr_b64 v[0:3], v83 offset0:1 offset1:17
	ds_load_2addr_b64 v[4:7], v83 offset0:33 offset1:49
	;; [unrolled: 1-line block ×12, first 2 shown]
	v_dual_mov_b32 v91, 16 :: v_dual_add_nc_u32 v64, 8, v87
	ds_load_2addr_b64 v[48:51], v60 offset0:129 offset1:145
	ds_load_2addr_b64 v[52:55], v60 offset0:161 offset1:177
	;; [unrolled: 1-line block ×4, first 2 shown]
	ds_load_2addr_stride64_b64 v[64:67], v64 offset1:4
	v_dual_mov_b32 v90, 8 :: v_dual_mov_b32 v93, 32
	v_dual_mov_b32 v92, 24 :: v_dual_mov_b32 v95, 48
	;; [unrolled: 1-line block ×4, first 2 shown]
	v_mov_b32_e32 v98, 0x48
	v_mov_b32_e32 v100, 0x58
	;; [unrolled: 1-line block ×22, first 2 shown]
	s_mov_b64 s[6:7], 0
	s_mov_b32 s20, -1
.LBB145_27:                             ; =>This Inner Loop Header: Depth=1
	scratch_load_b64 v[121:122], v89, off
	scratch_load_b64 v[123:124], v90, off
	;; [unrolled: 1-line block ×32, first 2 shown]
	s_cmp_eq_u32 s6, 1
	s_waitcnt lgkmcnt(16)
	v_max_f64 v[187:188], v[0:1], v[0:1]
	s_cselect_b32 vcc_lo, -1, 0
	v_max_f64 v[189:190], v[2:3], v[2:3]
	s_waitcnt lgkmcnt(0)
	v_dual_cndmask_b32 v186, v65, v67 :: v_dual_cndmask_b32 v185, v64, v66
	v_max_f64 v[191:192], v[4:5], v[4:5]
	v_max_f64 v[193:194], v[6:7], v[6:7]
	v_max_f64 v[195:196], v[8:9], v[8:9]
	v_max_f64 v[197:198], v[10:11], v[10:11]
	v_max_f64 v[185:186], v[185:186], v[185:186]
	v_max_f64 v[199:200], v[12:13], v[12:13]
	v_max_f64 v[201:202], v[14:15], v[14:15]
	v_max_f64 v[203:204], v[16:17], v[16:17]
	v_max_f64 v[205:206], v[18:19], v[18:19]
	v_max_f64 v[207:208], v[20:21], v[20:21]
	v_max_f64 v[209:210], v[22:23], v[22:23]
	v_max_f64 v[211:212], v[24:25], v[24:25]
	v_max_f64 v[213:214], v[26:27], v[26:27]
	v_max_f64 v[215:216], v[28:29], v[28:29]
	v_max_f64 v[217:218], v[30:31], v[30:31]
	v_max_f64 v[219:220], v[32:33], v[32:33]
	v_max_f64 v[221:222], v[34:35], v[34:35]
	v_max_f64 v[223:224], v[36:37], v[36:37]
	v_max_f64 v[225:226], v[38:39], v[38:39]
	v_max_f64 v[227:228], v[40:41], v[40:41]
	v_max_f64 v[229:230], v[42:43], v[42:43]
	v_max_f64 v[231:232], v[44:45], v[44:45]
	v_max_f64 v[233:234], v[46:47], v[46:47]
	v_max_f64 v[235:236], v[48:49], v[48:49]
	v_max_f64 v[237:238], v[50:51], v[50:51]
	v_max_f64 v[239:240], v[52:53], v[52:53]
	v_max_f64 v[241:242], v[54:55], v[54:55]
	v_max_f64 v[243:244], v[56:57], v[56:57]
	v_max_f64 v[245:246], v[58:59], v[58:59]
	v_max_f64 v[247:248], v[60:61], v[60:61]
	v_max_f64 v[249:250], v[62:63], v[62:63]
	s_mov_b64 s[6:7], 1
	s_and_b32 vcc_lo, exec_lo, s20
	s_mov_b32 s20, 0
	v_min_f64 v[187:188], v[187:188], v[185:186]
	v_min_f64 v[189:190], v[189:190], v[185:186]
	;; [unrolled: 1-line block ×32, first 2 shown]
	s_waitcnt vmcnt(31)
	v_add_f64 v[121:122], v[121:122], v[187:188]
	s_waitcnt vmcnt(30)
	v_add_f64 v[123:124], v[189:190], v[123:124]
	;; [unrolled: 2-line block ×32, first 2 shown]
	scratch_store_b64 v89, v[121:122], off
	scratch_store_b64 v90, v[123:124], off
	scratch_store_b64 v91, v[125:126], off
	scratch_store_b64 v92, v[127:128], off
	scratch_store_b64 v93, v[129:130], off
	scratch_store_b64 v94, v[131:132], off
	scratch_store_b64 v95, v[133:134], off
	scratch_store_b64 v96, v[135:136], off
	scratch_store_b64 v97, v[137:138], off
	scratch_store_b64 v98, v[139:140], off
	scratch_store_b64 v99, v[141:142], off
	scratch_store_b64 v100, v[143:144], off
	scratch_store_b64 v101, v[145:146], off
	scratch_store_b64 v102, v[147:148], off
	scratch_store_b64 v103, v[149:150], off
	scratch_store_b64 v104, v[151:152], off
	scratch_store_b64 v105, v[153:154], off
	scratch_store_b64 v106, v[155:156], off
	scratch_store_b64 v107, v[157:158], off
	scratch_store_b64 v108, v[159:160], off
	scratch_store_b64 v109, v[161:162], off
	scratch_store_b64 v110, v[163:164], off
	scratch_store_b64 v111, v[165:166], off
	scratch_store_b64 v112, v[167:168], off
	scratch_store_b64 v113, v[169:170], off
	scratch_store_b64 v114, v[171:172], off
	scratch_store_b64 v115, v[173:174], off
	scratch_store_b64 v116, v[175:176], off
	scratch_store_b64 v117, v[177:178], off
	scratch_store_b64 v118, v[179:180], off
	scratch_store_b64 v119, v[181:182], off
	scratch_store_b64 v120, v[183:184], off
	v_mov_b32_e32 v89, 0x100
	v_mov_b32_e32 v90, 0x108
	;; [unrolled: 1-line block ×32, first 2 shown]
	s_cbranch_vccnz .LBB145_27
; %bb.28:
	v_dual_mov_b32 v89, 0 :: v_dual_add_nc_u32 v60, 0x800, v83
	ds_load_2addr_b64 v[0:3], v83 offset0:2 offset1:18
	ds_load_2addr_b64 v[4:7], v83 offset0:34 offset1:50
	;; [unrolled: 1-line block ×12, first 2 shown]
	v_dual_mov_b32 v91, 16 :: v_dual_add_nc_u32 v64, 16, v87
	ds_load_2addr_b64 v[48:51], v60 offset0:130 offset1:146
	ds_load_2addr_b64 v[52:55], v60 offset0:162 offset1:178
	;; [unrolled: 1-line block ×4, first 2 shown]
	ds_load_2addr_stride64_b64 v[64:67], v64 offset1:4
	v_dual_mov_b32 v90, 8 :: v_dual_mov_b32 v93, 32
	v_dual_mov_b32 v92, 24 :: v_dual_mov_b32 v95, 48
	v_dual_mov_b32 v94, 40 :: v_dual_mov_b32 v97, 64
	v_dual_mov_b32 v96, 56 :: v_dual_mov_b32 v99, 0x50
	v_mov_b32_e32 v98, 0x48
	v_mov_b32_e32 v100, 0x58
	;; [unrolled: 1-line block ×22, first 2 shown]
	s_mov_b64 s[6:7], 0
	s_mov_b32 s20, -1
.LBB145_29:                             ; =>This Inner Loop Header: Depth=1
	scratch_load_b64 v[121:122], v89, off
	scratch_load_b64 v[123:124], v90, off
	scratch_load_b64 v[125:126], v91, off
	scratch_load_b64 v[127:128], v92, off
	scratch_load_b64 v[129:130], v93, off
	scratch_load_b64 v[131:132], v94, off
	scratch_load_b64 v[133:134], v95, off
	scratch_load_b64 v[135:136], v96, off
	scratch_load_b64 v[137:138], v97, off
	scratch_load_b64 v[139:140], v98, off
	scratch_load_b64 v[141:142], v99, off
	scratch_load_b64 v[143:144], v100, off
	scratch_load_b64 v[145:146], v101, off
	scratch_load_b64 v[147:148], v102, off
	scratch_load_b64 v[149:150], v103, off
	scratch_load_b64 v[151:152], v104, off
	scratch_load_b64 v[153:154], v105, off
	scratch_load_b64 v[155:156], v106, off
	scratch_load_b64 v[157:158], v107, off
	scratch_load_b64 v[159:160], v108, off
	scratch_load_b64 v[161:162], v109, off
	scratch_load_b64 v[163:164], v110, off
	scratch_load_b64 v[165:166], v111, off
	scratch_load_b64 v[167:168], v112, off
	scratch_load_b64 v[169:170], v113, off
	scratch_load_b64 v[171:172], v114, off
	scratch_load_b64 v[173:174], v115, off
	scratch_load_b64 v[175:176], v116, off
	scratch_load_b64 v[177:178], v117, off
	scratch_load_b64 v[179:180], v118, off
	scratch_load_b64 v[181:182], v119, off
	scratch_load_b64 v[183:184], v120, off
	s_cmp_eq_u32 s6, 1
	s_waitcnt lgkmcnt(16)
	v_max_f64 v[187:188], v[0:1], v[0:1]
	s_cselect_b32 vcc_lo, -1, 0
	v_max_f64 v[189:190], v[2:3], v[2:3]
	s_waitcnt lgkmcnt(0)
	v_dual_cndmask_b32 v186, v65, v67 :: v_dual_cndmask_b32 v185, v64, v66
	v_max_f64 v[191:192], v[4:5], v[4:5]
	v_max_f64 v[193:194], v[6:7], v[6:7]
	;; [unrolled: 1-line block ×31, first 2 shown]
	s_mov_b64 s[6:7], 1
	s_and_b32 vcc_lo, exec_lo, s20
	s_mov_b32 s20, 0
	v_min_f64 v[187:188], v[187:188], v[185:186]
	v_min_f64 v[189:190], v[189:190], v[185:186]
	v_min_f64 v[191:192], v[191:192], v[185:186]
	v_min_f64 v[193:194], v[193:194], v[185:186]
	v_min_f64 v[195:196], v[195:196], v[185:186]
	v_min_f64 v[197:198], v[197:198], v[185:186]
	v_min_f64 v[199:200], v[199:200], v[185:186]
	v_min_f64 v[201:202], v[201:202], v[185:186]
	v_min_f64 v[203:204], v[203:204], v[185:186]
	v_min_f64 v[205:206], v[205:206], v[185:186]
	v_min_f64 v[207:208], v[207:208], v[185:186]
	v_min_f64 v[209:210], v[209:210], v[185:186]
	v_min_f64 v[211:212], v[211:212], v[185:186]
	v_min_f64 v[213:214], v[213:214], v[185:186]
	v_min_f64 v[215:216], v[215:216], v[185:186]
	v_min_f64 v[217:218], v[217:218], v[185:186]
	v_min_f64 v[219:220], v[219:220], v[185:186]
	v_min_f64 v[221:222], v[221:222], v[185:186]
	v_min_f64 v[223:224], v[223:224], v[185:186]
	v_min_f64 v[225:226], v[225:226], v[185:186]
	v_min_f64 v[227:228], v[227:228], v[185:186]
	v_min_f64 v[229:230], v[229:230], v[185:186]
	v_min_f64 v[231:232], v[231:232], v[185:186]
	v_min_f64 v[233:234], v[233:234], v[185:186]
	v_min_f64 v[235:236], v[235:236], v[185:186]
	v_min_f64 v[237:238], v[237:238], v[185:186]
	v_min_f64 v[239:240], v[239:240], v[185:186]
	v_min_f64 v[241:242], v[241:242], v[185:186]
	v_min_f64 v[243:244], v[243:244], v[185:186]
	v_min_f64 v[245:246], v[245:246], v[185:186]
	v_min_f64 v[247:248], v[247:248], v[185:186]
	v_min_f64 v[185:186], v[249:250], v[185:186]
	s_waitcnt vmcnt(31)
	v_add_f64 v[121:122], v[121:122], v[187:188]
	s_waitcnt vmcnt(30)
	v_add_f64 v[123:124], v[189:190], v[123:124]
	;; [unrolled: 2-line block ×32, first 2 shown]
	scratch_store_b64 v89, v[121:122], off
	scratch_store_b64 v90, v[123:124], off
	;; [unrolled: 1-line block ×32, first 2 shown]
	v_mov_b32_e32 v89, 0x100
	v_mov_b32_e32 v90, 0x108
	;; [unrolled: 1-line block ×32, first 2 shown]
	s_cbranch_vccnz .LBB145_29
; %bb.30:
	v_dual_mov_b32 v89, 0 :: v_dual_add_nc_u32 v60, 0x800, v83
	ds_load_2addr_b64 v[0:3], v83 offset0:3 offset1:19
	ds_load_2addr_b64 v[4:7], v83 offset0:35 offset1:51
	;; [unrolled: 1-line block ×12, first 2 shown]
	v_dual_mov_b32 v91, 16 :: v_dual_add_nc_u32 v64, 24, v87
	ds_load_2addr_b64 v[48:51], v60 offset0:131 offset1:147
	ds_load_2addr_b64 v[52:55], v60 offset0:163 offset1:179
	;; [unrolled: 1-line block ×4, first 2 shown]
	ds_load_2addr_stride64_b64 v[64:67], v64 offset1:4
	v_dual_mov_b32 v90, 8 :: v_dual_mov_b32 v93, 32
	v_dual_mov_b32 v92, 24 :: v_dual_mov_b32 v95, 48
	;; [unrolled: 1-line block ×4, first 2 shown]
	v_mov_b32_e32 v98, 0x48
	v_mov_b32_e32 v100, 0x58
	;; [unrolled: 1-line block ×22, first 2 shown]
	s_mov_b64 s[6:7], 0
	s_mov_b32 s20, -1
.LBB145_31:                             ; =>This Inner Loop Header: Depth=1
	scratch_load_b64 v[121:122], v89, off
	scratch_load_b64 v[123:124], v90, off
	;; [unrolled: 1-line block ×32, first 2 shown]
	s_cmp_eq_u32 s6, 1
	s_waitcnt lgkmcnt(16)
	v_max_f64 v[187:188], v[0:1], v[0:1]
	s_cselect_b32 vcc_lo, -1, 0
	v_max_f64 v[189:190], v[2:3], v[2:3]
	s_waitcnt lgkmcnt(0)
	v_dual_cndmask_b32 v186, v65, v67 :: v_dual_cndmask_b32 v185, v64, v66
	v_max_f64 v[191:192], v[4:5], v[4:5]
	v_max_f64 v[193:194], v[6:7], v[6:7]
	;; [unrolled: 1-line block ×31, first 2 shown]
	s_mov_b64 s[6:7], 1
	s_and_b32 vcc_lo, exec_lo, s20
	s_mov_b32 s20, 0
	v_min_f64 v[187:188], v[187:188], v[185:186]
	v_min_f64 v[189:190], v[189:190], v[185:186]
	;; [unrolled: 1-line block ×32, first 2 shown]
	s_waitcnt vmcnt(31)
	v_add_f64 v[121:122], v[121:122], v[187:188]
	s_waitcnt vmcnt(30)
	v_add_f64 v[123:124], v[189:190], v[123:124]
	;; [unrolled: 2-line block ×32, first 2 shown]
	scratch_store_b64 v89, v[121:122], off
	scratch_store_b64 v90, v[123:124], off
	;; [unrolled: 1-line block ×32, first 2 shown]
	v_mov_b32_e32 v89, 0x100
	v_mov_b32_e32 v90, 0x108
	;; [unrolled: 1-line block ×32, first 2 shown]
	s_cbranch_vccnz .LBB145_31
; %bb.32:
	v_lshlrev_b32_e32 v0, 5, v88
	s_mov_b32 s20, 8
	s_cmp_gt_i32 s42, 8
	s_delay_alu instid0(VALU_DEP_1)
	v_lshl_add_u32 v0, v82, 3, v0
	ds_store_2addr_stride64_b64 v0, v[74:75], v[72:73] offset0:8 offset1:12
	ds_store_2addr_stride64_b64 v0, v[78:79], v[76:77] offset0:24 offset1:28
	s_waitcnt lgkmcnt(0)
	s_waitcnt_vscnt null, 0x0
	s_barrier
	buffer_gl0_inv
	s_cbranch_scc0 .LBB145_67
; %bb.33:
	v_lshl_add_u32 v89, v80, 5, 0x1000
	v_lshlrev_b64 v[68:69], 3, v[68:69]
	v_lshlrev_b64 v[70:71], 3, v[70:71]
	v_or_b32_e32 v88, 0x1000, v0
	v_or_b32_e32 v90, 0x3000, v0
	v_lshl_add_u32 v91, v81, 5, 0x3000
	v_add_nc_u32_e32 v92, 0x800, v89
	s_add_i32 s21, s42, -8
	s_mov_b32 s22, 0
.LBB145_34:                             ; =>This Loop Header: Depth=1
                                        ;     Child Loop BB145_43 Depth 2
                                        ;     Child Loop BB145_45 Depth 2
	;; [unrolled: 1-line block ×8, first 2 shown]
	v_add_nc_u32_e32 v0, s20, v82
	v_mov_b32_e32 v72, 0
	v_mov_b32_e32 v73, 0
	s_delay_alu instid0(VALU_DEP_3) | instskip(SKIP_1) | instid1(VALU_DEP_3)
	v_mad_u64_u32 v[1:2], null, v0, s16, 0
	v_cmp_le_i32_e32 vcc_lo, s42, v0
	v_dual_mov_b32 v75, v73 :: v_dual_mov_b32 v74, v72
	s_delay_alu instid0(VALU_DEP_3) | instskip(NEXT) | instid1(VALU_DEP_1)
	v_mad_u64_u32 v[3:4], null, v0, s17, v[2:3]
	v_mov_b32_e32 v2, v3
	s_delay_alu instid0(VALU_DEP_1) | instskip(NEXT) | instid1(VALU_DEP_1)
	v_lshlrev_b64 v[1:2], 3, v[1:2]
	v_add_co_u32 v1, s6, s12, v1
	s_delay_alu instid0(VALU_DEP_1) | instskip(SKIP_1) | instid1(SALU_CYCLE_1)
	v_add_co_ci_u32_e64 v2, s6, s13, v2, s6
	s_or_b32 s6, s2, vcc_lo
	s_xor_b32 s6, s6, -1
	s_delay_alu instid0(SALU_CYCLE_1)
	s_and_saveexec_b32 s7, s6
	s_cbranch_execz .LBB145_36
; %bb.35:                               ;   in Loop: Header=BB145_34 Depth=1
	v_add_co_u32 v3, s6, v1, v68
	s_delay_alu instid0(VALU_DEP_1)
	v_add_co_ci_u32_e64 v4, s6, v2, v69, s6
	flat_load_b64 v[74:75], v[3:4]
.LBB145_36:                             ;   in Loop: Header=BB145_34 Depth=1
	s_or_b32 exec_lo, exec_lo, s7
	s_or_b32 s6, s3, vcc_lo
	s_delay_alu instid0(SALU_CYCLE_1) | instskip(NEXT) | instid1(SALU_CYCLE_1)
	s_xor_b32 s6, s6, -1
	s_and_saveexec_b32 s7, s6
	s_cbranch_execz .LBB145_38
; %bb.37:                               ;   in Loop: Header=BB145_34 Depth=1
	v_add_co_u32 v1, s6, v1, v68
	s_delay_alu instid0(VALU_DEP_1)
	v_add_co_ci_u32_e64 v2, s6, v2, v69, s6
	flat_load_b64 v[72:73], v[1:2] offset:512
.LBB145_38:                             ;   in Loop: Header=BB145_34 Depth=1
	s_or_b32 exec_lo, exec_lo, s7
	v_mad_u64_u32 v[1:2], null, v0, s18, 0
	v_mov_b32_e32 v76, 0
	v_mov_b32_e32 v77, 0
	s_delay_alu instid0(VALU_DEP_3) | instskip(NEXT) | instid1(VALU_DEP_2)
	v_mad_u64_u32 v[3:4], null, v0, s19, v[2:3]
	v_dual_mov_b32 v79, v77 :: v_dual_mov_b32 v78, v76
	s_delay_alu instid0(VALU_DEP_2) | instskip(NEXT) | instid1(VALU_DEP_1)
	v_mov_b32_e32 v2, v3
	v_lshlrev_b64 v[0:1], 3, v[1:2]
	s_delay_alu instid0(VALU_DEP_1) | instskip(NEXT) | instid1(VALU_DEP_1)
	v_add_co_u32 v0, s6, s10, v0
	v_add_co_ci_u32_e64 v1, s6, s11, v1, s6
	s_or_b32 s6, s4, vcc_lo
	s_delay_alu instid0(SALU_CYCLE_1) | instskip(NEXT) | instid1(SALU_CYCLE_1)
	s_xor_b32 s6, s6, -1
	s_and_saveexec_b32 s7, s6
	s_cbranch_execz .LBB145_40
; %bb.39:                               ;   in Loop: Header=BB145_34 Depth=1
	v_add_co_u32 v2, s6, v0, v70
	s_delay_alu instid0(VALU_DEP_1)
	v_add_co_ci_u32_e64 v3, s6, v1, v71, s6
	flat_load_b64 v[78:79], v[2:3]
.LBB145_40:                             ;   in Loop: Header=BB145_34 Depth=1
	s_or_b32 exec_lo, exec_lo, s7
	s_or_b32 s6, s5, vcc_lo
	s_delay_alu instid0(SALU_CYCLE_1) | instskip(NEXT) | instid1(SALU_CYCLE_1)
	s_xor_b32 s7, s6, -1
	s_and_saveexec_b32 s6, s7
	s_cbranch_execz .LBB145_42
; %bb.41:                               ;   in Loop: Header=BB145_34 Depth=1
	v_add_co_u32 v0, vcc_lo, v0, v70
	v_add_co_ci_u32_e32 v1, vcc_lo, v1, v71, vcc_lo
	flat_load_b64 v[76:77], v[0:1] offset:512
.LBB145_42:                             ;   in Loop: Header=BB145_34 Depth=1
	s_or_b32 exec_lo, exec_lo, s6
	ds_load_2addr_b64 v[0:3], v89 offset1:16
	ds_load_2addr_b64 v[4:7], v89 offset0:32 offset1:48
	ds_load_2addr_b64 v[8:11], v89 offset0:64 offset1:80
	;; [unrolled: 1-line block ×7, first 2 shown]
	ds_load_2addr_b64 v[32:35], v92 offset1:16
	ds_load_2addr_b64 v[36:39], v92 offset0:32 offset1:48
	ds_load_2addr_b64 v[40:43], v92 offset0:64 offset1:80
	ds_load_2addr_b64 v[44:47], v92 offset0:96 offset1:112
	ds_load_2addr_b64 v[48:51], v92 offset0:128 offset1:144
	ds_load_2addr_b64 v[52:55], v92 offset0:160 offset1:176
	ds_load_2addr_b64 v[56:59], v92 offset0:192 offset1:208
	ds_load_2addr_b64 v[60:63], v92 offset0:224 offset1:240
	ds_load_2addr_stride64_b64 v[64:67], v91 offset1:4
	v_dual_mov_b32 v124, 0 :: v_dual_mov_b32 v123, 8
	v_dual_mov_b32 v122, 16 :: v_dual_mov_b32 v121, 24
	;; [unrolled: 1-line block ×5, first 2 shown]
	v_mov_b32_e32 v114, 0x50
	v_mov_b32_e32 v113, 0x58
	;; [unrolled: 1-line block ×22, first 2 shown]
	s_mov_b64 s[6:7], 0
	s_mov_b32 s23, -1
.LBB145_43:                             ;   Parent Loop BB145_34 Depth=1
                                        ; =>  This Inner Loop Header: Depth=2
	scratch_load_b64 v[129:130], v124, off
	s_cmp_eq_u32 s6, 1
	s_waitcnt lgkmcnt(16)
	v_max_f64 v[127:128], v[0:1], v[0:1]
	s_cselect_b32 vcc_lo, -1, 0
	s_mov_b64 s[6:7], 1
	s_waitcnt lgkmcnt(0)
	v_dual_cndmask_b32 v126, v65, v67 :: v_dual_cndmask_b32 v125, v64, v66
	s_and_b32 vcc_lo, exec_lo, s23
	s_mov_b32 s23, 0
	s_delay_alu instid0(VALU_DEP_1) | instskip(NEXT) | instid1(VALU_DEP_1)
	v_max_f64 v[125:126], v[125:126], v[125:126]
	v_min_f64 v[127:128], v[127:128], v[125:126]
	s_waitcnt vmcnt(0)
	s_delay_alu instid0(VALU_DEP_1) | instskip(SKIP_3) | instid1(VALU_DEP_1)
	v_add_f64 v[127:128], v[129:130], v[127:128]
	scratch_load_b64 v[129:130], v123, off
	scratch_store_b64 v124, v[127:128], off
	v_max_f64 v[127:128], v[2:3], v[2:3]
	v_min_f64 v[127:128], v[127:128], v[125:126]
	s_waitcnt vmcnt(0)
	s_delay_alu instid0(VALU_DEP_1) | instskip(SKIP_3) | instid1(VALU_DEP_1)
	v_add_f64 v[127:128], v[127:128], v[129:130]
	scratch_store_b64 v123, v[127:128], off
	scratch_load_b64 v[127:128], v122, off
	v_max_f64 v[123:124], v[4:5], v[4:5]
	v_min_f64 v[123:124], v[123:124], v[125:126]
	s_waitcnt vmcnt(0)
	s_delay_alu instid0(VALU_DEP_1) | instskip(SKIP_3) | instid1(VALU_DEP_1)
	v_add_f64 v[123:124], v[123:124], v[127:128]
	scratch_load_b64 v[127:128], v121, off
	scratch_store_b64 v122, v[123:124], off
	v_max_f64 v[122:123], v[6:7], v[6:7]
	v_min_f64 v[122:123], v[122:123], v[125:126]
	s_waitcnt vmcnt(0)
	s_delay_alu instid0(VALU_DEP_1) | instskip(SKIP_3) | instid1(VALU_DEP_1)
	v_add_f64 v[122:123], v[122:123], v[127:128]
	scratch_store_b64 v121, v[122:123], off
	scratch_load_b64 v[123:124], v120, off
	v_max_f64 v[121:122], v[8:9], v[8:9]
	v_min_f64 v[121:122], v[121:122], v[125:126]
	s_waitcnt vmcnt(0)
	s_delay_alu instid0(VALU_DEP_1) | instskip(SKIP_4) | instid1(VALU_DEP_1)
	v_add_f64 v[121:122], v[121:122], v[123:124]
	v_mov_b32_e32 v124, 0x100
	scratch_store_b64 v120, v[121:122], off
	scratch_load_b64 v[122:123], v119, off
	v_max_f64 v[120:121], v[10:11], v[10:11]
	v_min_f64 v[120:121], v[120:121], v[125:126]
	s_waitcnt vmcnt(0)
	s_delay_alu instid0(VALU_DEP_1) | instskip(SKIP_4) | instid1(VALU_DEP_1)
	v_add_f64 v[120:121], v[120:121], v[122:123]
	v_mov_b32_e32 v123, 0x108
	;; [unrolled: 8-line block ×27, first 2 shown]
	scratch_store_b64 v94, v[95:96], off
	scratch_load_b64 v[96:97], v93, off
	v_max_f64 v[94:95], v[62:63], v[62:63]
	v_min_f64 v[94:95], v[94:95], v[125:126]
	s_waitcnt vmcnt(0)
	s_delay_alu instid0(VALU_DEP_1)
	v_add_f64 v[94:95], v[94:95], v[96:97]
	v_mov_b32_e32 v97, 0x1d8
	v_mov_b32_e32 v96, 0x1e0
	scratch_store_b64 v93, v[94:95], off
	v_mov_b32_e32 v95, 0x1e8
	v_mov_b32_e32 v94, 0x1f0
	;; [unrolled: 1-line block ×3, first 2 shown]
	s_cbranch_vccnz .LBB145_43
; %bb.44:                               ;   in Loop: Header=BB145_34 Depth=1
	ds_load_2addr_b64 v[0:3], v89 offset0:1 offset1:17
	ds_load_2addr_b64 v[4:7], v89 offset0:33 offset1:49
	;; [unrolled: 1-line block ×12, first 2 shown]
	v_dual_mov_b32 v123, 8 :: v_dual_add_nc_u32 v64, 8, v91
	ds_load_2addr_b64 v[48:51], v92 offset0:129 offset1:145
	ds_load_2addr_b64 v[52:55], v92 offset0:161 offset1:177
	;; [unrolled: 1-line block ×4, first 2 shown]
	ds_load_2addr_stride64_b64 v[64:67], v64 offset1:4
	v_dual_mov_b32 v124, 0 :: v_dual_mov_b32 v121, 24
	v_dual_mov_b32 v122, 16 :: v_dual_mov_b32 v119, 40
	;; [unrolled: 1-line block ×5, first 2 shown]
	v_mov_b32_e32 v114, 0x50
	v_mov_b32_e32 v112, 0x60
	v_mov_b32_e32 v111, 0x68
	v_mov_b32_e32 v110, 0x70
	v_mov_b32_e32 v109, 0x78
	v_mov_b32_e32 v108, 0x80
	v_mov_b32_e32 v107, 0x88
	v_mov_b32_e32 v106, 0x90
	v_mov_b32_e32 v105, 0x98
	v_mov_b32_e32 v104, 0xa0
	v_mov_b32_e32 v103, 0xa8
	v_mov_b32_e32 v102, 0xb0
	v_mov_b32_e32 v101, 0xb8
	v_mov_b32_e32 v100, 0xc0
	v_mov_b32_e32 v99, 0xc8
	v_mov_b32_e32 v98, 0xd0
	v_mov_b32_e32 v97, 0xd8
	v_mov_b32_e32 v96, 0xe0
	v_mov_b32_e32 v95, 0xe8
	v_mov_b32_e32 v94, 0xf0
	v_mov_b32_e32 v93, 0xf8
	s_mov_b64 s[6:7], 0
	s_mov_b32 s23, -1
.LBB145_45:                             ;   Parent Loop BB145_34 Depth=1
                                        ; =>  This Inner Loop Header: Depth=2
	scratch_load_b64 v[129:130], v124, off
	s_cmp_eq_u32 s6, 1
	s_waitcnt lgkmcnt(16)
	v_max_f64 v[127:128], v[0:1], v[0:1]
	s_cselect_b32 vcc_lo, -1, 0
	s_mov_b64 s[6:7], 1
	s_waitcnt lgkmcnt(0)
	v_dual_cndmask_b32 v126, v65, v67 :: v_dual_cndmask_b32 v125, v64, v66
	s_and_b32 vcc_lo, exec_lo, s23
	s_mov_b32 s23, 0
	s_delay_alu instid0(VALU_DEP_1) | instskip(NEXT) | instid1(VALU_DEP_1)
	v_max_f64 v[125:126], v[125:126], v[125:126]
	v_min_f64 v[127:128], v[127:128], v[125:126]
	s_waitcnt vmcnt(0)
	s_delay_alu instid0(VALU_DEP_1) | instskip(SKIP_3) | instid1(VALU_DEP_1)
	v_add_f64 v[127:128], v[129:130], v[127:128]
	scratch_load_b64 v[129:130], v123, off
	scratch_store_b64 v124, v[127:128], off
	v_max_f64 v[127:128], v[2:3], v[2:3]
	v_min_f64 v[127:128], v[127:128], v[125:126]
	s_waitcnt vmcnt(0)
	s_delay_alu instid0(VALU_DEP_1) | instskip(SKIP_3) | instid1(VALU_DEP_1)
	v_add_f64 v[127:128], v[127:128], v[129:130]
	scratch_store_b64 v123, v[127:128], off
	scratch_load_b64 v[127:128], v122, off
	v_max_f64 v[123:124], v[4:5], v[4:5]
	v_min_f64 v[123:124], v[123:124], v[125:126]
	s_waitcnt vmcnt(0)
	s_delay_alu instid0(VALU_DEP_1) | instskip(SKIP_3) | instid1(VALU_DEP_1)
	v_add_f64 v[123:124], v[123:124], v[127:128]
	scratch_load_b64 v[127:128], v121, off
	scratch_store_b64 v122, v[123:124], off
	v_max_f64 v[122:123], v[6:7], v[6:7]
	v_min_f64 v[122:123], v[122:123], v[125:126]
	s_waitcnt vmcnt(0)
	s_delay_alu instid0(VALU_DEP_1) | instskip(SKIP_3) | instid1(VALU_DEP_1)
	v_add_f64 v[122:123], v[122:123], v[127:128]
	scratch_store_b64 v121, v[122:123], off
	scratch_load_b64 v[123:124], v120, off
	v_max_f64 v[121:122], v[8:9], v[8:9]
	v_min_f64 v[121:122], v[121:122], v[125:126]
	s_waitcnt vmcnt(0)
	s_delay_alu instid0(VALU_DEP_1) | instskip(SKIP_4) | instid1(VALU_DEP_1)
	v_add_f64 v[121:122], v[121:122], v[123:124]
	v_mov_b32_e32 v124, 0x100
	scratch_store_b64 v120, v[121:122], off
	scratch_load_b64 v[122:123], v119, off
	v_max_f64 v[120:121], v[10:11], v[10:11]
	v_min_f64 v[120:121], v[120:121], v[125:126]
	s_waitcnt vmcnt(0)
	s_delay_alu instid0(VALU_DEP_1) | instskip(SKIP_4) | instid1(VALU_DEP_1)
	v_add_f64 v[120:121], v[120:121], v[122:123]
	v_mov_b32_e32 v123, 0x108
	;; [unrolled: 8-line block ×27, first 2 shown]
	scratch_store_b64 v94, v[95:96], off
	scratch_load_b64 v[96:97], v93, off
	v_max_f64 v[94:95], v[62:63], v[62:63]
	v_min_f64 v[94:95], v[94:95], v[125:126]
	s_waitcnt vmcnt(0)
	s_delay_alu instid0(VALU_DEP_1)
	v_add_f64 v[94:95], v[94:95], v[96:97]
	v_mov_b32_e32 v97, 0x1d8
	v_mov_b32_e32 v96, 0x1e0
	scratch_store_b64 v93, v[94:95], off
	v_mov_b32_e32 v95, 0x1e8
	v_mov_b32_e32 v94, 0x1f0
	;; [unrolled: 1-line block ×3, first 2 shown]
	s_cbranch_vccnz .LBB145_45
; %bb.46:                               ;   in Loop: Header=BB145_34 Depth=1
	ds_load_2addr_b64 v[0:3], v89 offset0:2 offset1:18
	ds_load_2addr_b64 v[4:7], v89 offset0:34 offset1:50
	;; [unrolled: 1-line block ×12, first 2 shown]
	v_dual_mov_b32 v123, 8 :: v_dual_add_nc_u32 v64, 16, v91
	ds_load_2addr_b64 v[48:51], v92 offset0:130 offset1:146
	ds_load_2addr_b64 v[52:55], v92 offset0:162 offset1:178
	;; [unrolled: 1-line block ×4, first 2 shown]
	ds_load_2addr_stride64_b64 v[64:67], v64 offset1:4
	v_dual_mov_b32 v124, 0 :: v_dual_mov_b32 v121, 24
	v_dual_mov_b32 v122, 16 :: v_dual_mov_b32 v119, 40
	;; [unrolled: 1-line block ×5, first 2 shown]
	v_mov_b32_e32 v114, 0x50
	v_mov_b32_e32 v112, 0x60
	;; [unrolled: 1-line block ×21, first 2 shown]
	s_mov_b64 s[6:7], 0
	s_mov_b32 s23, -1
.LBB145_47:                             ;   Parent Loop BB145_34 Depth=1
                                        ; =>  This Inner Loop Header: Depth=2
	scratch_load_b64 v[129:130], v124, off
	s_cmp_eq_u32 s6, 1
	s_waitcnt lgkmcnt(16)
	v_max_f64 v[127:128], v[0:1], v[0:1]
	s_cselect_b32 vcc_lo, -1, 0
	s_mov_b64 s[6:7], 1
	s_waitcnt lgkmcnt(0)
	v_dual_cndmask_b32 v126, v65, v67 :: v_dual_cndmask_b32 v125, v64, v66
	s_and_b32 vcc_lo, exec_lo, s23
	s_mov_b32 s23, 0
	s_delay_alu instid0(VALU_DEP_1) | instskip(NEXT) | instid1(VALU_DEP_1)
	v_max_f64 v[125:126], v[125:126], v[125:126]
	v_min_f64 v[127:128], v[127:128], v[125:126]
	s_waitcnt vmcnt(0)
	s_delay_alu instid0(VALU_DEP_1) | instskip(SKIP_3) | instid1(VALU_DEP_1)
	v_add_f64 v[127:128], v[129:130], v[127:128]
	scratch_load_b64 v[129:130], v123, off
	scratch_store_b64 v124, v[127:128], off
	v_max_f64 v[127:128], v[2:3], v[2:3]
	v_min_f64 v[127:128], v[127:128], v[125:126]
	s_waitcnt vmcnt(0)
	s_delay_alu instid0(VALU_DEP_1) | instskip(SKIP_3) | instid1(VALU_DEP_1)
	v_add_f64 v[127:128], v[127:128], v[129:130]
	scratch_store_b64 v123, v[127:128], off
	scratch_load_b64 v[127:128], v122, off
	v_max_f64 v[123:124], v[4:5], v[4:5]
	v_min_f64 v[123:124], v[123:124], v[125:126]
	s_waitcnt vmcnt(0)
	s_delay_alu instid0(VALU_DEP_1) | instskip(SKIP_3) | instid1(VALU_DEP_1)
	v_add_f64 v[123:124], v[123:124], v[127:128]
	scratch_load_b64 v[127:128], v121, off
	scratch_store_b64 v122, v[123:124], off
	v_max_f64 v[122:123], v[6:7], v[6:7]
	v_min_f64 v[122:123], v[122:123], v[125:126]
	s_waitcnt vmcnt(0)
	s_delay_alu instid0(VALU_DEP_1) | instskip(SKIP_3) | instid1(VALU_DEP_1)
	v_add_f64 v[122:123], v[122:123], v[127:128]
	scratch_store_b64 v121, v[122:123], off
	scratch_load_b64 v[123:124], v120, off
	v_max_f64 v[121:122], v[8:9], v[8:9]
	v_min_f64 v[121:122], v[121:122], v[125:126]
	s_waitcnt vmcnt(0)
	s_delay_alu instid0(VALU_DEP_1) | instskip(SKIP_4) | instid1(VALU_DEP_1)
	v_add_f64 v[121:122], v[121:122], v[123:124]
	v_mov_b32_e32 v124, 0x100
	scratch_store_b64 v120, v[121:122], off
	scratch_load_b64 v[122:123], v119, off
	v_max_f64 v[120:121], v[10:11], v[10:11]
	v_min_f64 v[120:121], v[120:121], v[125:126]
	s_waitcnt vmcnt(0)
	s_delay_alu instid0(VALU_DEP_1) | instskip(SKIP_4) | instid1(VALU_DEP_1)
	v_add_f64 v[120:121], v[120:121], v[122:123]
	v_mov_b32_e32 v123, 0x108
	;; [unrolled: 8-line block ×27, first 2 shown]
	scratch_store_b64 v94, v[95:96], off
	scratch_load_b64 v[96:97], v93, off
	v_max_f64 v[94:95], v[62:63], v[62:63]
	v_min_f64 v[94:95], v[94:95], v[125:126]
	s_waitcnt vmcnt(0)
	s_delay_alu instid0(VALU_DEP_1)
	v_add_f64 v[94:95], v[94:95], v[96:97]
	v_mov_b32_e32 v97, 0x1d8
	v_mov_b32_e32 v96, 0x1e0
	scratch_store_b64 v93, v[94:95], off
	v_mov_b32_e32 v95, 0x1e8
	v_mov_b32_e32 v94, 0x1f0
	;; [unrolled: 1-line block ×3, first 2 shown]
	s_cbranch_vccnz .LBB145_47
; %bb.48:                               ;   in Loop: Header=BB145_34 Depth=1
	ds_load_2addr_b64 v[0:3], v89 offset0:3 offset1:19
	ds_load_2addr_b64 v[4:7], v89 offset0:35 offset1:51
	;; [unrolled: 1-line block ×12, first 2 shown]
	v_dual_mov_b32 v123, 8 :: v_dual_add_nc_u32 v64, 24, v91
	ds_load_2addr_b64 v[48:51], v92 offset0:131 offset1:147
	ds_load_2addr_b64 v[52:55], v92 offset0:163 offset1:179
	;; [unrolled: 1-line block ×4, first 2 shown]
	ds_load_2addr_stride64_b64 v[64:67], v64 offset1:4
	v_dual_mov_b32 v124, 0 :: v_dual_mov_b32 v121, 24
	v_dual_mov_b32 v122, 16 :: v_dual_mov_b32 v119, 40
	;; [unrolled: 1-line block ×5, first 2 shown]
	v_mov_b32_e32 v114, 0x50
	v_mov_b32_e32 v112, 0x60
	v_mov_b32_e32 v111, 0x68
	v_mov_b32_e32 v110, 0x70
	v_mov_b32_e32 v109, 0x78
	v_mov_b32_e32 v108, 0x80
	v_mov_b32_e32 v107, 0x88
	v_mov_b32_e32 v106, 0x90
	v_mov_b32_e32 v105, 0x98
	v_mov_b32_e32 v104, 0xa0
	v_mov_b32_e32 v103, 0xa8
	v_mov_b32_e32 v102, 0xb0
	v_mov_b32_e32 v101, 0xb8
	v_mov_b32_e32 v100, 0xc0
	v_mov_b32_e32 v99, 0xc8
	v_mov_b32_e32 v98, 0xd0
	v_mov_b32_e32 v97, 0xd8
	v_mov_b32_e32 v96, 0xe0
	v_mov_b32_e32 v95, 0xe8
	v_mov_b32_e32 v94, 0xf0
	v_mov_b32_e32 v93, 0xf8
	s_mov_b64 s[6:7], 0
	s_mov_b32 s23, -1
.LBB145_49:                             ;   Parent Loop BB145_34 Depth=1
                                        ; =>  This Inner Loop Header: Depth=2
	scratch_load_b64 v[129:130], v124, off
	s_cmp_eq_u32 s6, 1
	s_waitcnt lgkmcnt(16)
	v_max_f64 v[127:128], v[0:1], v[0:1]
	s_cselect_b32 vcc_lo, -1, 0
	s_mov_b64 s[6:7], 1
	s_waitcnt lgkmcnt(0)
	v_dual_cndmask_b32 v126, v65, v67 :: v_dual_cndmask_b32 v125, v64, v66
	s_and_b32 vcc_lo, exec_lo, s23
	s_mov_b32 s23, 0
	s_delay_alu instid0(VALU_DEP_1) | instskip(NEXT) | instid1(VALU_DEP_1)
	v_max_f64 v[125:126], v[125:126], v[125:126]
	v_min_f64 v[127:128], v[127:128], v[125:126]
	s_waitcnt vmcnt(0)
	s_delay_alu instid0(VALU_DEP_1) | instskip(SKIP_3) | instid1(VALU_DEP_1)
	v_add_f64 v[127:128], v[129:130], v[127:128]
	scratch_load_b64 v[129:130], v123, off
	scratch_store_b64 v124, v[127:128], off
	v_max_f64 v[127:128], v[2:3], v[2:3]
	v_min_f64 v[127:128], v[127:128], v[125:126]
	s_waitcnt vmcnt(0)
	s_delay_alu instid0(VALU_DEP_1) | instskip(SKIP_3) | instid1(VALU_DEP_1)
	v_add_f64 v[127:128], v[127:128], v[129:130]
	scratch_store_b64 v123, v[127:128], off
	scratch_load_b64 v[127:128], v122, off
	v_max_f64 v[123:124], v[4:5], v[4:5]
	v_min_f64 v[123:124], v[123:124], v[125:126]
	s_waitcnt vmcnt(0)
	s_delay_alu instid0(VALU_DEP_1) | instskip(SKIP_3) | instid1(VALU_DEP_1)
	v_add_f64 v[123:124], v[123:124], v[127:128]
	scratch_load_b64 v[127:128], v121, off
	scratch_store_b64 v122, v[123:124], off
	v_max_f64 v[122:123], v[6:7], v[6:7]
	v_min_f64 v[122:123], v[122:123], v[125:126]
	s_waitcnt vmcnt(0)
	s_delay_alu instid0(VALU_DEP_1) | instskip(SKIP_3) | instid1(VALU_DEP_1)
	v_add_f64 v[122:123], v[122:123], v[127:128]
	scratch_store_b64 v121, v[122:123], off
	scratch_load_b64 v[123:124], v120, off
	v_max_f64 v[121:122], v[8:9], v[8:9]
	v_min_f64 v[121:122], v[121:122], v[125:126]
	s_waitcnt vmcnt(0)
	s_delay_alu instid0(VALU_DEP_1) | instskip(SKIP_4) | instid1(VALU_DEP_1)
	v_add_f64 v[121:122], v[121:122], v[123:124]
	v_mov_b32_e32 v124, 0x100
	scratch_store_b64 v120, v[121:122], off
	scratch_load_b64 v[122:123], v119, off
	v_max_f64 v[120:121], v[10:11], v[10:11]
	v_min_f64 v[120:121], v[120:121], v[125:126]
	s_waitcnt vmcnt(0)
	s_delay_alu instid0(VALU_DEP_1) | instskip(SKIP_4) | instid1(VALU_DEP_1)
	v_add_f64 v[120:121], v[120:121], v[122:123]
	v_mov_b32_e32 v123, 0x108
	;; [unrolled: 8-line block ×27, first 2 shown]
	scratch_store_b64 v94, v[95:96], off
	scratch_load_b64 v[96:97], v93, off
	v_max_f64 v[94:95], v[62:63], v[62:63]
	v_min_f64 v[94:95], v[94:95], v[125:126]
	s_waitcnt vmcnt(0)
	s_delay_alu instid0(VALU_DEP_1)
	v_add_f64 v[94:95], v[94:95], v[96:97]
	v_mov_b32_e32 v97, 0x1d8
	v_mov_b32_e32 v96, 0x1e0
	scratch_store_b64 v93, v[94:95], off
	v_mov_b32_e32 v95, 0x1e8
	v_mov_b32_e32 v94, 0x1f0
	;; [unrolled: 1-line block ×3, first 2 shown]
	s_cbranch_vccnz .LBB145_49
; %bb.50:                               ;   in Loop: Header=BB145_34 Depth=1
	v_add3_u32 v0, v82, s20, 4
	ds_store_2addr_stride64_b64 v84, v[74:75], v[72:73] offset1:4
	v_mov_b32_e32 v72, 0
	ds_store_2addr_stride64_b64 v86, v[78:79], v[76:77] offset1:4
	s_waitcnt lgkmcnt(0)
	s_waitcnt_vscnt null, 0x0
	v_mad_u64_u32 v[1:2], null, v0, s16, 0
	v_cmp_le_i32_e32 vcc_lo, s42, v0
	s_barrier
	buffer_gl0_inv
	v_mov_b32_e32 v73, 0
	v_mad_u64_u32 v[3:4], null, v0, s17, v[2:3]
	s_delay_alu instid0(VALU_DEP_2) | instskip(NEXT) | instid1(VALU_DEP_2)
	v_dual_mov_b32 v75, v73 :: v_dual_mov_b32 v74, v72
	v_mov_b32_e32 v2, v3
	s_delay_alu instid0(VALU_DEP_1) | instskip(NEXT) | instid1(VALU_DEP_1)
	v_lshlrev_b64 v[1:2], 3, v[1:2]
	v_add_co_u32 v1, s6, s12, v1
	s_delay_alu instid0(VALU_DEP_1) | instskip(SKIP_1) | instid1(SALU_CYCLE_1)
	v_add_co_ci_u32_e64 v2, s6, s13, v2, s6
	s_or_b32 s6, s2, vcc_lo
	s_xor_b32 s6, s6, -1
	s_delay_alu instid0(SALU_CYCLE_1) | instskip(NEXT) | instid1(SALU_CYCLE_1)
	s_and_saveexec_b32 s7, s6
	s_xor_b32 s7, exec_lo, s7
	s_cbranch_execz .LBB145_52
; %bb.51:                               ;   in Loop: Header=BB145_34 Depth=1
	v_add_co_u32 v3, s6, v1, v68
	s_delay_alu instid0(VALU_DEP_1)
	v_add_co_ci_u32_e64 v4, s6, v2, v69, s6
	flat_load_b64 v[74:75], v[3:4]
.LBB145_52:                             ;   in Loop: Header=BB145_34 Depth=1
	s_or_b32 exec_lo, exec_lo, s7
	s_or_b32 s6, s3, vcc_lo
	s_delay_alu instid0(SALU_CYCLE_1) | instskip(NEXT) | instid1(SALU_CYCLE_1)
	s_xor_b32 s6, s6, -1
	s_and_saveexec_b32 s7, s6
	s_cbranch_execz .LBB145_54
; %bb.53:                               ;   in Loop: Header=BB145_34 Depth=1
	v_add_co_u32 v1, s6, v1, v68
	s_delay_alu instid0(VALU_DEP_1)
	v_add_co_ci_u32_e64 v2, s6, v2, v69, s6
	flat_load_b64 v[72:73], v[1:2] offset:512
.LBB145_54:                             ;   in Loop: Header=BB145_34 Depth=1
	s_or_b32 exec_lo, exec_lo, s7
	v_mad_u64_u32 v[1:2], null, v0, s18, 0
	v_mov_b32_e32 v76, 0
	v_mov_b32_e32 v77, 0
	s_delay_alu instid0(VALU_DEP_3) | instskip(NEXT) | instid1(VALU_DEP_2)
	v_mad_u64_u32 v[3:4], null, v0, s19, v[2:3]
	v_dual_mov_b32 v79, v77 :: v_dual_mov_b32 v78, v76
	s_delay_alu instid0(VALU_DEP_2) | instskip(NEXT) | instid1(VALU_DEP_1)
	v_mov_b32_e32 v2, v3
	v_lshlrev_b64 v[0:1], 3, v[1:2]
	s_delay_alu instid0(VALU_DEP_1) | instskip(NEXT) | instid1(VALU_DEP_1)
	v_add_co_u32 v0, s6, s10, v0
	v_add_co_ci_u32_e64 v1, s6, s11, v1, s6
	s_or_b32 s6, s4, vcc_lo
	s_delay_alu instid0(SALU_CYCLE_1) | instskip(NEXT) | instid1(SALU_CYCLE_1)
	s_xor_b32 s6, s6, -1
	s_and_saveexec_b32 s7, s6
	s_cbranch_execz .LBB145_56
; %bb.55:                               ;   in Loop: Header=BB145_34 Depth=1
	v_add_co_u32 v2, s6, v0, v70
	s_delay_alu instid0(VALU_DEP_1)
	v_add_co_ci_u32_e64 v3, s6, v1, v71, s6
	flat_load_b64 v[78:79], v[2:3]
.LBB145_56:                             ;   in Loop: Header=BB145_34 Depth=1
	s_or_b32 exec_lo, exec_lo, s7
	s_or_b32 s6, s5, vcc_lo
	s_delay_alu instid0(SALU_CYCLE_1) | instskip(NEXT) | instid1(SALU_CYCLE_1)
	s_xor_b32 s7, s6, -1
	s_and_saveexec_b32 s6, s7
	s_cbranch_execz .LBB145_58
; %bb.57:                               ;   in Loop: Header=BB145_34 Depth=1
	v_add_co_u32 v0, vcc_lo, v0, v70
	v_add_co_ci_u32_e32 v1, vcc_lo, v1, v71, vcc_lo
	flat_load_b64 v[76:77], v[0:1] offset:512
.LBB145_58:                             ;   in Loop: Header=BB145_34 Depth=1
	s_or_b32 exec_lo, exec_lo, s6
	v_dual_mov_b32 v124, 8 :: v_dual_add_nc_u32 v93, 0x800, v83
	ds_load_2addr_b64 v[0:3], v83 offset1:16
	ds_load_2addr_b64 v[4:7], v83 offset0:32 offset1:48
	ds_load_2addr_b64 v[8:11], v83 offset0:64 offset1:80
	;; [unrolled: 1-line block ×7, first 2 shown]
	ds_load_2addr_b64 v[32:35], v93 offset1:16
	ds_load_2addr_b64 v[36:39], v93 offset0:32 offset1:48
	ds_load_2addr_b64 v[40:43], v93 offset0:64 offset1:80
	;; [unrolled: 1-line block ×7, first 2 shown]
	ds_load_2addr_stride64_b64 v[64:67], v87 offset1:4
	v_dual_mov_b32 v125, 0 :: v_dual_mov_b32 v122, 24
	v_dual_mov_b32 v123, 16 :: v_dual_mov_b32 v120, 40
	;; [unrolled: 1-line block ×5, first 2 shown]
	v_mov_b32_e32 v115, 0x50
	v_mov_b32_e32 v113, 0x60
	;; [unrolled: 1-line block ×21, first 2 shown]
	s_mov_b64 s[6:7], 0
	s_mov_b32 s23, -1
.LBB145_59:                             ;   Parent Loop BB145_34 Depth=1
                                        ; =>  This Inner Loop Header: Depth=2
	scratch_load_b64 v[130:131], v125, off
	s_cmp_eq_u32 s6, 1
	s_waitcnt lgkmcnt(16)
	v_max_f64 v[128:129], v[0:1], v[0:1]
	s_cselect_b32 vcc_lo, -1, 0
	s_mov_b64 s[6:7], 1
	s_waitcnt lgkmcnt(0)
	v_dual_cndmask_b32 v127, v65, v67 :: v_dual_cndmask_b32 v126, v64, v66
	s_and_b32 vcc_lo, exec_lo, s23
	s_mov_b32 s23, 0
	s_delay_alu instid0(VALU_DEP_1) | instskip(NEXT) | instid1(VALU_DEP_1)
	v_max_f64 v[126:127], v[126:127], v[126:127]
	v_min_f64 v[128:129], v[128:129], v[126:127]
	s_waitcnt vmcnt(0)
	s_delay_alu instid0(VALU_DEP_1) | instskip(SKIP_3) | instid1(VALU_DEP_1)
	v_add_f64 v[128:129], v[130:131], v[128:129]
	scratch_load_b64 v[130:131], v124, off
	scratch_store_b64 v125, v[128:129], off
	v_max_f64 v[128:129], v[2:3], v[2:3]
	v_min_f64 v[128:129], v[128:129], v[126:127]
	s_waitcnt vmcnt(0)
	s_delay_alu instid0(VALU_DEP_1) | instskip(SKIP_3) | instid1(VALU_DEP_1)
	v_add_f64 v[128:129], v[128:129], v[130:131]
	scratch_store_b64 v124, v[128:129], off
	scratch_load_b64 v[128:129], v123, off
	v_max_f64 v[124:125], v[4:5], v[4:5]
	v_min_f64 v[124:125], v[124:125], v[126:127]
	s_waitcnt vmcnt(0)
	s_delay_alu instid0(VALU_DEP_1) | instskip(SKIP_3) | instid1(VALU_DEP_1)
	v_add_f64 v[124:125], v[124:125], v[128:129]
	scratch_load_b64 v[128:129], v122, off
	scratch_store_b64 v123, v[124:125], off
	v_max_f64 v[123:124], v[6:7], v[6:7]
	v_min_f64 v[123:124], v[123:124], v[126:127]
	s_waitcnt vmcnt(0)
	s_delay_alu instid0(VALU_DEP_1) | instskip(SKIP_3) | instid1(VALU_DEP_1)
	v_add_f64 v[123:124], v[123:124], v[128:129]
	scratch_store_b64 v122, v[123:124], off
	scratch_load_b64 v[124:125], v121, off
	v_max_f64 v[122:123], v[8:9], v[8:9]
	v_min_f64 v[122:123], v[122:123], v[126:127]
	s_waitcnt vmcnt(0)
	s_delay_alu instid0(VALU_DEP_1) | instskip(SKIP_4) | instid1(VALU_DEP_1)
	v_add_f64 v[122:123], v[122:123], v[124:125]
	v_mov_b32_e32 v125, 0x100
	scratch_store_b64 v121, v[122:123], off
	scratch_load_b64 v[123:124], v120, off
	v_max_f64 v[121:122], v[10:11], v[10:11]
	v_min_f64 v[121:122], v[121:122], v[126:127]
	s_waitcnt vmcnt(0)
	s_delay_alu instid0(VALU_DEP_1) | instskip(SKIP_4) | instid1(VALU_DEP_1)
	v_add_f64 v[121:122], v[121:122], v[123:124]
	v_mov_b32_e32 v124, 0x108
	;; [unrolled: 8-line block ×27, first 2 shown]
	scratch_store_b64 v95, v[96:97], off
	scratch_load_b64 v[97:98], v94, off
	v_max_f64 v[95:96], v[62:63], v[62:63]
	v_min_f64 v[95:96], v[95:96], v[126:127]
	s_waitcnt vmcnt(0)
	s_delay_alu instid0(VALU_DEP_1)
	v_add_f64 v[95:96], v[95:96], v[97:98]
	v_mov_b32_e32 v98, 0x1d8
	v_mov_b32_e32 v97, 0x1e0
	scratch_store_b64 v94, v[95:96], off
	v_mov_b32_e32 v96, 0x1e8
	v_mov_b32_e32 v95, 0x1f0
	;; [unrolled: 1-line block ×3, first 2 shown]
	s_cbranch_vccnz .LBB145_59
; %bb.60:                               ;   in Loop: Header=BB145_34 Depth=1
	ds_load_2addr_b64 v[0:3], v83 offset0:1 offset1:17
	ds_load_2addr_b64 v[4:7], v83 offset0:33 offset1:49
	;; [unrolled: 1-line block ×12, first 2 shown]
	v_dual_mov_b32 v125, 0 :: v_dual_add_nc_u32 v64, 8, v87
	ds_load_2addr_b64 v[48:51], v93 offset0:129 offset1:145
	ds_load_2addr_b64 v[52:55], v93 offset0:161 offset1:177
	ds_load_2addr_b64 v[56:59], v93 offset0:193 offset1:209
	ds_load_2addr_b64 v[60:63], v93 offset0:225 offset1:241
	ds_load_2addr_stride64_b64 v[64:67], v64 offset1:4
	v_dual_mov_b32 v124, 8 :: v_dual_mov_b32 v123, 16
	v_dual_mov_b32 v122, 24 :: v_dual_mov_b32 v121, 32
	;; [unrolled: 1-line block ×4, first 2 shown]
	v_mov_b32_e32 v116, 0x48
	v_mov_b32_e32 v115, 0x50
	v_mov_b32_e32 v114, 0x58
	v_mov_b32_e32 v113, 0x60
	v_mov_b32_e32 v112, 0x68
	v_mov_b32_e32 v111, 0x70
	v_mov_b32_e32 v110, 0x78
	v_mov_b32_e32 v109, 0x80
	v_mov_b32_e32 v108, 0x88
	v_mov_b32_e32 v107, 0x90
	v_mov_b32_e32 v106, 0x98
	v_mov_b32_e32 v105, 0xa0
	v_mov_b32_e32 v104, 0xa8
	v_mov_b32_e32 v103, 0xb0
	v_mov_b32_e32 v102, 0xb8
	v_mov_b32_e32 v101, 0xc0
	v_mov_b32_e32 v100, 0xc8
	v_mov_b32_e32 v99, 0xd0
	v_mov_b32_e32 v98, 0xd8
	v_mov_b32_e32 v97, 0xe0
	v_mov_b32_e32 v96, 0xe8
	v_mov_b32_e32 v95, 0xf0
	v_mov_b32_e32 v94, 0xf8
	s_mov_b64 s[6:7], 0
	s_mov_b32 s23, -1
.LBB145_61:                             ;   Parent Loop BB145_34 Depth=1
                                        ; =>  This Inner Loop Header: Depth=2
	scratch_load_b64 v[130:131], v125, off
	s_cmp_eq_u32 s6, 1
	s_waitcnt lgkmcnt(16)
	v_max_f64 v[128:129], v[0:1], v[0:1]
	s_cselect_b32 vcc_lo, -1, 0
	s_mov_b64 s[6:7], 1
	s_waitcnt lgkmcnt(0)
	v_dual_cndmask_b32 v127, v65, v67 :: v_dual_cndmask_b32 v126, v64, v66
	s_and_b32 vcc_lo, exec_lo, s23
	s_mov_b32 s23, 0
	s_delay_alu instid0(VALU_DEP_1) | instskip(NEXT) | instid1(VALU_DEP_1)
	v_max_f64 v[126:127], v[126:127], v[126:127]
	v_min_f64 v[128:129], v[128:129], v[126:127]
	s_waitcnt vmcnt(0)
	s_delay_alu instid0(VALU_DEP_1) | instskip(SKIP_3) | instid1(VALU_DEP_1)
	v_add_f64 v[128:129], v[130:131], v[128:129]
	scratch_load_b64 v[130:131], v124, off
	scratch_store_b64 v125, v[128:129], off
	v_max_f64 v[128:129], v[2:3], v[2:3]
	v_min_f64 v[128:129], v[128:129], v[126:127]
	s_waitcnt vmcnt(0)
	s_delay_alu instid0(VALU_DEP_1) | instskip(SKIP_3) | instid1(VALU_DEP_1)
	v_add_f64 v[128:129], v[128:129], v[130:131]
	scratch_store_b64 v124, v[128:129], off
	scratch_load_b64 v[128:129], v123, off
	v_max_f64 v[124:125], v[4:5], v[4:5]
	v_min_f64 v[124:125], v[124:125], v[126:127]
	s_waitcnt vmcnt(0)
	s_delay_alu instid0(VALU_DEP_1) | instskip(SKIP_3) | instid1(VALU_DEP_1)
	v_add_f64 v[124:125], v[124:125], v[128:129]
	scratch_load_b64 v[128:129], v122, off
	scratch_store_b64 v123, v[124:125], off
	v_max_f64 v[123:124], v[6:7], v[6:7]
	v_min_f64 v[123:124], v[123:124], v[126:127]
	s_waitcnt vmcnt(0)
	s_delay_alu instid0(VALU_DEP_1) | instskip(SKIP_3) | instid1(VALU_DEP_1)
	v_add_f64 v[123:124], v[123:124], v[128:129]
	scratch_store_b64 v122, v[123:124], off
	scratch_load_b64 v[124:125], v121, off
	v_max_f64 v[122:123], v[8:9], v[8:9]
	v_min_f64 v[122:123], v[122:123], v[126:127]
	s_waitcnt vmcnt(0)
	s_delay_alu instid0(VALU_DEP_1) | instskip(SKIP_4) | instid1(VALU_DEP_1)
	v_add_f64 v[122:123], v[122:123], v[124:125]
	v_mov_b32_e32 v125, 0x100
	scratch_store_b64 v121, v[122:123], off
	scratch_load_b64 v[123:124], v120, off
	v_max_f64 v[121:122], v[10:11], v[10:11]
	v_min_f64 v[121:122], v[121:122], v[126:127]
	s_waitcnt vmcnt(0)
	s_delay_alu instid0(VALU_DEP_1) | instskip(SKIP_4) | instid1(VALU_DEP_1)
	v_add_f64 v[121:122], v[121:122], v[123:124]
	v_mov_b32_e32 v124, 0x108
	;; [unrolled: 8-line block ×27, first 2 shown]
	scratch_store_b64 v95, v[96:97], off
	scratch_load_b64 v[97:98], v94, off
	v_max_f64 v[95:96], v[62:63], v[62:63]
	v_min_f64 v[95:96], v[95:96], v[126:127]
	s_waitcnt vmcnt(0)
	s_delay_alu instid0(VALU_DEP_1)
	v_add_f64 v[95:96], v[95:96], v[97:98]
	v_mov_b32_e32 v98, 0x1d8
	v_mov_b32_e32 v97, 0x1e0
	scratch_store_b64 v94, v[95:96], off
	v_mov_b32_e32 v96, 0x1e8
	v_mov_b32_e32 v95, 0x1f0
	;; [unrolled: 1-line block ×3, first 2 shown]
	s_cbranch_vccnz .LBB145_61
; %bb.62:                               ;   in Loop: Header=BB145_34 Depth=1
	ds_load_2addr_b64 v[0:3], v83 offset0:2 offset1:18
	ds_load_2addr_b64 v[4:7], v83 offset0:34 offset1:50
	;; [unrolled: 1-line block ×12, first 2 shown]
	v_dual_mov_b32 v125, 0 :: v_dual_add_nc_u32 v64, 16, v87
	ds_load_2addr_b64 v[48:51], v93 offset0:130 offset1:146
	ds_load_2addr_b64 v[52:55], v93 offset0:162 offset1:178
	;; [unrolled: 1-line block ×4, first 2 shown]
	ds_load_2addr_stride64_b64 v[64:67], v64 offset1:4
	v_dual_mov_b32 v124, 8 :: v_dual_mov_b32 v123, 16
	v_dual_mov_b32 v122, 24 :: v_dual_mov_b32 v121, 32
	;; [unrolled: 1-line block ×4, first 2 shown]
	v_mov_b32_e32 v116, 0x48
	v_mov_b32_e32 v115, 0x50
	;; [unrolled: 1-line block ×23, first 2 shown]
	s_mov_b64 s[6:7], 0
	s_mov_b32 s23, -1
.LBB145_63:                             ;   Parent Loop BB145_34 Depth=1
                                        ; =>  This Inner Loop Header: Depth=2
	scratch_load_b64 v[130:131], v125, off
	s_cmp_eq_u32 s6, 1
	s_waitcnt lgkmcnt(16)
	v_max_f64 v[128:129], v[0:1], v[0:1]
	s_cselect_b32 vcc_lo, -1, 0
	s_mov_b64 s[6:7], 1
	s_waitcnt lgkmcnt(0)
	v_dual_cndmask_b32 v127, v65, v67 :: v_dual_cndmask_b32 v126, v64, v66
	s_and_b32 vcc_lo, exec_lo, s23
	s_mov_b32 s23, 0
	s_delay_alu instid0(VALU_DEP_1) | instskip(NEXT) | instid1(VALU_DEP_1)
	v_max_f64 v[126:127], v[126:127], v[126:127]
	v_min_f64 v[128:129], v[128:129], v[126:127]
	s_waitcnt vmcnt(0)
	s_delay_alu instid0(VALU_DEP_1) | instskip(SKIP_3) | instid1(VALU_DEP_1)
	v_add_f64 v[128:129], v[130:131], v[128:129]
	scratch_load_b64 v[130:131], v124, off
	scratch_store_b64 v125, v[128:129], off
	v_max_f64 v[128:129], v[2:3], v[2:3]
	v_min_f64 v[128:129], v[128:129], v[126:127]
	s_waitcnt vmcnt(0)
	s_delay_alu instid0(VALU_DEP_1) | instskip(SKIP_3) | instid1(VALU_DEP_1)
	v_add_f64 v[128:129], v[128:129], v[130:131]
	scratch_store_b64 v124, v[128:129], off
	scratch_load_b64 v[128:129], v123, off
	v_max_f64 v[124:125], v[4:5], v[4:5]
	v_min_f64 v[124:125], v[124:125], v[126:127]
	s_waitcnt vmcnt(0)
	s_delay_alu instid0(VALU_DEP_1) | instskip(SKIP_3) | instid1(VALU_DEP_1)
	v_add_f64 v[124:125], v[124:125], v[128:129]
	scratch_load_b64 v[128:129], v122, off
	scratch_store_b64 v123, v[124:125], off
	v_max_f64 v[123:124], v[6:7], v[6:7]
	v_min_f64 v[123:124], v[123:124], v[126:127]
	s_waitcnt vmcnt(0)
	s_delay_alu instid0(VALU_DEP_1) | instskip(SKIP_3) | instid1(VALU_DEP_1)
	v_add_f64 v[123:124], v[123:124], v[128:129]
	scratch_store_b64 v122, v[123:124], off
	scratch_load_b64 v[124:125], v121, off
	v_max_f64 v[122:123], v[8:9], v[8:9]
	v_min_f64 v[122:123], v[122:123], v[126:127]
	s_waitcnt vmcnt(0)
	s_delay_alu instid0(VALU_DEP_1) | instskip(SKIP_4) | instid1(VALU_DEP_1)
	v_add_f64 v[122:123], v[122:123], v[124:125]
	v_mov_b32_e32 v125, 0x100
	scratch_store_b64 v121, v[122:123], off
	scratch_load_b64 v[123:124], v120, off
	v_max_f64 v[121:122], v[10:11], v[10:11]
	v_min_f64 v[121:122], v[121:122], v[126:127]
	s_waitcnt vmcnt(0)
	s_delay_alu instid0(VALU_DEP_1) | instskip(SKIP_4) | instid1(VALU_DEP_1)
	v_add_f64 v[121:122], v[121:122], v[123:124]
	v_mov_b32_e32 v124, 0x108
	;; [unrolled: 8-line block ×27, first 2 shown]
	scratch_store_b64 v95, v[96:97], off
	scratch_load_b64 v[97:98], v94, off
	v_max_f64 v[95:96], v[62:63], v[62:63]
	v_min_f64 v[95:96], v[95:96], v[126:127]
	s_waitcnt vmcnt(0)
	s_delay_alu instid0(VALU_DEP_1)
	v_add_f64 v[95:96], v[95:96], v[97:98]
	v_mov_b32_e32 v98, 0x1d8
	v_mov_b32_e32 v97, 0x1e0
	scratch_store_b64 v94, v[95:96], off
	v_mov_b32_e32 v96, 0x1e8
	v_mov_b32_e32 v95, 0x1f0
	;; [unrolled: 1-line block ×3, first 2 shown]
	s_cbranch_vccnz .LBB145_63
; %bb.64:                               ;   in Loop: Header=BB145_34 Depth=1
	ds_load_2addr_b64 v[0:3], v83 offset0:3 offset1:19
	ds_load_2addr_b64 v[4:7], v83 offset0:35 offset1:51
	;; [unrolled: 1-line block ×12, first 2 shown]
	v_dual_mov_b32 v123, 8 :: v_dual_add_nc_u32 v64, 24, v87
	ds_load_2addr_b64 v[48:51], v93 offset0:131 offset1:147
	ds_load_2addr_b64 v[52:55], v93 offset0:163 offset1:179
	;; [unrolled: 1-line block ×4, first 2 shown]
	ds_load_2addr_stride64_b64 v[64:67], v64 offset1:4
	v_dual_mov_b32 v124, 0 :: v_dual_mov_b32 v121, 24
	v_dual_mov_b32 v122, 16 :: v_dual_mov_b32 v119, 40
	;; [unrolled: 1-line block ×5, first 2 shown]
	v_mov_b32_e32 v114, 0x50
	v_mov_b32_e32 v112, 0x60
	;; [unrolled: 1-line block ×21, first 2 shown]
	s_mov_b64 s[6:7], 0
	s_mov_b32 s23, -1
.LBB145_65:                             ;   Parent Loop BB145_34 Depth=1
                                        ; =>  This Inner Loop Header: Depth=2
	scratch_load_b64 v[129:130], v124, off
	s_cmp_eq_u32 s6, 1
	s_waitcnt lgkmcnt(16)
	v_max_f64 v[127:128], v[0:1], v[0:1]
	s_cselect_b32 vcc_lo, -1, 0
	s_mov_b64 s[6:7], 1
	s_waitcnt lgkmcnt(0)
	v_dual_cndmask_b32 v126, v65, v67 :: v_dual_cndmask_b32 v125, v64, v66
	s_and_b32 vcc_lo, exec_lo, s23
	s_mov_b32 s23, 0
	s_delay_alu instid0(VALU_DEP_1) | instskip(NEXT) | instid1(VALU_DEP_1)
	v_max_f64 v[125:126], v[125:126], v[125:126]
	v_min_f64 v[127:128], v[127:128], v[125:126]
	s_waitcnt vmcnt(0)
	s_delay_alu instid0(VALU_DEP_1) | instskip(SKIP_3) | instid1(VALU_DEP_1)
	v_add_f64 v[127:128], v[129:130], v[127:128]
	scratch_load_b64 v[129:130], v123, off
	scratch_store_b64 v124, v[127:128], off
	v_max_f64 v[127:128], v[2:3], v[2:3]
	v_min_f64 v[127:128], v[127:128], v[125:126]
	s_waitcnt vmcnt(0)
	s_delay_alu instid0(VALU_DEP_1) | instskip(SKIP_3) | instid1(VALU_DEP_1)
	v_add_f64 v[127:128], v[127:128], v[129:130]
	scratch_store_b64 v123, v[127:128], off
	scratch_load_b64 v[127:128], v122, off
	v_max_f64 v[123:124], v[4:5], v[4:5]
	v_min_f64 v[123:124], v[123:124], v[125:126]
	s_waitcnt vmcnt(0)
	s_delay_alu instid0(VALU_DEP_1) | instskip(SKIP_3) | instid1(VALU_DEP_1)
	v_add_f64 v[123:124], v[123:124], v[127:128]
	scratch_load_b64 v[127:128], v121, off
	scratch_store_b64 v122, v[123:124], off
	v_max_f64 v[122:123], v[6:7], v[6:7]
	v_min_f64 v[122:123], v[122:123], v[125:126]
	s_waitcnt vmcnt(0)
	s_delay_alu instid0(VALU_DEP_1) | instskip(SKIP_3) | instid1(VALU_DEP_1)
	v_add_f64 v[122:123], v[122:123], v[127:128]
	scratch_store_b64 v121, v[122:123], off
	scratch_load_b64 v[123:124], v120, off
	v_max_f64 v[121:122], v[8:9], v[8:9]
	v_min_f64 v[121:122], v[121:122], v[125:126]
	s_waitcnt vmcnt(0)
	s_delay_alu instid0(VALU_DEP_1) | instskip(SKIP_4) | instid1(VALU_DEP_1)
	v_add_f64 v[121:122], v[121:122], v[123:124]
	v_mov_b32_e32 v124, 0x100
	scratch_store_b64 v120, v[121:122], off
	scratch_load_b64 v[122:123], v119, off
	v_max_f64 v[120:121], v[10:11], v[10:11]
	v_min_f64 v[120:121], v[120:121], v[125:126]
	s_waitcnt vmcnt(0)
	s_delay_alu instid0(VALU_DEP_1) | instskip(SKIP_4) | instid1(VALU_DEP_1)
	v_add_f64 v[120:121], v[120:121], v[122:123]
	v_mov_b32_e32 v123, 0x108
	;; [unrolled: 8-line block ×27, first 2 shown]
	scratch_store_b64 v94, v[95:96], off
	scratch_load_b64 v[96:97], v93, off
	v_max_f64 v[94:95], v[62:63], v[62:63]
	v_min_f64 v[94:95], v[94:95], v[125:126]
	s_waitcnt vmcnt(0)
	s_delay_alu instid0(VALU_DEP_1)
	v_add_f64 v[94:95], v[94:95], v[96:97]
	v_mov_b32_e32 v97, 0x1d8
	v_mov_b32_e32 v96, 0x1e0
	scratch_store_b64 v93, v[94:95], off
	v_mov_b32_e32 v95, 0x1e8
	v_mov_b32_e32 v94, 0x1f0
	;; [unrolled: 1-line block ×3, first 2 shown]
	s_cbranch_vccnz .LBB145_65
; %bb.66:                               ;   in Loop: Header=BB145_34 Depth=1
	s_add_i32 s22, s22, 8
	s_add_i32 s20, s20, 8
	s_cmp_ge_i32 s22, s21
	ds_store_2addr_stride64_b64 v88, v[74:75], v[72:73] offset1:4
	ds_store_2addr_stride64_b64 v90, v[78:79], v[76:77] offset1:4
	s_waitcnt lgkmcnt(0)
	s_waitcnt_vscnt null, 0x0
	s_barrier
	buffer_gl0_inv
	s_cbranch_scc0 .LBB145_34
.LBB145_67:
	v_dual_mov_b32 v71, 8 :: v_dual_add_nc_u32 v28, 0x1000, v83
	v_dual_mov_b32 v75, 40 :: v_dual_add_nc_u32 v60, 0x1800, v83
	;; [unrolled: 1-line block ×3, first 2 shown]
	ds_load_2addr_b64 v[0:3], v28 offset1:16
	ds_load_2addr_b64 v[4:7], v28 offset0:32 offset1:48
	ds_load_2addr_b64 v[8:11], v28 offset0:64 offset1:80
	;; [unrolled: 1-line block ×7, first 2 shown]
	ds_load_2addr_b64 v[32:35], v60 offset1:16
	ds_load_2addr_b64 v[36:39], v60 offset0:32 offset1:48
	ds_load_2addr_b64 v[40:43], v60 offset0:64 offset1:80
	;; [unrolled: 1-line block ×7, first 2 shown]
	ds_load_2addr_stride64_b64 v[64:67], v85 offset0:24 offset1:28
	v_dual_mov_b32 v70, 0 :: v_dual_add_nc_u32 v69, 0x3000, v85
	v_dual_mov_b32 v72, 16 :: v_dual_mov_b32 v77, 56
	v_dual_mov_b32 v74, 32 :: v_dual_mov_b32 v79, 0x48
	v_dual_mov_b32 v76, 48 :: v_dual_mov_b32 v83, 0x58
	v_dual_mov_b32 v78, 64 :: v_dual_mov_b32 v85, 0x68
	v_mov_b32_e32 v82, 0x50
	v_mov_b32_e32 v84, 0x60
	;; [unrolled: 1-line block ×20, first 2 shown]
	s_mov_b64 s[2:3], 0
	s_mov_b32 s4, -1
.LBB145_68:                             ; =>This Inner Loop Header: Depth=1
	scratch_load_b64 v[104:105], v70, off
	scratch_load_b64 v[106:107], v71, off
	;; [unrolled: 1-line block ×32, first 2 shown]
	s_cmp_eq_u32 s2, 1
	s_waitcnt lgkmcnt(16)
	v_max_f64 v[170:171], v[0:1], v[0:1]
	s_cselect_b32 vcc_lo, -1, 0
	v_max_f64 v[172:173], v[2:3], v[2:3]
	s_waitcnt lgkmcnt(0)
	v_dual_cndmask_b32 v169, v65, v67 :: v_dual_cndmask_b32 v168, v64, v66
	v_max_f64 v[174:175], v[4:5], v[4:5]
	v_max_f64 v[176:177], v[6:7], v[6:7]
	;; [unrolled: 1-line block ×31, first 2 shown]
	s_mov_b64 s[2:3], 1
	s_and_b32 vcc_lo, exec_lo, s4
	s_mov_b32 s4, 0
	v_min_f64 v[170:171], v[170:171], v[168:169]
	v_min_f64 v[172:173], v[172:173], v[168:169]
	;; [unrolled: 1-line block ×32, first 2 shown]
	s_waitcnt vmcnt(31)
	v_add_f64 v[104:105], v[104:105], v[170:171]
	s_waitcnt vmcnt(30)
	v_add_f64 v[106:107], v[172:173], v[106:107]
	s_waitcnt vmcnt(29)
	v_add_f64 v[108:109], v[174:175], v[108:109]
	s_waitcnt vmcnt(28)
	v_add_f64 v[110:111], v[176:177], v[110:111]
	s_waitcnt vmcnt(27)
	v_add_f64 v[112:113], v[178:179], v[112:113]
	s_waitcnt vmcnt(26)
	v_add_f64 v[114:115], v[180:181], v[114:115]
	s_waitcnt vmcnt(25)
	v_add_f64 v[116:117], v[182:183], v[116:117]
	s_waitcnt vmcnt(24)
	v_add_f64 v[118:119], v[184:185], v[118:119]
	s_waitcnt vmcnt(23)
	v_add_f64 v[120:121], v[186:187], v[120:121]
	s_waitcnt vmcnt(22)
	v_add_f64 v[122:123], v[188:189], v[122:123]
	s_waitcnt vmcnt(21)
	v_add_f64 v[124:125], v[190:191], v[124:125]
	s_waitcnt vmcnt(20)
	v_add_f64 v[126:127], v[192:193], v[126:127]
	s_waitcnt vmcnt(19)
	v_add_f64 v[128:129], v[194:195], v[128:129]
	s_waitcnt vmcnt(18)
	v_add_f64 v[130:131], v[196:197], v[130:131]
	s_waitcnt vmcnt(17)
	v_add_f64 v[132:133], v[198:199], v[132:133]
	s_waitcnt vmcnt(16)
	v_add_f64 v[134:135], v[200:201], v[134:135]
	s_waitcnt vmcnt(15)
	v_add_f64 v[136:137], v[202:203], v[136:137]
	s_waitcnt vmcnt(14)
	v_add_f64 v[138:139], v[204:205], v[138:139]
	s_waitcnt vmcnt(13)
	v_add_f64 v[140:141], v[206:207], v[140:141]
	s_waitcnt vmcnt(12)
	v_add_f64 v[142:143], v[208:209], v[142:143]
	s_waitcnt vmcnt(11)
	v_add_f64 v[144:145], v[210:211], v[144:145]
	s_waitcnt vmcnt(10)
	v_add_f64 v[146:147], v[212:213], v[146:147]
	s_waitcnt vmcnt(9)
	v_add_f64 v[148:149], v[214:215], v[148:149]
	s_waitcnt vmcnt(8)
	v_add_f64 v[150:151], v[216:217], v[150:151]
	s_waitcnt vmcnt(7)
	v_add_f64 v[152:153], v[218:219], v[152:153]
	s_waitcnt vmcnt(6)
	v_add_f64 v[154:155], v[220:221], v[154:155]
	s_waitcnt vmcnt(5)
	v_add_f64 v[156:157], v[222:223], v[156:157]
	s_waitcnt vmcnt(4)
	v_add_f64 v[158:159], v[224:225], v[158:159]
	s_waitcnt vmcnt(3)
	v_add_f64 v[160:161], v[226:227], v[160:161]
	s_waitcnt vmcnt(2)
	v_add_f64 v[162:163], v[228:229], v[162:163]
	s_waitcnt vmcnt(1)
	v_add_f64 v[164:165], v[230:231], v[164:165]
	s_waitcnt vmcnt(0)
	v_add_f64 v[166:167], v[168:169], v[166:167]
	scratch_store_b64 v70, v[104:105], off
	scratch_store_b64 v71, v[106:107], off
	;; [unrolled: 1-line block ×32, first 2 shown]
	v_mov_b32_e32 v70, 0x100
	v_mov_b32_e32 v71, 0x108
	;; [unrolled: 1-line block ×32, first 2 shown]
	s_cbranch_vccnz .LBB145_68
; %bb.69:
	v_dual_mov_b32 v71, 8 :: v_dual_add_nc_u32 v60, 0x800, v68
	ds_load_2addr_b64 v[0:3], v68 offset0:1 offset1:17
	ds_load_2addr_b64 v[4:7], v68 offset0:33 offset1:49
	;; [unrolled: 1-line block ×12, first 2 shown]
	v_dual_mov_b32 v73, 24 :: v_dual_add_nc_u32 v64, 8, v69
	ds_load_2addr_b64 v[48:51], v60 offset0:129 offset1:145
	ds_load_2addr_b64 v[52:55], v60 offset0:161 offset1:177
	ds_load_2addr_b64 v[56:59], v60 offset0:193 offset1:209
	ds_load_2addr_b64 v[60:63], v60 offset0:225 offset1:241
	ds_load_2addr_stride64_b64 v[64:67], v64 offset1:4
	v_dual_mov_b32 v70, 0 :: v_dual_mov_b32 v75, 40
	v_dual_mov_b32 v72, 16 :: v_dual_mov_b32 v77, 56
	;; [unrolled: 1-line block ×5, first 2 shown]
	v_mov_b32_e32 v82, 0x50
	v_mov_b32_e32 v84, 0x60
	;; [unrolled: 1-line block ×20, first 2 shown]
	s_mov_b64 s[2:3], 0
	s_mov_b32 s4, -1
.LBB145_70:                             ; =>This Inner Loop Header: Depth=1
	scratch_load_b64 v[104:105], v70, off
	scratch_load_b64 v[106:107], v71, off
	;; [unrolled: 1-line block ×32, first 2 shown]
	s_cmp_eq_u32 s2, 1
	s_waitcnt lgkmcnt(16)
	v_max_f64 v[170:171], v[0:1], v[0:1]
	s_cselect_b32 vcc_lo, -1, 0
	v_max_f64 v[172:173], v[2:3], v[2:3]
	s_waitcnt lgkmcnt(0)
	v_dual_cndmask_b32 v169, v65, v67 :: v_dual_cndmask_b32 v168, v64, v66
	v_max_f64 v[174:175], v[4:5], v[4:5]
	v_max_f64 v[176:177], v[6:7], v[6:7]
	;; [unrolled: 1-line block ×31, first 2 shown]
	s_mov_b64 s[2:3], 1
	s_and_b32 vcc_lo, exec_lo, s4
	s_mov_b32 s4, 0
	v_min_f64 v[170:171], v[170:171], v[168:169]
	v_min_f64 v[172:173], v[172:173], v[168:169]
	;; [unrolled: 1-line block ×32, first 2 shown]
	s_waitcnt vmcnt(31)
	v_add_f64 v[104:105], v[104:105], v[170:171]
	s_waitcnt vmcnt(30)
	v_add_f64 v[106:107], v[172:173], v[106:107]
	;; [unrolled: 2-line block ×32, first 2 shown]
	scratch_store_b64 v70, v[104:105], off
	scratch_store_b64 v71, v[106:107], off
	;; [unrolled: 1-line block ×32, first 2 shown]
	v_mov_b32_e32 v70, 0x100
	v_mov_b32_e32 v71, 0x108
	;; [unrolled: 1-line block ×32, first 2 shown]
	s_cbranch_vccnz .LBB145_70
; %bb.71:
	v_dual_mov_b32 v71, 8 :: v_dual_add_nc_u32 v60, 0x800, v68
	ds_load_2addr_b64 v[0:3], v68 offset0:2 offset1:18
	ds_load_2addr_b64 v[4:7], v68 offset0:34 offset1:50
	;; [unrolled: 1-line block ×12, first 2 shown]
	v_dual_mov_b32 v73, 24 :: v_dual_add_nc_u32 v64, 16, v69
	ds_load_2addr_b64 v[48:51], v60 offset0:130 offset1:146
	ds_load_2addr_b64 v[52:55], v60 offset0:162 offset1:178
	;; [unrolled: 1-line block ×4, first 2 shown]
	ds_load_2addr_stride64_b64 v[64:67], v64 offset1:4
	v_dual_mov_b32 v70, 0 :: v_dual_mov_b32 v75, 40
	v_dual_mov_b32 v72, 16 :: v_dual_mov_b32 v77, 56
	;; [unrolled: 1-line block ×5, first 2 shown]
	v_mov_b32_e32 v82, 0x50
	v_mov_b32_e32 v84, 0x60
	;; [unrolled: 1-line block ×20, first 2 shown]
	s_mov_b64 s[2:3], 0
	s_mov_b32 s4, -1
.LBB145_72:                             ; =>This Inner Loop Header: Depth=1
	scratch_load_b64 v[104:105], v70, off
	scratch_load_b64 v[106:107], v71, off
	;; [unrolled: 1-line block ×32, first 2 shown]
	s_cmp_eq_u32 s2, 1
	s_waitcnt lgkmcnt(16)
	v_max_f64 v[170:171], v[0:1], v[0:1]
	s_cselect_b32 vcc_lo, -1, 0
	v_max_f64 v[172:173], v[2:3], v[2:3]
	s_waitcnt lgkmcnt(0)
	v_dual_cndmask_b32 v169, v65, v67 :: v_dual_cndmask_b32 v168, v64, v66
	v_max_f64 v[174:175], v[4:5], v[4:5]
	v_max_f64 v[176:177], v[6:7], v[6:7]
	;; [unrolled: 1-line block ×31, first 2 shown]
	s_mov_b64 s[2:3], 1
	s_and_b32 vcc_lo, exec_lo, s4
	s_mov_b32 s4, 0
	v_min_f64 v[170:171], v[170:171], v[168:169]
	v_min_f64 v[172:173], v[172:173], v[168:169]
	;; [unrolled: 1-line block ×32, first 2 shown]
	s_waitcnt vmcnt(31)
	v_add_f64 v[104:105], v[104:105], v[170:171]
	s_waitcnt vmcnt(30)
	v_add_f64 v[106:107], v[172:173], v[106:107]
	;; [unrolled: 2-line block ×32, first 2 shown]
	scratch_store_b64 v70, v[104:105], off
	scratch_store_b64 v71, v[106:107], off
	;; [unrolled: 1-line block ×32, first 2 shown]
	v_mov_b32_e32 v70, 0x100
	v_mov_b32_e32 v71, 0x108
	;; [unrolled: 1-line block ×32, first 2 shown]
	s_cbranch_vccnz .LBB145_72
; %bb.73:
	v_add_nc_u32_e32 v60, 0x800, v68
	ds_load_2addr_b64 v[0:3], v68 offset0:3 offset1:19
	ds_load_2addr_b64 v[4:7], v68 offset0:35 offset1:51
	;; [unrolled: 1-line block ×4, first 2 shown]
	v_dual_mov_b32 v71, 24 :: v_dual_add_nc_u32 v64, 24, v69
	v_mov_b32_e32 v69, 8
	ds_load_2addr_b64 v[16:19], v68 offset0:131 offset1:147
	ds_load_2addr_b64 v[20:23], v68 offset0:163 offset1:179
	;; [unrolled: 1-line block ×12, first 2 shown]
	ds_load_2addr_stride64_b64 v[64:67], v64 offset1:4
	v_dual_mov_b32 v68, 0 :: v_dual_mov_b32 v73, 40
	v_dual_mov_b32 v70, 16 :: v_dual_mov_b32 v75, 56
	;; [unrolled: 1-line block ×5, first 2 shown]
	v_mov_b32_e32 v78, 0x50
	v_mov_b32_e32 v82, 0x60
	;; [unrolled: 1-line block ×20, first 2 shown]
	s_mov_b64 s[2:3], 0
	s_mov_b32 s4, -1
.LBB145_74:                             ; =>This Inner Loop Header: Depth=1
	scratch_load_b64 v[102:103], v68, off
	scratch_load_b64 v[104:105], v69, off
	;; [unrolled: 1-line block ×32, first 2 shown]
	s_cmp_eq_u32 s2, 1
	s_waitcnt lgkmcnt(16)
	v_max_f64 v[168:169], v[0:1], v[0:1]
	s_cselect_b32 vcc_lo, -1, 0
	v_max_f64 v[170:171], v[2:3], v[2:3]
	s_waitcnt lgkmcnt(0)
	v_dual_cndmask_b32 v167, v65, v67 :: v_dual_cndmask_b32 v166, v64, v66
	v_max_f64 v[172:173], v[4:5], v[4:5]
	v_max_f64 v[174:175], v[6:7], v[6:7]
	;; [unrolled: 1-line block ×31, first 2 shown]
	s_mov_b64 s[2:3], 1
	s_and_b32 vcc_lo, exec_lo, s4
	s_mov_b32 s4, 0
	v_min_f64 v[168:169], v[168:169], v[166:167]
	v_min_f64 v[170:171], v[170:171], v[166:167]
	;; [unrolled: 1-line block ×32, first 2 shown]
	s_waitcnt vmcnt(31)
	v_add_f64 v[102:103], v[102:103], v[168:169]
	s_waitcnt vmcnt(30)
	v_add_f64 v[104:105], v[170:171], v[104:105]
	;; [unrolled: 2-line block ×32, first 2 shown]
	scratch_store_b64 v68, v[102:103], off
	scratch_store_b64 v69, v[104:105], off
	;; [unrolled: 1-line block ×32, first 2 shown]
	v_mov_b32_e32 v68, 0x100
	v_mov_b32_e32 v69, 0x108
	;; [unrolled: 1-line block ×32, first 2 shown]
	s_cbranch_vccnz .LBB145_74
; %bb.75:
	s_clause 0x2
	s_load_b32 s42, s[0:1], 0x58
	s_load_b32 s37, s[0:1], 0x70
	s_load_b64 s[2:3], s[0:1], 0x78
	v_add_nc_u32_e32 v71, s15, v81
	v_add_nc_u32_e32 v0, s14, v80
	v_cndmask_b32_e64 v70, 0, 1, s36
	s_delay_alu instid0(VALU_DEP_3) | instskip(NEXT) | instid1(VALU_DEP_3)
	v_cmp_gt_i32_e64 s11, s41, v71
	v_cmp_gt_i32_e64 s0, s40, v0
	s_waitcnt lgkmcnt(0)
	v_mad_i64_i32 v[1:2], null, v71, s42, 0
	v_mad_i64_i32 v[3:4], null, v71, s37, 0
	s_lshl_b64 s[2:3], s[2:3], 3
	s_delay_alu instid0(SALU_CYCLE_1) | instskip(SKIP_1) | instid1(VALU_DEP_2)
	s_add_u32 s43, s8, s2
	s_addc_u32 s44, s9, s3
	v_lshlrev_b64 v[5:6], 3, v[1:2]
	v_ashrrev_i32_e32 v1, 31, v0
	s_delay_alu instid0(VALU_DEP_3) | instskip(SKIP_1) | instid1(VALU_DEP_3)
	v_lshlrev_b64 v[2:3], 3, v[3:4]
	s_and_b32 s1, s11, s0
	v_add_co_u32 v68, vcc_lo, s34, v5
	s_delay_alu instid0(VALU_DEP_4) | instskip(NEXT) | instid1(VALU_DEP_3)
	v_add_co_ci_u32_e32 v69, vcc_lo, s35, v6, vcc_lo
	v_add_co_u32 v72, vcc_lo, s43, v2
	s_delay_alu instid0(VALU_DEP_4) | instskip(SKIP_1) | instid1(SALU_CYCLE_1)
	v_add_co_ci_u32_e32 v73, vcc_lo, s44, v3, vcc_lo
	s_and_saveexec_b32 s2, s1
	s_xor_b32 s1, exec_lo, s2
	s_cbranch_execz .LBB145_80
; %bb.76:
	scratch_load_b64 v[2:3], off, off
	v_lshlrev_b64 v[4:5], 3, v[0:1]
	s_and_not1_b32 vcc_lo, exec_lo, s36
	s_cbranch_vccnz .LBB145_78
; %bb.77:
	s_delay_alu instid0(VALU_DEP_1) | instskip(NEXT) | instid1(VALU_DEP_2)
	v_add_co_u32 v6, vcc_lo, v68, v4
	v_add_co_ci_u32_e32 v7, vcc_lo, v69, v5, vcc_lo
	flat_load_b64 v[6:7], v[6:7]
	s_waitcnt vmcnt(0) lgkmcnt(0)
	v_mul_f64 v[6:7], v[6:7], s[38:39]
	s_branch .LBB145_79
.LBB145_78:
	v_mov_b32_e32 v6, 0
	v_mov_b32_e32 v7, 0
.LBB145_79:
	s_waitcnt vmcnt(0)
	s_delay_alu instid0(VALU_DEP_1)
	v_add_f64 v[2:3], v[2:3], v[6:7]
	v_add_co_u32 v4, vcc_lo, v72, v4
	v_add_co_ci_u32_e32 v5, vcc_lo, v73, v5, vcc_lo
	global_store_b64 v[4:5], v[2:3], off
.LBB145_80:
	s_or_b32 exec_lo, exec_lo, s1
	v_add_nc_u32_e32 v2, 4, v0
	s_delay_alu instid0(VALU_DEP_1) | instskip(SKIP_1) | instid1(VALU_DEP_2)
	v_cmp_gt_i32_e64 s1, s40, v2
	v_ashrrev_i32_e32 v3, 31, v2
	s_and_b32 s3, s11, s1
	s_delay_alu instid0(SALU_CYCLE_1)
	s_and_saveexec_b32 s2, s3
	s_cbranch_execz .LBB145_85
; %bb.81:
	scratch_load_b64 v[4:5], off, off offset:8
	v_lshlrev_b64 v[6:7], 3, v[2:3]
	s_and_not1_b32 vcc_lo, exec_lo, s36
	s_cbranch_vccnz .LBB145_83
; %bb.82:
	s_delay_alu instid0(VALU_DEP_1) | instskip(NEXT) | instid1(VALU_DEP_2)
	v_add_co_u32 v8, vcc_lo, v68, v6
	v_add_co_ci_u32_e32 v9, vcc_lo, v69, v7, vcc_lo
	flat_load_b64 v[8:9], v[8:9]
	s_waitcnt vmcnt(0) lgkmcnt(0)
	v_mul_f64 v[8:9], v[8:9], s[38:39]
	s_branch .LBB145_84
.LBB145_83:
	v_mov_b32_e32 v8, 0
	v_mov_b32_e32 v9, 0
.LBB145_84:
	s_waitcnt vmcnt(0)
	s_delay_alu instid0(VALU_DEP_1)
	v_add_f64 v[4:5], v[4:5], v[8:9]
	v_add_co_u32 v6, vcc_lo, v72, v6
	v_add_co_ci_u32_e32 v7, vcc_lo, v73, v7, vcc_lo
	global_store_b64 v[6:7], v[4:5], off
.LBB145_85:
	s_or_b32 exec_lo, exec_lo, s2
	v_add_nc_u32_e32 v4, 8, v0
	s_delay_alu instid0(VALU_DEP_1) | instskip(SKIP_1) | instid1(VALU_DEP_2)
	v_cmp_gt_i32_e64 s2, s40, v4
	v_ashrrev_i32_e32 v5, 31, v4
	s_and_b32 s4, s11, s2
	s_delay_alu instid0(SALU_CYCLE_1)
	s_and_saveexec_b32 s3, s4
	s_cbranch_execz .LBB145_90
; %bb.86:
	scratch_load_b64 v[6:7], off, off offset:16
	v_lshlrev_b64 v[8:9], 3, v[4:5]
	s_and_not1_b32 vcc_lo, exec_lo, s36
	s_cbranch_vccnz .LBB145_88
; %bb.87:
	s_delay_alu instid0(VALU_DEP_1) | instskip(NEXT) | instid1(VALU_DEP_2)
	v_add_co_u32 v10, vcc_lo, v68, v8
	v_add_co_ci_u32_e32 v11, vcc_lo, v69, v9, vcc_lo
	flat_load_b64 v[10:11], v[10:11]
	s_waitcnt vmcnt(0) lgkmcnt(0)
	v_mul_f64 v[10:11], v[10:11], s[38:39]
	s_branch .LBB145_89
.LBB145_88:
	v_mov_b32_e32 v10, 0
	v_mov_b32_e32 v11, 0
.LBB145_89:
	s_waitcnt vmcnt(0)
	s_delay_alu instid0(VALU_DEP_1)
	v_add_f64 v[6:7], v[6:7], v[10:11]
	v_add_co_u32 v8, vcc_lo, v72, v8
	v_add_co_ci_u32_e32 v9, vcc_lo, v73, v9, vcc_lo
	global_store_b64 v[8:9], v[6:7], off
.LBB145_90:
	;; [unrolled: 33-line block ×31, first 2 shown]
	s_or_b32 exec_lo, exec_lo, s11
	v_add_nc_u32_e32 v68, 64, v71
	s_delay_alu instid0(VALU_DEP_1) | instskip(SKIP_2) | instid1(VALU_DEP_3)
	v_mad_i64_i32 v[64:65], null, v68, s42, 0
	v_mad_i64_i32 v[66:67], null, v68, s37, 0
	v_cmp_gt_i32_e64 s11, s41, v68
	v_lshlrev_b64 v[64:65], 3, v[64:65]
	s_delay_alu instid0(VALU_DEP_2) | instskip(NEXT) | instid1(VALU_DEP_3)
	s_and_b32 s0, s11, s0
	v_lshlrev_b64 v[66:67], 3, v[66:67]
	s_delay_alu instid0(VALU_DEP_2) | instskip(NEXT) | instid1(VALU_DEP_3)
	v_add_co_u32 v71, vcc_lo, s34, v64
	v_add_co_ci_u32_e32 v72, vcc_lo, s35, v65, vcc_lo
	s_delay_alu instid0(VALU_DEP_3) | instskip(NEXT) | instid1(VALU_DEP_4)
	v_add_co_u32 v68, vcc_lo, s43, v66
	v_add_co_ci_u32_e32 v69, vcc_lo, s44, v67, vcc_lo
	s_and_saveexec_b32 s34, s0
	s_delay_alu instid0(SALU_CYCLE_1)
	s_xor_b32 s0, exec_lo, s34
	s_cbranch_execnz .LBB145_268
; %bb.236:
	s_or_b32 exec_lo, exec_lo, s0
	s_and_b32 s1, s11, s1
	s_delay_alu instid0(SALU_CYCLE_1)
	s_and_saveexec_b32 s0, s1
	s_cbranch_execnz .LBB145_272
.LBB145_237:
	s_or_b32 exec_lo, exec_lo, s0
	s_and_b32 s1, s11, s2
	s_delay_alu instid0(SALU_CYCLE_1)
	s_and_saveexec_b32 s0, s1
	s_cbranch_execnz .LBB145_276
.LBB145_238:
	s_or_b32 exec_lo, exec_lo, s0
	s_and_b32 s1, s11, s3
	s_delay_alu instid0(SALU_CYCLE_1)
	s_and_saveexec_b32 s0, s1
	s_cbranch_execnz .LBB145_280
.LBB145_239:
	s_or_b32 exec_lo, exec_lo, s0
	s_and_b32 s1, s11, s4
	s_delay_alu instid0(SALU_CYCLE_1)
	s_and_saveexec_b32 s0, s1
	s_cbranch_execnz .LBB145_284
.LBB145_240:
	s_or_b32 exec_lo, exec_lo, s0
	s_and_b32 s1, s11, s5
	s_delay_alu instid0(SALU_CYCLE_1)
	s_and_saveexec_b32 s0, s1
	s_cbranch_execnz .LBB145_288
.LBB145_241:
	s_or_b32 exec_lo, exec_lo, s0
	s_and_b32 s1, s11, s6
	s_delay_alu instid0(SALU_CYCLE_1)
	s_and_saveexec_b32 s0, s1
	s_cbranch_execnz .LBB145_292
.LBB145_242:
	s_or_b32 exec_lo, exec_lo, s0
	s_and_b32 s1, s11, s7
	s_delay_alu instid0(SALU_CYCLE_1)
	s_and_saveexec_b32 s0, s1
	s_cbranch_execnz .LBB145_296
.LBB145_243:
	s_or_b32 exec_lo, exec_lo, s0
	s_and_b32 s1, s11, s8
	s_delay_alu instid0(SALU_CYCLE_1)
	s_and_saveexec_b32 s0, s1
	s_cbranch_execnz .LBB145_300
.LBB145_244:
	s_or_b32 exec_lo, exec_lo, s0
	s_and_b32 s1, s11, s9
	s_delay_alu instid0(SALU_CYCLE_1)
	s_and_saveexec_b32 s0, s1
	s_cbranch_execnz .LBB145_304
.LBB145_245:
	s_or_b32 exec_lo, exec_lo, s0
	s_and_b32 s1, s11, s10
	s_delay_alu instid0(SALU_CYCLE_1)
	s_and_saveexec_b32 s0, s1
	s_cbranch_execnz .LBB145_308
.LBB145_246:
	s_or_b32 exec_lo, exec_lo, s0
	s_and_b32 s1, s11, s12
	s_delay_alu instid0(SALU_CYCLE_1)
	s_and_saveexec_b32 s0, s1
	s_cbranch_execnz .LBB145_312
.LBB145_247:
	s_or_b32 exec_lo, exec_lo, s0
	s_and_b32 s1, s11, s13
	s_delay_alu instid0(SALU_CYCLE_1)
	s_and_saveexec_b32 s0, s1
	s_cbranch_execnz .LBB145_316
.LBB145_248:
	s_or_b32 exec_lo, exec_lo, s0
	s_and_b32 s1, s11, s14
	s_delay_alu instid0(SALU_CYCLE_1)
	s_and_saveexec_b32 s0, s1
	s_cbranch_execnz .LBB145_320
.LBB145_249:
	s_or_b32 exec_lo, exec_lo, s0
	s_and_b32 s1, s11, s15
	s_delay_alu instid0(SALU_CYCLE_1)
	s_and_saveexec_b32 s0, s1
	s_cbranch_execnz .LBB145_324
.LBB145_250:
	s_or_b32 exec_lo, exec_lo, s0
	s_and_b32 s1, s11, s16
	s_delay_alu instid0(SALU_CYCLE_1)
	s_and_saveexec_b32 s0, s1
	s_cbranch_execnz .LBB145_328
.LBB145_251:
	s_or_b32 exec_lo, exec_lo, s0
	s_and_b32 s1, s11, s17
	s_delay_alu instid0(SALU_CYCLE_1)
	s_and_saveexec_b32 s0, s1
	s_cbranch_execnz .LBB145_332
.LBB145_252:
	s_or_b32 exec_lo, exec_lo, s0
	s_and_b32 s1, s11, s18
	s_delay_alu instid0(SALU_CYCLE_1)
	s_and_saveexec_b32 s0, s1
	s_cbranch_execnz .LBB145_336
.LBB145_253:
	s_or_b32 exec_lo, exec_lo, s0
	s_and_b32 s1, s11, s19
	s_delay_alu instid0(SALU_CYCLE_1)
	s_and_saveexec_b32 s0, s1
	s_cbranch_execnz .LBB145_340
.LBB145_254:
	s_or_b32 exec_lo, exec_lo, s0
	s_and_b32 s1, s11, s20
	s_delay_alu instid0(SALU_CYCLE_1)
	s_and_saveexec_b32 s0, s1
	s_cbranch_execnz .LBB145_344
.LBB145_255:
	s_or_b32 exec_lo, exec_lo, s0
	s_and_b32 s1, s11, s21
	s_delay_alu instid0(SALU_CYCLE_1)
	s_and_saveexec_b32 s0, s1
	s_cbranch_execnz .LBB145_348
.LBB145_256:
	s_or_b32 exec_lo, exec_lo, s0
	s_and_b32 s1, s11, s22
	s_delay_alu instid0(SALU_CYCLE_1)
	s_and_saveexec_b32 s0, s1
	s_cbranch_execnz .LBB145_352
.LBB145_257:
	s_or_b32 exec_lo, exec_lo, s0
	s_and_b32 s1, s11, s23
	s_delay_alu instid0(SALU_CYCLE_1)
	s_and_saveexec_b32 s0, s1
	s_cbranch_execnz .LBB145_356
.LBB145_258:
	s_or_b32 exec_lo, exec_lo, s0
	s_and_b32 s1, s11, s24
	s_delay_alu instid0(SALU_CYCLE_1)
	s_and_saveexec_b32 s0, s1
	s_cbranch_execnz .LBB145_360
.LBB145_259:
	s_or_b32 exec_lo, exec_lo, s0
	s_and_b32 s1, s11, s25
	s_delay_alu instid0(SALU_CYCLE_1)
	s_and_saveexec_b32 s0, s1
	s_cbranch_execnz .LBB145_364
.LBB145_260:
	s_or_b32 exec_lo, exec_lo, s0
	s_and_b32 s1, s11, s26
	s_delay_alu instid0(SALU_CYCLE_1)
	s_and_saveexec_b32 s0, s1
	s_cbranch_execnz .LBB145_368
.LBB145_261:
	s_or_b32 exec_lo, exec_lo, s0
	s_and_b32 s1, s11, s27
	s_delay_alu instid0(SALU_CYCLE_1)
	s_and_saveexec_b32 s0, s1
	s_cbranch_execnz .LBB145_372
.LBB145_262:
	s_or_b32 exec_lo, exec_lo, s0
	s_and_b32 s1, s11, s28
	s_delay_alu instid0(SALU_CYCLE_1)
	s_and_saveexec_b32 s0, s1
	s_cbranch_execnz .LBB145_376
.LBB145_263:
	s_or_b32 exec_lo, exec_lo, s0
	s_and_b32 s1, s11, s29
	s_delay_alu instid0(SALU_CYCLE_1)
	s_and_saveexec_b32 s0, s1
	s_cbranch_execnz .LBB145_380
.LBB145_264:
	s_or_b32 exec_lo, exec_lo, s0
	s_and_b32 s1, s11, s30
	s_delay_alu instid0(SALU_CYCLE_1)
	s_and_saveexec_b32 s0, s1
	s_cbranch_execnz .LBB145_384
.LBB145_265:
	s_or_b32 exec_lo, exec_lo, s0
	s_and_b32 s1, s11, s31
	s_delay_alu instid0(SALU_CYCLE_1)
	s_and_saveexec_b32 s0, s1
	s_cbranch_execnz .LBB145_388
.LBB145_266:
	s_or_b32 exec_lo, exec_lo, s0
	s_and_b32 s0, s11, s33
	s_delay_alu instid0(SALU_CYCLE_1)
	s_and_saveexec_b32 s1, s0
	s_cbranch_execnz .LBB145_392
.LBB145_267:
	s_endpgm
.LBB145_268:
	scratch_load_b64 v[64:65], off, off offset:256
	v_lshlrev_b64 v[0:1], 3, v[0:1]
	s_and_not1_b32 vcc_lo, exec_lo, s36
	s_cbranch_vccnz .LBB145_270
; %bb.269:
	s_delay_alu instid0(VALU_DEP_1) | instskip(NEXT) | instid1(VALU_DEP_2)
	v_add_co_u32 v66, vcc_lo, v71, v0
	v_add_co_ci_u32_e32 v67, vcc_lo, v72, v1, vcc_lo
	flat_load_b64 v[66:67], v[66:67]
	s_waitcnt vmcnt(0) lgkmcnt(0)
	v_mul_f64 v[66:67], v[66:67], s[38:39]
	s_branch .LBB145_271
.LBB145_270:
	v_mov_b32_e32 v66, 0
	v_mov_b32_e32 v67, 0
.LBB145_271:
	s_waitcnt vmcnt(0)
	s_delay_alu instid0(VALU_DEP_1)
	v_add_f64 v[64:65], v[64:65], v[66:67]
	v_add_co_u32 v0, vcc_lo, v68, v0
	v_add_co_ci_u32_e32 v1, vcc_lo, v69, v1, vcc_lo
	global_store_b64 v[0:1], v[64:65], off
	s_or_b32 exec_lo, exec_lo, s0
	s_and_b32 s1, s11, s1
	s_delay_alu instid0(SALU_CYCLE_1)
	s_and_saveexec_b32 s0, s1
	s_cbranch_execz .LBB145_237
.LBB145_272:
	scratch_load_b64 v[0:1], off, off offset:264
	v_cmp_ne_u32_e32 vcc_lo, 1, v70
	v_lshlrev_b64 v[2:3], 3, v[2:3]
	s_cbranch_vccnz .LBB145_274
; %bb.273:
	s_delay_alu instid0(VALU_DEP_1) | instskip(NEXT) | instid1(VALU_DEP_2)
	v_add_co_u32 v64, vcc_lo, v71, v2
	v_add_co_ci_u32_e32 v65, vcc_lo, v72, v3, vcc_lo
	flat_load_b64 v[64:65], v[64:65]
	s_waitcnt vmcnt(0) lgkmcnt(0)
	v_mul_f64 v[64:65], v[64:65], s[38:39]
	s_branch .LBB145_275
.LBB145_274:
	v_mov_b32_e32 v64, 0
	v_mov_b32_e32 v65, 0
.LBB145_275:
	s_waitcnt vmcnt(0)
	s_delay_alu instid0(VALU_DEP_1)
	v_add_f64 v[0:1], v[0:1], v[64:65]
	v_add_co_u32 v2, vcc_lo, v68, v2
	v_add_co_ci_u32_e32 v3, vcc_lo, v69, v3, vcc_lo
	global_store_b64 v[2:3], v[0:1], off
	s_or_b32 exec_lo, exec_lo, s0
	s_and_b32 s1, s11, s2
	s_delay_alu instid0(SALU_CYCLE_1)
	s_and_saveexec_b32 s0, s1
	s_cbranch_execz .LBB145_238
.LBB145_276:
	scratch_load_b64 v[0:1], off, off offset:272
	v_cmp_ne_u32_e32 vcc_lo, 1, v70
	v_lshlrev_b64 v[2:3], 3, v[4:5]
	s_cbranch_vccnz .LBB145_278
; %bb.277:
	s_delay_alu instid0(VALU_DEP_1) | instskip(NEXT) | instid1(VALU_DEP_2)
	v_add_co_u32 v4, vcc_lo, v71, v2
	v_add_co_ci_u32_e32 v5, vcc_lo, v72, v3, vcc_lo
	flat_load_b64 v[4:5], v[4:5]
	s_waitcnt vmcnt(0) lgkmcnt(0)
	v_mul_f64 v[4:5], v[4:5], s[38:39]
	s_branch .LBB145_279
.LBB145_278:
	v_mov_b32_e32 v4, 0
	v_mov_b32_e32 v5, 0
.LBB145_279:
	s_waitcnt vmcnt(0)
	s_delay_alu instid0(VALU_DEP_1)
	v_add_f64 v[0:1], v[0:1], v[4:5]
	v_add_co_u32 v2, vcc_lo, v68, v2
	v_add_co_ci_u32_e32 v3, vcc_lo, v69, v3, vcc_lo
	global_store_b64 v[2:3], v[0:1], off
	s_or_b32 exec_lo, exec_lo, s0
	s_and_b32 s1, s11, s3
	s_delay_alu instid0(SALU_CYCLE_1)
	s_and_saveexec_b32 s0, s1
	s_cbranch_execz .LBB145_239
.LBB145_280:
	scratch_load_b64 v[0:1], off, off offset:280
	v_cmp_ne_u32_e32 vcc_lo, 1, v70
	v_lshlrev_b64 v[2:3], 3, v[6:7]
	s_cbranch_vccnz .LBB145_282
; %bb.281:
	s_delay_alu instid0(VALU_DEP_1) | instskip(NEXT) | instid1(VALU_DEP_2)
	v_add_co_u32 v4, vcc_lo, v71, v2
	v_add_co_ci_u32_e32 v5, vcc_lo, v72, v3, vcc_lo
	flat_load_b64 v[4:5], v[4:5]
	s_waitcnt vmcnt(0) lgkmcnt(0)
	v_mul_f64 v[4:5], v[4:5], s[38:39]
	s_branch .LBB145_283
.LBB145_282:
	v_mov_b32_e32 v4, 0
	v_mov_b32_e32 v5, 0
.LBB145_283:
	s_waitcnt vmcnt(0)
	s_delay_alu instid0(VALU_DEP_1)
	v_add_f64 v[0:1], v[0:1], v[4:5]
	v_add_co_u32 v2, vcc_lo, v68, v2
	v_add_co_ci_u32_e32 v3, vcc_lo, v69, v3, vcc_lo
	global_store_b64 v[2:3], v[0:1], off
	s_or_b32 exec_lo, exec_lo, s0
	s_and_b32 s1, s11, s4
	s_delay_alu instid0(SALU_CYCLE_1)
	s_and_saveexec_b32 s0, s1
	s_cbranch_execz .LBB145_240
.LBB145_284:
	scratch_load_b64 v[0:1], off, off offset:288
	v_cmp_ne_u32_e32 vcc_lo, 1, v70
	v_lshlrev_b64 v[2:3], 3, v[8:9]
	s_cbranch_vccnz .LBB145_286
; %bb.285:
	s_delay_alu instid0(VALU_DEP_1) | instskip(NEXT) | instid1(VALU_DEP_2)
	v_add_co_u32 v4, vcc_lo, v71, v2
	v_add_co_ci_u32_e32 v5, vcc_lo, v72, v3, vcc_lo
	flat_load_b64 v[4:5], v[4:5]
	s_waitcnt vmcnt(0) lgkmcnt(0)
	v_mul_f64 v[4:5], v[4:5], s[38:39]
	s_branch .LBB145_287
.LBB145_286:
	v_mov_b32_e32 v4, 0
	v_mov_b32_e32 v5, 0
.LBB145_287:
	s_waitcnt vmcnt(0)
	s_delay_alu instid0(VALU_DEP_1)
	v_add_f64 v[0:1], v[0:1], v[4:5]
	v_add_co_u32 v2, vcc_lo, v68, v2
	v_add_co_ci_u32_e32 v3, vcc_lo, v69, v3, vcc_lo
	global_store_b64 v[2:3], v[0:1], off
	s_or_b32 exec_lo, exec_lo, s0
	s_and_b32 s1, s11, s5
	s_delay_alu instid0(SALU_CYCLE_1)
	s_and_saveexec_b32 s0, s1
	s_cbranch_execz .LBB145_241
.LBB145_288:
	scratch_load_b64 v[0:1], off, off offset:296
	v_cmp_ne_u32_e32 vcc_lo, 1, v70
	v_lshlrev_b64 v[2:3], 3, v[10:11]
	s_cbranch_vccnz .LBB145_290
; %bb.289:
	s_delay_alu instid0(VALU_DEP_1) | instskip(NEXT) | instid1(VALU_DEP_2)
	v_add_co_u32 v4, vcc_lo, v71, v2
	v_add_co_ci_u32_e32 v5, vcc_lo, v72, v3, vcc_lo
	flat_load_b64 v[4:5], v[4:5]
	s_waitcnt vmcnt(0) lgkmcnt(0)
	v_mul_f64 v[4:5], v[4:5], s[38:39]
	s_branch .LBB145_291
.LBB145_290:
	v_mov_b32_e32 v4, 0
	v_mov_b32_e32 v5, 0
.LBB145_291:
	s_waitcnt vmcnt(0)
	s_delay_alu instid0(VALU_DEP_1)
	v_add_f64 v[0:1], v[0:1], v[4:5]
	v_add_co_u32 v2, vcc_lo, v68, v2
	v_add_co_ci_u32_e32 v3, vcc_lo, v69, v3, vcc_lo
	global_store_b64 v[2:3], v[0:1], off
	s_or_b32 exec_lo, exec_lo, s0
	s_and_b32 s1, s11, s6
	s_delay_alu instid0(SALU_CYCLE_1)
	s_and_saveexec_b32 s0, s1
	s_cbranch_execz .LBB145_242
.LBB145_292:
	scratch_load_b64 v[0:1], off, off offset:304
	v_cmp_ne_u32_e32 vcc_lo, 1, v70
	v_lshlrev_b64 v[2:3], 3, v[12:13]
	s_cbranch_vccnz .LBB145_294
; %bb.293:
	s_delay_alu instid0(VALU_DEP_1) | instskip(NEXT) | instid1(VALU_DEP_2)
	v_add_co_u32 v4, vcc_lo, v71, v2
	v_add_co_ci_u32_e32 v5, vcc_lo, v72, v3, vcc_lo
	flat_load_b64 v[4:5], v[4:5]
	s_waitcnt vmcnt(0) lgkmcnt(0)
	v_mul_f64 v[4:5], v[4:5], s[38:39]
	s_branch .LBB145_295
.LBB145_294:
	v_mov_b32_e32 v4, 0
	v_mov_b32_e32 v5, 0
.LBB145_295:
	s_waitcnt vmcnt(0)
	s_delay_alu instid0(VALU_DEP_1)
	v_add_f64 v[0:1], v[0:1], v[4:5]
	v_add_co_u32 v2, vcc_lo, v68, v2
	v_add_co_ci_u32_e32 v3, vcc_lo, v69, v3, vcc_lo
	global_store_b64 v[2:3], v[0:1], off
	s_or_b32 exec_lo, exec_lo, s0
	s_and_b32 s1, s11, s7
	s_delay_alu instid0(SALU_CYCLE_1)
	s_and_saveexec_b32 s0, s1
	s_cbranch_execz .LBB145_243
.LBB145_296:
	scratch_load_b64 v[0:1], off, off offset:312
	v_cmp_ne_u32_e32 vcc_lo, 1, v70
	v_lshlrev_b64 v[2:3], 3, v[14:15]
	s_cbranch_vccnz .LBB145_298
; %bb.297:
	s_delay_alu instid0(VALU_DEP_1) | instskip(NEXT) | instid1(VALU_DEP_2)
	v_add_co_u32 v4, vcc_lo, v71, v2
	v_add_co_ci_u32_e32 v5, vcc_lo, v72, v3, vcc_lo
	flat_load_b64 v[4:5], v[4:5]
	s_waitcnt vmcnt(0) lgkmcnt(0)
	v_mul_f64 v[4:5], v[4:5], s[38:39]
	s_branch .LBB145_299
.LBB145_298:
	v_mov_b32_e32 v4, 0
	v_mov_b32_e32 v5, 0
.LBB145_299:
	s_waitcnt vmcnt(0)
	s_delay_alu instid0(VALU_DEP_1)
	v_add_f64 v[0:1], v[0:1], v[4:5]
	v_add_co_u32 v2, vcc_lo, v68, v2
	v_add_co_ci_u32_e32 v3, vcc_lo, v69, v3, vcc_lo
	global_store_b64 v[2:3], v[0:1], off
	s_or_b32 exec_lo, exec_lo, s0
	s_and_b32 s1, s11, s8
	s_delay_alu instid0(SALU_CYCLE_1)
	s_and_saveexec_b32 s0, s1
	s_cbranch_execz .LBB145_244
.LBB145_300:
	scratch_load_b64 v[0:1], off, off offset:320
	v_cmp_ne_u32_e32 vcc_lo, 1, v70
	v_lshlrev_b64 v[2:3], 3, v[16:17]
	s_cbranch_vccnz .LBB145_302
; %bb.301:
	s_delay_alu instid0(VALU_DEP_1) | instskip(NEXT) | instid1(VALU_DEP_2)
	v_add_co_u32 v4, vcc_lo, v71, v2
	v_add_co_ci_u32_e32 v5, vcc_lo, v72, v3, vcc_lo
	flat_load_b64 v[4:5], v[4:5]
	s_waitcnt vmcnt(0) lgkmcnt(0)
	v_mul_f64 v[4:5], v[4:5], s[38:39]
	s_branch .LBB145_303
.LBB145_302:
	v_mov_b32_e32 v4, 0
	v_mov_b32_e32 v5, 0
.LBB145_303:
	s_waitcnt vmcnt(0)
	s_delay_alu instid0(VALU_DEP_1)
	v_add_f64 v[0:1], v[0:1], v[4:5]
	v_add_co_u32 v2, vcc_lo, v68, v2
	v_add_co_ci_u32_e32 v3, vcc_lo, v69, v3, vcc_lo
	global_store_b64 v[2:3], v[0:1], off
	s_or_b32 exec_lo, exec_lo, s0
	s_and_b32 s1, s11, s9
	s_delay_alu instid0(SALU_CYCLE_1)
	s_and_saveexec_b32 s0, s1
	s_cbranch_execz .LBB145_245
.LBB145_304:
	scratch_load_b64 v[0:1], off, off offset:328
	v_cmp_ne_u32_e32 vcc_lo, 1, v70
	v_lshlrev_b64 v[2:3], 3, v[18:19]
	s_cbranch_vccnz .LBB145_306
; %bb.305:
	s_delay_alu instid0(VALU_DEP_1) | instskip(NEXT) | instid1(VALU_DEP_2)
	v_add_co_u32 v4, vcc_lo, v71, v2
	v_add_co_ci_u32_e32 v5, vcc_lo, v72, v3, vcc_lo
	flat_load_b64 v[4:5], v[4:5]
	s_waitcnt vmcnt(0) lgkmcnt(0)
	v_mul_f64 v[4:5], v[4:5], s[38:39]
	s_branch .LBB145_307
.LBB145_306:
	v_mov_b32_e32 v4, 0
	v_mov_b32_e32 v5, 0
.LBB145_307:
	s_waitcnt vmcnt(0)
	s_delay_alu instid0(VALU_DEP_1)
	v_add_f64 v[0:1], v[0:1], v[4:5]
	v_add_co_u32 v2, vcc_lo, v68, v2
	v_add_co_ci_u32_e32 v3, vcc_lo, v69, v3, vcc_lo
	global_store_b64 v[2:3], v[0:1], off
	s_or_b32 exec_lo, exec_lo, s0
	s_and_b32 s1, s11, s10
	s_delay_alu instid0(SALU_CYCLE_1)
	s_and_saveexec_b32 s0, s1
	s_cbranch_execz .LBB145_246
.LBB145_308:
	scratch_load_b64 v[0:1], off, off offset:336
	v_cmp_ne_u32_e32 vcc_lo, 1, v70
	v_lshlrev_b64 v[2:3], 3, v[20:21]
	s_cbranch_vccnz .LBB145_310
; %bb.309:
	s_delay_alu instid0(VALU_DEP_1) | instskip(NEXT) | instid1(VALU_DEP_2)
	v_add_co_u32 v4, vcc_lo, v71, v2
	v_add_co_ci_u32_e32 v5, vcc_lo, v72, v3, vcc_lo
	flat_load_b64 v[4:5], v[4:5]
	s_waitcnt vmcnt(0) lgkmcnt(0)
	v_mul_f64 v[4:5], v[4:5], s[38:39]
	s_branch .LBB145_311
.LBB145_310:
	v_mov_b32_e32 v4, 0
	v_mov_b32_e32 v5, 0
.LBB145_311:
	s_waitcnt vmcnt(0)
	s_delay_alu instid0(VALU_DEP_1)
	v_add_f64 v[0:1], v[0:1], v[4:5]
	v_add_co_u32 v2, vcc_lo, v68, v2
	v_add_co_ci_u32_e32 v3, vcc_lo, v69, v3, vcc_lo
	global_store_b64 v[2:3], v[0:1], off
	s_or_b32 exec_lo, exec_lo, s0
	s_and_b32 s1, s11, s12
	s_delay_alu instid0(SALU_CYCLE_1)
	s_and_saveexec_b32 s0, s1
	s_cbranch_execz .LBB145_247
.LBB145_312:
	scratch_load_b64 v[0:1], off, off offset:344
	v_cmp_ne_u32_e32 vcc_lo, 1, v70
	v_lshlrev_b64 v[2:3], 3, v[22:23]
	s_cbranch_vccnz .LBB145_314
; %bb.313:
	s_delay_alu instid0(VALU_DEP_1) | instskip(NEXT) | instid1(VALU_DEP_2)
	v_add_co_u32 v4, vcc_lo, v71, v2
	v_add_co_ci_u32_e32 v5, vcc_lo, v72, v3, vcc_lo
	flat_load_b64 v[4:5], v[4:5]
	s_waitcnt vmcnt(0) lgkmcnt(0)
	v_mul_f64 v[4:5], v[4:5], s[38:39]
	s_branch .LBB145_315
.LBB145_314:
	v_mov_b32_e32 v4, 0
	v_mov_b32_e32 v5, 0
.LBB145_315:
	s_waitcnt vmcnt(0)
	s_delay_alu instid0(VALU_DEP_1)
	v_add_f64 v[0:1], v[0:1], v[4:5]
	v_add_co_u32 v2, vcc_lo, v68, v2
	v_add_co_ci_u32_e32 v3, vcc_lo, v69, v3, vcc_lo
	global_store_b64 v[2:3], v[0:1], off
	s_or_b32 exec_lo, exec_lo, s0
	s_and_b32 s1, s11, s13
	s_delay_alu instid0(SALU_CYCLE_1)
	s_and_saveexec_b32 s0, s1
	s_cbranch_execz .LBB145_248
.LBB145_316:
	scratch_load_b64 v[0:1], off, off offset:352
	v_cmp_ne_u32_e32 vcc_lo, 1, v70
	v_lshlrev_b64 v[2:3], 3, v[24:25]
	s_cbranch_vccnz .LBB145_318
; %bb.317:
	s_delay_alu instid0(VALU_DEP_1) | instskip(NEXT) | instid1(VALU_DEP_2)
	v_add_co_u32 v4, vcc_lo, v71, v2
	v_add_co_ci_u32_e32 v5, vcc_lo, v72, v3, vcc_lo
	flat_load_b64 v[4:5], v[4:5]
	s_waitcnt vmcnt(0) lgkmcnt(0)
	v_mul_f64 v[4:5], v[4:5], s[38:39]
	s_branch .LBB145_319
.LBB145_318:
	v_mov_b32_e32 v4, 0
	v_mov_b32_e32 v5, 0
.LBB145_319:
	s_waitcnt vmcnt(0)
	s_delay_alu instid0(VALU_DEP_1)
	v_add_f64 v[0:1], v[0:1], v[4:5]
	v_add_co_u32 v2, vcc_lo, v68, v2
	v_add_co_ci_u32_e32 v3, vcc_lo, v69, v3, vcc_lo
	global_store_b64 v[2:3], v[0:1], off
	s_or_b32 exec_lo, exec_lo, s0
	s_and_b32 s1, s11, s14
	s_delay_alu instid0(SALU_CYCLE_1)
	s_and_saveexec_b32 s0, s1
	s_cbranch_execz .LBB145_249
.LBB145_320:
	scratch_load_b64 v[0:1], off, off offset:360
	v_cmp_ne_u32_e32 vcc_lo, 1, v70
	v_lshlrev_b64 v[2:3], 3, v[26:27]
	s_cbranch_vccnz .LBB145_322
; %bb.321:
	s_delay_alu instid0(VALU_DEP_1) | instskip(NEXT) | instid1(VALU_DEP_2)
	v_add_co_u32 v4, vcc_lo, v71, v2
	v_add_co_ci_u32_e32 v5, vcc_lo, v72, v3, vcc_lo
	flat_load_b64 v[4:5], v[4:5]
	s_waitcnt vmcnt(0) lgkmcnt(0)
	v_mul_f64 v[4:5], v[4:5], s[38:39]
	s_branch .LBB145_323
.LBB145_322:
	v_mov_b32_e32 v4, 0
	v_mov_b32_e32 v5, 0
.LBB145_323:
	s_waitcnt vmcnt(0)
	s_delay_alu instid0(VALU_DEP_1)
	v_add_f64 v[0:1], v[0:1], v[4:5]
	v_add_co_u32 v2, vcc_lo, v68, v2
	v_add_co_ci_u32_e32 v3, vcc_lo, v69, v3, vcc_lo
	global_store_b64 v[2:3], v[0:1], off
	s_or_b32 exec_lo, exec_lo, s0
	s_and_b32 s1, s11, s15
	s_delay_alu instid0(SALU_CYCLE_1)
	s_and_saveexec_b32 s0, s1
	s_cbranch_execz .LBB145_250
.LBB145_324:
	scratch_load_b64 v[0:1], off, off offset:368
	v_cmp_ne_u32_e32 vcc_lo, 1, v70
	v_lshlrev_b64 v[2:3], 3, v[28:29]
	s_cbranch_vccnz .LBB145_326
; %bb.325:
	s_delay_alu instid0(VALU_DEP_1) | instskip(NEXT) | instid1(VALU_DEP_2)
	v_add_co_u32 v4, vcc_lo, v71, v2
	v_add_co_ci_u32_e32 v5, vcc_lo, v72, v3, vcc_lo
	flat_load_b64 v[4:5], v[4:5]
	s_waitcnt vmcnt(0) lgkmcnt(0)
	v_mul_f64 v[4:5], v[4:5], s[38:39]
	s_branch .LBB145_327
.LBB145_326:
	v_mov_b32_e32 v4, 0
	v_mov_b32_e32 v5, 0
.LBB145_327:
	s_waitcnt vmcnt(0)
	s_delay_alu instid0(VALU_DEP_1)
	v_add_f64 v[0:1], v[0:1], v[4:5]
	v_add_co_u32 v2, vcc_lo, v68, v2
	v_add_co_ci_u32_e32 v3, vcc_lo, v69, v3, vcc_lo
	global_store_b64 v[2:3], v[0:1], off
	s_or_b32 exec_lo, exec_lo, s0
	s_and_b32 s1, s11, s16
	s_delay_alu instid0(SALU_CYCLE_1)
	s_and_saveexec_b32 s0, s1
	s_cbranch_execz .LBB145_251
.LBB145_328:
	scratch_load_b64 v[0:1], off, off offset:376
	v_cmp_ne_u32_e32 vcc_lo, 1, v70
	v_lshlrev_b64 v[2:3], 3, v[30:31]
	s_cbranch_vccnz .LBB145_330
; %bb.329:
	s_delay_alu instid0(VALU_DEP_1) | instskip(NEXT) | instid1(VALU_DEP_2)
	v_add_co_u32 v4, vcc_lo, v71, v2
	v_add_co_ci_u32_e32 v5, vcc_lo, v72, v3, vcc_lo
	flat_load_b64 v[4:5], v[4:5]
	s_waitcnt vmcnt(0) lgkmcnt(0)
	v_mul_f64 v[4:5], v[4:5], s[38:39]
	s_branch .LBB145_331
.LBB145_330:
	v_mov_b32_e32 v4, 0
	v_mov_b32_e32 v5, 0
.LBB145_331:
	s_waitcnt vmcnt(0)
	s_delay_alu instid0(VALU_DEP_1)
	v_add_f64 v[0:1], v[0:1], v[4:5]
	v_add_co_u32 v2, vcc_lo, v68, v2
	v_add_co_ci_u32_e32 v3, vcc_lo, v69, v3, vcc_lo
	global_store_b64 v[2:3], v[0:1], off
	s_or_b32 exec_lo, exec_lo, s0
	s_and_b32 s1, s11, s17
	s_delay_alu instid0(SALU_CYCLE_1)
	s_and_saveexec_b32 s0, s1
	s_cbranch_execz .LBB145_252
.LBB145_332:
	scratch_load_b64 v[0:1], off, off offset:384
	v_cmp_ne_u32_e32 vcc_lo, 1, v70
	v_lshlrev_b64 v[2:3], 3, v[32:33]
	s_cbranch_vccnz .LBB145_334
; %bb.333:
	s_delay_alu instid0(VALU_DEP_1) | instskip(NEXT) | instid1(VALU_DEP_2)
	v_add_co_u32 v4, vcc_lo, v71, v2
	v_add_co_ci_u32_e32 v5, vcc_lo, v72, v3, vcc_lo
	flat_load_b64 v[4:5], v[4:5]
	s_waitcnt vmcnt(0) lgkmcnt(0)
	v_mul_f64 v[4:5], v[4:5], s[38:39]
	s_branch .LBB145_335
.LBB145_334:
	v_mov_b32_e32 v4, 0
	v_mov_b32_e32 v5, 0
.LBB145_335:
	s_waitcnt vmcnt(0)
	s_delay_alu instid0(VALU_DEP_1)
	v_add_f64 v[0:1], v[0:1], v[4:5]
	v_add_co_u32 v2, vcc_lo, v68, v2
	v_add_co_ci_u32_e32 v3, vcc_lo, v69, v3, vcc_lo
	global_store_b64 v[2:3], v[0:1], off
	s_or_b32 exec_lo, exec_lo, s0
	s_and_b32 s1, s11, s18
	s_delay_alu instid0(SALU_CYCLE_1)
	s_and_saveexec_b32 s0, s1
	s_cbranch_execz .LBB145_253
.LBB145_336:
	scratch_load_b64 v[0:1], off, off offset:392
	v_cmp_ne_u32_e32 vcc_lo, 1, v70
	v_lshlrev_b64 v[2:3], 3, v[34:35]
	s_cbranch_vccnz .LBB145_338
; %bb.337:
	s_delay_alu instid0(VALU_DEP_1) | instskip(NEXT) | instid1(VALU_DEP_2)
	v_add_co_u32 v4, vcc_lo, v71, v2
	v_add_co_ci_u32_e32 v5, vcc_lo, v72, v3, vcc_lo
	flat_load_b64 v[4:5], v[4:5]
	s_waitcnt vmcnt(0) lgkmcnt(0)
	v_mul_f64 v[4:5], v[4:5], s[38:39]
	s_branch .LBB145_339
.LBB145_338:
	v_mov_b32_e32 v4, 0
	v_mov_b32_e32 v5, 0
.LBB145_339:
	s_waitcnt vmcnt(0)
	s_delay_alu instid0(VALU_DEP_1)
	v_add_f64 v[0:1], v[0:1], v[4:5]
	v_add_co_u32 v2, vcc_lo, v68, v2
	v_add_co_ci_u32_e32 v3, vcc_lo, v69, v3, vcc_lo
	global_store_b64 v[2:3], v[0:1], off
	s_or_b32 exec_lo, exec_lo, s0
	s_and_b32 s1, s11, s19
	s_delay_alu instid0(SALU_CYCLE_1)
	s_and_saveexec_b32 s0, s1
	s_cbranch_execz .LBB145_254
.LBB145_340:
	scratch_load_b64 v[0:1], off, off offset:400
	v_cmp_ne_u32_e32 vcc_lo, 1, v70
	v_lshlrev_b64 v[2:3], 3, v[36:37]
	s_cbranch_vccnz .LBB145_342
; %bb.341:
	s_delay_alu instid0(VALU_DEP_1) | instskip(NEXT) | instid1(VALU_DEP_2)
	v_add_co_u32 v4, vcc_lo, v71, v2
	v_add_co_ci_u32_e32 v5, vcc_lo, v72, v3, vcc_lo
	flat_load_b64 v[4:5], v[4:5]
	s_waitcnt vmcnt(0) lgkmcnt(0)
	v_mul_f64 v[4:5], v[4:5], s[38:39]
	s_branch .LBB145_343
.LBB145_342:
	v_mov_b32_e32 v4, 0
	v_mov_b32_e32 v5, 0
.LBB145_343:
	s_waitcnt vmcnt(0)
	s_delay_alu instid0(VALU_DEP_1)
	v_add_f64 v[0:1], v[0:1], v[4:5]
	v_add_co_u32 v2, vcc_lo, v68, v2
	v_add_co_ci_u32_e32 v3, vcc_lo, v69, v3, vcc_lo
	global_store_b64 v[2:3], v[0:1], off
	s_or_b32 exec_lo, exec_lo, s0
	s_and_b32 s1, s11, s20
	s_delay_alu instid0(SALU_CYCLE_1)
	s_and_saveexec_b32 s0, s1
	s_cbranch_execz .LBB145_255
.LBB145_344:
	scratch_load_b64 v[0:1], off, off offset:408
	v_cmp_ne_u32_e32 vcc_lo, 1, v70
	v_lshlrev_b64 v[2:3], 3, v[38:39]
	s_cbranch_vccnz .LBB145_346
; %bb.345:
	s_delay_alu instid0(VALU_DEP_1) | instskip(NEXT) | instid1(VALU_DEP_2)
	v_add_co_u32 v4, vcc_lo, v71, v2
	v_add_co_ci_u32_e32 v5, vcc_lo, v72, v3, vcc_lo
	flat_load_b64 v[4:5], v[4:5]
	s_waitcnt vmcnt(0) lgkmcnt(0)
	v_mul_f64 v[4:5], v[4:5], s[38:39]
	s_branch .LBB145_347
.LBB145_346:
	v_mov_b32_e32 v4, 0
	v_mov_b32_e32 v5, 0
.LBB145_347:
	s_waitcnt vmcnt(0)
	s_delay_alu instid0(VALU_DEP_1)
	v_add_f64 v[0:1], v[0:1], v[4:5]
	v_add_co_u32 v2, vcc_lo, v68, v2
	v_add_co_ci_u32_e32 v3, vcc_lo, v69, v3, vcc_lo
	global_store_b64 v[2:3], v[0:1], off
	s_or_b32 exec_lo, exec_lo, s0
	s_and_b32 s1, s11, s21
	s_delay_alu instid0(SALU_CYCLE_1)
	s_and_saveexec_b32 s0, s1
	s_cbranch_execz .LBB145_256
.LBB145_348:
	scratch_load_b64 v[0:1], off, off offset:416
	v_cmp_ne_u32_e32 vcc_lo, 1, v70
	v_lshlrev_b64 v[2:3], 3, v[40:41]
	s_cbranch_vccnz .LBB145_350
; %bb.349:
	s_delay_alu instid0(VALU_DEP_1) | instskip(NEXT) | instid1(VALU_DEP_2)
	v_add_co_u32 v4, vcc_lo, v71, v2
	v_add_co_ci_u32_e32 v5, vcc_lo, v72, v3, vcc_lo
	flat_load_b64 v[4:5], v[4:5]
	s_waitcnt vmcnt(0) lgkmcnt(0)
	v_mul_f64 v[4:5], v[4:5], s[38:39]
	s_branch .LBB145_351
.LBB145_350:
	v_mov_b32_e32 v4, 0
	v_mov_b32_e32 v5, 0
.LBB145_351:
	s_waitcnt vmcnt(0)
	s_delay_alu instid0(VALU_DEP_1)
	v_add_f64 v[0:1], v[0:1], v[4:5]
	v_add_co_u32 v2, vcc_lo, v68, v2
	v_add_co_ci_u32_e32 v3, vcc_lo, v69, v3, vcc_lo
	global_store_b64 v[2:3], v[0:1], off
	s_or_b32 exec_lo, exec_lo, s0
	s_and_b32 s1, s11, s22
	s_delay_alu instid0(SALU_CYCLE_1)
	s_and_saveexec_b32 s0, s1
	s_cbranch_execz .LBB145_257
.LBB145_352:
	scratch_load_b64 v[0:1], off, off offset:424
	v_cmp_ne_u32_e32 vcc_lo, 1, v70
	v_lshlrev_b64 v[2:3], 3, v[42:43]
	s_cbranch_vccnz .LBB145_354
; %bb.353:
	s_delay_alu instid0(VALU_DEP_1) | instskip(NEXT) | instid1(VALU_DEP_2)
	v_add_co_u32 v4, vcc_lo, v71, v2
	v_add_co_ci_u32_e32 v5, vcc_lo, v72, v3, vcc_lo
	flat_load_b64 v[4:5], v[4:5]
	s_waitcnt vmcnt(0) lgkmcnt(0)
	v_mul_f64 v[4:5], v[4:5], s[38:39]
	s_branch .LBB145_355
.LBB145_354:
	v_mov_b32_e32 v4, 0
	v_mov_b32_e32 v5, 0
.LBB145_355:
	s_waitcnt vmcnt(0)
	s_delay_alu instid0(VALU_DEP_1)
	v_add_f64 v[0:1], v[0:1], v[4:5]
	v_add_co_u32 v2, vcc_lo, v68, v2
	v_add_co_ci_u32_e32 v3, vcc_lo, v69, v3, vcc_lo
	global_store_b64 v[2:3], v[0:1], off
	s_or_b32 exec_lo, exec_lo, s0
	s_and_b32 s1, s11, s23
	s_delay_alu instid0(SALU_CYCLE_1)
	s_and_saveexec_b32 s0, s1
	s_cbranch_execz .LBB145_258
.LBB145_356:
	scratch_load_b64 v[0:1], off, off offset:432
	v_cmp_ne_u32_e32 vcc_lo, 1, v70
	v_lshlrev_b64 v[2:3], 3, v[44:45]
	s_cbranch_vccnz .LBB145_358
; %bb.357:
	s_delay_alu instid0(VALU_DEP_1) | instskip(NEXT) | instid1(VALU_DEP_2)
	v_add_co_u32 v4, vcc_lo, v71, v2
	v_add_co_ci_u32_e32 v5, vcc_lo, v72, v3, vcc_lo
	flat_load_b64 v[4:5], v[4:5]
	s_waitcnt vmcnt(0) lgkmcnt(0)
	v_mul_f64 v[4:5], v[4:5], s[38:39]
	s_branch .LBB145_359
.LBB145_358:
	v_mov_b32_e32 v4, 0
	v_mov_b32_e32 v5, 0
.LBB145_359:
	s_waitcnt vmcnt(0)
	s_delay_alu instid0(VALU_DEP_1)
	v_add_f64 v[0:1], v[0:1], v[4:5]
	v_add_co_u32 v2, vcc_lo, v68, v2
	v_add_co_ci_u32_e32 v3, vcc_lo, v69, v3, vcc_lo
	global_store_b64 v[2:3], v[0:1], off
	s_or_b32 exec_lo, exec_lo, s0
	s_and_b32 s1, s11, s24
	s_delay_alu instid0(SALU_CYCLE_1)
	s_and_saveexec_b32 s0, s1
	s_cbranch_execz .LBB145_259
.LBB145_360:
	scratch_load_b64 v[0:1], off, off offset:440
	v_cmp_ne_u32_e32 vcc_lo, 1, v70
	v_lshlrev_b64 v[2:3], 3, v[46:47]
	s_cbranch_vccnz .LBB145_362
; %bb.361:
	s_delay_alu instid0(VALU_DEP_1) | instskip(NEXT) | instid1(VALU_DEP_2)
	v_add_co_u32 v4, vcc_lo, v71, v2
	v_add_co_ci_u32_e32 v5, vcc_lo, v72, v3, vcc_lo
	flat_load_b64 v[4:5], v[4:5]
	s_waitcnt vmcnt(0) lgkmcnt(0)
	v_mul_f64 v[4:5], v[4:5], s[38:39]
	s_branch .LBB145_363
.LBB145_362:
	v_mov_b32_e32 v4, 0
	v_mov_b32_e32 v5, 0
.LBB145_363:
	s_waitcnt vmcnt(0)
	s_delay_alu instid0(VALU_DEP_1)
	v_add_f64 v[0:1], v[0:1], v[4:5]
	v_add_co_u32 v2, vcc_lo, v68, v2
	v_add_co_ci_u32_e32 v3, vcc_lo, v69, v3, vcc_lo
	global_store_b64 v[2:3], v[0:1], off
	s_or_b32 exec_lo, exec_lo, s0
	s_and_b32 s1, s11, s25
	s_delay_alu instid0(SALU_CYCLE_1)
	s_and_saveexec_b32 s0, s1
	s_cbranch_execz .LBB145_260
.LBB145_364:
	scratch_load_b64 v[0:1], off, off offset:448
	v_cmp_ne_u32_e32 vcc_lo, 1, v70
	v_lshlrev_b64 v[2:3], 3, v[48:49]
	s_cbranch_vccnz .LBB145_366
; %bb.365:
	s_delay_alu instid0(VALU_DEP_1) | instskip(NEXT) | instid1(VALU_DEP_2)
	v_add_co_u32 v4, vcc_lo, v71, v2
	v_add_co_ci_u32_e32 v5, vcc_lo, v72, v3, vcc_lo
	flat_load_b64 v[4:5], v[4:5]
	s_waitcnt vmcnt(0) lgkmcnt(0)
	v_mul_f64 v[4:5], v[4:5], s[38:39]
	s_branch .LBB145_367
.LBB145_366:
	v_mov_b32_e32 v4, 0
	v_mov_b32_e32 v5, 0
.LBB145_367:
	s_waitcnt vmcnt(0)
	s_delay_alu instid0(VALU_DEP_1)
	v_add_f64 v[0:1], v[0:1], v[4:5]
	v_add_co_u32 v2, vcc_lo, v68, v2
	v_add_co_ci_u32_e32 v3, vcc_lo, v69, v3, vcc_lo
	global_store_b64 v[2:3], v[0:1], off
	s_or_b32 exec_lo, exec_lo, s0
	s_and_b32 s1, s11, s26
	s_delay_alu instid0(SALU_CYCLE_1)
	s_and_saveexec_b32 s0, s1
	s_cbranch_execz .LBB145_261
.LBB145_368:
	scratch_load_b64 v[0:1], off, off offset:456
	v_cmp_ne_u32_e32 vcc_lo, 1, v70
	v_lshlrev_b64 v[2:3], 3, v[50:51]
	s_cbranch_vccnz .LBB145_370
; %bb.369:
	s_delay_alu instid0(VALU_DEP_1) | instskip(NEXT) | instid1(VALU_DEP_2)
	v_add_co_u32 v4, vcc_lo, v71, v2
	v_add_co_ci_u32_e32 v5, vcc_lo, v72, v3, vcc_lo
	flat_load_b64 v[4:5], v[4:5]
	s_waitcnt vmcnt(0) lgkmcnt(0)
	v_mul_f64 v[4:5], v[4:5], s[38:39]
	s_branch .LBB145_371
.LBB145_370:
	v_mov_b32_e32 v4, 0
	v_mov_b32_e32 v5, 0
.LBB145_371:
	s_waitcnt vmcnt(0)
	s_delay_alu instid0(VALU_DEP_1)
	v_add_f64 v[0:1], v[0:1], v[4:5]
	v_add_co_u32 v2, vcc_lo, v68, v2
	v_add_co_ci_u32_e32 v3, vcc_lo, v69, v3, vcc_lo
	global_store_b64 v[2:3], v[0:1], off
	s_or_b32 exec_lo, exec_lo, s0
	s_and_b32 s1, s11, s27
	s_delay_alu instid0(SALU_CYCLE_1)
	s_and_saveexec_b32 s0, s1
	s_cbranch_execz .LBB145_262
.LBB145_372:
	scratch_load_b64 v[0:1], off, off offset:464
	v_cmp_ne_u32_e32 vcc_lo, 1, v70
	v_lshlrev_b64 v[2:3], 3, v[52:53]
	s_cbranch_vccnz .LBB145_374
; %bb.373:
	s_delay_alu instid0(VALU_DEP_1) | instskip(NEXT) | instid1(VALU_DEP_2)
	v_add_co_u32 v4, vcc_lo, v71, v2
	v_add_co_ci_u32_e32 v5, vcc_lo, v72, v3, vcc_lo
	flat_load_b64 v[4:5], v[4:5]
	s_waitcnt vmcnt(0) lgkmcnt(0)
	v_mul_f64 v[4:5], v[4:5], s[38:39]
	s_branch .LBB145_375
.LBB145_374:
	v_mov_b32_e32 v4, 0
	v_mov_b32_e32 v5, 0
.LBB145_375:
	s_waitcnt vmcnt(0)
	s_delay_alu instid0(VALU_DEP_1)
	v_add_f64 v[0:1], v[0:1], v[4:5]
	v_add_co_u32 v2, vcc_lo, v68, v2
	v_add_co_ci_u32_e32 v3, vcc_lo, v69, v3, vcc_lo
	global_store_b64 v[2:3], v[0:1], off
	s_or_b32 exec_lo, exec_lo, s0
	s_and_b32 s1, s11, s28
	s_delay_alu instid0(SALU_CYCLE_1)
	s_and_saveexec_b32 s0, s1
	s_cbranch_execz .LBB145_263
.LBB145_376:
	scratch_load_b64 v[0:1], off, off offset:472
	v_cmp_ne_u32_e32 vcc_lo, 1, v70
	v_lshlrev_b64 v[2:3], 3, v[54:55]
	s_cbranch_vccnz .LBB145_378
; %bb.377:
	s_delay_alu instid0(VALU_DEP_1) | instskip(NEXT) | instid1(VALU_DEP_2)
	v_add_co_u32 v4, vcc_lo, v71, v2
	v_add_co_ci_u32_e32 v5, vcc_lo, v72, v3, vcc_lo
	flat_load_b64 v[4:5], v[4:5]
	s_waitcnt vmcnt(0) lgkmcnt(0)
	v_mul_f64 v[4:5], v[4:5], s[38:39]
	s_branch .LBB145_379
.LBB145_378:
	v_mov_b32_e32 v4, 0
	v_mov_b32_e32 v5, 0
.LBB145_379:
	s_waitcnt vmcnt(0)
	s_delay_alu instid0(VALU_DEP_1)
	v_add_f64 v[0:1], v[0:1], v[4:5]
	v_add_co_u32 v2, vcc_lo, v68, v2
	v_add_co_ci_u32_e32 v3, vcc_lo, v69, v3, vcc_lo
	global_store_b64 v[2:3], v[0:1], off
	s_or_b32 exec_lo, exec_lo, s0
	s_and_b32 s1, s11, s29
	s_delay_alu instid0(SALU_CYCLE_1)
	s_and_saveexec_b32 s0, s1
	s_cbranch_execz .LBB145_264
.LBB145_380:
	scratch_load_b64 v[0:1], off, off offset:480
	v_cmp_ne_u32_e32 vcc_lo, 1, v70
	v_lshlrev_b64 v[2:3], 3, v[56:57]
	s_cbranch_vccnz .LBB145_382
; %bb.381:
	s_delay_alu instid0(VALU_DEP_1) | instskip(NEXT) | instid1(VALU_DEP_2)
	v_add_co_u32 v4, vcc_lo, v71, v2
	v_add_co_ci_u32_e32 v5, vcc_lo, v72, v3, vcc_lo
	flat_load_b64 v[4:5], v[4:5]
	s_waitcnt vmcnt(0) lgkmcnt(0)
	v_mul_f64 v[4:5], v[4:5], s[38:39]
	s_branch .LBB145_383
.LBB145_382:
	v_mov_b32_e32 v4, 0
	v_mov_b32_e32 v5, 0
.LBB145_383:
	s_waitcnt vmcnt(0)
	s_delay_alu instid0(VALU_DEP_1)
	v_add_f64 v[0:1], v[0:1], v[4:5]
	v_add_co_u32 v2, vcc_lo, v68, v2
	v_add_co_ci_u32_e32 v3, vcc_lo, v69, v3, vcc_lo
	global_store_b64 v[2:3], v[0:1], off
	s_or_b32 exec_lo, exec_lo, s0
	s_and_b32 s1, s11, s30
	s_delay_alu instid0(SALU_CYCLE_1)
	s_and_saveexec_b32 s0, s1
	s_cbranch_execz .LBB145_265
.LBB145_384:
	scratch_load_b64 v[0:1], off, off offset:488
	v_cmp_ne_u32_e32 vcc_lo, 1, v70
	v_lshlrev_b64 v[2:3], 3, v[58:59]
	s_cbranch_vccnz .LBB145_386
; %bb.385:
	s_delay_alu instid0(VALU_DEP_1) | instskip(NEXT) | instid1(VALU_DEP_2)
	v_add_co_u32 v4, vcc_lo, v71, v2
	v_add_co_ci_u32_e32 v5, vcc_lo, v72, v3, vcc_lo
	flat_load_b64 v[4:5], v[4:5]
	s_waitcnt vmcnt(0) lgkmcnt(0)
	v_mul_f64 v[4:5], v[4:5], s[38:39]
	s_branch .LBB145_387
.LBB145_386:
	v_mov_b32_e32 v4, 0
	v_mov_b32_e32 v5, 0
.LBB145_387:
	s_waitcnt vmcnt(0)
	s_delay_alu instid0(VALU_DEP_1)
	v_add_f64 v[0:1], v[0:1], v[4:5]
	v_add_co_u32 v2, vcc_lo, v68, v2
	v_add_co_ci_u32_e32 v3, vcc_lo, v69, v3, vcc_lo
	global_store_b64 v[2:3], v[0:1], off
	s_or_b32 exec_lo, exec_lo, s0
	s_and_b32 s1, s11, s31
	s_delay_alu instid0(SALU_CYCLE_1)
	s_and_saveexec_b32 s0, s1
	s_cbranch_execz .LBB145_266
.LBB145_388:
	scratch_load_b64 v[0:1], off, off offset:496
	v_cmp_ne_u32_e32 vcc_lo, 1, v70
	v_lshlrev_b64 v[2:3], 3, v[60:61]
	s_cbranch_vccnz .LBB145_390
; %bb.389:
	s_delay_alu instid0(VALU_DEP_1) | instskip(NEXT) | instid1(VALU_DEP_2)
	v_add_co_u32 v4, vcc_lo, v71, v2
	v_add_co_ci_u32_e32 v5, vcc_lo, v72, v3, vcc_lo
	flat_load_b64 v[4:5], v[4:5]
	s_waitcnt vmcnt(0) lgkmcnt(0)
	v_mul_f64 v[4:5], v[4:5], s[38:39]
	s_branch .LBB145_391
.LBB145_390:
	v_mov_b32_e32 v4, 0
	v_mov_b32_e32 v5, 0
.LBB145_391:
	s_waitcnt vmcnt(0)
	s_delay_alu instid0(VALU_DEP_1)
	v_add_f64 v[0:1], v[0:1], v[4:5]
	v_add_co_u32 v2, vcc_lo, v68, v2
	v_add_co_ci_u32_e32 v3, vcc_lo, v69, v3, vcc_lo
	global_store_b64 v[2:3], v[0:1], off
	s_or_b32 exec_lo, exec_lo, s0
	s_and_b32 s0, s11, s33
	s_delay_alu instid0(SALU_CYCLE_1)
	s_and_saveexec_b32 s1, s0
	s_cbranch_execz .LBB145_267
.LBB145_392:
	scratch_load_b64 v[0:1], off, off offset:504
	v_cmp_ne_u32_e32 vcc_lo, 1, v70
	v_lshlrev_b64 v[2:3], 3, v[62:63]
	s_cbranch_vccnz .LBB145_394
; %bb.393:
	s_delay_alu instid0(VALU_DEP_1) | instskip(NEXT) | instid1(VALU_DEP_2)
	v_add_co_u32 v4, vcc_lo, v71, v2
	v_add_co_ci_u32_e32 v5, vcc_lo, v72, v3, vcc_lo
	flat_load_b64 v[4:5], v[4:5]
	s_waitcnt vmcnt(0) lgkmcnt(0)
	v_mul_f64 v[4:5], v[4:5], s[38:39]
	s_branch .LBB145_395
.LBB145_394:
	v_mov_b32_e32 v4, 0
	v_mov_b32_e32 v5, 0
.LBB145_395:
	s_waitcnt vmcnt(0)
	s_delay_alu instid0(VALU_DEP_1)
	v_add_f64 v[0:1], v[0:1], v[4:5]
	v_add_co_u32 v2, vcc_lo, v68, v2
	v_add_co_ci_u32_e32 v3, vcc_lo, v69, v3, vcc_lo
	global_store_b64 v[2:3], v[0:1], off
	s_endpgm
	.section	.rodata,"a",@progbits
	.p2align	6, 0x0
	.amdhsa_kernel _ZN12_GLOBAL__N_120geam_min_plus_kernelIdddLi4ELi64ELi128ELi128ELi4ELi64ELi4ELi64ELi4ELc78ELc84ELb1ELb1ELb0EdKPKdKPdEEviiiT16_PT17_ilS8_ilS6_S8_ilPT18_ili26rocblas_geam_ex_operation_
		.amdhsa_group_segment_fixed_size 16384
		.amdhsa_private_segment_fixed_size 528
		.amdhsa_kernarg_size 136
		.amdhsa_user_sgpr_count 14
		.amdhsa_user_sgpr_dispatch_ptr 0
		.amdhsa_user_sgpr_queue_ptr 0
		.amdhsa_user_sgpr_kernarg_segment_ptr 1
		.amdhsa_user_sgpr_dispatch_id 0
		.amdhsa_user_sgpr_private_segment_size 0
		.amdhsa_wavefront_size32 1
		.amdhsa_uses_dynamic_stack 0
		.amdhsa_enable_private_segment 1
		.amdhsa_system_sgpr_workgroup_id_x 1
		.amdhsa_system_sgpr_workgroup_id_y 0
		.amdhsa_system_sgpr_workgroup_id_z 1
		.amdhsa_system_sgpr_workgroup_info 0
		.amdhsa_system_vgpr_workitem_id 1
		.amdhsa_next_free_vgpr 251
		.amdhsa_next_free_sgpr 46
		.amdhsa_reserve_vcc 1
		.amdhsa_float_round_mode_32 0
		.amdhsa_float_round_mode_16_64 0
		.amdhsa_float_denorm_mode_32 3
		.amdhsa_float_denorm_mode_16_64 3
		.amdhsa_dx10_clamp 1
		.amdhsa_ieee_mode 1
		.amdhsa_fp16_overflow 0
		.amdhsa_workgroup_processor_mode 1
		.amdhsa_memory_ordered 1
		.amdhsa_forward_progress 0
		.amdhsa_shared_vgpr_count 0
		.amdhsa_exception_fp_ieee_invalid_op 0
		.amdhsa_exception_fp_denorm_src 0
		.amdhsa_exception_fp_ieee_div_zero 0
		.amdhsa_exception_fp_ieee_overflow 0
		.amdhsa_exception_fp_ieee_underflow 0
		.amdhsa_exception_fp_ieee_inexact 0
		.amdhsa_exception_int_div_zero 0
	.end_amdhsa_kernel
	.section	.text._ZN12_GLOBAL__N_120geam_min_plus_kernelIdddLi4ELi64ELi128ELi128ELi4ELi64ELi4ELi64ELi4ELc78ELc84ELb1ELb1ELb0EdKPKdKPdEEviiiT16_PT17_ilS8_ilS6_S8_ilPT18_ili26rocblas_geam_ex_operation_,"axG",@progbits,_ZN12_GLOBAL__N_120geam_min_plus_kernelIdddLi4ELi64ELi128ELi128ELi4ELi64ELi4ELi64ELi4ELc78ELc84ELb1ELb1ELb0EdKPKdKPdEEviiiT16_PT17_ilS8_ilS6_S8_ilPT18_ili26rocblas_geam_ex_operation_,comdat
.Lfunc_end145:
	.size	_ZN12_GLOBAL__N_120geam_min_plus_kernelIdddLi4ELi64ELi128ELi128ELi4ELi64ELi4ELi64ELi4ELc78ELc84ELb1ELb1ELb0EdKPKdKPdEEviiiT16_PT17_ilS8_ilS6_S8_ilPT18_ili26rocblas_geam_ex_operation_, .Lfunc_end145-_ZN12_GLOBAL__N_120geam_min_plus_kernelIdddLi4ELi64ELi128ELi128ELi4ELi64ELi4ELi64ELi4ELc78ELc84ELb1ELb1ELb0EdKPKdKPdEEviiiT16_PT17_ilS8_ilS6_S8_ilPT18_ili26rocblas_geam_ex_operation_
                                        ; -- End function
	.section	.AMDGPU.csdata,"",@progbits
; Kernel info:
; codeLenInByte = 47040
; NumSgprs: 48
; NumVgprs: 251
; ScratchSize: 528
; MemoryBound: 1
; FloatMode: 240
; IeeeMode: 1
; LDSByteSize: 16384 bytes/workgroup (compile time only)
; SGPRBlocks: 5
; VGPRBlocks: 31
; NumSGPRsForWavesPerEU: 48
; NumVGPRsForWavesPerEU: 251
; Occupancy: 5
; WaveLimiterHint : 1
; COMPUTE_PGM_RSRC2:SCRATCH_EN: 1
; COMPUTE_PGM_RSRC2:USER_SGPR: 14
; COMPUTE_PGM_RSRC2:TRAP_HANDLER: 0
; COMPUTE_PGM_RSRC2:TGID_X_EN: 1
; COMPUTE_PGM_RSRC2:TGID_Y_EN: 0
; COMPUTE_PGM_RSRC2:TGID_Z_EN: 1
; COMPUTE_PGM_RSRC2:TIDIG_COMP_CNT: 1
	.section	.text._ZN12_GLOBAL__N_120geam_min_plus_kernelIdddLi4ELi64ELi128ELi128ELi4ELi64ELi4ELi64ELi4ELc78ELc84ELb0ELb1ELb0EdKPKdKPdEEviiiT16_PT17_ilS8_ilS6_S8_ilPT18_ili26rocblas_geam_ex_operation_,"axG",@progbits,_ZN12_GLOBAL__N_120geam_min_plus_kernelIdddLi4ELi64ELi128ELi128ELi4ELi64ELi4ELi64ELi4ELc78ELc84ELb0ELb1ELb0EdKPKdKPdEEviiiT16_PT17_ilS8_ilS6_S8_ilPT18_ili26rocblas_geam_ex_operation_,comdat
	.globl	_ZN12_GLOBAL__N_120geam_min_plus_kernelIdddLi4ELi64ELi128ELi128ELi4ELi64ELi4ELi64ELi4ELc78ELc84ELb0ELb1ELb0EdKPKdKPdEEviiiT16_PT17_ilS8_ilS6_S8_ilPT18_ili26rocblas_geam_ex_operation_ ; -- Begin function _ZN12_GLOBAL__N_120geam_min_plus_kernelIdddLi4ELi64ELi128ELi128ELi4ELi64ELi4ELi64ELi4ELc78ELc84ELb0ELb1ELb0EdKPKdKPdEEviiiT16_PT17_ilS8_ilS6_S8_ilPT18_ili26rocblas_geam_ex_operation_
	.p2align	8
	.type	_ZN12_GLOBAL__N_120geam_min_plus_kernelIdddLi4ELi64ELi128ELi128ELi4ELi64ELi4ELi64ELi4ELc78ELc84ELb0ELb1ELb0EdKPKdKPdEEviiiT16_PT17_ilS8_ilS6_S8_ilPT18_ili26rocblas_geam_ex_operation_,@function
_ZN12_GLOBAL__N_120geam_min_plus_kernelIdddLi4ELi64ELi128ELi128ELi4ELi64ELi4ELi64ELi4ELc78ELc84ELb0ELb1ELb0EdKPKdKPdEEviiiT16_PT17_ilS8_ilS6_S8_ilPT18_ili26rocblas_geam_ex_operation_: ; @_ZN12_GLOBAL__N_120geam_min_plus_kernelIdddLi4ELi64ELi128ELi128ELi4ELi64ELi4ELi64ELi4ELc78ELc84ELb0ELb1ELb0EdKPKdKPdEEviiiT16_PT17_ilS8_ilS6_S8_ilPT18_ili26rocblas_geam_ex_operation_
; %bb.0:
	s_clause 0x1
	s_load_b128 s[8:11], s[0:1], 0x10
	s_load_b128 s[4:7], s[0:1], 0x28
	s_mov_b32 s2, s15
	s_mov_b64 s[16:17], 0
	s_waitcnt lgkmcnt(0)
	v_cmp_eq_f64_e64 s15, s[8:9], 0
	s_delay_alu instid0(VALU_DEP_1)
	s_and_b32 vcc_lo, exec_lo, s15
	s_cbranch_vccnz .LBB146_2
; %bb.1:
	s_mov_b32 s3, 0
	s_delay_alu instid0(SALU_CYCLE_1) | instskip(NEXT) | instid1(SALU_CYCLE_1)
	s_lshl_b64 s[12:13], s[2:3], 3
	s_add_u32 s10, s10, s12
	s_addc_u32 s11, s11, s13
	s_lshl_b64 s[4:5], s[4:5], 3
	s_load_b64 s[10:11], s[10:11], 0x0
	s_waitcnt lgkmcnt(0)
	s_add_u32 s16, s10, s4
	s_addc_u32 s17, s11, s5
.LBB146_2:
	s_clause 0x1
	s_load_b128 s[36:39], s[0:1], 0x40
	s_load_b64 s[12:13], s[0:1], 0x50
	s_and_not1_b32 vcc_lo, exec_lo, s15
	s_cbranch_vccnz .LBB146_4
; %bb.3:
	s_mov_b32 s3, 0
	s_mov_b64 s[10:11], 0
	s_cbranch_execz .LBB146_5
	s_branch .LBB146_6
.LBB146_4:
	s_mov_b32 s3, -1
                                        ; implicit-def: $sgpr10_sgpr11
.LBB146_5:
	s_mov_b32 s3, 0
	s_delay_alu instid0(SALU_CYCLE_1) | instskip(NEXT) | instid1(SALU_CYCLE_1)
	s_lshl_b64 s[4:5], s[2:3], 3
	s_add_u32 s4, s6, s4
	s_addc_u32 s5, s7, s5
	s_waitcnt lgkmcnt(0)
	s_lshl_b64 s[6:7], s[36:37], 3
	s_load_b64 s[4:5], s[4:5], 0x0
	s_waitcnt lgkmcnt(0)
	s_add_u32 s10, s4, s6
	s_addc_u32 s11, s5, s7
.LBB146_6:
	s_waitcnt lgkmcnt(0)
	v_cmp_eq_f64_e64 s15, s[38:39], 0
	v_cmp_neq_f64_e64 s36, s[38:39], 0
	s_load_b128 s[4:7], s[0:1], 0x60
	s_mov_b64 s[34:35], 0
	s_delay_alu instid0(VALU_DEP_2)
	s_and_b32 vcc_lo, exec_lo, s15
	s_cbranch_vccnz .LBB146_8
; %bb.7:
	s_lshl_b64 s[18:19], s[2:3], 3
	s_delay_alu instid0(SALU_CYCLE_1)
	s_add_u32 s12, s12, s18
	s_addc_u32 s13, s13, s19
	s_waitcnt lgkmcnt(0)
	s_lshl_b64 s[4:5], s[4:5], 3
	s_load_b64 s[12:13], s[12:13], 0x0
	s_waitcnt lgkmcnt(0)
	s_add_u32 s34, s12, s4
	s_addc_u32 s35, s13, s5
.LBB146_8:
	s_clause 0x1
	s_load_b128 s[40:43], s[0:1], 0x0
	s_load_b32 s18, s[0:1], 0x20
	s_lshl_b64 s[2:3], s[2:3], 3
	s_waitcnt lgkmcnt(0)
	s_mov_b32 s4, 0
	s_add_u32 s2, s6, s2
	s_addc_u32 s3, s7, s3
	s_mov_b32 s5, s4
	s_load_b64 s[12:13], s[2:3], 0x0
	v_and_b32_e32 v80, 0x3ff, v0
	v_bfe_u32 v81, v0, 10, 10
	v_cmp_eq_f64_e64 s19, s[8:9], 0
	s_add_i32 s2, s40, -1
	s_delay_alu instid0(SALU_CYCLE_1) | instskip(NEXT) | instid1(SALU_CYCLE_1)
	s_ashr_i32 s3, s2, 31
	s_lshr_b32 s3, s3, 25
	s_delay_alu instid0(SALU_CYCLE_1) | instskip(NEXT) | instid1(SALU_CYCLE_1)
	s_add_i32 s2, s2, s3
	s_ashr_i32 s2, s2, 7
	s_delay_alu instid0(SALU_CYCLE_1) | instskip(SKIP_2) | instid1(VALU_DEP_1)
	s_add_i32 s3, s2, 1
	s_not_b32 s2, s2
	v_cvt_f32_u32_e32 v1, s3
	v_rcp_iflag_f32_e32 v1, v1
	v_dual_mov_b32 v4, s4 :: v_dual_mov_b32 v5, s5
	v_lshl_add_u32 v0, v81, 2, v80
	s_delay_alu instid0(VALU_DEP_1)
	v_lshrrev_b32_e32 v82, 6, v0
	s_waitcnt_depctr 0xfff
	v_dual_mul_f32 v1, 0x4f7ffffe, v1 :: v_dual_and_b32 v88, 63, v0
	s_clause 0xa
	scratch_store_b64 off, v[4:5], off
	scratch_store_b64 off, v[4:5], off offset:8
	scratch_store_b64 off, v[4:5], off offset:16
	;; [unrolled: 1-line block ×10, first 2 shown]
	v_cvt_u32_f32_e32 v1, v1
	v_cmp_le_i32_e32 vcc_lo, s42, v82
	s_clause 0x5
	scratch_store_b64 off, v[4:5], off offset:88
	scratch_store_b64 off, v[4:5], off offset:96
	;; [unrolled: 1-line block ×6, first 2 shown]
	v_readfirstlane_b32 s4, v1
	s_clause 0x12
	scratch_store_b64 off, v[4:5], off offset:136
	scratch_store_b64 off, v[4:5], off offset:144
	;; [unrolled: 1-line block ×19, first 2 shown]
	s_mul_i32 s2, s2, s4
	s_clause 0x3
	scratch_store_b64 off, v[4:5], off offset:288
	scratch_store_b64 off, v[4:5], off offset:296
	;; [unrolled: 1-line block ×4, first 2 shown]
	s_mul_hi_u32 s2, s4, s2
	s_clause 0x3
	scratch_store_b64 off, v[4:5], off offset:320
	scratch_store_b64 off, v[4:5], off offset:328
	;; [unrolled: 1-line block ×4, first 2 shown]
	s_add_i32 s4, s4, s2
	scratch_store_b64 off, v[4:5], off offset:352
	s_mul_hi_u32 s2, s14, s4
	s_clause 0x5
	scratch_store_b64 off, v[4:5], off offset:360
	scratch_store_b64 off, v[4:5], off offset:368
	scratch_store_b64 off, v[4:5], off offset:376
	scratch_store_b64 off, v[4:5], off offset:384
	scratch_store_b64 off, v[4:5], off offset:392
	scratch_store_b64 off, v[4:5], off offset:400
	s_mul_i32 s4, s2, s3
	s_add_i32 s5, s2, 1
	s_sub_i32 s4, s14, s4
	scratch_store_b64 off, v[4:5], off offset:408
	s_sub_i32 s6, s4, s3
	s_cmp_ge_u32 s4, s3
	s_clause 0x2
	scratch_store_b64 off, v[4:5], off offset:416
	scratch_store_b64 off, v[4:5], off offset:424
	;; [unrolled: 1-line block ×3, first 2 shown]
	s_cselect_b32 s2, s5, s2
	s_cselect_b32 s4, s6, s4
	s_add_i32 s5, s2, 1
	s_cmp_ge_u32 s4, s3
	s_clause 0x4
	scratch_store_b64 off, v[4:5], off offset:440
	scratch_store_b64 off, v[4:5], off offset:448
	;; [unrolled: 1-line block ×5, first 2 shown]
	s_cselect_b32 s5, s5, s2
	s_add_i32 s20, s42, -1
	s_mul_i32 s2, s5, s3
	v_min_i32_e32 v6, s20, v82
	s_sub_i32 s2, s14, s2
	s_clause 0x3
	scratch_store_b64 off, v[4:5], off offset:480
	scratch_store_b64 off, v[4:5], off offset:488
	scratch_store_b64 off, v[4:5], off offset:496
	scratch_store_b64 off, v[4:5], off offset:504
	v_mad_i64_i32 v[0:1], null, s18, v6, 0
	s_lshl_b32 s14, s2, 7
	s_delay_alu instid0(VALU_DEP_1) | instskip(SKIP_3) | instid1(VALU_DEP_4)
	v_lshlrev_b64 v[2:3], 3, v[0:1]
	v_mov_b32_e32 v0, 0
	v_mov_b32_e32 v1, 0
	v_or_b32_e32 v68, s14, v88
	v_add_co_u32 v7, s3, s16, v2
	s_delay_alu instid0(VALU_DEP_2) | instskip(SKIP_3) | instid1(VALU_DEP_4)
	v_cmp_le_i32_e64 s2, s40, v68
	v_add_co_ci_u32_e64 v8, s3, s17, v3, s3
	v_ashrrev_i32_e32 v69, 31, v68
	v_dual_mov_b32 v3, v1 :: v_dual_mov_b32 v2, v0
	s_or_b32 s3, s2, vcc_lo
	s_delay_alu instid0(SALU_CYCLE_1) | instskip(NEXT) | instid1(SALU_CYCLE_1)
	s_or_b32 s3, s19, s3
	s_xor_b32 s3, s3, -1
	s_delay_alu instid0(SALU_CYCLE_1)
	s_and_saveexec_b32 s4, s3
	s_cbranch_execz .LBB146_10
; %bb.9:
	v_lshlrev_b64 v[2:3], 3, v[68:69]
	s_delay_alu instid0(VALU_DEP_1) | instskip(NEXT) | instid1(VALU_DEP_1)
	v_add_co_u32 v2, s3, v7, v2
	v_add_co_ci_u32_e64 v3, s3, v8, v3, s3
	flat_load_b64 v[2:3], v[2:3]
	s_waitcnt vmcnt(0) lgkmcnt(0)
	v_mul_f64 v[2:3], v[2:3], s[8:9]
.LBB146_10:
	s_or_b32 exec_lo, exec_lo, s4
	v_or_b32_e32 v4, 64, v68
	s_delay_alu instid0(VALU_DEP_1) | instskip(SKIP_1) | instid1(VALU_DEP_2)
	v_cmp_le_i32_e64 s3, s40, v4
	v_dual_mov_b32 v5, v1 :: v_dual_mov_b32 v4, v0
	s_or_b32 s4, s3, vcc_lo
	s_delay_alu instid0(SALU_CYCLE_1) | instskip(NEXT) | instid1(SALU_CYCLE_1)
	s_or_b32 s4, s19, s4
	s_xor_b32 s4, s4, -1
	s_delay_alu instid0(SALU_CYCLE_1)
	s_and_saveexec_b32 s6, s4
	s_cbranch_execz .LBB146_12
; %bb.11:
	v_lshlrev_b64 v[4:5], 3, v[68:69]
	s_delay_alu instid0(VALU_DEP_1) | instskip(NEXT) | instid1(VALU_DEP_1)
	v_add_co_u32 v4, s4, v7, v4
	v_add_co_ci_u32_e64 v5, s4, v8, v5, s4
	flat_load_b64 v[4:5], v[4:5] offset:512
	s_waitcnt vmcnt(0) lgkmcnt(0)
	v_mul_f64 v[4:5], v[4:5], s[8:9]
.LBB146_12:
	s_or_b32 exec_lo, exec_lo, s6
	s_load_b32 s21, s[0:1], 0x38
	s_lshl_b32 s15, s5, 7
	s_delay_alu instid0(SALU_CYCLE_1) | instskip(NEXT) | instid1(VALU_DEP_1)
	v_or_b32_e32 v70, s15, v88
	v_cmp_le_i32_e64 s4, s41, v70
	v_ashrrev_i32_e32 v71, 31, v70
	s_delay_alu instid0(VALU_DEP_2) | instskip(SKIP_2) | instid1(VALU_DEP_1)
	s_or_b32 s6, s4, vcc_lo
	s_waitcnt lgkmcnt(0)
	v_mad_i64_i32 v[7:8], null, s21, v6, 0
	v_lshlrev_b64 v[6:7], 3, v[7:8]
	s_delay_alu instid0(VALU_DEP_1) | instskip(NEXT) | instid1(VALU_DEP_1)
	v_add_co_u32 v8, s5, s10, v6
	v_add_co_ci_u32_e64 v9, s5, s11, v7, s5
	s_or_b32 s5, s19, s6
	s_delay_alu instid0(SALU_CYCLE_1) | instskip(NEXT) | instid1(SALU_CYCLE_1)
	s_xor_b32 s5, s5, -1
	s_and_saveexec_b32 s6, s5
	s_cbranch_execz .LBB146_14
; %bb.13:
	v_lshlrev_b64 v[0:1], 3, v[70:71]
	s_delay_alu instid0(VALU_DEP_1) | instskip(NEXT) | instid1(VALU_DEP_1)
	v_add_co_u32 v0, s5, v8, v0
	v_add_co_ci_u32_e64 v1, s5, v9, v1, s5
	flat_load_b64 v[0:1], v[0:1]
	s_waitcnt vmcnt(0) lgkmcnt(0)
	v_mul_f64 v[0:1], v[0:1], s[8:9]
.LBB146_14:
	s_or_b32 exec_lo, exec_lo, s6
	v_or_b32_e32 v6, 64, v70
	v_mov_b32_e32 v72, 0
	v_mov_b32_e32 v73, 0
	s_delay_alu instid0(VALU_DEP_3) | instskip(NEXT) | instid1(VALU_DEP_2)
	v_cmp_le_i32_e64 s5, s41, v6
	v_dual_mov_b32 v6, v72 :: v_dual_mov_b32 v7, v73
	s_delay_alu instid0(VALU_DEP_2) | instskip(NEXT) | instid1(SALU_CYCLE_1)
	s_or_b32 s6, s5, vcc_lo
	s_or_b32 s6, s19, s6
	s_delay_alu instid0(SALU_CYCLE_1) | instskip(NEXT) | instid1(SALU_CYCLE_1)
	s_xor_b32 s7, s6, -1
	s_and_saveexec_b32 s6, s7
	s_cbranch_execz .LBB146_16
; %bb.15:
	v_lshlrev_b64 v[6:7], 3, v[70:71]
	s_delay_alu instid0(VALU_DEP_1) | instskip(NEXT) | instid1(VALU_DEP_2)
	v_add_co_u32 v6, vcc_lo, v8, v6
	v_add_co_ci_u32_e32 v7, vcc_lo, v9, v7, vcc_lo
	flat_load_b64 v[6:7], v[6:7] offset:512
	s_waitcnt vmcnt(0) lgkmcnt(0)
	v_mul_f64 v[6:7], v[6:7], s[8:9]
.LBB146_16:
	s_or_b32 exec_lo, exec_lo, s6
	v_add_nc_u32_e32 v11, 4, v82
	s_delay_alu instid0(VALU_DEP_1) | instskip(SKIP_1) | instid1(VALU_DEP_2)
	v_min_i32_e32 v8, s20, v11
	v_cmp_le_i32_e32 vcc_lo, s42, v11
	v_mad_i64_i32 v[9:10], null, s18, v8, 0
	s_or_b32 s7, s2, vcc_lo
	s_delay_alu instid0(VALU_DEP_1) | instskip(NEXT) | instid1(VALU_DEP_1)
	v_lshlrev_b64 v[9:10], 3, v[9:10]
	v_add_co_u32 v9, s6, s16, v9
	s_delay_alu instid0(VALU_DEP_1) | instskip(SKIP_1) | instid1(SALU_CYCLE_1)
	v_add_co_ci_u32_e64 v10, s6, s17, v10, s6
	s_or_b32 s6, s19, s7
	s_xor_b32 s6, s6, -1
	s_delay_alu instid0(SALU_CYCLE_1)
	s_and_saveexec_b32 s7, s6
	s_cbranch_execz .LBB146_18
; %bb.17:
	v_lshlrev_b64 v[11:12], 3, v[68:69]
	s_delay_alu instid0(VALU_DEP_1) | instskip(NEXT) | instid1(VALU_DEP_1)
	v_add_co_u32 v11, s6, v9, v11
	v_add_co_ci_u32_e64 v12, s6, v10, v12, s6
	flat_load_b64 v[11:12], v[11:12]
	s_waitcnt vmcnt(0) lgkmcnt(0)
	v_mul_f64 v[72:73], v[11:12], s[8:9]
.LBB146_18:
	s_or_b32 exec_lo, exec_lo, s7
	v_mov_b32_e32 v74, 0
	v_mov_b32_e32 v75, 0
	s_or_b32 s6, s3, vcc_lo
	s_delay_alu instid0(SALU_CYCLE_1) | instskip(NEXT) | instid1(SALU_CYCLE_1)
	s_or_b32 s6, s19, s6
	s_xor_b32 s6, s6, -1
	s_delay_alu instid0(VALU_DEP_1)
	v_dual_mov_b32 v77, v75 :: v_dual_mov_b32 v76, v74
	s_and_saveexec_b32 s7, s6
	s_cbranch_execz .LBB146_20
; %bb.19:
	v_lshlrev_b64 v[11:12], 3, v[68:69]
	s_delay_alu instid0(VALU_DEP_1) | instskip(NEXT) | instid1(VALU_DEP_1)
	v_add_co_u32 v9, s6, v9, v11
	v_add_co_ci_u32_e64 v10, s6, v10, v12, s6
	flat_load_b64 v[9:10], v[9:10] offset:512
	s_waitcnt vmcnt(0) lgkmcnt(0)
	v_mul_f64 v[76:77], v[9:10], s[8:9]
.LBB146_20:
	s_or_b32 exec_lo, exec_lo, s7
	v_mad_i64_i32 v[9:10], null, s21, v8, 0
	s_or_b32 s7, s4, vcc_lo
	s_delay_alu instid0(VALU_DEP_1) | instskip(NEXT) | instid1(VALU_DEP_1)
	v_lshlrev_b64 v[8:9], 3, v[9:10]
	v_add_co_u32 v8, s6, s10, v8
	s_delay_alu instid0(VALU_DEP_1) | instskip(SKIP_1) | instid1(SALU_CYCLE_1)
	v_add_co_ci_u32_e64 v9, s6, s11, v9, s6
	s_or_b32 s6, s19, s7
	s_xor_b32 s6, s6, -1
	s_delay_alu instid0(SALU_CYCLE_1)
	s_and_saveexec_b32 s7, s6
	s_cbranch_execz .LBB146_22
; %bb.21:
	v_lshlrev_b64 v[10:11], 3, v[70:71]
	s_delay_alu instid0(VALU_DEP_1) | instskip(NEXT) | instid1(VALU_DEP_1)
	v_add_co_u32 v10, s6, v8, v10
	v_add_co_ci_u32_e64 v11, s6, v9, v11, s6
	flat_load_b64 v[10:11], v[10:11]
	s_waitcnt vmcnt(0) lgkmcnt(0)
	v_mul_f64 v[74:75], v[10:11], s[8:9]
.LBB146_22:
	s_or_b32 exec_lo, exec_lo, s7
	s_or_b32 s6, s5, vcc_lo
	v_mov_b32_e32 v78, 0
	v_mov_b32_e32 v79, 0
	s_or_b32 s6, s19, s6
	s_delay_alu instid0(SALU_CYCLE_1) | instskip(NEXT) | instid1(SALU_CYCLE_1)
	s_xor_b32 s7, s6, -1
	s_and_saveexec_b32 s6, s7
	s_cbranch_execz .LBB146_24
; %bb.23:
	v_lshlrev_b64 v[10:11], 3, v[70:71]
	s_delay_alu instid0(VALU_DEP_1) | instskip(NEXT) | instid1(VALU_DEP_2)
	v_add_co_u32 v8, vcc_lo, v8, v10
	v_add_co_ci_u32_e32 v9, vcc_lo, v9, v11, vcc_lo
	flat_load_b64 v[8:9], v[8:9] offset:512
	s_waitcnt vmcnt(0) lgkmcnt(0)
	v_mul_f64 v[78:79], v[8:9], s[8:9]
.LBB146_24:
	s_or_b32 exec_lo, exec_lo, s6
	v_dual_mov_b32 v89, 0 :: v_dual_lshlrev_b32 v8, 3, v82
	v_dual_mov_b32 v90, 8 :: v_dual_lshlrev_b32 v83, 5, v80
	;; [unrolled: 1-line block ×3, first 2 shown]
	s_delay_alu instid0(VALU_DEP_3) | instskip(NEXT) | instid1(VALU_DEP_3)
	v_lshl_add_u32 v84, v88, 5, v8
	v_dual_mov_b32 v91, 16 :: v_dual_add_nc_u32 v48, 0x800, v83
	s_delay_alu instid0(VALU_DEP_3)
	v_dual_mov_b32 v94, 40 :: v_dual_add_nc_u32 v87, 0x2000, v85
	ds_store_2addr_stride64_b64 v84, v[2:3], v[4:5] offset1:4
	ds_store_2addr_stride64_b64 v84, v[0:1], v[6:7] offset0:16 offset1:20
	s_waitcnt lgkmcnt(0)
	s_waitcnt_vscnt null, 0x0
	s_barrier
	buffer_gl0_inv
	ds_load_2addr_b64 v[0:3], v83 offset1:16
	ds_load_2addr_b64 v[4:7], v83 offset0:32 offset1:48
	ds_load_2addr_b64 v[8:11], v83 offset0:64 offset1:80
	;; [unrolled: 1-line block ×4, first 2 shown]
	ds_load_2addr_b64 v[20:23], v48 offset1:16
	ds_load_2addr_b64 v[24:27], v48 offset0:32 offset1:48
	ds_load_2addr_b64 v[28:31], v48 offset0:64 offset1:80
	;; [unrolled: 1-line block ×10, first 2 shown]
	ds_load_2addr_stride64_b64 v[64:67], v85 offset0:16 offset1:20
	v_or_b32_e32 v86, 0x2000, v84
	v_dual_mov_b32 v93, 32 :: v_dual_mov_b32 v96, 56
	v_dual_mov_b32 v95, 48 :: v_dual_mov_b32 v98, 0x48
	;; [unrolled: 1-line block ×3, first 2 shown]
	v_mov_b32_e32 v99, 0x50
	v_mov_b32_e32 v101, 0x60
	;; [unrolled: 1-line block ×21, first 2 shown]
	s_mov_b64 s[6:7], 0
	s_mov_b32 s22, -1
.LBB146_25:                             ; =>This Inner Loop Header: Depth=1
	scratch_load_b64 v[121:122], v89, off
	scratch_load_b64 v[123:124], v90, off
	;; [unrolled: 1-line block ×32, first 2 shown]
	s_cmp_eq_u32 s6, 1
	s_waitcnt lgkmcnt(16)
	v_max_f64 v[187:188], v[0:1], v[0:1]
	s_cselect_b32 vcc_lo, -1, 0
	v_max_f64 v[189:190], v[2:3], v[2:3]
	s_waitcnt lgkmcnt(0)
	v_dual_cndmask_b32 v186, v65, v67 :: v_dual_cndmask_b32 v185, v64, v66
	v_max_f64 v[191:192], v[4:5], v[4:5]
	v_max_f64 v[193:194], v[6:7], v[6:7]
	;; [unrolled: 1-line block ×31, first 2 shown]
	s_mov_b64 s[6:7], 1
	s_and_b32 vcc_lo, exec_lo, s22
	s_mov_b32 s22, 0
	v_min_f64 v[187:188], v[187:188], v[185:186]
	v_min_f64 v[189:190], v[189:190], v[185:186]
	;; [unrolled: 1-line block ×32, first 2 shown]
	s_waitcnt vmcnt(31)
	v_add_f64 v[121:122], v[121:122], v[187:188]
	s_waitcnt vmcnt(30)
	v_add_f64 v[123:124], v[189:190], v[123:124]
	s_waitcnt vmcnt(29)
	v_add_f64 v[125:126], v[191:192], v[125:126]
	s_waitcnt vmcnt(28)
	v_add_f64 v[127:128], v[193:194], v[127:128]
	s_waitcnt vmcnt(27)
	v_add_f64 v[129:130], v[195:196], v[129:130]
	s_waitcnt vmcnt(26)
	v_add_f64 v[131:132], v[197:198], v[131:132]
	s_waitcnt vmcnt(25)
	v_add_f64 v[133:134], v[199:200], v[133:134]
	s_waitcnt vmcnt(24)
	v_add_f64 v[135:136], v[201:202], v[135:136]
	s_waitcnt vmcnt(23)
	v_add_f64 v[137:138], v[203:204], v[137:138]
	s_waitcnt vmcnt(22)
	v_add_f64 v[139:140], v[205:206], v[139:140]
	s_waitcnt vmcnt(21)
	v_add_f64 v[141:142], v[207:208], v[141:142]
	s_waitcnt vmcnt(20)
	v_add_f64 v[143:144], v[209:210], v[143:144]
	s_waitcnt vmcnt(19)
	v_add_f64 v[145:146], v[211:212], v[145:146]
	s_waitcnt vmcnt(18)
	v_add_f64 v[147:148], v[213:214], v[147:148]
	s_waitcnt vmcnt(17)
	v_add_f64 v[149:150], v[215:216], v[149:150]
	s_waitcnt vmcnt(16)
	v_add_f64 v[151:152], v[217:218], v[151:152]
	s_waitcnt vmcnt(15)
	v_add_f64 v[153:154], v[219:220], v[153:154]
	s_waitcnt vmcnt(14)
	v_add_f64 v[155:156], v[221:222], v[155:156]
	s_waitcnt vmcnt(13)
	v_add_f64 v[157:158], v[223:224], v[157:158]
	s_waitcnt vmcnt(12)
	v_add_f64 v[159:160], v[225:226], v[159:160]
	s_waitcnt vmcnt(11)
	v_add_f64 v[161:162], v[227:228], v[161:162]
	s_waitcnt vmcnt(10)
	v_add_f64 v[163:164], v[229:230], v[163:164]
	s_waitcnt vmcnt(9)
	v_add_f64 v[165:166], v[231:232], v[165:166]
	s_waitcnt vmcnt(8)
	v_add_f64 v[167:168], v[233:234], v[167:168]
	s_waitcnt vmcnt(7)
	v_add_f64 v[169:170], v[235:236], v[169:170]
	s_waitcnt vmcnt(6)
	v_add_f64 v[171:172], v[237:238], v[171:172]
	s_waitcnt vmcnt(5)
	v_add_f64 v[173:174], v[239:240], v[173:174]
	s_waitcnt vmcnt(4)
	v_add_f64 v[175:176], v[241:242], v[175:176]
	s_waitcnt vmcnt(3)
	v_add_f64 v[177:178], v[243:244], v[177:178]
	s_waitcnt vmcnt(2)
	v_add_f64 v[179:180], v[245:246], v[179:180]
	s_waitcnt vmcnt(1)
	v_add_f64 v[181:182], v[247:248], v[181:182]
	s_waitcnt vmcnt(0)
	v_add_f64 v[183:184], v[185:186], v[183:184]
	scratch_store_b64 v89, v[121:122], off
	scratch_store_b64 v90, v[123:124], off
	;; [unrolled: 1-line block ×32, first 2 shown]
	v_mov_b32_e32 v89, 0x100
	v_mov_b32_e32 v90, 0x108
	;; [unrolled: 1-line block ×32, first 2 shown]
	s_cbranch_vccnz .LBB146_25
; %bb.26:
	v_dual_mov_b32 v89, 0 :: v_dual_add_nc_u32 v60, 0x800, v83
	ds_load_2addr_b64 v[0:3], v83 offset0:1 offset1:17
	ds_load_2addr_b64 v[4:7], v83 offset0:33 offset1:49
	;; [unrolled: 1-line block ×12, first 2 shown]
	v_dual_mov_b32 v91, 16 :: v_dual_add_nc_u32 v64, 8, v87
	ds_load_2addr_b64 v[48:51], v60 offset0:129 offset1:145
	ds_load_2addr_b64 v[52:55], v60 offset0:161 offset1:177
	;; [unrolled: 1-line block ×4, first 2 shown]
	ds_load_2addr_stride64_b64 v[64:67], v64 offset1:4
	v_dual_mov_b32 v90, 8 :: v_dual_mov_b32 v93, 32
	v_dual_mov_b32 v92, 24 :: v_dual_mov_b32 v95, 48
	;; [unrolled: 1-line block ×4, first 2 shown]
	v_mov_b32_e32 v98, 0x48
	v_mov_b32_e32 v100, 0x58
	;; [unrolled: 1-line block ×22, first 2 shown]
	s_mov_b64 s[6:7], 0
	s_mov_b32 s22, -1
.LBB146_27:                             ; =>This Inner Loop Header: Depth=1
	scratch_load_b64 v[121:122], v89, off
	scratch_load_b64 v[123:124], v90, off
	;; [unrolled: 1-line block ×32, first 2 shown]
	s_cmp_eq_u32 s6, 1
	s_waitcnt lgkmcnt(16)
	v_max_f64 v[187:188], v[0:1], v[0:1]
	s_cselect_b32 vcc_lo, -1, 0
	v_max_f64 v[189:190], v[2:3], v[2:3]
	s_waitcnt lgkmcnt(0)
	v_dual_cndmask_b32 v186, v65, v67 :: v_dual_cndmask_b32 v185, v64, v66
	v_max_f64 v[191:192], v[4:5], v[4:5]
	v_max_f64 v[193:194], v[6:7], v[6:7]
	v_max_f64 v[195:196], v[8:9], v[8:9]
	v_max_f64 v[197:198], v[10:11], v[10:11]
	v_max_f64 v[185:186], v[185:186], v[185:186]
	v_max_f64 v[199:200], v[12:13], v[12:13]
	v_max_f64 v[201:202], v[14:15], v[14:15]
	v_max_f64 v[203:204], v[16:17], v[16:17]
	v_max_f64 v[205:206], v[18:19], v[18:19]
	v_max_f64 v[207:208], v[20:21], v[20:21]
	v_max_f64 v[209:210], v[22:23], v[22:23]
	v_max_f64 v[211:212], v[24:25], v[24:25]
	v_max_f64 v[213:214], v[26:27], v[26:27]
	v_max_f64 v[215:216], v[28:29], v[28:29]
	v_max_f64 v[217:218], v[30:31], v[30:31]
	v_max_f64 v[219:220], v[32:33], v[32:33]
	v_max_f64 v[221:222], v[34:35], v[34:35]
	v_max_f64 v[223:224], v[36:37], v[36:37]
	v_max_f64 v[225:226], v[38:39], v[38:39]
	v_max_f64 v[227:228], v[40:41], v[40:41]
	v_max_f64 v[229:230], v[42:43], v[42:43]
	v_max_f64 v[231:232], v[44:45], v[44:45]
	v_max_f64 v[233:234], v[46:47], v[46:47]
	v_max_f64 v[235:236], v[48:49], v[48:49]
	v_max_f64 v[237:238], v[50:51], v[50:51]
	v_max_f64 v[239:240], v[52:53], v[52:53]
	v_max_f64 v[241:242], v[54:55], v[54:55]
	v_max_f64 v[243:244], v[56:57], v[56:57]
	v_max_f64 v[245:246], v[58:59], v[58:59]
	v_max_f64 v[247:248], v[60:61], v[60:61]
	v_max_f64 v[249:250], v[62:63], v[62:63]
	s_mov_b64 s[6:7], 1
	s_and_b32 vcc_lo, exec_lo, s22
	s_mov_b32 s22, 0
	v_min_f64 v[187:188], v[187:188], v[185:186]
	v_min_f64 v[189:190], v[189:190], v[185:186]
	;; [unrolled: 1-line block ×32, first 2 shown]
	s_waitcnt vmcnt(31)
	v_add_f64 v[121:122], v[121:122], v[187:188]
	s_waitcnt vmcnt(30)
	v_add_f64 v[123:124], v[189:190], v[123:124]
	;; [unrolled: 2-line block ×32, first 2 shown]
	scratch_store_b64 v89, v[121:122], off
	scratch_store_b64 v90, v[123:124], off
	;; [unrolled: 1-line block ×32, first 2 shown]
	v_mov_b32_e32 v89, 0x100
	v_mov_b32_e32 v90, 0x108
	;; [unrolled: 1-line block ×32, first 2 shown]
	s_cbranch_vccnz .LBB146_27
; %bb.28:
	v_dual_mov_b32 v89, 0 :: v_dual_add_nc_u32 v60, 0x800, v83
	ds_load_2addr_b64 v[0:3], v83 offset0:2 offset1:18
	ds_load_2addr_b64 v[4:7], v83 offset0:34 offset1:50
	;; [unrolled: 1-line block ×12, first 2 shown]
	v_dual_mov_b32 v91, 16 :: v_dual_add_nc_u32 v64, 16, v87
	ds_load_2addr_b64 v[48:51], v60 offset0:130 offset1:146
	ds_load_2addr_b64 v[52:55], v60 offset0:162 offset1:178
	;; [unrolled: 1-line block ×4, first 2 shown]
	ds_load_2addr_stride64_b64 v[64:67], v64 offset1:4
	v_dual_mov_b32 v90, 8 :: v_dual_mov_b32 v93, 32
	v_dual_mov_b32 v92, 24 :: v_dual_mov_b32 v95, 48
	;; [unrolled: 1-line block ×4, first 2 shown]
	v_mov_b32_e32 v98, 0x48
	v_mov_b32_e32 v100, 0x58
	v_mov_b32_e32 v101, 0x60
	v_mov_b32_e32 v102, 0x68
	v_mov_b32_e32 v103, 0x70
	v_mov_b32_e32 v104, 0x78
	v_mov_b32_e32 v105, 0x80
	v_mov_b32_e32 v106, 0x88
	v_mov_b32_e32 v107, 0x90
	v_mov_b32_e32 v108, 0x98
	v_mov_b32_e32 v109, 0xa0
	v_mov_b32_e32 v110, 0xa8
	v_mov_b32_e32 v111, 0xb0
	v_mov_b32_e32 v112, 0xb8
	v_mov_b32_e32 v113, 0xc0
	v_mov_b32_e32 v114, 0xc8
	v_mov_b32_e32 v115, 0xd0
	v_mov_b32_e32 v116, 0xd8
	v_mov_b32_e32 v117, 0xe0
	v_mov_b32_e32 v118, 0xe8
	v_mov_b32_e32 v119, 0xf0
	v_mov_b32_e32 v120, 0xf8
	s_mov_b64 s[6:7], 0
	s_mov_b32 s22, -1
.LBB146_29:                             ; =>This Inner Loop Header: Depth=1
	scratch_load_b64 v[121:122], v89, off
	scratch_load_b64 v[123:124], v90, off
	;; [unrolled: 1-line block ×32, first 2 shown]
	s_cmp_eq_u32 s6, 1
	s_waitcnt lgkmcnt(16)
	v_max_f64 v[187:188], v[0:1], v[0:1]
	s_cselect_b32 vcc_lo, -1, 0
	v_max_f64 v[189:190], v[2:3], v[2:3]
	s_waitcnt lgkmcnt(0)
	v_dual_cndmask_b32 v186, v65, v67 :: v_dual_cndmask_b32 v185, v64, v66
	v_max_f64 v[191:192], v[4:5], v[4:5]
	v_max_f64 v[193:194], v[6:7], v[6:7]
	;; [unrolled: 1-line block ×31, first 2 shown]
	s_mov_b64 s[6:7], 1
	s_and_b32 vcc_lo, exec_lo, s22
	s_mov_b32 s22, 0
	v_min_f64 v[187:188], v[187:188], v[185:186]
	v_min_f64 v[189:190], v[189:190], v[185:186]
	;; [unrolled: 1-line block ×32, first 2 shown]
	s_waitcnt vmcnt(31)
	v_add_f64 v[121:122], v[121:122], v[187:188]
	s_waitcnt vmcnt(30)
	v_add_f64 v[123:124], v[189:190], v[123:124]
	;; [unrolled: 2-line block ×32, first 2 shown]
	scratch_store_b64 v89, v[121:122], off
	scratch_store_b64 v90, v[123:124], off
	;; [unrolled: 1-line block ×32, first 2 shown]
	v_mov_b32_e32 v89, 0x100
	v_mov_b32_e32 v90, 0x108
	;; [unrolled: 1-line block ×32, first 2 shown]
	s_cbranch_vccnz .LBB146_29
; %bb.30:
	v_dual_mov_b32 v89, 0 :: v_dual_add_nc_u32 v60, 0x800, v83
	ds_load_2addr_b64 v[0:3], v83 offset0:3 offset1:19
	ds_load_2addr_b64 v[4:7], v83 offset0:35 offset1:51
	;; [unrolled: 1-line block ×12, first 2 shown]
	v_dual_mov_b32 v91, 16 :: v_dual_add_nc_u32 v64, 24, v87
	ds_load_2addr_b64 v[48:51], v60 offset0:131 offset1:147
	ds_load_2addr_b64 v[52:55], v60 offset0:163 offset1:179
	;; [unrolled: 1-line block ×4, first 2 shown]
	ds_load_2addr_stride64_b64 v[64:67], v64 offset1:4
	v_dual_mov_b32 v90, 8 :: v_dual_mov_b32 v93, 32
	v_dual_mov_b32 v92, 24 :: v_dual_mov_b32 v95, 48
	;; [unrolled: 1-line block ×4, first 2 shown]
	v_mov_b32_e32 v98, 0x48
	v_mov_b32_e32 v100, 0x58
	v_mov_b32_e32 v101, 0x60
	v_mov_b32_e32 v102, 0x68
	v_mov_b32_e32 v103, 0x70
	v_mov_b32_e32 v104, 0x78
	v_mov_b32_e32 v105, 0x80
	v_mov_b32_e32 v106, 0x88
	v_mov_b32_e32 v107, 0x90
	v_mov_b32_e32 v108, 0x98
	v_mov_b32_e32 v109, 0xa0
	v_mov_b32_e32 v110, 0xa8
	v_mov_b32_e32 v111, 0xb0
	v_mov_b32_e32 v112, 0xb8
	v_mov_b32_e32 v113, 0xc0
	v_mov_b32_e32 v114, 0xc8
	v_mov_b32_e32 v115, 0xd0
	v_mov_b32_e32 v116, 0xd8
	v_mov_b32_e32 v117, 0xe0
	v_mov_b32_e32 v118, 0xe8
	v_mov_b32_e32 v119, 0xf0
	v_mov_b32_e32 v120, 0xf8
	s_mov_b64 s[6:7], 0
	s_mov_b32 s22, -1
.LBB146_31:                             ; =>This Inner Loop Header: Depth=1
	scratch_load_b64 v[121:122], v89, off
	scratch_load_b64 v[123:124], v90, off
	;; [unrolled: 1-line block ×32, first 2 shown]
	s_cmp_eq_u32 s6, 1
	s_waitcnt lgkmcnt(16)
	v_max_f64 v[187:188], v[0:1], v[0:1]
	s_cselect_b32 vcc_lo, -1, 0
	v_max_f64 v[189:190], v[2:3], v[2:3]
	s_waitcnt lgkmcnt(0)
	v_dual_cndmask_b32 v186, v65, v67 :: v_dual_cndmask_b32 v185, v64, v66
	v_max_f64 v[191:192], v[4:5], v[4:5]
	v_max_f64 v[193:194], v[6:7], v[6:7]
	;; [unrolled: 1-line block ×31, first 2 shown]
	s_mov_b64 s[6:7], 1
	s_and_b32 vcc_lo, exec_lo, s22
	s_mov_b32 s22, 0
	v_min_f64 v[187:188], v[187:188], v[185:186]
	v_min_f64 v[189:190], v[189:190], v[185:186]
	;; [unrolled: 1-line block ×32, first 2 shown]
	s_waitcnt vmcnt(31)
	v_add_f64 v[121:122], v[121:122], v[187:188]
	s_waitcnt vmcnt(30)
	v_add_f64 v[123:124], v[189:190], v[123:124]
	;; [unrolled: 2-line block ×32, first 2 shown]
	scratch_store_b64 v89, v[121:122], off
	scratch_store_b64 v90, v[123:124], off
	;; [unrolled: 1-line block ×32, first 2 shown]
	v_mov_b32_e32 v89, 0x100
	v_mov_b32_e32 v90, 0x108
	;; [unrolled: 1-line block ×32, first 2 shown]
	s_cbranch_vccnz .LBB146_31
; %bb.32:
	v_lshlrev_b32_e32 v0, 5, v88
	s_mov_b32 s22, 8
	s_cmp_gt_i32 s42, 8
	s_delay_alu instid0(VALU_DEP_1)
	v_lshl_add_u32 v0, v82, 3, v0
	ds_store_2addr_stride64_b64 v0, v[72:73], v[76:77] offset0:8 offset1:12
	ds_store_2addr_stride64_b64 v0, v[74:75], v[78:79] offset0:24 offset1:28
	s_waitcnt lgkmcnt(0)
	s_waitcnt_vscnt null, 0x0
	s_barrier
	buffer_gl0_inv
	s_cbranch_scc0 .LBB146_67
; %bb.33:
	v_lshl_add_u32 v89, v80, 5, 0x1000
	v_lshlrev_b64 v[68:69], 3, v[68:69]
	v_lshlrev_b64 v[70:71], 3, v[70:71]
	v_or_b32_e32 v88, 0x1000, v0
	v_or_b32_e32 v90, 0x3000, v0
	v_lshl_add_u32 v91, v81, 5, 0x3000
	v_add_nc_u32_e32 v92, 0x800, v89
	s_add_i32 s23, s42, -8
	s_mov_b32 s24, 0
.LBB146_34:                             ; =>This Loop Header: Depth=1
                                        ;     Child Loop BB146_43 Depth 2
                                        ;     Child Loop BB146_45 Depth 2
	;; [unrolled: 1-line block ×8, first 2 shown]
	v_dual_mov_b32 v72, 0 :: v_dual_add_nc_u32 v3, s22, v82
	v_mov_b32_e32 v73, 0
	s_delay_alu instid0(VALU_DEP_2) | instskip(SKIP_1) | instid1(VALU_DEP_3)
	v_min_i32_e32 v0, s20, v3
	v_cmp_le_i32_e32 vcc_lo, s42, v3
	v_dual_mov_b32 v75, v73 :: v_dual_mov_b32 v74, v72
	s_delay_alu instid0(VALU_DEP_3) | instskip(SKIP_1) | instid1(VALU_DEP_1)
	v_mad_i64_i32 v[1:2], null, v0, s18, 0
	s_or_b32 s7, s2, vcc_lo
	v_lshlrev_b64 v[1:2], 3, v[1:2]
	s_delay_alu instid0(VALU_DEP_1) | instskip(NEXT) | instid1(VALU_DEP_1)
	v_add_co_u32 v1, s6, s16, v1
	v_add_co_ci_u32_e64 v2, s6, s17, v2, s6
	s_or_b32 s6, s19, s7
	s_delay_alu instid0(SALU_CYCLE_1) | instskip(NEXT) | instid1(SALU_CYCLE_1)
	s_xor_b32 s6, s6, -1
	s_and_saveexec_b32 s7, s6
	s_cbranch_execz .LBB146_36
; %bb.35:                               ;   in Loop: Header=BB146_34 Depth=1
	v_add_co_u32 v3, s6, v1, v68
	s_delay_alu instid0(VALU_DEP_1)
	v_add_co_ci_u32_e64 v4, s6, v2, v69, s6
	flat_load_b64 v[3:4], v[3:4]
	s_waitcnt vmcnt(0) lgkmcnt(0)
	v_mul_f64 v[74:75], v[3:4], s[8:9]
.LBB146_36:                             ;   in Loop: Header=BB146_34 Depth=1
	s_or_b32 exec_lo, exec_lo, s7
	s_or_b32 s6, s3, vcc_lo
	s_delay_alu instid0(SALU_CYCLE_1) | instskip(NEXT) | instid1(SALU_CYCLE_1)
	s_or_b32 s6, s19, s6
	s_xor_b32 s6, s6, -1
	s_delay_alu instid0(SALU_CYCLE_1)
	s_and_saveexec_b32 s7, s6
	s_cbranch_execz .LBB146_38
; %bb.37:                               ;   in Loop: Header=BB146_34 Depth=1
	v_add_co_u32 v1, s6, v1, v68
	s_delay_alu instid0(VALU_DEP_1)
	v_add_co_ci_u32_e64 v2, s6, v2, v69, s6
	flat_load_b64 v[1:2], v[1:2] offset:512
	s_waitcnt vmcnt(0) lgkmcnt(0)
	v_mul_f64 v[72:73], v[1:2], s[8:9]
.LBB146_38:                             ;   in Loop: Header=BB146_34 Depth=1
	s_or_b32 exec_lo, exec_lo, s7
	v_mad_i64_i32 v[1:2], null, v0, s21, 0
	v_mov_b32_e32 v76, 0
	v_mov_b32_e32 v77, 0
	s_or_b32 s7, s4, vcc_lo
	s_delay_alu instid0(VALU_DEP_1) | instskip(NEXT) | instid1(VALU_DEP_4)
	v_dual_mov_b32 v79, v77 :: v_dual_mov_b32 v78, v76
	v_lshlrev_b64 v[0:1], 3, v[1:2]
	s_delay_alu instid0(VALU_DEP_1) | instskip(NEXT) | instid1(VALU_DEP_1)
	v_add_co_u32 v0, s6, s10, v0
	v_add_co_ci_u32_e64 v1, s6, s11, v1, s6
	s_or_b32 s6, s19, s7
	s_delay_alu instid0(SALU_CYCLE_1) | instskip(NEXT) | instid1(SALU_CYCLE_1)
	s_xor_b32 s6, s6, -1
	s_and_saveexec_b32 s7, s6
	s_cbranch_execz .LBB146_40
; %bb.39:                               ;   in Loop: Header=BB146_34 Depth=1
	v_add_co_u32 v2, s6, v0, v70
	s_delay_alu instid0(VALU_DEP_1)
	v_add_co_ci_u32_e64 v3, s6, v1, v71, s6
	flat_load_b64 v[2:3], v[2:3]
	s_waitcnt vmcnt(0) lgkmcnt(0)
	v_mul_f64 v[78:79], v[2:3], s[8:9]
.LBB146_40:                             ;   in Loop: Header=BB146_34 Depth=1
	s_or_b32 exec_lo, exec_lo, s7
	s_or_b32 s6, s5, vcc_lo
	s_delay_alu instid0(SALU_CYCLE_1) | instskip(NEXT) | instid1(SALU_CYCLE_1)
	s_or_b32 s6, s19, s6
	s_xor_b32 s7, s6, -1
	s_delay_alu instid0(SALU_CYCLE_1)
	s_and_saveexec_b32 s6, s7
	s_cbranch_execz .LBB146_42
; %bb.41:                               ;   in Loop: Header=BB146_34 Depth=1
	v_add_co_u32 v0, vcc_lo, v0, v70
	v_add_co_ci_u32_e32 v1, vcc_lo, v1, v71, vcc_lo
	flat_load_b64 v[0:1], v[0:1] offset:512
	s_waitcnt vmcnt(0) lgkmcnt(0)
	v_mul_f64 v[76:77], v[0:1], s[8:9]
.LBB146_42:                             ;   in Loop: Header=BB146_34 Depth=1
	s_or_b32 exec_lo, exec_lo, s6
	ds_load_2addr_b64 v[0:3], v89 offset1:16
	ds_load_2addr_b64 v[4:7], v89 offset0:32 offset1:48
	ds_load_2addr_b64 v[8:11], v89 offset0:64 offset1:80
	;; [unrolled: 1-line block ×7, first 2 shown]
	ds_load_2addr_b64 v[32:35], v92 offset1:16
	ds_load_2addr_b64 v[36:39], v92 offset0:32 offset1:48
	ds_load_2addr_b64 v[40:43], v92 offset0:64 offset1:80
	;; [unrolled: 1-line block ×7, first 2 shown]
	ds_load_2addr_stride64_b64 v[64:67], v91 offset1:4
	v_dual_mov_b32 v124, 0 :: v_dual_mov_b32 v123, 8
	v_dual_mov_b32 v122, 16 :: v_dual_mov_b32 v121, 24
	;; [unrolled: 1-line block ×5, first 2 shown]
	v_mov_b32_e32 v114, 0x50
	v_mov_b32_e32 v113, 0x58
	;; [unrolled: 1-line block ×22, first 2 shown]
	s_mov_b64 s[6:7], 0
	s_mov_b32 s25, -1
.LBB146_43:                             ;   Parent Loop BB146_34 Depth=1
                                        ; =>  This Inner Loop Header: Depth=2
	scratch_load_b64 v[129:130], v124, off
	s_cmp_eq_u32 s6, 1
	s_waitcnt lgkmcnt(16)
	v_max_f64 v[127:128], v[0:1], v[0:1]
	s_cselect_b32 vcc_lo, -1, 0
	s_mov_b64 s[6:7], 1
	s_waitcnt lgkmcnt(0)
	v_dual_cndmask_b32 v126, v65, v67 :: v_dual_cndmask_b32 v125, v64, v66
	s_and_b32 vcc_lo, exec_lo, s25
	s_mov_b32 s25, 0
	s_delay_alu instid0(VALU_DEP_1) | instskip(NEXT) | instid1(VALU_DEP_1)
	v_max_f64 v[125:126], v[125:126], v[125:126]
	v_min_f64 v[127:128], v[127:128], v[125:126]
	s_waitcnt vmcnt(0)
	s_delay_alu instid0(VALU_DEP_1) | instskip(SKIP_3) | instid1(VALU_DEP_1)
	v_add_f64 v[127:128], v[129:130], v[127:128]
	scratch_load_b64 v[129:130], v123, off
	scratch_store_b64 v124, v[127:128], off
	v_max_f64 v[127:128], v[2:3], v[2:3]
	v_min_f64 v[127:128], v[127:128], v[125:126]
	s_waitcnt vmcnt(0)
	s_delay_alu instid0(VALU_DEP_1) | instskip(SKIP_3) | instid1(VALU_DEP_1)
	v_add_f64 v[127:128], v[127:128], v[129:130]
	scratch_store_b64 v123, v[127:128], off
	scratch_load_b64 v[127:128], v122, off
	v_max_f64 v[123:124], v[4:5], v[4:5]
	v_min_f64 v[123:124], v[123:124], v[125:126]
	s_waitcnt vmcnt(0)
	s_delay_alu instid0(VALU_DEP_1) | instskip(SKIP_3) | instid1(VALU_DEP_1)
	v_add_f64 v[123:124], v[123:124], v[127:128]
	scratch_load_b64 v[127:128], v121, off
	scratch_store_b64 v122, v[123:124], off
	v_max_f64 v[122:123], v[6:7], v[6:7]
	v_min_f64 v[122:123], v[122:123], v[125:126]
	s_waitcnt vmcnt(0)
	s_delay_alu instid0(VALU_DEP_1) | instskip(SKIP_3) | instid1(VALU_DEP_1)
	v_add_f64 v[122:123], v[122:123], v[127:128]
	scratch_store_b64 v121, v[122:123], off
	scratch_load_b64 v[123:124], v120, off
	v_max_f64 v[121:122], v[8:9], v[8:9]
	v_min_f64 v[121:122], v[121:122], v[125:126]
	s_waitcnt vmcnt(0)
	s_delay_alu instid0(VALU_DEP_1) | instskip(SKIP_4) | instid1(VALU_DEP_1)
	v_add_f64 v[121:122], v[121:122], v[123:124]
	v_mov_b32_e32 v124, 0x100
	scratch_store_b64 v120, v[121:122], off
	scratch_load_b64 v[122:123], v119, off
	v_max_f64 v[120:121], v[10:11], v[10:11]
	v_min_f64 v[120:121], v[120:121], v[125:126]
	s_waitcnt vmcnt(0)
	s_delay_alu instid0(VALU_DEP_1) | instskip(SKIP_4) | instid1(VALU_DEP_1)
	v_add_f64 v[120:121], v[120:121], v[122:123]
	v_mov_b32_e32 v123, 0x108
	;; [unrolled: 8-line block ×27, first 2 shown]
	scratch_store_b64 v94, v[95:96], off
	scratch_load_b64 v[96:97], v93, off
	v_max_f64 v[94:95], v[62:63], v[62:63]
	v_min_f64 v[94:95], v[94:95], v[125:126]
	s_waitcnt vmcnt(0)
	s_delay_alu instid0(VALU_DEP_1)
	v_add_f64 v[94:95], v[94:95], v[96:97]
	v_mov_b32_e32 v97, 0x1d8
	v_mov_b32_e32 v96, 0x1e0
	scratch_store_b64 v93, v[94:95], off
	v_mov_b32_e32 v95, 0x1e8
	v_mov_b32_e32 v94, 0x1f0
	;; [unrolled: 1-line block ×3, first 2 shown]
	s_cbranch_vccnz .LBB146_43
; %bb.44:                               ;   in Loop: Header=BB146_34 Depth=1
	ds_load_2addr_b64 v[0:3], v89 offset0:1 offset1:17
	ds_load_2addr_b64 v[4:7], v89 offset0:33 offset1:49
	;; [unrolled: 1-line block ×12, first 2 shown]
	v_dual_mov_b32 v123, 8 :: v_dual_add_nc_u32 v64, 8, v91
	ds_load_2addr_b64 v[48:51], v92 offset0:129 offset1:145
	ds_load_2addr_b64 v[52:55], v92 offset0:161 offset1:177
	;; [unrolled: 1-line block ×4, first 2 shown]
	ds_load_2addr_stride64_b64 v[64:67], v64 offset1:4
	v_dual_mov_b32 v124, 0 :: v_dual_mov_b32 v121, 24
	v_dual_mov_b32 v122, 16 :: v_dual_mov_b32 v119, 40
	;; [unrolled: 1-line block ×5, first 2 shown]
	v_mov_b32_e32 v114, 0x50
	v_mov_b32_e32 v112, 0x60
	;; [unrolled: 1-line block ×21, first 2 shown]
	s_mov_b64 s[6:7], 0
	s_mov_b32 s25, -1
.LBB146_45:                             ;   Parent Loop BB146_34 Depth=1
                                        ; =>  This Inner Loop Header: Depth=2
	scratch_load_b64 v[129:130], v124, off
	s_cmp_eq_u32 s6, 1
	s_waitcnt lgkmcnt(16)
	v_max_f64 v[127:128], v[0:1], v[0:1]
	s_cselect_b32 vcc_lo, -1, 0
	s_mov_b64 s[6:7], 1
	s_waitcnt lgkmcnt(0)
	v_dual_cndmask_b32 v126, v65, v67 :: v_dual_cndmask_b32 v125, v64, v66
	s_and_b32 vcc_lo, exec_lo, s25
	s_mov_b32 s25, 0
	s_delay_alu instid0(VALU_DEP_1) | instskip(NEXT) | instid1(VALU_DEP_1)
	v_max_f64 v[125:126], v[125:126], v[125:126]
	v_min_f64 v[127:128], v[127:128], v[125:126]
	s_waitcnt vmcnt(0)
	s_delay_alu instid0(VALU_DEP_1) | instskip(SKIP_3) | instid1(VALU_DEP_1)
	v_add_f64 v[127:128], v[129:130], v[127:128]
	scratch_load_b64 v[129:130], v123, off
	scratch_store_b64 v124, v[127:128], off
	v_max_f64 v[127:128], v[2:3], v[2:3]
	v_min_f64 v[127:128], v[127:128], v[125:126]
	s_waitcnt vmcnt(0)
	s_delay_alu instid0(VALU_DEP_1) | instskip(SKIP_3) | instid1(VALU_DEP_1)
	v_add_f64 v[127:128], v[127:128], v[129:130]
	scratch_store_b64 v123, v[127:128], off
	scratch_load_b64 v[127:128], v122, off
	v_max_f64 v[123:124], v[4:5], v[4:5]
	v_min_f64 v[123:124], v[123:124], v[125:126]
	s_waitcnt vmcnt(0)
	s_delay_alu instid0(VALU_DEP_1) | instskip(SKIP_3) | instid1(VALU_DEP_1)
	v_add_f64 v[123:124], v[123:124], v[127:128]
	scratch_load_b64 v[127:128], v121, off
	scratch_store_b64 v122, v[123:124], off
	v_max_f64 v[122:123], v[6:7], v[6:7]
	v_min_f64 v[122:123], v[122:123], v[125:126]
	s_waitcnt vmcnt(0)
	s_delay_alu instid0(VALU_DEP_1) | instskip(SKIP_3) | instid1(VALU_DEP_1)
	v_add_f64 v[122:123], v[122:123], v[127:128]
	scratch_store_b64 v121, v[122:123], off
	scratch_load_b64 v[123:124], v120, off
	v_max_f64 v[121:122], v[8:9], v[8:9]
	v_min_f64 v[121:122], v[121:122], v[125:126]
	s_waitcnt vmcnt(0)
	s_delay_alu instid0(VALU_DEP_1) | instskip(SKIP_4) | instid1(VALU_DEP_1)
	v_add_f64 v[121:122], v[121:122], v[123:124]
	v_mov_b32_e32 v124, 0x100
	scratch_store_b64 v120, v[121:122], off
	scratch_load_b64 v[122:123], v119, off
	v_max_f64 v[120:121], v[10:11], v[10:11]
	v_min_f64 v[120:121], v[120:121], v[125:126]
	s_waitcnt vmcnt(0)
	s_delay_alu instid0(VALU_DEP_1) | instskip(SKIP_4) | instid1(VALU_DEP_1)
	v_add_f64 v[120:121], v[120:121], v[122:123]
	v_mov_b32_e32 v123, 0x108
	;; [unrolled: 8-line block ×27, first 2 shown]
	scratch_store_b64 v94, v[95:96], off
	scratch_load_b64 v[96:97], v93, off
	v_max_f64 v[94:95], v[62:63], v[62:63]
	v_min_f64 v[94:95], v[94:95], v[125:126]
	s_waitcnt vmcnt(0)
	s_delay_alu instid0(VALU_DEP_1)
	v_add_f64 v[94:95], v[94:95], v[96:97]
	v_mov_b32_e32 v97, 0x1d8
	v_mov_b32_e32 v96, 0x1e0
	scratch_store_b64 v93, v[94:95], off
	v_mov_b32_e32 v95, 0x1e8
	v_mov_b32_e32 v94, 0x1f0
	;; [unrolled: 1-line block ×3, first 2 shown]
	s_cbranch_vccnz .LBB146_45
; %bb.46:                               ;   in Loop: Header=BB146_34 Depth=1
	ds_load_2addr_b64 v[0:3], v89 offset0:2 offset1:18
	ds_load_2addr_b64 v[4:7], v89 offset0:34 offset1:50
	;; [unrolled: 1-line block ×12, first 2 shown]
	v_dual_mov_b32 v123, 8 :: v_dual_add_nc_u32 v64, 16, v91
	ds_load_2addr_b64 v[48:51], v92 offset0:130 offset1:146
	ds_load_2addr_b64 v[52:55], v92 offset0:162 offset1:178
	;; [unrolled: 1-line block ×4, first 2 shown]
	ds_load_2addr_stride64_b64 v[64:67], v64 offset1:4
	v_dual_mov_b32 v124, 0 :: v_dual_mov_b32 v121, 24
	v_dual_mov_b32 v122, 16 :: v_dual_mov_b32 v119, 40
	;; [unrolled: 1-line block ×5, first 2 shown]
	v_mov_b32_e32 v114, 0x50
	v_mov_b32_e32 v112, 0x60
	;; [unrolled: 1-line block ×21, first 2 shown]
	s_mov_b64 s[6:7], 0
	s_mov_b32 s25, -1
.LBB146_47:                             ;   Parent Loop BB146_34 Depth=1
                                        ; =>  This Inner Loop Header: Depth=2
	scratch_load_b64 v[129:130], v124, off
	s_cmp_eq_u32 s6, 1
	s_waitcnt lgkmcnt(16)
	v_max_f64 v[127:128], v[0:1], v[0:1]
	s_cselect_b32 vcc_lo, -1, 0
	s_mov_b64 s[6:7], 1
	s_waitcnt lgkmcnt(0)
	v_dual_cndmask_b32 v126, v65, v67 :: v_dual_cndmask_b32 v125, v64, v66
	s_and_b32 vcc_lo, exec_lo, s25
	s_mov_b32 s25, 0
	s_delay_alu instid0(VALU_DEP_1) | instskip(NEXT) | instid1(VALU_DEP_1)
	v_max_f64 v[125:126], v[125:126], v[125:126]
	v_min_f64 v[127:128], v[127:128], v[125:126]
	s_waitcnt vmcnt(0)
	s_delay_alu instid0(VALU_DEP_1) | instskip(SKIP_3) | instid1(VALU_DEP_1)
	v_add_f64 v[127:128], v[129:130], v[127:128]
	scratch_load_b64 v[129:130], v123, off
	scratch_store_b64 v124, v[127:128], off
	v_max_f64 v[127:128], v[2:3], v[2:3]
	v_min_f64 v[127:128], v[127:128], v[125:126]
	s_waitcnt vmcnt(0)
	s_delay_alu instid0(VALU_DEP_1) | instskip(SKIP_3) | instid1(VALU_DEP_1)
	v_add_f64 v[127:128], v[127:128], v[129:130]
	scratch_store_b64 v123, v[127:128], off
	scratch_load_b64 v[127:128], v122, off
	v_max_f64 v[123:124], v[4:5], v[4:5]
	v_min_f64 v[123:124], v[123:124], v[125:126]
	s_waitcnt vmcnt(0)
	s_delay_alu instid0(VALU_DEP_1) | instskip(SKIP_3) | instid1(VALU_DEP_1)
	v_add_f64 v[123:124], v[123:124], v[127:128]
	scratch_load_b64 v[127:128], v121, off
	scratch_store_b64 v122, v[123:124], off
	v_max_f64 v[122:123], v[6:7], v[6:7]
	v_min_f64 v[122:123], v[122:123], v[125:126]
	s_waitcnt vmcnt(0)
	s_delay_alu instid0(VALU_DEP_1) | instskip(SKIP_3) | instid1(VALU_DEP_1)
	v_add_f64 v[122:123], v[122:123], v[127:128]
	scratch_store_b64 v121, v[122:123], off
	scratch_load_b64 v[123:124], v120, off
	v_max_f64 v[121:122], v[8:9], v[8:9]
	v_min_f64 v[121:122], v[121:122], v[125:126]
	s_waitcnt vmcnt(0)
	s_delay_alu instid0(VALU_DEP_1) | instskip(SKIP_4) | instid1(VALU_DEP_1)
	v_add_f64 v[121:122], v[121:122], v[123:124]
	v_mov_b32_e32 v124, 0x100
	scratch_store_b64 v120, v[121:122], off
	scratch_load_b64 v[122:123], v119, off
	v_max_f64 v[120:121], v[10:11], v[10:11]
	v_min_f64 v[120:121], v[120:121], v[125:126]
	s_waitcnt vmcnt(0)
	s_delay_alu instid0(VALU_DEP_1) | instskip(SKIP_4) | instid1(VALU_DEP_1)
	v_add_f64 v[120:121], v[120:121], v[122:123]
	v_mov_b32_e32 v123, 0x108
	;; [unrolled: 8-line block ×27, first 2 shown]
	scratch_store_b64 v94, v[95:96], off
	scratch_load_b64 v[96:97], v93, off
	v_max_f64 v[94:95], v[62:63], v[62:63]
	v_min_f64 v[94:95], v[94:95], v[125:126]
	s_waitcnt vmcnt(0)
	s_delay_alu instid0(VALU_DEP_1)
	v_add_f64 v[94:95], v[94:95], v[96:97]
	v_mov_b32_e32 v97, 0x1d8
	v_mov_b32_e32 v96, 0x1e0
	scratch_store_b64 v93, v[94:95], off
	v_mov_b32_e32 v95, 0x1e8
	v_mov_b32_e32 v94, 0x1f0
	;; [unrolled: 1-line block ×3, first 2 shown]
	s_cbranch_vccnz .LBB146_47
; %bb.48:                               ;   in Loop: Header=BB146_34 Depth=1
	ds_load_2addr_b64 v[0:3], v89 offset0:3 offset1:19
	ds_load_2addr_b64 v[4:7], v89 offset0:35 offset1:51
	;; [unrolled: 1-line block ×12, first 2 shown]
	v_dual_mov_b32 v123, 8 :: v_dual_add_nc_u32 v64, 24, v91
	ds_load_2addr_b64 v[48:51], v92 offset0:131 offset1:147
	ds_load_2addr_b64 v[52:55], v92 offset0:163 offset1:179
	;; [unrolled: 1-line block ×4, first 2 shown]
	ds_load_2addr_stride64_b64 v[64:67], v64 offset1:4
	v_dual_mov_b32 v124, 0 :: v_dual_mov_b32 v121, 24
	v_dual_mov_b32 v122, 16 :: v_dual_mov_b32 v119, 40
	;; [unrolled: 1-line block ×5, first 2 shown]
	v_mov_b32_e32 v114, 0x50
	v_mov_b32_e32 v112, 0x60
	v_mov_b32_e32 v111, 0x68
	v_mov_b32_e32 v110, 0x70
	v_mov_b32_e32 v109, 0x78
	v_mov_b32_e32 v108, 0x80
	v_mov_b32_e32 v107, 0x88
	v_mov_b32_e32 v106, 0x90
	v_mov_b32_e32 v105, 0x98
	v_mov_b32_e32 v104, 0xa0
	v_mov_b32_e32 v103, 0xa8
	v_mov_b32_e32 v102, 0xb0
	v_mov_b32_e32 v101, 0xb8
	v_mov_b32_e32 v100, 0xc0
	v_mov_b32_e32 v99, 0xc8
	v_mov_b32_e32 v98, 0xd0
	v_mov_b32_e32 v97, 0xd8
	v_mov_b32_e32 v96, 0xe0
	v_mov_b32_e32 v95, 0xe8
	v_mov_b32_e32 v94, 0xf0
	v_mov_b32_e32 v93, 0xf8
	s_mov_b64 s[6:7], 0
	s_mov_b32 s25, -1
.LBB146_49:                             ;   Parent Loop BB146_34 Depth=1
                                        ; =>  This Inner Loop Header: Depth=2
	scratch_load_b64 v[129:130], v124, off
	s_cmp_eq_u32 s6, 1
	s_waitcnt lgkmcnt(16)
	v_max_f64 v[127:128], v[0:1], v[0:1]
	s_cselect_b32 vcc_lo, -1, 0
	s_mov_b64 s[6:7], 1
	s_waitcnt lgkmcnt(0)
	v_dual_cndmask_b32 v126, v65, v67 :: v_dual_cndmask_b32 v125, v64, v66
	s_and_b32 vcc_lo, exec_lo, s25
	s_mov_b32 s25, 0
	s_delay_alu instid0(VALU_DEP_1) | instskip(NEXT) | instid1(VALU_DEP_1)
	v_max_f64 v[125:126], v[125:126], v[125:126]
	v_min_f64 v[127:128], v[127:128], v[125:126]
	s_waitcnt vmcnt(0)
	s_delay_alu instid0(VALU_DEP_1) | instskip(SKIP_3) | instid1(VALU_DEP_1)
	v_add_f64 v[127:128], v[129:130], v[127:128]
	scratch_load_b64 v[129:130], v123, off
	scratch_store_b64 v124, v[127:128], off
	v_max_f64 v[127:128], v[2:3], v[2:3]
	v_min_f64 v[127:128], v[127:128], v[125:126]
	s_waitcnt vmcnt(0)
	s_delay_alu instid0(VALU_DEP_1) | instskip(SKIP_3) | instid1(VALU_DEP_1)
	v_add_f64 v[127:128], v[127:128], v[129:130]
	scratch_store_b64 v123, v[127:128], off
	scratch_load_b64 v[127:128], v122, off
	v_max_f64 v[123:124], v[4:5], v[4:5]
	v_min_f64 v[123:124], v[123:124], v[125:126]
	s_waitcnt vmcnt(0)
	s_delay_alu instid0(VALU_DEP_1) | instskip(SKIP_3) | instid1(VALU_DEP_1)
	v_add_f64 v[123:124], v[123:124], v[127:128]
	scratch_load_b64 v[127:128], v121, off
	scratch_store_b64 v122, v[123:124], off
	v_max_f64 v[122:123], v[6:7], v[6:7]
	v_min_f64 v[122:123], v[122:123], v[125:126]
	s_waitcnt vmcnt(0)
	s_delay_alu instid0(VALU_DEP_1) | instskip(SKIP_3) | instid1(VALU_DEP_1)
	v_add_f64 v[122:123], v[122:123], v[127:128]
	scratch_store_b64 v121, v[122:123], off
	scratch_load_b64 v[123:124], v120, off
	v_max_f64 v[121:122], v[8:9], v[8:9]
	v_min_f64 v[121:122], v[121:122], v[125:126]
	s_waitcnt vmcnt(0)
	s_delay_alu instid0(VALU_DEP_1) | instskip(SKIP_4) | instid1(VALU_DEP_1)
	v_add_f64 v[121:122], v[121:122], v[123:124]
	v_mov_b32_e32 v124, 0x100
	scratch_store_b64 v120, v[121:122], off
	scratch_load_b64 v[122:123], v119, off
	v_max_f64 v[120:121], v[10:11], v[10:11]
	v_min_f64 v[120:121], v[120:121], v[125:126]
	s_waitcnt vmcnt(0)
	s_delay_alu instid0(VALU_DEP_1) | instskip(SKIP_4) | instid1(VALU_DEP_1)
	v_add_f64 v[120:121], v[120:121], v[122:123]
	v_mov_b32_e32 v123, 0x108
	;; [unrolled: 8-line block ×27, first 2 shown]
	scratch_store_b64 v94, v[95:96], off
	scratch_load_b64 v[96:97], v93, off
	v_max_f64 v[94:95], v[62:63], v[62:63]
	v_min_f64 v[94:95], v[94:95], v[125:126]
	s_waitcnt vmcnt(0)
	s_delay_alu instid0(VALU_DEP_1)
	v_add_f64 v[94:95], v[94:95], v[96:97]
	v_mov_b32_e32 v97, 0x1d8
	v_mov_b32_e32 v96, 0x1e0
	scratch_store_b64 v93, v[94:95], off
	v_mov_b32_e32 v95, 0x1e8
	v_mov_b32_e32 v94, 0x1f0
	;; [unrolled: 1-line block ×3, first 2 shown]
	s_cbranch_vccnz .LBB146_49
; %bb.50:                               ;   in Loop: Header=BB146_34 Depth=1
	v_add3_u32 v3, v82, s22, 4
	ds_store_2addr_stride64_b64 v84, v[74:75], v[72:73] offset1:4
	v_mov_b32_e32 v72, 0
	v_mov_b32_e32 v73, 0
	ds_store_2addr_stride64_b64 v86, v[78:79], v[76:77] offset1:4
	v_min_i32_e32 v0, s20, v3
	v_cmp_le_i32_e32 vcc_lo, s42, v3
	s_waitcnt lgkmcnt(0)
	s_waitcnt_vscnt null, 0x0
	v_dual_mov_b32 v75, v73 :: v_dual_mov_b32 v74, v72
	v_mad_i64_i32 v[1:2], null, v0, s18, 0
	s_or_b32 s7, s2, vcc_lo
	s_barrier
	buffer_gl0_inv
	v_lshlrev_b64 v[1:2], 3, v[1:2]
	s_delay_alu instid0(VALU_DEP_1) | instskip(NEXT) | instid1(VALU_DEP_1)
	v_add_co_u32 v1, s6, s16, v1
	v_add_co_ci_u32_e64 v2, s6, s17, v2, s6
	s_or_b32 s6, s19, s7
	s_delay_alu instid0(SALU_CYCLE_1) | instskip(NEXT) | instid1(SALU_CYCLE_1)
	s_xor_b32 s6, s6, -1
	s_and_saveexec_b32 s7, s6
	s_delay_alu instid0(SALU_CYCLE_1)
	s_xor_b32 s7, exec_lo, s7
	s_cbranch_execz .LBB146_52
; %bb.51:                               ;   in Loop: Header=BB146_34 Depth=1
	v_add_co_u32 v3, s6, v1, v68
	s_delay_alu instid0(VALU_DEP_1)
	v_add_co_ci_u32_e64 v4, s6, v2, v69, s6
	flat_load_b64 v[3:4], v[3:4]
	s_waitcnt vmcnt(0) lgkmcnt(0)
	v_mul_f64 v[74:75], v[3:4], s[8:9]
.LBB146_52:                             ;   in Loop: Header=BB146_34 Depth=1
	s_or_b32 exec_lo, exec_lo, s7
	s_or_b32 s6, s3, vcc_lo
	s_delay_alu instid0(SALU_CYCLE_1) | instskip(NEXT) | instid1(SALU_CYCLE_1)
	s_or_b32 s6, s19, s6
	s_xor_b32 s6, s6, -1
	s_delay_alu instid0(SALU_CYCLE_1)
	s_and_saveexec_b32 s7, s6
	s_cbranch_execz .LBB146_54
; %bb.53:                               ;   in Loop: Header=BB146_34 Depth=1
	v_add_co_u32 v1, s6, v1, v68
	s_delay_alu instid0(VALU_DEP_1)
	v_add_co_ci_u32_e64 v2, s6, v2, v69, s6
	flat_load_b64 v[1:2], v[1:2] offset:512
	s_waitcnt vmcnt(0) lgkmcnt(0)
	v_mul_f64 v[72:73], v[1:2], s[8:9]
.LBB146_54:                             ;   in Loop: Header=BB146_34 Depth=1
	s_or_b32 exec_lo, exec_lo, s7
	v_mad_i64_i32 v[1:2], null, v0, s21, 0
	v_mov_b32_e32 v76, 0
	v_mov_b32_e32 v77, 0
	s_or_b32 s7, s4, vcc_lo
	s_delay_alu instid0(VALU_DEP_1) | instskip(NEXT) | instid1(VALU_DEP_4)
	v_dual_mov_b32 v79, v77 :: v_dual_mov_b32 v78, v76
	v_lshlrev_b64 v[0:1], 3, v[1:2]
	s_delay_alu instid0(VALU_DEP_1) | instskip(NEXT) | instid1(VALU_DEP_1)
	v_add_co_u32 v0, s6, s10, v0
	v_add_co_ci_u32_e64 v1, s6, s11, v1, s6
	s_or_b32 s6, s19, s7
	s_delay_alu instid0(SALU_CYCLE_1) | instskip(NEXT) | instid1(SALU_CYCLE_1)
	s_xor_b32 s6, s6, -1
	s_and_saveexec_b32 s7, s6
	s_cbranch_execz .LBB146_56
; %bb.55:                               ;   in Loop: Header=BB146_34 Depth=1
	v_add_co_u32 v2, s6, v0, v70
	s_delay_alu instid0(VALU_DEP_1)
	v_add_co_ci_u32_e64 v3, s6, v1, v71, s6
	flat_load_b64 v[2:3], v[2:3]
	s_waitcnt vmcnt(0) lgkmcnt(0)
	v_mul_f64 v[78:79], v[2:3], s[8:9]
.LBB146_56:                             ;   in Loop: Header=BB146_34 Depth=1
	s_or_b32 exec_lo, exec_lo, s7
	s_or_b32 s6, s5, vcc_lo
	s_delay_alu instid0(SALU_CYCLE_1) | instskip(NEXT) | instid1(SALU_CYCLE_1)
	s_or_b32 s6, s19, s6
	s_xor_b32 s7, s6, -1
	s_delay_alu instid0(SALU_CYCLE_1)
	s_and_saveexec_b32 s6, s7
	s_cbranch_execz .LBB146_58
; %bb.57:                               ;   in Loop: Header=BB146_34 Depth=1
	v_add_co_u32 v0, vcc_lo, v0, v70
	v_add_co_ci_u32_e32 v1, vcc_lo, v1, v71, vcc_lo
	flat_load_b64 v[0:1], v[0:1] offset:512
	s_waitcnt vmcnt(0) lgkmcnt(0)
	v_mul_f64 v[76:77], v[0:1], s[8:9]
.LBB146_58:                             ;   in Loop: Header=BB146_34 Depth=1
	s_or_b32 exec_lo, exec_lo, s6
	v_dual_mov_b32 v124, 8 :: v_dual_add_nc_u32 v93, 0x800, v83
	ds_load_2addr_b64 v[0:3], v83 offset1:16
	ds_load_2addr_b64 v[4:7], v83 offset0:32 offset1:48
	ds_load_2addr_b64 v[8:11], v83 offset0:64 offset1:80
	;; [unrolled: 1-line block ×7, first 2 shown]
	ds_load_2addr_b64 v[32:35], v93 offset1:16
	ds_load_2addr_b64 v[36:39], v93 offset0:32 offset1:48
	ds_load_2addr_b64 v[40:43], v93 offset0:64 offset1:80
	;; [unrolled: 1-line block ×7, first 2 shown]
	ds_load_2addr_stride64_b64 v[64:67], v87 offset1:4
	v_dual_mov_b32 v125, 0 :: v_dual_mov_b32 v122, 24
	v_dual_mov_b32 v123, 16 :: v_dual_mov_b32 v120, 40
	;; [unrolled: 1-line block ×5, first 2 shown]
	v_mov_b32_e32 v115, 0x50
	v_mov_b32_e32 v113, 0x60
	;; [unrolled: 1-line block ×21, first 2 shown]
	s_mov_b64 s[6:7], 0
	s_mov_b32 s25, -1
.LBB146_59:                             ;   Parent Loop BB146_34 Depth=1
                                        ; =>  This Inner Loop Header: Depth=2
	scratch_load_b64 v[130:131], v125, off
	s_cmp_eq_u32 s6, 1
	s_waitcnt lgkmcnt(16)
	v_max_f64 v[128:129], v[0:1], v[0:1]
	s_cselect_b32 vcc_lo, -1, 0
	s_mov_b64 s[6:7], 1
	s_waitcnt lgkmcnt(0)
	v_dual_cndmask_b32 v127, v65, v67 :: v_dual_cndmask_b32 v126, v64, v66
	s_and_b32 vcc_lo, exec_lo, s25
	s_mov_b32 s25, 0
	s_delay_alu instid0(VALU_DEP_1) | instskip(NEXT) | instid1(VALU_DEP_1)
	v_max_f64 v[126:127], v[126:127], v[126:127]
	v_min_f64 v[128:129], v[128:129], v[126:127]
	s_waitcnt vmcnt(0)
	s_delay_alu instid0(VALU_DEP_1) | instskip(SKIP_3) | instid1(VALU_DEP_1)
	v_add_f64 v[128:129], v[130:131], v[128:129]
	scratch_load_b64 v[130:131], v124, off
	scratch_store_b64 v125, v[128:129], off
	v_max_f64 v[128:129], v[2:3], v[2:3]
	v_min_f64 v[128:129], v[128:129], v[126:127]
	s_waitcnt vmcnt(0)
	s_delay_alu instid0(VALU_DEP_1) | instskip(SKIP_3) | instid1(VALU_DEP_1)
	v_add_f64 v[128:129], v[128:129], v[130:131]
	scratch_store_b64 v124, v[128:129], off
	scratch_load_b64 v[128:129], v123, off
	v_max_f64 v[124:125], v[4:5], v[4:5]
	v_min_f64 v[124:125], v[124:125], v[126:127]
	s_waitcnt vmcnt(0)
	s_delay_alu instid0(VALU_DEP_1) | instskip(SKIP_3) | instid1(VALU_DEP_1)
	v_add_f64 v[124:125], v[124:125], v[128:129]
	scratch_load_b64 v[128:129], v122, off
	scratch_store_b64 v123, v[124:125], off
	v_max_f64 v[123:124], v[6:7], v[6:7]
	v_min_f64 v[123:124], v[123:124], v[126:127]
	s_waitcnt vmcnt(0)
	s_delay_alu instid0(VALU_DEP_1) | instskip(SKIP_3) | instid1(VALU_DEP_1)
	v_add_f64 v[123:124], v[123:124], v[128:129]
	scratch_store_b64 v122, v[123:124], off
	scratch_load_b64 v[124:125], v121, off
	v_max_f64 v[122:123], v[8:9], v[8:9]
	v_min_f64 v[122:123], v[122:123], v[126:127]
	s_waitcnt vmcnt(0)
	s_delay_alu instid0(VALU_DEP_1) | instskip(SKIP_4) | instid1(VALU_DEP_1)
	v_add_f64 v[122:123], v[122:123], v[124:125]
	v_mov_b32_e32 v125, 0x100
	scratch_store_b64 v121, v[122:123], off
	scratch_load_b64 v[123:124], v120, off
	v_max_f64 v[121:122], v[10:11], v[10:11]
	v_min_f64 v[121:122], v[121:122], v[126:127]
	s_waitcnt vmcnt(0)
	s_delay_alu instid0(VALU_DEP_1) | instskip(SKIP_4) | instid1(VALU_DEP_1)
	v_add_f64 v[121:122], v[121:122], v[123:124]
	v_mov_b32_e32 v124, 0x108
	;; [unrolled: 8-line block ×27, first 2 shown]
	scratch_store_b64 v95, v[96:97], off
	scratch_load_b64 v[97:98], v94, off
	v_max_f64 v[95:96], v[62:63], v[62:63]
	v_min_f64 v[95:96], v[95:96], v[126:127]
	s_waitcnt vmcnt(0)
	s_delay_alu instid0(VALU_DEP_1)
	v_add_f64 v[95:96], v[95:96], v[97:98]
	v_mov_b32_e32 v98, 0x1d8
	v_mov_b32_e32 v97, 0x1e0
	scratch_store_b64 v94, v[95:96], off
	v_mov_b32_e32 v96, 0x1e8
	v_mov_b32_e32 v95, 0x1f0
	v_mov_b32_e32 v94, 0x1f8
	s_cbranch_vccnz .LBB146_59
; %bb.60:                               ;   in Loop: Header=BB146_34 Depth=1
	ds_load_2addr_b64 v[0:3], v83 offset0:1 offset1:17
	ds_load_2addr_b64 v[4:7], v83 offset0:33 offset1:49
	;; [unrolled: 1-line block ×12, first 2 shown]
	v_dual_mov_b32 v125, 0 :: v_dual_add_nc_u32 v64, 8, v87
	ds_load_2addr_b64 v[48:51], v93 offset0:129 offset1:145
	ds_load_2addr_b64 v[52:55], v93 offset0:161 offset1:177
	;; [unrolled: 1-line block ×4, first 2 shown]
	ds_load_2addr_stride64_b64 v[64:67], v64 offset1:4
	v_dual_mov_b32 v124, 8 :: v_dual_mov_b32 v123, 16
	v_dual_mov_b32 v122, 24 :: v_dual_mov_b32 v121, 32
	;; [unrolled: 1-line block ×4, first 2 shown]
	v_mov_b32_e32 v116, 0x48
	v_mov_b32_e32 v115, 0x50
	;; [unrolled: 1-line block ×23, first 2 shown]
	s_mov_b64 s[6:7], 0
	s_mov_b32 s25, -1
.LBB146_61:                             ;   Parent Loop BB146_34 Depth=1
                                        ; =>  This Inner Loop Header: Depth=2
	scratch_load_b64 v[130:131], v125, off
	s_cmp_eq_u32 s6, 1
	s_waitcnt lgkmcnt(16)
	v_max_f64 v[128:129], v[0:1], v[0:1]
	s_cselect_b32 vcc_lo, -1, 0
	s_mov_b64 s[6:7], 1
	s_waitcnt lgkmcnt(0)
	v_dual_cndmask_b32 v127, v65, v67 :: v_dual_cndmask_b32 v126, v64, v66
	s_and_b32 vcc_lo, exec_lo, s25
	s_mov_b32 s25, 0
	s_delay_alu instid0(VALU_DEP_1) | instskip(NEXT) | instid1(VALU_DEP_1)
	v_max_f64 v[126:127], v[126:127], v[126:127]
	v_min_f64 v[128:129], v[128:129], v[126:127]
	s_waitcnt vmcnt(0)
	s_delay_alu instid0(VALU_DEP_1) | instskip(SKIP_3) | instid1(VALU_DEP_1)
	v_add_f64 v[128:129], v[130:131], v[128:129]
	scratch_load_b64 v[130:131], v124, off
	scratch_store_b64 v125, v[128:129], off
	v_max_f64 v[128:129], v[2:3], v[2:3]
	v_min_f64 v[128:129], v[128:129], v[126:127]
	s_waitcnt vmcnt(0)
	s_delay_alu instid0(VALU_DEP_1) | instskip(SKIP_3) | instid1(VALU_DEP_1)
	v_add_f64 v[128:129], v[128:129], v[130:131]
	scratch_store_b64 v124, v[128:129], off
	scratch_load_b64 v[128:129], v123, off
	v_max_f64 v[124:125], v[4:5], v[4:5]
	v_min_f64 v[124:125], v[124:125], v[126:127]
	s_waitcnt vmcnt(0)
	s_delay_alu instid0(VALU_DEP_1) | instskip(SKIP_3) | instid1(VALU_DEP_1)
	v_add_f64 v[124:125], v[124:125], v[128:129]
	scratch_load_b64 v[128:129], v122, off
	scratch_store_b64 v123, v[124:125], off
	v_max_f64 v[123:124], v[6:7], v[6:7]
	v_min_f64 v[123:124], v[123:124], v[126:127]
	s_waitcnt vmcnt(0)
	s_delay_alu instid0(VALU_DEP_1) | instskip(SKIP_3) | instid1(VALU_DEP_1)
	v_add_f64 v[123:124], v[123:124], v[128:129]
	scratch_store_b64 v122, v[123:124], off
	scratch_load_b64 v[124:125], v121, off
	v_max_f64 v[122:123], v[8:9], v[8:9]
	v_min_f64 v[122:123], v[122:123], v[126:127]
	s_waitcnt vmcnt(0)
	s_delay_alu instid0(VALU_DEP_1) | instskip(SKIP_4) | instid1(VALU_DEP_1)
	v_add_f64 v[122:123], v[122:123], v[124:125]
	v_mov_b32_e32 v125, 0x100
	scratch_store_b64 v121, v[122:123], off
	scratch_load_b64 v[123:124], v120, off
	v_max_f64 v[121:122], v[10:11], v[10:11]
	v_min_f64 v[121:122], v[121:122], v[126:127]
	s_waitcnt vmcnt(0)
	s_delay_alu instid0(VALU_DEP_1) | instskip(SKIP_4) | instid1(VALU_DEP_1)
	v_add_f64 v[121:122], v[121:122], v[123:124]
	v_mov_b32_e32 v124, 0x108
	;; [unrolled: 8-line block ×27, first 2 shown]
	scratch_store_b64 v95, v[96:97], off
	scratch_load_b64 v[97:98], v94, off
	v_max_f64 v[95:96], v[62:63], v[62:63]
	v_min_f64 v[95:96], v[95:96], v[126:127]
	s_waitcnt vmcnt(0)
	s_delay_alu instid0(VALU_DEP_1)
	v_add_f64 v[95:96], v[95:96], v[97:98]
	v_mov_b32_e32 v98, 0x1d8
	v_mov_b32_e32 v97, 0x1e0
	scratch_store_b64 v94, v[95:96], off
	v_mov_b32_e32 v96, 0x1e8
	v_mov_b32_e32 v95, 0x1f0
	;; [unrolled: 1-line block ×3, first 2 shown]
	s_cbranch_vccnz .LBB146_61
; %bb.62:                               ;   in Loop: Header=BB146_34 Depth=1
	ds_load_2addr_b64 v[0:3], v83 offset0:2 offset1:18
	ds_load_2addr_b64 v[4:7], v83 offset0:34 offset1:50
	;; [unrolled: 1-line block ×12, first 2 shown]
	v_dual_mov_b32 v125, 0 :: v_dual_add_nc_u32 v64, 16, v87
	ds_load_2addr_b64 v[48:51], v93 offset0:130 offset1:146
	ds_load_2addr_b64 v[52:55], v93 offset0:162 offset1:178
	;; [unrolled: 1-line block ×4, first 2 shown]
	ds_load_2addr_stride64_b64 v[64:67], v64 offset1:4
	v_dual_mov_b32 v124, 8 :: v_dual_mov_b32 v123, 16
	v_dual_mov_b32 v122, 24 :: v_dual_mov_b32 v121, 32
	;; [unrolled: 1-line block ×4, first 2 shown]
	v_mov_b32_e32 v116, 0x48
	v_mov_b32_e32 v115, 0x50
	;; [unrolled: 1-line block ×23, first 2 shown]
	s_mov_b64 s[6:7], 0
	s_mov_b32 s25, -1
.LBB146_63:                             ;   Parent Loop BB146_34 Depth=1
                                        ; =>  This Inner Loop Header: Depth=2
	scratch_load_b64 v[130:131], v125, off
	s_cmp_eq_u32 s6, 1
	s_waitcnt lgkmcnt(16)
	v_max_f64 v[128:129], v[0:1], v[0:1]
	s_cselect_b32 vcc_lo, -1, 0
	s_mov_b64 s[6:7], 1
	s_waitcnt lgkmcnt(0)
	v_dual_cndmask_b32 v127, v65, v67 :: v_dual_cndmask_b32 v126, v64, v66
	s_and_b32 vcc_lo, exec_lo, s25
	s_mov_b32 s25, 0
	s_delay_alu instid0(VALU_DEP_1) | instskip(NEXT) | instid1(VALU_DEP_1)
	v_max_f64 v[126:127], v[126:127], v[126:127]
	v_min_f64 v[128:129], v[128:129], v[126:127]
	s_waitcnt vmcnt(0)
	s_delay_alu instid0(VALU_DEP_1) | instskip(SKIP_3) | instid1(VALU_DEP_1)
	v_add_f64 v[128:129], v[130:131], v[128:129]
	scratch_load_b64 v[130:131], v124, off
	scratch_store_b64 v125, v[128:129], off
	v_max_f64 v[128:129], v[2:3], v[2:3]
	v_min_f64 v[128:129], v[128:129], v[126:127]
	s_waitcnt vmcnt(0)
	s_delay_alu instid0(VALU_DEP_1) | instskip(SKIP_3) | instid1(VALU_DEP_1)
	v_add_f64 v[128:129], v[128:129], v[130:131]
	scratch_store_b64 v124, v[128:129], off
	scratch_load_b64 v[128:129], v123, off
	v_max_f64 v[124:125], v[4:5], v[4:5]
	v_min_f64 v[124:125], v[124:125], v[126:127]
	s_waitcnt vmcnt(0)
	s_delay_alu instid0(VALU_DEP_1) | instskip(SKIP_3) | instid1(VALU_DEP_1)
	v_add_f64 v[124:125], v[124:125], v[128:129]
	scratch_load_b64 v[128:129], v122, off
	scratch_store_b64 v123, v[124:125], off
	v_max_f64 v[123:124], v[6:7], v[6:7]
	v_min_f64 v[123:124], v[123:124], v[126:127]
	s_waitcnt vmcnt(0)
	s_delay_alu instid0(VALU_DEP_1) | instskip(SKIP_3) | instid1(VALU_DEP_1)
	v_add_f64 v[123:124], v[123:124], v[128:129]
	scratch_store_b64 v122, v[123:124], off
	scratch_load_b64 v[124:125], v121, off
	v_max_f64 v[122:123], v[8:9], v[8:9]
	v_min_f64 v[122:123], v[122:123], v[126:127]
	s_waitcnt vmcnt(0)
	s_delay_alu instid0(VALU_DEP_1) | instskip(SKIP_4) | instid1(VALU_DEP_1)
	v_add_f64 v[122:123], v[122:123], v[124:125]
	v_mov_b32_e32 v125, 0x100
	scratch_store_b64 v121, v[122:123], off
	scratch_load_b64 v[123:124], v120, off
	v_max_f64 v[121:122], v[10:11], v[10:11]
	v_min_f64 v[121:122], v[121:122], v[126:127]
	s_waitcnt vmcnt(0)
	s_delay_alu instid0(VALU_DEP_1) | instskip(SKIP_4) | instid1(VALU_DEP_1)
	v_add_f64 v[121:122], v[121:122], v[123:124]
	v_mov_b32_e32 v124, 0x108
	;; [unrolled: 8-line block ×27, first 2 shown]
	scratch_store_b64 v95, v[96:97], off
	scratch_load_b64 v[97:98], v94, off
	v_max_f64 v[95:96], v[62:63], v[62:63]
	v_min_f64 v[95:96], v[95:96], v[126:127]
	s_waitcnt vmcnt(0)
	s_delay_alu instid0(VALU_DEP_1)
	v_add_f64 v[95:96], v[95:96], v[97:98]
	v_mov_b32_e32 v98, 0x1d8
	v_mov_b32_e32 v97, 0x1e0
	scratch_store_b64 v94, v[95:96], off
	v_mov_b32_e32 v96, 0x1e8
	v_mov_b32_e32 v95, 0x1f0
	;; [unrolled: 1-line block ×3, first 2 shown]
	s_cbranch_vccnz .LBB146_63
; %bb.64:                               ;   in Loop: Header=BB146_34 Depth=1
	ds_load_2addr_b64 v[0:3], v83 offset0:3 offset1:19
	ds_load_2addr_b64 v[4:7], v83 offset0:35 offset1:51
	;; [unrolled: 1-line block ×12, first 2 shown]
	v_dual_mov_b32 v123, 8 :: v_dual_add_nc_u32 v64, 24, v87
	ds_load_2addr_b64 v[48:51], v93 offset0:131 offset1:147
	ds_load_2addr_b64 v[52:55], v93 offset0:163 offset1:179
	;; [unrolled: 1-line block ×4, first 2 shown]
	ds_load_2addr_stride64_b64 v[64:67], v64 offset1:4
	v_dual_mov_b32 v124, 0 :: v_dual_mov_b32 v121, 24
	v_dual_mov_b32 v122, 16 :: v_dual_mov_b32 v119, 40
	;; [unrolled: 1-line block ×5, first 2 shown]
	v_mov_b32_e32 v114, 0x50
	v_mov_b32_e32 v112, 0x60
	;; [unrolled: 1-line block ×21, first 2 shown]
	s_mov_b64 s[6:7], 0
	s_mov_b32 s25, -1
.LBB146_65:                             ;   Parent Loop BB146_34 Depth=1
                                        ; =>  This Inner Loop Header: Depth=2
	scratch_load_b64 v[129:130], v124, off
	s_cmp_eq_u32 s6, 1
	s_waitcnt lgkmcnt(16)
	v_max_f64 v[127:128], v[0:1], v[0:1]
	s_cselect_b32 vcc_lo, -1, 0
	s_mov_b64 s[6:7], 1
	s_waitcnt lgkmcnt(0)
	v_dual_cndmask_b32 v126, v65, v67 :: v_dual_cndmask_b32 v125, v64, v66
	s_and_b32 vcc_lo, exec_lo, s25
	s_mov_b32 s25, 0
	s_delay_alu instid0(VALU_DEP_1) | instskip(NEXT) | instid1(VALU_DEP_1)
	v_max_f64 v[125:126], v[125:126], v[125:126]
	v_min_f64 v[127:128], v[127:128], v[125:126]
	s_waitcnt vmcnt(0)
	s_delay_alu instid0(VALU_DEP_1) | instskip(SKIP_3) | instid1(VALU_DEP_1)
	v_add_f64 v[127:128], v[129:130], v[127:128]
	scratch_load_b64 v[129:130], v123, off
	scratch_store_b64 v124, v[127:128], off
	v_max_f64 v[127:128], v[2:3], v[2:3]
	v_min_f64 v[127:128], v[127:128], v[125:126]
	s_waitcnt vmcnt(0)
	s_delay_alu instid0(VALU_DEP_1) | instskip(SKIP_3) | instid1(VALU_DEP_1)
	v_add_f64 v[127:128], v[127:128], v[129:130]
	scratch_store_b64 v123, v[127:128], off
	scratch_load_b64 v[127:128], v122, off
	v_max_f64 v[123:124], v[4:5], v[4:5]
	v_min_f64 v[123:124], v[123:124], v[125:126]
	s_waitcnt vmcnt(0)
	s_delay_alu instid0(VALU_DEP_1) | instskip(SKIP_3) | instid1(VALU_DEP_1)
	v_add_f64 v[123:124], v[123:124], v[127:128]
	scratch_load_b64 v[127:128], v121, off
	scratch_store_b64 v122, v[123:124], off
	v_max_f64 v[122:123], v[6:7], v[6:7]
	v_min_f64 v[122:123], v[122:123], v[125:126]
	s_waitcnt vmcnt(0)
	s_delay_alu instid0(VALU_DEP_1) | instskip(SKIP_3) | instid1(VALU_DEP_1)
	v_add_f64 v[122:123], v[122:123], v[127:128]
	scratch_store_b64 v121, v[122:123], off
	scratch_load_b64 v[123:124], v120, off
	v_max_f64 v[121:122], v[8:9], v[8:9]
	v_min_f64 v[121:122], v[121:122], v[125:126]
	s_waitcnt vmcnt(0)
	s_delay_alu instid0(VALU_DEP_1) | instskip(SKIP_4) | instid1(VALU_DEP_1)
	v_add_f64 v[121:122], v[121:122], v[123:124]
	v_mov_b32_e32 v124, 0x100
	scratch_store_b64 v120, v[121:122], off
	scratch_load_b64 v[122:123], v119, off
	v_max_f64 v[120:121], v[10:11], v[10:11]
	v_min_f64 v[120:121], v[120:121], v[125:126]
	s_waitcnt vmcnt(0)
	s_delay_alu instid0(VALU_DEP_1) | instskip(SKIP_4) | instid1(VALU_DEP_1)
	v_add_f64 v[120:121], v[120:121], v[122:123]
	v_mov_b32_e32 v123, 0x108
	;; [unrolled: 8-line block ×27, first 2 shown]
	scratch_store_b64 v94, v[95:96], off
	scratch_load_b64 v[96:97], v93, off
	v_max_f64 v[94:95], v[62:63], v[62:63]
	v_min_f64 v[94:95], v[94:95], v[125:126]
	s_waitcnt vmcnt(0)
	s_delay_alu instid0(VALU_DEP_1)
	v_add_f64 v[94:95], v[94:95], v[96:97]
	v_mov_b32_e32 v97, 0x1d8
	v_mov_b32_e32 v96, 0x1e0
	scratch_store_b64 v93, v[94:95], off
	v_mov_b32_e32 v95, 0x1e8
	v_mov_b32_e32 v94, 0x1f0
	;; [unrolled: 1-line block ×3, first 2 shown]
	s_cbranch_vccnz .LBB146_65
; %bb.66:                               ;   in Loop: Header=BB146_34 Depth=1
	s_add_i32 s24, s24, 8
	s_add_i32 s22, s22, 8
	s_cmp_ge_i32 s24, s23
	ds_store_2addr_stride64_b64 v88, v[74:75], v[72:73] offset1:4
	ds_store_2addr_stride64_b64 v90, v[78:79], v[76:77] offset1:4
	s_waitcnt lgkmcnt(0)
	s_waitcnt_vscnt null, 0x0
	s_barrier
	buffer_gl0_inv
	s_cbranch_scc0 .LBB146_34
.LBB146_67:
	v_dual_mov_b32 v71, 8 :: v_dual_add_nc_u32 v28, 0x1000, v83
	v_dual_mov_b32 v75, 40 :: v_dual_add_nc_u32 v60, 0x1800, v83
	;; [unrolled: 1-line block ×3, first 2 shown]
	ds_load_2addr_b64 v[0:3], v28 offset1:16
	ds_load_2addr_b64 v[4:7], v28 offset0:32 offset1:48
	ds_load_2addr_b64 v[8:11], v28 offset0:64 offset1:80
	;; [unrolled: 1-line block ×7, first 2 shown]
	ds_load_2addr_b64 v[32:35], v60 offset1:16
	ds_load_2addr_b64 v[36:39], v60 offset0:32 offset1:48
	ds_load_2addr_b64 v[40:43], v60 offset0:64 offset1:80
	;; [unrolled: 1-line block ×7, first 2 shown]
	ds_load_2addr_stride64_b64 v[64:67], v85 offset0:24 offset1:28
	v_dual_mov_b32 v70, 0 :: v_dual_add_nc_u32 v69, 0x3000, v85
	v_dual_mov_b32 v72, 16 :: v_dual_mov_b32 v77, 56
	v_dual_mov_b32 v74, 32 :: v_dual_mov_b32 v79, 0x48
	;; [unrolled: 1-line block ×4, first 2 shown]
	v_mov_b32_e32 v82, 0x50
	v_mov_b32_e32 v84, 0x60
	;; [unrolled: 1-line block ×20, first 2 shown]
	s_mov_b64 s[2:3], 0
	s_mov_b32 s4, -1
.LBB146_68:                             ; =>This Inner Loop Header: Depth=1
	scratch_load_b64 v[104:105], v70, off
	scratch_load_b64 v[106:107], v71, off
	;; [unrolled: 1-line block ×32, first 2 shown]
	s_cmp_eq_u32 s2, 1
	s_waitcnt lgkmcnt(16)
	v_max_f64 v[170:171], v[0:1], v[0:1]
	s_cselect_b32 vcc_lo, -1, 0
	v_max_f64 v[172:173], v[2:3], v[2:3]
	s_waitcnt lgkmcnt(0)
	v_dual_cndmask_b32 v169, v65, v67 :: v_dual_cndmask_b32 v168, v64, v66
	v_max_f64 v[174:175], v[4:5], v[4:5]
	v_max_f64 v[176:177], v[6:7], v[6:7]
	;; [unrolled: 1-line block ×31, first 2 shown]
	s_mov_b64 s[2:3], 1
	s_and_b32 vcc_lo, exec_lo, s4
	s_mov_b32 s4, 0
	v_min_f64 v[170:171], v[170:171], v[168:169]
	v_min_f64 v[172:173], v[172:173], v[168:169]
	;; [unrolled: 1-line block ×32, first 2 shown]
	s_waitcnt vmcnt(31)
	v_add_f64 v[104:105], v[104:105], v[170:171]
	s_waitcnt vmcnt(30)
	v_add_f64 v[106:107], v[172:173], v[106:107]
	;; [unrolled: 2-line block ×32, first 2 shown]
	scratch_store_b64 v70, v[104:105], off
	scratch_store_b64 v71, v[106:107], off
	;; [unrolled: 1-line block ×32, first 2 shown]
	v_mov_b32_e32 v70, 0x100
	v_mov_b32_e32 v71, 0x108
	;; [unrolled: 1-line block ×32, first 2 shown]
	s_cbranch_vccnz .LBB146_68
; %bb.69:
	v_dual_mov_b32 v71, 8 :: v_dual_add_nc_u32 v60, 0x800, v68
	ds_load_2addr_b64 v[0:3], v68 offset0:1 offset1:17
	ds_load_2addr_b64 v[4:7], v68 offset0:33 offset1:49
	;; [unrolled: 1-line block ×12, first 2 shown]
	v_dual_mov_b32 v73, 24 :: v_dual_add_nc_u32 v64, 8, v69
	ds_load_2addr_b64 v[48:51], v60 offset0:129 offset1:145
	ds_load_2addr_b64 v[52:55], v60 offset0:161 offset1:177
	;; [unrolled: 1-line block ×4, first 2 shown]
	ds_load_2addr_stride64_b64 v[64:67], v64 offset1:4
	v_dual_mov_b32 v70, 0 :: v_dual_mov_b32 v75, 40
	v_dual_mov_b32 v72, 16 :: v_dual_mov_b32 v77, 56
	v_dual_mov_b32 v74, 32 :: v_dual_mov_b32 v79, 0x48
	v_dual_mov_b32 v76, 48 :: v_dual_mov_b32 v83, 0x58
	v_dual_mov_b32 v78, 64 :: v_dual_mov_b32 v85, 0x68
	v_mov_b32_e32 v82, 0x50
	v_mov_b32_e32 v84, 0x60
	v_mov_b32_e32 v86, 0x70
	v_mov_b32_e32 v87, 0x78
	v_mov_b32_e32 v88, 0x80
	v_mov_b32_e32 v89, 0x88
	v_mov_b32_e32 v90, 0x90
	v_mov_b32_e32 v91, 0x98
	v_mov_b32_e32 v92, 0xa0
	v_mov_b32_e32 v93, 0xa8
	v_mov_b32_e32 v94, 0xb0
	v_mov_b32_e32 v95, 0xb8
	v_mov_b32_e32 v96, 0xc0
	v_mov_b32_e32 v97, 0xc8
	v_mov_b32_e32 v98, 0xd0
	v_mov_b32_e32 v99, 0xd8
	v_mov_b32_e32 v100, 0xe0
	v_mov_b32_e32 v101, 0xe8
	v_mov_b32_e32 v102, 0xf0
	v_mov_b32_e32 v103, 0xf8
	s_mov_b64 s[2:3], 0
	s_mov_b32 s4, -1
.LBB146_70:                             ; =>This Inner Loop Header: Depth=1
	scratch_load_b64 v[104:105], v70, off
	scratch_load_b64 v[106:107], v71, off
	;; [unrolled: 1-line block ×32, first 2 shown]
	s_cmp_eq_u32 s2, 1
	s_waitcnt lgkmcnt(16)
	v_max_f64 v[170:171], v[0:1], v[0:1]
	s_cselect_b32 vcc_lo, -1, 0
	v_max_f64 v[172:173], v[2:3], v[2:3]
	s_waitcnt lgkmcnt(0)
	v_dual_cndmask_b32 v169, v65, v67 :: v_dual_cndmask_b32 v168, v64, v66
	v_max_f64 v[174:175], v[4:5], v[4:5]
	v_max_f64 v[176:177], v[6:7], v[6:7]
	;; [unrolled: 1-line block ×31, first 2 shown]
	s_mov_b64 s[2:3], 1
	s_and_b32 vcc_lo, exec_lo, s4
	s_mov_b32 s4, 0
	v_min_f64 v[170:171], v[170:171], v[168:169]
	v_min_f64 v[172:173], v[172:173], v[168:169]
	;; [unrolled: 1-line block ×32, first 2 shown]
	s_waitcnt vmcnt(31)
	v_add_f64 v[104:105], v[104:105], v[170:171]
	s_waitcnt vmcnt(30)
	v_add_f64 v[106:107], v[172:173], v[106:107]
	;; [unrolled: 2-line block ×32, first 2 shown]
	scratch_store_b64 v70, v[104:105], off
	scratch_store_b64 v71, v[106:107], off
	;; [unrolled: 1-line block ×32, first 2 shown]
	v_mov_b32_e32 v70, 0x100
	v_mov_b32_e32 v71, 0x108
	;; [unrolled: 1-line block ×32, first 2 shown]
	s_cbranch_vccnz .LBB146_70
; %bb.71:
	v_dual_mov_b32 v71, 8 :: v_dual_add_nc_u32 v60, 0x800, v68
	ds_load_2addr_b64 v[0:3], v68 offset0:2 offset1:18
	ds_load_2addr_b64 v[4:7], v68 offset0:34 offset1:50
	;; [unrolled: 1-line block ×12, first 2 shown]
	v_dual_mov_b32 v73, 24 :: v_dual_add_nc_u32 v64, 16, v69
	ds_load_2addr_b64 v[48:51], v60 offset0:130 offset1:146
	ds_load_2addr_b64 v[52:55], v60 offset0:162 offset1:178
	;; [unrolled: 1-line block ×4, first 2 shown]
	ds_load_2addr_stride64_b64 v[64:67], v64 offset1:4
	v_dual_mov_b32 v70, 0 :: v_dual_mov_b32 v75, 40
	v_dual_mov_b32 v72, 16 :: v_dual_mov_b32 v77, 56
	;; [unrolled: 1-line block ×5, first 2 shown]
	v_mov_b32_e32 v82, 0x50
	v_mov_b32_e32 v84, 0x60
	;; [unrolled: 1-line block ×20, first 2 shown]
	s_mov_b64 s[2:3], 0
	s_mov_b32 s4, -1
.LBB146_72:                             ; =>This Inner Loop Header: Depth=1
	scratch_load_b64 v[104:105], v70, off
	scratch_load_b64 v[106:107], v71, off
	;; [unrolled: 1-line block ×32, first 2 shown]
	s_cmp_eq_u32 s2, 1
	s_waitcnt lgkmcnt(16)
	v_max_f64 v[170:171], v[0:1], v[0:1]
	s_cselect_b32 vcc_lo, -1, 0
	v_max_f64 v[172:173], v[2:3], v[2:3]
	s_waitcnt lgkmcnt(0)
	v_dual_cndmask_b32 v169, v65, v67 :: v_dual_cndmask_b32 v168, v64, v66
	v_max_f64 v[174:175], v[4:5], v[4:5]
	v_max_f64 v[176:177], v[6:7], v[6:7]
	;; [unrolled: 1-line block ×31, first 2 shown]
	s_mov_b64 s[2:3], 1
	s_and_b32 vcc_lo, exec_lo, s4
	s_mov_b32 s4, 0
	v_min_f64 v[170:171], v[170:171], v[168:169]
	v_min_f64 v[172:173], v[172:173], v[168:169]
	;; [unrolled: 1-line block ×32, first 2 shown]
	s_waitcnt vmcnt(31)
	v_add_f64 v[104:105], v[104:105], v[170:171]
	s_waitcnt vmcnt(30)
	v_add_f64 v[106:107], v[172:173], v[106:107]
	s_waitcnt vmcnt(29)
	v_add_f64 v[108:109], v[174:175], v[108:109]
	s_waitcnt vmcnt(28)
	v_add_f64 v[110:111], v[176:177], v[110:111]
	s_waitcnt vmcnt(27)
	v_add_f64 v[112:113], v[178:179], v[112:113]
	s_waitcnt vmcnt(26)
	v_add_f64 v[114:115], v[180:181], v[114:115]
	s_waitcnt vmcnt(25)
	v_add_f64 v[116:117], v[182:183], v[116:117]
	s_waitcnt vmcnt(24)
	v_add_f64 v[118:119], v[184:185], v[118:119]
	s_waitcnt vmcnt(23)
	v_add_f64 v[120:121], v[186:187], v[120:121]
	s_waitcnt vmcnt(22)
	v_add_f64 v[122:123], v[188:189], v[122:123]
	s_waitcnt vmcnt(21)
	v_add_f64 v[124:125], v[190:191], v[124:125]
	s_waitcnt vmcnt(20)
	v_add_f64 v[126:127], v[192:193], v[126:127]
	s_waitcnt vmcnt(19)
	v_add_f64 v[128:129], v[194:195], v[128:129]
	s_waitcnt vmcnt(18)
	v_add_f64 v[130:131], v[196:197], v[130:131]
	s_waitcnt vmcnt(17)
	v_add_f64 v[132:133], v[198:199], v[132:133]
	s_waitcnt vmcnt(16)
	v_add_f64 v[134:135], v[200:201], v[134:135]
	s_waitcnt vmcnt(15)
	v_add_f64 v[136:137], v[202:203], v[136:137]
	s_waitcnt vmcnt(14)
	v_add_f64 v[138:139], v[204:205], v[138:139]
	s_waitcnt vmcnt(13)
	v_add_f64 v[140:141], v[206:207], v[140:141]
	s_waitcnt vmcnt(12)
	v_add_f64 v[142:143], v[208:209], v[142:143]
	s_waitcnt vmcnt(11)
	v_add_f64 v[144:145], v[210:211], v[144:145]
	s_waitcnt vmcnt(10)
	v_add_f64 v[146:147], v[212:213], v[146:147]
	s_waitcnt vmcnt(9)
	v_add_f64 v[148:149], v[214:215], v[148:149]
	s_waitcnt vmcnt(8)
	v_add_f64 v[150:151], v[216:217], v[150:151]
	s_waitcnt vmcnt(7)
	v_add_f64 v[152:153], v[218:219], v[152:153]
	s_waitcnt vmcnt(6)
	v_add_f64 v[154:155], v[220:221], v[154:155]
	s_waitcnt vmcnt(5)
	v_add_f64 v[156:157], v[222:223], v[156:157]
	s_waitcnt vmcnt(4)
	v_add_f64 v[158:159], v[224:225], v[158:159]
	s_waitcnt vmcnt(3)
	v_add_f64 v[160:161], v[226:227], v[160:161]
	s_waitcnt vmcnt(2)
	v_add_f64 v[162:163], v[228:229], v[162:163]
	s_waitcnt vmcnt(1)
	v_add_f64 v[164:165], v[230:231], v[164:165]
	s_waitcnt vmcnt(0)
	v_add_f64 v[166:167], v[168:169], v[166:167]
	scratch_store_b64 v70, v[104:105], off
	scratch_store_b64 v71, v[106:107], off
	scratch_store_b64 v72, v[108:109], off
	scratch_store_b64 v73, v[110:111], off
	scratch_store_b64 v74, v[112:113], off
	scratch_store_b64 v75, v[114:115], off
	scratch_store_b64 v76, v[116:117], off
	scratch_store_b64 v77, v[118:119], off
	scratch_store_b64 v78, v[120:121], off
	scratch_store_b64 v79, v[122:123], off
	scratch_store_b64 v82, v[124:125], off
	scratch_store_b64 v83, v[126:127], off
	scratch_store_b64 v84, v[128:129], off
	scratch_store_b64 v85, v[130:131], off
	scratch_store_b64 v86, v[132:133], off
	scratch_store_b64 v87, v[134:135], off
	scratch_store_b64 v88, v[136:137], off
	scratch_store_b64 v89, v[138:139], off
	scratch_store_b64 v90, v[140:141], off
	scratch_store_b64 v91, v[142:143], off
	scratch_store_b64 v92, v[144:145], off
	scratch_store_b64 v93, v[146:147], off
	scratch_store_b64 v94, v[148:149], off
	scratch_store_b64 v95, v[150:151], off
	scratch_store_b64 v96, v[152:153], off
	scratch_store_b64 v97, v[154:155], off
	scratch_store_b64 v98, v[156:157], off
	scratch_store_b64 v99, v[158:159], off
	scratch_store_b64 v100, v[160:161], off
	scratch_store_b64 v101, v[162:163], off
	scratch_store_b64 v102, v[164:165], off
	scratch_store_b64 v103, v[166:167], off
	v_mov_b32_e32 v70, 0x100
	v_mov_b32_e32 v71, 0x108
	;; [unrolled: 1-line block ×32, first 2 shown]
	s_cbranch_vccnz .LBB146_72
; %bb.73:
	v_add_nc_u32_e32 v60, 0x800, v68
	ds_load_2addr_b64 v[0:3], v68 offset0:3 offset1:19
	ds_load_2addr_b64 v[4:7], v68 offset0:35 offset1:51
	;; [unrolled: 1-line block ×4, first 2 shown]
	v_dual_mov_b32 v71, 24 :: v_dual_add_nc_u32 v64, 24, v69
	v_mov_b32_e32 v69, 8
	ds_load_2addr_b64 v[16:19], v68 offset0:131 offset1:147
	ds_load_2addr_b64 v[20:23], v68 offset0:163 offset1:179
	;; [unrolled: 1-line block ×12, first 2 shown]
	ds_load_2addr_stride64_b64 v[64:67], v64 offset1:4
	v_dual_mov_b32 v68, 0 :: v_dual_mov_b32 v73, 40
	v_dual_mov_b32 v70, 16 :: v_dual_mov_b32 v75, 56
	v_dual_mov_b32 v72, 32 :: v_dual_mov_b32 v77, 0x48
	v_dual_mov_b32 v74, 48 :: v_dual_mov_b32 v79, 0x58
	v_dual_mov_b32 v76, 64 :: v_dual_mov_b32 v83, 0x68
	v_mov_b32_e32 v78, 0x50
	v_mov_b32_e32 v82, 0x60
	;; [unrolled: 1-line block ×20, first 2 shown]
	s_mov_b64 s[2:3], 0
	s_mov_b32 s4, -1
.LBB146_74:                             ; =>This Inner Loop Header: Depth=1
	scratch_load_b64 v[102:103], v68, off
	scratch_load_b64 v[104:105], v69, off
	;; [unrolled: 1-line block ×32, first 2 shown]
	s_cmp_eq_u32 s2, 1
	s_waitcnt lgkmcnt(16)
	v_max_f64 v[168:169], v[0:1], v[0:1]
	s_cselect_b32 vcc_lo, -1, 0
	v_max_f64 v[170:171], v[2:3], v[2:3]
	s_waitcnt lgkmcnt(0)
	v_dual_cndmask_b32 v167, v65, v67 :: v_dual_cndmask_b32 v166, v64, v66
	v_max_f64 v[172:173], v[4:5], v[4:5]
	v_max_f64 v[174:175], v[6:7], v[6:7]
	;; [unrolled: 1-line block ×31, first 2 shown]
	s_mov_b64 s[2:3], 1
	s_and_b32 vcc_lo, exec_lo, s4
	s_mov_b32 s4, 0
	v_min_f64 v[168:169], v[168:169], v[166:167]
	v_min_f64 v[170:171], v[170:171], v[166:167]
	;; [unrolled: 1-line block ×32, first 2 shown]
	s_waitcnt vmcnt(31)
	v_add_f64 v[102:103], v[102:103], v[168:169]
	s_waitcnt vmcnt(30)
	v_add_f64 v[104:105], v[170:171], v[104:105]
	;; [unrolled: 2-line block ×32, first 2 shown]
	scratch_store_b64 v68, v[102:103], off
	scratch_store_b64 v69, v[104:105], off
	scratch_store_b64 v70, v[106:107], off
	scratch_store_b64 v71, v[108:109], off
	scratch_store_b64 v72, v[110:111], off
	scratch_store_b64 v73, v[112:113], off
	scratch_store_b64 v74, v[114:115], off
	scratch_store_b64 v75, v[116:117], off
	scratch_store_b64 v76, v[118:119], off
	scratch_store_b64 v77, v[120:121], off
	scratch_store_b64 v78, v[122:123], off
	scratch_store_b64 v79, v[124:125], off
	scratch_store_b64 v82, v[126:127], off
	scratch_store_b64 v83, v[128:129], off
	scratch_store_b64 v84, v[130:131], off
	scratch_store_b64 v85, v[132:133], off
	scratch_store_b64 v86, v[134:135], off
	scratch_store_b64 v87, v[136:137], off
	scratch_store_b64 v88, v[138:139], off
	scratch_store_b64 v89, v[140:141], off
	scratch_store_b64 v90, v[142:143], off
	scratch_store_b64 v91, v[144:145], off
	scratch_store_b64 v92, v[146:147], off
	scratch_store_b64 v93, v[148:149], off
	scratch_store_b64 v94, v[150:151], off
	scratch_store_b64 v95, v[152:153], off
	scratch_store_b64 v96, v[154:155], off
	scratch_store_b64 v97, v[156:157], off
	scratch_store_b64 v98, v[158:159], off
	scratch_store_b64 v99, v[160:161], off
	scratch_store_b64 v100, v[162:163], off
	scratch_store_b64 v101, v[164:165], off
	v_mov_b32_e32 v68, 0x100
	v_mov_b32_e32 v69, 0x108
	;; [unrolled: 1-line block ×32, first 2 shown]
	s_cbranch_vccnz .LBB146_74
; %bb.75:
	s_clause 0x2
	s_load_b32 s42, s[0:1], 0x58
	s_load_b32 s37, s[0:1], 0x70
	s_load_b64 s[2:3], s[0:1], 0x78
	v_add_nc_u32_e32 v71, s15, v81
	v_add_nc_u32_e32 v0, s14, v80
	v_cndmask_b32_e64 v70, 0, 1, s36
	s_delay_alu instid0(VALU_DEP_3) | instskip(NEXT) | instid1(VALU_DEP_3)
	v_cmp_gt_i32_e64 s11, s41, v71
	v_cmp_gt_i32_e64 s0, s40, v0
	s_waitcnt lgkmcnt(0)
	v_mad_i64_i32 v[1:2], null, v71, s42, 0
	v_mad_i64_i32 v[3:4], null, v71, s37, 0
	s_lshl_b64 s[2:3], s[2:3], 3
	s_delay_alu instid0(SALU_CYCLE_1) | instskip(SKIP_1) | instid1(VALU_DEP_2)
	s_add_u32 s43, s12, s2
	s_addc_u32 s44, s13, s3
	v_lshlrev_b64 v[5:6], 3, v[1:2]
	v_ashrrev_i32_e32 v1, 31, v0
	s_delay_alu instid0(VALU_DEP_3) | instskip(SKIP_1) | instid1(VALU_DEP_3)
	v_lshlrev_b64 v[2:3], 3, v[3:4]
	s_and_b32 s1, s11, s0
	v_add_co_u32 v68, vcc_lo, s34, v5
	s_delay_alu instid0(VALU_DEP_4) | instskip(NEXT) | instid1(VALU_DEP_3)
	v_add_co_ci_u32_e32 v69, vcc_lo, s35, v6, vcc_lo
	v_add_co_u32 v72, vcc_lo, s43, v2
	s_delay_alu instid0(VALU_DEP_4) | instskip(SKIP_1) | instid1(SALU_CYCLE_1)
	v_add_co_ci_u32_e32 v73, vcc_lo, s44, v3, vcc_lo
	s_and_saveexec_b32 s2, s1
	s_xor_b32 s1, exec_lo, s2
	s_cbranch_execz .LBB146_80
; %bb.76:
	scratch_load_b64 v[2:3], off, off
	v_lshlrev_b64 v[4:5], 3, v[0:1]
	s_and_not1_b32 vcc_lo, exec_lo, s36
	s_cbranch_vccnz .LBB146_78
; %bb.77:
	s_delay_alu instid0(VALU_DEP_1) | instskip(NEXT) | instid1(VALU_DEP_2)
	v_add_co_u32 v6, vcc_lo, v68, v4
	v_add_co_ci_u32_e32 v7, vcc_lo, v69, v5, vcc_lo
	flat_load_b64 v[6:7], v[6:7]
	s_waitcnt vmcnt(0) lgkmcnt(0)
	v_mul_f64 v[6:7], v[6:7], s[38:39]
	s_branch .LBB146_79
.LBB146_78:
	v_mov_b32_e32 v6, 0
	v_mov_b32_e32 v7, 0
.LBB146_79:
	s_waitcnt vmcnt(0)
	s_delay_alu instid0(VALU_DEP_1)
	v_add_f64 v[2:3], v[2:3], v[6:7]
	v_add_co_u32 v4, vcc_lo, v72, v4
	v_add_co_ci_u32_e32 v5, vcc_lo, v73, v5, vcc_lo
	global_store_b64 v[4:5], v[2:3], off
.LBB146_80:
	s_or_b32 exec_lo, exec_lo, s1
	v_add_nc_u32_e32 v2, 4, v0
	s_delay_alu instid0(VALU_DEP_1) | instskip(SKIP_1) | instid1(VALU_DEP_2)
	v_cmp_gt_i32_e64 s1, s40, v2
	v_ashrrev_i32_e32 v3, 31, v2
	s_and_b32 s3, s11, s1
	s_delay_alu instid0(SALU_CYCLE_1)
	s_and_saveexec_b32 s2, s3
	s_cbranch_execz .LBB146_85
; %bb.81:
	scratch_load_b64 v[4:5], off, off offset:8
	v_lshlrev_b64 v[6:7], 3, v[2:3]
	s_and_not1_b32 vcc_lo, exec_lo, s36
	s_cbranch_vccnz .LBB146_83
; %bb.82:
	s_delay_alu instid0(VALU_DEP_1) | instskip(NEXT) | instid1(VALU_DEP_2)
	v_add_co_u32 v8, vcc_lo, v68, v6
	v_add_co_ci_u32_e32 v9, vcc_lo, v69, v7, vcc_lo
	flat_load_b64 v[8:9], v[8:9]
	s_waitcnt vmcnt(0) lgkmcnt(0)
	v_mul_f64 v[8:9], v[8:9], s[38:39]
	s_branch .LBB146_84
.LBB146_83:
	v_mov_b32_e32 v8, 0
	v_mov_b32_e32 v9, 0
.LBB146_84:
	s_waitcnt vmcnt(0)
	s_delay_alu instid0(VALU_DEP_1)
	v_add_f64 v[4:5], v[4:5], v[8:9]
	v_add_co_u32 v6, vcc_lo, v72, v6
	v_add_co_ci_u32_e32 v7, vcc_lo, v73, v7, vcc_lo
	global_store_b64 v[6:7], v[4:5], off
.LBB146_85:
	s_or_b32 exec_lo, exec_lo, s2
	v_add_nc_u32_e32 v4, 8, v0
	s_delay_alu instid0(VALU_DEP_1) | instskip(SKIP_1) | instid1(VALU_DEP_2)
	v_cmp_gt_i32_e64 s2, s40, v4
	v_ashrrev_i32_e32 v5, 31, v4
	s_and_b32 s4, s11, s2
	s_delay_alu instid0(SALU_CYCLE_1)
	s_and_saveexec_b32 s3, s4
	s_cbranch_execz .LBB146_90
; %bb.86:
	scratch_load_b64 v[6:7], off, off offset:16
	v_lshlrev_b64 v[8:9], 3, v[4:5]
	s_and_not1_b32 vcc_lo, exec_lo, s36
	s_cbranch_vccnz .LBB146_88
; %bb.87:
	s_delay_alu instid0(VALU_DEP_1) | instskip(NEXT) | instid1(VALU_DEP_2)
	v_add_co_u32 v10, vcc_lo, v68, v8
	v_add_co_ci_u32_e32 v11, vcc_lo, v69, v9, vcc_lo
	flat_load_b64 v[10:11], v[10:11]
	s_waitcnt vmcnt(0) lgkmcnt(0)
	v_mul_f64 v[10:11], v[10:11], s[38:39]
	s_branch .LBB146_89
.LBB146_88:
	v_mov_b32_e32 v10, 0
	v_mov_b32_e32 v11, 0
.LBB146_89:
	s_waitcnt vmcnt(0)
	s_delay_alu instid0(VALU_DEP_1)
	v_add_f64 v[6:7], v[6:7], v[10:11]
	v_add_co_u32 v8, vcc_lo, v72, v8
	v_add_co_ci_u32_e32 v9, vcc_lo, v73, v9, vcc_lo
	global_store_b64 v[8:9], v[6:7], off
.LBB146_90:
	;; [unrolled: 33-line block ×31, first 2 shown]
	s_or_b32 exec_lo, exec_lo, s11
	v_add_nc_u32_e32 v68, 64, v71
	s_delay_alu instid0(VALU_DEP_1) | instskip(SKIP_2) | instid1(VALU_DEP_3)
	v_mad_i64_i32 v[64:65], null, v68, s42, 0
	v_mad_i64_i32 v[66:67], null, v68, s37, 0
	v_cmp_gt_i32_e64 s11, s41, v68
	v_lshlrev_b64 v[64:65], 3, v[64:65]
	s_delay_alu instid0(VALU_DEP_2) | instskip(NEXT) | instid1(VALU_DEP_3)
	s_and_b32 s0, s11, s0
	v_lshlrev_b64 v[66:67], 3, v[66:67]
	s_delay_alu instid0(VALU_DEP_2) | instskip(NEXT) | instid1(VALU_DEP_3)
	v_add_co_u32 v71, vcc_lo, s34, v64
	v_add_co_ci_u32_e32 v72, vcc_lo, s35, v65, vcc_lo
	s_delay_alu instid0(VALU_DEP_3) | instskip(NEXT) | instid1(VALU_DEP_4)
	v_add_co_u32 v68, vcc_lo, s43, v66
	v_add_co_ci_u32_e32 v69, vcc_lo, s44, v67, vcc_lo
	s_and_saveexec_b32 s34, s0
	s_delay_alu instid0(SALU_CYCLE_1)
	s_xor_b32 s0, exec_lo, s34
	s_cbranch_execnz .LBB146_268
; %bb.236:
	s_or_b32 exec_lo, exec_lo, s0
	s_and_b32 s1, s11, s1
	s_delay_alu instid0(SALU_CYCLE_1)
	s_and_saveexec_b32 s0, s1
	s_cbranch_execnz .LBB146_272
.LBB146_237:
	s_or_b32 exec_lo, exec_lo, s0
	s_and_b32 s1, s11, s2
	s_delay_alu instid0(SALU_CYCLE_1)
	s_and_saveexec_b32 s0, s1
	s_cbranch_execnz .LBB146_276
.LBB146_238:
	s_or_b32 exec_lo, exec_lo, s0
	s_and_b32 s1, s11, s3
	s_delay_alu instid0(SALU_CYCLE_1)
	s_and_saveexec_b32 s0, s1
	s_cbranch_execnz .LBB146_280
.LBB146_239:
	s_or_b32 exec_lo, exec_lo, s0
	s_and_b32 s1, s11, s4
	s_delay_alu instid0(SALU_CYCLE_1)
	s_and_saveexec_b32 s0, s1
	s_cbranch_execnz .LBB146_284
.LBB146_240:
	s_or_b32 exec_lo, exec_lo, s0
	s_and_b32 s1, s11, s5
	s_delay_alu instid0(SALU_CYCLE_1)
	s_and_saveexec_b32 s0, s1
	s_cbranch_execnz .LBB146_288
.LBB146_241:
	s_or_b32 exec_lo, exec_lo, s0
	s_and_b32 s1, s11, s6
	s_delay_alu instid0(SALU_CYCLE_1)
	s_and_saveexec_b32 s0, s1
	s_cbranch_execnz .LBB146_292
.LBB146_242:
	s_or_b32 exec_lo, exec_lo, s0
	s_and_b32 s1, s11, s7
	s_delay_alu instid0(SALU_CYCLE_1)
	s_and_saveexec_b32 s0, s1
	s_cbranch_execnz .LBB146_296
.LBB146_243:
	s_or_b32 exec_lo, exec_lo, s0
	s_and_b32 s1, s11, s8
	s_delay_alu instid0(SALU_CYCLE_1)
	s_and_saveexec_b32 s0, s1
	s_cbranch_execnz .LBB146_300
.LBB146_244:
	s_or_b32 exec_lo, exec_lo, s0
	s_and_b32 s1, s11, s9
	s_delay_alu instid0(SALU_CYCLE_1)
	s_and_saveexec_b32 s0, s1
	s_cbranch_execnz .LBB146_304
.LBB146_245:
	s_or_b32 exec_lo, exec_lo, s0
	s_and_b32 s1, s11, s10
	s_delay_alu instid0(SALU_CYCLE_1)
	s_and_saveexec_b32 s0, s1
	s_cbranch_execnz .LBB146_308
.LBB146_246:
	s_or_b32 exec_lo, exec_lo, s0
	s_and_b32 s1, s11, s12
	s_delay_alu instid0(SALU_CYCLE_1)
	s_and_saveexec_b32 s0, s1
	s_cbranch_execnz .LBB146_312
.LBB146_247:
	s_or_b32 exec_lo, exec_lo, s0
	s_and_b32 s1, s11, s13
	s_delay_alu instid0(SALU_CYCLE_1)
	s_and_saveexec_b32 s0, s1
	s_cbranch_execnz .LBB146_316
.LBB146_248:
	s_or_b32 exec_lo, exec_lo, s0
	s_and_b32 s1, s11, s14
	s_delay_alu instid0(SALU_CYCLE_1)
	s_and_saveexec_b32 s0, s1
	s_cbranch_execnz .LBB146_320
.LBB146_249:
	s_or_b32 exec_lo, exec_lo, s0
	s_and_b32 s1, s11, s15
	s_delay_alu instid0(SALU_CYCLE_1)
	s_and_saveexec_b32 s0, s1
	s_cbranch_execnz .LBB146_324
.LBB146_250:
	s_or_b32 exec_lo, exec_lo, s0
	s_and_b32 s1, s11, s16
	s_delay_alu instid0(SALU_CYCLE_1)
	s_and_saveexec_b32 s0, s1
	s_cbranch_execnz .LBB146_328
.LBB146_251:
	s_or_b32 exec_lo, exec_lo, s0
	s_and_b32 s1, s11, s17
	s_delay_alu instid0(SALU_CYCLE_1)
	s_and_saveexec_b32 s0, s1
	s_cbranch_execnz .LBB146_332
.LBB146_252:
	s_or_b32 exec_lo, exec_lo, s0
	s_and_b32 s1, s11, s18
	s_delay_alu instid0(SALU_CYCLE_1)
	s_and_saveexec_b32 s0, s1
	s_cbranch_execnz .LBB146_336
.LBB146_253:
	s_or_b32 exec_lo, exec_lo, s0
	s_and_b32 s1, s11, s19
	s_delay_alu instid0(SALU_CYCLE_1)
	s_and_saveexec_b32 s0, s1
	s_cbranch_execnz .LBB146_340
.LBB146_254:
	s_or_b32 exec_lo, exec_lo, s0
	s_and_b32 s1, s11, s20
	s_delay_alu instid0(SALU_CYCLE_1)
	s_and_saveexec_b32 s0, s1
	s_cbranch_execnz .LBB146_344
.LBB146_255:
	s_or_b32 exec_lo, exec_lo, s0
	s_and_b32 s1, s11, s21
	s_delay_alu instid0(SALU_CYCLE_1)
	s_and_saveexec_b32 s0, s1
	s_cbranch_execnz .LBB146_348
.LBB146_256:
	s_or_b32 exec_lo, exec_lo, s0
	s_and_b32 s1, s11, s22
	s_delay_alu instid0(SALU_CYCLE_1)
	s_and_saveexec_b32 s0, s1
	s_cbranch_execnz .LBB146_352
.LBB146_257:
	s_or_b32 exec_lo, exec_lo, s0
	s_and_b32 s1, s11, s23
	s_delay_alu instid0(SALU_CYCLE_1)
	s_and_saveexec_b32 s0, s1
	s_cbranch_execnz .LBB146_356
.LBB146_258:
	s_or_b32 exec_lo, exec_lo, s0
	s_and_b32 s1, s11, s24
	s_delay_alu instid0(SALU_CYCLE_1)
	s_and_saveexec_b32 s0, s1
	s_cbranch_execnz .LBB146_360
.LBB146_259:
	s_or_b32 exec_lo, exec_lo, s0
	s_and_b32 s1, s11, s25
	s_delay_alu instid0(SALU_CYCLE_1)
	s_and_saveexec_b32 s0, s1
	s_cbranch_execnz .LBB146_364
.LBB146_260:
	s_or_b32 exec_lo, exec_lo, s0
	s_and_b32 s1, s11, s26
	s_delay_alu instid0(SALU_CYCLE_1)
	s_and_saveexec_b32 s0, s1
	s_cbranch_execnz .LBB146_368
.LBB146_261:
	s_or_b32 exec_lo, exec_lo, s0
	s_and_b32 s1, s11, s27
	s_delay_alu instid0(SALU_CYCLE_1)
	s_and_saveexec_b32 s0, s1
	s_cbranch_execnz .LBB146_372
.LBB146_262:
	s_or_b32 exec_lo, exec_lo, s0
	s_and_b32 s1, s11, s28
	s_delay_alu instid0(SALU_CYCLE_1)
	s_and_saveexec_b32 s0, s1
	s_cbranch_execnz .LBB146_376
.LBB146_263:
	s_or_b32 exec_lo, exec_lo, s0
	s_and_b32 s1, s11, s29
	s_delay_alu instid0(SALU_CYCLE_1)
	s_and_saveexec_b32 s0, s1
	s_cbranch_execnz .LBB146_380
.LBB146_264:
	s_or_b32 exec_lo, exec_lo, s0
	s_and_b32 s1, s11, s30
	s_delay_alu instid0(SALU_CYCLE_1)
	s_and_saveexec_b32 s0, s1
	s_cbranch_execnz .LBB146_384
.LBB146_265:
	s_or_b32 exec_lo, exec_lo, s0
	s_and_b32 s1, s11, s31
	s_delay_alu instid0(SALU_CYCLE_1)
	s_and_saveexec_b32 s0, s1
	s_cbranch_execnz .LBB146_388
.LBB146_266:
	s_or_b32 exec_lo, exec_lo, s0
	s_and_b32 s0, s11, s33
	s_delay_alu instid0(SALU_CYCLE_1)
	s_and_saveexec_b32 s1, s0
	s_cbranch_execnz .LBB146_392
.LBB146_267:
	s_endpgm
.LBB146_268:
	scratch_load_b64 v[64:65], off, off offset:256
	v_lshlrev_b64 v[0:1], 3, v[0:1]
	s_and_not1_b32 vcc_lo, exec_lo, s36
	s_cbranch_vccnz .LBB146_270
; %bb.269:
	s_delay_alu instid0(VALU_DEP_1) | instskip(NEXT) | instid1(VALU_DEP_2)
	v_add_co_u32 v66, vcc_lo, v71, v0
	v_add_co_ci_u32_e32 v67, vcc_lo, v72, v1, vcc_lo
	flat_load_b64 v[66:67], v[66:67]
	s_waitcnt vmcnt(0) lgkmcnt(0)
	v_mul_f64 v[66:67], v[66:67], s[38:39]
	s_branch .LBB146_271
.LBB146_270:
	v_mov_b32_e32 v66, 0
	v_mov_b32_e32 v67, 0
.LBB146_271:
	s_waitcnt vmcnt(0)
	s_delay_alu instid0(VALU_DEP_1)
	v_add_f64 v[64:65], v[64:65], v[66:67]
	v_add_co_u32 v0, vcc_lo, v68, v0
	v_add_co_ci_u32_e32 v1, vcc_lo, v69, v1, vcc_lo
	global_store_b64 v[0:1], v[64:65], off
	s_or_b32 exec_lo, exec_lo, s0
	s_and_b32 s1, s11, s1
	s_delay_alu instid0(SALU_CYCLE_1)
	s_and_saveexec_b32 s0, s1
	s_cbranch_execz .LBB146_237
.LBB146_272:
	scratch_load_b64 v[0:1], off, off offset:264
	v_cmp_ne_u32_e32 vcc_lo, 1, v70
	v_lshlrev_b64 v[2:3], 3, v[2:3]
	s_cbranch_vccnz .LBB146_274
; %bb.273:
	s_delay_alu instid0(VALU_DEP_1) | instskip(NEXT) | instid1(VALU_DEP_2)
	v_add_co_u32 v64, vcc_lo, v71, v2
	v_add_co_ci_u32_e32 v65, vcc_lo, v72, v3, vcc_lo
	flat_load_b64 v[64:65], v[64:65]
	s_waitcnt vmcnt(0) lgkmcnt(0)
	v_mul_f64 v[64:65], v[64:65], s[38:39]
	s_branch .LBB146_275
.LBB146_274:
	v_mov_b32_e32 v64, 0
	v_mov_b32_e32 v65, 0
.LBB146_275:
	s_waitcnt vmcnt(0)
	s_delay_alu instid0(VALU_DEP_1)
	v_add_f64 v[0:1], v[0:1], v[64:65]
	v_add_co_u32 v2, vcc_lo, v68, v2
	v_add_co_ci_u32_e32 v3, vcc_lo, v69, v3, vcc_lo
	global_store_b64 v[2:3], v[0:1], off
	s_or_b32 exec_lo, exec_lo, s0
	s_and_b32 s1, s11, s2
	s_delay_alu instid0(SALU_CYCLE_1)
	s_and_saveexec_b32 s0, s1
	s_cbranch_execz .LBB146_238
.LBB146_276:
	scratch_load_b64 v[0:1], off, off offset:272
	v_cmp_ne_u32_e32 vcc_lo, 1, v70
	v_lshlrev_b64 v[2:3], 3, v[4:5]
	s_cbranch_vccnz .LBB146_278
; %bb.277:
	s_delay_alu instid0(VALU_DEP_1) | instskip(NEXT) | instid1(VALU_DEP_2)
	v_add_co_u32 v4, vcc_lo, v71, v2
	v_add_co_ci_u32_e32 v5, vcc_lo, v72, v3, vcc_lo
	flat_load_b64 v[4:5], v[4:5]
	s_waitcnt vmcnt(0) lgkmcnt(0)
	v_mul_f64 v[4:5], v[4:5], s[38:39]
	s_branch .LBB146_279
.LBB146_278:
	v_mov_b32_e32 v4, 0
	v_mov_b32_e32 v5, 0
.LBB146_279:
	s_waitcnt vmcnt(0)
	s_delay_alu instid0(VALU_DEP_1)
	v_add_f64 v[0:1], v[0:1], v[4:5]
	v_add_co_u32 v2, vcc_lo, v68, v2
	v_add_co_ci_u32_e32 v3, vcc_lo, v69, v3, vcc_lo
	global_store_b64 v[2:3], v[0:1], off
	s_or_b32 exec_lo, exec_lo, s0
	s_and_b32 s1, s11, s3
	s_delay_alu instid0(SALU_CYCLE_1)
	s_and_saveexec_b32 s0, s1
	s_cbranch_execz .LBB146_239
.LBB146_280:
	scratch_load_b64 v[0:1], off, off offset:280
	v_cmp_ne_u32_e32 vcc_lo, 1, v70
	v_lshlrev_b64 v[2:3], 3, v[6:7]
	s_cbranch_vccnz .LBB146_282
; %bb.281:
	s_delay_alu instid0(VALU_DEP_1) | instskip(NEXT) | instid1(VALU_DEP_2)
	v_add_co_u32 v4, vcc_lo, v71, v2
	v_add_co_ci_u32_e32 v5, vcc_lo, v72, v3, vcc_lo
	flat_load_b64 v[4:5], v[4:5]
	s_waitcnt vmcnt(0) lgkmcnt(0)
	v_mul_f64 v[4:5], v[4:5], s[38:39]
	s_branch .LBB146_283
.LBB146_282:
	v_mov_b32_e32 v4, 0
	v_mov_b32_e32 v5, 0
.LBB146_283:
	s_waitcnt vmcnt(0)
	s_delay_alu instid0(VALU_DEP_1)
	v_add_f64 v[0:1], v[0:1], v[4:5]
	v_add_co_u32 v2, vcc_lo, v68, v2
	v_add_co_ci_u32_e32 v3, vcc_lo, v69, v3, vcc_lo
	global_store_b64 v[2:3], v[0:1], off
	s_or_b32 exec_lo, exec_lo, s0
	s_and_b32 s1, s11, s4
	s_delay_alu instid0(SALU_CYCLE_1)
	s_and_saveexec_b32 s0, s1
	s_cbranch_execz .LBB146_240
.LBB146_284:
	scratch_load_b64 v[0:1], off, off offset:288
	v_cmp_ne_u32_e32 vcc_lo, 1, v70
	v_lshlrev_b64 v[2:3], 3, v[8:9]
	s_cbranch_vccnz .LBB146_286
; %bb.285:
	s_delay_alu instid0(VALU_DEP_1) | instskip(NEXT) | instid1(VALU_DEP_2)
	v_add_co_u32 v4, vcc_lo, v71, v2
	v_add_co_ci_u32_e32 v5, vcc_lo, v72, v3, vcc_lo
	flat_load_b64 v[4:5], v[4:5]
	s_waitcnt vmcnt(0) lgkmcnt(0)
	v_mul_f64 v[4:5], v[4:5], s[38:39]
	s_branch .LBB146_287
.LBB146_286:
	v_mov_b32_e32 v4, 0
	v_mov_b32_e32 v5, 0
.LBB146_287:
	s_waitcnt vmcnt(0)
	s_delay_alu instid0(VALU_DEP_1)
	v_add_f64 v[0:1], v[0:1], v[4:5]
	v_add_co_u32 v2, vcc_lo, v68, v2
	v_add_co_ci_u32_e32 v3, vcc_lo, v69, v3, vcc_lo
	global_store_b64 v[2:3], v[0:1], off
	s_or_b32 exec_lo, exec_lo, s0
	s_and_b32 s1, s11, s5
	s_delay_alu instid0(SALU_CYCLE_1)
	s_and_saveexec_b32 s0, s1
	s_cbranch_execz .LBB146_241
.LBB146_288:
	scratch_load_b64 v[0:1], off, off offset:296
	v_cmp_ne_u32_e32 vcc_lo, 1, v70
	v_lshlrev_b64 v[2:3], 3, v[10:11]
	s_cbranch_vccnz .LBB146_290
; %bb.289:
	s_delay_alu instid0(VALU_DEP_1) | instskip(NEXT) | instid1(VALU_DEP_2)
	v_add_co_u32 v4, vcc_lo, v71, v2
	v_add_co_ci_u32_e32 v5, vcc_lo, v72, v3, vcc_lo
	flat_load_b64 v[4:5], v[4:5]
	s_waitcnt vmcnt(0) lgkmcnt(0)
	v_mul_f64 v[4:5], v[4:5], s[38:39]
	s_branch .LBB146_291
.LBB146_290:
	v_mov_b32_e32 v4, 0
	v_mov_b32_e32 v5, 0
.LBB146_291:
	s_waitcnt vmcnt(0)
	s_delay_alu instid0(VALU_DEP_1)
	v_add_f64 v[0:1], v[0:1], v[4:5]
	v_add_co_u32 v2, vcc_lo, v68, v2
	v_add_co_ci_u32_e32 v3, vcc_lo, v69, v3, vcc_lo
	global_store_b64 v[2:3], v[0:1], off
	s_or_b32 exec_lo, exec_lo, s0
	s_and_b32 s1, s11, s6
	s_delay_alu instid0(SALU_CYCLE_1)
	s_and_saveexec_b32 s0, s1
	s_cbranch_execz .LBB146_242
.LBB146_292:
	scratch_load_b64 v[0:1], off, off offset:304
	v_cmp_ne_u32_e32 vcc_lo, 1, v70
	v_lshlrev_b64 v[2:3], 3, v[12:13]
	s_cbranch_vccnz .LBB146_294
; %bb.293:
	s_delay_alu instid0(VALU_DEP_1) | instskip(NEXT) | instid1(VALU_DEP_2)
	v_add_co_u32 v4, vcc_lo, v71, v2
	v_add_co_ci_u32_e32 v5, vcc_lo, v72, v3, vcc_lo
	flat_load_b64 v[4:5], v[4:5]
	s_waitcnt vmcnt(0) lgkmcnt(0)
	v_mul_f64 v[4:5], v[4:5], s[38:39]
	s_branch .LBB146_295
.LBB146_294:
	v_mov_b32_e32 v4, 0
	v_mov_b32_e32 v5, 0
.LBB146_295:
	s_waitcnt vmcnt(0)
	s_delay_alu instid0(VALU_DEP_1)
	v_add_f64 v[0:1], v[0:1], v[4:5]
	v_add_co_u32 v2, vcc_lo, v68, v2
	v_add_co_ci_u32_e32 v3, vcc_lo, v69, v3, vcc_lo
	global_store_b64 v[2:3], v[0:1], off
	s_or_b32 exec_lo, exec_lo, s0
	s_and_b32 s1, s11, s7
	s_delay_alu instid0(SALU_CYCLE_1)
	s_and_saveexec_b32 s0, s1
	s_cbranch_execz .LBB146_243
.LBB146_296:
	scratch_load_b64 v[0:1], off, off offset:312
	v_cmp_ne_u32_e32 vcc_lo, 1, v70
	v_lshlrev_b64 v[2:3], 3, v[14:15]
	s_cbranch_vccnz .LBB146_298
; %bb.297:
	s_delay_alu instid0(VALU_DEP_1) | instskip(NEXT) | instid1(VALU_DEP_2)
	v_add_co_u32 v4, vcc_lo, v71, v2
	v_add_co_ci_u32_e32 v5, vcc_lo, v72, v3, vcc_lo
	flat_load_b64 v[4:5], v[4:5]
	s_waitcnt vmcnt(0) lgkmcnt(0)
	v_mul_f64 v[4:5], v[4:5], s[38:39]
	s_branch .LBB146_299
.LBB146_298:
	v_mov_b32_e32 v4, 0
	v_mov_b32_e32 v5, 0
.LBB146_299:
	s_waitcnt vmcnt(0)
	s_delay_alu instid0(VALU_DEP_1)
	v_add_f64 v[0:1], v[0:1], v[4:5]
	v_add_co_u32 v2, vcc_lo, v68, v2
	v_add_co_ci_u32_e32 v3, vcc_lo, v69, v3, vcc_lo
	global_store_b64 v[2:3], v[0:1], off
	s_or_b32 exec_lo, exec_lo, s0
	s_and_b32 s1, s11, s8
	s_delay_alu instid0(SALU_CYCLE_1)
	s_and_saveexec_b32 s0, s1
	s_cbranch_execz .LBB146_244
.LBB146_300:
	scratch_load_b64 v[0:1], off, off offset:320
	v_cmp_ne_u32_e32 vcc_lo, 1, v70
	v_lshlrev_b64 v[2:3], 3, v[16:17]
	s_cbranch_vccnz .LBB146_302
; %bb.301:
	s_delay_alu instid0(VALU_DEP_1) | instskip(NEXT) | instid1(VALU_DEP_2)
	v_add_co_u32 v4, vcc_lo, v71, v2
	v_add_co_ci_u32_e32 v5, vcc_lo, v72, v3, vcc_lo
	flat_load_b64 v[4:5], v[4:5]
	s_waitcnt vmcnt(0) lgkmcnt(0)
	v_mul_f64 v[4:5], v[4:5], s[38:39]
	s_branch .LBB146_303
.LBB146_302:
	v_mov_b32_e32 v4, 0
	v_mov_b32_e32 v5, 0
.LBB146_303:
	s_waitcnt vmcnt(0)
	s_delay_alu instid0(VALU_DEP_1)
	v_add_f64 v[0:1], v[0:1], v[4:5]
	v_add_co_u32 v2, vcc_lo, v68, v2
	v_add_co_ci_u32_e32 v3, vcc_lo, v69, v3, vcc_lo
	global_store_b64 v[2:3], v[0:1], off
	s_or_b32 exec_lo, exec_lo, s0
	s_and_b32 s1, s11, s9
	s_delay_alu instid0(SALU_CYCLE_1)
	s_and_saveexec_b32 s0, s1
	s_cbranch_execz .LBB146_245
.LBB146_304:
	scratch_load_b64 v[0:1], off, off offset:328
	v_cmp_ne_u32_e32 vcc_lo, 1, v70
	v_lshlrev_b64 v[2:3], 3, v[18:19]
	s_cbranch_vccnz .LBB146_306
; %bb.305:
	s_delay_alu instid0(VALU_DEP_1) | instskip(NEXT) | instid1(VALU_DEP_2)
	v_add_co_u32 v4, vcc_lo, v71, v2
	v_add_co_ci_u32_e32 v5, vcc_lo, v72, v3, vcc_lo
	flat_load_b64 v[4:5], v[4:5]
	s_waitcnt vmcnt(0) lgkmcnt(0)
	v_mul_f64 v[4:5], v[4:5], s[38:39]
	s_branch .LBB146_307
.LBB146_306:
	v_mov_b32_e32 v4, 0
	v_mov_b32_e32 v5, 0
.LBB146_307:
	s_waitcnt vmcnt(0)
	s_delay_alu instid0(VALU_DEP_1)
	v_add_f64 v[0:1], v[0:1], v[4:5]
	v_add_co_u32 v2, vcc_lo, v68, v2
	v_add_co_ci_u32_e32 v3, vcc_lo, v69, v3, vcc_lo
	global_store_b64 v[2:3], v[0:1], off
	s_or_b32 exec_lo, exec_lo, s0
	s_and_b32 s1, s11, s10
	s_delay_alu instid0(SALU_CYCLE_1)
	s_and_saveexec_b32 s0, s1
	s_cbranch_execz .LBB146_246
.LBB146_308:
	scratch_load_b64 v[0:1], off, off offset:336
	v_cmp_ne_u32_e32 vcc_lo, 1, v70
	v_lshlrev_b64 v[2:3], 3, v[20:21]
	s_cbranch_vccnz .LBB146_310
; %bb.309:
	s_delay_alu instid0(VALU_DEP_1) | instskip(NEXT) | instid1(VALU_DEP_2)
	v_add_co_u32 v4, vcc_lo, v71, v2
	v_add_co_ci_u32_e32 v5, vcc_lo, v72, v3, vcc_lo
	flat_load_b64 v[4:5], v[4:5]
	s_waitcnt vmcnt(0) lgkmcnt(0)
	v_mul_f64 v[4:5], v[4:5], s[38:39]
	s_branch .LBB146_311
.LBB146_310:
	v_mov_b32_e32 v4, 0
	v_mov_b32_e32 v5, 0
.LBB146_311:
	s_waitcnt vmcnt(0)
	s_delay_alu instid0(VALU_DEP_1)
	v_add_f64 v[0:1], v[0:1], v[4:5]
	v_add_co_u32 v2, vcc_lo, v68, v2
	v_add_co_ci_u32_e32 v3, vcc_lo, v69, v3, vcc_lo
	global_store_b64 v[2:3], v[0:1], off
	s_or_b32 exec_lo, exec_lo, s0
	s_and_b32 s1, s11, s12
	s_delay_alu instid0(SALU_CYCLE_1)
	s_and_saveexec_b32 s0, s1
	s_cbranch_execz .LBB146_247
.LBB146_312:
	scratch_load_b64 v[0:1], off, off offset:344
	v_cmp_ne_u32_e32 vcc_lo, 1, v70
	v_lshlrev_b64 v[2:3], 3, v[22:23]
	s_cbranch_vccnz .LBB146_314
; %bb.313:
	s_delay_alu instid0(VALU_DEP_1) | instskip(NEXT) | instid1(VALU_DEP_2)
	v_add_co_u32 v4, vcc_lo, v71, v2
	v_add_co_ci_u32_e32 v5, vcc_lo, v72, v3, vcc_lo
	flat_load_b64 v[4:5], v[4:5]
	s_waitcnt vmcnt(0) lgkmcnt(0)
	v_mul_f64 v[4:5], v[4:5], s[38:39]
	s_branch .LBB146_315
.LBB146_314:
	v_mov_b32_e32 v4, 0
	v_mov_b32_e32 v5, 0
.LBB146_315:
	s_waitcnt vmcnt(0)
	s_delay_alu instid0(VALU_DEP_1)
	v_add_f64 v[0:1], v[0:1], v[4:5]
	v_add_co_u32 v2, vcc_lo, v68, v2
	v_add_co_ci_u32_e32 v3, vcc_lo, v69, v3, vcc_lo
	global_store_b64 v[2:3], v[0:1], off
	s_or_b32 exec_lo, exec_lo, s0
	s_and_b32 s1, s11, s13
	s_delay_alu instid0(SALU_CYCLE_1)
	s_and_saveexec_b32 s0, s1
	s_cbranch_execz .LBB146_248
.LBB146_316:
	scratch_load_b64 v[0:1], off, off offset:352
	v_cmp_ne_u32_e32 vcc_lo, 1, v70
	v_lshlrev_b64 v[2:3], 3, v[24:25]
	s_cbranch_vccnz .LBB146_318
; %bb.317:
	s_delay_alu instid0(VALU_DEP_1) | instskip(NEXT) | instid1(VALU_DEP_2)
	v_add_co_u32 v4, vcc_lo, v71, v2
	v_add_co_ci_u32_e32 v5, vcc_lo, v72, v3, vcc_lo
	flat_load_b64 v[4:5], v[4:5]
	s_waitcnt vmcnt(0) lgkmcnt(0)
	v_mul_f64 v[4:5], v[4:5], s[38:39]
	s_branch .LBB146_319
.LBB146_318:
	v_mov_b32_e32 v4, 0
	v_mov_b32_e32 v5, 0
.LBB146_319:
	s_waitcnt vmcnt(0)
	s_delay_alu instid0(VALU_DEP_1)
	v_add_f64 v[0:1], v[0:1], v[4:5]
	v_add_co_u32 v2, vcc_lo, v68, v2
	v_add_co_ci_u32_e32 v3, vcc_lo, v69, v3, vcc_lo
	global_store_b64 v[2:3], v[0:1], off
	s_or_b32 exec_lo, exec_lo, s0
	s_and_b32 s1, s11, s14
	s_delay_alu instid0(SALU_CYCLE_1)
	s_and_saveexec_b32 s0, s1
	s_cbranch_execz .LBB146_249
.LBB146_320:
	scratch_load_b64 v[0:1], off, off offset:360
	v_cmp_ne_u32_e32 vcc_lo, 1, v70
	v_lshlrev_b64 v[2:3], 3, v[26:27]
	s_cbranch_vccnz .LBB146_322
; %bb.321:
	s_delay_alu instid0(VALU_DEP_1) | instskip(NEXT) | instid1(VALU_DEP_2)
	v_add_co_u32 v4, vcc_lo, v71, v2
	v_add_co_ci_u32_e32 v5, vcc_lo, v72, v3, vcc_lo
	flat_load_b64 v[4:5], v[4:5]
	s_waitcnt vmcnt(0) lgkmcnt(0)
	v_mul_f64 v[4:5], v[4:5], s[38:39]
	s_branch .LBB146_323
.LBB146_322:
	v_mov_b32_e32 v4, 0
	v_mov_b32_e32 v5, 0
.LBB146_323:
	s_waitcnt vmcnt(0)
	s_delay_alu instid0(VALU_DEP_1)
	v_add_f64 v[0:1], v[0:1], v[4:5]
	v_add_co_u32 v2, vcc_lo, v68, v2
	v_add_co_ci_u32_e32 v3, vcc_lo, v69, v3, vcc_lo
	global_store_b64 v[2:3], v[0:1], off
	s_or_b32 exec_lo, exec_lo, s0
	s_and_b32 s1, s11, s15
	s_delay_alu instid0(SALU_CYCLE_1)
	s_and_saveexec_b32 s0, s1
	s_cbranch_execz .LBB146_250
.LBB146_324:
	scratch_load_b64 v[0:1], off, off offset:368
	v_cmp_ne_u32_e32 vcc_lo, 1, v70
	v_lshlrev_b64 v[2:3], 3, v[28:29]
	s_cbranch_vccnz .LBB146_326
; %bb.325:
	s_delay_alu instid0(VALU_DEP_1) | instskip(NEXT) | instid1(VALU_DEP_2)
	v_add_co_u32 v4, vcc_lo, v71, v2
	v_add_co_ci_u32_e32 v5, vcc_lo, v72, v3, vcc_lo
	flat_load_b64 v[4:5], v[4:5]
	s_waitcnt vmcnt(0) lgkmcnt(0)
	v_mul_f64 v[4:5], v[4:5], s[38:39]
	s_branch .LBB146_327
.LBB146_326:
	v_mov_b32_e32 v4, 0
	v_mov_b32_e32 v5, 0
.LBB146_327:
	s_waitcnt vmcnt(0)
	s_delay_alu instid0(VALU_DEP_1)
	v_add_f64 v[0:1], v[0:1], v[4:5]
	v_add_co_u32 v2, vcc_lo, v68, v2
	v_add_co_ci_u32_e32 v3, vcc_lo, v69, v3, vcc_lo
	global_store_b64 v[2:3], v[0:1], off
	s_or_b32 exec_lo, exec_lo, s0
	s_and_b32 s1, s11, s16
	s_delay_alu instid0(SALU_CYCLE_1)
	s_and_saveexec_b32 s0, s1
	s_cbranch_execz .LBB146_251
.LBB146_328:
	scratch_load_b64 v[0:1], off, off offset:376
	v_cmp_ne_u32_e32 vcc_lo, 1, v70
	v_lshlrev_b64 v[2:3], 3, v[30:31]
	s_cbranch_vccnz .LBB146_330
; %bb.329:
	s_delay_alu instid0(VALU_DEP_1) | instskip(NEXT) | instid1(VALU_DEP_2)
	v_add_co_u32 v4, vcc_lo, v71, v2
	v_add_co_ci_u32_e32 v5, vcc_lo, v72, v3, vcc_lo
	flat_load_b64 v[4:5], v[4:5]
	s_waitcnt vmcnt(0) lgkmcnt(0)
	v_mul_f64 v[4:5], v[4:5], s[38:39]
	s_branch .LBB146_331
.LBB146_330:
	v_mov_b32_e32 v4, 0
	v_mov_b32_e32 v5, 0
.LBB146_331:
	s_waitcnt vmcnt(0)
	s_delay_alu instid0(VALU_DEP_1)
	v_add_f64 v[0:1], v[0:1], v[4:5]
	v_add_co_u32 v2, vcc_lo, v68, v2
	v_add_co_ci_u32_e32 v3, vcc_lo, v69, v3, vcc_lo
	global_store_b64 v[2:3], v[0:1], off
	s_or_b32 exec_lo, exec_lo, s0
	s_and_b32 s1, s11, s17
	s_delay_alu instid0(SALU_CYCLE_1)
	s_and_saveexec_b32 s0, s1
	s_cbranch_execz .LBB146_252
.LBB146_332:
	scratch_load_b64 v[0:1], off, off offset:384
	v_cmp_ne_u32_e32 vcc_lo, 1, v70
	v_lshlrev_b64 v[2:3], 3, v[32:33]
	s_cbranch_vccnz .LBB146_334
; %bb.333:
	s_delay_alu instid0(VALU_DEP_1) | instskip(NEXT) | instid1(VALU_DEP_2)
	v_add_co_u32 v4, vcc_lo, v71, v2
	v_add_co_ci_u32_e32 v5, vcc_lo, v72, v3, vcc_lo
	flat_load_b64 v[4:5], v[4:5]
	s_waitcnt vmcnt(0) lgkmcnt(0)
	v_mul_f64 v[4:5], v[4:5], s[38:39]
	s_branch .LBB146_335
.LBB146_334:
	v_mov_b32_e32 v4, 0
	v_mov_b32_e32 v5, 0
.LBB146_335:
	s_waitcnt vmcnt(0)
	s_delay_alu instid0(VALU_DEP_1)
	v_add_f64 v[0:1], v[0:1], v[4:5]
	v_add_co_u32 v2, vcc_lo, v68, v2
	v_add_co_ci_u32_e32 v3, vcc_lo, v69, v3, vcc_lo
	global_store_b64 v[2:3], v[0:1], off
	s_or_b32 exec_lo, exec_lo, s0
	s_and_b32 s1, s11, s18
	s_delay_alu instid0(SALU_CYCLE_1)
	s_and_saveexec_b32 s0, s1
	s_cbranch_execz .LBB146_253
.LBB146_336:
	scratch_load_b64 v[0:1], off, off offset:392
	v_cmp_ne_u32_e32 vcc_lo, 1, v70
	v_lshlrev_b64 v[2:3], 3, v[34:35]
	s_cbranch_vccnz .LBB146_338
; %bb.337:
	s_delay_alu instid0(VALU_DEP_1) | instskip(NEXT) | instid1(VALU_DEP_2)
	v_add_co_u32 v4, vcc_lo, v71, v2
	v_add_co_ci_u32_e32 v5, vcc_lo, v72, v3, vcc_lo
	flat_load_b64 v[4:5], v[4:5]
	s_waitcnt vmcnt(0) lgkmcnt(0)
	v_mul_f64 v[4:5], v[4:5], s[38:39]
	s_branch .LBB146_339
.LBB146_338:
	v_mov_b32_e32 v4, 0
	v_mov_b32_e32 v5, 0
.LBB146_339:
	s_waitcnt vmcnt(0)
	s_delay_alu instid0(VALU_DEP_1)
	v_add_f64 v[0:1], v[0:1], v[4:5]
	v_add_co_u32 v2, vcc_lo, v68, v2
	v_add_co_ci_u32_e32 v3, vcc_lo, v69, v3, vcc_lo
	global_store_b64 v[2:3], v[0:1], off
	s_or_b32 exec_lo, exec_lo, s0
	s_and_b32 s1, s11, s19
	s_delay_alu instid0(SALU_CYCLE_1)
	s_and_saveexec_b32 s0, s1
	s_cbranch_execz .LBB146_254
.LBB146_340:
	scratch_load_b64 v[0:1], off, off offset:400
	v_cmp_ne_u32_e32 vcc_lo, 1, v70
	v_lshlrev_b64 v[2:3], 3, v[36:37]
	s_cbranch_vccnz .LBB146_342
; %bb.341:
	s_delay_alu instid0(VALU_DEP_1) | instskip(NEXT) | instid1(VALU_DEP_2)
	v_add_co_u32 v4, vcc_lo, v71, v2
	v_add_co_ci_u32_e32 v5, vcc_lo, v72, v3, vcc_lo
	flat_load_b64 v[4:5], v[4:5]
	s_waitcnt vmcnt(0) lgkmcnt(0)
	v_mul_f64 v[4:5], v[4:5], s[38:39]
	s_branch .LBB146_343
.LBB146_342:
	v_mov_b32_e32 v4, 0
	v_mov_b32_e32 v5, 0
.LBB146_343:
	s_waitcnt vmcnt(0)
	s_delay_alu instid0(VALU_DEP_1)
	v_add_f64 v[0:1], v[0:1], v[4:5]
	v_add_co_u32 v2, vcc_lo, v68, v2
	v_add_co_ci_u32_e32 v3, vcc_lo, v69, v3, vcc_lo
	global_store_b64 v[2:3], v[0:1], off
	s_or_b32 exec_lo, exec_lo, s0
	s_and_b32 s1, s11, s20
	s_delay_alu instid0(SALU_CYCLE_1)
	s_and_saveexec_b32 s0, s1
	s_cbranch_execz .LBB146_255
.LBB146_344:
	scratch_load_b64 v[0:1], off, off offset:408
	v_cmp_ne_u32_e32 vcc_lo, 1, v70
	v_lshlrev_b64 v[2:3], 3, v[38:39]
	s_cbranch_vccnz .LBB146_346
; %bb.345:
	s_delay_alu instid0(VALU_DEP_1) | instskip(NEXT) | instid1(VALU_DEP_2)
	v_add_co_u32 v4, vcc_lo, v71, v2
	v_add_co_ci_u32_e32 v5, vcc_lo, v72, v3, vcc_lo
	flat_load_b64 v[4:5], v[4:5]
	s_waitcnt vmcnt(0) lgkmcnt(0)
	v_mul_f64 v[4:5], v[4:5], s[38:39]
	s_branch .LBB146_347
.LBB146_346:
	v_mov_b32_e32 v4, 0
	v_mov_b32_e32 v5, 0
.LBB146_347:
	s_waitcnt vmcnt(0)
	s_delay_alu instid0(VALU_DEP_1)
	v_add_f64 v[0:1], v[0:1], v[4:5]
	v_add_co_u32 v2, vcc_lo, v68, v2
	v_add_co_ci_u32_e32 v3, vcc_lo, v69, v3, vcc_lo
	global_store_b64 v[2:3], v[0:1], off
	s_or_b32 exec_lo, exec_lo, s0
	s_and_b32 s1, s11, s21
	s_delay_alu instid0(SALU_CYCLE_1)
	s_and_saveexec_b32 s0, s1
	s_cbranch_execz .LBB146_256
.LBB146_348:
	scratch_load_b64 v[0:1], off, off offset:416
	v_cmp_ne_u32_e32 vcc_lo, 1, v70
	v_lshlrev_b64 v[2:3], 3, v[40:41]
	s_cbranch_vccnz .LBB146_350
; %bb.349:
	s_delay_alu instid0(VALU_DEP_1) | instskip(NEXT) | instid1(VALU_DEP_2)
	v_add_co_u32 v4, vcc_lo, v71, v2
	v_add_co_ci_u32_e32 v5, vcc_lo, v72, v3, vcc_lo
	flat_load_b64 v[4:5], v[4:5]
	s_waitcnt vmcnt(0) lgkmcnt(0)
	v_mul_f64 v[4:5], v[4:5], s[38:39]
	s_branch .LBB146_351
.LBB146_350:
	v_mov_b32_e32 v4, 0
	v_mov_b32_e32 v5, 0
.LBB146_351:
	s_waitcnt vmcnt(0)
	s_delay_alu instid0(VALU_DEP_1)
	v_add_f64 v[0:1], v[0:1], v[4:5]
	v_add_co_u32 v2, vcc_lo, v68, v2
	v_add_co_ci_u32_e32 v3, vcc_lo, v69, v3, vcc_lo
	global_store_b64 v[2:3], v[0:1], off
	s_or_b32 exec_lo, exec_lo, s0
	s_and_b32 s1, s11, s22
	s_delay_alu instid0(SALU_CYCLE_1)
	s_and_saveexec_b32 s0, s1
	s_cbranch_execz .LBB146_257
.LBB146_352:
	scratch_load_b64 v[0:1], off, off offset:424
	v_cmp_ne_u32_e32 vcc_lo, 1, v70
	v_lshlrev_b64 v[2:3], 3, v[42:43]
	s_cbranch_vccnz .LBB146_354
; %bb.353:
	s_delay_alu instid0(VALU_DEP_1) | instskip(NEXT) | instid1(VALU_DEP_2)
	v_add_co_u32 v4, vcc_lo, v71, v2
	v_add_co_ci_u32_e32 v5, vcc_lo, v72, v3, vcc_lo
	flat_load_b64 v[4:5], v[4:5]
	s_waitcnt vmcnt(0) lgkmcnt(0)
	v_mul_f64 v[4:5], v[4:5], s[38:39]
	s_branch .LBB146_355
.LBB146_354:
	v_mov_b32_e32 v4, 0
	v_mov_b32_e32 v5, 0
.LBB146_355:
	s_waitcnt vmcnt(0)
	s_delay_alu instid0(VALU_DEP_1)
	v_add_f64 v[0:1], v[0:1], v[4:5]
	v_add_co_u32 v2, vcc_lo, v68, v2
	v_add_co_ci_u32_e32 v3, vcc_lo, v69, v3, vcc_lo
	global_store_b64 v[2:3], v[0:1], off
	s_or_b32 exec_lo, exec_lo, s0
	s_and_b32 s1, s11, s23
	s_delay_alu instid0(SALU_CYCLE_1)
	s_and_saveexec_b32 s0, s1
	s_cbranch_execz .LBB146_258
.LBB146_356:
	scratch_load_b64 v[0:1], off, off offset:432
	v_cmp_ne_u32_e32 vcc_lo, 1, v70
	v_lshlrev_b64 v[2:3], 3, v[44:45]
	s_cbranch_vccnz .LBB146_358
; %bb.357:
	s_delay_alu instid0(VALU_DEP_1) | instskip(NEXT) | instid1(VALU_DEP_2)
	v_add_co_u32 v4, vcc_lo, v71, v2
	v_add_co_ci_u32_e32 v5, vcc_lo, v72, v3, vcc_lo
	flat_load_b64 v[4:5], v[4:5]
	s_waitcnt vmcnt(0) lgkmcnt(0)
	v_mul_f64 v[4:5], v[4:5], s[38:39]
	s_branch .LBB146_359
.LBB146_358:
	v_mov_b32_e32 v4, 0
	v_mov_b32_e32 v5, 0
.LBB146_359:
	s_waitcnt vmcnt(0)
	s_delay_alu instid0(VALU_DEP_1)
	v_add_f64 v[0:1], v[0:1], v[4:5]
	v_add_co_u32 v2, vcc_lo, v68, v2
	v_add_co_ci_u32_e32 v3, vcc_lo, v69, v3, vcc_lo
	global_store_b64 v[2:3], v[0:1], off
	s_or_b32 exec_lo, exec_lo, s0
	s_and_b32 s1, s11, s24
	s_delay_alu instid0(SALU_CYCLE_1)
	s_and_saveexec_b32 s0, s1
	s_cbranch_execz .LBB146_259
.LBB146_360:
	scratch_load_b64 v[0:1], off, off offset:440
	v_cmp_ne_u32_e32 vcc_lo, 1, v70
	v_lshlrev_b64 v[2:3], 3, v[46:47]
	s_cbranch_vccnz .LBB146_362
; %bb.361:
	s_delay_alu instid0(VALU_DEP_1) | instskip(NEXT) | instid1(VALU_DEP_2)
	v_add_co_u32 v4, vcc_lo, v71, v2
	v_add_co_ci_u32_e32 v5, vcc_lo, v72, v3, vcc_lo
	flat_load_b64 v[4:5], v[4:5]
	s_waitcnt vmcnt(0) lgkmcnt(0)
	v_mul_f64 v[4:5], v[4:5], s[38:39]
	s_branch .LBB146_363
.LBB146_362:
	v_mov_b32_e32 v4, 0
	v_mov_b32_e32 v5, 0
.LBB146_363:
	s_waitcnt vmcnt(0)
	s_delay_alu instid0(VALU_DEP_1)
	v_add_f64 v[0:1], v[0:1], v[4:5]
	v_add_co_u32 v2, vcc_lo, v68, v2
	v_add_co_ci_u32_e32 v3, vcc_lo, v69, v3, vcc_lo
	global_store_b64 v[2:3], v[0:1], off
	s_or_b32 exec_lo, exec_lo, s0
	s_and_b32 s1, s11, s25
	s_delay_alu instid0(SALU_CYCLE_1)
	s_and_saveexec_b32 s0, s1
	s_cbranch_execz .LBB146_260
.LBB146_364:
	scratch_load_b64 v[0:1], off, off offset:448
	v_cmp_ne_u32_e32 vcc_lo, 1, v70
	v_lshlrev_b64 v[2:3], 3, v[48:49]
	s_cbranch_vccnz .LBB146_366
; %bb.365:
	s_delay_alu instid0(VALU_DEP_1) | instskip(NEXT) | instid1(VALU_DEP_2)
	v_add_co_u32 v4, vcc_lo, v71, v2
	v_add_co_ci_u32_e32 v5, vcc_lo, v72, v3, vcc_lo
	flat_load_b64 v[4:5], v[4:5]
	s_waitcnt vmcnt(0) lgkmcnt(0)
	v_mul_f64 v[4:5], v[4:5], s[38:39]
	s_branch .LBB146_367
.LBB146_366:
	v_mov_b32_e32 v4, 0
	v_mov_b32_e32 v5, 0
.LBB146_367:
	s_waitcnt vmcnt(0)
	s_delay_alu instid0(VALU_DEP_1)
	v_add_f64 v[0:1], v[0:1], v[4:5]
	v_add_co_u32 v2, vcc_lo, v68, v2
	v_add_co_ci_u32_e32 v3, vcc_lo, v69, v3, vcc_lo
	global_store_b64 v[2:3], v[0:1], off
	s_or_b32 exec_lo, exec_lo, s0
	s_and_b32 s1, s11, s26
	s_delay_alu instid0(SALU_CYCLE_1)
	s_and_saveexec_b32 s0, s1
	s_cbranch_execz .LBB146_261
.LBB146_368:
	scratch_load_b64 v[0:1], off, off offset:456
	v_cmp_ne_u32_e32 vcc_lo, 1, v70
	v_lshlrev_b64 v[2:3], 3, v[50:51]
	s_cbranch_vccnz .LBB146_370
; %bb.369:
	s_delay_alu instid0(VALU_DEP_1) | instskip(NEXT) | instid1(VALU_DEP_2)
	v_add_co_u32 v4, vcc_lo, v71, v2
	v_add_co_ci_u32_e32 v5, vcc_lo, v72, v3, vcc_lo
	flat_load_b64 v[4:5], v[4:5]
	s_waitcnt vmcnt(0) lgkmcnt(0)
	v_mul_f64 v[4:5], v[4:5], s[38:39]
	s_branch .LBB146_371
.LBB146_370:
	v_mov_b32_e32 v4, 0
	v_mov_b32_e32 v5, 0
.LBB146_371:
	s_waitcnt vmcnt(0)
	s_delay_alu instid0(VALU_DEP_1)
	v_add_f64 v[0:1], v[0:1], v[4:5]
	v_add_co_u32 v2, vcc_lo, v68, v2
	v_add_co_ci_u32_e32 v3, vcc_lo, v69, v3, vcc_lo
	global_store_b64 v[2:3], v[0:1], off
	s_or_b32 exec_lo, exec_lo, s0
	s_and_b32 s1, s11, s27
	s_delay_alu instid0(SALU_CYCLE_1)
	s_and_saveexec_b32 s0, s1
	s_cbranch_execz .LBB146_262
.LBB146_372:
	scratch_load_b64 v[0:1], off, off offset:464
	v_cmp_ne_u32_e32 vcc_lo, 1, v70
	v_lshlrev_b64 v[2:3], 3, v[52:53]
	s_cbranch_vccnz .LBB146_374
; %bb.373:
	s_delay_alu instid0(VALU_DEP_1) | instskip(NEXT) | instid1(VALU_DEP_2)
	v_add_co_u32 v4, vcc_lo, v71, v2
	v_add_co_ci_u32_e32 v5, vcc_lo, v72, v3, vcc_lo
	flat_load_b64 v[4:5], v[4:5]
	s_waitcnt vmcnt(0) lgkmcnt(0)
	v_mul_f64 v[4:5], v[4:5], s[38:39]
	s_branch .LBB146_375
.LBB146_374:
	v_mov_b32_e32 v4, 0
	v_mov_b32_e32 v5, 0
.LBB146_375:
	s_waitcnt vmcnt(0)
	s_delay_alu instid0(VALU_DEP_1)
	v_add_f64 v[0:1], v[0:1], v[4:5]
	v_add_co_u32 v2, vcc_lo, v68, v2
	v_add_co_ci_u32_e32 v3, vcc_lo, v69, v3, vcc_lo
	global_store_b64 v[2:3], v[0:1], off
	s_or_b32 exec_lo, exec_lo, s0
	s_and_b32 s1, s11, s28
	s_delay_alu instid0(SALU_CYCLE_1)
	s_and_saveexec_b32 s0, s1
	s_cbranch_execz .LBB146_263
.LBB146_376:
	scratch_load_b64 v[0:1], off, off offset:472
	v_cmp_ne_u32_e32 vcc_lo, 1, v70
	v_lshlrev_b64 v[2:3], 3, v[54:55]
	s_cbranch_vccnz .LBB146_378
; %bb.377:
	s_delay_alu instid0(VALU_DEP_1) | instskip(NEXT) | instid1(VALU_DEP_2)
	v_add_co_u32 v4, vcc_lo, v71, v2
	v_add_co_ci_u32_e32 v5, vcc_lo, v72, v3, vcc_lo
	flat_load_b64 v[4:5], v[4:5]
	s_waitcnt vmcnt(0) lgkmcnt(0)
	v_mul_f64 v[4:5], v[4:5], s[38:39]
	s_branch .LBB146_379
.LBB146_378:
	v_mov_b32_e32 v4, 0
	v_mov_b32_e32 v5, 0
.LBB146_379:
	s_waitcnt vmcnt(0)
	s_delay_alu instid0(VALU_DEP_1)
	v_add_f64 v[0:1], v[0:1], v[4:5]
	v_add_co_u32 v2, vcc_lo, v68, v2
	v_add_co_ci_u32_e32 v3, vcc_lo, v69, v3, vcc_lo
	global_store_b64 v[2:3], v[0:1], off
	s_or_b32 exec_lo, exec_lo, s0
	s_and_b32 s1, s11, s29
	s_delay_alu instid0(SALU_CYCLE_1)
	s_and_saveexec_b32 s0, s1
	s_cbranch_execz .LBB146_264
.LBB146_380:
	scratch_load_b64 v[0:1], off, off offset:480
	v_cmp_ne_u32_e32 vcc_lo, 1, v70
	v_lshlrev_b64 v[2:3], 3, v[56:57]
	s_cbranch_vccnz .LBB146_382
; %bb.381:
	s_delay_alu instid0(VALU_DEP_1) | instskip(NEXT) | instid1(VALU_DEP_2)
	v_add_co_u32 v4, vcc_lo, v71, v2
	v_add_co_ci_u32_e32 v5, vcc_lo, v72, v3, vcc_lo
	flat_load_b64 v[4:5], v[4:5]
	s_waitcnt vmcnt(0) lgkmcnt(0)
	v_mul_f64 v[4:5], v[4:5], s[38:39]
	s_branch .LBB146_383
.LBB146_382:
	v_mov_b32_e32 v4, 0
	v_mov_b32_e32 v5, 0
.LBB146_383:
	s_waitcnt vmcnt(0)
	s_delay_alu instid0(VALU_DEP_1)
	v_add_f64 v[0:1], v[0:1], v[4:5]
	v_add_co_u32 v2, vcc_lo, v68, v2
	v_add_co_ci_u32_e32 v3, vcc_lo, v69, v3, vcc_lo
	global_store_b64 v[2:3], v[0:1], off
	s_or_b32 exec_lo, exec_lo, s0
	s_and_b32 s1, s11, s30
	s_delay_alu instid0(SALU_CYCLE_1)
	s_and_saveexec_b32 s0, s1
	s_cbranch_execz .LBB146_265
.LBB146_384:
	scratch_load_b64 v[0:1], off, off offset:488
	v_cmp_ne_u32_e32 vcc_lo, 1, v70
	v_lshlrev_b64 v[2:3], 3, v[58:59]
	s_cbranch_vccnz .LBB146_386
; %bb.385:
	s_delay_alu instid0(VALU_DEP_1) | instskip(NEXT) | instid1(VALU_DEP_2)
	v_add_co_u32 v4, vcc_lo, v71, v2
	v_add_co_ci_u32_e32 v5, vcc_lo, v72, v3, vcc_lo
	flat_load_b64 v[4:5], v[4:5]
	s_waitcnt vmcnt(0) lgkmcnt(0)
	v_mul_f64 v[4:5], v[4:5], s[38:39]
	s_branch .LBB146_387
.LBB146_386:
	v_mov_b32_e32 v4, 0
	v_mov_b32_e32 v5, 0
.LBB146_387:
	s_waitcnt vmcnt(0)
	s_delay_alu instid0(VALU_DEP_1)
	v_add_f64 v[0:1], v[0:1], v[4:5]
	v_add_co_u32 v2, vcc_lo, v68, v2
	v_add_co_ci_u32_e32 v3, vcc_lo, v69, v3, vcc_lo
	global_store_b64 v[2:3], v[0:1], off
	s_or_b32 exec_lo, exec_lo, s0
	s_and_b32 s1, s11, s31
	s_delay_alu instid0(SALU_CYCLE_1)
	s_and_saveexec_b32 s0, s1
	s_cbranch_execz .LBB146_266
.LBB146_388:
	scratch_load_b64 v[0:1], off, off offset:496
	v_cmp_ne_u32_e32 vcc_lo, 1, v70
	v_lshlrev_b64 v[2:3], 3, v[60:61]
	s_cbranch_vccnz .LBB146_390
; %bb.389:
	s_delay_alu instid0(VALU_DEP_1) | instskip(NEXT) | instid1(VALU_DEP_2)
	v_add_co_u32 v4, vcc_lo, v71, v2
	v_add_co_ci_u32_e32 v5, vcc_lo, v72, v3, vcc_lo
	flat_load_b64 v[4:5], v[4:5]
	s_waitcnt vmcnt(0) lgkmcnt(0)
	v_mul_f64 v[4:5], v[4:5], s[38:39]
	s_branch .LBB146_391
.LBB146_390:
	v_mov_b32_e32 v4, 0
	v_mov_b32_e32 v5, 0
.LBB146_391:
	s_waitcnt vmcnt(0)
	s_delay_alu instid0(VALU_DEP_1)
	v_add_f64 v[0:1], v[0:1], v[4:5]
	v_add_co_u32 v2, vcc_lo, v68, v2
	v_add_co_ci_u32_e32 v3, vcc_lo, v69, v3, vcc_lo
	global_store_b64 v[2:3], v[0:1], off
	s_or_b32 exec_lo, exec_lo, s0
	s_and_b32 s0, s11, s33
	s_delay_alu instid0(SALU_CYCLE_1)
	s_and_saveexec_b32 s1, s0
	s_cbranch_execz .LBB146_267
.LBB146_392:
	scratch_load_b64 v[0:1], off, off offset:504
	v_cmp_ne_u32_e32 vcc_lo, 1, v70
	v_lshlrev_b64 v[2:3], 3, v[62:63]
	s_cbranch_vccnz .LBB146_394
; %bb.393:
	s_delay_alu instid0(VALU_DEP_1) | instskip(NEXT) | instid1(VALU_DEP_2)
	v_add_co_u32 v4, vcc_lo, v71, v2
	v_add_co_ci_u32_e32 v5, vcc_lo, v72, v3, vcc_lo
	flat_load_b64 v[4:5], v[4:5]
	s_waitcnt vmcnt(0) lgkmcnt(0)
	v_mul_f64 v[4:5], v[4:5], s[38:39]
	s_branch .LBB146_395
.LBB146_394:
	v_mov_b32_e32 v4, 0
	v_mov_b32_e32 v5, 0
.LBB146_395:
	s_waitcnt vmcnt(0)
	s_delay_alu instid0(VALU_DEP_1)
	v_add_f64 v[0:1], v[0:1], v[4:5]
	v_add_co_u32 v2, vcc_lo, v68, v2
	v_add_co_ci_u32_e32 v3, vcc_lo, v69, v3, vcc_lo
	global_store_b64 v[2:3], v[0:1], off
	s_endpgm
	.section	.rodata,"a",@progbits
	.p2align	6, 0x0
	.amdhsa_kernel _ZN12_GLOBAL__N_120geam_min_plus_kernelIdddLi4ELi64ELi128ELi128ELi4ELi64ELi4ELi64ELi4ELc78ELc84ELb0ELb1ELb0EdKPKdKPdEEviiiT16_PT17_ilS8_ilS6_S8_ilPT18_ili26rocblas_geam_ex_operation_
		.amdhsa_group_segment_fixed_size 16384
		.amdhsa_private_segment_fixed_size 528
		.amdhsa_kernarg_size 136
		.amdhsa_user_sgpr_count 14
		.amdhsa_user_sgpr_dispatch_ptr 0
		.amdhsa_user_sgpr_queue_ptr 0
		.amdhsa_user_sgpr_kernarg_segment_ptr 1
		.amdhsa_user_sgpr_dispatch_id 0
		.amdhsa_user_sgpr_private_segment_size 0
		.amdhsa_wavefront_size32 1
		.amdhsa_uses_dynamic_stack 0
		.amdhsa_enable_private_segment 1
		.amdhsa_system_sgpr_workgroup_id_x 1
		.amdhsa_system_sgpr_workgroup_id_y 0
		.amdhsa_system_sgpr_workgroup_id_z 1
		.amdhsa_system_sgpr_workgroup_info 0
		.amdhsa_system_vgpr_workitem_id 1
		.amdhsa_next_free_vgpr 251
		.amdhsa_next_free_sgpr 46
		.amdhsa_reserve_vcc 1
		.amdhsa_float_round_mode_32 0
		.amdhsa_float_round_mode_16_64 0
		.amdhsa_float_denorm_mode_32 3
		.amdhsa_float_denorm_mode_16_64 3
		.amdhsa_dx10_clamp 1
		.amdhsa_ieee_mode 1
		.amdhsa_fp16_overflow 0
		.amdhsa_workgroup_processor_mode 1
		.amdhsa_memory_ordered 1
		.amdhsa_forward_progress 0
		.amdhsa_shared_vgpr_count 0
		.amdhsa_exception_fp_ieee_invalid_op 0
		.amdhsa_exception_fp_denorm_src 0
		.amdhsa_exception_fp_ieee_div_zero 0
		.amdhsa_exception_fp_ieee_overflow 0
		.amdhsa_exception_fp_ieee_underflow 0
		.amdhsa_exception_fp_ieee_inexact 0
		.amdhsa_exception_int_div_zero 0
	.end_amdhsa_kernel
	.section	.text._ZN12_GLOBAL__N_120geam_min_plus_kernelIdddLi4ELi64ELi128ELi128ELi4ELi64ELi4ELi64ELi4ELc78ELc84ELb0ELb1ELb0EdKPKdKPdEEviiiT16_PT17_ilS8_ilS6_S8_ilPT18_ili26rocblas_geam_ex_operation_,"axG",@progbits,_ZN12_GLOBAL__N_120geam_min_plus_kernelIdddLi4ELi64ELi128ELi128ELi4ELi64ELi4ELi64ELi4ELc78ELc84ELb0ELb1ELb0EdKPKdKPdEEviiiT16_PT17_ilS8_ilS6_S8_ilPT18_ili26rocblas_geam_ex_operation_,comdat
.Lfunc_end146:
	.size	_ZN12_GLOBAL__N_120geam_min_plus_kernelIdddLi4ELi64ELi128ELi128ELi4ELi64ELi4ELi64ELi4ELc78ELc84ELb0ELb1ELb0EdKPKdKPdEEviiiT16_PT17_ilS8_ilS6_S8_ilPT18_ili26rocblas_geam_ex_operation_, .Lfunc_end146-_ZN12_GLOBAL__N_120geam_min_plus_kernelIdddLi4ELi64ELi128ELi128ELi4ELi64ELi4ELi64ELi4ELc78ELc84ELb0ELb1ELb0EdKPKdKPdEEviiiT16_PT17_ilS8_ilS6_S8_ilPT18_ili26rocblas_geam_ex_operation_
                                        ; -- End function
	.section	.AMDGPU.csdata,"",@progbits
; Kernel info:
; codeLenInByte = 47284
; NumSgprs: 48
; NumVgprs: 251
; ScratchSize: 528
; MemoryBound: 1
; FloatMode: 240
; IeeeMode: 1
; LDSByteSize: 16384 bytes/workgroup (compile time only)
; SGPRBlocks: 5
; VGPRBlocks: 31
; NumSGPRsForWavesPerEU: 48
; NumVGPRsForWavesPerEU: 251
; Occupancy: 5
; WaveLimiterHint : 1
; COMPUTE_PGM_RSRC2:SCRATCH_EN: 1
; COMPUTE_PGM_RSRC2:USER_SGPR: 14
; COMPUTE_PGM_RSRC2:TRAP_HANDLER: 0
; COMPUTE_PGM_RSRC2:TGID_X_EN: 1
; COMPUTE_PGM_RSRC2:TGID_Y_EN: 0
; COMPUTE_PGM_RSRC2:TGID_Z_EN: 1
; COMPUTE_PGM_RSRC2:TIDIG_COMP_CNT: 1
	.section	.text._ZN12_GLOBAL__N_120geam_min_plus_kernelIdddLi4ELi64ELi128ELi128ELi4ELi4ELi64ELi64ELi4ELc84ELc84ELb0ELb0ELb0EPKdKS2_KPdEEviiiT16_PT17_ilS8_ilS6_S8_ilPT18_ili26rocblas_geam_ex_operation_,"axG",@progbits,_ZN12_GLOBAL__N_120geam_min_plus_kernelIdddLi4ELi64ELi128ELi128ELi4ELi4ELi64ELi64ELi4ELc84ELc84ELb0ELb0ELb0EPKdKS2_KPdEEviiiT16_PT17_ilS8_ilS6_S8_ilPT18_ili26rocblas_geam_ex_operation_,comdat
	.globl	_ZN12_GLOBAL__N_120geam_min_plus_kernelIdddLi4ELi64ELi128ELi128ELi4ELi4ELi64ELi64ELi4ELc84ELc84ELb0ELb0ELb0EPKdKS2_KPdEEviiiT16_PT17_ilS8_ilS6_S8_ilPT18_ili26rocblas_geam_ex_operation_ ; -- Begin function _ZN12_GLOBAL__N_120geam_min_plus_kernelIdddLi4ELi64ELi128ELi128ELi4ELi4ELi64ELi64ELi4ELc84ELc84ELb0ELb0ELb0EPKdKS2_KPdEEviiiT16_PT17_ilS8_ilS6_S8_ilPT18_ili26rocblas_geam_ex_operation_
	.p2align	8
	.type	_ZN12_GLOBAL__N_120geam_min_plus_kernelIdddLi4ELi64ELi128ELi128ELi4ELi4ELi64ELi64ELi4ELc84ELc84ELb0ELb0ELb0EPKdKS2_KPdEEviiiT16_PT17_ilS8_ilS6_S8_ilPT18_ili26rocblas_geam_ex_operation_,@function
_ZN12_GLOBAL__N_120geam_min_plus_kernelIdddLi4ELi64ELi128ELi128ELi4ELi4ELi64ELi64ELi4ELc84ELc84ELb0ELb0ELb0EPKdKS2_KPdEEviiiT16_PT17_ilS8_ilS6_S8_ilPT18_ili26rocblas_geam_ex_operation_: ; @_ZN12_GLOBAL__N_120geam_min_plus_kernelIdddLi4ELi64ELi128ELi128ELi4ELi4ELi64ELi64ELi4ELc84ELc84ELb0ELb0ELb0EPKdKS2_KPdEEviiiT16_PT17_ilS8_ilS6_S8_ilPT18_ili26rocblas_geam_ex_operation_
; %bb.0:
	s_clause 0x1
	s_load_b128 s[16:19], s[0:1], 0x10
	s_load_b128 s[4:7], s[0:1], 0x28
	s_mov_b32 s2, s15
	s_mov_b32 s3, 0
	s_mov_b64 s[20:21], 0
	s_lshl_b64 s[22:23], s[2:3], 3
	s_waitcnt lgkmcnt(0)
	s_add_u32 s2, s16, s22
	s_addc_u32 s3, s17, s23
	s_mov_b64 s[16:17], 0
	s_load_b64 s[12:13], s[2:3], 0x0
	s_clause 0x1
	s_load_b128 s[8:11], s[0:1], 0x40
	s_load_b64 s[24:25], s[0:1], 0x50
	s_waitcnt lgkmcnt(0)
	s_add_u32 s2, s10, s22
	v_cmp_eq_f64_e64 s15, s[12:13], 0
	v_cmp_neq_f64_e64 s26, s[12:13], 0
	s_addc_u32 s3, s11, s23
	s_delay_alu instid0(VALU_DEP_2)
	s_and_b32 vcc_lo, exec_lo, s15
	s_cbranch_vccnz .LBB147_2
; %bb.1:
	s_add_u32 s10, s18, s22
	s_addc_u32 s11, s19, s23
	s_lshl_b64 s[4:5], s[4:5], 3
	s_load_b64 s[10:11], s[10:11], 0x0
	s_waitcnt lgkmcnt(0)
	s_add_u32 s16, s10, s4
	s_addc_u32 s17, s11, s5
.LBB147_2:
	s_load_b64 s[10:11], s[2:3], 0x0
	s_delay_alu instid0(VALU_DEP_1) | instskip(SKIP_1) | instid1(VALU_DEP_1)
	v_cndmask_b32_e64 v1, 0, 1, s26
	s_and_not1_b32 vcc_lo, exec_lo, s26
	v_cmp_ne_u32_e64 s2, 1, v1
	s_cbranch_vccnz .LBB147_4
; %bb.3:
	s_add_u32 s4, s6, s22
	s_addc_u32 s5, s7, s23
	s_lshl_b64 s[6:7], s[8:9], 3
	s_load_b64 s[4:5], s[4:5], 0x0
	s_waitcnt lgkmcnt(0)
	s_add_u32 s20, s4, s6
	s_addc_u32 s21, s5, s7
.LBB147_4:
	s_waitcnt lgkmcnt(0)
	v_cmp_eq_f64_e64 s3, s[10:11], 0
	s_load_b128 s[4:7], s[0:1], 0x60
	s_mov_b64 s[8:9], 0
	s_delay_alu instid0(VALU_DEP_1)
	s_and_b32 vcc_lo, exec_lo, s3
	s_cbranch_vccnz .LBB147_6
; %bb.5:
	s_add_u32 s8, s24, s22
	s_addc_u32 s9, s25, s23
	s_waitcnt lgkmcnt(0)
	s_lshl_b64 s[4:5], s[4:5], 3
	s_load_b64 s[8:9], s[8:9], 0x0
	s_waitcnt lgkmcnt(0)
	s_add_u32 s8, s8, s4
	s_addc_u32 s9, s9, s5
.LBB147_6:
	s_load_b32 s15, s[0:1], 0x0
	s_waitcnt lgkmcnt(0)
	s_add_u32 s4, s6, s22
	s_addc_u32 s5, s7, s23
	s_mov_b32 s18, 0
	v_bfe_u32 v82, v0, 10, 10
	s_mov_b32 s19, s18
	v_dual_mov_b32 v0, s18 :: v_dual_and_b32 v81, 0x3ff, v0
	s_load_b32 s3, s[0:1], 0x20
	s_load_b64 s[4:5], s[4:5], 0x0
	s_delay_alu instid0(VALU_DEP_1) | instskip(SKIP_1) | instid1(VALU_DEP_2)
	v_lshl_add_u32 v4, v82, 2, v81
	v_and_b32_e32 v83, 3, v81
	v_lshrrev_b32_e32 v8, 2, v4
	s_delay_alu instid0(VALU_DEP_2) | instskip(SKIP_1) | instid1(SALU_CYCLE_1)
	v_lshlrev_b32_e32 v9, 3, v83
	s_add_i32 s6, s15, -1
	s_ashr_i32 s7, s6, 31
	s_delay_alu instid0(SALU_CYCLE_1) | instskip(NEXT) | instid1(SALU_CYCLE_1)
	s_lshr_b32 s7, s7, 25
	s_add_i32 s6, s6, s7
	s_delay_alu instid0(SALU_CYCLE_1) | instskip(NEXT) | instid1(SALU_CYCLE_1)
	s_ashr_i32 s6, s6, 7
	s_add_i32 s7, s6, 1
	s_not_b32 s6, s6
	v_cvt_f32_u32_e32 v2, s7
	s_delay_alu instid0(VALU_DEP_1)
	v_rcp_iflag_f32_e32 v2, v2
	s_waitcnt_depctr 0xfff
	v_dual_mov_b32 v1, s19 :: v_dual_mul_f32 v2, 0x4f7ffffe, v2
	s_clause 0xb
	scratch_store_b64 off, v[0:1], off
	scratch_store_b64 off, v[0:1], off offset:8
	scratch_store_b64 off, v[0:1], off offset:16
	;; [unrolled: 1-line block ×11, first 2 shown]
	v_cvt_u32_f32_e32 v2, v2
	s_clause 0xe
	scratch_store_b64 off, v[0:1], off offset:96
	scratch_store_b64 off, v[0:1], off offset:104
	;; [unrolled: 1-line block ×15, first 2 shown]
	v_readfirstlane_b32 s15, v2
	s_clause 0xd
	scratch_store_b64 off, v[0:1], off offset:216
	scratch_store_b64 off, v[0:1], off offset:224
	;; [unrolled: 1-line block ×14, first 2 shown]
	s_mul_i32 s6, s6, s15
	s_clause 0x3
	scratch_store_b64 off, v[0:1], off offset:328
	scratch_store_b64 off, v[0:1], off offset:336
	;; [unrolled: 1-line block ×4, first 2 shown]
	s_mul_hi_u32 s6, s15, s6
	s_clause 0x1
	scratch_store_b64 off, v[0:1], off offset:360
	scratch_store_b64 off, v[0:1], off offset:368
	s_add_i32 s15, s15, s6
	s_clause 0xa
	scratch_store_b64 off, v[0:1], off offset:376
	scratch_store_b64 off, v[0:1], off offset:384
	;; [unrolled: 1-line block ×11, first 2 shown]
	s_mul_hi_u32 s6, s14, s15
	s_clause 0x2
	scratch_store_b64 off, v[0:1], off offset:464
	scratch_store_b64 off, v[0:1], off offset:472
	;; [unrolled: 1-line block ×3, first 2 shown]
	s_mul_i32 s15, s6, s7
	s_add_i32 s18, s6, 1
	s_sub_i32 s15, s14, s15
	scratch_store_b64 off, v[0:1], off offset:488
	s_sub_i32 s19, s15, s7
	s_cmp_ge_u32 s15, s7
	s_clause 0x1
	scratch_store_b64 off, v[0:1], off offset:496
	scratch_store_b64 off, v[0:1], off offset:504
	s_cselect_b32 s6, s18, s6
	s_cselect_b32 s15, s19, s15
	s_add_i32 s18, s6, 1
	s_cmp_ge_u32 s15, s7
	s_cselect_b32 s6, s18, s6
	s_and_b32 vcc_lo, exec_lo, s2
	s_mul_i32 s7, s6, s7
	s_delay_alu instid0(SALU_CYCLE_1) | instskip(NEXT) | instid1(SALU_CYCLE_1)
	s_sub_i32 s7, s14, s7
	s_lshl_b32 s14, s7, 7
	s_delay_alu instid0(SALU_CYCLE_1) | instskip(NEXT) | instid1(VALU_DEP_1)
	v_add_nc_u32_e32 v79, s14, v8
	v_add_nc_u32_e32 v78, 64, v79
	s_cbranch_vccnz .LBB147_8
; %bb.7:
	s_waitcnt lgkmcnt(0)
	v_mad_i64_i32 v[0:1], null, v79, s3, 0
	s_delay_alu instid0(VALU_DEP_2) | instskip(SKIP_1) | instid1(VALU_DEP_1)
	v_mad_i64_i32 v[2:3], null, v78, s3, 0
	v_add_co_u32 v5, s7, s16, v9
	v_add_co_ci_u32_e64 v6, null, s17, 0, s7
	s_delay_alu instid0(VALU_DEP_4) | instskip(NEXT) | instid1(VALU_DEP_4)
	v_lshlrev_b64 v[0:1], 3, v[0:1]
	v_lshlrev_b64 v[2:3], 3, v[2:3]
	s_delay_alu instid0(VALU_DEP_2) | instskip(NEXT) | instid1(VALU_DEP_3)
	v_add_co_u32 v0, vcc_lo, v5, v0
	v_add_co_ci_u32_e32 v1, vcc_lo, v6, v1, vcc_lo
	s_delay_alu instid0(VALU_DEP_3) | instskip(NEXT) | instid1(VALU_DEP_4)
	v_add_co_u32 v2, vcc_lo, v5, v2
	v_add_co_ci_u32_e32 v3, vcc_lo, v6, v3, vcc_lo
	s_clause 0x1
	flat_load_b64 v[0:1], v[0:1]
	flat_load_b64 v[2:3], v[2:3]
	s_waitcnt vmcnt(1) lgkmcnt(1)
	v_mul_f64 v[0:1], s[12:13], v[0:1]
	s_waitcnt vmcnt(0) lgkmcnt(0)
	v_mul_f64 v[2:3], s[12:13], v[2:3]
	s_branch .LBB147_9
.LBB147_8:
	v_mov_b32_e32 v0, 0
	v_dual_mov_b32 v1, 0 :: v_dual_mov_b32 v2, 0
	v_mov_b32_e32 v3, 0
.LBB147_9:
	s_load_b32 s19, s[0:1], 0x38
	v_and_b32_e32 v10, 63, v4
	s_lshl_b32 s15, s6, 7
	v_lshrrev_b32_e32 v84, 6, v4
	s_and_b32 vcc_lo, exec_lo, s2
	s_delay_alu instid0(VALU_DEP_2) | instskip(NEXT) | instid1(VALU_DEP_1)
	v_or_b32_e32 v68, s15, v10
	v_ashrrev_i32_e32 v69, 31, v68
	s_waitcnt lgkmcnt(0)
	s_ashr_i32 s22, s19, 31
	s_cbranch_vccnz .LBB147_13
; %bb.10:
	v_mad_i64_i32 v[4:5], null, s19, v84, 0
	v_lshlrev_b64 v[6:7], 3, v[68:69]
	s_delay_alu instid0(VALU_DEP_2) | instskip(NEXT) | instid1(VALU_DEP_1)
	v_lshlrev_b64 v[4:5], 3, v[4:5]
	v_add_co_u32 v4, vcc_lo, s20, v4
	s_delay_alu instid0(VALU_DEP_2) | instskip(NEXT) | instid1(VALU_DEP_2)
	v_add_co_ci_u32_e32 v5, vcc_lo, s21, v5, vcc_lo
	v_add_co_u32 v4, vcc_lo, v4, v6
	s_delay_alu instid0(VALU_DEP_2)
	v_add_co_ci_u32_e32 v5, vcc_lo, v5, v7, vcc_lo
	s_clause 0x1
	flat_load_b64 v[6:7], v[4:5]
	flat_load_b64 v[11:12], v[4:5] offset:512
	s_waitcnt vmcnt(1) lgkmcnt(1)
	v_mul_f64 v[4:5], s[12:13], v[6:7]
	s_waitcnt vmcnt(0) lgkmcnt(0)
	v_mul_f64 v[6:7], s[12:13], v[11:12]
	s_and_b32 vcc_lo, exec_lo, s2
	s_cbranch_vccnz .LBB147_14
.LBB147_11:
	v_mad_i64_i32 v[11:12], null, v79, s3, 0
	v_mad_i64_i32 v[13:14], null, v78, s3, 0
	v_add_co_u32 v15, s6, s16, v9
	s_delay_alu instid0(VALU_DEP_1) | instskip(NEXT) | instid1(VALU_DEP_4)
	v_add_co_ci_u32_e64 v16, null, s17, 0, s6
	v_lshlrev_b64 v[11:12], 3, v[11:12]
	s_delay_alu instid0(VALU_DEP_4) | instskip(NEXT) | instid1(VALU_DEP_2)
	v_lshlrev_b64 v[13:14], 3, v[13:14]
	v_add_co_u32 v11, vcc_lo, v15, v11
	s_delay_alu instid0(VALU_DEP_3) | instskip(NEXT) | instid1(VALU_DEP_3)
	v_add_co_ci_u32_e32 v12, vcc_lo, v16, v12, vcc_lo
	v_add_co_u32 v13, vcc_lo, v15, v13
	s_delay_alu instid0(VALU_DEP_4)
	v_add_co_ci_u32_e32 v14, vcc_lo, v16, v14, vcc_lo
	s_clause 0x1
	flat_load_b64 v[11:12], v[11:12] offset:32
	flat_load_b64 v[13:14], v[13:14] offset:32
	s_waitcnt vmcnt(1) lgkmcnt(1)
	v_mul_f64 v[70:71], s[12:13], v[11:12]
	s_waitcnt vmcnt(0) lgkmcnt(0)
	v_mul_f64 v[72:73], s[12:13], v[13:14]
	v_add_nc_u32_e32 v85, 4, v84
	s_and_b32 vcc_lo, exec_lo, s2
	s_mov_b64 s[6:7], 0
	s_cbranch_vccnz .LBB147_15
.LBB147_12:
	s_delay_alu instid0(VALU_DEP_1) | instskip(SKIP_1) | instid1(VALU_DEP_2)
	v_mad_i64_i32 v[11:12], null, s19, v85, 0
	v_lshlrev_b64 v[13:14], 3, v[68:69]
	v_lshlrev_b64 v[11:12], 3, v[11:12]
	s_delay_alu instid0(VALU_DEP_1) | instskip(NEXT) | instid1(VALU_DEP_2)
	v_add_co_u32 v11, vcc_lo, s20, v11
	v_add_co_ci_u32_e32 v12, vcc_lo, s21, v12, vcc_lo
	s_delay_alu instid0(VALU_DEP_2) | instskip(NEXT) | instid1(VALU_DEP_2)
	v_add_co_u32 v11, vcc_lo, v11, v13
	v_add_co_ci_u32_e32 v12, vcc_lo, v12, v14, vcc_lo
	s_clause 0x1
	flat_load_b64 v[13:14], v[11:12]
	flat_load_b64 v[11:12], v[11:12] offset:512
	s_waitcnt vmcnt(1) lgkmcnt(1)
	v_mul_f64 v[74:75], s[12:13], v[13:14]
	s_waitcnt vmcnt(0) lgkmcnt(0)
	v_mul_f64 v[76:77], s[12:13], v[11:12]
	s_branch .LBB147_16
.LBB147_13:
	v_mov_b32_e32 v4, 0
	v_dual_mov_b32 v5, 0 :: v_dual_mov_b32 v6, 0
	v_mov_b32_e32 v7, 0
	s_and_b32 vcc_lo, exec_lo, s2
	s_cbranch_vccz .LBB147_11
.LBB147_14:
	v_mov_b32_e32 v70, 0
	v_dual_mov_b32 v71, 0 :: v_dual_mov_b32 v72, 0
	v_mov_b32_e32 v73, 0
	v_add_nc_u32_e32 v85, 4, v84
	s_and_b32 vcc_lo, exec_lo, s2
	s_mov_b64 s[6:7], 0
	s_cbranch_vccz .LBB147_12
.LBB147_15:
	v_mov_b32_e32 v74, 0
	v_dual_mov_b32 v75, 0 :: v_dual_mov_b32 v76, 0
	v_mov_b32_e32 v77, 0
.LBB147_16:
	v_cmp_neq_f64_e64 s18, s[10:11], 0
	v_dual_mov_b32 v91, 0 :: v_dual_lshlrev_b32 v10, 5, v10
	v_dual_mov_b32 v93, 16 :: v_dual_lshlrev_b32 v86, 5, v81
	v_lshl_or_b32 v87, v8, 5, v9
	s_delay_alu instid0(VALU_DEP_3) | instskip(NEXT) | instid1(VALU_DEP_3)
	v_lshl_add_u32 v80, v84, 3, v10
	v_dual_mov_b32 v95, 32 :: v_dual_add_nc_u32 v48, 0x800, v86
	v_dual_mov_b32 v97, 48 :: v_dual_lshlrev_b32 v88, 5, v82
	ds_store_2addr_stride64_b64 v87, v[0:1], v[2:3] offset1:4
	ds_store_2addr_stride64_b64 v80, v[4:5], v[6:7] offset0:16 offset1:20
	s_waitcnt lgkmcnt(0)
	s_waitcnt_vscnt null, 0x0
	s_barrier
	buffer_gl0_inv
	ds_load_2addr_b64 v[0:3], v86 offset1:16
	ds_load_2addr_b64 v[4:7], v86 offset0:32 offset1:48
	ds_load_2addr_b64 v[8:11], v86 offset0:64 offset1:80
	;; [unrolled: 1-line block ×4, first 2 shown]
	ds_load_2addr_b64 v[20:23], v48 offset1:16
	ds_load_2addr_b64 v[24:27], v48 offset0:32 offset1:48
	ds_load_2addr_b64 v[28:31], v48 offset0:64 offset1:80
	;; [unrolled: 1-line block ×10, first 2 shown]
	ds_load_2addr_stride64_b64 v[64:67], v88 offset0:16 offset1:20
	v_or_b32_e32 v89, 0x2000, v80
	v_dual_mov_b32 v99, 64 :: v_dual_add_nc_u32 v90, 0x2000, v88
	v_dual_mov_b32 v92, 8 :: v_dual_mov_b32 v101, 0x50
	v_dual_mov_b32 v94, 24 :: v_dual_mov_b32 v103, 0x60
	;; [unrolled: 1-line block ×4, first 2 shown]
	v_mov_b32_e32 v100, 0x48
	v_mov_b32_e32 v102, 0x58
	v_mov_b32_e32 v104, 0x68
	v_mov_b32_e32 v106, 0x78
	v_mov_b32_e32 v108, 0x88
	v_mov_b32_e32 v109, 0x90
	v_mov_b32_e32 v110, 0x98
	v_mov_b32_e32 v111, 0xa0
	v_mov_b32_e32 v112, 0xa8
	v_mov_b32_e32 v113, 0xb0
	v_mov_b32_e32 v114, 0xb8
	v_mov_b32_e32 v115, 0xc0
	v_mov_b32_e32 v116, 0xc8
	v_mov_b32_e32 v117, 0xd0
	v_mov_b32_e32 v118, 0xd8
	v_mov_b32_e32 v119, 0xe0
	v_mov_b32_e32 v120, 0xe8
	v_mov_b32_e32 v121, 0xf0
	v_mov_b32_e32 v122, 0xf8
	s_mov_b32 s23, -1
.LBB147_17:                             ; =>This Inner Loop Header: Depth=1
	scratch_load_b64 v[123:124], v91, off
	scratch_load_b64 v[125:126], v92, off
	;; [unrolled: 1-line block ×32, first 2 shown]
	s_cmp_eq_u32 s6, 1
	s_waitcnt lgkmcnt(16)
	v_max_f64 v[189:190], v[0:1], v[0:1]
	s_cselect_b32 vcc_lo, -1, 0
	v_max_f64 v[191:192], v[2:3], v[2:3]
	s_waitcnt lgkmcnt(0)
	v_dual_cndmask_b32 v188, v65, v67 :: v_dual_cndmask_b32 v187, v64, v66
	v_max_f64 v[193:194], v[4:5], v[4:5]
	v_max_f64 v[195:196], v[6:7], v[6:7]
	;; [unrolled: 1-line block ×31, first 2 shown]
	s_mov_b64 s[6:7], 1
	s_and_b32 vcc_lo, exec_lo, s23
	s_mov_b32 s23, 0
	v_min_f64 v[189:190], v[189:190], v[187:188]
	v_min_f64 v[191:192], v[191:192], v[187:188]
	;; [unrolled: 1-line block ×32, first 2 shown]
	s_waitcnt vmcnt(31)
	v_add_f64 v[123:124], v[123:124], v[189:190]
	s_waitcnt vmcnt(30)
	v_add_f64 v[125:126], v[191:192], v[125:126]
	;; [unrolled: 2-line block ×32, first 2 shown]
	scratch_store_b64 v91, v[123:124], off
	scratch_store_b64 v92, v[125:126], off
	;; [unrolled: 1-line block ×32, first 2 shown]
	v_mov_b32_e32 v91, 0x100
	v_mov_b32_e32 v92, 0x108
	;; [unrolled: 1-line block ×32, first 2 shown]
	s_cbranch_vccnz .LBB147_17
; %bb.18:
	v_dual_mov_b32 v91, 0 :: v_dual_add_nc_u32 v60, 0x800, v86
	ds_load_2addr_b64 v[0:3], v86 offset0:1 offset1:17
	ds_load_2addr_b64 v[4:7], v86 offset0:33 offset1:49
	;; [unrolled: 1-line block ×12, first 2 shown]
	v_dual_mov_b32 v93, 16 :: v_dual_add_nc_u32 v64, 8, v90
	ds_load_2addr_b64 v[48:51], v60 offset0:129 offset1:145
	ds_load_2addr_b64 v[52:55], v60 offset0:161 offset1:177
	;; [unrolled: 1-line block ×4, first 2 shown]
	ds_load_2addr_stride64_b64 v[64:67], v64 offset1:4
	v_dual_mov_b32 v92, 8 :: v_dual_mov_b32 v95, 32
	v_dual_mov_b32 v94, 24 :: v_dual_mov_b32 v97, 48
	v_dual_mov_b32 v96, 40 :: v_dual_mov_b32 v99, 64
	v_dual_mov_b32 v98, 56 :: v_dual_mov_b32 v101, 0x50
	v_mov_b32_e32 v100, 0x48
	v_mov_b32_e32 v102, 0x58
	;; [unrolled: 1-line block ×22, first 2 shown]
	s_mov_b64 s[6:7], 0
	s_mov_b32 s23, -1
.LBB147_19:                             ; =>This Inner Loop Header: Depth=1
	scratch_load_b64 v[123:124], v91, off
	scratch_load_b64 v[125:126], v92, off
	;; [unrolled: 1-line block ×32, first 2 shown]
	s_cmp_eq_u32 s6, 1
	s_waitcnt lgkmcnt(16)
	v_max_f64 v[189:190], v[0:1], v[0:1]
	s_cselect_b32 vcc_lo, -1, 0
	v_max_f64 v[191:192], v[2:3], v[2:3]
	s_waitcnt lgkmcnt(0)
	v_dual_cndmask_b32 v188, v65, v67 :: v_dual_cndmask_b32 v187, v64, v66
	v_max_f64 v[193:194], v[4:5], v[4:5]
	v_max_f64 v[195:196], v[6:7], v[6:7]
	;; [unrolled: 1-line block ×31, first 2 shown]
	s_mov_b64 s[6:7], 1
	s_and_b32 vcc_lo, exec_lo, s23
	s_mov_b32 s23, 0
	v_min_f64 v[189:190], v[189:190], v[187:188]
	v_min_f64 v[191:192], v[191:192], v[187:188]
	;; [unrolled: 1-line block ×32, first 2 shown]
	s_waitcnt vmcnt(31)
	v_add_f64 v[123:124], v[123:124], v[189:190]
	s_waitcnt vmcnt(30)
	v_add_f64 v[125:126], v[191:192], v[125:126]
	;; [unrolled: 2-line block ×32, first 2 shown]
	scratch_store_b64 v91, v[123:124], off
	scratch_store_b64 v92, v[125:126], off
	;; [unrolled: 1-line block ×32, first 2 shown]
	v_mov_b32_e32 v91, 0x100
	v_mov_b32_e32 v92, 0x108
	;; [unrolled: 1-line block ×32, first 2 shown]
	s_cbranch_vccnz .LBB147_19
; %bb.20:
	v_dual_mov_b32 v91, 0 :: v_dual_add_nc_u32 v60, 0x800, v86
	ds_load_2addr_b64 v[0:3], v86 offset0:2 offset1:18
	ds_load_2addr_b64 v[4:7], v86 offset0:34 offset1:50
	;; [unrolled: 1-line block ×12, first 2 shown]
	v_dual_mov_b32 v93, 16 :: v_dual_add_nc_u32 v64, 16, v90
	ds_load_2addr_b64 v[48:51], v60 offset0:130 offset1:146
	ds_load_2addr_b64 v[52:55], v60 offset0:162 offset1:178
	;; [unrolled: 1-line block ×4, first 2 shown]
	ds_load_2addr_stride64_b64 v[64:67], v64 offset1:4
	v_dual_mov_b32 v92, 8 :: v_dual_mov_b32 v95, 32
	v_dual_mov_b32 v94, 24 :: v_dual_mov_b32 v97, 48
	;; [unrolled: 1-line block ×4, first 2 shown]
	v_mov_b32_e32 v100, 0x48
	v_mov_b32_e32 v102, 0x58
	;; [unrolled: 1-line block ×22, first 2 shown]
	s_mov_b64 s[6:7], 0
	s_mov_b32 s23, -1
.LBB147_21:                             ; =>This Inner Loop Header: Depth=1
	scratch_load_b64 v[123:124], v91, off
	scratch_load_b64 v[125:126], v92, off
	;; [unrolled: 1-line block ×32, first 2 shown]
	s_cmp_eq_u32 s6, 1
	s_waitcnt lgkmcnt(16)
	v_max_f64 v[189:190], v[0:1], v[0:1]
	s_cselect_b32 vcc_lo, -1, 0
	v_max_f64 v[191:192], v[2:3], v[2:3]
	s_waitcnt lgkmcnt(0)
	v_dual_cndmask_b32 v188, v65, v67 :: v_dual_cndmask_b32 v187, v64, v66
	v_max_f64 v[193:194], v[4:5], v[4:5]
	v_max_f64 v[195:196], v[6:7], v[6:7]
	;; [unrolled: 1-line block ×31, first 2 shown]
	s_mov_b64 s[6:7], 1
	s_and_b32 vcc_lo, exec_lo, s23
	s_mov_b32 s23, 0
	v_min_f64 v[189:190], v[189:190], v[187:188]
	v_min_f64 v[191:192], v[191:192], v[187:188]
	;; [unrolled: 1-line block ×32, first 2 shown]
	s_waitcnt vmcnt(31)
	v_add_f64 v[123:124], v[123:124], v[189:190]
	s_waitcnt vmcnt(30)
	v_add_f64 v[125:126], v[191:192], v[125:126]
	;; [unrolled: 2-line block ×32, first 2 shown]
	scratch_store_b64 v91, v[123:124], off
	scratch_store_b64 v92, v[125:126], off
	;; [unrolled: 1-line block ×32, first 2 shown]
	v_mov_b32_e32 v91, 0x100
	v_mov_b32_e32 v92, 0x108
	;; [unrolled: 1-line block ×32, first 2 shown]
	s_cbranch_vccnz .LBB147_21
; %bb.22:
	v_dual_mov_b32 v91, 0 :: v_dual_add_nc_u32 v60, 0x800, v86
	ds_load_2addr_b64 v[0:3], v86 offset0:3 offset1:19
	ds_load_2addr_b64 v[4:7], v86 offset0:35 offset1:51
	;; [unrolled: 1-line block ×12, first 2 shown]
	v_dual_mov_b32 v93, 16 :: v_dual_add_nc_u32 v64, 24, v90
	ds_load_2addr_b64 v[48:51], v60 offset0:131 offset1:147
	ds_load_2addr_b64 v[52:55], v60 offset0:163 offset1:179
	;; [unrolled: 1-line block ×4, first 2 shown]
	ds_load_2addr_stride64_b64 v[64:67], v64 offset1:4
	v_dual_mov_b32 v92, 8 :: v_dual_mov_b32 v95, 32
	v_dual_mov_b32 v94, 24 :: v_dual_mov_b32 v97, 48
	;; [unrolled: 1-line block ×4, first 2 shown]
	v_mov_b32_e32 v100, 0x48
	v_mov_b32_e32 v102, 0x58
	;; [unrolled: 1-line block ×22, first 2 shown]
	s_mov_b64 s[6:7], 0
	s_mov_b32 s23, -1
.LBB147_23:                             ; =>This Inner Loop Header: Depth=1
	scratch_load_b64 v[123:124], v91, off
	scratch_load_b64 v[125:126], v92, off
	;; [unrolled: 1-line block ×32, first 2 shown]
	s_cmp_eq_u32 s6, 1
	s_waitcnt lgkmcnt(16)
	v_max_f64 v[189:190], v[0:1], v[0:1]
	s_cselect_b32 vcc_lo, -1, 0
	v_max_f64 v[191:192], v[2:3], v[2:3]
	s_waitcnt lgkmcnt(0)
	v_dual_cndmask_b32 v188, v65, v67 :: v_dual_cndmask_b32 v187, v64, v66
	v_max_f64 v[193:194], v[4:5], v[4:5]
	v_max_f64 v[195:196], v[6:7], v[6:7]
	;; [unrolled: 1-line block ×31, first 2 shown]
	s_mov_b64 s[6:7], 1
	s_and_b32 vcc_lo, exec_lo, s23
	s_mov_b32 s23, 0
	v_min_f64 v[189:190], v[189:190], v[187:188]
	v_min_f64 v[191:192], v[191:192], v[187:188]
	;; [unrolled: 1-line block ×32, first 2 shown]
	s_waitcnt vmcnt(31)
	v_add_f64 v[123:124], v[123:124], v[189:190]
	s_waitcnt vmcnt(30)
	v_add_f64 v[125:126], v[191:192], v[125:126]
	s_waitcnt vmcnt(29)
	v_add_f64 v[127:128], v[193:194], v[127:128]
	s_waitcnt vmcnt(28)
	v_add_f64 v[129:130], v[195:196], v[129:130]
	s_waitcnt vmcnt(27)
	v_add_f64 v[131:132], v[197:198], v[131:132]
	s_waitcnt vmcnt(26)
	v_add_f64 v[133:134], v[199:200], v[133:134]
	s_waitcnt vmcnt(25)
	v_add_f64 v[135:136], v[201:202], v[135:136]
	s_waitcnt vmcnt(24)
	v_add_f64 v[137:138], v[203:204], v[137:138]
	s_waitcnt vmcnt(23)
	v_add_f64 v[139:140], v[205:206], v[139:140]
	s_waitcnt vmcnt(22)
	v_add_f64 v[141:142], v[207:208], v[141:142]
	s_waitcnt vmcnt(21)
	v_add_f64 v[143:144], v[209:210], v[143:144]
	s_waitcnt vmcnt(20)
	v_add_f64 v[145:146], v[211:212], v[145:146]
	s_waitcnt vmcnt(19)
	v_add_f64 v[147:148], v[213:214], v[147:148]
	s_waitcnt vmcnt(18)
	v_add_f64 v[149:150], v[215:216], v[149:150]
	s_waitcnt vmcnt(17)
	v_add_f64 v[151:152], v[217:218], v[151:152]
	s_waitcnt vmcnt(16)
	v_add_f64 v[153:154], v[219:220], v[153:154]
	s_waitcnt vmcnt(15)
	v_add_f64 v[155:156], v[221:222], v[155:156]
	s_waitcnt vmcnt(14)
	v_add_f64 v[157:158], v[223:224], v[157:158]
	s_waitcnt vmcnt(13)
	v_add_f64 v[159:160], v[225:226], v[159:160]
	s_waitcnt vmcnt(12)
	v_add_f64 v[161:162], v[227:228], v[161:162]
	s_waitcnt vmcnt(11)
	v_add_f64 v[163:164], v[229:230], v[163:164]
	s_waitcnt vmcnt(10)
	v_add_f64 v[165:166], v[231:232], v[165:166]
	s_waitcnt vmcnt(9)
	v_add_f64 v[167:168], v[233:234], v[167:168]
	s_waitcnt vmcnt(8)
	v_add_f64 v[169:170], v[235:236], v[169:170]
	s_waitcnt vmcnt(7)
	v_add_f64 v[171:172], v[237:238], v[171:172]
	s_waitcnt vmcnt(6)
	v_add_f64 v[173:174], v[239:240], v[173:174]
	s_waitcnt vmcnt(5)
	v_add_f64 v[175:176], v[241:242], v[175:176]
	s_waitcnt vmcnt(4)
	v_add_f64 v[177:178], v[243:244], v[177:178]
	s_waitcnt vmcnt(3)
	v_add_f64 v[179:180], v[245:246], v[179:180]
	s_waitcnt vmcnt(2)
	v_add_f64 v[181:182], v[247:248], v[181:182]
	s_waitcnt vmcnt(1)
	v_add_f64 v[183:184], v[249:250], v[183:184]
	s_waitcnt vmcnt(0)
	v_add_f64 v[185:186], v[187:188], v[185:186]
	scratch_store_b64 v91, v[123:124], off
	scratch_store_b64 v92, v[125:126], off
	;; [unrolled: 1-line block ×32, first 2 shown]
	v_mov_b32_e32 v91, 0x100
	v_mov_b32_e32 v92, 0x108
	;; [unrolled: 1-line block ×32, first 2 shown]
	s_cbranch_vccnz .LBB147_23
; %bb.24:
	s_load_b32 s6, s[0:1], 0x8
	s_mov_b32 s23, 8
	ds_store_2addr_stride64_b64 v87, v[70:71], v[72:73] offset0:8 offset1:12
	ds_store_2addr_stride64_b64 v80, v[74:75], v[76:77] offset0:24 offset1:28
	s_waitcnt lgkmcnt(0)
	s_waitcnt_vscnt null, 0x0
	s_barrier
	buffer_gl0_inv
	s_cmp_gt_i32 s6, 8
	s_cbranch_scc0 .LBB147_53
; %bb.25:
	v_mad_i64_i32 v[0:1], null, v79, s3, 0
	v_mad_i64_i32 v[4:5], null, v78, s3, 0
	v_lshlrev_b64 v[2:3], 3, v[68:69]
	v_lshl_add_u32 v93, v81, 5, 0x1000
	v_dual_mov_b32 v68, 0 :: v_dual_add_nc_u32 v91, 0x1000, v87
	v_lshlrev_b64 v[69:70], 3, v[0:1]
	v_or_b32_e32 v92, 0x3000, v80
	v_add_co_u32 v95, vcc_lo, s20, v2
	v_lshlrev_b64 v[71:72], 3, v[4:5]
	v_lshl_add_u32 v94, v82, 5, 0x3000
	v_add_co_ci_u32_e32 v96, vcc_lo, s21, v3, vcc_lo
	v_add_nc_u32_e32 v97, 0x800, v93
	s_add_i32 s20, s6, -8
	s_mov_b32 s21, 0
	s_and_b32 s3, exec_lo, s26
.LBB147_26:                             ; =>This Loop Header: Depth=1
                                        ;     Child Loop BB147_32 Depth 2
                                        ;     Child Loop BB147_34 Depth 2
	;; [unrolled: 1-line block ×8, first 2 shown]
	s_and_b32 vcc_lo, exec_lo, s2
	s_cbranch_vccnz .LBB147_29
; %bb.27:                               ;   in Loop: Header=BB147_26 Depth=1
	v_or_b32_e32 v67, s23, v83
	s_delay_alu instid0(VALU_DEP_1) | instskip(NEXT) | instid1(VALU_DEP_1)
	v_lshlrev_b64 v[0:1], 3, v[67:68]
	v_add_co_u32 v2, vcc_lo, s16, v0
	s_delay_alu instid0(VALU_DEP_2) | instskip(NEXT) | instid1(VALU_DEP_2)
	v_add_co_ci_u32_e32 v3, vcc_lo, s17, v1, vcc_lo
	v_add_co_u32 v0, vcc_lo, v2, v69
	s_delay_alu instid0(VALU_DEP_2)
	v_add_co_ci_u32_e32 v1, vcc_lo, v3, v70, vcc_lo
	v_add_co_u32 v2, vcc_lo, v2, v71
	v_add_co_ci_u32_e32 v3, vcc_lo, v3, v72, vcc_lo
	s_clause 0x1
	flat_load_b64 v[0:1], v[0:1]
	flat_load_b64 v[2:3], v[2:3]
	s_waitcnt vmcnt(1) lgkmcnt(1)
	v_mul_f64 v[73:74], s[12:13], v[0:1]
	s_waitcnt vmcnt(0) lgkmcnt(0)
	v_mul_f64 v[75:76], s[12:13], v[2:3]
	s_and_b32 vcc_lo, exec_lo, s2
	s_mov_b64 s[6:7], 0
	s_cbranch_vccnz .LBB147_30
.LBB147_28:                             ;   in Loop: Header=BB147_26 Depth=1
	v_add_nc_u32_e32 v4, s23, v84
	s_delay_alu instid0(VALU_DEP_1) | instskip(NEXT) | instid1(VALU_DEP_1)
	v_mad_u64_u32 v[0:1], null, v4, s19, 0
	v_mad_u64_u32 v[2:3], null, v4, s22, v[1:2]
	s_delay_alu instid0(VALU_DEP_1) | instskip(NEXT) | instid1(VALU_DEP_1)
	v_mov_b32_e32 v1, v2
	v_lshlrev_b64 v[0:1], 3, v[0:1]
	s_delay_alu instid0(VALU_DEP_1) | instskip(NEXT) | instid1(VALU_DEP_2)
	v_add_co_u32 v0, vcc_lo, v95, v0
	v_add_co_ci_u32_e32 v1, vcc_lo, v96, v1, vcc_lo
	s_clause 0x1
	flat_load_b64 v[2:3], v[0:1]
	flat_load_b64 v[0:1], v[0:1] offset:512
	s_waitcnt vmcnt(1) lgkmcnt(1)
	v_mul_f64 v[77:78], s[12:13], v[2:3]
	s_waitcnt vmcnt(0) lgkmcnt(0)
	v_mul_f64 v[79:80], s[12:13], v[0:1]
	s_branch .LBB147_31
.LBB147_29:                             ;   in Loop: Header=BB147_26 Depth=1
	v_mov_b32_e32 v73, 0
	v_dual_mov_b32 v74, 0 :: v_dual_mov_b32 v75, 0
	v_mov_b32_e32 v76, 0
	s_and_b32 vcc_lo, exec_lo, s2
	s_mov_b64 s[6:7], 0
	s_cbranch_vccz .LBB147_28
.LBB147_30:                             ;   in Loop: Header=BB147_26 Depth=1
	v_mov_b32_e32 v77, 0
	v_dual_mov_b32 v78, 0 :: v_dual_mov_b32 v79, 0
	v_mov_b32_e32 v80, 0
.LBB147_31:                             ;   in Loop: Header=BB147_26 Depth=1
	ds_load_2addr_b64 v[0:3], v93 offset1:16
	ds_load_2addr_b64 v[4:7], v93 offset0:32 offset1:48
	ds_load_2addr_b64 v[8:11], v93 offset0:64 offset1:80
	;; [unrolled: 1-line block ×7, first 2 shown]
	ds_load_2addr_b64 v[32:35], v97 offset1:16
	ds_load_2addr_b64 v[36:39], v97 offset0:32 offset1:48
	ds_load_2addr_b64 v[40:43], v97 offset0:64 offset1:80
	;; [unrolled: 1-line block ×7, first 2 shown]
	ds_load_2addr_stride64_b64 v[64:67], v94 offset1:4
	v_dual_mov_b32 v129, 0 :: v_dual_mov_b32 v128, 8
	v_dual_mov_b32 v127, 16 :: v_dual_mov_b32 v126, 24
	;; [unrolled: 1-line block ×5, first 2 shown]
	v_mov_b32_e32 v119, 0x50
	v_mov_b32_e32 v118, 0x58
	;; [unrolled: 1-line block ×22, first 2 shown]
	s_mov_b32 s24, -1
.LBB147_32:                             ;   Parent Loop BB147_26 Depth=1
                                        ; =>  This Inner Loop Header: Depth=2
	scratch_load_b64 v[134:135], v129, off
	s_cmp_eq_u32 s6, 1
	s_waitcnt lgkmcnt(16)
	v_max_f64 v[132:133], v[0:1], v[0:1]
	s_cselect_b32 vcc_lo, -1, 0
	s_mov_b64 s[6:7], 1
	s_waitcnt lgkmcnt(0)
	v_dual_cndmask_b32 v131, v65, v67 :: v_dual_cndmask_b32 v130, v64, v66
	s_and_b32 vcc_lo, exec_lo, s24
	s_mov_b32 s24, 0
	s_delay_alu instid0(VALU_DEP_1) | instskip(NEXT) | instid1(VALU_DEP_1)
	v_max_f64 v[130:131], v[130:131], v[130:131]
	v_min_f64 v[132:133], v[132:133], v[130:131]
	s_waitcnt vmcnt(0)
	s_delay_alu instid0(VALU_DEP_1) | instskip(SKIP_3) | instid1(VALU_DEP_1)
	v_add_f64 v[132:133], v[134:135], v[132:133]
	scratch_load_b64 v[134:135], v128, off
	scratch_store_b64 v129, v[132:133], off
	v_max_f64 v[132:133], v[2:3], v[2:3]
	v_min_f64 v[132:133], v[132:133], v[130:131]
	s_waitcnt vmcnt(0)
	s_delay_alu instid0(VALU_DEP_1) | instskip(SKIP_3) | instid1(VALU_DEP_1)
	v_add_f64 v[132:133], v[132:133], v[134:135]
	scratch_store_b64 v128, v[132:133], off
	scratch_load_b64 v[132:133], v127, off
	v_max_f64 v[128:129], v[4:5], v[4:5]
	v_min_f64 v[128:129], v[128:129], v[130:131]
	s_waitcnt vmcnt(0)
	s_delay_alu instid0(VALU_DEP_1) | instskip(SKIP_3) | instid1(VALU_DEP_1)
	v_add_f64 v[128:129], v[128:129], v[132:133]
	scratch_load_b64 v[132:133], v126, off
	scratch_store_b64 v127, v[128:129], off
	v_max_f64 v[127:128], v[6:7], v[6:7]
	v_min_f64 v[127:128], v[127:128], v[130:131]
	s_waitcnt vmcnt(0)
	s_delay_alu instid0(VALU_DEP_1) | instskip(SKIP_3) | instid1(VALU_DEP_1)
	v_add_f64 v[127:128], v[127:128], v[132:133]
	scratch_store_b64 v126, v[127:128], off
	scratch_load_b64 v[128:129], v125, off
	v_max_f64 v[126:127], v[8:9], v[8:9]
	v_min_f64 v[126:127], v[126:127], v[130:131]
	s_waitcnt vmcnt(0)
	s_delay_alu instid0(VALU_DEP_1) | instskip(SKIP_4) | instid1(VALU_DEP_1)
	v_add_f64 v[126:127], v[126:127], v[128:129]
	v_mov_b32_e32 v129, 0x100
	scratch_store_b64 v125, v[126:127], off
	scratch_load_b64 v[127:128], v124, off
	v_max_f64 v[125:126], v[10:11], v[10:11]
	v_min_f64 v[125:126], v[125:126], v[130:131]
	s_waitcnt vmcnt(0)
	s_delay_alu instid0(VALU_DEP_1) | instskip(SKIP_4) | instid1(VALU_DEP_1)
	v_add_f64 v[125:126], v[125:126], v[127:128]
	v_mov_b32_e32 v128, 0x108
	;; [unrolled: 8-line block ×27, first 2 shown]
	scratch_store_b64 v99, v[100:101], off
	scratch_load_b64 v[101:102], v98, off
	v_max_f64 v[99:100], v[62:63], v[62:63]
	v_min_f64 v[99:100], v[99:100], v[130:131]
	s_waitcnt vmcnt(0)
	s_delay_alu instid0(VALU_DEP_1)
	v_add_f64 v[99:100], v[99:100], v[101:102]
	v_mov_b32_e32 v102, 0x1d8
	v_mov_b32_e32 v101, 0x1e0
	scratch_store_b64 v98, v[99:100], off
	v_mov_b32_e32 v100, 0x1e8
	v_mov_b32_e32 v99, 0x1f0
	;; [unrolled: 1-line block ×3, first 2 shown]
	s_cbranch_vccnz .LBB147_32
; %bb.33:                               ;   in Loop: Header=BB147_26 Depth=1
	ds_load_2addr_b64 v[0:3], v93 offset0:1 offset1:17
	ds_load_2addr_b64 v[4:7], v93 offset0:33 offset1:49
	;; [unrolled: 1-line block ×12, first 2 shown]
	v_dual_mov_b32 v129, 0 :: v_dual_add_nc_u32 v64, 8, v94
	ds_load_2addr_b64 v[48:51], v97 offset0:129 offset1:145
	ds_load_2addr_b64 v[52:55], v97 offset0:161 offset1:177
	;; [unrolled: 1-line block ×4, first 2 shown]
	ds_load_2addr_stride64_b64 v[64:67], v64 offset1:4
	v_dual_mov_b32 v128, 8 :: v_dual_mov_b32 v127, 16
	v_dual_mov_b32 v126, 24 :: v_dual_mov_b32 v125, 32
	;; [unrolled: 1-line block ×4, first 2 shown]
	v_mov_b32_e32 v120, 0x48
	v_mov_b32_e32 v119, 0x50
	;; [unrolled: 1-line block ×23, first 2 shown]
	s_mov_b64 s[6:7], 0
	s_mov_b32 s24, -1
.LBB147_34:                             ;   Parent Loop BB147_26 Depth=1
                                        ; =>  This Inner Loop Header: Depth=2
	scratch_load_b64 v[134:135], v129, off
	s_cmp_eq_u32 s6, 1
	s_waitcnt lgkmcnt(16)
	v_max_f64 v[132:133], v[0:1], v[0:1]
	s_cselect_b32 vcc_lo, -1, 0
	s_mov_b64 s[6:7], 1
	s_waitcnt lgkmcnt(0)
	v_dual_cndmask_b32 v131, v65, v67 :: v_dual_cndmask_b32 v130, v64, v66
	s_and_b32 vcc_lo, exec_lo, s24
	s_mov_b32 s24, 0
	s_delay_alu instid0(VALU_DEP_1) | instskip(NEXT) | instid1(VALU_DEP_1)
	v_max_f64 v[130:131], v[130:131], v[130:131]
	v_min_f64 v[132:133], v[132:133], v[130:131]
	s_waitcnt vmcnt(0)
	s_delay_alu instid0(VALU_DEP_1) | instskip(SKIP_3) | instid1(VALU_DEP_1)
	v_add_f64 v[132:133], v[134:135], v[132:133]
	scratch_load_b64 v[134:135], v128, off
	scratch_store_b64 v129, v[132:133], off
	v_max_f64 v[132:133], v[2:3], v[2:3]
	v_min_f64 v[132:133], v[132:133], v[130:131]
	s_waitcnt vmcnt(0)
	s_delay_alu instid0(VALU_DEP_1) | instskip(SKIP_3) | instid1(VALU_DEP_1)
	v_add_f64 v[132:133], v[132:133], v[134:135]
	scratch_store_b64 v128, v[132:133], off
	scratch_load_b64 v[132:133], v127, off
	v_max_f64 v[128:129], v[4:5], v[4:5]
	v_min_f64 v[128:129], v[128:129], v[130:131]
	s_waitcnt vmcnt(0)
	s_delay_alu instid0(VALU_DEP_1) | instskip(SKIP_3) | instid1(VALU_DEP_1)
	v_add_f64 v[128:129], v[128:129], v[132:133]
	scratch_load_b64 v[132:133], v126, off
	scratch_store_b64 v127, v[128:129], off
	v_max_f64 v[127:128], v[6:7], v[6:7]
	v_min_f64 v[127:128], v[127:128], v[130:131]
	s_waitcnt vmcnt(0)
	s_delay_alu instid0(VALU_DEP_1) | instskip(SKIP_3) | instid1(VALU_DEP_1)
	v_add_f64 v[127:128], v[127:128], v[132:133]
	scratch_store_b64 v126, v[127:128], off
	scratch_load_b64 v[128:129], v125, off
	v_max_f64 v[126:127], v[8:9], v[8:9]
	v_min_f64 v[126:127], v[126:127], v[130:131]
	s_waitcnt vmcnt(0)
	s_delay_alu instid0(VALU_DEP_1) | instskip(SKIP_4) | instid1(VALU_DEP_1)
	v_add_f64 v[126:127], v[126:127], v[128:129]
	v_mov_b32_e32 v129, 0x100
	scratch_store_b64 v125, v[126:127], off
	scratch_load_b64 v[127:128], v124, off
	v_max_f64 v[125:126], v[10:11], v[10:11]
	v_min_f64 v[125:126], v[125:126], v[130:131]
	s_waitcnt vmcnt(0)
	s_delay_alu instid0(VALU_DEP_1) | instskip(SKIP_4) | instid1(VALU_DEP_1)
	v_add_f64 v[125:126], v[125:126], v[127:128]
	v_mov_b32_e32 v128, 0x108
	;; [unrolled: 8-line block ×27, first 2 shown]
	scratch_store_b64 v99, v[100:101], off
	scratch_load_b64 v[101:102], v98, off
	v_max_f64 v[99:100], v[62:63], v[62:63]
	v_min_f64 v[99:100], v[99:100], v[130:131]
	s_waitcnt vmcnt(0)
	s_delay_alu instid0(VALU_DEP_1)
	v_add_f64 v[99:100], v[99:100], v[101:102]
	v_mov_b32_e32 v102, 0x1d8
	v_mov_b32_e32 v101, 0x1e0
	scratch_store_b64 v98, v[99:100], off
	v_mov_b32_e32 v100, 0x1e8
	v_mov_b32_e32 v99, 0x1f0
	;; [unrolled: 1-line block ×3, first 2 shown]
	s_cbranch_vccnz .LBB147_34
; %bb.35:                               ;   in Loop: Header=BB147_26 Depth=1
	ds_load_2addr_b64 v[0:3], v93 offset0:2 offset1:18
	ds_load_2addr_b64 v[4:7], v93 offset0:34 offset1:50
	;; [unrolled: 1-line block ×12, first 2 shown]
	v_dual_mov_b32 v129, 0 :: v_dual_add_nc_u32 v64, 16, v94
	ds_load_2addr_b64 v[48:51], v97 offset0:130 offset1:146
	ds_load_2addr_b64 v[52:55], v97 offset0:162 offset1:178
	;; [unrolled: 1-line block ×4, first 2 shown]
	ds_load_2addr_stride64_b64 v[64:67], v64 offset1:4
	v_dual_mov_b32 v128, 8 :: v_dual_mov_b32 v127, 16
	v_dual_mov_b32 v126, 24 :: v_dual_mov_b32 v125, 32
	;; [unrolled: 1-line block ×4, first 2 shown]
	v_mov_b32_e32 v120, 0x48
	v_mov_b32_e32 v119, 0x50
	;; [unrolled: 1-line block ×23, first 2 shown]
	s_mov_b64 s[6:7], 0
	s_mov_b32 s24, -1
.LBB147_36:                             ;   Parent Loop BB147_26 Depth=1
                                        ; =>  This Inner Loop Header: Depth=2
	scratch_load_b64 v[134:135], v129, off
	s_cmp_eq_u32 s6, 1
	s_waitcnt lgkmcnt(16)
	v_max_f64 v[132:133], v[0:1], v[0:1]
	s_cselect_b32 vcc_lo, -1, 0
	s_mov_b64 s[6:7], 1
	s_waitcnt lgkmcnt(0)
	v_dual_cndmask_b32 v131, v65, v67 :: v_dual_cndmask_b32 v130, v64, v66
	s_and_b32 vcc_lo, exec_lo, s24
	s_mov_b32 s24, 0
	s_delay_alu instid0(VALU_DEP_1) | instskip(NEXT) | instid1(VALU_DEP_1)
	v_max_f64 v[130:131], v[130:131], v[130:131]
	v_min_f64 v[132:133], v[132:133], v[130:131]
	s_waitcnt vmcnt(0)
	s_delay_alu instid0(VALU_DEP_1) | instskip(SKIP_3) | instid1(VALU_DEP_1)
	v_add_f64 v[132:133], v[134:135], v[132:133]
	scratch_load_b64 v[134:135], v128, off
	scratch_store_b64 v129, v[132:133], off
	v_max_f64 v[132:133], v[2:3], v[2:3]
	v_min_f64 v[132:133], v[132:133], v[130:131]
	s_waitcnt vmcnt(0)
	s_delay_alu instid0(VALU_DEP_1) | instskip(SKIP_3) | instid1(VALU_DEP_1)
	v_add_f64 v[132:133], v[132:133], v[134:135]
	scratch_store_b64 v128, v[132:133], off
	scratch_load_b64 v[132:133], v127, off
	v_max_f64 v[128:129], v[4:5], v[4:5]
	v_min_f64 v[128:129], v[128:129], v[130:131]
	s_waitcnt vmcnt(0)
	s_delay_alu instid0(VALU_DEP_1) | instskip(SKIP_3) | instid1(VALU_DEP_1)
	v_add_f64 v[128:129], v[128:129], v[132:133]
	scratch_load_b64 v[132:133], v126, off
	scratch_store_b64 v127, v[128:129], off
	v_max_f64 v[127:128], v[6:7], v[6:7]
	v_min_f64 v[127:128], v[127:128], v[130:131]
	s_waitcnt vmcnt(0)
	s_delay_alu instid0(VALU_DEP_1) | instskip(SKIP_3) | instid1(VALU_DEP_1)
	v_add_f64 v[127:128], v[127:128], v[132:133]
	scratch_store_b64 v126, v[127:128], off
	scratch_load_b64 v[128:129], v125, off
	v_max_f64 v[126:127], v[8:9], v[8:9]
	v_min_f64 v[126:127], v[126:127], v[130:131]
	s_waitcnt vmcnt(0)
	s_delay_alu instid0(VALU_DEP_1) | instskip(SKIP_4) | instid1(VALU_DEP_1)
	v_add_f64 v[126:127], v[126:127], v[128:129]
	v_mov_b32_e32 v129, 0x100
	scratch_store_b64 v125, v[126:127], off
	scratch_load_b64 v[127:128], v124, off
	v_max_f64 v[125:126], v[10:11], v[10:11]
	v_min_f64 v[125:126], v[125:126], v[130:131]
	s_waitcnt vmcnt(0)
	s_delay_alu instid0(VALU_DEP_1) | instskip(SKIP_4) | instid1(VALU_DEP_1)
	v_add_f64 v[125:126], v[125:126], v[127:128]
	v_mov_b32_e32 v128, 0x108
	;; [unrolled: 8-line block ×27, first 2 shown]
	scratch_store_b64 v99, v[100:101], off
	scratch_load_b64 v[101:102], v98, off
	v_max_f64 v[99:100], v[62:63], v[62:63]
	v_min_f64 v[99:100], v[99:100], v[130:131]
	s_waitcnt vmcnt(0)
	s_delay_alu instid0(VALU_DEP_1)
	v_add_f64 v[99:100], v[99:100], v[101:102]
	v_mov_b32_e32 v102, 0x1d8
	v_mov_b32_e32 v101, 0x1e0
	scratch_store_b64 v98, v[99:100], off
	v_mov_b32_e32 v100, 0x1e8
	v_mov_b32_e32 v99, 0x1f0
	;; [unrolled: 1-line block ×3, first 2 shown]
	s_cbranch_vccnz .LBB147_36
; %bb.37:                               ;   in Loop: Header=BB147_26 Depth=1
	ds_load_2addr_b64 v[0:3], v93 offset0:3 offset1:19
	ds_load_2addr_b64 v[4:7], v93 offset0:35 offset1:51
	;; [unrolled: 1-line block ×12, first 2 shown]
	v_dual_mov_b32 v129, 0 :: v_dual_add_nc_u32 v64, 24, v94
	ds_load_2addr_b64 v[48:51], v97 offset0:131 offset1:147
	ds_load_2addr_b64 v[52:55], v97 offset0:163 offset1:179
	;; [unrolled: 1-line block ×4, first 2 shown]
	ds_load_2addr_stride64_b64 v[64:67], v64 offset1:4
	v_dual_mov_b32 v128, 8 :: v_dual_mov_b32 v127, 16
	v_dual_mov_b32 v126, 24 :: v_dual_mov_b32 v125, 32
	;; [unrolled: 1-line block ×4, first 2 shown]
	v_mov_b32_e32 v120, 0x48
	v_mov_b32_e32 v119, 0x50
	;; [unrolled: 1-line block ×23, first 2 shown]
	s_mov_b64 s[6:7], 0
	s_mov_b32 s24, -1
.LBB147_38:                             ;   Parent Loop BB147_26 Depth=1
                                        ; =>  This Inner Loop Header: Depth=2
	scratch_load_b64 v[134:135], v129, off
	s_cmp_eq_u32 s6, 1
	s_waitcnt lgkmcnt(16)
	v_max_f64 v[132:133], v[0:1], v[0:1]
	s_cselect_b32 vcc_lo, -1, 0
	s_mov_b64 s[6:7], 1
	s_waitcnt lgkmcnt(0)
	v_dual_cndmask_b32 v131, v65, v67 :: v_dual_cndmask_b32 v130, v64, v66
	s_and_b32 vcc_lo, exec_lo, s24
	s_mov_b32 s24, 0
	s_delay_alu instid0(VALU_DEP_1) | instskip(NEXT) | instid1(VALU_DEP_1)
	v_max_f64 v[130:131], v[130:131], v[130:131]
	v_min_f64 v[132:133], v[132:133], v[130:131]
	s_waitcnt vmcnt(0)
	s_delay_alu instid0(VALU_DEP_1) | instskip(SKIP_3) | instid1(VALU_DEP_1)
	v_add_f64 v[132:133], v[134:135], v[132:133]
	scratch_load_b64 v[134:135], v128, off
	scratch_store_b64 v129, v[132:133], off
	v_max_f64 v[132:133], v[2:3], v[2:3]
	v_min_f64 v[132:133], v[132:133], v[130:131]
	s_waitcnt vmcnt(0)
	s_delay_alu instid0(VALU_DEP_1) | instskip(SKIP_3) | instid1(VALU_DEP_1)
	v_add_f64 v[132:133], v[132:133], v[134:135]
	scratch_store_b64 v128, v[132:133], off
	scratch_load_b64 v[132:133], v127, off
	v_max_f64 v[128:129], v[4:5], v[4:5]
	v_min_f64 v[128:129], v[128:129], v[130:131]
	s_waitcnt vmcnt(0)
	s_delay_alu instid0(VALU_DEP_1) | instskip(SKIP_3) | instid1(VALU_DEP_1)
	v_add_f64 v[128:129], v[128:129], v[132:133]
	scratch_load_b64 v[132:133], v126, off
	scratch_store_b64 v127, v[128:129], off
	v_max_f64 v[127:128], v[6:7], v[6:7]
	v_min_f64 v[127:128], v[127:128], v[130:131]
	s_waitcnt vmcnt(0)
	s_delay_alu instid0(VALU_DEP_1) | instskip(SKIP_3) | instid1(VALU_DEP_1)
	v_add_f64 v[127:128], v[127:128], v[132:133]
	scratch_store_b64 v126, v[127:128], off
	scratch_load_b64 v[128:129], v125, off
	v_max_f64 v[126:127], v[8:9], v[8:9]
	v_min_f64 v[126:127], v[126:127], v[130:131]
	s_waitcnt vmcnt(0)
	s_delay_alu instid0(VALU_DEP_1) | instskip(SKIP_4) | instid1(VALU_DEP_1)
	v_add_f64 v[126:127], v[126:127], v[128:129]
	v_mov_b32_e32 v129, 0x100
	scratch_store_b64 v125, v[126:127], off
	scratch_load_b64 v[127:128], v124, off
	v_max_f64 v[125:126], v[10:11], v[10:11]
	v_min_f64 v[125:126], v[125:126], v[130:131]
	s_waitcnt vmcnt(0)
	s_delay_alu instid0(VALU_DEP_1) | instskip(SKIP_4) | instid1(VALU_DEP_1)
	v_add_f64 v[125:126], v[125:126], v[127:128]
	v_mov_b32_e32 v128, 0x108
	;; [unrolled: 8-line block ×27, first 2 shown]
	scratch_store_b64 v99, v[100:101], off
	scratch_load_b64 v[101:102], v98, off
	v_max_f64 v[99:100], v[62:63], v[62:63]
	v_min_f64 v[99:100], v[99:100], v[130:131]
	s_waitcnt vmcnt(0)
	s_delay_alu instid0(VALU_DEP_1)
	v_add_f64 v[99:100], v[99:100], v[101:102]
	v_mov_b32_e32 v102, 0x1d8
	v_mov_b32_e32 v101, 0x1e0
	scratch_store_b64 v98, v[99:100], off
	v_mov_b32_e32 v100, 0x1e8
	v_mov_b32_e32 v99, 0x1f0
	;; [unrolled: 1-line block ×3, first 2 shown]
	s_cbranch_vccnz .LBB147_38
; %bb.39:                               ;   in Loop: Header=BB147_26 Depth=1
	s_mov_b32 vcc_lo, s3
	ds_store_2addr_stride64_b64 v87, v[73:74], v[75:76] offset1:4
	ds_store_2addr_stride64_b64 v89, v[77:78], v[79:80] offset1:4
	s_waitcnt lgkmcnt(0)
	s_waitcnt_vscnt null, 0x0
	s_barrier
	buffer_gl0_inv
	s_cbranch_vccz .LBB147_42
; %bb.40:                               ;   in Loop: Header=BB147_26 Depth=1
	v_or_b32_e32 v67, s23, v83
	s_delay_alu instid0(VALU_DEP_1) | instskip(NEXT) | instid1(VALU_DEP_1)
	v_lshlrev_b64 v[0:1], 3, v[67:68]
	v_add_co_u32 v2, vcc_lo, s16, v0
	s_delay_alu instid0(VALU_DEP_2) | instskip(NEXT) | instid1(VALU_DEP_2)
	v_add_co_ci_u32_e32 v3, vcc_lo, s17, v1, vcc_lo
	v_add_co_u32 v0, vcc_lo, v2, v69
	s_delay_alu instid0(VALU_DEP_2)
	v_add_co_ci_u32_e32 v1, vcc_lo, v3, v70, vcc_lo
	v_add_co_u32 v2, vcc_lo, v2, v71
	v_add_co_ci_u32_e32 v3, vcc_lo, v3, v72, vcc_lo
	s_clause 0x1
	flat_load_b64 v[0:1], v[0:1] offset:32
	flat_load_b64 v[2:3], v[2:3] offset:32
	s_waitcnt vmcnt(1) lgkmcnt(1)
	v_mul_f64 v[73:74], s[12:13], v[0:1]
	s_waitcnt vmcnt(0) lgkmcnt(0)
	v_mul_f64 v[75:76], s[12:13], v[2:3]
	s_and_b32 vcc_lo, exec_lo, s2
	s_mov_b64 s[6:7], 0
	s_cbranch_vccnz .LBB147_43
.LBB147_41:                             ;   in Loop: Header=BB147_26 Depth=1
	v_add_nc_u32_e32 v4, s23, v85
	s_delay_alu instid0(VALU_DEP_1) | instskip(NEXT) | instid1(VALU_DEP_1)
	v_mad_u64_u32 v[0:1], null, v4, s19, 0
	v_mad_u64_u32 v[2:3], null, v4, s22, v[1:2]
	s_delay_alu instid0(VALU_DEP_1) | instskip(NEXT) | instid1(VALU_DEP_1)
	v_mov_b32_e32 v1, v2
	v_lshlrev_b64 v[0:1], 3, v[0:1]
	s_delay_alu instid0(VALU_DEP_1) | instskip(NEXT) | instid1(VALU_DEP_2)
	v_add_co_u32 v0, vcc_lo, v95, v0
	v_add_co_ci_u32_e32 v1, vcc_lo, v96, v1, vcc_lo
	s_clause 0x1
	flat_load_b64 v[2:3], v[0:1]
	flat_load_b64 v[0:1], v[0:1] offset:512
	s_waitcnt vmcnt(1) lgkmcnt(1)
	v_mul_f64 v[77:78], s[12:13], v[2:3]
	s_waitcnt vmcnt(0) lgkmcnt(0)
	v_mul_f64 v[79:80], s[12:13], v[0:1]
	s_branch .LBB147_44
.LBB147_42:                             ;   in Loop: Header=BB147_26 Depth=1
	v_mov_b32_e32 v73, 0
	v_dual_mov_b32 v74, 0 :: v_dual_mov_b32 v75, 0
	v_mov_b32_e32 v76, 0
	s_and_b32 vcc_lo, exec_lo, s2
	s_mov_b64 s[6:7], 0
	s_cbranch_vccz .LBB147_41
.LBB147_43:                             ;   in Loop: Header=BB147_26 Depth=1
	v_mov_b32_e32 v77, 0
	v_dual_mov_b32 v78, 0 :: v_dual_mov_b32 v79, 0
	v_mov_b32_e32 v80, 0
.LBB147_44:                             ;   in Loop: Header=BB147_26 Depth=1
	v_dual_mov_b32 v129, 8 :: v_dual_add_nc_u32 v98, 0x800, v86
	ds_load_2addr_b64 v[0:3], v86 offset1:16
	ds_load_2addr_b64 v[4:7], v86 offset0:32 offset1:48
	ds_load_2addr_b64 v[8:11], v86 offset0:64 offset1:80
	ds_load_2addr_b64 v[12:15], v86 offset0:96 offset1:112
	ds_load_2addr_b64 v[16:19], v86 offset0:128 offset1:144
	ds_load_2addr_b64 v[20:23], v86 offset0:160 offset1:176
	ds_load_2addr_b64 v[24:27], v86 offset0:192 offset1:208
	ds_load_2addr_b64 v[28:31], v86 offset0:224 offset1:240
	ds_load_2addr_b64 v[32:35], v98 offset1:16
	ds_load_2addr_b64 v[36:39], v98 offset0:32 offset1:48
	ds_load_2addr_b64 v[40:43], v98 offset0:64 offset1:80
	;; [unrolled: 1-line block ×7, first 2 shown]
	ds_load_2addr_stride64_b64 v[64:67], v90 offset1:4
	v_dual_mov_b32 v130, 0 :: v_dual_mov_b32 v127, 24
	v_dual_mov_b32 v128, 16 :: v_dual_mov_b32 v125, 40
	;; [unrolled: 1-line block ×5, first 2 shown]
	v_mov_b32_e32 v120, 0x50
	v_mov_b32_e32 v118, 0x60
	;; [unrolled: 1-line block ×21, first 2 shown]
	s_mov_b32 s24, -1
.LBB147_45:                             ;   Parent Loop BB147_26 Depth=1
                                        ; =>  This Inner Loop Header: Depth=2
	scratch_load_b64 v[135:136], v130, off
	s_cmp_eq_u32 s6, 1
	s_waitcnt lgkmcnt(16)
	v_max_f64 v[133:134], v[0:1], v[0:1]
	s_cselect_b32 vcc_lo, -1, 0
	s_mov_b64 s[6:7], 1
	s_waitcnt lgkmcnt(0)
	v_dual_cndmask_b32 v132, v65, v67 :: v_dual_cndmask_b32 v131, v64, v66
	s_and_b32 vcc_lo, exec_lo, s24
	s_mov_b32 s24, 0
	s_delay_alu instid0(VALU_DEP_1) | instskip(NEXT) | instid1(VALU_DEP_1)
	v_max_f64 v[131:132], v[131:132], v[131:132]
	v_min_f64 v[133:134], v[133:134], v[131:132]
	s_waitcnt vmcnt(0)
	s_delay_alu instid0(VALU_DEP_1) | instskip(SKIP_3) | instid1(VALU_DEP_1)
	v_add_f64 v[133:134], v[135:136], v[133:134]
	scratch_load_b64 v[135:136], v129, off
	scratch_store_b64 v130, v[133:134], off
	v_max_f64 v[133:134], v[2:3], v[2:3]
	v_min_f64 v[133:134], v[133:134], v[131:132]
	s_waitcnt vmcnt(0)
	s_delay_alu instid0(VALU_DEP_1) | instskip(SKIP_3) | instid1(VALU_DEP_1)
	v_add_f64 v[133:134], v[133:134], v[135:136]
	scratch_store_b64 v129, v[133:134], off
	scratch_load_b64 v[133:134], v128, off
	v_max_f64 v[129:130], v[4:5], v[4:5]
	v_min_f64 v[129:130], v[129:130], v[131:132]
	s_waitcnt vmcnt(0)
	s_delay_alu instid0(VALU_DEP_1) | instskip(SKIP_3) | instid1(VALU_DEP_1)
	v_add_f64 v[129:130], v[129:130], v[133:134]
	scratch_load_b64 v[133:134], v127, off
	scratch_store_b64 v128, v[129:130], off
	v_max_f64 v[128:129], v[6:7], v[6:7]
	v_min_f64 v[128:129], v[128:129], v[131:132]
	s_waitcnt vmcnt(0)
	s_delay_alu instid0(VALU_DEP_1) | instskip(SKIP_3) | instid1(VALU_DEP_1)
	v_add_f64 v[128:129], v[128:129], v[133:134]
	scratch_store_b64 v127, v[128:129], off
	scratch_load_b64 v[129:130], v126, off
	v_max_f64 v[127:128], v[8:9], v[8:9]
	v_min_f64 v[127:128], v[127:128], v[131:132]
	s_waitcnt vmcnt(0)
	s_delay_alu instid0(VALU_DEP_1) | instskip(SKIP_4) | instid1(VALU_DEP_1)
	v_add_f64 v[127:128], v[127:128], v[129:130]
	v_mov_b32_e32 v130, 0x100
	scratch_store_b64 v126, v[127:128], off
	scratch_load_b64 v[128:129], v125, off
	v_max_f64 v[126:127], v[10:11], v[10:11]
	v_min_f64 v[126:127], v[126:127], v[131:132]
	s_waitcnt vmcnt(0)
	s_delay_alu instid0(VALU_DEP_1) | instskip(SKIP_4) | instid1(VALU_DEP_1)
	v_add_f64 v[126:127], v[126:127], v[128:129]
	v_mov_b32_e32 v129, 0x108
	;; [unrolled: 8-line block ×27, first 2 shown]
	scratch_store_b64 v100, v[101:102], off
	scratch_load_b64 v[102:103], v99, off
	v_max_f64 v[100:101], v[62:63], v[62:63]
	v_min_f64 v[100:101], v[100:101], v[131:132]
	s_waitcnt vmcnt(0)
	s_delay_alu instid0(VALU_DEP_1)
	v_add_f64 v[100:101], v[100:101], v[102:103]
	v_mov_b32_e32 v103, 0x1d8
	v_mov_b32_e32 v102, 0x1e0
	scratch_store_b64 v99, v[100:101], off
	v_mov_b32_e32 v101, 0x1e8
	v_mov_b32_e32 v100, 0x1f0
	;; [unrolled: 1-line block ×3, first 2 shown]
	s_cbranch_vccnz .LBB147_45
; %bb.46:                               ;   in Loop: Header=BB147_26 Depth=1
	ds_load_2addr_b64 v[0:3], v86 offset0:1 offset1:17
	ds_load_2addr_b64 v[4:7], v86 offset0:33 offset1:49
	;; [unrolled: 1-line block ×12, first 2 shown]
	v_dual_mov_b32 v129, 8 :: v_dual_add_nc_u32 v64, 8, v90
	ds_load_2addr_b64 v[48:51], v98 offset0:129 offset1:145
	ds_load_2addr_b64 v[52:55], v98 offset0:161 offset1:177
	;; [unrolled: 1-line block ×4, first 2 shown]
	ds_load_2addr_stride64_b64 v[64:67], v64 offset1:4
	v_dual_mov_b32 v130, 0 :: v_dual_mov_b32 v127, 24
	v_dual_mov_b32 v128, 16 :: v_dual_mov_b32 v125, 40
	;; [unrolled: 1-line block ×5, first 2 shown]
	v_mov_b32_e32 v120, 0x50
	v_mov_b32_e32 v118, 0x60
	;; [unrolled: 1-line block ×21, first 2 shown]
	s_mov_b64 s[6:7], 0
	s_mov_b32 s24, -1
.LBB147_47:                             ;   Parent Loop BB147_26 Depth=1
                                        ; =>  This Inner Loop Header: Depth=2
	scratch_load_b64 v[135:136], v130, off
	s_cmp_eq_u32 s6, 1
	s_waitcnt lgkmcnt(16)
	v_max_f64 v[133:134], v[0:1], v[0:1]
	s_cselect_b32 vcc_lo, -1, 0
	s_mov_b64 s[6:7], 1
	s_waitcnt lgkmcnt(0)
	v_dual_cndmask_b32 v132, v65, v67 :: v_dual_cndmask_b32 v131, v64, v66
	s_and_b32 vcc_lo, exec_lo, s24
	s_mov_b32 s24, 0
	s_delay_alu instid0(VALU_DEP_1) | instskip(NEXT) | instid1(VALU_DEP_1)
	v_max_f64 v[131:132], v[131:132], v[131:132]
	v_min_f64 v[133:134], v[133:134], v[131:132]
	s_waitcnt vmcnt(0)
	s_delay_alu instid0(VALU_DEP_1) | instskip(SKIP_3) | instid1(VALU_DEP_1)
	v_add_f64 v[133:134], v[135:136], v[133:134]
	scratch_load_b64 v[135:136], v129, off
	scratch_store_b64 v130, v[133:134], off
	v_max_f64 v[133:134], v[2:3], v[2:3]
	v_min_f64 v[133:134], v[133:134], v[131:132]
	s_waitcnt vmcnt(0)
	s_delay_alu instid0(VALU_DEP_1) | instskip(SKIP_3) | instid1(VALU_DEP_1)
	v_add_f64 v[133:134], v[133:134], v[135:136]
	scratch_store_b64 v129, v[133:134], off
	scratch_load_b64 v[133:134], v128, off
	v_max_f64 v[129:130], v[4:5], v[4:5]
	v_min_f64 v[129:130], v[129:130], v[131:132]
	s_waitcnt vmcnt(0)
	s_delay_alu instid0(VALU_DEP_1) | instskip(SKIP_3) | instid1(VALU_DEP_1)
	v_add_f64 v[129:130], v[129:130], v[133:134]
	scratch_load_b64 v[133:134], v127, off
	scratch_store_b64 v128, v[129:130], off
	v_max_f64 v[128:129], v[6:7], v[6:7]
	v_min_f64 v[128:129], v[128:129], v[131:132]
	s_waitcnt vmcnt(0)
	s_delay_alu instid0(VALU_DEP_1) | instskip(SKIP_3) | instid1(VALU_DEP_1)
	v_add_f64 v[128:129], v[128:129], v[133:134]
	scratch_store_b64 v127, v[128:129], off
	scratch_load_b64 v[129:130], v126, off
	v_max_f64 v[127:128], v[8:9], v[8:9]
	v_min_f64 v[127:128], v[127:128], v[131:132]
	s_waitcnt vmcnt(0)
	s_delay_alu instid0(VALU_DEP_1) | instskip(SKIP_4) | instid1(VALU_DEP_1)
	v_add_f64 v[127:128], v[127:128], v[129:130]
	v_mov_b32_e32 v130, 0x100
	scratch_store_b64 v126, v[127:128], off
	scratch_load_b64 v[128:129], v125, off
	v_max_f64 v[126:127], v[10:11], v[10:11]
	v_min_f64 v[126:127], v[126:127], v[131:132]
	s_waitcnt vmcnt(0)
	s_delay_alu instid0(VALU_DEP_1) | instskip(SKIP_4) | instid1(VALU_DEP_1)
	v_add_f64 v[126:127], v[126:127], v[128:129]
	v_mov_b32_e32 v129, 0x108
	;; [unrolled: 8-line block ×27, first 2 shown]
	scratch_store_b64 v100, v[101:102], off
	scratch_load_b64 v[102:103], v99, off
	v_max_f64 v[100:101], v[62:63], v[62:63]
	v_min_f64 v[100:101], v[100:101], v[131:132]
	s_waitcnt vmcnt(0)
	s_delay_alu instid0(VALU_DEP_1)
	v_add_f64 v[100:101], v[100:101], v[102:103]
	v_mov_b32_e32 v103, 0x1d8
	v_mov_b32_e32 v102, 0x1e0
	scratch_store_b64 v99, v[100:101], off
	v_mov_b32_e32 v101, 0x1e8
	v_mov_b32_e32 v100, 0x1f0
	;; [unrolled: 1-line block ×3, first 2 shown]
	s_cbranch_vccnz .LBB147_47
; %bb.48:                               ;   in Loop: Header=BB147_26 Depth=1
	ds_load_2addr_b64 v[0:3], v86 offset0:2 offset1:18
	ds_load_2addr_b64 v[4:7], v86 offset0:34 offset1:50
	;; [unrolled: 1-line block ×12, first 2 shown]
	v_dual_mov_b32 v129, 8 :: v_dual_add_nc_u32 v64, 16, v90
	ds_load_2addr_b64 v[48:51], v98 offset0:130 offset1:146
	ds_load_2addr_b64 v[52:55], v98 offset0:162 offset1:178
	;; [unrolled: 1-line block ×4, first 2 shown]
	ds_load_2addr_stride64_b64 v[64:67], v64 offset1:4
	v_dual_mov_b32 v130, 0 :: v_dual_mov_b32 v127, 24
	v_dual_mov_b32 v128, 16 :: v_dual_mov_b32 v125, 40
	;; [unrolled: 1-line block ×5, first 2 shown]
	v_mov_b32_e32 v120, 0x50
	v_mov_b32_e32 v118, 0x60
	;; [unrolled: 1-line block ×21, first 2 shown]
	s_mov_b64 s[6:7], 0
	s_mov_b32 s24, -1
.LBB147_49:                             ;   Parent Loop BB147_26 Depth=1
                                        ; =>  This Inner Loop Header: Depth=2
	scratch_load_b64 v[135:136], v130, off
	s_cmp_eq_u32 s6, 1
	s_waitcnt lgkmcnt(16)
	v_max_f64 v[133:134], v[0:1], v[0:1]
	s_cselect_b32 vcc_lo, -1, 0
	s_mov_b64 s[6:7], 1
	s_waitcnt lgkmcnt(0)
	v_dual_cndmask_b32 v132, v65, v67 :: v_dual_cndmask_b32 v131, v64, v66
	s_and_b32 vcc_lo, exec_lo, s24
	s_mov_b32 s24, 0
	s_delay_alu instid0(VALU_DEP_1) | instskip(NEXT) | instid1(VALU_DEP_1)
	v_max_f64 v[131:132], v[131:132], v[131:132]
	v_min_f64 v[133:134], v[133:134], v[131:132]
	s_waitcnt vmcnt(0)
	s_delay_alu instid0(VALU_DEP_1) | instskip(SKIP_3) | instid1(VALU_DEP_1)
	v_add_f64 v[133:134], v[135:136], v[133:134]
	scratch_load_b64 v[135:136], v129, off
	scratch_store_b64 v130, v[133:134], off
	v_max_f64 v[133:134], v[2:3], v[2:3]
	v_min_f64 v[133:134], v[133:134], v[131:132]
	s_waitcnt vmcnt(0)
	s_delay_alu instid0(VALU_DEP_1) | instskip(SKIP_3) | instid1(VALU_DEP_1)
	v_add_f64 v[133:134], v[133:134], v[135:136]
	scratch_store_b64 v129, v[133:134], off
	scratch_load_b64 v[133:134], v128, off
	v_max_f64 v[129:130], v[4:5], v[4:5]
	v_min_f64 v[129:130], v[129:130], v[131:132]
	s_waitcnt vmcnt(0)
	s_delay_alu instid0(VALU_DEP_1) | instskip(SKIP_3) | instid1(VALU_DEP_1)
	v_add_f64 v[129:130], v[129:130], v[133:134]
	scratch_load_b64 v[133:134], v127, off
	scratch_store_b64 v128, v[129:130], off
	v_max_f64 v[128:129], v[6:7], v[6:7]
	v_min_f64 v[128:129], v[128:129], v[131:132]
	s_waitcnt vmcnt(0)
	s_delay_alu instid0(VALU_DEP_1) | instskip(SKIP_3) | instid1(VALU_DEP_1)
	v_add_f64 v[128:129], v[128:129], v[133:134]
	scratch_store_b64 v127, v[128:129], off
	scratch_load_b64 v[129:130], v126, off
	v_max_f64 v[127:128], v[8:9], v[8:9]
	v_min_f64 v[127:128], v[127:128], v[131:132]
	s_waitcnt vmcnt(0)
	s_delay_alu instid0(VALU_DEP_1) | instskip(SKIP_4) | instid1(VALU_DEP_1)
	v_add_f64 v[127:128], v[127:128], v[129:130]
	v_mov_b32_e32 v130, 0x100
	scratch_store_b64 v126, v[127:128], off
	scratch_load_b64 v[128:129], v125, off
	v_max_f64 v[126:127], v[10:11], v[10:11]
	v_min_f64 v[126:127], v[126:127], v[131:132]
	s_waitcnt vmcnt(0)
	s_delay_alu instid0(VALU_DEP_1) | instskip(SKIP_4) | instid1(VALU_DEP_1)
	v_add_f64 v[126:127], v[126:127], v[128:129]
	v_mov_b32_e32 v129, 0x108
	scratch_store_b64 v125, v[126:127], off
	scratch_load_b64 v[127:128], v124, off
	v_max_f64 v[125:126], v[12:13], v[12:13]
	v_min_f64 v[125:126], v[125:126], v[131:132]
	s_waitcnt vmcnt(0)
	s_delay_alu instid0(VALU_DEP_1) | instskip(SKIP_4) | instid1(VALU_DEP_1)
	v_add_f64 v[125:126], v[125:126], v[127:128]
	v_mov_b32_e32 v128, 0x110
	scratch_store_b64 v124, v[125:126], off
	scratch_load_b64 v[126:127], v123, off
	v_max_f64 v[124:125], v[14:15], v[14:15]
	v_min_f64 v[124:125], v[124:125], v[131:132]
	s_waitcnt vmcnt(0)
	s_delay_alu instid0(VALU_DEP_1) | instskip(SKIP_4) | instid1(VALU_DEP_1)
	v_add_f64 v[124:125], v[124:125], v[126:127]
	v_mov_b32_e32 v127, 0x118
	scratch_store_b64 v123, v[124:125], off
	scratch_load_b64 v[125:126], v122, off
	v_max_f64 v[123:124], v[16:17], v[16:17]
	v_min_f64 v[123:124], v[123:124], v[131:132]
	s_waitcnt vmcnt(0)
	s_delay_alu instid0(VALU_DEP_1) | instskip(SKIP_4) | instid1(VALU_DEP_1)
	v_add_f64 v[123:124], v[123:124], v[125:126]
	v_mov_b32_e32 v126, 0x120
	scratch_store_b64 v122, v[123:124], off
	scratch_load_b64 v[124:125], v121, off
	v_max_f64 v[122:123], v[18:19], v[18:19]
	v_min_f64 v[122:123], v[122:123], v[131:132]
	s_waitcnt vmcnt(0)
	s_delay_alu instid0(VALU_DEP_1) | instskip(SKIP_4) | instid1(VALU_DEP_1)
	v_add_f64 v[122:123], v[122:123], v[124:125]
	v_mov_b32_e32 v125, 0x128
	scratch_store_b64 v121, v[122:123], off
	scratch_load_b64 v[123:124], v120, off
	v_max_f64 v[121:122], v[20:21], v[20:21]
	v_min_f64 v[121:122], v[121:122], v[131:132]
	s_waitcnt vmcnt(0)
	s_delay_alu instid0(VALU_DEP_1) | instskip(SKIP_4) | instid1(VALU_DEP_1)
	v_add_f64 v[121:122], v[121:122], v[123:124]
	v_mov_b32_e32 v124, 0x130
	scratch_store_b64 v120, v[121:122], off
	scratch_load_b64 v[122:123], v119, off
	v_max_f64 v[120:121], v[22:23], v[22:23]
	v_min_f64 v[120:121], v[120:121], v[131:132]
	s_waitcnt vmcnt(0)
	s_delay_alu instid0(VALU_DEP_1) | instskip(SKIP_4) | instid1(VALU_DEP_1)
	v_add_f64 v[120:121], v[120:121], v[122:123]
	v_mov_b32_e32 v123, 0x138
	scratch_store_b64 v119, v[120:121], off
	scratch_load_b64 v[121:122], v118, off
	v_max_f64 v[119:120], v[24:25], v[24:25]
	v_min_f64 v[119:120], v[119:120], v[131:132]
	s_waitcnt vmcnt(0)
	s_delay_alu instid0(VALU_DEP_1) | instskip(SKIP_4) | instid1(VALU_DEP_1)
	v_add_f64 v[119:120], v[119:120], v[121:122]
	v_mov_b32_e32 v122, 0x140
	scratch_store_b64 v118, v[119:120], off
	scratch_load_b64 v[120:121], v117, off
	v_max_f64 v[118:119], v[26:27], v[26:27]
	v_min_f64 v[118:119], v[118:119], v[131:132]
	s_waitcnt vmcnt(0)
	s_delay_alu instid0(VALU_DEP_1) | instskip(SKIP_4) | instid1(VALU_DEP_1)
	v_add_f64 v[118:119], v[118:119], v[120:121]
	v_mov_b32_e32 v121, 0x148
	scratch_store_b64 v117, v[118:119], off
	scratch_load_b64 v[119:120], v116, off
	v_max_f64 v[117:118], v[28:29], v[28:29]
	v_min_f64 v[117:118], v[117:118], v[131:132]
	s_waitcnt vmcnt(0)
	s_delay_alu instid0(VALU_DEP_1) | instskip(SKIP_4) | instid1(VALU_DEP_1)
	v_add_f64 v[117:118], v[117:118], v[119:120]
	v_mov_b32_e32 v120, 0x150
	scratch_store_b64 v116, v[117:118], off
	scratch_load_b64 v[118:119], v115, off
	v_max_f64 v[116:117], v[30:31], v[30:31]
	v_min_f64 v[116:117], v[116:117], v[131:132]
	s_waitcnt vmcnt(0)
	s_delay_alu instid0(VALU_DEP_1) | instskip(SKIP_4) | instid1(VALU_DEP_1)
	v_add_f64 v[116:117], v[116:117], v[118:119]
	v_mov_b32_e32 v119, 0x158
	scratch_store_b64 v115, v[116:117], off
	scratch_load_b64 v[117:118], v114, off
	v_max_f64 v[115:116], v[32:33], v[32:33]
	v_min_f64 v[115:116], v[115:116], v[131:132]
	s_waitcnt vmcnt(0)
	s_delay_alu instid0(VALU_DEP_1) | instskip(SKIP_4) | instid1(VALU_DEP_1)
	v_add_f64 v[115:116], v[115:116], v[117:118]
	v_mov_b32_e32 v118, 0x160
	scratch_store_b64 v114, v[115:116], off
	scratch_load_b64 v[116:117], v113, off
	v_max_f64 v[114:115], v[34:35], v[34:35]
	v_min_f64 v[114:115], v[114:115], v[131:132]
	s_waitcnt vmcnt(0)
	s_delay_alu instid0(VALU_DEP_1) | instskip(SKIP_4) | instid1(VALU_DEP_1)
	v_add_f64 v[114:115], v[114:115], v[116:117]
	v_mov_b32_e32 v117, 0x168
	scratch_store_b64 v113, v[114:115], off
	scratch_load_b64 v[115:116], v112, off
	v_max_f64 v[113:114], v[36:37], v[36:37]
	v_min_f64 v[113:114], v[113:114], v[131:132]
	s_waitcnt vmcnt(0)
	s_delay_alu instid0(VALU_DEP_1) | instskip(SKIP_4) | instid1(VALU_DEP_1)
	v_add_f64 v[113:114], v[113:114], v[115:116]
	v_mov_b32_e32 v116, 0x170
	scratch_store_b64 v112, v[113:114], off
	scratch_load_b64 v[114:115], v111, off
	v_max_f64 v[112:113], v[38:39], v[38:39]
	v_min_f64 v[112:113], v[112:113], v[131:132]
	s_waitcnt vmcnt(0)
	s_delay_alu instid0(VALU_DEP_1) | instskip(SKIP_4) | instid1(VALU_DEP_1)
	v_add_f64 v[112:113], v[112:113], v[114:115]
	v_mov_b32_e32 v115, 0x178
	scratch_store_b64 v111, v[112:113], off
	scratch_load_b64 v[113:114], v110, off
	v_max_f64 v[111:112], v[40:41], v[40:41]
	v_min_f64 v[111:112], v[111:112], v[131:132]
	s_waitcnt vmcnt(0)
	s_delay_alu instid0(VALU_DEP_1) | instskip(SKIP_4) | instid1(VALU_DEP_1)
	v_add_f64 v[111:112], v[111:112], v[113:114]
	v_mov_b32_e32 v114, 0x180
	scratch_store_b64 v110, v[111:112], off
	scratch_load_b64 v[112:113], v109, off
	v_max_f64 v[110:111], v[42:43], v[42:43]
	v_min_f64 v[110:111], v[110:111], v[131:132]
	s_waitcnt vmcnt(0)
	s_delay_alu instid0(VALU_DEP_1) | instskip(SKIP_4) | instid1(VALU_DEP_1)
	v_add_f64 v[110:111], v[110:111], v[112:113]
	v_mov_b32_e32 v113, 0x188
	scratch_store_b64 v109, v[110:111], off
	scratch_load_b64 v[111:112], v108, off
	v_max_f64 v[109:110], v[44:45], v[44:45]
	v_min_f64 v[109:110], v[109:110], v[131:132]
	s_waitcnt vmcnt(0)
	s_delay_alu instid0(VALU_DEP_1) | instskip(SKIP_4) | instid1(VALU_DEP_1)
	v_add_f64 v[109:110], v[109:110], v[111:112]
	v_mov_b32_e32 v112, 0x190
	scratch_store_b64 v108, v[109:110], off
	scratch_load_b64 v[110:111], v107, off
	v_max_f64 v[108:109], v[46:47], v[46:47]
	v_min_f64 v[108:109], v[108:109], v[131:132]
	s_waitcnt vmcnt(0)
	s_delay_alu instid0(VALU_DEP_1) | instskip(SKIP_4) | instid1(VALU_DEP_1)
	v_add_f64 v[108:109], v[108:109], v[110:111]
	v_mov_b32_e32 v111, 0x198
	scratch_store_b64 v107, v[108:109], off
	scratch_load_b64 v[109:110], v106, off
	v_max_f64 v[107:108], v[48:49], v[48:49]
	v_min_f64 v[107:108], v[107:108], v[131:132]
	s_waitcnt vmcnt(0)
	s_delay_alu instid0(VALU_DEP_1) | instskip(SKIP_4) | instid1(VALU_DEP_1)
	v_add_f64 v[107:108], v[107:108], v[109:110]
	v_mov_b32_e32 v110, 0x1a0
	scratch_store_b64 v106, v[107:108], off
	scratch_load_b64 v[108:109], v105, off
	v_max_f64 v[106:107], v[50:51], v[50:51]
	v_min_f64 v[106:107], v[106:107], v[131:132]
	s_waitcnt vmcnt(0)
	s_delay_alu instid0(VALU_DEP_1) | instskip(SKIP_4) | instid1(VALU_DEP_1)
	v_add_f64 v[106:107], v[106:107], v[108:109]
	v_mov_b32_e32 v109, 0x1a8
	scratch_store_b64 v105, v[106:107], off
	scratch_load_b64 v[107:108], v104, off
	v_max_f64 v[105:106], v[52:53], v[52:53]
	v_min_f64 v[105:106], v[105:106], v[131:132]
	s_waitcnt vmcnt(0)
	s_delay_alu instid0(VALU_DEP_1) | instskip(SKIP_4) | instid1(VALU_DEP_1)
	v_add_f64 v[105:106], v[105:106], v[107:108]
	v_mov_b32_e32 v108, 0x1b0
	scratch_store_b64 v104, v[105:106], off
	scratch_load_b64 v[106:107], v103, off
	v_max_f64 v[104:105], v[54:55], v[54:55]
	v_min_f64 v[104:105], v[104:105], v[131:132]
	s_waitcnt vmcnt(0)
	s_delay_alu instid0(VALU_DEP_1) | instskip(SKIP_4) | instid1(VALU_DEP_1)
	v_add_f64 v[104:105], v[104:105], v[106:107]
	v_mov_b32_e32 v107, 0x1b8
	scratch_store_b64 v103, v[104:105], off
	scratch_load_b64 v[105:106], v102, off
	v_max_f64 v[103:104], v[56:57], v[56:57]
	v_min_f64 v[103:104], v[103:104], v[131:132]
	s_waitcnt vmcnt(0)
	s_delay_alu instid0(VALU_DEP_1) | instskip(SKIP_4) | instid1(VALU_DEP_1)
	v_add_f64 v[103:104], v[103:104], v[105:106]
	v_mov_b32_e32 v106, 0x1c0
	scratch_store_b64 v102, v[103:104], off
	scratch_load_b64 v[104:105], v101, off
	v_max_f64 v[102:103], v[58:59], v[58:59]
	v_min_f64 v[102:103], v[102:103], v[131:132]
	s_waitcnt vmcnt(0)
	s_delay_alu instid0(VALU_DEP_1) | instskip(SKIP_4) | instid1(VALU_DEP_1)
	v_add_f64 v[102:103], v[102:103], v[104:105]
	v_mov_b32_e32 v105, 0x1c8
	scratch_store_b64 v101, v[102:103], off
	scratch_load_b64 v[103:104], v100, off
	v_max_f64 v[101:102], v[60:61], v[60:61]
	v_min_f64 v[101:102], v[101:102], v[131:132]
	s_waitcnt vmcnt(0)
	s_delay_alu instid0(VALU_DEP_1) | instskip(SKIP_4) | instid1(VALU_DEP_1)
	v_add_f64 v[101:102], v[101:102], v[103:104]
	v_mov_b32_e32 v104, 0x1d0
	scratch_store_b64 v100, v[101:102], off
	scratch_load_b64 v[102:103], v99, off
	v_max_f64 v[100:101], v[62:63], v[62:63]
	v_min_f64 v[100:101], v[100:101], v[131:132]
	s_waitcnt vmcnt(0)
	s_delay_alu instid0(VALU_DEP_1)
	v_add_f64 v[100:101], v[100:101], v[102:103]
	v_mov_b32_e32 v103, 0x1d8
	v_mov_b32_e32 v102, 0x1e0
	scratch_store_b64 v99, v[100:101], off
	v_mov_b32_e32 v101, 0x1e8
	v_mov_b32_e32 v100, 0x1f0
	;; [unrolled: 1-line block ×3, first 2 shown]
	s_cbranch_vccnz .LBB147_49
; %bb.50:                               ;   in Loop: Header=BB147_26 Depth=1
	ds_load_2addr_b64 v[0:3], v86 offset0:3 offset1:19
	ds_load_2addr_b64 v[4:7], v86 offset0:35 offset1:51
	;; [unrolled: 1-line block ×12, first 2 shown]
	v_dual_mov_b32 v129, 0 :: v_dual_add_nc_u32 v64, 24, v90
	ds_load_2addr_b64 v[48:51], v98 offset0:131 offset1:147
	ds_load_2addr_b64 v[52:55], v98 offset0:163 offset1:179
	;; [unrolled: 1-line block ×4, first 2 shown]
	ds_load_2addr_stride64_b64 v[64:67], v64 offset1:4
	v_dual_mov_b32 v128, 8 :: v_dual_mov_b32 v127, 16
	v_dual_mov_b32 v126, 24 :: v_dual_mov_b32 v125, 32
	;; [unrolled: 1-line block ×4, first 2 shown]
	v_mov_b32_e32 v120, 0x48
	v_mov_b32_e32 v119, 0x50
	;; [unrolled: 1-line block ×23, first 2 shown]
	s_mov_b64 s[6:7], 0
	s_mov_b32 s24, -1
.LBB147_51:                             ;   Parent Loop BB147_26 Depth=1
                                        ; =>  This Inner Loop Header: Depth=2
	scratch_load_b64 v[134:135], v129, off
	s_cmp_eq_u32 s6, 1
	s_waitcnt lgkmcnt(16)
	v_max_f64 v[132:133], v[0:1], v[0:1]
	s_cselect_b32 vcc_lo, -1, 0
	s_mov_b64 s[6:7], 1
	s_waitcnt lgkmcnt(0)
	v_dual_cndmask_b32 v131, v65, v67 :: v_dual_cndmask_b32 v130, v64, v66
	s_and_b32 vcc_lo, exec_lo, s24
	s_mov_b32 s24, 0
	s_delay_alu instid0(VALU_DEP_1) | instskip(NEXT) | instid1(VALU_DEP_1)
	v_max_f64 v[130:131], v[130:131], v[130:131]
	v_min_f64 v[132:133], v[132:133], v[130:131]
	s_waitcnt vmcnt(0)
	s_delay_alu instid0(VALU_DEP_1) | instskip(SKIP_3) | instid1(VALU_DEP_1)
	v_add_f64 v[132:133], v[134:135], v[132:133]
	scratch_load_b64 v[134:135], v128, off
	scratch_store_b64 v129, v[132:133], off
	v_max_f64 v[132:133], v[2:3], v[2:3]
	v_min_f64 v[132:133], v[132:133], v[130:131]
	s_waitcnt vmcnt(0)
	s_delay_alu instid0(VALU_DEP_1) | instskip(SKIP_3) | instid1(VALU_DEP_1)
	v_add_f64 v[132:133], v[132:133], v[134:135]
	scratch_store_b64 v128, v[132:133], off
	scratch_load_b64 v[132:133], v127, off
	v_max_f64 v[128:129], v[4:5], v[4:5]
	v_min_f64 v[128:129], v[128:129], v[130:131]
	s_waitcnt vmcnt(0)
	s_delay_alu instid0(VALU_DEP_1) | instskip(SKIP_3) | instid1(VALU_DEP_1)
	v_add_f64 v[128:129], v[128:129], v[132:133]
	scratch_load_b64 v[132:133], v126, off
	scratch_store_b64 v127, v[128:129], off
	v_max_f64 v[127:128], v[6:7], v[6:7]
	v_min_f64 v[127:128], v[127:128], v[130:131]
	s_waitcnt vmcnt(0)
	s_delay_alu instid0(VALU_DEP_1) | instskip(SKIP_3) | instid1(VALU_DEP_1)
	v_add_f64 v[127:128], v[127:128], v[132:133]
	scratch_store_b64 v126, v[127:128], off
	scratch_load_b64 v[128:129], v125, off
	v_max_f64 v[126:127], v[8:9], v[8:9]
	v_min_f64 v[126:127], v[126:127], v[130:131]
	s_waitcnt vmcnt(0)
	s_delay_alu instid0(VALU_DEP_1) | instskip(SKIP_4) | instid1(VALU_DEP_1)
	v_add_f64 v[126:127], v[126:127], v[128:129]
	v_mov_b32_e32 v129, 0x100
	scratch_store_b64 v125, v[126:127], off
	scratch_load_b64 v[127:128], v124, off
	v_max_f64 v[125:126], v[10:11], v[10:11]
	v_min_f64 v[125:126], v[125:126], v[130:131]
	s_waitcnt vmcnt(0)
	s_delay_alu instid0(VALU_DEP_1) | instskip(SKIP_4) | instid1(VALU_DEP_1)
	v_add_f64 v[125:126], v[125:126], v[127:128]
	v_mov_b32_e32 v128, 0x108
	;; [unrolled: 8-line block ×27, first 2 shown]
	scratch_store_b64 v99, v[100:101], off
	scratch_load_b64 v[101:102], v98, off
	v_max_f64 v[99:100], v[62:63], v[62:63]
	v_min_f64 v[99:100], v[99:100], v[130:131]
	s_waitcnt vmcnt(0)
	s_delay_alu instid0(VALU_DEP_1)
	v_add_f64 v[99:100], v[99:100], v[101:102]
	v_mov_b32_e32 v102, 0x1d8
	v_mov_b32_e32 v101, 0x1e0
	scratch_store_b64 v98, v[99:100], off
	v_mov_b32_e32 v100, 0x1e8
	v_mov_b32_e32 v99, 0x1f0
	;; [unrolled: 1-line block ×3, first 2 shown]
	s_cbranch_vccnz .LBB147_51
; %bb.52:                               ;   in Loop: Header=BB147_26 Depth=1
	s_add_i32 s21, s21, 8
	s_add_i32 s23, s23, 8
	s_cmp_ge_i32 s21, s20
	ds_store_2addr_stride64_b64 v91, v[73:74], v[75:76] offset1:4
	ds_store_2addr_stride64_b64 v92, v[77:78], v[79:80] offset1:4
	s_waitcnt lgkmcnt(0)
	s_waitcnt_vscnt null, 0x0
	s_barrier
	buffer_gl0_inv
	s_cbranch_scc0 .LBB147_26
.LBB147_53:
	v_dual_mov_b32 v71, 8 :: v_dual_add_nc_u32 v28, 0x1000, v86
	v_dual_mov_b32 v75, 40 :: v_dual_add_nc_u32 v60, 0x1800, v86
	;; [unrolled: 1-line block ×3, first 2 shown]
	ds_load_2addr_b64 v[0:3], v28 offset1:16
	ds_load_2addr_b64 v[4:7], v28 offset0:32 offset1:48
	ds_load_2addr_b64 v[8:11], v28 offset0:64 offset1:80
	;; [unrolled: 1-line block ×7, first 2 shown]
	ds_load_2addr_b64 v[32:35], v60 offset1:16
	ds_load_2addr_b64 v[36:39], v60 offset0:32 offset1:48
	ds_load_2addr_b64 v[40:43], v60 offset0:64 offset1:80
	;; [unrolled: 1-line block ×7, first 2 shown]
	ds_load_2addr_stride64_b64 v[64:67], v88 offset0:24 offset1:28
	v_dual_mov_b32 v70, 0 :: v_dual_add_nc_u32 v69, 0x3000, v88
	v_dual_mov_b32 v72, 16 :: v_dual_mov_b32 v77, 56
	v_dual_mov_b32 v74, 32 :: v_dual_mov_b32 v79, 0x48
	;; [unrolled: 1-line block ×4, first 2 shown]
	v_mov_b32_e32 v80, 0x50
	v_mov_b32_e32 v84, 0x60
	;; [unrolled: 1-line block ×20, first 2 shown]
	s_mov_b64 s[2:3], 0
	s_mov_b32 s6, -1
.LBB147_54:                             ; =>This Inner Loop Header: Depth=1
	scratch_load_b64 v[104:105], v70, off
	scratch_load_b64 v[106:107], v71, off
	;; [unrolled: 1-line block ×32, first 2 shown]
	s_cmp_eq_u32 s2, 1
	s_waitcnt lgkmcnt(16)
	v_max_f64 v[170:171], v[0:1], v[0:1]
	s_cselect_b32 vcc_lo, -1, 0
	v_max_f64 v[172:173], v[2:3], v[2:3]
	s_waitcnt lgkmcnt(0)
	v_dual_cndmask_b32 v169, v65, v67 :: v_dual_cndmask_b32 v168, v64, v66
	v_max_f64 v[174:175], v[4:5], v[4:5]
	v_max_f64 v[176:177], v[6:7], v[6:7]
	;; [unrolled: 1-line block ×31, first 2 shown]
	s_mov_b64 s[2:3], 1
	s_and_b32 vcc_lo, exec_lo, s6
	s_mov_b32 s6, 0
	v_min_f64 v[170:171], v[170:171], v[168:169]
	v_min_f64 v[172:173], v[172:173], v[168:169]
	;; [unrolled: 1-line block ×32, first 2 shown]
	s_waitcnt vmcnt(31)
	v_add_f64 v[104:105], v[104:105], v[170:171]
	s_waitcnt vmcnt(30)
	v_add_f64 v[106:107], v[172:173], v[106:107]
	;; [unrolled: 2-line block ×32, first 2 shown]
	scratch_store_b64 v70, v[104:105], off
	scratch_store_b64 v71, v[106:107], off
	;; [unrolled: 1-line block ×32, first 2 shown]
	v_mov_b32_e32 v70, 0x100
	v_mov_b32_e32 v71, 0x108
	;; [unrolled: 1-line block ×32, first 2 shown]
	s_cbranch_vccnz .LBB147_54
; %bb.55:
	v_dual_mov_b32 v71, 8 :: v_dual_add_nc_u32 v60, 0x800, v68
	ds_load_2addr_b64 v[0:3], v68 offset0:1 offset1:17
	ds_load_2addr_b64 v[4:7], v68 offset0:33 offset1:49
	;; [unrolled: 1-line block ×12, first 2 shown]
	v_dual_mov_b32 v73, 24 :: v_dual_add_nc_u32 v64, 8, v69
	ds_load_2addr_b64 v[48:51], v60 offset0:129 offset1:145
	ds_load_2addr_b64 v[52:55], v60 offset0:161 offset1:177
	;; [unrolled: 1-line block ×4, first 2 shown]
	ds_load_2addr_stride64_b64 v[64:67], v64 offset1:4
	v_dual_mov_b32 v70, 0 :: v_dual_mov_b32 v75, 40
	v_dual_mov_b32 v72, 16 :: v_dual_mov_b32 v77, 56
	;; [unrolled: 1-line block ×5, first 2 shown]
	v_mov_b32_e32 v80, 0x50
	v_mov_b32_e32 v84, 0x60
	;; [unrolled: 1-line block ×20, first 2 shown]
	s_mov_b64 s[2:3], 0
	s_mov_b32 s6, -1
.LBB147_56:                             ; =>This Inner Loop Header: Depth=1
	scratch_load_b64 v[104:105], v70, off
	scratch_load_b64 v[106:107], v71, off
	;; [unrolled: 1-line block ×32, first 2 shown]
	s_cmp_eq_u32 s2, 1
	s_waitcnt lgkmcnt(16)
	v_max_f64 v[170:171], v[0:1], v[0:1]
	s_cselect_b32 vcc_lo, -1, 0
	v_max_f64 v[172:173], v[2:3], v[2:3]
	s_waitcnt lgkmcnt(0)
	v_dual_cndmask_b32 v169, v65, v67 :: v_dual_cndmask_b32 v168, v64, v66
	v_max_f64 v[174:175], v[4:5], v[4:5]
	v_max_f64 v[176:177], v[6:7], v[6:7]
	;; [unrolled: 1-line block ×31, first 2 shown]
	s_mov_b64 s[2:3], 1
	s_and_b32 vcc_lo, exec_lo, s6
	s_mov_b32 s6, 0
	v_min_f64 v[170:171], v[170:171], v[168:169]
	v_min_f64 v[172:173], v[172:173], v[168:169]
	;; [unrolled: 1-line block ×32, first 2 shown]
	s_waitcnt vmcnt(31)
	v_add_f64 v[104:105], v[104:105], v[170:171]
	s_waitcnt vmcnt(30)
	v_add_f64 v[106:107], v[172:173], v[106:107]
	;; [unrolled: 2-line block ×32, first 2 shown]
	scratch_store_b64 v70, v[104:105], off
	scratch_store_b64 v71, v[106:107], off
	;; [unrolled: 1-line block ×32, first 2 shown]
	v_mov_b32_e32 v70, 0x100
	v_mov_b32_e32 v71, 0x108
	;; [unrolled: 1-line block ×32, first 2 shown]
	s_cbranch_vccnz .LBB147_56
; %bb.57:
	v_dual_mov_b32 v71, 8 :: v_dual_add_nc_u32 v60, 0x800, v68
	ds_load_2addr_b64 v[0:3], v68 offset0:2 offset1:18
	ds_load_2addr_b64 v[4:7], v68 offset0:34 offset1:50
	;; [unrolled: 1-line block ×12, first 2 shown]
	v_dual_mov_b32 v73, 24 :: v_dual_add_nc_u32 v64, 16, v69
	ds_load_2addr_b64 v[48:51], v60 offset0:130 offset1:146
	ds_load_2addr_b64 v[52:55], v60 offset0:162 offset1:178
	;; [unrolled: 1-line block ×4, first 2 shown]
	ds_load_2addr_stride64_b64 v[64:67], v64 offset1:4
	v_dual_mov_b32 v70, 0 :: v_dual_mov_b32 v75, 40
	v_dual_mov_b32 v72, 16 :: v_dual_mov_b32 v77, 56
	;; [unrolled: 1-line block ×5, first 2 shown]
	v_mov_b32_e32 v80, 0x50
	v_mov_b32_e32 v84, 0x60
	;; [unrolled: 1-line block ×20, first 2 shown]
	s_mov_b64 s[2:3], 0
	s_mov_b32 s6, -1
.LBB147_58:                             ; =>This Inner Loop Header: Depth=1
	scratch_load_b64 v[104:105], v70, off
	scratch_load_b64 v[106:107], v71, off
	;; [unrolled: 1-line block ×32, first 2 shown]
	s_cmp_eq_u32 s2, 1
	s_waitcnt lgkmcnt(16)
	v_max_f64 v[170:171], v[0:1], v[0:1]
	s_cselect_b32 vcc_lo, -1, 0
	v_max_f64 v[172:173], v[2:3], v[2:3]
	s_waitcnt lgkmcnt(0)
	v_dual_cndmask_b32 v169, v65, v67 :: v_dual_cndmask_b32 v168, v64, v66
	v_max_f64 v[174:175], v[4:5], v[4:5]
	v_max_f64 v[176:177], v[6:7], v[6:7]
	;; [unrolled: 1-line block ×31, first 2 shown]
	s_mov_b64 s[2:3], 1
	s_and_b32 vcc_lo, exec_lo, s6
	s_mov_b32 s6, 0
	v_min_f64 v[170:171], v[170:171], v[168:169]
	v_min_f64 v[172:173], v[172:173], v[168:169]
	;; [unrolled: 1-line block ×32, first 2 shown]
	s_waitcnt vmcnt(31)
	v_add_f64 v[104:105], v[104:105], v[170:171]
	s_waitcnt vmcnt(30)
	v_add_f64 v[106:107], v[172:173], v[106:107]
	;; [unrolled: 2-line block ×32, first 2 shown]
	scratch_store_b64 v70, v[104:105], off
	scratch_store_b64 v71, v[106:107], off
	scratch_store_b64 v72, v[108:109], off
	scratch_store_b64 v73, v[110:111], off
	scratch_store_b64 v74, v[112:113], off
	scratch_store_b64 v75, v[114:115], off
	scratch_store_b64 v76, v[116:117], off
	scratch_store_b64 v77, v[118:119], off
	scratch_store_b64 v78, v[120:121], off
	scratch_store_b64 v79, v[122:123], off
	scratch_store_b64 v80, v[124:125], off
	scratch_store_b64 v83, v[126:127], off
	scratch_store_b64 v84, v[128:129], off
	scratch_store_b64 v85, v[130:131], off
	scratch_store_b64 v86, v[132:133], off
	scratch_store_b64 v87, v[134:135], off
	scratch_store_b64 v88, v[136:137], off
	scratch_store_b64 v89, v[138:139], off
	scratch_store_b64 v90, v[140:141], off
	scratch_store_b64 v91, v[142:143], off
	scratch_store_b64 v92, v[144:145], off
	scratch_store_b64 v93, v[146:147], off
	scratch_store_b64 v94, v[148:149], off
	scratch_store_b64 v95, v[150:151], off
	scratch_store_b64 v96, v[152:153], off
	scratch_store_b64 v97, v[154:155], off
	scratch_store_b64 v98, v[156:157], off
	scratch_store_b64 v99, v[158:159], off
	scratch_store_b64 v100, v[160:161], off
	scratch_store_b64 v101, v[162:163], off
	scratch_store_b64 v102, v[164:165], off
	scratch_store_b64 v103, v[166:167], off
	v_mov_b32_e32 v70, 0x100
	v_mov_b32_e32 v71, 0x108
	;; [unrolled: 1-line block ×32, first 2 shown]
	s_cbranch_vccnz .LBB147_58
; %bb.59:
	v_add_nc_u32_e32 v60, 0x800, v68
	ds_load_2addr_b64 v[0:3], v68 offset0:3 offset1:19
	ds_load_2addr_b64 v[4:7], v68 offset0:35 offset1:51
	;; [unrolled: 1-line block ×4, first 2 shown]
	v_dual_mov_b32 v71, 24 :: v_dual_add_nc_u32 v64, 24, v69
	v_mov_b32_e32 v69, 8
	ds_load_2addr_b64 v[16:19], v68 offset0:131 offset1:147
	ds_load_2addr_b64 v[20:23], v68 offset0:163 offset1:179
	;; [unrolled: 1-line block ×12, first 2 shown]
	ds_load_2addr_stride64_b64 v[64:67], v64 offset1:4
	v_dual_mov_b32 v68, 0 :: v_dual_mov_b32 v73, 40
	v_dual_mov_b32 v70, 16 :: v_dual_mov_b32 v75, 56
	;; [unrolled: 1-line block ×5, first 2 shown]
	v_mov_b32_e32 v78, 0x50
	v_mov_b32_e32 v80, 0x60
	;; [unrolled: 1-line block ×20, first 2 shown]
	s_mov_b64 s[2:3], 0
	s_mov_b32 s6, -1
.LBB147_60:                             ; =>This Inner Loop Header: Depth=1
	scratch_load_b64 v[102:103], v68, off
	scratch_load_b64 v[104:105], v69, off
	;; [unrolled: 1-line block ×32, first 2 shown]
	s_cmp_eq_u32 s2, 1
	s_waitcnt lgkmcnt(16)
	v_max_f64 v[168:169], v[0:1], v[0:1]
	s_cselect_b32 vcc_lo, -1, 0
	v_max_f64 v[170:171], v[2:3], v[2:3]
	s_waitcnt lgkmcnt(0)
	v_dual_cndmask_b32 v167, v65, v67 :: v_dual_cndmask_b32 v166, v64, v66
	v_max_f64 v[172:173], v[4:5], v[4:5]
	v_max_f64 v[174:175], v[6:7], v[6:7]
	;; [unrolled: 1-line block ×31, first 2 shown]
	s_mov_b64 s[2:3], 1
	s_and_b32 vcc_lo, exec_lo, s6
	s_mov_b32 s6, 0
	v_min_f64 v[168:169], v[168:169], v[166:167]
	v_min_f64 v[170:171], v[170:171], v[166:167]
	;; [unrolled: 1-line block ×32, first 2 shown]
	s_waitcnt vmcnt(31)
	v_add_f64 v[102:103], v[102:103], v[168:169]
	s_waitcnt vmcnt(30)
	v_add_f64 v[104:105], v[170:171], v[104:105]
	;; [unrolled: 2-line block ×32, first 2 shown]
	scratch_store_b64 v68, v[102:103], off
	scratch_store_b64 v69, v[104:105], off
	scratch_store_b64 v70, v[106:107], off
	scratch_store_b64 v71, v[108:109], off
	scratch_store_b64 v72, v[110:111], off
	scratch_store_b64 v73, v[112:113], off
	scratch_store_b64 v74, v[114:115], off
	scratch_store_b64 v75, v[116:117], off
	scratch_store_b64 v76, v[118:119], off
	scratch_store_b64 v77, v[120:121], off
	scratch_store_b64 v78, v[122:123], off
	scratch_store_b64 v79, v[124:125], off
	scratch_store_b64 v80, v[126:127], off
	scratch_store_b64 v83, v[128:129], off
	scratch_store_b64 v84, v[130:131], off
	scratch_store_b64 v85, v[132:133], off
	scratch_store_b64 v86, v[134:135], off
	scratch_store_b64 v87, v[136:137], off
	scratch_store_b64 v88, v[138:139], off
	scratch_store_b64 v89, v[140:141], off
	scratch_store_b64 v90, v[142:143], off
	scratch_store_b64 v91, v[144:145], off
	scratch_store_b64 v92, v[146:147], off
	scratch_store_b64 v93, v[148:149], off
	scratch_store_b64 v94, v[150:151], off
	scratch_store_b64 v95, v[152:153], off
	scratch_store_b64 v96, v[154:155], off
	scratch_store_b64 v97, v[156:157], off
	scratch_store_b64 v98, v[158:159], off
	scratch_store_b64 v99, v[160:161], off
	scratch_store_b64 v100, v[162:163], off
	scratch_store_b64 v101, v[164:165], off
	v_mov_b32_e32 v68, 0x100
	v_mov_b32_e32 v69, 0x108
	;; [unrolled: 1-line block ×32, first 2 shown]
	s_cbranch_vccnz .LBB147_60
; %bb.61:
	scratch_load_b64 v[2:3], off, off
	s_load_b32 s3, s[0:1], 0x58
	v_dual_mov_b32 v4, 0 :: v_dual_add_nc_u32 v71, s15, v82
	v_dual_mov_b32 v5, 0 :: v_dual_add_nc_u32 v16, s14, v81
	v_mov_b32_e32 v8, 0
	v_mov_b32_e32 v9, 0
	s_and_b32 s2, exec_lo, s18
	s_delay_alu instid0(VALU_DEP_3) | instskip(SKIP_2) | instid1(VALU_DEP_1)
	v_ashrrev_i32_e32 v17, 31, v16
	s_waitcnt lgkmcnt(0)
	v_mad_i64_i32 v[0:1], null, v71, s3, 0
	v_lshlrev_b64 v[0:1], 3, v[0:1]
	s_delay_alu instid0(VALU_DEP_1) | instskip(NEXT) | instid1(VALU_DEP_2)
	v_add_co_u32 v72, vcc_lo, s8, v0
	v_add_co_ci_u32_e32 v73, vcc_lo, s9, v1, vcc_lo
	v_lshlrev_b64 v[0:1], 3, v[16:17]
	s_mov_b32 vcc_lo, s2
	s_cbranch_vccz .LBB147_63
; %bb.62:
	s_delay_alu instid0(VALU_DEP_1) | instskip(NEXT) | instid1(VALU_DEP_2)
	v_add_co_u32 v6, vcc_lo, v72, v0
	v_add_co_ci_u32_e32 v7, vcc_lo, v73, v1, vcc_lo
	flat_load_b64 v[6:7], v[6:7]
	s_waitcnt vmcnt(0) lgkmcnt(0)
	v_mul_f64 v[8:9], s[10:11], v[6:7]
.LBB147_63:
	scratch_load_b64 v[6:7], off, off offset:8
	s_clause 0x1
	s_load_b32 s6, s[0:1], 0x70
	s_load_b64 s[0:1], s[0:1], 0x78
	s_waitcnt vmcnt(1)
	v_add_f64 v[8:9], v[2:3], v[8:9]
	v_add_nc_u32_e32 v10, 4, v16
	v_cndmask_b32_e64 v12, 0, 1, s18
	s_delay_alu instid0(VALU_DEP_2)
	v_ashrrev_i32_e32 v11, 31, v10
	s_waitcnt lgkmcnt(0)
	v_mad_i64_i32 v[2:3], null, v71, s6, 0
	s_lshl_b64 s[12:13], s[0:1], 3
	v_cmp_ne_u32_e64 s0, 1, v12
	s_add_u32 s1, s4, s12
	s_addc_u32 s4, s5, s13
	s_delay_alu instid0(VALU_DEP_2) | instskip(NEXT) | instid1(VALU_DEP_1)
	v_lshlrev_b64 v[2:3], 3, v[2:3]
	v_add_co_u32 v74, vcc_lo, s1, v2
	s_delay_alu instid0(VALU_DEP_2) | instskip(SKIP_1) | instid1(VALU_DEP_3)
	v_add_co_ci_u32_e32 v75, vcc_lo, s4, v3, vcc_lo
	v_lshlrev_b64 v[2:3], 3, v[10:11]
	v_add_co_u32 v12, vcc_lo, v74, v0
	s_delay_alu instid0(VALU_DEP_3)
	v_add_co_ci_u32_e32 v13, vcc_lo, v75, v1, vcc_lo
	s_and_not1_b32 vcc_lo, exec_lo, s18
	global_store_b64 v[12:13], v[8:9], off
	s_cbranch_vccnz .LBB147_65
; %bb.64:
	v_add_co_u32 v4, vcc_lo, v72, v2
	v_add_co_ci_u32_e32 v5, vcc_lo, v73, v3, vcc_lo
	flat_load_b64 v[4:5], v[4:5]
	s_waitcnt vmcnt(0) lgkmcnt(0)
	v_mul_f64 v[4:5], s[10:11], v[4:5]
.LBB147_65:
	scratch_load_b64 v[10:11], off, off offset:16
	s_waitcnt vmcnt(1)
	v_add_f64 v[12:13], v[6:7], v[4:5]
	v_add_nc_u32_e32 v4, 8, v16
	v_mov_b32_e32 v8, 0
	v_mov_b32_e32 v9, 0
	v_add_co_u32 v14, vcc_lo, v74, v2
	s_delay_alu instid0(VALU_DEP_4) | instskip(SKIP_3) | instid1(VALU_DEP_4)
	v_ashrrev_i32_e32 v5, 31, v4
	v_mov_b32_e32 v6, 0
	v_mov_b32_e32 v7, 0
	v_add_co_ci_u32_e32 v15, vcc_lo, v75, v3, vcc_lo
	v_lshlrev_b64 v[4:5], 3, v[4:5]
	s_and_b32 vcc_lo, exec_lo, s0
	global_store_b64 v[14:15], v[12:13], off
	s_cbranch_vccnz .LBB147_67
; %bb.66:
	v_add_co_u32 v6, vcc_lo, v72, v4
	v_add_co_ci_u32_e32 v7, vcc_lo, v73, v5, vcc_lo
	flat_load_b64 v[6:7], v[6:7]
	s_waitcnt vmcnt(0) lgkmcnt(0)
	v_mul_f64 v[6:7], s[10:11], v[6:7]
.LBB147_67:
	scratch_load_b64 v[12:13], off, off offset:24
	s_waitcnt vmcnt(1)
	v_add_f64 v[10:11], v[10:11], v[6:7]
	v_add_nc_u32_e32 v6, 12, v16
	v_add_co_u32 v14, vcc_lo, v74, v4
	v_add_co_ci_u32_e32 v15, vcc_lo, v75, v5, vcc_lo
	s_delay_alu instid0(VALU_DEP_3) | instskip(SKIP_1) | instid1(VALU_DEP_1)
	v_ashrrev_i32_e32 v7, 31, v6
	s_and_b32 vcc_lo, exec_lo, s0
	v_lshlrev_b64 v[6:7], 3, v[6:7]
	global_store_b64 v[14:15], v[10:11], off
	s_cbranch_vccnz .LBB147_69
; %bb.68:
	v_add_co_u32 v8, vcc_lo, v72, v6
	v_add_co_ci_u32_e32 v9, vcc_lo, v73, v7, vcc_lo
	flat_load_b64 v[8:9], v[8:9]
	s_waitcnt vmcnt(0) lgkmcnt(0)
	v_mul_f64 v[8:9], s[10:11], v[8:9]
.LBB147_69:
	scratch_load_b64 v[10:11], off, off offset:32
	s_waitcnt vmcnt(1)
	v_add_f64 v[17:18], v[12:13], v[8:9]
	v_add_nc_u32_e32 v8, 16, v16
	v_mov_b32_e32 v12, 0
	v_mov_b32_e32 v13, 0
	v_add_co_u32 v19, vcc_lo, v74, v6
	s_delay_alu instid0(VALU_DEP_4) | instskip(SKIP_3) | instid1(VALU_DEP_4)
	v_ashrrev_i32_e32 v9, 31, v8
	v_mov_b32_e32 v14, 0
	v_mov_b32_e32 v15, 0
	v_add_co_ci_u32_e32 v20, vcc_lo, v75, v7, vcc_lo
	v_lshlrev_b64 v[8:9], 3, v[8:9]
	s_and_b32 vcc_lo, exec_lo, s0
	global_store_b64 v[19:20], v[17:18], off
	s_cbranch_vccnz .LBB147_71
; %bb.70:
	v_add_co_u32 v14, vcc_lo, v72, v8
	v_add_co_ci_u32_e32 v15, vcc_lo, v73, v9, vcc_lo
	flat_load_b64 v[14:15], v[14:15]
	s_waitcnt vmcnt(0) lgkmcnt(0)
	v_mul_f64 v[14:15], s[10:11], v[14:15]
.LBB147_71:
	scratch_load_b64 v[17:18], off, off offset:40
	s_waitcnt vmcnt(1)
	v_add_f64 v[14:15], v[10:11], v[14:15]
	v_add_nc_u32_e32 v10, 20, v16
	v_add_co_u32 v19, vcc_lo, v74, v8
	v_add_co_ci_u32_e32 v20, vcc_lo, v75, v9, vcc_lo
	s_delay_alu instid0(VALU_DEP_3) | instskip(SKIP_1) | instid1(VALU_DEP_1)
	v_ashrrev_i32_e32 v11, 31, v10
	s_and_b32 vcc_lo, exec_lo, s0
	v_lshlrev_b64 v[10:11], 3, v[10:11]
	global_store_b64 v[19:20], v[14:15], off
	s_cbranch_vccnz .LBB147_73
; %bb.72:
	v_add_co_u32 v12, vcc_lo, v72, v10
	v_add_co_ci_u32_e32 v13, vcc_lo, v73, v11, vcc_lo
	flat_load_b64 v[12:13], v[12:13]
	s_waitcnt vmcnt(0) lgkmcnt(0)
	v_mul_f64 v[12:13], s[10:11], v[12:13]
.LBB147_73:
	scratch_load_b64 v[14:15], off, off offset:48
	s_waitcnt vmcnt(1)
	v_add_f64 v[21:22], v[17:18], v[12:13]
	v_dual_mov_b32 v17, 0 :: v_dual_add_nc_u32 v12, 24, v16
	v_add_co_u32 v23, vcc_lo, v74, v10
	v_dual_mov_b32 v18, 0 :: v_dual_mov_b32 v19, 0
	s_delay_alu instid0(VALU_DEP_3) | instskip(SKIP_3) | instid1(VALU_DEP_3)
	v_ashrrev_i32_e32 v13, 31, v12
	v_add_co_ci_u32_e32 v24, vcc_lo, v75, v11, vcc_lo
	v_mov_b32_e32 v20, 0
	s_and_b32 vcc_lo, exec_lo, s0
	v_lshlrev_b64 v[12:13], 3, v[12:13]
	global_store_b64 v[23:24], v[21:22], off
	s_cbranch_vccnz .LBB147_75
; %bb.74:
	v_add_co_u32 v19, vcc_lo, v72, v12
	v_add_co_ci_u32_e32 v20, vcc_lo, v73, v13, vcc_lo
	flat_load_b64 v[19:20], v[19:20]
	s_waitcnt vmcnt(0) lgkmcnt(0)
	v_mul_f64 v[19:20], s[10:11], v[19:20]
.LBB147_75:
	scratch_load_b64 v[21:22], off, off offset:56
	s_waitcnt vmcnt(1)
	v_add_f64 v[19:20], v[14:15], v[19:20]
	v_add_nc_u32_e32 v14, 28, v16
	v_add_co_u32 v23, vcc_lo, v74, v12
	v_add_co_ci_u32_e32 v24, vcc_lo, v75, v13, vcc_lo
	s_delay_alu instid0(VALU_DEP_3) | instskip(SKIP_1) | instid1(VALU_DEP_1)
	v_ashrrev_i32_e32 v15, 31, v14
	s_and_b32 vcc_lo, exec_lo, s0
	v_lshlrev_b64 v[14:15], 3, v[14:15]
	global_store_b64 v[23:24], v[19:20], off
	s_cbranch_vccnz .LBB147_77
; %bb.76:
	v_add_co_u32 v17, vcc_lo, v72, v14
	v_add_co_ci_u32_e32 v18, vcc_lo, v73, v15, vcc_lo
	flat_load_b64 v[17:18], v[17:18]
	s_waitcnt vmcnt(0) lgkmcnt(0)
	v_mul_f64 v[17:18], s[10:11], v[17:18]
.LBB147_77:
	scratch_load_b64 v[19:20], off, off offset:64
	s_waitcnt vmcnt(1)
	v_add_f64 v[25:26], v[21:22], v[17:18]
	v_add_nc_u32_e32 v17, 32, v16
	v_mov_b32_e32 v21, 0
	v_mov_b32_e32 v22, 0
	v_add_co_u32 v27, vcc_lo, v74, v14
	s_delay_alu instid0(VALU_DEP_4) | instskip(SKIP_3) | instid1(VALU_DEP_4)
	v_ashrrev_i32_e32 v18, 31, v17
	v_mov_b32_e32 v23, 0
	v_mov_b32_e32 v24, 0
	v_add_co_ci_u32_e32 v28, vcc_lo, v75, v15, vcc_lo
	v_lshlrev_b64 v[17:18], 3, v[17:18]
	s_and_b32 vcc_lo, exec_lo, s0
	global_store_b64 v[27:28], v[25:26], off
	s_cbranch_vccnz .LBB147_79
; %bb.78:
	v_add_co_u32 v23, vcc_lo, v72, v17
	v_add_co_ci_u32_e32 v24, vcc_lo, v73, v18, vcc_lo
	flat_load_b64 v[23:24], v[23:24]
	s_waitcnt vmcnt(0) lgkmcnt(0)
	v_mul_f64 v[23:24], s[10:11], v[23:24]
.LBB147_79:
	scratch_load_b64 v[25:26], off, off offset:72
	s_waitcnt vmcnt(1)
	v_add_f64 v[23:24], v[19:20], v[23:24]
	v_add_nc_u32_e32 v19, 36, v16
	v_add_co_u32 v27, vcc_lo, v74, v17
	v_add_co_ci_u32_e32 v28, vcc_lo, v75, v18, vcc_lo
	s_delay_alu instid0(VALU_DEP_3) | instskip(SKIP_1) | instid1(VALU_DEP_1)
	v_ashrrev_i32_e32 v20, 31, v19
	s_and_b32 vcc_lo, exec_lo, s0
	v_lshlrev_b64 v[19:20], 3, v[19:20]
	global_store_b64 v[27:28], v[23:24], off
	s_cbranch_vccnz .LBB147_81
; %bb.80:
	v_add_co_u32 v21, vcc_lo, v72, v19
	v_add_co_ci_u32_e32 v22, vcc_lo, v73, v20, vcc_lo
	flat_load_b64 v[21:22], v[21:22]
	s_waitcnt vmcnt(0) lgkmcnt(0)
	v_mul_f64 v[21:22], s[10:11], v[21:22]
.LBB147_81:
	scratch_load_b64 v[23:24], off, off offset:80
	s_waitcnt vmcnt(1)
	v_add_f64 v[29:30], v[25:26], v[21:22]
	v_add_nc_u32_e32 v21, 40, v16
	v_mov_b32_e32 v25, 0
	v_mov_b32_e32 v26, 0
	v_add_co_u32 v31, vcc_lo, v74, v19
	s_delay_alu instid0(VALU_DEP_4) | instskip(SKIP_3) | instid1(VALU_DEP_4)
	v_ashrrev_i32_e32 v22, 31, v21
	v_mov_b32_e32 v27, 0
	v_mov_b32_e32 v28, 0
	v_add_co_ci_u32_e32 v32, vcc_lo, v75, v20, vcc_lo
	v_lshlrev_b64 v[21:22], 3, v[21:22]
	s_and_b32 vcc_lo, exec_lo, s0
	;; [unrolled: 42-line block ×12, first 2 shown]
	global_store_b64 v[76:77], v[67:68], off
	s_cbranch_vccnz .LBB147_123
; %bb.122:
	v_add_co_u32 v67, vcc_lo, v72, v61
	v_add_co_ci_u32_e32 v68, vcc_lo, v73, v62, vcc_lo
	flat_load_b64 v[67:68], v[67:68]
	s_waitcnt vmcnt(0) lgkmcnt(0)
	v_mul_f64 v[69:70], s[10:11], v[67:68]
.LBB147_123:
	scratch_load_b64 v[67:68], off, off offset:248
	s_waitcnt vmcnt(1)
	v_add_f64 v[69:70], v[63:64], v[69:70]
	v_add_nc_u32_e32 v63, 0x7c, v16
	v_add_co_u32 v76, vcc_lo, v74, v61
	v_add_co_ci_u32_e32 v77, vcc_lo, v75, v62, vcc_lo
	s_delay_alu instid0(VALU_DEP_3) | instskip(SKIP_1) | instid1(VALU_DEP_1)
	v_ashrrev_i32_e32 v64, 31, v63
	s_and_b32 vcc_lo, exec_lo, s0
	v_lshlrev_b64 v[63:64], 3, v[63:64]
	global_store_b64 v[76:77], v[69:70], off
	s_cbranch_vccnz .LBB147_125
; %bb.124:
	v_add_co_u32 v65, vcc_lo, v72, v63
	v_add_co_ci_u32_e32 v66, vcc_lo, v73, v64, vcc_lo
	flat_load_b64 v[65:66], v[65:66]
	s_waitcnt vmcnt(0) lgkmcnt(0)
	v_mul_f64 v[65:66], s[10:11], v[65:66]
.LBB147_125:
	scratch_load_b64 v[69:70], off, off offset:256
	s_waitcnt vmcnt(1)
	v_add_f64 v[67:68], v[67:68], v[65:66]
	v_add_nc_u32_e32 v76, 64, v71
	v_add_co_u32 v74, vcc_lo, v74, v63
	v_add_co_ci_u32_e32 v75, vcc_lo, v75, v64, vcc_lo
	s_delay_alu instid0(VALU_DEP_3) | instskip(SKIP_2) | instid1(VALU_DEP_3)
	v_mad_i64_i32 v[65:66], null, v76, s3, 0
	v_mov_b32_e32 v71, 0
	v_mov_b32_e32 v72, 0
	v_lshlrev_b64 v[77:78], 3, v[65:66]
	v_mov_b32_e32 v65, 0
	v_mov_b32_e32 v66, 0
	s_delay_alu instid0(VALU_DEP_3) | instskip(NEXT) | instid1(VALU_DEP_4)
	v_add_co_u32 v16, vcc_lo, s8, v77
	v_add_co_ci_u32_e32 v73, vcc_lo, s9, v78, vcc_lo
	s_mov_b32 vcc_lo, s2
	global_store_b64 v[74:75], v[67:68], off
	s_cbranch_vccz .LBB147_127
; %bb.126:
	v_add_co_u32 v67, vcc_lo, v16, v0
	v_add_co_ci_u32_e32 v68, vcc_lo, v73, v1, vcc_lo
	flat_load_b64 v[67:68], v[67:68]
	s_waitcnt vmcnt(0) lgkmcnt(0)
	v_mul_f64 v[71:72], s[10:11], v[67:68]
.LBB147_127:
	scratch_load_b64 v[67:68], off, off offset:264
	s_waitcnt vmcnt(1)
	v_add_f64 v[69:70], v[69:70], v[71:72]
	v_mad_i64_i32 v[71:72], null, v76, s6, 0
	s_delay_alu instid0(VALU_DEP_1) | instskip(NEXT) | instid1(VALU_DEP_1)
	v_lshlrev_b64 v[71:72], 3, v[71:72]
	v_add_co_u32 v71, vcc_lo, s1, v71
	s_delay_alu instid0(VALU_DEP_2) | instskip(NEXT) | instid1(VALU_DEP_2)
	v_add_co_ci_u32_e32 v72, vcc_lo, s4, v72, vcc_lo
	v_add_co_u32 v0, vcc_lo, v71, v0
	s_delay_alu instid0(VALU_DEP_2)
	v_add_co_ci_u32_e32 v1, vcc_lo, v72, v1, vcc_lo
	s_and_b32 vcc_lo, exec_lo, s0
	global_store_b64 v[0:1], v[69:70], off
	s_cbranch_vccnz .LBB147_129
; %bb.128:
	v_add_co_u32 v0, vcc_lo, v16, v2
	v_add_co_ci_u32_e32 v1, vcc_lo, v73, v3, vcc_lo
	flat_load_b64 v[0:1], v[0:1]
	s_waitcnt vmcnt(0) lgkmcnt(0)
	v_mul_f64 v[65:66], s[10:11], v[0:1]
.LBB147_129:
	scratch_load_b64 v[69:70], off, off offset:272
	s_waitcnt vmcnt(1)
	v_add_f64 v[65:66], v[67:68], v[65:66]
	v_add_co_u32 v67, vcc_lo, v71, v2
	v_mov_b32_e32 v0, 0
	v_add_co_ci_u32_e32 v68, vcc_lo, v72, v3, vcc_lo
	v_dual_mov_b32 v1, 0 :: v_dual_mov_b32 v2, 0
	v_mov_b32_e32 v3, 0
	s_and_b32 vcc_lo, exec_lo, s0
	global_store_b64 v[67:68], v[65:66], off
	s_cbranch_vccnz .LBB147_131
; %bb.130:
	v_add_co_u32 v2, vcc_lo, v16, v4
	v_add_co_ci_u32_e32 v3, vcc_lo, v73, v5, vcc_lo
	flat_load_b64 v[2:3], v[2:3]
	s_waitcnt vmcnt(0) lgkmcnt(0)
	v_mul_f64 v[2:3], s[10:11], v[2:3]
.LBB147_131:
	scratch_load_b64 v[65:66], off, off offset:280
	s_waitcnt vmcnt(1)
	v_add_f64 v[2:3], v[69:70], v[2:3]
	v_add_co_u32 v4, vcc_lo, v71, v4
	v_add_co_ci_u32_e32 v5, vcc_lo, v72, v5, vcc_lo
	s_and_b32 vcc_lo, exec_lo, s0
	global_store_b64 v[4:5], v[2:3], off
	s_cbranch_vccnz .LBB147_133
; %bb.132:
	v_add_co_u32 v0, vcc_lo, v16, v6
	v_add_co_ci_u32_e32 v1, vcc_lo, v73, v7, vcc_lo
	flat_load_b64 v[0:1], v[0:1]
	s_waitcnt vmcnt(0) lgkmcnt(0)
	v_mul_f64 v[0:1], s[10:11], v[0:1]
.LBB147_133:
	scratch_load_b64 v[2:3], off, off offset:288
	s_waitcnt vmcnt(1)
	v_add_f64 v[4:5], v[65:66], v[0:1]
	v_add_co_u32 v65, vcc_lo, v71, v6
	v_mov_b32_e32 v0, 0
	v_add_co_ci_u32_e32 v66, vcc_lo, v72, v7, vcc_lo
	v_dual_mov_b32 v1, 0 :: v_dual_mov_b32 v6, 0
	v_mov_b32_e32 v7, 0
	s_and_b32 vcc_lo, exec_lo, s0
	global_store_b64 v[65:66], v[4:5], off
	s_cbranch_vccnz .LBB147_135
; %bb.134:
	v_add_co_u32 v4, vcc_lo, v16, v8
	v_add_co_ci_u32_e32 v5, vcc_lo, v73, v9, vcc_lo
	flat_load_b64 v[4:5], v[4:5]
	s_waitcnt vmcnt(0) lgkmcnt(0)
	v_mul_f64 v[6:7], s[10:11], v[4:5]
.LBB147_135:
	scratch_load_b64 v[4:5], off, off offset:296
	s_waitcnt vmcnt(1)
	v_add_f64 v[2:3], v[2:3], v[6:7]
	v_add_co_u32 v6, vcc_lo, v71, v8
	v_add_co_ci_u32_e32 v7, vcc_lo, v72, v9, vcc_lo
	s_and_b32 vcc_lo, exec_lo, s0
	global_store_b64 v[6:7], v[2:3], off
	s_cbranch_vccnz .LBB147_137
; %bb.136:
	v_add_co_u32 v0, vcc_lo, v16, v10
	v_add_co_ci_u32_e32 v1, vcc_lo, v73, v11, vcc_lo
	flat_load_b64 v[0:1], v[0:1]
	s_waitcnt vmcnt(0) lgkmcnt(0)
	v_mul_f64 v[0:1], s[10:11], v[0:1]
.LBB147_137:
	scratch_load_b64 v[2:3], off, off offset:304
	s_waitcnt vmcnt(1)
	v_add_f64 v[4:5], v[4:5], v[0:1]
	v_add_co_u32 v8, vcc_lo, v71, v10
	v_mov_b32_e32 v0, 0
	v_dual_mov_b32 v1, 0 :: v_dual_mov_b32 v6, 0
	v_add_co_ci_u32_e32 v9, vcc_lo, v72, v11, vcc_lo
	v_mov_b32_e32 v7, 0
	s_and_b32 vcc_lo, exec_lo, s0
	global_store_b64 v[8:9], v[4:5], off
	s_cbranch_vccnz .LBB147_139
; %bb.138:
	v_add_co_u32 v4, vcc_lo, v16, v12
	v_add_co_ci_u32_e32 v5, vcc_lo, v73, v13, vcc_lo
	flat_load_b64 v[4:5], v[4:5]
	s_waitcnt vmcnt(0) lgkmcnt(0)
	v_mul_f64 v[6:7], s[10:11], v[4:5]
.LBB147_139:
	scratch_load_b64 v[4:5], off, off offset:312
	s_waitcnt vmcnt(1)
	v_add_f64 v[2:3], v[2:3], v[6:7]
	v_add_co_u32 v6, vcc_lo, v71, v12
	v_add_co_ci_u32_e32 v7, vcc_lo, v72, v13, vcc_lo
	s_and_b32 vcc_lo, exec_lo, s0
	global_store_b64 v[6:7], v[2:3], off
	s_cbranch_vccnz .LBB147_141
; %bb.140:
	v_add_co_u32 v0, vcc_lo, v16, v14
	v_add_co_ci_u32_e32 v1, vcc_lo, v73, v15, vcc_lo
	flat_load_b64 v[0:1], v[0:1]
	s_waitcnt vmcnt(0) lgkmcnt(0)
	v_mul_f64 v[0:1], s[10:11], v[0:1]
.LBB147_141:
	scratch_load_b64 v[2:3], off, off offset:320
	s_waitcnt vmcnt(1)
	v_add_f64 v[4:5], v[4:5], v[0:1]
	v_add_co_u32 v8, vcc_lo, v71, v14
	v_mov_b32_e32 v0, 0
	v_dual_mov_b32 v1, 0 :: v_dual_mov_b32 v6, 0
	v_add_co_ci_u32_e32 v9, vcc_lo, v72, v15, vcc_lo
	;; [unrolled: 33-line block ×13, first 2 shown]
	v_mov_b32_e32 v7, 0
	s_and_b32 vcc_lo, exec_lo, s0
	global_store_b64 v[8:9], v[4:5], off
	s_cbranch_vccnz .LBB147_187
; %bb.186:
	v_add_co_u32 v4, vcc_lo, v16, v61
	v_add_co_ci_u32_e32 v5, vcc_lo, v73, v62, vcc_lo
	flat_load_b64 v[4:5], v[4:5]
	s_waitcnt vmcnt(0) lgkmcnt(0)
	v_mul_f64 v[6:7], s[10:11], v[4:5]
.LBB147_187:
	scratch_load_b64 v[4:5], off, off offset:504
	s_waitcnt vmcnt(1)
	v_add_f64 v[2:3], v[2:3], v[6:7]
	v_add_co_u32 v6, vcc_lo, v71, v61
	v_add_co_ci_u32_e32 v7, vcc_lo, v72, v62, vcc_lo
	s_and_b32 vcc_lo, exec_lo, s0
	global_store_b64 v[6:7], v[2:3], off
	s_cbranch_vccnz .LBB147_189
; %bb.188:
	v_add_co_u32 v0, vcc_lo, v16, v63
	v_add_co_ci_u32_e32 v1, vcc_lo, v73, v64, vcc_lo
	flat_load_b64 v[0:1], v[0:1]
	s_waitcnt vmcnt(0) lgkmcnt(0)
	v_mul_f64 v[0:1], s[10:11], v[0:1]
.LBB147_189:
	s_waitcnt vmcnt(0)
	s_delay_alu instid0(VALU_DEP_1)
	v_add_f64 v[0:1], v[4:5], v[0:1]
	v_add_co_u32 v2, vcc_lo, v71, v63
	v_add_co_ci_u32_e32 v3, vcc_lo, v72, v64, vcc_lo
	global_store_b64 v[2:3], v[0:1], off
	s_endpgm
	.section	.rodata,"a",@progbits
	.p2align	6, 0x0
	.amdhsa_kernel _ZN12_GLOBAL__N_120geam_min_plus_kernelIdddLi4ELi64ELi128ELi128ELi4ELi4ELi64ELi64ELi4ELc84ELc84ELb0ELb0ELb0EPKdKS2_KPdEEviiiT16_PT17_ilS8_ilS6_S8_ilPT18_ili26rocblas_geam_ex_operation_
		.amdhsa_group_segment_fixed_size 16384
		.amdhsa_private_segment_fixed_size 528
		.amdhsa_kernarg_size 136
		.amdhsa_user_sgpr_count 14
		.amdhsa_user_sgpr_dispatch_ptr 0
		.amdhsa_user_sgpr_queue_ptr 0
		.amdhsa_user_sgpr_kernarg_segment_ptr 1
		.amdhsa_user_sgpr_dispatch_id 0
		.amdhsa_user_sgpr_private_segment_size 0
		.amdhsa_wavefront_size32 1
		.amdhsa_uses_dynamic_stack 0
		.amdhsa_enable_private_segment 1
		.amdhsa_system_sgpr_workgroup_id_x 1
		.amdhsa_system_sgpr_workgroup_id_y 0
		.amdhsa_system_sgpr_workgroup_id_z 1
		.amdhsa_system_sgpr_workgroup_info 0
		.amdhsa_system_vgpr_workitem_id 1
		.amdhsa_next_free_vgpr 253
		.amdhsa_next_free_sgpr 27
		.amdhsa_reserve_vcc 1
		.amdhsa_float_round_mode_32 0
		.amdhsa_float_round_mode_16_64 0
		.amdhsa_float_denorm_mode_32 3
		.amdhsa_float_denorm_mode_16_64 3
		.amdhsa_dx10_clamp 1
		.amdhsa_ieee_mode 1
		.amdhsa_fp16_overflow 0
		.amdhsa_workgroup_processor_mode 1
		.amdhsa_memory_ordered 1
		.amdhsa_forward_progress 0
		.amdhsa_shared_vgpr_count 0
		.amdhsa_exception_fp_ieee_invalid_op 0
		.amdhsa_exception_fp_denorm_src 0
		.amdhsa_exception_fp_ieee_div_zero 0
		.amdhsa_exception_fp_ieee_overflow 0
		.amdhsa_exception_fp_ieee_underflow 0
		.amdhsa_exception_fp_ieee_inexact 0
		.amdhsa_exception_int_div_zero 0
	.end_amdhsa_kernel
	.section	.text._ZN12_GLOBAL__N_120geam_min_plus_kernelIdddLi4ELi64ELi128ELi128ELi4ELi4ELi64ELi64ELi4ELc84ELc84ELb0ELb0ELb0EPKdKS2_KPdEEviiiT16_PT17_ilS8_ilS6_S8_ilPT18_ili26rocblas_geam_ex_operation_,"axG",@progbits,_ZN12_GLOBAL__N_120geam_min_plus_kernelIdddLi4ELi64ELi128ELi128ELi4ELi4ELi64ELi64ELi4ELc84ELc84ELb0ELb0ELb0EPKdKS2_KPdEEviiiT16_PT17_ilS8_ilS6_S8_ilPT18_ili26rocblas_geam_ex_operation_,comdat
.Lfunc_end147:
	.size	_ZN12_GLOBAL__N_120geam_min_plus_kernelIdddLi4ELi64ELi128ELi128ELi4ELi4ELi64ELi64ELi4ELc84ELc84ELb0ELb0ELb0EPKdKS2_KPdEEviiiT16_PT17_ilS8_ilS6_S8_ilPT18_ili26rocblas_geam_ex_operation_, .Lfunc_end147-_ZN12_GLOBAL__N_120geam_min_plus_kernelIdddLi4ELi64ELi128ELi128ELi4ELi4ELi64ELi64ELi4ELc84ELc84ELb0ELb0ELb0EPKdKS2_KPdEEviiiT16_PT17_ilS8_ilS6_S8_ilPT18_ili26rocblas_geam_ex_operation_
                                        ; -- End function
	.section	.AMDGPU.csdata,"",@progbits
; Kernel info:
; codeLenInByte = 43604
; NumSgprs: 29
; NumVgprs: 253
; ScratchSize: 528
; MemoryBound: 1
; FloatMode: 240
; IeeeMode: 1
; LDSByteSize: 16384 bytes/workgroup (compile time only)
; SGPRBlocks: 3
; VGPRBlocks: 31
; NumSGPRsForWavesPerEU: 29
; NumVGPRsForWavesPerEU: 253
; Occupancy: 5
; WaveLimiterHint : 1
; COMPUTE_PGM_RSRC2:SCRATCH_EN: 1
; COMPUTE_PGM_RSRC2:USER_SGPR: 14
; COMPUTE_PGM_RSRC2:TRAP_HANDLER: 0
; COMPUTE_PGM_RSRC2:TGID_X_EN: 1
; COMPUTE_PGM_RSRC2:TGID_Y_EN: 0
; COMPUTE_PGM_RSRC2:TGID_Z_EN: 1
; COMPUTE_PGM_RSRC2:TIDIG_COMP_CNT: 1
	.section	.text._ZN12_GLOBAL__N_120geam_min_plus_kernelIdddLi4ELi64ELi128ELi128ELi4ELi4ELi64ELi64ELi4ELc84ELc84ELb1ELb0ELb0EdKPKdKPdEEviiiT16_PT17_ilS8_ilS6_S8_ilPT18_ili26rocblas_geam_ex_operation_,"axG",@progbits,_ZN12_GLOBAL__N_120geam_min_plus_kernelIdddLi4ELi64ELi128ELi128ELi4ELi4ELi64ELi64ELi4ELc84ELc84ELb1ELb0ELb0EdKPKdKPdEEviiiT16_PT17_ilS8_ilS6_S8_ilPT18_ili26rocblas_geam_ex_operation_,comdat
	.globl	_ZN12_GLOBAL__N_120geam_min_plus_kernelIdddLi4ELi64ELi128ELi128ELi4ELi4ELi64ELi64ELi4ELc84ELc84ELb1ELb0ELb0EdKPKdKPdEEviiiT16_PT17_ilS8_ilS6_S8_ilPT18_ili26rocblas_geam_ex_operation_ ; -- Begin function _ZN12_GLOBAL__N_120geam_min_plus_kernelIdddLi4ELi64ELi128ELi128ELi4ELi4ELi64ELi64ELi4ELc84ELc84ELb1ELb0ELb0EdKPKdKPdEEviiiT16_PT17_ilS8_ilS6_S8_ilPT18_ili26rocblas_geam_ex_operation_
	.p2align	8
	.type	_ZN12_GLOBAL__N_120geam_min_plus_kernelIdddLi4ELi64ELi128ELi128ELi4ELi4ELi64ELi64ELi4ELc84ELc84ELb1ELb0ELb0EdKPKdKPdEEviiiT16_PT17_ilS8_ilS6_S8_ilPT18_ili26rocblas_geam_ex_operation_,@function
_ZN12_GLOBAL__N_120geam_min_plus_kernelIdddLi4ELi64ELi128ELi128ELi4ELi4ELi64ELi64ELi4ELc84ELc84ELb1ELb0ELb0EdKPKdKPdEEviiiT16_PT17_ilS8_ilS6_S8_ilPT18_ili26rocblas_geam_ex_operation_: ; @_ZN12_GLOBAL__N_120geam_min_plus_kernelIdddLi4ELi64ELi128ELi128ELi4ELi4ELi64ELi64ELi4ELc84ELc84ELb1ELb0ELb0EdKPKdKPdEEviiiT16_PT17_ilS8_ilS6_S8_ilPT18_ili26rocblas_geam_ex_operation_
; %bb.0:
	s_clause 0x1
	s_load_b128 s[4:7], s[0:1], 0x10
	s_load_b128 s[8:11], s[0:1], 0x28
	s_mov_b32 s18, s15
	s_mov_b64 s[2:3], 0
	s_waitcnt lgkmcnt(0)
	v_cmp_eq_f64_e64 s12, s[4:5], 0
	s_delay_alu instid0(VALU_DEP_1)
	s_and_b32 vcc_lo, exec_lo, s12
	s_cbranch_vccnz .LBB148_2
; %bb.1:
	s_mov_b32 s19, 0
	s_delay_alu instid0(SALU_CYCLE_1) | instskip(NEXT) | instid1(SALU_CYCLE_1)
	s_lshl_b64 s[2:3], s[18:19], 3
	s_add_u32 s2, s6, s2
	s_addc_u32 s3, s7, s3
	s_lshl_b64 s[4:5], s[8:9], 3
	s_load_b64 s[2:3], s[2:3], 0x0
	s_waitcnt lgkmcnt(0)
	s_add_u32 s2, s2, s4
	s_addc_u32 s3, s3, s5
.LBB148_2:
	s_clause 0x1
	s_load_b128 s[4:7], s[0:1], 0x40
	s_load_b64 s[20:21], s[0:1], 0x50
	s_and_not1_b32 vcc_lo, exec_lo, s12
	s_cbranch_vccnz .LBB148_4
; %bb.3:
	s_mov_b32 s19, 0
	s_mov_b64 s[12:13], 0
	s_cbranch_execz .LBB148_5
	s_branch .LBB148_6
.LBB148_4:
	s_mov_b32 s19, -1
                                        ; implicit-def: $sgpr12_sgpr13
.LBB148_5:
	s_mov_b32 s19, 0
	s_delay_alu instid0(SALU_CYCLE_1) | instskip(NEXT) | instid1(SALU_CYCLE_1)
	s_lshl_b64 s[8:9], s[18:19], 3
	s_add_u32 s8, s10, s8
	s_addc_u32 s9, s11, s9
	s_waitcnt lgkmcnt(0)
	s_lshl_b64 s[4:5], s[4:5], 3
	s_load_b64 s[8:9], s[8:9], 0x0
	s_waitcnt lgkmcnt(0)
	s_add_u32 s12, s8, s4
	s_addc_u32 s13, s9, s5
.LBB148_6:
	s_waitcnt lgkmcnt(0)
	v_cmp_eq_f64_e64 s4, s[6:7], 0
	s_load_b128 s[8:11], s[0:1], 0x60
	s_mov_b64 s[16:17], 0
	s_delay_alu instid0(VALU_DEP_1)
	s_and_b32 vcc_lo, exec_lo, s4
	s_mov_b64 s[4:5], 0
	s_cbranch_vccnz .LBB148_8
; %bb.7:
	s_lshl_b64 s[4:5], s[18:19], 3
	s_delay_alu instid0(SALU_CYCLE_1)
	s_add_u32 s4, s20, s4
	s_addc_u32 s5, s21, s5
	s_waitcnt lgkmcnt(0)
	s_lshl_b64 s[8:9], s[8:9], 3
	s_load_b64 s[4:5], s[4:5], 0x0
	s_waitcnt lgkmcnt(0)
	s_add_u32 s4, s4, s8
	s_addc_u32 s5, s5, s9
.LBB148_8:
	s_clause 0x2
	s_load_b32 s20, s[0:1], 0x38
	s_load_b32 s17, s[0:1], 0x20
	;; [unrolled: 1-line block ×3, first 2 shown]
	s_waitcnt lgkmcnt(0)
	s_mov_b32 s8, 0
	v_bfe_u32 v87, v0, 10, 10
	s_mov_b32 s9, s8
	v_and_b32_e32 v86, 0x3ff, v0
	v_dual_mov_b32 v0, s8 :: v_dual_mov_b32 v1, s9
	s_lshl_b64 s[8:9], s[18:19], 3
	v_mov_b32_e32 v83, 0
	s_delay_alu instid0(VALU_DEP_3) | instskip(SKIP_3) | instid1(VALU_DEP_4)
	v_lshl_add_u32 v2, v87, 2, v86
	v_and_b32_e32 v88, 3, v86
	v_dual_mov_b32 v84, 8 :: v_dual_mov_b32 v97, 32
	v_dual_mov_b32 v107, 0x70 :: v_dual_lshlrev_b32 v92, 5, v86
	v_lshrrev_b32_e32 v14, 2, v2
	v_lshrrev_b32_e32 v89, 6, v2
	v_and_b32_e32 v15, 63, v2
	s_ashr_i32 s19, s20, 31
	s_add_u32 s8, s10, s8
	s_addc_u32 s9, s11, s9
	s_add_i32 s10, s15, -1
	v_lshlrev_b32_e32 v16, 3, v88
	s_ashr_i32 s11, s10, 31
	v_dual_mov_b32 v99, 48 :: v_dual_add_nc_u32 v90, 4, v89
	s_lshr_b32 s11, s11, 25
	v_mov_b32_e32 v105, 0x60
	s_add_i32 s10, s10, s11
	s_delay_alu instid0(VALU_DEP_2)
	v_mad_i64_i32 v[12:13], null, s20, v90, 0
	s_ashr_i32 s10, s10, 7
	v_lshl_or_b32 v93, v14, 5, v16
	s_add_i32 s11, s10, 1
	s_not_b32 s10, s10
	v_cvt_f32_u32_e32 v3, s11
	v_add_nc_u32_e32 v32, 0x800, v92
	s_delay_alu instid0(VALU_DEP_4) | instskip(SKIP_1) | instid1(VALU_DEP_4)
	v_lshlrev_b64 v[12:13], 3, v[12:13]
	v_dual_mov_b32 v102, 0x48 :: v_dual_lshlrev_b32 v91, 5, v87
	v_rcp_iflag_f32_e32 v3, v3
	v_dual_mov_b32 v98, 40 :: v_dual_mov_b32 v101, 64
	v_dual_mov_b32 v100, 56 :: v_dual_mov_b32 v103, 0x50
	v_mov_b32_e32 v104, 0x58
	v_mov_b32_e32 v106, 0x68
	;; [unrolled: 1-line block ×5, first 2 shown]
	s_delay_alu instid0(TRANS32_DEP_1)
	v_mul_f32_e32 v3, 0x4f7ffffe, v3
	s_clause 0xb
	scratch_store_b64 off, v[0:1], off
	scratch_store_b64 off, v[0:1], off offset:8
	scratch_store_b64 off, v[0:1], off offset:16
	;; [unrolled: 1-line block ×11, first 2 shown]
	v_cvt_u32_f32_e32 v3, v3
	s_clause 0xe
	scratch_store_b64 off, v[0:1], off offset:96
	scratch_store_b64 off, v[0:1], off offset:104
	;; [unrolled: 1-line block ×15, first 2 shown]
	v_readfirstlane_b32 s15, v3
	s_clause 0xd
	scratch_store_b64 off, v[0:1], off offset:216
	scratch_store_b64 off, v[0:1], off offset:224
	;; [unrolled: 1-line block ×14, first 2 shown]
	s_mul_i32 s10, s10, s15
	s_clause 0x2
	scratch_store_b64 off, v[0:1], off offset:328
	scratch_store_b64 off, v[0:1], off offset:336
	;; [unrolled: 1-line block ×3, first 2 shown]
	s_mul_hi_u32 s10, s15, s10
	s_clause 0x10
	scratch_store_b64 off, v[0:1], off offset:352
	scratch_store_b64 off, v[0:1], off offset:360
	;; [unrolled: 1-line block ×17, first 2 shown]
	s_add_i32 s15, s15, s10
	s_clause 0x1
	scratch_store_b64 off, v[0:1], off offset:488
	scratch_store_b64 off, v[0:1], off offset:496
	s_mul_hi_u32 s10, s14, s15
	scratch_store_b64 off, v[0:1], off offset:504
	s_mul_i32 s15, s10, s11
	s_add_i32 s18, s10, 1
	s_sub_i32 s15, s14, s15
	v_mov_b32_e32 v111, 0x90
	s_sub_i32 s21, s15, s11
	s_cmp_ge_u32 s15, s11
	v_mov_b32_e32 v112, 0x98
	s_cselect_b32 s10, s18, s10
	s_cselect_b32 s15, s21, s15
	s_add_i32 s18, s10, 1
	s_cmp_ge_u32 s15, s11
	v_mov_b32_e32 v85, 16
	s_cselect_b32 s10, s18, s10
	v_cmp_neq_f64_e64 s18, s[6:7], 0
	s_mul_i32 s11, s10, s11
	s_lshl_b32 s15, s10, 7
	s_sub_i32 s11, s14, s11
	v_or_b32_e32 v6, s15, v15
	s_lshl_b32 s14, s11, 7
	v_add_co_u32 v10, s10, s2, v16
	v_add_nc_u32_e32 v4, s14, v14
	v_add_co_ci_u32_e64 v11, null, s3, 0, s10
	v_dual_mov_b32 v96, 24 :: v_dual_mov_b32 v113, 0xa0
	s_delay_alu instid0(VALU_DEP_3)
	v_mad_i64_i32 v[2:3], null, v4, s17, 0
	v_add_nc_u32_e32 v7, 64, v4
	v_mad_i64_i32 v[4:5], null, s20, v89, 0
	v_mov_b32_e32 v114, 0xa8
	v_mov_b32_e32 v115, 0xb0
	;; [unrolled: 1-line block ×3, first 2 shown]
	v_lshlrev_b64 v[68:69], 3, v[2:3]
	v_mad_i64_i32 v[2:3], null, v7, s17, 0
	v_lshlrev_b64 v[4:5], 3, v[4:5]
	v_ashrrev_i32_e32 v7, 31, v6
	v_mov_b32_e32 v117, 0xc0
	v_add_co_u32 v8, vcc_lo, v10, v68
	v_add_co_ci_u32_e32 v9, vcc_lo, v11, v69, vcc_lo
	s_delay_alu instid0(VALU_DEP_4) | instskip(SKIP_3) | instid1(VALU_DEP_3)
	v_lshlrev_b64 v[72:73], 3, v[6:7]
	v_add_co_u32 v4, vcc_lo, s12, v4
	v_add_co_ci_u32_e32 v5, vcc_lo, s13, v5, vcc_lo
	v_lshlrev_b64 v[70:71], 3, v[2:3]
	v_add_co_u32 v2, vcc_lo, v4, v72
	s_delay_alu instid0(VALU_DEP_3) | instskip(SKIP_1) | instid1(VALU_DEP_4)
	v_add_co_ci_u32_e32 v3, vcc_lo, v5, v73, vcc_lo
	v_mov_b32_e32 v118, 0xc8
	v_add_co_u32 v4, vcc_lo, v10, v70
	v_add_co_ci_u32_e32 v5, vcc_lo, v11, v71, vcc_lo
	flat_load_b64 v[0:1], v[8:9]
	s_clause 0x1
	flat_load_b64 v[6:7], v[2:3]
	flat_load_b64 v[2:3], v[2:3] offset:512
	flat_load_b64 v[10:11], v[4:5]
	v_add_co_u32 v12, vcc_lo, s12, v12
	v_add_co_ci_u32_e32 v13, vcc_lo, s13, v13, vcc_lo
	v_mov_b32_e32 v119, 0xd0
	s_delay_alu instid0(VALU_DEP_3) | instskip(NEXT) | instid1(VALU_DEP_3)
	v_add_co_u32 v12, vcc_lo, v12, v72
	v_add_co_ci_u32_e32 v13, vcc_lo, v13, v73, vcc_lo
	flat_load_b64 v[74:75], v[4:5] offset:32
	s_clause 0x1
	flat_load_b64 v[76:77], v[12:13]
	flat_load_b64 v[78:79], v[12:13] offset:512
	flat_load_b64 v[80:81], v[8:9] offset:32
	v_lshlrev_b32_e32 v4, 5, v15
	s_load_b64 s[8:9], s[8:9], 0x0
	v_mov_b32_e32 v120, 0xd8
	v_mov_b32_e32 v121, 0xe0
	;; [unrolled: 1-line block ×3, first 2 shown]
	v_lshl_add_u32 v82, v89, 3, v4
	v_mov_b32_e32 v123, 0xf0
	v_mov_b32_e32 v124, 0xf8
	v_add_nc_u32_e32 v94, 0x2000, v91
	s_mov_b32 s10, -1
	v_or_b32_e32 v95, 0x2000, v82
	s_waitcnt vmcnt(5) lgkmcnt(0)
	ds_store_2addr_stride64_b64 v82, v[6:7], v[2:3] offset0:16 offset1:20
	s_waitcnt vmcnt(4)
	ds_store_2addr_stride64_b64 v93, v[0:1], v[10:11] offset1:4
	s_waitcnt vmcnt(0) lgkmcnt(0)
	s_waitcnt_vscnt null, 0x0
	s_barrier
	buffer_gl0_inv
	ds_load_2addr_b64 v[0:3], v92 offset1:16
	ds_load_2addr_b64 v[4:7], v32 offset1:16
	ds_load_2addr_b64 v[8:11], v32 offset0:32 offset1:48
	ds_load_2addr_b64 v[12:15], v32 offset0:64 offset1:80
	;; [unrolled: 1-line block ×14, first 2 shown]
	ds_load_2addr_stride64_b64 v[64:67], v91 offset0:16 offset1:20
.LBB148_9:                              ; =>This Inner Loop Header: Depth=1
	scratch_load_b64 v[125:126], v83, off
	scratch_load_b64 v[127:128], v84, off
	;; [unrolled: 1-line block ×32, first 2 shown]
	s_cmp_eq_u32 s16, 1
	s_waitcnt lgkmcnt(16)
	v_max_f64 v[191:192], v[0:1], v[0:1]
	s_cselect_b32 vcc_lo, -1, 0
	v_max_f64 v[193:194], v[2:3], v[2:3]
	s_waitcnt lgkmcnt(0)
	v_dual_cndmask_b32 v190, v65, v67 :: v_dual_cndmask_b32 v189, v64, v66
	v_max_f64 v[195:196], v[36:37], v[36:37]
	v_max_f64 v[197:198], v[38:39], v[38:39]
	;; [unrolled: 1-line block ×31, first 2 shown]
	s_mov_b64 s[16:17], 1
	s_and_b32 vcc_lo, exec_lo, s10
	s_mov_b32 s10, 0
	v_min_f64 v[191:192], v[191:192], v[189:190]
	v_min_f64 v[193:194], v[193:194], v[189:190]
	;; [unrolled: 1-line block ×32, first 2 shown]
	s_waitcnt vmcnt(31)
	v_add_f64 v[125:126], v[125:126], v[191:192]
	s_waitcnt vmcnt(30)
	v_add_f64 v[127:128], v[193:194], v[127:128]
	;; [unrolled: 2-line block ×32, first 2 shown]
	scratch_store_b64 v83, v[125:126], off
	scratch_store_b64 v84, v[127:128], off
	;; [unrolled: 1-line block ×32, first 2 shown]
	v_mov_b32_e32 v83, 0x100
	v_mov_b32_e32 v84, 0x108
	;; [unrolled: 1-line block ×32, first 2 shown]
	s_cbranch_vccnz .LBB148_9
; %bb.10:
	v_dual_mov_b32 v83, 0 :: v_dual_add_nc_u32 v60, 0x800, v92
	ds_load_2addr_b64 v[0:3], v92 offset0:1 offset1:17
	ds_load_2addr_b64 v[4:7], v92 offset0:33 offset1:49
	ds_load_2addr_b64 v[8:11], v92 offset0:65 offset1:81
	ds_load_2addr_b64 v[12:15], v92 offset0:97 offset1:113
	ds_load_2addr_b64 v[16:19], v92 offset0:129 offset1:145
	ds_load_2addr_b64 v[20:23], v92 offset0:161 offset1:177
	ds_load_2addr_b64 v[24:27], v92 offset0:193 offset1:209
	ds_load_2addr_b64 v[28:31], v92 offset0:225 offset1:241
	ds_load_2addr_b64 v[32:35], v60 offset0:1 offset1:17
	ds_load_2addr_b64 v[36:39], v60 offset0:33 offset1:49
	ds_load_2addr_b64 v[40:43], v60 offset0:65 offset1:81
	ds_load_2addr_b64 v[44:47], v60 offset0:97 offset1:113
	v_dual_mov_b32 v85, 16 :: v_dual_add_nc_u32 v64, 8, v94
	ds_load_2addr_b64 v[48:51], v60 offset0:129 offset1:145
	ds_load_2addr_b64 v[52:55], v60 offset0:161 offset1:177
	;; [unrolled: 1-line block ×4, first 2 shown]
	ds_load_2addr_stride64_b64 v[64:67], v64 offset1:4
	v_dual_mov_b32 v84, 8 :: v_dual_mov_b32 v97, 32
	v_dual_mov_b32 v96, 24 :: v_dual_mov_b32 v99, 48
	;; [unrolled: 1-line block ×4, first 2 shown]
	v_mov_b32_e32 v102, 0x48
	v_mov_b32_e32 v104, 0x58
	;; [unrolled: 1-line block ×22, first 2 shown]
	s_mov_b64 s[10:11], 0
	s_mov_b32 s16, -1
.LBB148_11:                             ; =>This Inner Loop Header: Depth=1
	scratch_load_b64 v[125:126], v83, off
	scratch_load_b64 v[127:128], v84, off
	;; [unrolled: 1-line block ×32, first 2 shown]
	s_cmp_eq_u32 s10, 1
	s_waitcnt lgkmcnt(16)
	v_max_f64 v[191:192], v[0:1], v[0:1]
	s_cselect_b32 vcc_lo, -1, 0
	v_max_f64 v[193:194], v[2:3], v[2:3]
	s_waitcnt lgkmcnt(0)
	v_dual_cndmask_b32 v190, v65, v67 :: v_dual_cndmask_b32 v189, v64, v66
	v_max_f64 v[195:196], v[4:5], v[4:5]
	v_max_f64 v[197:198], v[6:7], v[6:7]
	;; [unrolled: 1-line block ×31, first 2 shown]
	s_mov_b64 s[10:11], 1
	s_and_b32 vcc_lo, exec_lo, s16
	s_mov_b32 s16, 0
	v_min_f64 v[191:192], v[191:192], v[189:190]
	v_min_f64 v[193:194], v[193:194], v[189:190]
	;; [unrolled: 1-line block ×32, first 2 shown]
	s_waitcnt vmcnt(31)
	v_add_f64 v[125:126], v[125:126], v[191:192]
	s_waitcnt vmcnt(30)
	v_add_f64 v[127:128], v[193:194], v[127:128]
	;; [unrolled: 2-line block ×32, first 2 shown]
	scratch_store_b64 v83, v[125:126], off
	scratch_store_b64 v84, v[127:128], off
	;; [unrolled: 1-line block ×32, first 2 shown]
	v_mov_b32_e32 v83, 0x100
	v_mov_b32_e32 v84, 0x108
	v_mov_b32_e32 v85, 0x110
	v_mov_b32_e32 v96, 0x118
	v_mov_b32_e32 v97, 0x120
	v_mov_b32_e32 v98, 0x128
	v_mov_b32_e32 v99, 0x130
	v_mov_b32_e32 v100, 0x138
	v_mov_b32_e32 v101, 0x140
	v_mov_b32_e32 v102, 0x148
	v_mov_b32_e32 v103, 0x150
	v_mov_b32_e32 v104, 0x158
	v_mov_b32_e32 v105, 0x160
	v_mov_b32_e32 v106, 0x168
	v_mov_b32_e32 v107, 0x170
	v_mov_b32_e32 v108, 0x178
	v_mov_b32_e32 v109, 0x180
	v_mov_b32_e32 v110, 0x188
	v_mov_b32_e32 v111, 0x190
	v_mov_b32_e32 v112, 0x198
	v_mov_b32_e32 v113, 0x1a0
	v_mov_b32_e32 v114, 0x1a8
	v_mov_b32_e32 v115, 0x1b0
	v_mov_b32_e32 v116, 0x1b8
	v_mov_b32_e32 v117, 0x1c0
	v_mov_b32_e32 v118, 0x1c8
	v_mov_b32_e32 v119, 0x1d0
	v_mov_b32_e32 v120, 0x1d8
	v_mov_b32_e32 v121, 0x1e0
	v_mov_b32_e32 v122, 0x1e8
	v_mov_b32_e32 v123, 0x1f0
	v_mov_b32_e32 v124, 0x1f8
	s_cbranch_vccnz .LBB148_11
; %bb.12:
	v_dual_mov_b32 v83, 0 :: v_dual_add_nc_u32 v60, 0x800, v92
	ds_load_2addr_b64 v[0:3], v92 offset0:2 offset1:18
	ds_load_2addr_b64 v[4:7], v92 offset0:34 offset1:50
	;; [unrolled: 1-line block ×12, first 2 shown]
	v_dual_mov_b32 v85, 16 :: v_dual_add_nc_u32 v64, 16, v94
	ds_load_2addr_b64 v[48:51], v60 offset0:130 offset1:146
	ds_load_2addr_b64 v[52:55], v60 offset0:162 offset1:178
	;; [unrolled: 1-line block ×4, first 2 shown]
	ds_load_2addr_stride64_b64 v[64:67], v64 offset1:4
	v_dual_mov_b32 v84, 8 :: v_dual_mov_b32 v97, 32
	v_dual_mov_b32 v96, 24 :: v_dual_mov_b32 v99, 48
	;; [unrolled: 1-line block ×4, first 2 shown]
	v_mov_b32_e32 v102, 0x48
	v_mov_b32_e32 v104, 0x58
	;; [unrolled: 1-line block ×22, first 2 shown]
	s_mov_b64 s[10:11], 0
	s_mov_b32 s16, -1
.LBB148_13:                             ; =>This Inner Loop Header: Depth=1
	scratch_load_b64 v[125:126], v83, off
	scratch_load_b64 v[127:128], v84, off
	;; [unrolled: 1-line block ×32, first 2 shown]
	s_cmp_eq_u32 s10, 1
	s_waitcnt lgkmcnt(16)
	v_max_f64 v[191:192], v[0:1], v[0:1]
	s_cselect_b32 vcc_lo, -1, 0
	v_max_f64 v[193:194], v[2:3], v[2:3]
	s_waitcnt lgkmcnt(0)
	v_dual_cndmask_b32 v190, v65, v67 :: v_dual_cndmask_b32 v189, v64, v66
	v_max_f64 v[195:196], v[4:5], v[4:5]
	v_max_f64 v[197:198], v[6:7], v[6:7]
	;; [unrolled: 1-line block ×31, first 2 shown]
	s_mov_b64 s[10:11], 1
	s_and_b32 vcc_lo, exec_lo, s16
	s_mov_b32 s16, 0
	v_min_f64 v[191:192], v[191:192], v[189:190]
	v_min_f64 v[193:194], v[193:194], v[189:190]
	;; [unrolled: 1-line block ×32, first 2 shown]
	s_waitcnt vmcnt(31)
	v_add_f64 v[125:126], v[125:126], v[191:192]
	s_waitcnt vmcnt(30)
	v_add_f64 v[127:128], v[193:194], v[127:128]
	;; [unrolled: 2-line block ×32, first 2 shown]
	scratch_store_b64 v83, v[125:126], off
	scratch_store_b64 v84, v[127:128], off
	;; [unrolled: 1-line block ×32, first 2 shown]
	v_mov_b32_e32 v83, 0x100
	v_mov_b32_e32 v84, 0x108
	;; [unrolled: 1-line block ×32, first 2 shown]
	s_cbranch_vccnz .LBB148_13
; %bb.14:
	v_dual_mov_b32 v123, 8 :: v_dual_add_nc_u32 v60, 0x800, v92
	ds_load_2addr_b64 v[0:3], v92 offset0:3 offset1:19
	ds_load_2addr_b64 v[4:7], v92 offset0:35 offset1:51
	;; [unrolled: 1-line block ×12, first 2 shown]
	v_dual_mov_b32 v121, 24 :: v_dual_add_nc_u32 v64, 24, v94
	ds_load_2addr_b64 v[48:51], v60 offset0:131 offset1:147
	ds_load_2addr_b64 v[52:55], v60 offset0:163 offset1:179
	;; [unrolled: 1-line block ×4, first 2 shown]
	ds_load_2addr_stride64_b64 v[64:67], v64 offset1:4
	v_dual_mov_b32 v124, 0 :: v_dual_mov_b32 v119, 40
	v_dual_mov_b32 v122, 16 :: v_dual_mov_b32 v117, 56
	v_dual_mov_b32 v120, 32 :: v_dual_mov_b32 v115, 0x48
	v_dual_mov_b32 v118, 48 :: v_dual_mov_b32 v113, 0x58
	v_dual_mov_b32 v116, 64 :: v_dual_mov_b32 v111, 0x68
	v_mov_b32_e32 v114, 0x50
	v_mov_b32_e32 v112, 0x60
	;; [unrolled: 1-line block ×20, first 2 shown]
	s_mov_b64 s[10:11], 0
	s_mov_b32 s16, -1
.LBB148_15:                             ; =>This Inner Loop Header: Depth=1
	scratch_load_b64 v[129:130], v124, off
	s_cmp_eq_u32 s10, 1
	s_waitcnt lgkmcnt(16)
	v_max_f64 v[127:128], v[0:1], v[0:1]
	s_cselect_b32 vcc_lo, -1, 0
	s_mov_b64 s[10:11], 1
	s_waitcnt lgkmcnt(0)
	v_dual_cndmask_b32 v126, v65, v67 :: v_dual_cndmask_b32 v125, v64, v66
	s_and_b32 vcc_lo, exec_lo, s16
	s_mov_b32 s16, 0
	s_delay_alu instid0(VALU_DEP_1) | instskip(NEXT) | instid1(VALU_DEP_1)
	v_max_f64 v[125:126], v[125:126], v[125:126]
	v_min_f64 v[127:128], v[127:128], v[125:126]
	s_waitcnt vmcnt(0)
	s_delay_alu instid0(VALU_DEP_1) | instskip(SKIP_3) | instid1(VALU_DEP_1)
	v_add_f64 v[127:128], v[129:130], v[127:128]
	scratch_load_b64 v[129:130], v123, off
	scratch_store_b64 v124, v[127:128], off
	v_max_f64 v[127:128], v[2:3], v[2:3]
	v_min_f64 v[127:128], v[127:128], v[125:126]
	s_waitcnt vmcnt(0)
	s_delay_alu instid0(VALU_DEP_1) | instskip(SKIP_3) | instid1(VALU_DEP_1)
	v_add_f64 v[127:128], v[127:128], v[129:130]
	scratch_store_b64 v123, v[127:128], off
	scratch_load_b64 v[127:128], v122, off
	v_max_f64 v[123:124], v[4:5], v[4:5]
	v_min_f64 v[123:124], v[123:124], v[125:126]
	s_waitcnt vmcnt(0)
	s_delay_alu instid0(VALU_DEP_1) | instskip(SKIP_3) | instid1(VALU_DEP_1)
	v_add_f64 v[123:124], v[123:124], v[127:128]
	scratch_load_b64 v[127:128], v121, off
	scratch_store_b64 v122, v[123:124], off
	v_max_f64 v[122:123], v[6:7], v[6:7]
	v_min_f64 v[122:123], v[122:123], v[125:126]
	s_waitcnt vmcnt(0)
	s_delay_alu instid0(VALU_DEP_1) | instskip(SKIP_3) | instid1(VALU_DEP_1)
	v_add_f64 v[122:123], v[122:123], v[127:128]
	scratch_store_b64 v121, v[122:123], off
	scratch_load_b64 v[123:124], v120, off
	v_max_f64 v[121:122], v[8:9], v[8:9]
	v_min_f64 v[121:122], v[121:122], v[125:126]
	s_waitcnt vmcnt(0)
	s_delay_alu instid0(VALU_DEP_1) | instskip(SKIP_4) | instid1(VALU_DEP_1)
	v_add_f64 v[121:122], v[121:122], v[123:124]
	v_mov_b32_e32 v124, 0x100
	scratch_store_b64 v120, v[121:122], off
	scratch_load_b64 v[122:123], v119, off
	v_max_f64 v[120:121], v[10:11], v[10:11]
	v_min_f64 v[120:121], v[120:121], v[125:126]
	s_waitcnt vmcnt(0)
	s_delay_alu instid0(VALU_DEP_1) | instskip(SKIP_4) | instid1(VALU_DEP_1)
	v_add_f64 v[120:121], v[120:121], v[122:123]
	v_mov_b32_e32 v123, 0x108
	;; [unrolled: 8-line block ×25, first 2 shown]
	scratch_store_b64 v96, v[97:98], off
	scratch_load_b64 v[98:99], v85, off
	v_max_f64 v[96:97], v[58:59], v[58:59]
	v_min_f64 v[96:97], v[96:97], v[125:126]
	s_waitcnt vmcnt(0)
	s_delay_alu instid0(VALU_DEP_1) | instskip(SKIP_3) | instid1(VALU_DEP_1)
	v_add_f64 v[96:97], v[96:97], v[98:99]
	scratch_load_b64 v[98:99], v84, off
	scratch_store_b64 v85, v[96:97], off
	v_max_f64 v[96:97], v[60:61], v[60:61]
	v_min_f64 v[96:97], v[96:97], v[125:126]
	s_waitcnt vmcnt(0)
	s_delay_alu instid0(VALU_DEP_1)
	v_add_f64 v[96:97], v[96:97], v[98:99]
	v_mov_b32_e32 v99, 0x1c8
	v_mov_b32_e32 v98, 0x1d0
	scratch_store_b64 v84, v[96:97], off
	scratch_load_b64 v[96:97], v83, off
	v_max_f64 v[84:85], v[62:63], v[62:63]
	s_delay_alu instid0(VALU_DEP_1) | instskip(SKIP_1) | instid1(VALU_DEP_1)
	v_min_f64 v[84:85], v[84:85], v[125:126]
	s_waitcnt vmcnt(0)
	v_add_f64 v[84:85], v[84:85], v[96:97]
	v_mov_b32_e32 v97, 0x1d8
	v_mov_b32_e32 v96, 0x1e0
	scratch_store_b64 v83, v[84:85], off
	v_mov_b32_e32 v85, 0x1e8
	v_mov_b32_e32 v84, 0x1f0
	;; [unrolled: 1-line block ×3, first 2 shown]
	s_cbranch_vccnz .LBB148_15
; %bb.16:
	s_load_b32 s10, s[0:1], 0x8
	s_mov_b32 s16, 8
	ds_store_2addr_stride64_b64 v93, v[80:81], v[74:75] offset0:8 offset1:12
	ds_store_2addr_stride64_b64 v82, v[76:77], v[78:79] offset0:24 offset1:28
	s_waitcnt lgkmcnt(0)
	s_waitcnt_vscnt null, 0x0
	s_barrier
	buffer_gl0_inv
	s_cmp_gt_i32 s10, 8
	s_cbranch_scc0 .LBB148_35
; %bb.17:
	v_lshl_add_u32 v98, v86, 5, 0x1000
	v_add_co_u32 v100, vcc_lo, s12, v72
	v_add_nc_u32_e32 v96, 0x1000, v93
	v_or_b32_e32 v97, 0x3000, v82
	v_lshl_add_u32 v99, v87, 5, 0x3000
	v_add_co_ci_u32_e32 v101, vcc_lo, s13, v73, vcc_lo
	v_dual_mov_b32 v73, 0 :: v_dual_add_nc_u32 v102, 0x800, v98
	s_add_i32 s12, s10, -8
	s_mov_b32 s13, 0
.LBB148_18:                             ; =>This Loop Header: Depth=1
                                        ;     Child Loop BB148_19 Depth 2
                                        ;     Child Loop BB148_21 Depth 2
                                        ;     Child Loop BB148_23 Depth 2
                                        ;     Child Loop BB148_25 Depth 2
                                        ;     Child Loop BB148_27 Depth 2
                                        ;     Child Loop BB148_29 Depth 2
                                        ;     Child Loop BB148_31 Depth 2
                                        ;     Child Loop BB148_33 Depth 2
	v_add_nc_u32_e32 v6, s16, v89
	v_or_b32_e32 v72, s16, v88
	v_dual_mov_b32 v133, 0 :: v_dual_mov_b32 v132, 8
	v_dual_mov_b32 v131, 16 :: v_dual_mov_b32 v130, 24
	s_delay_alu instid0(VALU_DEP_4) | instskip(NEXT) | instid1(VALU_DEP_4)
	v_mad_u64_u32 v[0:1], null, v6, s20, 0
	v_lshlrev_b64 v[2:3], 3, v[72:73]
	v_dual_mov_b32 v129, 32 :: v_dual_mov_b32 v128, 40
	v_dual_mov_b32 v127, 48 :: v_dual_mov_b32 v126, 56
	;; [unrolled: 1-line block ×3, first 2 shown]
	s_delay_alu instid0(VALU_DEP_4) | instskip(SKIP_3) | instid1(VALU_DEP_3)
	v_mad_u64_u32 v[4:5], null, v6, s19, v[1:2]
	v_add_co_u32 v2, vcc_lo, s2, v2
	v_add_co_ci_u32_e32 v3, vcc_lo, s3, v3, vcc_lo
	v_mov_b32_e32 v123, 0x50
	v_add_co_u32 v74, vcc_lo, v2, v68
	v_mov_b32_e32 v1, v4
	s_delay_alu instid0(VALU_DEP_4) | instskip(SKIP_1) | instid1(VALU_DEP_3)
	v_add_co_ci_u32_e32 v75, vcc_lo, v3, v69, vcc_lo
	v_add_co_u32 v76, vcc_lo, v2, v70
	v_lshlrev_b64 v[0:1], 3, v[0:1]
	v_add_co_ci_u32_e32 v77, vcc_lo, v3, v71, vcc_lo
	v_mov_b32_e32 v122, 0x58
	v_mov_b32_e32 v121, 0x60
	;; [unrolled: 1-line block ×3, first 2 shown]
	v_add_co_u32 v0, vcc_lo, v100, v0
	v_add_co_ci_u32_e32 v1, vcc_lo, v101, v1, vcc_lo
	s_clause 0x1
	flat_load_b64 v[78:79], v[74:75]
	flat_load_b64 v[80:81], v[76:77]
	s_clause 0x1
	flat_load_b64 v[82:83], v[0:1]
	flat_load_b64 v[84:85], v[0:1] offset:512
	ds_load_2addr_b64 v[0:3], v98 offset1:16
	ds_load_2addr_b64 v[4:7], v98 offset0:32 offset1:48
	ds_load_2addr_b64 v[8:11], v98 offset0:64 offset1:80
	ds_load_2addr_b64 v[12:15], v98 offset0:96 offset1:112
	ds_load_2addr_b64 v[16:19], v98 offset0:128 offset1:144
	ds_load_2addr_b64 v[20:23], v98 offset0:160 offset1:176
	ds_load_2addr_b64 v[24:27], v98 offset0:192 offset1:208
	ds_load_2addr_b64 v[28:31], v98 offset0:224 offset1:240
	ds_load_2addr_b64 v[32:35], v102 offset1:16
	ds_load_2addr_b64 v[36:39], v102 offset0:32 offset1:48
	ds_load_2addr_b64 v[40:43], v102 offset0:64 offset1:80
	;; [unrolled: 1-line block ×7, first 2 shown]
	ds_load_2addr_stride64_b64 v[64:67], v99 offset1:4
	v_mov_b32_e32 v119, 0x70
	v_mov_b32_e32 v118, 0x78
	;; [unrolled: 1-line block ×18, first 2 shown]
	s_mov_b64 s[10:11], 0
	s_mov_b32 s17, -1
.LBB148_19:                             ;   Parent Loop BB148_18 Depth=1
                                        ; =>  This Inner Loop Header: Depth=2
	scratch_load_b64 v[138:139], v133, off
	s_cmp_eq_u32 s10, 1
	s_waitcnt lgkmcnt(16)
	v_max_f64 v[136:137], v[0:1], v[0:1]
	s_cselect_b32 vcc_lo, -1, 0
	s_mov_b64 s[10:11], 1
	s_waitcnt lgkmcnt(0)
	v_dual_cndmask_b32 v135, v65, v67 :: v_dual_cndmask_b32 v134, v64, v66
	s_and_b32 vcc_lo, exec_lo, s17
	s_mov_b32 s17, 0
	s_delay_alu instid0(VALU_DEP_1) | instskip(NEXT) | instid1(VALU_DEP_1)
	v_max_f64 v[134:135], v[134:135], v[134:135]
	v_min_f64 v[136:137], v[136:137], v[134:135]
	s_waitcnt vmcnt(0)
	s_delay_alu instid0(VALU_DEP_1) | instskip(SKIP_3) | instid1(VALU_DEP_1)
	v_add_f64 v[136:137], v[138:139], v[136:137]
	scratch_load_b64 v[138:139], v132, off
	scratch_store_b64 v133, v[136:137], off
	v_max_f64 v[136:137], v[2:3], v[2:3]
	v_min_f64 v[136:137], v[136:137], v[134:135]
	s_waitcnt vmcnt(0)
	s_delay_alu instid0(VALU_DEP_1) | instskip(SKIP_3) | instid1(VALU_DEP_1)
	v_add_f64 v[136:137], v[136:137], v[138:139]
	scratch_store_b64 v132, v[136:137], off
	scratch_load_b64 v[136:137], v131, off
	v_max_f64 v[132:133], v[4:5], v[4:5]
	v_min_f64 v[132:133], v[132:133], v[134:135]
	s_waitcnt vmcnt(0)
	s_delay_alu instid0(VALU_DEP_1) | instskip(SKIP_3) | instid1(VALU_DEP_1)
	v_add_f64 v[132:133], v[132:133], v[136:137]
	scratch_load_b64 v[136:137], v130, off
	scratch_store_b64 v131, v[132:133], off
	v_max_f64 v[131:132], v[6:7], v[6:7]
	v_min_f64 v[131:132], v[131:132], v[134:135]
	s_waitcnt vmcnt(0)
	s_delay_alu instid0(VALU_DEP_1) | instskip(SKIP_3) | instid1(VALU_DEP_1)
	v_add_f64 v[131:132], v[131:132], v[136:137]
	scratch_store_b64 v130, v[131:132], off
	scratch_load_b64 v[132:133], v129, off
	v_max_f64 v[130:131], v[8:9], v[8:9]
	v_min_f64 v[130:131], v[130:131], v[134:135]
	s_waitcnt vmcnt(0)
	s_delay_alu instid0(VALU_DEP_1) | instskip(SKIP_4) | instid1(VALU_DEP_1)
	v_add_f64 v[130:131], v[130:131], v[132:133]
	v_mov_b32_e32 v133, 0x100
	scratch_store_b64 v129, v[130:131], off
	scratch_load_b64 v[131:132], v128, off
	v_max_f64 v[129:130], v[10:11], v[10:11]
	v_min_f64 v[129:130], v[129:130], v[134:135]
	s_waitcnt vmcnt(0)
	s_delay_alu instid0(VALU_DEP_1) | instskip(SKIP_4) | instid1(VALU_DEP_1)
	v_add_f64 v[129:130], v[129:130], v[131:132]
	v_mov_b32_e32 v132, 0x108
	scratch_store_b64 v128, v[129:130], off
	scratch_load_b64 v[130:131], v127, off
	v_max_f64 v[128:129], v[12:13], v[12:13]
	v_min_f64 v[128:129], v[128:129], v[134:135]
	s_waitcnt vmcnt(0)
	s_delay_alu instid0(VALU_DEP_1) | instskip(SKIP_4) | instid1(VALU_DEP_1)
	v_add_f64 v[128:129], v[128:129], v[130:131]
	v_mov_b32_e32 v131, 0x110
	scratch_store_b64 v127, v[128:129], off
	scratch_load_b64 v[129:130], v126, off
	v_max_f64 v[127:128], v[14:15], v[14:15]
	v_min_f64 v[127:128], v[127:128], v[134:135]
	s_waitcnt vmcnt(0)
	s_delay_alu instid0(VALU_DEP_1) | instskip(SKIP_4) | instid1(VALU_DEP_1)
	v_add_f64 v[127:128], v[127:128], v[129:130]
	v_mov_b32_e32 v130, 0x118
	scratch_store_b64 v126, v[127:128], off
	scratch_load_b64 v[128:129], v125, off
	v_max_f64 v[126:127], v[16:17], v[16:17]
	v_min_f64 v[126:127], v[126:127], v[134:135]
	s_waitcnt vmcnt(0)
	s_delay_alu instid0(VALU_DEP_1) | instskip(SKIP_4) | instid1(VALU_DEP_1)
	v_add_f64 v[126:127], v[126:127], v[128:129]
	v_mov_b32_e32 v129, 0x120
	scratch_store_b64 v125, v[126:127], off
	scratch_load_b64 v[127:128], v124, off
	v_max_f64 v[125:126], v[18:19], v[18:19]
	v_min_f64 v[125:126], v[125:126], v[134:135]
	s_waitcnt vmcnt(0)
	s_delay_alu instid0(VALU_DEP_1) | instskip(SKIP_4) | instid1(VALU_DEP_1)
	v_add_f64 v[125:126], v[125:126], v[127:128]
	v_mov_b32_e32 v128, 0x128
	scratch_store_b64 v124, v[125:126], off
	scratch_load_b64 v[126:127], v123, off
	v_max_f64 v[124:125], v[20:21], v[20:21]
	v_min_f64 v[124:125], v[124:125], v[134:135]
	s_waitcnt vmcnt(0)
	s_delay_alu instid0(VALU_DEP_1) | instskip(SKIP_4) | instid1(VALU_DEP_1)
	v_add_f64 v[124:125], v[124:125], v[126:127]
	v_mov_b32_e32 v127, 0x130
	scratch_store_b64 v123, v[124:125], off
	scratch_load_b64 v[125:126], v122, off
	v_max_f64 v[123:124], v[22:23], v[22:23]
	v_min_f64 v[123:124], v[123:124], v[134:135]
	s_waitcnt vmcnt(0)
	s_delay_alu instid0(VALU_DEP_1) | instskip(SKIP_4) | instid1(VALU_DEP_1)
	v_add_f64 v[123:124], v[123:124], v[125:126]
	v_mov_b32_e32 v126, 0x138
	scratch_store_b64 v122, v[123:124], off
	scratch_load_b64 v[124:125], v121, off
	v_max_f64 v[122:123], v[24:25], v[24:25]
	v_min_f64 v[122:123], v[122:123], v[134:135]
	s_waitcnt vmcnt(0)
	s_delay_alu instid0(VALU_DEP_1) | instskip(SKIP_4) | instid1(VALU_DEP_1)
	v_add_f64 v[122:123], v[122:123], v[124:125]
	v_mov_b32_e32 v125, 0x140
	scratch_store_b64 v121, v[122:123], off
	scratch_load_b64 v[123:124], v120, off
	v_max_f64 v[121:122], v[26:27], v[26:27]
	v_min_f64 v[121:122], v[121:122], v[134:135]
	s_waitcnt vmcnt(0)
	s_delay_alu instid0(VALU_DEP_1) | instskip(SKIP_4) | instid1(VALU_DEP_1)
	v_add_f64 v[121:122], v[121:122], v[123:124]
	v_mov_b32_e32 v124, 0x148
	scratch_store_b64 v120, v[121:122], off
	scratch_load_b64 v[122:123], v119, off
	v_max_f64 v[120:121], v[28:29], v[28:29]
	v_min_f64 v[120:121], v[120:121], v[134:135]
	s_waitcnt vmcnt(0)
	s_delay_alu instid0(VALU_DEP_1) | instskip(SKIP_4) | instid1(VALU_DEP_1)
	v_add_f64 v[120:121], v[120:121], v[122:123]
	v_mov_b32_e32 v123, 0x150
	scratch_store_b64 v119, v[120:121], off
	scratch_load_b64 v[121:122], v118, off
	v_max_f64 v[119:120], v[30:31], v[30:31]
	v_min_f64 v[119:120], v[119:120], v[134:135]
	s_waitcnt vmcnt(0)
	s_delay_alu instid0(VALU_DEP_1) | instskip(SKIP_4) | instid1(VALU_DEP_1)
	v_add_f64 v[119:120], v[119:120], v[121:122]
	v_mov_b32_e32 v122, 0x158
	scratch_store_b64 v118, v[119:120], off
	scratch_load_b64 v[120:121], v117, off
	v_max_f64 v[118:119], v[32:33], v[32:33]
	v_min_f64 v[118:119], v[118:119], v[134:135]
	s_waitcnt vmcnt(0)
	s_delay_alu instid0(VALU_DEP_1) | instskip(SKIP_4) | instid1(VALU_DEP_1)
	v_add_f64 v[118:119], v[118:119], v[120:121]
	v_mov_b32_e32 v121, 0x160
	scratch_store_b64 v117, v[118:119], off
	scratch_load_b64 v[119:120], v116, off
	v_max_f64 v[117:118], v[34:35], v[34:35]
	v_min_f64 v[117:118], v[117:118], v[134:135]
	s_waitcnt vmcnt(0)
	s_delay_alu instid0(VALU_DEP_1) | instskip(SKIP_4) | instid1(VALU_DEP_1)
	v_add_f64 v[117:118], v[117:118], v[119:120]
	v_mov_b32_e32 v120, 0x168
	scratch_store_b64 v116, v[117:118], off
	scratch_load_b64 v[118:119], v115, off
	v_max_f64 v[116:117], v[36:37], v[36:37]
	v_min_f64 v[116:117], v[116:117], v[134:135]
	s_waitcnt vmcnt(0)
	s_delay_alu instid0(VALU_DEP_1) | instskip(SKIP_4) | instid1(VALU_DEP_1)
	v_add_f64 v[116:117], v[116:117], v[118:119]
	v_mov_b32_e32 v119, 0x170
	scratch_store_b64 v115, v[116:117], off
	scratch_load_b64 v[117:118], v114, off
	v_max_f64 v[115:116], v[38:39], v[38:39]
	v_min_f64 v[115:116], v[115:116], v[134:135]
	s_waitcnt vmcnt(0)
	s_delay_alu instid0(VALU_DEP_1) | instskip(SKIP_4) | instid1(VALU_DEP_1)
	v_add_f64 v[115:116], v[115:116], v[117:118]
	v_mov_b32_e32 v118, 0x178
	scratch_store_b64 v114, v[115:116], off
	scratch_load_b64 v[116:117], v113, off
	v_max_f64 v[114:115], v[40:41], v[40:41]
	v_min_f64 v[114:115], v[114:115], v[134:135]
	s_waitcnt vmcnt(0)
	s_delay_alu instid0(VALU_DEP_1) | instskip(SKIP_4) | instid1(VALU_DEP_1)
	v_add_f64 v[114:115], v[114:115], v[116:117]
	v_mov_b32_e32 v117, 0x180
	scratch_store_b64 v113, v[114:115], off
	scratch_load_b64 v[115:116], v112, off
	v_max_f64 v[113:114], v[42:43], v[42:43]
	v_min_f64 v[113:114], v[113:114], v[134:135]
	s_waitcnt vmcnt(0)
	s_delay_alu instid0(VALU_DEP_1) | instskip(SKIP_4) | instid1(VALU_DEP_1)
	v_add_f64 v[113:114], v[113:114], v[115:116]
	v_mov_b32_e32 v116, 0x188
	scratch_store_b64 v112, v[113:114], off
	scratch_load_b64 v[114:115], v111, off
	v_max_f64 v[112:113], v[44:45], v[44:45]
	v_min_f64 v[112:113], v[112:113], v[134:135]
	s_waitcnt vmcnt(0)
	s_delay_alu instid0(VALU_DEP_1) | instskip(SKIP_4) | instid1(VALU_DEP_1)
	v_add_f64 v[112:113], v[112:113], v[114:115]
	v_mov_b32_e32 v115, 0x190
	scratch_store_b64 v111, v[112:113], off
	scratch_load_b64 v[113:114], v110, off
	v_max_f64 v[111:112], v[46:47], v[46:47]
	v_min_f64 v[111:112], v[111:112], v[134:135]
	s_waitcnt vmcnt(0)
	s_delay_alu instid0(VALU_DEP_1) | instskip(SKIP_4) | instid1(VALU_DEP_1)
	v_add_f64 v[111:112], v[111:112], v[113:114]
	v_mov_b32_e32 v114, 0x198
	scratch_store_b64 v110, v[111:112], off
	scratch_load_b64 v[112:113], v109, off
	v_max_f64 v[110:111], v[48:49], v[48:49]
	v_min_f64 v[110:111], v[110:111], v[134:135]
	s_waitcnt vmcnt(0)
	s_delay_alu instid0(VALU_DEP_1) | instskip(SKIP_4) | instid1(VALU_DEP_1)
	v_add_f64 v[110:111], v[110:111], v[112:113]
	v_mov_b32_e32 v113, 0x1a0
	scratch_store_b64 v109, v[110:111], off
	scratch_load_b64 v[111:112], v108, off
	v_max_f64 v[109:110], v[50:51], v[50:51]
	v_min_f64 v[109:110], v[109:110], v[134:135]
	s_waitcnt vmcnt(0)
	s_delay_alu instid0(VALU_DEP_1) | instskip(SKIP_4) | instid1(VALU_DEP_1)
	v_add_f64 v[109:110], v[109:110], v[111:112]
	v_mov_b32_e32 v112, 0x1a8
	scratch_store_b64 v108, v[109:110], off
	scratch_load_b64 v[110:111], v107, off
	v_max_f64 v[108:109], v[52:53], v[52:53]
	v_min_f64 v[108:109], v[108:109], v[134:135]
	s_waitcnt vmcnt(0)
	s_delay_alu instid0(VALU_DEP_1) | instskip(SKIP_4) | instid1(VALU_DEP_1)
	v_add_f64 v[108:109], v[108:109], v[110:111]
	v_mov_b32_e32 v111, 0x1b0
	scratch_store_b64 v107, v[108:109], off
	scratch_load_b64 v[109:110], v106, off
	v_max_f64 v[107:108], v[54:55], v[54:55]
	v_min_f64 v[107:108], v[107:108], v[134:135]
	s_waitcnt vmcnt(0)
	s_delay_alu instid0(VALU_DEP_1) | instskip(SKIP_4) | instid1(VALU_DEP_1)
	v_add_f64 v[107:108], v[107:108], v[109:110]
	v_mov_b32_e32 v110, 0x1b8
	scratch_store_b64 v106, v[107:108], off
	scratch_load_b64 v[108:109], v105, off
	v_max_f64 v[106:107], v[56:57], v[56:57]
	v_min_f64 v[106:107], v[106:107], v[134:135]
	s_waitcnt vmcnt(0)
	s_delay_alu instid0(VALU_DEP_1) | instskip(SKIP_4) | instid1(VALU_DEP_1)
	v_add_f64 v[106:107], v[106:107], v[108:109]
	v_mov_b32_e32 v109, 0x1c0
	scratch_store_b64 v105, v[106:107], off
	scratch_load_b64 v[107:108], v104, off
	v_max_f64 v[105:106], v[58:59], v[58:59]
	v_min_f64 v[105:106], v[105:106], v[134:135]
	s_waitcnt vmcnt(0)
	s_delay_alu instid0(VALU_DEP_1) | instskip(SKIP_4) | instid1(VALU_DEP_1)
	v_add_f64 v[105:106], v[105:106], v[107:108]
	v_mov_b32_e32 v108, 0x1c8
	scratch_store_b64 v104, v[105:106], off
	scratch_load_b64 v[106:107], v103, off
	v_max_f64 v[104:105], v[60:61], v[60:61]
	v_min_f64 v[104:105], v[104:105], v[134:135]
	s_waitcnt vmcnt(0)
	s_delay_alu instid0(VALU_DEP_1) | instskip(SKIP_4) | instid1(VALU_DEP_1)
	v_add_f64 v[104:105], v[104:105], v[106:107]
	v_mov_b32_e32 v107, 0x1d0
	scratch_store_b64 v103, v[104:105], off
	scratch_load_b64 v[105:106], v72, off
	v_max_f64 v[103:104], v[62:63], v[62:63]
	v_min_f64 v[103:104], v[103:104], v[134:135]
	s_waitcnt vmcnt(0)
	s_delay_alu instid0(VALU_DEP_1)
	v_add_f64 v[103:104], v[103:104], v[105:106]
	v_mov_b32_e32 v106, 0x1d8
	v_mov_b32_e32 v105, 0x1e0
	scratch_store_b64 v72, v[103:104], off
	v_mov_b32_e32 v104, 0x1e8
	v_mov_b32_e32 v103, 0x1f0
	;; [unrolled: 1-line block ×3, first 2 shown]
	s_cbranch_vccnz .LBB148_19
; %bb.20:                               ;   in Loop: Header=BB148_18 Depth=1
	ds_load_2addr_b64 v[0:3], v98 offset0:1 offset1:17
	ds_load_2addr_b64 v[4:7], v98 offset0:33 offset1:49
	;; [unrolled: 1-line block ×12, first 2 shown]
	v_dual_mov_b32 v133, 0 :: v_dual_add_nc_u32 v64, 8, v99
	ds_load_2addr_b64 v[48:51], v102 offset0:129 offset1:145
	ds_load_2addr_b64 v[52:55], v102 offset0:161 offset1:177
	;; [unrolled: 1-line block ×4, first 2 shown]
	ds_load_2addr_stride64_b64 v[64:67], v64 offset1:4
	v_dual_mov_b32 v132, 8 :: v_dual_mov_b32 v131, 16
	v_dual_mov_b32 v130, 24 :: v_dual_mov_b32 v129, 32
	;; [unrolled: 1-line block ×4, first 2 shown]
	v_mov_b32_e32 v124, 0x48
	v_mov_b32_e32 v123, 0x50
	;; [unrolled: 1-line block ×23, first 2 shown]
	s_mov_b64 s[10:11], 0
	s_mov_b32 s17, -1
.LBB148_21:                             ;   Parent Loop BB148_18 Depth=1
                                        ; =>  This Inner Loop Header: Depth=2
	scratch_load_b64 v[138:139], v133, off
	s_cmp_eq_u32 s10, 1
	s_waitcnt lgkmcnt(16)
	v_max_f64 v[136:137], v[0:1], v[0:1]
	s_cselect_b32 vcc_lo, -1, 0
	s_mov_b64 s[10:11], 1
	s_waitcnt lgkmcnt(0)
	v_dual_cndmask_b32 v135, v65, v67 :: v_dual_cndmask_b32 v134, v64, v66
	s_and_b32 vcc_lo, exec_lo, s17
	s_mov_b32 s17, 0
	s_delay_alu instid0(VALU_DEP_1) | instskip(NEXT) | instid1(VALU_DEP_1)
	v_max_f64 v[134:135], v[134:135], v[134:135]
	v_min_f64 v[136:137], v[136:137], v[134:135]
	s_waitcnt vmcnt(0)
	s_delay_alu instid0(VALU_DEP_1) | instskip(SKIP_3) | instid1(VALU_DEP_1)
	v_add_f64 v[136:137], v[138:139], v[136:137]
	scratch_load_b64 v[138:139], v132, off
	scratch_store_b64 v133, v[136:137], off
	v_max_f64 v[136:137], v[2:3], v[2:3]
	v_min_f64 v[136:137], v[136:137], v[134:135]
	s_waitcnt vmcnt(0)
	s_delay_alu instid0(VALU_DEP_1) | instskip(SKIP_3) | instid1(VALU_DEP_1)
	v_add_f64 v[136:137], v[136:137], v[138:139]
	scratch_store_b64 v132, v[136:137], off
	scratch_load_b64 v[136:137], v131, off
	v_max_f64 v[132:133], v[4:5], v[4:5]
	v_min_f64 v[132:133], v[132:133], v[134:135]
	s_waitcnt vmcnt(0)
	s_delay_alu instid0(VALU_DEP_1) | instskip(SKIP_3) | instid1(VALU_DEP_1)
	v_add_f64 v[132:133], v[132:133], v[136:137]
	scratch_load_b64 v[136:137], v130, off
	scratch_store_b64 v131, v[132:133], off
	v_max_f64 v[131:132], v[6:7], v[6:7]
	v_min_f64 v[131:132], v[131:132], v[134:135]
	s_waitcnt vmcnt(0)
	s_delay_alu instid0(VALU_DEP_1) | instskip(SKIP_3) | instid1(VALU_DEP_1)
	v_add_f64 v[131:132], v[131:132], v[136:137]
	scratch_store_b64 v130, v[131:132], off
	scratch_load_b64 v[132:133], v129, off
	v_max_f64 v[130:131], v[8:9], v[8:9]
	v_min_f64 v[130:131], v[130:131], v[134:135]
	s_waitcnt vmcnt(0)
	s_delay_alu instid0(VALU_DEP_1) | instskip(SKIP_4) | instid1(VALU_DEP_1)
	v_add_f64 v[130:131], v[130:131], v[132:133]
	v_mov_b32_e32 v133, 0x100
	scratch_store_b64 v129, v[130:131], off
	scratch_load_b64 v[131:132], v128, off
	v_max_f64 v[129:130], v[10:11], v[10:11]
	v_min_f64 v[129:130], v[129:130], v[134:135]
	s_waitcnt vmcnt(0)
	s_delay_alu instid0(VALU_DEP_1) | instskip(SKIP_4) | instid1(VALU_DEP_1)
	v_add_f64 v[129:130], v[129:130], v[131:132]
	v_mov_b32_e32 v132, 0x108
	;; [unrolled: 8-line block ×27, first 2 shown]
	scratch_store_b64 v103, v[104:105], off
	scratch_load_b64 v[105:106], v72, off
	v_max_f64 v[103:104], v[62:63], v[62:63]
	v_min_f64 v[103:104], v[103:104], v[134:135]
	s_waitcnt vmcnt(0)
	s_delay_alu instid0(VALU_DEP_1)
	v_add_f64 v[103:104], v[103:104], v[105:106]
	v_mov_b32_e32 v106, 0x1d8
	v_mov_b32_e32 v105, 0x1e0
	scratch_store_b64 v72, v[103:104], off
	v_mov_b32_e32 v104, 0x1e8
	v_mov_b32_e32 v103, 0x1f0
	;; [unrolled: 1-line block ×3, first 2 shown]
	s_cbranch_vccnz .LBB148_21
; %bb.22:                               ;   in Loop: Header=BB148_18 Depth=1
	ds_load_2addr_b64 v[0:3], v98 offset0:2 offset1:18
	ds_load_2addr_b64 v[4:7], v98 offset0:34 offset1:50
	;; [unrolled: 1-line block ×12, first 2 shown]
	v_dual_mov_b32 v133, 0 :: v_dual_add_nc_u32 v64, 16, v99
	ds_load_2addr_b64 v[48:51], v102 offset0:130 offset1:146
	ds_load_2addr_b64 v[52:55], v102 offset0:162 offset1:178
	;; [unrolled: 1-line block ×4, first 2 shown]
	ds_load_2addr_stride64_b64 v[64:67], v64 offset1:4
	v_dual_mov_b32 v132, 8 :: v_dual_mov_b32 v131, 16
	v_dual_mov_b32 v130, 24 :: v_dual_mov_b32 v129, 32
	;; [unrolled: 1-line block ×4, first 2 shown]
	v_mov_b32_e32 v124, 0x48
	v_mov_b32_e32 v123, 0x50
	;; [unrolled: 1-line block ×23, first 2 shown]
	s_mov_b64 s[10:11], 0
	s_mov_b32 s17, -1
.LBB148_23:                             ;   Parent Loop BB148_18 Depth=1
                                        ; =>  This Inner Loop Header: Depth=2
	scratch_load_b64 v[138:139], v133, off
	s_cmp_eq_u32 s10, 1
	s_waitcnt lgkmcnt(16)
	v_max_f64 v[136:137], v[0:1], v[0:1]
	s_cselect_b32 vcc_lo, -1, 0
	s_mov_b64 s[10:11], 1
	s_waitcnt lgkmcnt(0)
	v_dual_cndmask_b32 v135, v65, v67 :: v_dual_cndmask_b32 v134, v64, v66
	s_and_b32 vcc_lo, exec_lo, s17
	s_mov_b32 s17, 0
	s_delay_alu instid0(VALU_DEP_1) | instskip(NEXT) | instid1(VALU_DEP_1)
	v_max_f64 v[134:135], v[134:135], v[134:135]
	v_min_f64 v[136:137], v[136:137], v[134:135]
	s_waitcnt vmcnt(0)
	s_delay_alu instid0(VALU_DEP_1) | instskip(SKIP_3) | instid1(VALU_DEP_1)
	v_add_f64 v[136:137], v[138:139], v[136:137]
	scratch_load_b64 v[138:139], v132, off
	scratch_store_b64 v133, v[136:137], off
	v_max_f64 v[136:137], v[2:3], v[2:3]
	v_min_f64 v[136:137], v[136:137], v[134:135]
	s_waitcnt vmcnt(0)
	s_delay_alu instid0(VALU_DEP_1) | instskip(SKIP_3) | instid1(VALU_DEP_1)
	v_add_f64 v[136:137], v[136:137], v[138:139]
	scratch_store_b64 v132, v[136:137], off
	scratch_load_b64 v[136:137], v131, off
	v_max_f64 v[132:133], v[4:5], v[4:5]
	v_min_f64 v[132:133], v[132:133], v[134:135]
	s_waitcnt vmcnt(0)
	s_delay_alu instid0(VALU_DEP_1) | instskip(SKIP_3) | instid1(VALU_DEP_1)
	v_add_f64 v[132:133], v[132:133], v[136:137]
	scratch_load_b64 v[136:137], v130, off
	scratch_store_b64 v131, v[132:133], off
	v_max_f64 v[131:132], v[6:7], v[6:7]
	v_min_f64 v[131:132], v[131:132], v[134:135]
	s_waitcnt vmcnt(0)
	s_delay_alu instid0(VALU_DEP_1) | instskip(SKIP_3) | instid1(VALU_DEP_1)
	v_add_f64 v[131:132], v[131:132], v[136:137]
	scratch_store_b64 v130, v[131:132], off
	scratch_load_b64 v[132:133], v129, off
	v_max_f64 v[130:131], v[8:9], v[8:9]
	v_min_f64 v[130:131], v[130:131], v[134:135]
	s_waitcnt vmcnt(0)
	s_delay_alu instid0(VALU_DEP_1) | instskip(SKIP_4) | instid1(VALU_DEP_1)
	v_add_f64 v[130:131], v[130:131], v[132:133]
	v_mov_b32_e32 v133, 0x100
	scratch_store_b64 v129, v[130:131], off
	scratch_load_b64 v[131:132], v128, off
	v_max_f64 v[129:130], v[10:11], v[10:11]
	v_min_f64 v[129:130], v[129:130], v[134:135]
	s_waitcnt vmcnt(0)
	s_delay_alu instid0(VALU_DEP_1) | instskip(SKIP_4) | instid1(VALU_DEP_1)
	v_add_f64 v[129:130], v[129:130], v[131:132]
	v_mov_b32_e32 v132, 0x108
	scratch_store_b64 v128, v[129:130], off
	scratch_load_b64 v[130:131], v127, off
	v_max_f64 v[128:129], v[12:13], v[12:13]
	v_min_f64 v[128:129], v[128:129], v[134:135]
	s_waitcnt vmcnt(0)
	s_delay_alu instid0(VALU_DEP_1) | instskip(SKIP_4) | instid1(VALU_DEP_1)
	v_add_f64 v[128:129], v[128:129], v[130:131]
	v_mov_b32_e32 v131, 0x110
	scratch_store_b64 v127, v[128:129], off
	scratch_load_b64 v[129:130], v126, off
	v_max_f64 v[127:128], v[14:15], v[14:15]
	v_min_f64 v[127:128], v[127:128], v[134:135]
	s_waitcnt vmcnt(0)
	s_delay_alu instid0(VALU_DEP_1) | instskip(SKIP_4) | instid1(VALU_DEP_1)
	v_add_f64 v[127:128], v[127:128], v[129:130]
	v_mov_b32_e32 v130, 0x118
	scratch_store_b64 v126, v[127:128], off
	scratch_load_b64 v[128:129], v125, off
	v_max_f64 v[126:127], v[16:17], v[16:17]
	v_min_f64 v[126:127], v[126:127], v[134:135]
	s_waitcnt vmcnt(0)
	s_delay_alu instid0(VALU_DEP_1) | instskip(SKIP_4) | instid1(VALU_DEP_1)
	v_add_f64 v[126:127], v[126:127], v[128:129]
	v_mov_b32_e32 v129, 0x120
	scratch_store_b64 v125, v[126:127], off
	scratch_load_b64 v[127:128], v124, off
	v_max_f64 v[125:126], v[18:19], v[18:19]
	v_min_f64 v[125:126], v[125:126], v[134:135]
	s_waitcnt vmcnt(0)
	s_delay_alu instid0(VALU_DEP_1) | instskip(SKIP_4) | instid1(VALU_DEP_1)
	v_add_f64 v[125:126], v[125:126], v[127:128]
	v_mov_b32_e32 v128, 0x128
	scratch_store_b64 v124, v[125:126], off
	scratch_load_b64 v[126:127], v123, off
	v_max_f64 v[124:125], v[20:21], v[20:21]
	v_min_f64 v[124:125], v[124:125], v[134:135]
	s_waitcnt vmcnt(0)
	s_delay_alu instid0(VALU_DEP_1) | instskip(SKIP_4) | instid1(VALU_DEP_1)
	v_add_f64 v[124:125], v[124:125], v[126:127]
	v_mov_b32_e32 v127, 0x130
	scratch_store_b64 v123, v[124:125], off
	scratch_load_b64 v[125:126], v122, off
	v_max_f64 v[123:124], v[22:23], v[22:23]
	v_min_f64 v[123:124], v[123:124], v[134:135]
	s_waitcnt vmcnt(0)
	s_delay_alu instid0(VALU_DEP_1) | instskip(SKIP_4) | instid1(VALU_DEP_1)
	v_add_f64 v[123:124], v[123:124], v[125:126]
	v_mov_b32_e32 v126, 0x138
	scratch_store_b64 v122, v[123:124], off
	scratch_load_b64 v[124:125], v121, off
	v_max_f64 v[122:123], v[24:25], v[24:25]
	v_min_f64 v[122:123], v[122:123], v[134:135]
	s_waitcnt vmcnt(0)
	s_delay_alu instid0(VALU_DEP_1) | instskip(SKIP_4) | instid1(VALU_DEP_1)
	v_add_f64 v[122:123], v[122:123], v[124:125]
	v_mov_b32_e32 v125, 0x140
	scratch_store_b64 v121, v[122:123], off
	scratch_load_b64 v[123:124], v120, off
	v_max_f64 v[121:122], v[26:27], v[26:27]
	v_min_f64 v[121:122], v[121:122], v[134:135]
	s_waitcnt vmcnt(0)
	s_delay_alu instid0(VALU_DEP_1) | instskip(SKIP_4) | instid1(VALU_DEP_1)
	v_add_f64 v[121:122], v[121:122], v[123:124]
	v_mov_b32_e32 v124, 0x148
	scratch_store_b64 v120, v[121:122], off
	scratch_load_b64 v[122:123], v119, off
	v_max_f64 v[120:121], v[28:29], v[28:29]
	v_min_f64 v[120:121], v[120:121], v[134:135]
	s_waitcnt vmcnt(0)
	s_delay_alu instid0(VALU_DEP_1) | instskip(SKIP_4) | instid1(VALU_DEP_1)
	v_add_f64 v[120:121], v[120:121], v[122:123]
	v_mov_b32_e32 v123, 0x150
	scratch_store_b64 v119, v[120:121], off
	scratch_load_b64 v[121:122], v118, off
	v_max_f64 v[119:120], v[30:31], v[30:31]
	v_min_f64 v[119:120], v[119:120], v[134:135]
	s_waitcnt vmcnt(0)
	s_delay_alu instid0(VALU_DEP_1) | instskip(SKIP_4) | instid1(VALU_DEP_1)
	v_add_f64 v[119:120], v[119:120], v[121:122]
	v_mov_b32_e32 v122, 0x158
	scratch_store_b64 v118, v[119:120], off
	scratch_load_b64 v[120:121], v117, off
	v_max_f64 v[118:119], v[32:33], v[32:33]
	v_min_f64 v[118:119], v[118:119], v[134:135]
	s_waitcnt vmcnt(0)
	s_delay_alu instid0(VALU_DEP_1) | instskip(SKIP_4) | instid1(VALU_DEP_1)
	v_add_f64 v[118:119], v[118:119], v[120:121]
	v_mov_b32_e32 v121, 0x160
	scratch_store_b64 v117, v[118:119], off
	scratch_load_b64 v[119:120], v116, off
	v_max_f64 v[117:118], v[34:35], v[34:35]
	v_min_f64 v[117:118], v[117:118], v[134:135]
	s_waitcnt vmcnt(0)
	s_delay_alu instid0(VALU_DEP_1) | instskip(SKIP_4) | instid1(VALU_DEP_1)
	v_add_f64 v[117:118], v[117:118], v[119:120]
	v_mov_b32_e32 v120, 0x168
	scratch_store_b64 v116, v[117:118], off
	scratch_load_b64 v[118:119], v115, off
	v_max_f64 v[116:117], v[36:37], v[36:37]
	v_min_f64 v[116:117], v[116:117], v[134:135]
	s_waitcnt vmcnt(0)
	s_delay_alu instid0(VALU_DEP_1) | instskip(SKIP_4) | instid1(VALU_DEP_1)
	v_add_f64 v[116:117], v[116:117], v[118:119]
	v_mov_b32_e32 v119, 0x170
	scratch_store_b64 v115, v[116:117], off
	scratch_load_b64 v[117:118], v114, off
	v_max_f64 v[115:116], v[38:39], v[38:39]
	v_min_f64 v[115:116], v[115:116], v[134:135]
	s_waitcnt vmcnt(0)
	s_delay_alu instid0(VALU_DEP_1) | instskip(SKIP_4) | instid1(VALU_DEP_1)
	v_add_f64 v[115:116], v[115:116], v[117:118]
	v_mov_b32_e32 v118, 0x178
	scratch_store_b64 v114, v[115:116], off
	scratch_load_b64 v[116:117], v113, off
	v_max_f64 v[114:115], v[40:41], v[40:41]
	v_min_f64 v[114:115], v[114:115], v[134:135]
	s_waitcnt vmcnt(0)
	s_delay_alu instid0(VALU_DEP_1) | instskip(SKIP_4) | instid1(VALU_DEP_1)
	v_add_f64 v[114:115], v[114:115], v[116:117]
	v_mov_b32_e32 v117, 0x180
	scratch_store_b64 v113, v[114:115], off
	scratch_load_b64 v[115:116], v112, off
	v_max_f64 v[113:114], v[42:43], v[42:43]
	v_min_f64 v[113:114], v[113:114], v[134:135]
	s_waitcnt vmcnt(0)
	s_delay_alu instid0(VALU_DEP_1) | instskip(SKIP_4) | instid1(VALU_DEP_1)
	v_add_f64 v[113:114], v[113:114], v[115:116]
	v_mov_b32_e32 v116, 0x188
	scratch_store_b64 v112, v[113:114], off
	scratch_load_b64 v[114:115], v111, off
	v_max_f64 v[112:113], v[44:45], v[44:45]
	v_min_f64 v[112:113], v[112:113], v[134:135]
	s_waitcnt vmcnt(0)
	s_delay_alu instid0(VALU_DEP_1) | instskip(SKIP_4) | instid1(VALU_DEP_1)
	v_add_f64 v[112:113], v[112:113], v[114:115]
	v_mov_b32_e32 v115, 0x190
	scratch_store_b64 v111, v[112:113], off
	scratch_load_b64 v[113:114], v110, off
	v_max_f64 v[111:112], v[46:47], v[46:47]
	v_min_f64 v[111:112], v[111:112], v[134:135]
	s_waitcnt vmcnt(0)
	s_delay_alu instid0(VALU_DEP_1) | instskip(SKIP_4) | instid1(VALU_DEP_1)
	v_add_f64 v[111:112], v[111:112], v[113:114]
	v_mov_b32_e32 v114, 0x198
	scratch_store_b64 v110, v[111:112], off
	scratch_load_b64 v[112:113], v109, off
	v_max_f64 v[110:111], v[48:49], v[48:49]
	v_min_f64 v[110:111], v[110:111], v[134:135]
	s_waitcnt vmcnt(0)
	s_delay_alu instid0(VALU_DEP_1) | instskip(SKIP_4) | instid1(VALU_DEP_1)
	v_add_f64 v[110:111], v[110:111], v[112:113]
	v_mov_b32_e32 v113, 0x1a0
	scratch_store_b64 v109, v[110:111], off
	scratch_load_b64 v[111:112], v108, off
	v_max_f64 v[109:110], v[50:51], v[50:51]
	v_min_f64 v[109:110], v[109:110], v[134:135]
	s_waitcnt vmcnt(0)
	s_delay_alu instid0(VALU_DEP_1) | instskip(SKIP_4) | instid1(VALU_DEP_1)
	v_add_f64 v[109:110], v[109:110], v[111:112]
	v_mov_b32_e32 v112, 0x1a8
	scratch_store_b64 v108, v[109:110], off
	scratch_load_b64 v[110:111], v107, off
	v_max_f64 v[108:109], v[52:53], v[52:53]
	v_min_f64 v[108:109], v[108:109], v[134:135]
	s_waitcnt vmcnt(0)
	s_delay_alu instid0(VALU_DEP_1) | instskip(SKIP_4) | instid1(VALU_DEP_1)
	v_add_f64 v[108:109], v[108:109], v[110:111]
	v_mov_b32_e32 v111, 0x1b0
	scratch_store_b64 v107, v[108:109], off
	scratch_load_b64 v[109:110], v106, off
	v_max_f64 v[107:108], v[54:55], v[54:55]
	v_min_f64 v[107:108], v[107:108], v[134:135]
	s_waitcnt vmcnt(0)
	s_delay_alu instid0(VALU_DEP_1) | instskip(SKIP_4) | instid1(VALU_DEP_1)
	v_add_f64 v[107:108], v[107:108], v[109:110]
	v_mov_b32_e32 v110, 0x1b8
	scratch_store_b64 v106, v[107:108], off
	scratch_load_b64 v[108:109], v105, off
	v_max_f64 v[106:107], v[56:57], v[56:57]
	v_min_f64 v[106:107], v[106:107], v[134:135]
	s_waitcnt vmcnt(0)
	s_delay_alu instid0(VALU_DEP_1) | instskip(SKIP_4) | instid1(VALU_DEP_1)
	v_add_f64 v[106:107], v[106:107], v[108:109]
	v_mov_b32_e32 v109, 0x1c0
	scratch_store_b64 v105, v[106:107], off
	scratch_load_b64 v[107:108], v104, off
	v_max_f64 v[105:106], v[58:59], v[58:59]
	v_min_f64 v[105:106], v[105:106], v[134:135]
	s_waitcnt vmcnt(0)
	s_delay_alu instid0(VALU_DEP_1) | instskip(SKIP_4) | instid1(VALU_DEP_1)
	v_add_f64 v[105:106], v[105:106], v[107:108]
	v_mov_b32_e32 v108, 0x1c8
	scratch_store_b64 v104, v[105:106], off
	scratch_load_b64 v[106:107], v103, off
	v_max_f64 v[104:105], v[60:61], v[60:61]
	v_min_f64 v[104:105], v[104:105], v[134:135]
	s_waitcnt vmcnt(0)
	s_delay_alu instid0(VALU_DEP_1) | instskip(SKIP_4) | instid1(VALU_DEP_1)
	v_add_f64 v[104:105], v[104:105], v[106:107]
	v_mov_b32_e32 v107, 0x1d0
	scratch_store_b64 v103, v[104:105], off
	scratch_load_b64 v[105:106], v72, off
	v_max_f64 v[103:104], v[62:63], v[62:63]
	v_min_f64 v[103:104], v[103:104], v[134:135]
	s_waitcnt vmcnt(0)
	s_delay_alu instid0(VALU_DEP_1)
	v_add_f64 v[103:104], v[103:104], v[105:106]
	v_mov_b32_e32 v106, 0x1d8
	v_mov_b32_e32 v105, 0x1e0
	scratch_store_b64 v72, v[103:104], off
	v_mov_b32_e32 v104, 0x1e8
	v_mov_b32_e32 v103, 0x1f0
	;; [unrolled: 1-line block ×3, first 2 shown]
	s_cbranch_vccnz .LBB148_23
; %bb.24:                               ;   in Loop: Header=BB148_18 Depth=1
	ds_load_2addr_b64 v[0:3], v98 offset0:3 offset1:19
	ds_load_2addr_b64 v[4:7], v98 offset0:35 offset1:51
	;; [unrolled: 1-line block ×12, first 2 shown]
	v_dual_mov_b32 v133, 0 :: v_dual_add_nc_u32 v64, 24, v99
	ds_load_2addr_b64 v[48:51], v102 offset0:131 offset1:147
	ds_load_2addr_b64 v[52:55], v102 offset0:163 offset1:179
	;; [unrolled: 1-line block ×4, first 2 shown]
	ds_load_2addr_stride64_b64 v[64:67], v64 offset1:4
	v_dual_mov_b32 v132, 8 :: v_dual_mov_b32 v131, 16
	v_dual_mov_b32 v130, 24 :: v_dual_mov_b32 v129, 32
	v_dual_mov_b32 v128, 40 :: v_dual_mov_b32 v127, 48
	v_dual_mov_b32 v126, 56 :: v_dual_mov_b32 v125, 64
	v_mov_b32_e32 v124, 0x48
	v_mov_b32_e32 v123, 0x50
	;; [unrolled: 1-line block ×23, first 2 shown]
	s_mov_b64 s[10:11], 0
	s_mov_b32 s17, -1
.LBB148_25:                             ;   Parent Loop BB148_18 Depth=1
                                        ; =>  This Inner Loop Header: Depth=2
	scratch_load_b64 v[138:139], v133, off
	s_cmp_eq_u32 s10, 1
	s_waitcnt lgkmcnt(16)
	v_max_f64 v[136:137], v[0:1], v[0:1]
	s_cselect_b32 vcc_lo, -1, 0
	s_mov_b64 s[10:11], 1
	s_waitcnt lgkmcnt(0)
	v_dual_cndmask_b32 v135, v65, v67 :: v_dual_cndmask_b32 v134, v64, v66
	s_and_b32 vcc_lo, exec_lo, s17
	s_mov_b32 s17, 0
	s_delay_alu instid0(VALU_DEP_1) | instskip(NEXT) | instid1(VALU_DEP_1)
	v_max_f64 v[134:135], v[134:135], v[134:135]
	v_min_f64 v[136:137], v[136:137], v[134:135]
	s_waitcnt vmcnt(0)
	s_delay_alu instid0(VALU_DEP_1) | instskip(SKIP_3) | instid1(VALU_DEP_1)
	v_add_f64 v[136:137], v[138:139], v[136:137]
	scratch_load_b64 v[138:139], v132, off
	scratch_store_b64 v133, v[136:137], off
	v_max_f64 v[136:137], v[2:3], v[2:3]
	v_min_f64 v[136:137], v[136:137], v[134:135]
	s_waitcnt vmcnt(0)
	s_delay_alu instid0(VALU_DEP_1) | instskip(SKIP_3) | instid1(VALU_DEP_1)
	v_add_f64 v[136:137], v[136:137], v[138:139]
	scratch_store_b64 v132, v[136:137], off
	scratch_load_b64 v[136:137], v131, off
	v_max_f64 v[132:133], v[4:5], v[4:5]
	v_min_f64 v[132:133], v[132:133], v[134:135]
	s_waitcnt vmcnt(0)
	s_delay_alu instid0(VALU_DEP_1) | instskip(SKIP_3) | instid1(VALU_DEP_1)
	v_add_f64 v[132:133], v[132:133], v[136:137]
	scratch_load_b64 v[136:137], v130, off
	scratch_store_b64 v131, v[132:133], off
	v_max_f64 v[131:132], v[6:7], v[6:7]
	v_min_f64 v[131:132], v[131:132], v[134:135]
	s_waitcnt vmcnt(0)
	s_delay_alu instid0(VALU_DEP_1) | instskip(SKIP_3) | instid1(VALU_DEP_1)
	v_add_f64 v[131:132], v[131:132], v[136:137]
	scratch_store_b64 v130, v[131:132], off
	scratch_load_b64 v[132:133], v129, off
	v_max_f64 v[130:131], v[8:9], v[8:9]
	v_min_f64 v[130:131], v[130:131], v[134:135]
	s_waitcnt vmcnt(0)
	s_delay_alu instid0(VALU_DEP_1) | instskip(SKIP_4) | instid1(VALU_DEP_1)
	v_add_f64 v[130:131], v[130:131], v[132:133]
	v_mov_b32_e32 v133, 0x100
	scratch_store_b64 v129, v[130:131], off
	scratch_load_b64 v[131:132], v128, off
	v_max_f64 v[129:130], v[10:11], v[10:11]
	v_min_f64 v[129:130], v[129:130], v[134:135]
	s_waitcnt vmcnt(0)
	s_delay_alu instid0(VALU_DEP_1) | instskip(SKIP_4) | instid1(VALU_DEP_1)
	v_add_f64 v[129:130], v[129:130], v[131:132]
	v_mov_b32_e32 v132, 0x108
	;; [unrolled: 8-line block ×27, first 2 shown]
	scratch_store_b64 v103, v[104:105], off
	scratch_load_b64 v[105:106], v72, off
	v_max_f64 v[103:104], v[62:63], v[62:63]
	v_min_f64 v[103:104], v[103:104], v[134:135]
	s_waitcnt vmcnt(0)
	s_delay_alu instid0(VALU_DEP_1)
	v_add_f64 v[103:104], v[103:104], v[105:106]
	v_mov_b32_e32 v106, 0x1d8
	v_mov_b32_e32 v105, 0x1e0
	scratch_store_b64 v72, v[103:104], off
	v_mov_b32_e32 v104, 0x1e8
	v_mov_b32_e32 v103, 0x1f0
	;; [unrolled: 1-line block ×3, first 2 shown]
	s_cbranch_vccnz .LBB148_25
; %bb.26:                               ;   in Loop: Header=BB148_18 Depth=1
	v_add_nc_u32_e32 v4, s16, v90
	ds_store_2addr_stride64_b64 v93, v[78:79], v[80:81] offset1:4
	ds_store_2addr_stride64_b64 v95, v[82:83], v[84:85] offset1:4
	s_waitcnt lgkmcnt(0)
	s_waitcnt_vscnt null, 0x0
	s_barrier
	buffer_gl0_inv
	v_mad_u64_u32 v[0:1], null, v4, s20, 0
	v_dual_mov_b32 v129, 8 :: v_dual_add_nc_u32 v72, 0x800, v92
	v_dual_mov_b32 v130, 0 :: v_dual_mov_b32 v127, 24
	v_dual_mov_b32 v128, 16 :: v_dual_mov_b32 v125, 40
	s_delay_alu instid0(VALU_DEP_4) | instskip(SKIP_3) | instid1(VALU_DEP_4)
	v_mad_u64_u32 v[2:3], null, v4, s19, v[1:2]
	v_dual_mov_b32 v126, 32 :: v_dual_mov_b32 v123, 56
	v_dual_mov_b32 v124, 48 :: v_dual_mov_b32 v121, 0x48
	;; [unrolled: 1-line block ×4, first 2 shown]
	v_mov_b32_e32 v118, 0x60
	v_mov_b32_e32 v117, 0x68
	;; [unrolled: 1-line block ×3, first 2 shown]
	s_delay_alu instid0(VALU_DEP_4)
	v_lshlrev_b64 v[0:1], 3, v[0:1]
	v_mov_b32_e32 v115, 0x78
	v_mov_b32_e32 v114, 0x80
	;; [unrolled: 1-line block ×5, first 2 shown]
	v_add_co_u32 v0, vcc_lo, v100, v0
	v_add_co_ci_u32_e32 v1, vcc_lo, v101, v1, vcc_lo
	v_mov_b32_e32 v110, 0xa0
	s_clause 0x1
	flat_load_b64 v[74:75], v[74:75] offset:32
	flat_load_b64 v[76:77], v[76:77] offset:32
	s_clause 0x1
	flat_load_b64 v[78:79], v[0:1]
	flat_load_b64 v[80:81], v[0:1] offset:512
	ds_load_2addr_b64 v[0:3], v92 offset1:16
	ds_load_2addr_b64 v[4:7], v92 offset0:32 offset1:48
	ds_load_2addr_b64 v[8:11], v92 offset0:64 offset1:80
	;; [unrolled: 1-line block ×7, first 2 shown]
	ds_load_2addr_b64 v[32:35], v72 offset1:16
	ds_load_2addr_b64 v[36:39], v72 offset0:32 offset1:48
	ds_load_2addr_b64 v[40:43], v72 offset0:64 offset1:80
	;; [unrolled: 1-line block ×7, first 2 shown]
	ds_load_2addr_stride64_b64 v[64:67], v94 offset1:4
	v_mov_b32_e32 v109, 0xa8
	v_mov_b32_e32 v108, 0xb0
	;; [unrolled: 1-line block ×11, first 2 shown]
	s_mov_b64 s[10:11], 0
	s_mov_b32 s17, -1
.LBB148_27:                             ;   Parent Loop BB148_18 Depth=1
                                        ; =>  This Inner Loop Header: Depth=2
	scratch_load_b64 v[135:136], v130, off
	s_cmp_eq_u32 s10, 1
	s_waitcnt lgkmcnt(16)
	v_max_f64 v[133:134], v[0:1], v[0:1]
	s_cselect_b32 vcc_lo, -1, 0
	s_mov_b64 s[10:11], 1
	s_waitcnt lgkmcnt(0)
	v_dual_cndmask_b32 v132, v65, v67 :: v_dual_cndmask_b32 v131, v64, v66
	s_and_b32 vcc_lo, exec_lo, s17
	s_mov_b32 s17, 0
	s_delay_alu instid0(VALU_DEP_1) | instskip(NEXT) | instid1(VALU_DEP_1)
	v_max_f64 v[131:132], v[131:132], v[131:132]
	v_min_f64 v[133:134], v[133:134], v[131:132]
	s_waitcnt vmcnt(0)
	s_delay_alu instid0(VALU_DEP_1) | instskip(SKIP_3) | instid1(VALU_DEP_1)
	v_add_f64 v[133:134], v[135:136], v[133:134]
	scratch_load_b64 v[135:136], v129, off
	scratch_store_b64 v130, v[133:134], off
	v_max_f64 v[133:134], v[2:3], v[2:3]
	v_min_f64 v[133:134], v[133:134], v[131:132]
	s_waitcnt vmcnt(0)
	s_delay_alu instid0(VALU_DEP_1) | instskip(SKIP_3) | instid1(VALU_DEP_1)
	v_add_f64 v[133:134], v[133:134], v[135:136]
	scratch_store_b64 v129, v[133:134], off
	scratch_load_b64 v[133:134], v128, off
	v_max_f64 v[129:130], v[4:5], v[4:5]
	v_min_f64 v[129:130], v[129:130], v[131:132]
	s_waitcnt vmcnt(0)
	s_delay_alu instid0(VALU_DEP_1) | instskip(SKIP_3) | instid1(VALU_DEP_1)
	v_add_f64 v[129:130], v[129:130], v[133:134]
	scratch_load_b64 v[133:134], v127, off
	scratch_store_b64 v128, v[129:130], off
	v_max_f64 v[128:129], v[6:7], v[6:7]
	v_min_f64 v[128:129], v[128:129], v[131:132]
	s_waitcnt vmcnt(0)
	s_delay_alu instid0(VALU_DEP_1) | instskip(SKIP_3) | instid1(VALU_DEP_1)
	v_add_f64 v[128:129], v[128:129], v[133:134]
	scratch_store_b64 v127, v[128:129], off
	scratch_load_b64 v[129:130], v126, off
	v_max_f64 v[127:128], v[8:9], v[8:9]
	v_min_f64 v[127:128], v[127:128], v[131:132]
	s_waitcnt vmcnt(0)
	s_delay_alu instid0(VALU_DEP_1) | instskip(SKIP_4) | instid1(VALU_DEP_1)
	v_add_f64 v[127:128], v[127:128], v[129:130]
	v_mov_b32_e32 v130, 0x100
	scratch_store_b64 v126, v[127:128], off
	scratch_load_b64 v[128:129], v125, off
	v_max_f64 v[126:127], v[10:11], v[10:11]
	v_min_f64 v[126:127], v[126:127], v[131:132]
	s_waitcnt vmcnt(0)
	s_delay_alu instid0(VALU_DEP_1) | instskip(SKIP_4) | instid1(VALU_DEP_1)
	v_add_f64 v[126:127], v[126:127], v[128:129]
	v_mov_b32_e32 v129, 0x108
	;; [unrolled: 8-line block ×24, first 2 shown]
	scratch_store_b64 v103, v[104:105], off
	scratch_load_b64 v[105:106], v85, off
	v_max_f64 v[103:104], v[56:57], v[56:57]
	v_min_f64 v[103:104], v[103:104], v[131:132]
	s_waitcnt vmcnt(0)
	s_delay_alu instid0(VALU_DEP_1) | instskip(SKIP_3) | instid1(VALU_DEP_1)
	v_add_f64 v[103:104], v[103:104], v[105:106]
	scratch_load_b64 v[105:106], v84, off
	scratch_store_b64 v85, v[103:104], off
	v_max_f64 v[103:104], v[58:59], v[58:59]
	v_min_f64 v[103:104], v[103:104], v[131:132]
	s_waitcnt vmcnt(0)
	s_delay_alu instid0(VALU_DEP_1)
	v_add_f64 v[103:104], v[103:104], v[105:106]
	v_mov_b32_e32 v106, 0x1c0
	v_mov_b32_e32 v105, 0x1c8
	scratch_store_b64 v84, v[103:104], off
	scratch_load_b64 v[103:104], v83, off
	v_max_f64 v[84:85], v[60:61], v[60:61]
	s_delay_alu instid0(VALU_DEP_1) | instskip(SKIP_1) | instid1(VALU_DEP_1)
	v_min_f64 v[84:85], v[84:85], v[131:132]
	s_waitcnt vmcnt(0)
	v_add_f64 v[84:85], v[84:85], v[103:104]
	scratch_load_b64 v[103:104], v82, off
	scratch_store_b64 v83, v[84:85], off
	v_max_f64 v[83:84], v[62:63], v[62:63]
	v_mov_b32_e32 v85, 0x1e0
	s_delay_alu instid0(VALU_DEP_2) | instskip(SKIP_1) | instid1(VALU_DEP_1)
	v_min_f64 v[83:84], v[83:84], v[131:132]
	s_waitcnt vmcnt(0)
	v_add_f64 v[83:84], v[83:84], v[103:104]
	v_mov_b32_e32 v104, 0x1d0
	v_mov_b32_e32 v103, 0x1d8
	scratch_store_b64 v82, v[83:84], off
	v_mov_b32_e32 v84, 0x1e8
	v_mov_b32_e32 v83, 0x1f0
	;; [unrolled: 1-line block ×3, first 2 shown]
	s_cbranch_vccnz .LBB148_27
; %bb.28:                               ;   in Loop: Header=BB148_18 Depth=1
	ds_load_2addr_b64 v[0:3], v92 offset0:1 offset1:17
	ds_load_2addr_b64 v[4:7], v92 offset0:33 offset1:49
	;; [unrolled: 1-line block ×12, first 2 shown]
	v_dual_mov_b32 v129, 8 :: v_dual_add_nc_u32 v64, 8, v94
	ds_load_2addr_b64 v[48:51], v72 offset0:129 offset1:145
	ds_load_2addr_b64 v[52:55], v72 offset0:161 offset1:177
	;; [unrolled: 1-line block ×4, first 2 shown]
	ds_load_2addr_stride64_b64 v[64:67], v64 offset1:4
	v_dual_mov_b32 v130, 0 :: v_dual_mov_b32 v127, 24
	v_dual_mov_b32 v128, 16 :: v_dual_mov_b32 v125, 40
	;; [unrolled: 1-line block ×5, first 2 shown]
	v_mov_b32_e32 v120, 0x50
	v_mov_b32_e32 v118, 0x60
	;; [unrolled: 1-line block ×21, first 2 shown]
	s_mov_b64 s[10:11], 0
	s_mov_b32 s17, -1
.LBB148_29:                             ;   Parent Loop BB148_18 Depth=1
                                        ; =>  This Inner Loop Header: Depth=2
	scratch_load_b64 v[135:136], v130, off
	s_cmp_eq_u32 s10, 1
	s_waitcnt lgkmcnt(16)
	v_max_f64 v[133:134], v[0:1], v[0:1]
	s_cselect_b32 vcc_lo, -1, 0
	s_mov_b64 s[10:11], 1
	s_waitcnt lgkmcnt(0)
	v_dual_cndmask_b32 v132, v65, v67 :: v_dual_cndmask_b32 v131, v64, v66
	s_and_b32 vcc_lo, exec_lo, s17
	s_mov_b32 s17, 0
	s_delay_alu instid0(VALU_DEP_1) | instskip(NEXT) | instid1(VALU_DEP_1)
	v_max_f64 v[131:132], v[131:132], v[131:132]
	v_min_f64 v[133:134], v[133:134], v[131:132]
	s_waitcnt vmcnt(0)
	s_delay_alu instid0(VALU_DEP_1) | instskip(SKIP_3) | instid1(VALU_DEP_1)
	v_add_f64 v[133:134], v[135:136], v[133:134]
	scratch_load_b64 v[135:136], v129, off
	scratch_store_b64 v130, v[133:134], off
	v_max_f64 v[133:134], v[2:3], v[2:3]
	v_min_f64 v[133:134], v[133:134], v[131:132]
	s_waitcnt vmcnt(0)
	s_delay_alu instid0(VALU_DEP_1) | instskip(SKIP_3) | instid1(VALU_DEP_1)
	v_add_f64 v[133:134], v[133:134], v[135:136]
	scratch_store_b64 v129, v[133:134], off
	scratch_load_b64 v[133:134], v128, off
	v_max_f64 v[129:130], v[4:5], v[4:5]
	v_min_f64 v[129:130], v[129:130], v[131:132]
	s_waitcnt vmcnt(0)
	s_delay_alu instid0(VALU_DEP_1) | instskip(SKIP_3) | instid1(VALU_DEP_1)
	v_add_f64 v[129:130], v[129:130], v[133:134]
	scratch_load_b64 v[133:134], v127, off
	scratch_store_b64 v128, v[129:130], off
	v_max_f64 v[128:129], v[6:7], v[6:7]
	v_min_f64 v[128:129], v[128:129], v[131:132]
	s_waitcnt vmcnt(0)
	s_delay_alu instid0(VALU_DEP_1) | instskip(SKIP_3) | instid1(VALU_DEP_1)
	v_add_f64 v[128:129], v[128:129], v[133:134]
	scratch_store_b64 v127, v[128:129], off
	scratch_load_b64 v[129:130], v126, off
	v_max_f64 v[127:128], v[8:9], v[8:9]
	v_min_f64 v[127:128], v[127:128], v[131:132]
	s_waitcnt vmcnt(0)
	s_delay_alu instid0(VALU_DEP_1) | instskip(SKIP_4) | instid1(VALU_DEP_1)
	v_add_f64 v[127:128], v[127:128], v[129:130]
	v_mov_b32_e32 v130, 0x100
	scratch_store_b64 v126, v[127:128], off
	scratch_load_b64 v[128:129], v125, off
	v_max_f64 v[126:127], v[10:11], v[10:11]
	v_min_f64 v[126:127], v[126:127], v[131:132]
	s_waitcnt vmcnt(0)
	s_delay_alu instid0(VALU_DEP_1) | instskip(SKIP_4) | instid1(VALU_DEP_1)
	v_add_f64 v[126:127], v[126:127], v[128:129]
	v_mov_b32_e32 v129, 0x108
	;; [unrolled: 8-line block ×24, first 2 shown]
	scratch_store_b64 v103, v[104:105], off
	scratch_load_b64 v[105:106], v85, off
	v_max_f64 v[103:104], v[56:57], v[56:57]
	v_min_f64 v[103:104], v[103:104], v[131:132]
	s_waitcnt vmcnt(0)
	s_delay_alu instid0(VALU_DEP_1) | instskip(SKIP_3) | instid1(VALU_DEP_1)
	v_add_f64 v[103:104], v[103:104], v[105:106]
	scratch_load_b64 v[105:106], v84, off
	scratch_store_b64 v85, v[103:104], off
	v_max_f64 v[103:104], v[58:59], v[58:59]
	v_min_f64 v[103:104], v[103:104], v[131:132]
	s_waitcnt vmcnt(0)
	s_delay_alu instid0(VALU_DEP_1)
	v_add_f64 v[103:104], v[103:104], v[105:106]
	v_mov_b32_e32 v106, 0x1c0
	v_mov_b32_e32 v105, 0x1c8
	scratch_store_b64 v84, v[103:104], off
	scratch_load_b64 v[103:104], v83, off
	v_max_f64 v[84:85], v[60:61], v[60:61]
	s_delay_alu instid0(VALU_DEP_1) | instskip(SKIP_1) | instid1(VALU_DEP_1)
	v_min_f64 v[84:85], v[84:85], v[131:132]
	s_waitcnt vmcnt(0)
	v_add_f64 v[84:85], v[84:85], v[103:104]
	scratch_load_b64 v[103:104], v82, off
	scratch_store_b64 v83, v[84:85], off
	v_max_f64 v[83:84], v[62:63], v[62:63]
	v_mov_b32_e32 v85, 0x1e0
	s_delay_alu instid0(VALU_DEP_2) | instskip(SKIP_1) | instid1(VALU_DEP_1)
	v_min_f64 v[83:84], v[83:84], v[131:132]
	s_waitcnt vmcnt(0)
	v_add_f64 v[83:84], v[83:84], v[103:104]
	v_mov_b32_e32 v104, 0x1d0
	v_mov_b32_e32 v103, 0x1d8
	scratch_store_b64 v82, v[83:84], off
	v_mov_b32_e32 v84, 0x1e8
	v_mov_b32_e32 v83, 0x1f0
	;; [unrolled: 1-line block ×3, first 2 shown]
	s_cbranch_vccnz .LBB148_29
; %bb.30:                               ;   in Loop: Header=BB148_18 Depth=1
	ds_load_2addr_b64 v[0:3], v92 offset0:2 offset1:18
	ds_load_2addr_b64 v[4:7], v92 offset0:34 offset1:50
	;; [unrolled: 1-line block ×12, first 2 shown]
	v_dual_mov_b32 v129, 8 :: v_dual_add_nc_u32 v64, 16, v94
	ds_load_2addr_b64 v[48:51], v72 offset0:130 offset1:146
	ds_load_2addr_b64 v[52:55], v72 offset0:162 offset1:178
	;; [unrolled: 1-line block ×4, first 2 shown]
	ds_load_2addr_stride64_b64 v[64:67], v64 offset1:4
	v_dual_mov_b32 v130, 0 :: v_dual_mov_b32 v127, 24
	v_dual_mov_b32 v128, 16 :: v_dual_mov_b32 v125, 40
	;; [unrolled: 1-line block ×5, first 2 shown]
	v_mov_b32_e32 v120, 0x50
	v_mov_b32_e32 v118, 0x60
	;; [unrolled: 1-line block ×21, first 2 shown]
	s_mov_b64 s[10:11], 0
	s_mov_b32 s17, -1
.LBB148_31:                             ;   Parent Loop BB148_18 Depth=1
                                        ; =>  This Inner Loop Header: Depth=2
	scratch_load_b64 v[135:136], v130, off
	s_cmp_eq_u32 s10, 1
	s_waitcnt lgkmcnt(16)
	v_max_f64 v[133:134], v[0:1], v[0:1]
	s_cselect_b32 vcc_lo, -1, 0
	s_mov_b64 s[10:11], 1
	s_waitcnt lgkmcnt(0)
	v_dual_cndmask_b32 v132, v65, v67 :: v_dual_cndmask_b32 v131, v64, v66
	s_and_b32 vcc_lo, exec_lo, s17
	s_mov_b32 s17, 0
	s_delay_alu instid0(VALU_DEP_1) | instskip(NEXT) | instid1(VALU_DEP_1)
	v_max_f64 v[131:132], v[131:132], v[131:132]
	v_min_f64 v[133:134], v[133:134], v[131:132]
	s_waitcnt vmcnt(0)
	s_delay_alu instid0(VALU_DEP_1) | instskip(SKIP_3) | instid1(VALU_DEP_1)
	v_add_f64 v[133:134], v[135:136], v[133:134]
	scratch_load_b64 v[135:136], v129, off
	scratch_store_b64 v130, v[133:134], off
	v_max_f64 v[133:134], v[2:3], v[2:3]
	v_min_f64 v[133:134], v[133:134], v[131:132]
	s_waitcnt vmcnt(0)
	s_delay_alu instid0(VALU_DEP_1) | instskip(SKIP_3) | instid1(VALU_DEP_1)
	v_add_f64 v[133:134], v[133:134], v[135:136]
	scratch_store_b64 v129, v[133:134], off
	scratch_load_b64 v[133:134], v128, off
	v_max_f64 v[129:130], v[4:5], v[4:5]
	v_min_f64 v[129:130], v[129:130], v[131:132]
	s_waitcnt vmcnt(0)
	s_delay_alu instid0(VALU_DEP_1) | instskip(SKIP_3) | instid1(VALU_DEP_1)
	v_add_f64 v[129:130], v[129:130], v[133:134]
	scratch_load_b64 v[133:134], v127, off
	scratch_store_b64 v128, v[129:130], off
	v_max_f64 v[128:129], v[6:7], v[6:7]
	v_min_f64 v[128:129], v[128:129], v[131:132]
	s_waitcnt vmcnt(0)
	s_delay_alu instid0(VALU_DEP_1) | instskip(SKIP_3) | instid1(VALU_DEP_1)
	v_add_f64 v[128:129], v[128:129], v[133:134]
	scratch_store_b64 v127, v[128:129], off
	scratch_load_b64 v[129:130], v126, off
	v_max_f64 v[127:128], v[8:9], v[8:9]
	v_min_f64 v[127:128], v[127:128], v[131:132]
	s_waitcnt vmcnt(0)
	s_delay_alu instid0(VALU_DEP_1) | instskip(SKIP_4) | instid1(VALU_DEP_1)
	v_add_f64 v[127:128], v[127:128], v[129:130]
	v_mov_b32_e32 v130, 0x100
	scratch_store_b64 v126, v[127:128], off
	scratch_load_b64 v[128:129], v125, off
	v_max_f64 v[126:127], v[10:11], v[10:11]
	v_min_f64 v[126:127], v[126:127], v[131:132]
	s_waitcnt vmcnt(0)
	s_delay_alu instid0(VALU_DEP_1) | instskip(SKIP_4) | instid1(VALU_DEP_1)
	v_add_f64 v[126:127], v[126:127], v[128:129]
	v_mov_b32_e32 v129, 0x108
	;; [unrolled: 8-line block ×24, first 2 shown]
	scratch_store_b64 v103, v[104:105], off
	scratch_load_b64 v[105:106], v85, off
	v_max_f64 v[103:104], v[56:57], v[56:57]
	v_min_f64 v[103:104], v[103:104], v[131:132]
	s_waitcnt vmcnt(0)
	s_delay_alu instid0(VALU_DEP_1) | instskip(SKIP_3) | instid1(VALU_DEP_1)
	v_add_f64 v[103:104], v[103:104], v[105:106]
	scratch_load_b64 v[105:106], v84, off
	scratch_store_b64 v85, v[103:104], off
	v_max_f64 v[103:104], v[58:59], v[58:59]
	v_min_f64 v[103:104], v[103:104], v[131:132]
	s_waitcnt vmcnt(0)
	s_delay_alu instid0(VALU_DEP_1)
	v_add_f64 v[103:104], v[103:104], v[105:106]
	v_mov_b32_e32 v106, 0x1c0
	v_mov_b32_e32 v105, 0x1c8
	scratch_store_b64 v84, v[103:104], off
	scratch_load_b64 v[103:104], v83, off
	v_max_f64 v[84:85], v[60:61], v[60:61]
	s_delay_alu instid0(VALU_DEP_1) | instskip(SKIP_1) | instid1(VALU_DEP_1)
	v_min_f64 v[84:85], v[84:85], v[131:132]
	s_waitcnt vmcnt(0)
	v_add_f64 v[84:85], v[84:85], v[103:104]
	scratch_load_b64 v[103:104], v82, off
	scratch_store_b64 v83, v[84:85], off
	v_max_f64 v[83:84], v[62:63], v[62:63]
	v_mov_b32_e32 v85, 0x1e0
	s_delay_alu instid0(VALU_DEP_2) | instskip(SKIP_1) | instid1(VALU_DEP_1)
	v_min_f64 v[83:84], v[83:84], v[131:132]
	s_waitcnt vmcnt(0)
	v_add_f64 v[83:84], v[83:84], v[103:104]
	v_mov_b32_e32 v104, 0x1d0
	v_mov_b32_e32 v103, 0x1d8
	scratch_store_b64 v82, v[83:84], off
	v_mov_b32_e32 v84, 0x1e8
	v_mov_b32_e32 v83, 0x1f0
	;; [unrolled: 1-line block ×3, first 2 shown]
	s_cbranch_vccnz .LBB148_31
; %bb.32:                               ;   in Loop: Header=BB148_18 Depth=1
	ds_load_2addr_b64 v[0:3], v92 offset0:3 offset1:19
	ds_load_2addr_b64 v[4:7], v92 offset0:35 offset1:51
	;; [unrolled: 1-line block ×12, first 2 shown]
	v_dual_mov_b32 v129, 0 :: v_dual_add_nc_u32 v64, 24, v94
	ds_load_2addr_b64 v[48:51], v72 offset0:131 offset1:147
	ds_load_2addr_b64 v[52:55], v72 offset0:163 offset1:179
	;; [unrolled: 1-line block ×4, first 2 shown]
	ds_load_2addr_stride64_b64 v[64:67], v64 offset1:4
	v_dual_mov_b32 v128, 8 :: v_dual_mov_b32 v127, 16
	v_dual_mov_b32 v126, 24 :: v_dual_mov_b32 v125, 32
	;; [unrolled: 1-line block ×4, first 2 shown]
	v_mov_b32_e32 v120, 0x48
	v_mov_b32_e32 v119, 0x50
	;; [unrolled: 1-line block ×23, first 2 shown]
	s_mov_b64 s[10:11], 0
	s_mov_b32 s17, -1
.LBB148_33:                             ;   Parent Loop BB148_18 Depth=1
                                        ; =>  This Inner Loop Header: Depth=2
	scratch_load_b64 v[134:135], v129, off
	s_cmp_eq_u32 s10, 1
	s_waitcnt lgkmcnt(16)
	v_max_f64 v[132:133], v[0:1], v[0:1]
	s_cselect_b32 vcc_lo, -1, 0
	s_mov_b64 s[10:11], 1
	s_waitcnt lgkmcnt(0)
	v_dual_cndmask_b32 v131, v65, v67 :: v_dual_cndmask_b32 v130, v64, v66
	s_and_b32 vcc_lo, exec_lo, s17
	s_mov_b32 s17, 0
	s_delay_alu instid0(VALU_DEP_1) | instskip(NEXT) | instid1(VALU_DEP_1)
	v_max_f64 v[130:131], v[130:131], v[130:131]
	v_min_f64 v[132:133], v[132:133], v[130:131]
	s_waitcnt vmcnt(0)
	s_delay_alu instid0(VALU_DEP_1) | instskip(SKIP_3) | instid1(VALU_DEP_1)
	v_add_f64 v[132:133], v[134:135], v[132:133]
	scratch_load_b64 v[134:135], v128, off
	scratch_store_b64 v129, v[132:133], off
	v_max_f64 v[132:133], v[2:3], v[2:3]
	v_min_f64 v[132:133], v[132:133], v[130:131]
	s_waitcnt vmcnt(0)
	s_delay_alu instid0(VALU_DEP_1) | instskip(SKIP_3) | instid1(VALU_DEP_1)
	v_add_f64 v[132:133], v[132:133], v[134:135]
	scratch_store_b64 v128, v[132:133], off
	scratch_load_b64 v[132:133], v127, off
	v_max_f64 v[128:129], v[4:5], v[4:5]
	v_min_f64 v[128:129], v[128:129], v[130:131]
	s_waitcnt vmcnt(0)
	s_delay_alu instid0(VALU_DEP_1) | instskip(SKIP_3) | instid1(VALU_DEP_1)
	v_add_f64 v[128:129], v[128:129], v[132:133]
	scratch_load_b64 v[132:133], v126, off
	scratch_store_b64 v127, v[128:129], off
	v_max_f64 v[127:128], v[6:7], v[6:7]
	v_min_f64 v[127:128], v[127:128], v[130:131]
	s_waitcnt vmcnt(0)
	s_delay_alu instid0(VALU_DEP_1) | instskip(SKIP_3) | instid1(VALU_DEP_1)
	v_add_f64 v[127:128], v[127:128], v[132:133]
	scratch_store_b64 v126, v[127:128], off
	scratch_load_b64 v[128:129], v125, off
	v_max_f64 v[126:127], v[8:9], v[8:9]
	v_min_f64 v[126:127], v[126:127], v[130:131]
	s_waitcnt vmcnt(0)
	s_delay_alu instid0(VALU_DEP_1) | instskip(SKIP_4) | instid1(VALU_DEP_1)
	v_add_f64 v[126:127], v[126:127], v[128:129]
	v_mov_b32_e32 v129, 0x100
	scratch_store_b64 v125, v[126:127], off
	scratch_load_b64 v[127:128], v124, off
	v_max_f64 v[125:126], v[10:11], v[10:11]
	v_min_f64 v[125:126], v[125:126], v[130:131]
	s_waitcnt vmcnt(0)
	s_delay_alu instid0(VALU_DEP_1) | instskip(SKIP_4) | instid1(VALU_DEP_1)
	v_add_f64 v[125:126], v[125:126], v[127:128]
	v_mov_b32_e32 v128, 0x108
	;; [unrolled: 8-line block ×23, first 2 shown]
	scratch_store_b64 v103, v[104:105], off
	scratch_load_b64 v[105:106], v85, off
	v_max_f64 v[103:104], v[54:55], v[54:55]
	v_min_f64 v[103:104], v[103:104], v[130:131]
	s_waitcnt vmcnt(0)
	s_delay_alu instid0(VALU_DEP_1) | instskip(SKIP_3) | instid1(VALU_DEP_1)
	v_add_f64 v[103:104], v[103:104], v[105:106]
	scratch_load_b64 v[105:106], v84, off
	scratch_store_b64 v85, v[103:104], off
	v_max_f64 v[103:104], v[56:57], v[56:57]
	v_min_f64 v[103:104], v[103:104], v[130:131]
	s_waitcnt vmcnt(0)
	s_delay_alu instid0(VALU_DEP_1)
	v_add_f64 v[103:104], v[103:104], v[105:106]
	v_mov_b32_e32 v106, 0x1b8
	v_mov_b32_e32 v105, 0x1c0
	scratch_store_b64 v84, v[103:104], off
	scratch_load_b64 v[103:104], v83, off
	v_max_f64 v[84:85], v[58:59], v[58:59]
	s_delay_alu instid0(VALU_DEP_1) | instskip(SKIP_1) | instid1(VALU_DEP_1)
	v_min_f64 v[84:85], v[84:85], v[130:131]
	s_waitcnt vmcnt(0)
	v_add_f64 v[84:85], v[84:85], v[103:104]
	scratch_load_b64 v[103:104], v82, off
	scratch_store_b64 v83, v[84:85], off
	v_max_f64 v[83:84], v[60:61], v[60:61]
	s_delay_alu instid0(VALU_DEP_1) | instskip(SKIP_1) | instid1(VALU_DEP_1)
	v_min_f64 v[83:84], v[83:84], v[130:131]
	s_waitcnt vmcnt(0)
	v_add_f64 v[83:84], v[83:84], v[103:104]
	v_mov_b32_e32 v104, 0x1c8
	v_mov_b32_e32 v103, 0x1d0
	scratch_store_b64 v82, v[83:84], off
	scratch_load_b64 v[84:85], v72, off
	v_max_f64 v[82:83], v[62:63], v[62:63]
	s_delay_alu instid0(VALU_DEP_1) | instskip(SKIP_1) | instid1(VALU_DEP_1)
	v_min_f64 v[82:83], v[82:83], v[130:131]
	s_waitcnt vmcnt(0)
	v_add_f64 v[82:83], v[82:83], v[84:85]
	v_mov_b32_e32 v85, 0x1d8
	v_mov_b32_e32 v84, 0x1e0
	scratch_store_b64 v72, v[82:83], off
	v_mov_b32_e32 v83, 0x1e8
	v_mov_b32_e32 v82, 0x1f0
	;; [unrolled: 1-line block ×3, first 2 shown]
	s_cbranch_vccnz .LBB148_33
; %bb.34:                               ;   in Loop: Header=BB148_18 Depth=1
	s_add_i32 s13, s13, 8
	s_add_i32 s16, s16, 8
	s_cmp_ge_i32 s13, s12
	ds_store_2addr_stride64_b64 v96, v[74:75], v[76:77] offset1:4
	ds_store_2addr_stride64_b64 v97, v[78:79], v[80:81] offset1:4
	s_waitcnt lgkmcnt(0)
	s_waitcnt_vscnt null, 0x0
	s_barrier
	buffer_gl0_inv
	s_cbranch_scc0 .LBB148_18
.LBB148_35:
	v_dual_mov_b32 v71, 8 :: v_dual_add_nc_u32 v28, 0x1000, v92
	v_dual_mov_b32 v75, 40 :: v_dual_add_nc_u32 v60, 0x1800, v92
	;; [unrolled: 1-line block ×3, first 2 shown]
	ds_load_2addr_b64 v[0:3], v28 offset1:16
	ds_load_2addr_b64 v[4:7], v28 offset0:32 offset1:48
	ds_load_2addr_b64 v[8:11], v28 offset0:64 offset1:80
	;; [unrolled: 1-line block ×7, first 2 shown]
	ds_load_2addr_b64 v[32:35], v60 offset1:16
	ds_load_2addr_b64 v[36:39], v60 offset0:32 offset1:48
	ds_load_2addr_b64 v[40:43], v60 offset0:64 offset1:80
	ds_load_2addr_b64 v[44:47], v60 offset0:96 offset1:112
	ds_load_2addr_b64 v[48:51], v60 offset0:128 offset1:144
	ds_load_2addr_b64 v[52:55], v60 offset0:160 offset1:176
	ds_load_2addr_b64 v[56:59], v60 offset0:192 offset1:208
	ds_load_2addr_b64 v[60:63], v60 offset0:224 offset1:240
	ds_load_2addr_stride64_b64 v[64:67], v91 offset0:24 offset1:28
	v_dual_mov_b32 v70, 0 :: v_dual_add_nc_u32 v69, 0x3000, v91
	v_dual_mov_b32 v72, 16 :: v_dual_mov_b32 v77, 56
	v_dual_mov_b32 v74, 32 :: v_dual_mov_b32 v79, 0x48
	v_dual_mov_b32 v76, 48 :: v_dual_mov_b32 v81, 0x58
	v_dual_mov_b32 v78, 64 :: v_dual_mov_b32 v83, 0x68
	v_mov_b32_e32 v80, 0x50
	v_mov_b32_e32 v82, 0x60
	;; [unrolled: 1-line block ×20, first 2 shown]
	s_mov_b64 s[2:3], 0
	s_mov_b32 s10, -1
.LBB148_36:                             ; =>This Inner Loop Header: Depth=1
	scratch_load_b64 v[104:105], v70, off
	scratch_load_b64 v[106:107], v71, off
	;; [unrolled: 1-line block ×32, first 2 shown]
	s_cmp_eq_u32 s2, 1
	s_waitcnt lgkmcnt(16)
	v_max_f64 v[170:171], v[0:1], v[0:1]
	s_cselect_b32 vcc_lo, -1, 0
	v_max_f64 v[172:173], v[2:3], v[2:3]
	s_waitcnt lgkmcnt(0)
	v_dual_cndmask_b32 v169, v65, v67 :: v_dual_cndmask_b32 v168, v64, v66
	v_max_f64 v[174:175], v[4:5], v[4:5]
	v_max_f64 v[176:177], v[6:7], v[6:7]
	;; [unrolled: 1-line block ×31, first 2 shown]
	s_mov_b64 s[2:3], 1
	s_and_b32 vcc_lo, exec_lo, s10
	s_mov_b32 s10, 0
	v_min_f64 v[170:171], v[170:171], v[168:169]
	v_min_f64 v[172:173], v[172:173], v[168:169]
	;; [unrolled: 1-line block ×32, first 2 shown]
	s_waitcnt vmcnt(31)
	v_add_f64 v[104:105], v[104:105], v[170:171]
	s_waitcnt vmcnt(30)
	v_add_f64 v[106:107], v[172:173], v[106:107]
	;; [unrolled: 2-line block ×32, first 2 shown]
	scratch_store_b64 v70, v[104:105], off
	scratch_store_b64 v71, v[106:107], off
	;; [unrolled: 1-line block ×32, first 2 shown]
	v_mov_b32_e32 v70, 0x100
	v_mov_b32_e32 v71, 0x108
	;; [unrolled: 1-line block ×32, first 2 shown]
	s_cbranch_vccnz .LBB148_36
; %bb.37:
	v_dual_mov_b32 v71, 8 :: v_dual_add_nc_u32 v60, 0x800, v68
	ds_load_2addr_b64 v[0:3], v68 offset0:1 offset1:17
	ds_load_2addr_b64 v[4:7], v68 offset0:33 offset1:49
	;; [unrolled: 1-line block ×12, first 2 shown]
	v_dual_mov_b32 v73, 24 :: v_dual_add_nc_u32 v64, 8, v69
	ds_load_2addr_b64 v[48:51], v60 offset0:129 offset1:145
	ds_load_2addr_b64 v[52:55], v60 offset0:161 offset1:177
	;; [unrolled: 1-line block ×4, first 2 shown]
	ds_load_2addr_stride64_b64 v[64:67], v64 offset1:4
	v_dual_mov_b32 v70, 0 :: v_dual_mov_b32 v75, 40
	v_dual_mov_b32 v72, 16 :: v_dual_mov_b32 v77, 56
	v_dual_mov_b32 v74, 32 :: v_dual_mov_b32 v79, 0x48
	v_dual_mov_b32 v76, 48 :: v_dual_mov_b32 v81, 0x58
	v_dual_mov_b32 v78, 64 :: v_dual_mov_b32 v83, 0x68
	v_mov_b32_e32 v80, 0x50
	v_mov_b32_e32 v82, 0x60
	;; [unrolled: 1-line block ×20, first 2 shown]
	s_mov_b64 s[2:3], 0
	s_mov_b32 s10, -1
.LBB148_38:                             ; =>This Inner Loop Header: Depth=1
	scratch_load_b64 v[104:105], v70, off
	scratch_load_b64 v[106:107], v71, off
	;; [unrolled: 1-line block ×32, first 2 shown]
	s_cmp_eq_u32 s2, 1
	s_waitcnt lgkmcnt(16)
	v_max_f64 v[170:171], v[0:1], v[0:1]
	s_cselect_b32 vcc_lo, -1, 0
	v_max_f64 v[172:173], v[2:3], v[2:3]
	s_waitcnt lgkmcnt(0)
	v_dual_cndmask_b32 v169, v65, v67 :: v_dual_cndmask_b32 v168, v64, v66
	v_max_f64 v[174:175], v[4:5], v[4:5]
	v_max_f64 v[176:177], v[6:7], v[6:7]
	;; [unrolled: 1-line block ×31, first 2 shown]
	s_mov_b64 s[2:3], 1
	s_and_b32 vcc_lo, exec_lo, s10
	s_mov_b32 s10, 0
	v_min_f64 v[170:171], v[170:171], v[168:169]
	v_min_f64 v[172:173], v[172:173], v[168:169]
	;; [unrolled: 1-line block ×32, first 2 shown]
	s_waitcnt vmcnt(31)
	v_add_f64 v[104:105], v[104:105], v[170:171]
	s_waitcnt vmcnt(30)
	v_add_f64 v[106:107], v[172:173], v[106:107]
	;; [unrolled: 2-line block ×32, first 2 shown]
	scratch_store_b64 v70, v[104:105], off
	scratch_store_b64 v71, v[106:107], off
	;; [unrolled: 1-line block ×32, first 2 shown]
	v_mov_b32_e32 v70, 0x100
	v_mov_b32_e32 v71, 0x108
	;; [unrolled: 1-line block ×32, first 2 shown]
	s_cbranch_vccnz .LBB148_38
; %bb.39:
	v_dual_mov_b32 v71, 8 :: v_dual_add_nc_u32 v60, 0x800, v68
	ds_load_2addr_b64 v[0:3], v68 offset0:2 offset1:18
	ds_load_2addr_b64 v[4:7], v68 offset0:34 offset1:50
	;; [unrolled: 1-line block ×12, first 2 shown]
	v_dual_mov_b32 v73, 24 :: v_dual_add_nc_u32 v64, 16, v69
	ds_load_2addr_b64 v[48:51], v60 offset0:130 offset1:146
	ds_load_2addr_b64 v[52:55], v60 offset0:162 offset1:178
	;; [unrolled: 1-line block ×4, first 2 shown]
	ds_load_2addr_stride64_b64 v[64:67], v64 offset1:4
	v_dual_mov_b32 v70, 0 :: v_dual_mov_b32 v75, 40
	v_dual_mov_b32 v72, 16 :: v_dual_mov_b32 v77, 56
	;; [unrolled: 1-line block ×5, first 2 shown]
	v_mov_b32_e32 v80, 0x50
	v_mov_b32_e32 v82, 0x60
	;; [unrolled: 1-line block ×20, first 2 shown]
	s_mov_b64 s[2:3], 0
	s_mov_b32 s10, -1
.LBB148_40:                             ; =>This Inner Loop Header: Depth=1
	scratch_load_b64 v[104:105], v70, off
	scratch_load_b64 v[106:107], v71, off
	;; [unrolled: 1-line block ×32, first 2 shown]
	s_cmp_eq_u32 s2, 1
	s_waitcnt lgkmcnt(16)
	v_max_f64 v[170:171], v[0:1], v[0:1]
	s_cselect_b32 vcc_lo, -1, 0
	v_max_f64 v[172:173], v[2:3], v[2:3]
	s_waitcnt lgkmcnt(0)
	v_dual_cndmask_b32 v169, v65, v67 :: v_dual_cndmask_b32 v168, v64, v66
	v_max_f64 v[174:175], v[4:5], v[4:5]
	v_max_f64 v[176:177], v[6:7], v[6:7]
	;; [unrolled: 1-line block ×31, first 2 shown]
	s_mov_b64 s[2:3], 1
	s_and_b32 vcc_lo, exec_lo, s10
	s_mov_b32 s10, 0
	v_min_f64 v[170:171], v[170:171], v[168:169]
	v_min_f64 v[172:173], v[172:173], v[168:169]
	v_min_f64 v[174:175], v[174:175], v[168:169]
	v_min_f64 v[176:177], v[176:177], v[168:169]
	v_min_f64 v[178:179], v[178:179], v[168:169]
	v_min_f64 v[180:181], v[180:181], v[168:169]
	v_min_f64 v[182:183], v[182:183], v[168:169]
	v_min_f64 v[184:185], v[184:185], v[168:169]
	v_min_f64 v[186:187], v[186:187], v[168:169]
	v_min_f64 v[188:189], v[188:189], v[168:169]
	v_min_f64 v[190:191], v[190:191], v[168:169]
	v_min_f64 v[192:193], v[192:193], v[168:169]
	v_min_f64 v[194:195], v[194:195], v[168:169]
	v_min_f64 v[196:197], v[196:197], v[168:169]
	v_min_f64 v[198:199], v[198:199], v[168:169]
	v_min_f64 v[200:201], v[200:201], v[168:169]
	v_min_f64 v[202:203], v[202:203], v[168:169]
	v_min_f64 v[204:205], v[204:205], v[168:169]
	v_min_f64 v[206:207], v[206:207], v[168:169]
	v_min_f64 v[208:209], v[208:209], v[168:169]
	v_min_f64 v[210:211], v[210:211], v[168:169]
	v_min_f64 v[212:213], v[212:213], v[168:169]
	v_min_f64 v[214:215], v[214:215], v[168:169]
	v_min_f64 v[216:217], v[216:217], v[168:169]
	v_min_f64 v[218:219], v[218:219], v[168:169]
	v_min_f64 v[220:221], v[220:221], v[168:169]
	v_min_f64 v[222:223], v[222:223], v[168:169]
	v_min_f64 v[224:225], v[224:225], v[168:169]
	v_min_f64 v[226:227], v[226:227], v[168:169]
	v_min_f64 v[228:229], v[228:229], v[168:169]
	v_min_f64 v[230:231], v[230:231], v[168:169]
	v_min_f64 v[168:169], v[232:233], v[168:169]
	s_waitcnt vmcnt(31)
	v_add_f64 v[104:105], v[104:105], v[170:171]
	s_waitcnt vmcnt(30)
	v_add_f64 v[106:107], v[172:173], v[106:107]
	;; [unrolled: 2-line block ×32, first 2 shown]
	scratch_store_b64 v70, v[104:105], off
	scratch_store_b64 v71, v[106:107], off
	;; [unrolled: 1-line block ×32, first 2 shown]
	v_mov_b32_e32 v70, 0x100
	v_mov_b32_e32 v71, 0x108
	v_mov_b32_e32 v72, 0x110
	v_mov_b32_e32 v73, 0x118
	v_mov_b32_e32 v74, 0x120
	v_mov_b32_e32 v75, 0x128
	v_mov_b32_e32 v76, 0x130
	v_mov_b32_e32 v77, 0x138
	v_mov_b32_e32 v78, 0x140
	v_mov_b32_e32 v79, 0x148
	v_mov_b32_e32 v80, 0x150
	v_mov_b32_e32 v81, 0x158
	v_mov_b32_e32 v82, 0x160
	v_mov_b32_e32 v83, 0x168
	v_mov_b32_e32 v84, 0x170
	v_mov_b32_e32 v85, 0x178
	v_mov_b32_e32 v88, 0x180
	v_mov_b32_e32 v89, 0x188
	v_mov_b32_e32 v90, 0x190
	v_mov_b32_e32 v91, 0x198
	v_mov_b32_e32 v92, 0x1a0
	v_mov_b32_e32 v93, 0x1a8
	v_mov_b32_e32 v94, 0x1b0
	v_mov_b32_e32 v95, 0x1b8
	v_mov_b32_e32 v96, 0x1c0
	v_mov_b32_e32 v97, 0x1c8
	v_mov_b32_e32 v98, 0x1d0
	v_mov_b32_e32 v99, 0x1d8
	v_mov_b32_e32 v100, 0x1e0
	v_mov_b32_e32 v101, 0x1e8
	v_mov_b32_e32 v102, 0x1f0
	v_mov_b32_e32 v103, 0x1f8
	s_cbranch_vccnz .LBB148_40
; %bb.41:
	v_add_nc_u32_e32 v60, 0x800, v68
	ds_load_2addr_b64 v[0:3], v68 offset0:3 offset1:19
	ds_load_2addr_b64 v[4:7], v68 offset0:35 offset1:51
	ds_load_2addr_b64 v[8:11], v68 offset0:67 offset1:83
	ds_load_2addr_b64 v[12:15], v68 offset0:99 offset1:115
	v_dual_mov_b32 v71, 24 :: v_dual_add_nc_u32 v64, 24, v69
	v_mov_b32_e32 v69, 8
	ds_load_2addr_b64 v[16:19], v68 offset0:131 offset1:147
	ds_load_2addr_b64 v[20:23], v68 offset0:163 offset1:179
	;; [unrolled: 1-line block ×12, first 2 shown]
	ds_load_2addr_stride64_b64 v[64:67], v64 offset1:4
	v_dual_mov_b32 v68, 0 :: v_dual_mov_b32 v73, 40
	v_dual_mov_b32 v70, 16 :: v_dual_mov_b32 v75, 56
	;; [unrolled: 1-line block ×5, first 2 shown]
	v_mov_b32_e32 v78, 0x50
	v_mov_b32_e32 v80, 0x60
	v_mov_b32_e32 v82, 0x70
	v_mov_b32_e32 v83, 0x78
	v_mov_b32_e32 v84, 0x80
	v_mov_b32_e32 v85, 0x88
	v_mov_b32_e32 v88, 0x90
	v_mov_b32_e32 v89, 0x98
	v_mov_b32_e32 v90, 0xa0
	v_mov_b32_e32 v91, 0xa8
	v_mov_b32_e32 v92, 0xb0
	v_mov_b32_e32 v93, 0xb8
	v_mov_b32_e32 v94, 0xc0
	v_mov_b32_e32 v95, 0xc8
	v_mov_b32_e32 v96, 0xd0
	v_mov_b32_e32 v97, 0xd8
	v_mov_b32_e32 v98, 0xe0
	v_mov_b32_e32 v99, 0xe8
	v_mov_b32_e32 v100, 0xf0
	v_mov_b32_e32 v101, 0xf8
	s_mov_b64 s[2:3], 0
	s_mov_b32 s10, -1
.LBB148_42:                             ; =>This Inner Loop Header: Depth=1
	scratch_load_b64 v[102:103], v68, off
	scratch_load_b64 v[104:105], v69, off
	;; [unrolled: 1-line block ×32, first 2 shown]
	s_cmp_eq_u32 s2, 1
	s_waitcnt lgkmcnt(16)
	v_max_f64 v[168:169], v[0:1], v[0:1]
	s_cselect_b32 vcc_lo, -1, 0
	v_max_f64 v[170:171], v[2:3], v[2:3]
	s_waitcnt lgkmcnt(0)
	v_dual_cndmask_b32 v167, v65, v67 :: v_dual_cndmask_b32 v166, v64, v66
	v_max_f64 v[172:173], v[4:5], v[4:5]
	v_max_f64 v[174:175], v[6:7], v[6:7]
	v_max_f64 v[176:177], v[8:9], v[8:9]
	v_max_f64 v[178:179], v[10:11], v[10:11]
	v_max_f64 v[166:167], v[166:167], v[166:167]
	v_max_f64 v[180:181], v[12:13], v[12:13]
	v_max_f64 v[182:183], v[14:15], v[14:15]
	v_max_f64 v[184:185], v[16:17], v[16:17]
	v_max_f64 v[186:187], v[18:19], v[18:19]
	v_max_f64 v[188:189], v[20:21], v[20:21]
	v_max_f64 v[190:191], v[22:23], v[22:23]
	v_max_f64 v[192:193], v[24:25], v[24:25]
	v_max_f64 v[194:195], v[26:27], v[26:27]
	v_max_f64 v[196:197], v[28:29], v[28:29]
	v_max_f64 v[198:199], v[30:31], v[30:31]
	v_max_f64 v[200:201], v[32:33], v[32:33]
	v_max_f64 v[202:203], v[34:35], v[34:35]
	v_max_f64 v[204:205], v[36:37], v[36:37]
	v_max_f64 v[206:207], v[38:39], v[38:39]
	v_max_f64 v[208:209], v[40:41], v[40:41]
	v_max_f64 v[210:211], v[42:43], v[42:43]
	v_max_f64 v[212:213], v[44:45], v[44:45]
	v_max_f64 v[214:215], v[46:47], v[46:47]
	v_max_f64 v[216:217], v[48:49], v[48:49]
	v_max_f64 v[218:219], v[50:51], v[50:51]
	v_max_f64 v[220:221], v[52:53], v[52:53]
	v_max_f64 v[222:223], v[54:55], v[54:55]
	v_max_f64 v[224:225], v[56:57], v[56:57]
	v_max_f64 v[226:227], v[58:59], v[58:59]
	v_max_f64 v[228:229], v[60:61], v[60:61]
	v_max_f64 v[230:231], v[62:63], v[62:63]
	s_mov_b64 s[2:3], 1
	s_and_b32 vcc_lo, exec_lo, s10
	s_mov_b32 s10, 0
	v_min_f64 v[168:169], v[168:169], v[166:167]
	v_min_f64 v[170:171], v[170:171], v[166:167]
	;; [unrolled: 1-line block ×32, first 2 shown]
	s_waitcnt vmcnt(31)
	v_add_f64 v[102:103], v[102:103], v[168:169]
	s_waitcnt vmcnt(30)
	v_add_f64 v[104:105], v[170:171], v[104:105]
	;; [unrolled: 2-line block ×32, first 2 shown]
	scratch_store_b64 v68, v[102:103], off
	scratch_store_b64 v69, v[104:105], off
	;; [unrolled: 1-line block ×32, first 2 shown]
	v_mov_b32_e32 v68, 0x100
	v_mov_b32_e32 v69, 0x108
	;; [unrolled: 1-line block ×32, first 2 shown]
	s_cbranch_vccnz .LBB148_42
; %bb.43:
	scratch_load_b64 v[2:3], off, off
	s_load_b32 s3, s[0:1], 0x58
	v_dual_mov_b32 v4, 0 :: v_dual_add_nc_u32 v71, s15, v87
	v_dual_mov_b32 v5, 0 :: v_dual_add_nc_u32 v16, s14, v86
	v_mov_b32_e32 v8, 0
	v_mov_b32_e32 v9, 0
	s_and_b32 s2, exec_lo, s18
	s_delay_alu instid0(VALU_DEP_3) | instskip(SKIP_2) | instid1(VALU_DEP_1)
	v_ashrrev_i32_e32 v17, 31, v16
	s_waitcnt lgkmcnt(0)
	v_mad_i64_i32 v[0:1], null, v71, s3, 0
	v_lshlrev_b64 v[0:1], 3, v[0:1]
	s_delay_alu instid0(VALU_DEP_1) | instskip(NEXT) | instid1(VALU_DEP_2)
	v_add_co_u32 v72, vcc_lo, s4, v0
	v_add_co_ci_u32_e32 v73, vcc_lo, s5, v1, vcc_lo
	v_lshlrev_b64 v[0:1], 3, v[16:17]
	s_mov_b32 vcc_lo, s2
	s_cbranch_vccz .LBB148_45
; %bb.44:
	s_delay_alu instid0(VALU_DEP_1) | instskip(NEXT) | instid1(VALU_DEP_2)
	v_add_co_u32 v6, vcc_lo, v72, v0
	v_add_co_ci_u32_e32 v7, vcc_lo, v73, v1, vcc_lo
	flat_load_b64 v[6:7], v[6:7]
	s_waitcnt vmcnt(0) lgkmcnt(0)
	v_mul_f64 v[8:9], v[6:7], s[6:7]
.LBB148_45:
	scratch_load_b64 v[6:7], off, off offset:8
	s_clause 0x1
	s_load_b32 s10, s[0:1], 0x70
	s_load_b64 s[0:1], s[0:1], 0x78
	s_waitcnt vmcnt(1)
	v_add_f64 v[8:9], v[2:3], v[8:9]
	v_add_nc_u32_e32 v10, 4, v16
	v_cndmask_b32_e64 v12, 0, 1, s18
	s_delay_alu instid0(VALU_DEP_2)
	v_ashrrev_i32_e32 v11, 31, v10
	s_waitcnt lgkmcnt(0)
	v_mad_i64_i32 v[2:3], null, v71, s10, 0
	s_lshl_b64 s[12:13], s[0:1], 3
	v_cmp_ne_u32_e64 s0, 1, v12
	s_add_u32 s1, s8, s12
	s_addc_u32 s8, s9, s13
	s_delay_alu instid0(VALU_DEP_2) | instskip(NEXT) | instid1(VALU_DEP_1)
	v_lshlrev_b64 v[2:3], 3, v[2:3]
	v_add_co_u32 v74, vcc_lo, s1, v2
	s_delay_alu instid0(VALU_DEP_2) | instskip(SKIP_1) | instid1(VALU_DEP_3)
	v_add_co_ci_u32_e32 v75, vcc_lo, s8, v3, vcc_lo
	v_lshlrev_b64 v[2:3], 3, v[10:11]
	v_add_co_u32 v12, vcc_lo, v74, v0
	s_delay_alu instid0(VALU_DEP_3)
	v_add_co_ci_u32_e32 v13, vcc_lo, v75, v1, vcc_lo
	s_and_not1_b32 vcc_lo, exec_lo, s18
	global_store_b64 v[12:13], v[8:9], off
	s_cbranch_vccnz .LBB148_47
; %bb.46:
	v_add_co_u32 v4, vcc_lo, v72, v2
	v_add_co_ci_u32_e32 v5, vcc_lo, v73, v3, vcc_lo
	flat_load_b64 v[4:5], v[4:5]
	s_waitcnt vmcnt(0) lgkmcnt(0)
	v_mul_f64 v[4:5], v[4:5], s[6:7]
.LBB148_47:
	scratch_load_b64 v[10:11], off, off offset:16
	s_waitcnt vmcnt(1)
	v_add_f64 v[12:13], v[6:7], v[4:5]
	v_add_nc_u32_e32 v4, 8, v16
	v_mov_b32_e32 v8, 0
	v_mov_b32_e32 v9, 0
	v_add_co_u32 v14, vcc_lo, v74, v2
	s_delay_alu instid0(VALU_DEP_4) | instskip(SKIP_3) | instid1(VALU_DEP_4)
	v_ashrrev_i32_e32 v5, 31, v4
	v_mov_b32_e32 v6, 0
	v_mov_b32_e32 v7, 0
	v_add_co_ci_u32_e32 v15, vcc_lo, v75, v3, vcc_lo
	v_lshlrev_b64 v[4:5], 3, v[4:5]
	s_and_b32 vcc_lo, exec_lo, s0
	global_store_b64 v[14:15], v[12:13], off
	s_cbranch_vccnz .LBB148_49
; %bb.48:
	v_add_co_u32 v6, vcc_lo, v72, v4
	v_add_co_ci_u32_e32 v7, vcc_lo, v73, v5, vcc_lo
	flat_load_b64 v[6:7], v[6:7]
	s_waitcnt vmcnt(0) lgkmcnt(0)
	v_mul_f64 v[6:7], v[6:7], s[6:7]
.LBB148_49:
	scratch_load_b64 v[12:13], off, off offset:24
	s_waitcnt vmcnt(1)
	v_add_f64 v[10:11], v[10:11], v[6:7]
	v_add_nc_u32_e32 v6, 12, v16
	v_add_co_u32 v14, vcc_lo, v74, v4
	v_add_co_ci_u32_e32 v15, vcc_lo, v75, v5, vcc_lo
	s_delay_alu instid0(VALU_DEP_3) | instskip(SKIP_1) | instid1(VALU_DEP_1)
	v_ashrrev_i32_e32 v7, 31, v6
	s_and_b32 vcc_lo, exec_lo, s0
	v_lshlrev_b64 v[6:7], 3, v[6:7]
	global_store_b64 v[14:15], v[10:11], off
	s_cbranch_vccnz .LBB148_51
; %bb.50:
	v_add_co_u32 v8, vcc_lo, v72, v6
	v_add_co_ci_u32_e32 v9, vcc_lo, v73, v7, vcc_lo
	flat_load_b64 v[8:9], v[8:9]
	s_waitcnt vmcnt(0) lgkmcnt(0)
	v_mul_f64 v[8:9], v[8:9], s[6:7]
.LBB148_51:
	scratch_load_b64 v[10:11], off, off offset:32
	s_waitcnt vmcnt(1)
	v_add_f64 v[17:18], v[12:13], v[8:9]
	v_add_nc_u32_e32 v8, 16, v16
	v_mov_b32_e32 v12, 0
	v_mov_b32_e32 v13, 0
	v_add_co_u32 v19, vcc_lo, v74, v6
	s_delay_alu instid0(VALU_DEP_4) | instskip(SKIP_3) | instid1(VALU_DEP_4)
	v_ashrrev_i32_e32 v9, 31, v8
	v_mov_b32_e32 v14, 0
	v_mov_b32_e32 v15, 0
	v_add_co_ci_u32_e32 v20, vcc_lo, v75, v7, vcc_lo
	v_lshlrev_b64 v[8:9], 3, v[8:9]
	s_and_b32 vcc_lo, exec_lo, s0
	global_store_b64 v[19:20], v[17:18], off
	s_cbranch_vccnz .LBB148_53
; %bb.52:
	v_add_co_u32 v14, vcc_lo, v72, v8
	v_add_co_ci_u32_e32 v15, vcc_lo, v73, v9, vcc_lo
	flat_load_b64 v[14:15], v[14:15]
	s_waitcnt vmcnt(0) lgkmcnt(0)
	v_mul_f64 v[14:15], v[14:15], s[6:7]
.LBB148_53:
	scratch_load_b64 v[17:18], off, off offset:40
	s_waitcnt vmcnt(1)
	v_add_f64 v[14:15], v[10:11], v[14:15]
	v_add_nc_u32_e32 v10, 20, v16
	v_add_co_u32 v19, vcc_lo, v74, v8
	v_add_co_ci_u32_e32 v20, vcc_lo, v75, v9, vcc_lo
	s_delay_alu instid0(VALU_DEP_3) | instskip(SKIP_1) | instid1(VALU_DEP_1)
	v_ashrrev_i32_e32 v11, 31, v10
	s_and_b32 vcc_lo, exec_lo, s0
	v_lshlrev_b64 v[10:11], 3, v[10:11]
	global_store_b64 v[19:20], v[14:15], off
	s_cbranch_vccnz .LBB148_55
; %bb.54:
	v_add_co_u32 v12, vcc_lo, v72, v10
	v_add_co_ci_u32_e32 v13, vcc_lo, v73, v11, vcc_lo
	flat_load_b64 v[12:13], v[12:13]
	s_waitcnt vmcnt(0) lgkmcnt(0)
	v_mul_f64 v[12:13], v[12:13], s[6:7]
.LBB148_55:
	scratch_load_b64 v[14:15], off, off offset:48
	s_waitcnt vmcnt(1)
	v_add_f64 v[21:22], v[17:18], v[12:13]
	v_dual_mov_b32 v17, 0 :: v_dual_add_nc_u32 v12, 24, v16
	v_add_co_u32 v23, vcc_lo, v74, v10
	v_dual_mov_b32 v18, 0 :: v_dual_mov_b32 v19, 0
	s_delay_alu instid0(VALU_DEP_3) | instskip(SKIP_3) | instid1(VALU_DEP_3)
	v_ashrrev_i32_e32 v13, 31, v12
	v_add_co_ci_u32_e32 v24, vcc_lo, v75, v11, vcc_lo
	v_mov_b32_e32 v20, 0
	s_and_b32 vcc_lo, exec_lo, s0
	v_lshlrev_b64 v[12:13], 3, v[12:13]
	global_store_b64 v[23:24], v[21:22], off
	s_cbranch_vccnz .LBB148_57
; %bb.56:
	v_add_co_u32 v19, vcc_lo, v72, v12
	v_add_co_ci_u32_e32 v20, vcc_lo, v73, v13, vcc_lo
	flat_load_b64 v[19:20], v[19:20]
	s_waitcnt vmcnt(0) lgkmcnt(0)
	v_mul_f64 v[19:20], v[19:20], s[6:7]
.LBB148_57:
	scratch_load_b64 v[21:22], off, off offset:56
	s_waitcnt vmcnt(1)
	v_add_f64 v[19:20], v[14:15], v[19:20]
	v_add_nc_u32_e32 v14, 28, v16
	v_add_co_u32 v23, vcc_lo, v74, v12
	v_add_co_ci_u32_e32 v24, vcc_lo, v75, v13, vcc_lo
	s_delay_alu instid0(VALU_DEP_3) | instskip(SKIP_1) | instid1(VALU_DEP_1)
	v_ashrrev_i32_e32 v15, 31, v14
	s_and_b32 vcc_lo, exec_lo, s0
	v_lshlrev_b64 v[14:15], 3, v[14:15]
	global_store_b64 v[23:24], v[19:20], off
	s_cbranch_vccnz .LBB148_59
; %bb.58:
	v_add_co_u32 v17, vcc_lo, v72, v14
	v_add_co_ci_u32_e32 v18, vcc_lo, v73, v15, vcc_lo
	flat_load_b64 v[17:18], v[17:18]
	s_waitcnt vmcnt(0) lgkmcnt(0)
	v_mul_f64 v[17:18], v[17:18], s[6:7]
.LBB148_59:
	scratch_load_b64 v[19:20], off, off offset:64
	s_waitcnt vmcnt(1)
	v_add_f64 v[25:26], v[21:22], v[17:18]
	v_add_nc_u32_e32 v17, 32, v16
	v_mov_b32_e32 v21, 0
	v_mov_b32_e32 v22, 0
	v_add_co_u32 v27, vcc_lo, v74, v14
	s_delay_alu instid0(VALU_DEP_4) | instskip(SKIP_3) | instid1(VALU_DEP_4)
	v_ashrrev_i32_e32 v18, 31, v17
	v_mov_b32_e32 v23, 0
	v_mov_b32_e32 v24, 0
	v_add_co_ci_u32_e32 v28, vcc_lo, v75, v15, vcc_lo
	v_lshlrev_b64 v[17:18], 3, v[17:18]
	s_and_b32 vcc_lo, exec_lo, s0
	global_store_b64 v[27:28], v[25:26], off
	s_cbranch_vccnz .LBB148_61
; %bb.60:
	v_add_co_u32 v23, vcc_lo, v72, v17
	v_add_co_ci_u32_e32 v24, vcc_lo, v73, v18, vcc_lo
	flat_load_b64 v[23:24], v[23:24]
	s_waitcnt vmcnt(0) lgkmcnt(0)
	v_mul_f64 v[23:24], v[23:24], s[6:7]
.LBB148_61:
	scratch_load_b64 v[25:26], off, off offset:72
	s_waitcnt vmcnt(1)
	v_add_f64 v[23:24], v[19:20], v[23:24]
	v_add_nc_u32_e32 v19, 36, v16
	v_add_co_u32 v27, vcc_lo, v74, v17
	v_add_co_ci_u32_e32 v28, vcc_lo, v75, v18, vcc_lo
	s_delay_alu instid0(VALU_DEP_3) | instskip(SKIP_1) | instid1(VALU_DEP_1)
	v_ashrrev_i32_e32 v20, 31, v19
	s_and_b32 vcc_lo, exec_lo, s0
	v_lshlrev_b64 v[19:20], 3, v[19:20]
	global_store_b64 v[27:28], v[23:24], off
	s_cbranch_vccnz .LBB148_63
; %bb.62:
	v_add_co_u32 v21, vcc_lo, v72, v19
	v_add_co_ci_u32_e32 v22, vcc_lo, v73, v20, vcc_lo
	flat_load_b64 v[21:22], v[21:22]
	s_waitcnt vmcnt(0) lgkmcnt(0)
	v_mul_f64 v[21:22], v[21:22], s[6:7]
.LBB148_63:
	scratch_load_b64 v[23:24], off, off offset:80
	s_waitcnt vmcnt(1)
	v_add_f64 v[29:30], v[25:26], v[21:22]
	v_add_nc_u32_e32 v21, 40, v16
	v_mov_b32_e32 v25, 0
	v_mov_b32_e32 v26, 0
	v_add_co_u32 v31, vcc_lo, v74, v19
	s_delay_alu instid0(VALU_DEP_4) | instskip(SKIP_3) | instid1(VALU_DEP_4)
	v_ashrrev_i32_e32 v22, 31, v21
	v_mov_b32_e32 v27, 0
	v_mov_b32_e32 v28, 0
	v_add_co_ci_u32_e32 v32, vcc_lo, v75, v20, vcc_lo
	v_lshlrev_b64 v[21:22], 3, v[21:22]
	s_and_b32 vcc_lo, exec_lo, s0
	;; [unrolled: 42-line block ×12, first 2 shown]
	global_store_b64 v[76:77], v[67:68], off
	s_cbranch_vccnz .LBB148_105
; %bb.104:
	v_add_co_u32 v67, vcc_lo, v72, v61
	v_add_co_ci_u32_e32 v68, vcc_lo, v73, v62, vcc_lo
	flat_load_b64 v[67:68], v[67:68]
	s_waitcnt vmcnt(0) lgkmcnt(0)
	v_mul_f64 v[69:70], v[67:68], s[6:7]
.LBB148_105:
	scratch_load_b64 v[67:68], off, off offset:248
	s_waitcnt vmcnt(1)
	v_add_f64 v[69:70], v[63:64], v[69:70]
	v_add_nc_u32_e32 v63, 0x7c, v16
	v_add_co_u32 v76, vcc_lo, v74, v61
	v_add_co_ci_u32_e32 v77, vcc_lo, v75, v62, vcc_lo
	s_delay_alu instid0(VALU_DEP_3) | instskip(SKIP_1) | instid1(VALU_DEP_1)
	v_ashrrev_i32_e32 v64, 31, v63
	s_and_b32 vcc_lo, exec_lo, s0
	v_lshlrev_b64 v[63:64], 3, v[63:64]
	global_store_b64 v[76:77], v[69:70], off
	s_cbranch_vccnz .LBB148_107
; %bb.106:
	v_add_co_u32 v65, vcc_lo, v72, v63
	v_add_co_ci_u32_e32 v66, vcc_lo, v73, v64, vcc_lo
	flat_load_b64 v[65:66], v[65:66]
	s_waitcnt vmcnt(0) lgkmcnt(0)
	v_mul_f64 v[65:66], v[65:66], s[6:7]
.LBB148_107:
	scratch_load_b64 v[69:70], off, off offset:256
	s_waitcnt vmcnt(1)
	v_add_f64 v[67:68], v[67:68], v[65:66]
	v_add_nc_u32_e32 v76, 64, v71
	v_add_co_u32 v74, vcc_lo, v74, v63
	v_add_co_ci_u32_e32 v75, vcc_lo, v75, v64, vcc_lo
	s_delay_alu instid0(VALU_DEP_3) | instskip(SKIP_2) | instid1(VALU_DEP_3)
	v_mad_i64_i32 v[65:66], null, v76, s3, 0
	v_mov_b32_e32 v71, 0
	v_mov_b32_e32 v72, 0
	v_lshlrev_b64 v[77:78], 3, v[65:66]
	v_mov_b32_e32 v65, 0
	v_mov_b32_e32 v66, 0
	s_delay_alu instid0(VALU_DEP_3) | instskip(NEXT) | instid1(VALU_DEP_4)
	v_add_co_u32 v16, vcc_lo, s4, v77
	v_add_co_ci_u32_e32 v73, vcc_lo, s5, v78, vcc_lo
	s_mov_b32 vcc_lo, s2
	global_store_b64 v[74:75], v[67:68], off
	s_cbranch_vccz .LBB148_109
; %bb.108:
	v_add_co_u32 v67, vcc_lo, v16, v0
	v_add_co_ci_u32_e32 v68, vcc_lo, v73, v1, vcc_lo
	flat_load_b64 v[67:68], v[67:68]
	s_waitcnt vmcnt(0) lgkmcnt(0)
	v_mul_f64 v[71:72], v[67:68], s[6:7]
.LBB148_109:
	scratch_load_b64 v[67:68], off, off offset:264
	s_waitcnt vmcnt(1)
	v_add_f64 v[69:70], v[69:70], v[71:72]
	v_mad_i64_i32 v[71:72], null, v76, s10, 0
	s_delay_alu instid0(VALU_DEP_1) | instskip(NEXT) | instid1(VALU_DEP_1)
	v_lshlrev_b64 v[71:72], 3, v[71:72]
	v_add_co_u32 v71, vcc_lo, s1, v71
	s_delay_alu instid0(VALU_DEP_2) | instskip(NEXT) | instid1(VALU_DEP_2)
	v_add_co_ci_u32_e32 v72, vcc_lo, s8, v72, vcc_lo
	v_add_co_u32 v0, vcc_lo, v71, v0
	s_delay_alu instid0(VALU_DEP_2)
	v_add_co_ci_u32_e32 v1, vcc_lo, v72, v1, vcc_lo
	s_and_b32 vcc_lo, exec_lo, s0
	global_store_b64 v[0:1], v[69:70], off
	s_cbranch_vccnz .LBB148_111
; %bb.110:
	v_add_co_u32 v0, vcc_lo, v16, v2
	v_add_co_ci_u32_e32 v1, vcc_lo, v73, v3, vcc_lo
	flat_load_b64 v[0:1], v[0:1]
	s_waitcnt vmcnt(0) lgkmcnt(0)
	v_mul_f64 v[65:66], v[0:1], s[6:7]
.LBB148_111:
	scratch_load_b64 v[69:70], off, off offset:272
	s_waitcnt vmcnt(1)
	v_add_f64 v[65:66], v[67:68], v[65:66]
	v_add_co_u32 v67, vcc_lo, v71, v2
	v_mov_b32_e32 v0, 0
	v_add_co_ci_u32_e32 v68, vcc_lo, v72, v3, vcc_lo
	v_dual_mov_b32 v1, 0 :: v_dual_mov_b32 v2, 0
	v_mov_b32_e32 v3, 0
	s_and_b32 vcc_lo, exec_lo, s0
	global_store_b64 v[67:68], v[65:66], off
	s_cbranch_vccnz .LBB148_113
; %bb.112:
	v_add_co_u32 v2, vcc_lo, v16, v4
	v_add_co_ci_u32_e32 v3, vcc_lo, v73, v5, vcc_lo
	flat_load_b64 v[2:3], v[2:3]
	s_waitcnt vmcnt(0) lgkmcnt(0)
	v_mul_f64 v[2:3], v[2:3], s[6:7]
.LBB148_113:
	scratch_load_b64 v[65:66], off, off offset:280
	s_waitcnt vmcnt(1)
	v_add_f64 v[2:3], v[69:70], v[2:3]
	v_add_co_u32 v4, vcc_lo, v71, v4
	v_add_co_ci_u32_e32 v5, vcc_lo, v72, v5, vcc_lo
	s_and_b32 vcc_lo, exec_lo, s0
	global_store_b64 v[4:5], v[2:3], off
	s_cbranch_vccnz .LBB148_115
; %bb.114:
	v_add_co_u32 v0, vcc_lo, v16, v6
	v_add_co_ci_u32_e32 v1, vcc_lo, v73, v7, vcc_lo
	flat_load_b64 v[0:1], v[0:1]
	s_waitcnt vmcnt(0) lgkmcnt(0)
	v_mul_f64 v[0:1], v[0:1], s[6:7]
.LBB148_115:
	scratch_load_b64 v[2:3], off, off offset:288
	s_waitcnt vmcnt(1)
	v_add_f64 v[4:5], v[65:66], v[0:1]
	v_add_co_u32 v65, vcc_lo, v71, v6
	v_mov_b32_e32 v0, 0
	v_add_co_ci_u32_e32 v66, vcc_lo, v72, v7, vcc_lo
	v_dual_mov_b32 v1, 0 :: v_dual_mov_b32 v6, 0
	v_mov_b32_e32 v7, 0
	s_and_b32 vcc_lo, exec_lo, s0
	global_store_b64 v[65:66], v[4:5], off
	s_cbranch_vccnz .LBB148_117
; %bb.116:
	v_add_co_u32 v4, vcc_lo, v16, v8
	v_add_co_ci_u32_e32 v5, vcc_lo, v73, v9, vcc_lo
	flat_load_b64 v[4:5], v[4:5]
	s_waitcnt vmcnt(0) lgkmcnt(0)
	v_mul_f64 v[6:7], v[4:5], s[6:7]
.LBB148_117:
	scratch_load_b64 v[4:5], off, off offset:296
	s_waitcnt vmcnt(1)
	v_add_f64 v[2:3], v[2:3], v[6:7]
	v_add_co_u32 v6, vcc_lo, v71, v8
	v_add_co_ci_u32_e32 v7, vcc_lo, v72, v9, vcc_lo
	s_and_b32 vcc_lo, exec_lo, s0
	global_store_b64 v[6:7], v[2:3], off
	s_cbranch_vccnz .LBB148_119
; %bb.118:
	v_add_co_u32 v0, vcc_lo, v16, v10
	v_add_co_ci_u32_e32 v1, vcc_lo, v73, v11, vcc_lo
	flat_load_b64 v[0:1], v[0:1]
	s_waitcnt vmcnt(0) lgkmcnt(0)
	v_mul_f64 v[0:1], v[0:1], s[6:7]
.LBB148_119:
	scratch_load_b64 v[2:3], off, off offset:304
	s_waitcnt vmcnt(1)
	v_add_f64 v[4:5], v[4:5], v[0:1]
	v_add_co_u32 v8, vcc_lo, v71, v10
	v_mov_b32_e32 v0, 0
	v_dual_mov_b32 v1, 0 :: v_dual_mov_b32 v6, 0
	v_add_co_ci_u32_e32 v9, vcc_lo, v72, v11, vcc_lo
	v_mov_b32_e32 v7, 0
	s_and_b32 vcc_lo, exec_lo, s0
	global_store_b64 v[8:9], v[4:5], off
	s_cbranch_vccnz .LBB148_121
; %bb.120:
	v_add_co_u32 v4, vcc_lo, v16, v12
	v_add_co_ci_u32_e32 v5, vcc_lo, v73, v13, vcc_lo
	flat_load_b64 v[4:5], v[4:5]
	s_waitcnt vmcnt(0) lgkmcnt(0)
	v_mul_f64 v[6:7], v[4:5], s[6:7]
.LBB148_121:
	scratch_load_b64 v[4:5], off, off offset:312
	s_waitcnt vmcnt(1)
	v_add_f64 v[2:3], v[2:3], v[6:7]
	v_add_co_u32 v6, vcc_lo, v71, v12
	v_add_co_ci_u32_e32 v7, vcc_lo, v72, v13, vcc_lo
	s_and_b32 vcc_lo, exec_lo, s0
	global_store_b64 v[6:7], v[2:3], off
	s_cbranch_vccnz .LBB148_123
; %bb.122:
	v_add_co_u32 v0, vcc_lo, v16, v14
	v_add_co_ci_u32_e32 v1, vcc_lo, v73, v15, vcc_lo
	flat_load_b64 v[0:1], v[0:1]
	s_waitcnt vmcnt(0) lgkmcnt(0)
	v_mul_f64 v[0:1], v[0:1], s[6:7]
.LBB148_123:
	scratch_load_b64 v[2:3], off, off offset:320
	s_waitcnt vmcnt(1)
	v_add_f64 v[4:5], v[4:5], v[0:1]
	v_add_co_u32 v8, vcc_lo, v71, v14
	v_mov_b32_e32 v0, 0
	v_dual_mov_b32 v1, 0 :: v_dual_mov_b32 v6, 0
	v_add_co_ci_u32_e32 v9, vcc_lo, v72, v15, vcc_lo
	;; [unrolled: 33-line block ×13, first 2 shown]
	v_mov_b32_e32 v7, 0
	s_and_b32 vcc_lo, exec_lo, s0
	global_store_b64 v[8:9], v[4:5], off
	s_cbranch_vccnz .LBB148_169
; %bb.168:
	v_add_co_u32 v4, vcc_lo, v16, v61
	v_add_co_ci_u32_e32 v5, vcc_lo, v73, v62, vcc_lo
	flat_load_b64 v[4:5], v[4:5]
	s_waitcnt vmcnt(0) lgkmcnt(0)
	v_mul_f64 v[6:7], v[4:5], s[6:7]
.LBB148_169:
	scratch_load_b64 v[4:5], off, off offset:504
	s_waitcnt vmcnt(1)
	v_add_f64 v[2:3], v[2:3], v[6:7]
	v_add_co_u32 v6, vcc_lo, v71, v61
	v_add_co_ci_u32_e32 v7, vcc_lo, v72, v62, vcc_lo
	s_and_b32 vcc_lo, exec_lo, s0
	global_store_b64 v[6:7], v[2:3], off
	s_cbranch_vccnz .LBB148_171
; %bb.170:
	v_add_co_u32 v0, vcc_lo, v16, v63
	v_add_co_ci_u32_e32 v1, vcc_lo, v73, v64, vcc_lo
	flat_load_b64 v[0:1], v[0:1]
	s_waitcnt vmcnt(0) lgkmcnt(0)
	v_mul_f64 v[0:1], v[0:1], s[6:7]
.LBB148_171:
	s_waitcnt vmcnt(0)
	s_delay_alu instid0(VALU_DEP_1)
	v_add_f64 v[0:1], v[4:5], v[0:1]
	v_add_co_u32 v2, vcc_lo, v71, v63
	v_add_co_ci_u32_e32 v3, vcc_lo, v72, v64, vcc_lo
	global_store_b64 v[2:3], v[0:1], off
	s_endpgm
	.section	.rodata,"a",@progbits
	.p2align	6, 0x0
	.amdhsa_kernel _ZN12_GLOBAL__N_120geam_min_plus_kernelIdddLi4ELi64ELi128ELi128ELi4ELi4ELi64ELi64ELi4ELc84ELc84ELb1ELb0ELb0EdKPKdKPdEEviiiT16_PT17_ilS8_ilS6_S8_ilPT18_ili26rocblas_geam_ex_operation_
		.amdhsa_group_segment_fixed_size 16384
		.amdhsa_private_segment_fixed_size 528
		.amdhsa_kernarg_size 136
		.amdhsa_user_sgpr_count 14
		.amdhsa_user_sgpr_dispatch_ptr 0
		.amdhsa_user_sgpr_queue_ptr 0
		.amdhsa_user_sgpr_kernarg_segment_ptr 1
		.amdhsa_user_sgpr_dispatch_id 0
		.amdhsa_user_sgpr_private_segment_size 0
		.amdhsa_wavefront_size32 1
		.amdhsa_uses_dynamic_stack 0
		.amdhsa_enable_private_segment 1
		.amdhsa_system_sgpr_workgroup_id_x 1
		.amdhsa_system_sgpr_workgroup_id_y 0
		.amdhsa_system_sgpr_workgroup_id_z 1
		.amdhsa_system_sgpr_workgroup_info 0
		.amdhsa_system_vgpr_workitem_id 1
		.amdhsa_next_free_vgpr 255
		.amdhsa_next_free_sgpr 22
		.amdhsa_reserve_vcc 1
		.amdhsa_float_round_mode_32 0
		.amdhsa_float_round_mode_16_64 0
		.amdhsa_float_denorm_mode_32 3
		.amdhsa_float_denorm_mode_16_64 3
		.amdhsa_dx10_clamp 1
		.amdhsa_ieee_mode 1
		.amdhsa_fp16_overflow 0
		.amdhsa_workgroup_processor_mode 1
		.amdhsa_memory_ordered 1
		.amdhsa_forward_progress 0
		.amdhsa_shared_vgpr_count 0
		.amdhsa_exception_fp_ieee_invalid_op 0
		.amdhsa_exception_fp_denorm_src 0
		.amdhsa_exception_fp_ieee_div_zero 0
		.amdhsa_exception_fp_ieee_overflow 0
		.amdhsa_exception_fp_ieee_underflow 0
		.amdhsa_exception_fp_ieee_inexact 0
		.amdhsa_exception_int_div_zero 0
	.end_amdhsa_kernel
	.section	.text._ZN12_GLOBAL__N_120geam_min_plus_kernelIdddLi4ELi64ELi128ELi128ELi4ELi4ELi64ELi64ELi4ELc84ELc84ELb1ELb0ELb0EdKPKdKPdEEviiiT16_PT17_ilS8_ilS6_S8_ilPT18_ili26rocblas_geam_ex_operation_,"axG",@progbits,_ZN12_GLOBAL__N_120geam_min_plus_kernelIdddLi4ELi64ELi128ELi128ELi4ELi4ELi64ELi64ELi4ELc84ELc84ELb1ELb0ELb0EdKPKdKPdEEviiiT16_PT17_ilS8_ilS6_S8_ilPT18_ili26rocblas_geam_ex_operation_,comdat
.Lfunc_end148:
	.size	_ZN12_GLOBAL__N_120geam_min_plus_kernelIdddLi4ELi64ELi128ELi128ELi4ELi4ELi64ELi64ELi4ELc84ELc84ELb1ELb0ELb0EdKPKdKPdEEviiiT16_PT17_ilS8_ilS6_S8_ilPT18_ili26rocblas_geam_ex_operation_, .Lfunc_end148-_ZN12_GLOBAL__N_120geam_min_plus_kernelIdddLi4ELi64ELi128ELi128ELi4ELi4ELi64ELi64ELi4ELc84ELc84ELb1ELb0ELb0EdKPKdKPdEEviiiT16_PT17_ilS8_ilS6_S8_ilPT18_ili26rocblas_geam_ex_operation_
                                        ; -- End function
	.section	.AMDGPU.csdata,"",@progbits
; Kernel info:
; codeLenInByte = 42996
; NumSgprs: 24
; NumVgprs: 255
; ScratchSize: 528
; MemoryBound: 1
; FloatMode: 240
; IeeeMode: 1
; LDSByteSize: 16384 bytes/workgroup (compile time only)
; SGPRBlocks: 2
; VGPRBlocks: 31
; NumSGPRsForWavesPerEU: 24
; NumVGPRsForWavesPerEU: 255
; Occupancy: 5
; WaveLimiterHint : 1
; COMPUTE_PGM_RSRC2:SCRATCH_EN: 1
; COMPUTE_PGM_RSRC2:USER_SGPR: 14
; COMPUTE_PGM_RSRC2:TRAP_HANDLER: 0
; COMPUTE_PGM_RSRC2:TGID_X_EN: 1
; COMPUTE_PGM_RSRC2:TGID_Y_EN: 0
; COMPUTE_PGM_RSRC2:TGID_Z_EN: 1
; COMPUTE_PGM_RSRC2:TIDIG_COMP_CNT: 1
	.section	.text._ZN12_GLOBAL__N_120geam_min_plus_kernelIdddLi4ELi64ELi128ELi128ELi4ELi4ELi64ELi64ELi4ELc84ELc84ELb0ELb0ELb0EdKPKdKPdEEviiiT16_PT17_ilS8_ilS6_S8_ilPT18_ili26rocblas_geam_ex_operation_,"axG",@progbits,_ZN12_GLOBAL__N_120geam_min_plus_kernelIdddLi4ELi64ELi128ELi128ELi4ELi4ELi64ELi64ELi4ELc84ELc84ELb0ELb0ELb0EdKPKdKPdEEviiiT16_PT17_ilS8_ilS6_S8_ilPT18_ili26rocblas_geam_ex_operation_,comdat
	.globl	_ZN12_GLOBAL__N_120geam_min_plus_kernelIdddLi4ELi64ELi128ELi128ELi4ELi4ELi64ELi64ELi4ELc84ELc84ELb0ELb0ELb0EdKPKdKPdEEviiiT16_PT17_ilS8_ilS6_S8_ilPT18_ili26rocblas_geam_ex_operation_ ; -- Begin function _ZN12_GLOBAL__N_120geam_min_plus_kernelIdddLi4ELi64ELi128ELi128ELi4ELi4ELi64ELi64ELi4ELc84ELc84ELb0ELb0ELb0EdKPKdKPdEEviiiT16_PT17_ilS8_ilS6_S8_ilPT18_ili26rocblas_geam_ex_operation_
	.p2align	8
	.type	_ZN12_GLOBAL__N_120geam_min_plus_kernelIdddLi4ELi64ELi128ELi128ELi4ELi4ELi64ELi64ELi4ELc84ELc84ELb0ELb0ELb0EdKPKdKPdEEviiiT16_PT17_ilS8_ilS6_S8_ilPT18_ili26rocblas_geam_ex_operation_,@function
_ZN12_GLOBAL__N_120geam_min_plus_kernelIdddLi4ELi64ELi128ELi128ELi4ELi4ELi64ELi64ELi4ELc84ELc84ELb0ELb0ELb0EdKPKdKPdEEviiiT16_PT17_ilS8_ilS6_S8_ilPT18_ili26rocblas_geam_ex_operation_: ; @_ZN12_GLOBAL__N_120geam_min_plus_kernelIdddLi4ELi64ELi128ELi128ELi4ELi4ELi64ELi64ELi4ELc84ELc84ELb0ELb0ELb0EdKPKdKPdEEviiiT16_PT17_ilS8_ilS6_S8_ilPT18_ili26rocblas_geam_ex_operation_
; %bb.0:
	s_clause 0x1
	s_load_b128 s[8:11], s[0:1], 0x10
	s_load_b128 s[16:19], s[0:1], 0x28
	s_mov_b32 s2, s15
	s_mov_b64 s[12:13], 0
	s_waitcnt lgkmcnt(0)
	v_cmp_eq_f64_e64 s15, s[8:9], 0
	s_delay_alu instid0(VALU_DEP_1)
	s_and_b32 vcc_lo, exec_lo, s15
	s_cbranch_vccnz .LBB149_2
; %bb.1:
	s_mov_b32 s3, 0
	s_delay_alu instid0(SALU_CYCLE_1) | instskip(NEXT) | instid1(SALU_CYCLE_1)
	s_lshl_b64 s[4:5], s[2:3], 3
	s_add_u32 s4, s10, s4
	s_addc_u32 s5, s11, s5
	s_lshl_b64 s[6:7], s[16:17], 3
	s_load_b64 s[4:5], s[4:5], 0x0
	s_waitcnt lgkmcnt(0)
	s_add_u32 s12, s4, s6
	s_addc_u32 s13, s5, s7
.LBB149_2:
	s_clause 0x1
	s_load_b128 s[4:7], s[0:1], 0x40
	s_load_b64 s[10:11], s[0:1], 0x50
	s_and_not1_b32 vcc_lo, exec_lo, s15
	s_cbranch_vccnz .LBB149_4
; %bb.3:
	s_mov_b32 s3, 0
	s_mov_b64 s[20:21], 0
	s_cbranch_execz .LBB149_5
	s_branch .LBB149_6
.LBB149_4:
	s_mov_b32 s3, -1
                                        ; implicit-def: $sgpr20_sgpr21
.LBB149_5:
	s_mov_b32 s3, 0
	s_delay_alu instid0(SALU_CYCLE_1) | instskip(NEXT) | instid1(SALU_CYCLE_1)
	s_lshl_b64 s[16:17], s[2:3], 3
	s_add_u32 s16, s18, s16
	s_addc_u32 s17, s19, s17
	s_waitcnt lgkmcnt(0)
	s_lshl_b64 s[4:5], s[4:5], 3
	s_load_b64 s[16:17], s[16:17], 0x0
	s_waitcnt lgkmcnt(0)
	s_add_u32 s20, s16, s4
	s_addc_u32 s21, s17, s5
.LBB149_6:
	s_waitcnt lgkmcnt(0)
	v_cmp_eq_f64_e64 s4, s[6:7], 0
	v_cmp_neq_f64_e64 s24, s[8:9], 0
	s_load_b128 s[16:19], s[0:1], 0x60
	s_delay_alu instid0(VALU_DEP_2)
	s_and_b32 vcc_lo, exec_lo, s4
	s_mov_b64 s[4:5], 0
	s_cbranch_vccnz .LBB149_8
; %bb.7:
	s_lshl_b64 s[4:5], s[2:3], 3
	s_delay_alu instid0(SALU_CYCLE_1)
	s_add_u32 s4, s10, s4
	s_addc_u32 s5, s11, s5
	s_waitcnt lgkmcnt(0)
	s_lshl_b64 s[10:11], s[16:17], 3
	s_load_b64 s[4:5], s[4:5], 0x0
	s_waitcnt lgkmcnt(0)
	s_add_u32 s4, s4, s10
	s_addc_u32 s5, s5, s11
.LBB149_8:
	s_load_b32 s15, s[0:1], 0x0
	s_lshl_b64 s[2:3], s[2:3], 3
	s_mov_b32 s10, 0
	s_waitcnt lgkmcnt(0)
	s_add_u32 s16, s18, s2
	s_addc_u32 s17, s19, s3
	s_mov_b32 s11, s10
	v_and_b32_e32 v81, 0x3ff, v0
	v_bfe_u32 v82, v0, 10, 10
	v_dual_mov_b32 v0, s10 :: v_dual_mov_b32 v1, s11
	s_load_b32 s3, s[0:1], 0x20
	s_load_b64 s[10:11], s[16:17], 0x0
	v_and_b32_e32 v83, 3, v81
	v_lshl_add_u32 v4, v82, 2, v81
	s_delay_alu instid0(VALU_DEP_2) | instskip(NEXT) | instid1(VALU_DEP_2)
	v_lshlrev_b32_e32 v9, 3, v83
	v_lshrrev_b32_e32 v8, 2, v4
	s_add_i32 s2, s15, -1
	s_delay_alu instid0(SALU_CYCLE_1) | instskip(NEXT) | instid1(SALU_CYCLE_1)
	s_ashr_i32 s15, s2, 31
	s_lshr_b32 s15, s15, 25
	s_delay_alu instid0(SALU_CYCLE_1) | instskip(NEXT) | instid1(SALU_CYCLE_1)
	s_add_i32 s2, s2, s15
	s_ashr_i32 s2, s2, 7
	s_delay_alu instid0(SALU_CYCLE_1) | instskip(SKIP_2) | instid1(VALU_DEP_1)
	s_add_i32 s16, s2, 1
	s_not_b32 s2, s2
	v_cvt_f32_u32_e32 v2, s16
	v_rcp_iflag_f32_e32 v2, v2
	s_waitcnt_depctr 0xfff
	v_mul_f32_e32 v2, 0x4f7ffffe, v2
	s_clause 0xa
	scratch_store_b64 off, v[0:1], off
	scratch_store_b64 off, v[0:1], off offset:8
	scratch_store_b64 off, v[0:1], off offset:16
	;; [unrolled: 1-line block ×10, first 2 shown]
	v_cvt_u32_f32_e32 v2, v2
	s_clause 0xe
	scratch_store_b64 off, v[0:1], off offset:88
	scratch_store_b64 off, v[0:1], off offset:96
	;; [unrolled: 1-line block ×15, first 2 shown]
	v_readfirstlane_b32 s15, v2
	v_cndmask_b32_e64 v2, 0, 1, s24
	s_clause 0x9
	scratch_store_b64 off, v[0:1], off offset:208
	scratch_store_b64 off, v[0:1], off offset:216
	;; [unrolled: 1-line block ×10, first 2 shown]
	s_mul_i32 s2, s2, s15
	s_clause 0x3
	scratch_store_b64 off, v[0:1], off offset:288
	scratch_store_b64 off, v[0:1], off offset:296
	;; [unrolled: 1-line block ×4, first 2 shown]
	s_mul_hi_u32 s2, s15, s2
	s_clause 0x3
	scratch_store_b64 off, v[0:1], off offset:320
	scratch_store_b64 off, v[0:1], off offset:328
	;; [unrolled: 1-line block ×4, first 2 shown]
	s_add_i32 s15, s15, s2
	s_clause 0x1
	scratch_store_b64 off, v[0:1], off offset:352
	scratch_store_b64 off, v[0:1], off offset:360
	s_mul_hi_u32 s2, s14, s15
	s_clause 0xa
	scratch_store_b64 off, v[0:1], off offset:368
	scratch_store_b64 off, v[0:1], off offset:376
	;; [unrolled: 1-line block ×11, first 2 shown]
	s_mul_i32 s15, s2, s16
	s_add_i32 s17, s2, 1
	s_sub_i32 s15, s14, s15
	s_clause 0x1
	scratch_store_b64 off, v[0:1], off offset:456
	scratch_store_b64 off, v[0:1], off offset:464
	s_sub_i32 s18, s15, s16
	s_cmp_ge_u32 s15, s16
	s_clause 0x2
	scratch_store_b64 off, v[0:1], off offset:472
	scratch_store_b64 off, v[0:1], off offset:480
	;; [unrolled: 1-line block ×3, first 2 shown]
	s_cselect_b32 s2, s17, s2
	s_cselect_b32 s15, s18, s15
	s_add_i32 s17, s2, 1
	s_cmp_ge_u32 s15, s16
	s_clause 0x1
	scratch_store_b64 off, v[0:1], off offset:496
	scratch_store_b64 off, v[0:1], off offset:504
	s_cselect_b32 s15, s17, s2
	s_and_not1_b32 vcc_lo, exec_lo, s24
	s_mul_i32 s2, s15, s16
	s_delay_alu instid0(SALU_CYCLE_1) | instskip(NEXT) | instid1(SALU_CYCLE_1)
	s_sub_i32 s2, s14, s2
	s_lshl_b32 s16, s2, 7
	v_cmp_ne_u32_e64 s2, 1, v2
	v_add_nc_u32_e32 v79, s16, v8
	s_delay_alu instid0(VALU_DEP_1)
	v_add_nc_u32_e32 v78, 64, v79
	s_cbranch_vccnz .LBB149_10
; %bb.9:
	s_waitcnt lgkmcnt(0)
	v_mad_i64_i32 v[0:1], null, v79, s3, 0
	s_delay_alu instid0(VALU_DEP_2) | instskip(SKIP_1) | instid1(VALU_DEP_1)
	v_mad_i64_i32 v[2:3], null, v78, s3, 0
	v_add_co_u32 v5, s14, s12, v9
	v_add_co_ci_u32_e64 v6, null, s13, 0, s14
	s_delay_alu instid0(VALU_DEP_4) | instskip(NEXT) | instid1(VALU_DEP_4)
	v_lshlrev_b64 v[0:1], 3, v[0:1]
	v_lshlrev_b64 v[2:3], 3, v[2:3]
	s_delay_alu instid0(VALU_DEP_2) | instskip(NEXT) | instid1(VALU_DEP_3)
	v_add_co_u32 v0, vcc_lo, v5, v0
	v_add_co_ci_u32_e32 v1, vcc_lo, v6, v1, vcc_lo
	s_delay_alu instid0(VALU_DEP_3) | instskip(NEXT) | instid1(VALU_DEP_4)
	v_add_co_u32 v2, vcc_lo, v5, v2
	v_add_co_ci_u32_e32 v3, vcc_lo, v6, v3, vcc_lo
	s_clause 0x1
	flat_load_b64 v[0:1], v[0:1]
	flat_load_b64 v[2:3], v[2:3]
	s_waitcnt vmcnt(1) lgkmcnt(1)
	v_mul_f64 v[0:1], v[0:1], s[8:9]
	s_waitcnt vmcnt(0) lgkmcnt(0)
	v_mul_f64 v[2:3], v[2:3], s[8:9]
	s_branch .LBB149_11
.LBB149_10:
	v_mov_b32_e32 v0, 0
	v_dual_mov_b32 v1, 0 :: v_dual_mov_b32 v2, 0
	v_mov_b32_e32 v3, 0
.LBB149_11:
	s_load_b32 s19, s[0:1], 0x38
	v_and_b32_e32 v10, 63, v4
	s_lshl_b32 s17, s15, 7
	v_lshrrev_b32_e32 v84, 6, v4
	s_and_b32 vcc_lo, exec_lo, s2
	s_delay_alu instid0(VALU_DEP_2) | instskip(NEXT) | instid1(VALU_DEP_1)
	v_or_b32_e32 v68, s17, v10
	v_ashrrev_i32_e32 v69, 31, v68
	s_waitcnt lgkmcnt(0)
	s_ashr_i32 s22, s19, 31
	s_cbranch_vccnz .LBB149_15
; %bb.12:
	v_mad_i64_i32 v[4:5], null, s19, v84, 0
	v_lshlrev_b64 v[6:7], 3, v[68:69]
	s_delay_alu instid0(VALU_DEP_2) | instskip(NEXT) | instid1(VALU_DEP_1)
	v_lshlrev_b64 v[4:5], 3, v[4:5]
	v_add_co_u32 v4, vcc_lo, s20, v4
	s_delay_alu instid0(VALU_DEP_2) | instskip(NEXT) | instid1(VALU_DEP_2)
	v_add_co_ci_u32_e32 v5, vcc_lo, s21, v5, vcc_lo
	v_add_co_u32 v4, vcc_lo, v4, v6
	s_delay_alu instid0(VALU_DEP_2)
	v_add_co_ci_u32_e32 v5, vcc_lo, v5, v7, vcc_lo
	s_clause 0x1
	flat_load_b64 v[6:7], v[4:5]
	flat_load_b64 v[11:12], v[4:5] offset:512
	s_waitcnt vmcnt(1) lgkmcnt(1)
	v_mul_f64 v[4:5], v[6:7], s[8:9]
	s_waitcnt vmcnt(0) lgkmcnt(0)
	v_mul_f64 v[6:7], v[11:12], s[8:9]
	s_and_b32 vcc_lo, exec_lo, s2
	s_cbranch_vccnz .LBB149_16
.LBB149_13:
	v_mad_i64_i32 v[11:12], null, v79, s3, 0
	v_mad_i64_i32 v[13:14], null, v78, s3, 0
	v_add_co_u32 v15, s14, s12, v9
	s_delay_alu instid0(VALU_DEP_1) | instskip(NEXT) | instid1(VALU_DEP_4)
	v_add_co_ci_u32_e64 v16, null, s13, 0, s14
	v_lshlrev_b64 v[11:12], 3, v[11:12]
	s_delay_alu instid0(VALU_DEP_4) | instskip(NEXT) | instid1(VALU_DEP_2)
	v_lshlrev_b64 v[13:14], 3, v[13:14]
	v_add_co_u32 v11, vcc_lo, v15, v11
	s_delay_alu instid0(VALU_DEP_3) | instskip(NEXT) | instid1(VALU_DEP_3)
	v_add_co_ci_u32_e32 v12, vcc_lo, v16, v12, vcc_lo
	v_add_co_u32 v13, vcc_lo, v15, v13
	s_delay_alu instid0(VALU_DEP_4)
	v_add_co_ci_u32_e32 v14, vcc_lo, v16, v14, vcc_lo
	s_clause 0x1
	flat_load_b64 v[11:12], v[11:12] offset:32
	flat_load_b64 v[13:14], v[13:14] offset:32
	s_waitcnt vmcnt(1) lgkmcnt(1)
	v_mul_f64 v[70:71], v[11:12], s[8:9]
	s_waitcnt vmcnt(0) lgkmcnt(0)
	v_mul_f64 v[72:73], v[13:14], s[8:9]
	v_add_nc_u32_e32 v85, 4, v84
	s_and_b32 vcc_lo, exec_lo, s2
	s_mov_b64 s[14:15], 0
	s_cbranch_vccnz .LBB149_17
.LBB149_14:
	s_delay_alu instid0(VALU_DEP_1) | instskip(SKIP_1) | instid1(VALU_DEP_2)
	v_mad_i64_i32 v[11:12], null, s19, v85, 0
	v_lshlrev_b64 v[13:14], 3, v[68:69]
	v_lshlrev_b64 v[11:12], 3, v[11:12]
	s_delay_alu instid0(VALU_DEP_1) | instskip(NEXT) | instid1(VALU_DEP_2)
	v_add_co_u32 v11, vcc_lo, s20, v11
	v_add_co_ci_u32_e32 v12, vcc_lo, s21, v12, vcc_lo
	s_delay_alu instid0(VALU_DEP_2) | instskip(NEXT) | instid1(VALU_DEP_2)
	v_add_co_u32 v11, vcc_lo, v11, v13
	v_add_co_ci_u32_e32 v12, vcc_lo, v12, v14, vcc_lo
	s_clause 0x1
	flat_load_b64 v[13:14], v[11:12]
	flat_load_b64 v[11:12], v[11:12] offset:512
	s_waitcnt vmcnt(1) lgkmcnt(1)
	v_mul_f64 v[74:75], v[13:14], s[8:9]
	s_waitcnt vmcnt(0) lgkmcnt(0)
	v_mul_f64 v[76:77], v[11:12], s[8:9]
	s_branch .LBB149_18
.LBB149_15:
	v_mov_b32_e32 v4, 0
	v_dual_mov_b32 v5, 0 :: v_dual_mov_b32 v6, 0
	v_mov_b32_e32 v7, 0
	s_and_b32 vcc_lo, exec_lo, s2
	s_cbranch_vccz .LBB149_13
.LBB149_16:
	v_mov_b32_e32 v70, 0
	v_dual_mov_b32 v71, 0 :: v_dual_mov_b32 v72, 0
	v_mov_b32_e32 v73, 0
	v_add_nc_u32_e32 v85, 4, v84
	s_and_b32 vcc_lo, exec_lo, s2
	s_mov_b64 s[14:15], 0
	s_cbranch_vccz .LBB149_14
.LBB149_17:
	v_mov_b32_e32 v74, 0
	v_dual_mov_b32 v75, 0 :: v_dual_mov_b32 v76, 0
	v_mov_b32_e32 v77, 0
.LBB149_18:
	v_cmp_neq_f64_e64 s18, s[6:7], 0
	v_dual_mov_b32 v91, 0 :: v_dual_lshlrev_b32 v10, 5, v10
	v_dual_mov_b32 v93, 16 :: v_dual_lshlrev_b32 v86, 5, v81
	v_lshl_or_b32 v87, v8, 5, v9
	s_delay_alu instid0(VALU_DEP_3) | instskip(NEXT) | instid1(VALU_DEP_3)
	v_lshl_add_u32 v80, v84, 3, v10
	v_dual_mov_b32 v95, 32 :: v_dual_add_nc_u32 v48, 0x800, v86
	v_dual_mov_b32 v97, 48 :: v_dual_lshlrev_b32 v88, 5, v82
	ds_store_2addr_stride64_b64 v87, v[0:1], v[2:3] offset1:4
	ds_store_2addr_stride64_b64 v80, v[4:5], v[6:7] offset0:16 offset1:20
	s_waitcnt lgkmcnt(0)
	s_waitcnt_vscnt null, 0x0
	s_barrier
	buffer_gl0_inv
	ds_load_2addr_b64 v[0:3], v86 offset1:16
	ds_load_2addr_b64 v[4:7], v86 offset0:32 offset1:48
	ds_load_2addr_b64 v[8:11], v86 offset0:64 offset1:80
	;; [unrolled: 1-line block ×4, first 2 shown]
	ds_load_2addr_b64 v[20:23], v48 offset1:16
	ds_load_2addr_b64 v[24:27], v48 offset0:32 offset1:48
	ds_load_2addr_b64 v[28:31], v48 offset0:64 offset1:80
	;; [unrolled: 1-line block ×10, first 2 shown]
	ds_load_2addr_stride64_b64 v[64:67], v88 offset0:16 offset1:20
	v_or_b32_e32 v89, 0x2000, v80
	v_dual_mov_b32 v99, 64 :: v_dual_add_nc_u32 v90, 0x2000, v88
	v_dual_mov_b32 v92, 8 :: v_dual_mov_b32 v101, 0x50
	v_dual_mov_b32 v94, 24 :: v_dual_mov_b32 v103, 0x60
	v_dual_mov_b32 v96, 40 :: v_dual_mov_b32 v105, 0x70
	v_dual_mov_b32 v98, 56 :: v_dual_mov_b32 v107, 0x80
	v_mov_b32_e32 v100, 0x48
	v_mov_b32_e32 v102, 0x58
	;; [unrolled: 1-line block ×19, first 2 shown]
	s_mov_b32 s23, -1
.LBB149_19:                             ; =>This Inner Loop Header: Depth=1
	scratch_load_b64 v[123:124], v91, off
	scratch_load_b64 v[125:126], v92, off
	;; [unrolled: 1-line block ×32, first 2 shown]
	s_cmp_eq_u32 s14, 1
	s_waitcnt lgkmcnt(16)
	v_max_f64 v[189:190], v[0:1], v[0:1]
	s_cselect_b32 vcc_lo, -1, 0
	v_max_f64 v[191:192], v[2:3], v[2:3]
	s_waitcnt lgkmcnt(0)
	v_dual_cndmask_b32 v188, v65, v67 :: v_dual_cndmask_b32 v187, v64, v66
	v_max_f64 v[193:194], v[4:5], v[4:5]
	v_max_f64 v[195:196], v[6:7], v[6:7]
	;; [unrolled: 1-line block ×31, first 2 shown]
	s_mov_b64 s[14:15], 1
	s_and_b32 vcc_lo, exec_lo, s23
	s_mov_b32 s23, 0
	v_min_f64 v[189:190], v[189:190], v[187:188]
	v_min_f64 v[191:192], v[191:192], v[187:188]
	v_min_f64 v[193:194], v[193:194], v[187:188]
	v_min_f64 v[195:196], v[195:196], v[187:188]
	v_min_f64 v[197:198], v[197:198], v[187:188]
	v_min_f64 v[199:200], v[199:200], v[187:188]
	v_min_f64 v[201:202], v[201:202], v[187:188]
	v_min_f64 v[203:204], v[203:204], v[187:188]
	v_min_f64 v[205:206], v[205:206], v[187:188]
	v_min_f64 v[207:208], v[207:208], v[187:188]
	v_min_f64 v[209:210], v[209:210], v[187:188]
	v_min_f64 v[211:212], v[211:212], v[187:188]
	v_min_f64 v[213:214], v[213:214], v[187:188]
	v_min_f64 v[215:216], v[215:216], v[187:188]
	v_min_f64 v[217:218], v[217:218], v[187:188]
	v_min_f64 v[219:220], v[219:220], v[187:188]
	v_min_f64 v[221:222], v[221:222], v[187:188]
	v_min_f64 v[223:224], v[223:224], v[187:188]
	v_min_f64 v[225:226], v[225:226], v[187:188]
	v_min_f64 v[227:228], v[227:228], v[187:188]
	v_min_f64 v[229:230], v[229:230], v[187:188]
	v_min_f64 v[231:232], v[231:232], v[187:188]
	v_min_f64 v[233:234], v[233:234], v[187:188]
	v_min_f64 v[235:236], v[235:236], v[187:188]
	v_min_f64 v[237:238], v[237:238], v[187:188]
	v_min_f64 v[239:240], v[239:240], v[187:188]
	v_min_f64 v[241:242], v[241:242], v[187:188]
	v_min_f64 v[243:244], v[243:244], v[187:188]
	v_min_f64 v[245:246], v[245:246], v[187:188]
	v_min_f64 v[247:248], v[247:248], v[187:188]
	v_min_f64 v[249:250], v[249:250], v[187:188]
	v_min_f64 v[187:188], v[251:252], v[187:188]
	s_waitcnt vmcnt(31)
	v_add_f64 v[123:124], v[123:124], v[189:190]
	s_waitcnt vmcnt(30)
	v_add_f64 v[125:126], v[191:192], v[125:126]
	s_waitcnt vmcnt(29)
	v_add_f64 v[127:128], v[193:194], v[127:128]
	s_waitcnt vmcnt(28)
	v_add_f64 v[129:130], v[195:196], v[129:130]
	s_waitcnt vmcnt(27)
	v_add_f64 v[131:132], v[197:198], v[131:132]
	s_waitcnt vmcnt(26)
	v_add_f64 v[133:134], v[199:200], v[133:134]
	s_waitcnt vmcnt(25)
	v_add_f64 v[135:136], v[201:202], v[135:136]
	s_waitcnt vmcnt(24)
	v_add_f64 v[137:138], v[203:204], v[137:138]
	s_waitcnt vmcnt(23)
	v_add_f64 v[139:140], v[205:206], v[139:140]
	s_waitcnt vmcnt(22)
	v_add_f64 v[141:142], v[207:208], v[141:142]
	s_waitcnt vmcnt(21)
	v_add_f64 v[143:144], v[209:210], v[143:144]
	s_waitcnt vmcnt(20)
	v_add_f64 v[145:146], v[211:212], v[145:146]
	s_waitcnt vmcnt(19)
	v_add_f64 v[147:148], v[213:214], v[147:148]
	s_waitcnt vmcnt(18)
	v_add_f64 v[149:150], v[215:216], v[149:150]
	s_waitcnt vmcnt(17)
	v_add_f64 v[151:152], v[217:218], v[151:152]
	s_waitcnt vmcnt(16)
	v_add_f64 v[153:154], v[219:220], v[153:154]
	s_waitcnt vmcnt(15)
	v_add_f64 v[155:156], v[221:222], v[155:156]
	s_waitcnt vmcnt(14)
	v_add_f64 v[157:158], v[223:224], v[157:158]
	s_waitcnt vmcnt(13)
	v_add_f64 v[159:160], v[225:226], v[159:160]
	s_waitcnt vmcnt(12)
	v_add_f64 v[161:162], v[227:228], v[161:162]
	s_waitcnt vmcnt(11)
	v_add_f64 v[163:164], v[229:230], v[163:164]
	s_waitcnt vmcnt(10)
	v_add_f64 v[165:166], v[231:232], v[165:166]
	s_waitcnt vmcnt(9)
	v_add_f64 v[167:168], v[233:234], v[167:168]
	s_waitcnt vmcnt(8)
	v_add_f64 v[169:170], v[235:236], v[169:170]
	s_waitcnt vmcnt(7)
	v_add_f64 v[171:172], v[237:238], v[171:172]
	s_waitcnt vmcnt(6)
	v_add_f64 v[173:174], v[239:240], v[173:174]
	s_waitcnt vmcnt(5)
	v_add_f64 v[175:176], v[241:242], v[175:176]
	s_waitcnt vmcnt(4)
	v_add_f64 v[177:178], v[243:244], v[177:178]
	s_waitcnt vmcnt(3)
	v_add_f64 v[179:180], v[245:246], v[179:180]
	s_waitcnt vmcnt(2)
	v_add_f64 v[181:182], v[247:248], v[181:182]
	s_waitcnt vmcnt(1)
	v_add_f64 v[183:184], v[249:250], v[183:184]
	s_waitcnt vmcnt(0)
	v_add_f64 v[185:186], v[187:188], v[185:186]
	scratch_store_b64 v91, v[123:124], off
	scratch_store_b64 v92, v[125:126], off
	;; [unrolled: 1-line block ×32, first 2 shown]
	v_mov_b32_e32 v91, 0x100
	v_mov_b32_e32 v92, 0x108
	;; [unrolled: 1-line block ×32, first 2 shown]
	s_cbranch_vccnz .LBB149_19
; %bb.20:
	v_dual_mov_b32 v91, 0 :: v_dual_add_nc_u32 v60, 0x800, v86
	ds_load_2addr_b64 v[0:3], v86 offset0:1 offset1:17
	ds_load_2addr_b64 v[4:7], v86 offset0:33 offset1:49
	;; [unrolled: 1-line block ×12, first 2 shown]
	v_dual_mov_b32 v93, 16 :: v_dual_add_nc_u32 v64, 8, v90
	ds_load_2addr_b64 v[48:51], v60 offset0:129 offset1:145
	ds_load_2addr_b64 v[52:55], v60 offset0:161 offset1:177
	;; [unrolled: 1-line block ×4, first 2 shown]
	ds_load_2addr_stride64_b64 v[64:67], v64 offset1:4
	v_dual_mov_b32 v92, 8 :: v_dual_mov_b32 v95, 32
	v_dual_mov_b32 v94, 24 :: v_dual_mov_b32 v97, 48
	;; [unrolled: 1-line block ×4, first 2 shown]
	v_mov_b32_e32 v100, 0x48
	v_mov_b32_e32 v102, 0x58
	;; [unrolled: 1-line block ×22, first 2 shown]
	s_mov_b64 s[14:15], 0
	s_mov_b32 s23, -1
.LBB149_21:                             ; =>This Inner Loop Header: Depth=1
	scratch_load_b64 v[123:124], v91, off
	scratch_load_b64 v[125:126], v92, off
	;; [unrolled: 1-line block ×32, first 2 shown]
	s_cmp_eq_u32 s14, 1
	s_waitcnt lgkmcnt(16)
	v_max_f64 v[189:190], v[0:1], v[0:1]
	s_cselect_b32 vcc_lo, -1, 0
	v_max_f64 v[191:192], v[2:3], v[2:3]
	s_waitcnt lgkmcnt(0)
	v_dual_cndmask_b32 v188, v65, v67 :: v_dual_cndmask_b32 v187, v64, v66
	v_max_f64 v[193:194], v[4:5], v[4:5]
	v_max_f64 v[195:196], v[6:7], v[6:7]
	;; [unrolled: 1-line block ×31, first 2 shown]
	s_mov_b64 s[14:15], 1
	s_and_b32 vcc_lo, exec_lo, s23
	s_mov_b32 s23, 0
	v_min_f64 v[189:190], v[189:190], v[187:188]
	v_min_f64 v[191:192], v[191:192], v[187:188]
	;; [unrolled: 1-line block ×32, first 2 shown]
	s_waitcnt vmcnt(31)
	v_add_f64 v[123:124], v[123:124], v[189:190]
	s_waitcnt vmcnt(30)
	v_add_f64 v[125:126], v[191:192], v[125:126]
	;; [unrolled: 2-line block ×32, first 2 shown]
	scratch_store_b64 v91, v[123:124], off
	scratch_store_b64 v92, v[125:126], off
	;; [unrolled: 1-line block ×32, first 2 shown]
	v_mov_b32_e32 v91, 0x100
	v_mov_b32_e32 v92, 0x108
	;; [unrolled: 1-line block ×32, first 2 shown]
	s_cbranch_vccnz .LBB149_21
; %bb.22:
	v_dual_mov_b32 v91, 0 :: v_dual_add_nc_u32 v60, 0x800, v86
	ds_load_2addr_b64 v[0:3], v86 offset0:2 offset1:18
	ds_load_2addr_b64 v[4:7], v86 offset0:34 offset1:50
	;; [unrolled: 1-line block ×12, first 2 shown]
	v_dual_mov_b32 v93, 16 :: v_dual_add_nc_u32 v64, 16, v90
	ds_load_2addr_b64 v[48:51], v60 offset0:130 offset1:146
	ds_load_2addr_b64 v[52:55], v60 offset0:162 offset1:178
	;; [unrolled: 1-line block ×4, first 2 shown]
	ds_load_2addr_stride64_b64 v[64:67], v64 offset1:4
	v_dual_mov_b32 v92, 8 :: v_dual_mov_b32 v95, 32
	v_dual_mov_b32 v94, 24 :: v_dual_mov_b32 v97, 48
	;; [unrolled: 1-line block ×4, first 2 shown]
	v_mov_b32_e32 v100, 0x48
	v_mov_b32_e32 v102, 0x58
	;; [unrolled: 1-line block ×22, first 2 shown]
	s_mov_b64 s[14:15], 0
	s_mov_b32 s23, -1
.LBB149_23:                             ; =>This Inner Loop Header: Depth=1
	scratch_load_b64 v[123:124], v91, off
	scratch_load_b64 v[125:126], v92, off
	;; [unrolled: 1-line block ×32, first 2 shown]
	s_cmp_eq_u32 s14, 1
	s_waitcnt lgkmcnt(16)
	v_max_f64 v[189:190], v[0:1], v[0:1]
	s_cselect_b32 vcc_lo, -1, 0
	v_max_f64 v[191:192], v[2:3], v[2:3]
	s_waitcnt lgkmcnt(0)
	v_dual_cndmask_b32 v188, v65, v67 :: v_dual_cndmask_b32 v187, v64, v66
	v_max_f64 v[193:194], v[4:5], v[4:5]
	v_max_f64 v[195:196], v[6:7], v[6:7]
	;; [unrolled: 1-line block ×31, first 2 shown]
	s_mov_b64 s[14:15], 1
	s_and_b32 vcc_lo, exec_lo, s23
	s_mov_b32 s23, 0
	v_min_f64 v[189:190], v[189:190], v[187:188]
	v_min_f64 v[191:192], v[191:192], v[187:188]
	;; [unrolled: 1-line block ×32, first 2 shown]
	s_waitcnt vmcnt(31)
	v_add_f64 v[123:124], v[123:124], v[189:190]
	s_waitcnt vmcnt(30)
	v_add_f64 v[125:126], v[191:192], v[125:126]
	;; [unrolled: 2-line block ×32, first 2 shown]
	scratch_store_b64 v91, v[123:124], off
	scratch_store_b64 v92, v[125:126], off
	;; [unrolled: 1-line block ×32, first 2 shown]
	v_mov_b32_e32 v91, 0x100
	v_mov_b32_e32 v92, 0x108
	;; [unrolled: 1-line block ×32, first 2 shown]
	s_cbranch_vccnz .LBB149_23
; %bb.24:
	v_dual_mov_b32 v91, 0 :: v_dual_add_nc_u32 v60, 0x800, v86
	ds_load_2addr_b64 v[0:3], v86 offset0:3 offset1:19
	ds_load_2addr_b64 v[4:7], v86 offset0:35 offset1:51
	;; [unrolled: 1-line block ×12, first 2 shown]
	v_dual_mov_b32 v93, 16 :: v_dual_add_nc_u32 v64, 24, v90
	ds_load_2addr_b64 v[48:51], v60 offset0:131 offset1:147
	ds_load_2addr_b64 v[52:55], v60 offset0:163 offset1:179
	;; [unrolled: 1-line block ×4, first 2 shown]
	ds_load_2addr_stride64_b64 v[64:67], v64 offset1:4
	v_dual_mov_b32 v92, 8 :: v_dual_mov_b32 v95, 32
	v_dual_mov_b32 v94, 24 :: v_dual_mov_b32 v97, 48
	;; [unrolled: 1-line block ×4, first 2 shown]
	v_mov_b32_e32 v100, 0x48
	v_mov_b32_e32 v102, 0x58
	;; [unrolled: 1-line block ×22, first 2 shown]
	s_mov_b64 s[14:15], 0
	s_mov_b32 s23, -1
.LBB149_25:                             ; =>This Inner Loop Header: Depth=1
	scratch_load_b64 v[123:124], v91, off
	scratch_load_b64 v[125:126], v92, off
	scratch_load_b64 v[127:128], v93, off
	scratch_load_b64 v[129:130], v94, off
	scratch_load_b64 v[131:132], v95, off
	scratch_load_b64 v[133:134], v96, off
	scratch_load_b64 v[135:136], v97, off
	scratch_load_b64 v[137:138], v98, off
	scratch_load_b64 v[139:140], v99, off
	scratch_load_b64 v[141:142], v100, off
	scratch_load_b64 v[143:144], v101, off
	scratch_load_b64 v[145:146], v102, off
	scratch_load_b64 v[147:148], v103, off
	scratch_load_b64 v[149:150], v104, off
	scratch_load_b64 v[151:152], v105, off
	scratch_load_b64 v[153:154], v106, off
	scratch_load_b64 v[155:156], v107, off
	scratch_load_b64 v[157:158], v108, off
	scratch_load_b64 v[159:160], v109, off
	scratch_load_b64 v[161:162], v110, off
	scratch_load_b64 v[163:164], v111, off
	scratch_load_b64 v[165:166], v112, off
	scratch_load_b64 v[167:168], v113, off
	scratch_load_b64 v[169:170], v114, off
	scratch_load_b64 v[171:172], v115, off
	scratch_load_b64 v[173:174], v116, off
	scratch_load_b64 v[175:176], v117, off
	scratch_load_b64 v[177:178], v118, off
	scratch_load_b64 v[179:180], v119, off
	scratch_load_b64 v[181:182], v120, off
	scratch_load_b64 v[183:184], v121, off
	scratch_load_b64 v[185:186], v122, off
	s_cmp_eq_u32 s14, 1
	s_waitcnt lgkmcnt(16)
	v_max_f64 v[189:190], v[0:1], v[0:1]
	s_cselect_b32 vcc_lo, -1, 0
	v_max_f64 v[191:192], v[2:3], v[2:3]
	s_waitcnt lgkmcnt(0)
	v_dual_cndmask_b32 v188, v65, v67 :: v_dual_cndmask_b32 v187, v64, v66
	v_max_f64 v[193:194], v[4:5], v[4:5]
	v_max_f64 v[195:196], v[6:7], v[6:7]
	;; [unrolled: 1-line block ×31, first 2 shown]
	s_mov_b64 s[14:15], 1
	s_and_b32 vcc_lo, exec_lo, s23
	s_mov_b32 s23, 0
	v_min_f64 v[189:190], v[189:190], v[187:188]
	v_min_f64 v[191:192], v[191:192], v[187:188]
	;; [unrolled: 1-line block ×32, first 2 shown]
	s_waitcnt vmcnt(31)
	v_add_f64 v[123:124], v[123:124], v[189:190]
	s_waitcnt vmcnt(30)
	v_add_f64 v[125:126], v[191:192], v[125:126]
	;; [unrolled: 2-line block ×32, first 2 shown]
	scratch_store_b64 v91, v[123:124], off
	scratch_store_b64 v92, v[125:126], off
	;; [unrolled: 1-line block ×32, first 2 shown]
	v_mov_b32_e32 v91, 0x100
	v_mov_b32_e32 v92, 0x108
	;; [unrolled: 1-line block ×32, first 2 shown]
	s_cbranch_vccnz .LBB149_25
; %bb.26:
	s_load_b32 s14, s[0:1], 0x8
	s_mov_b32 s23, 8
	ds_store_2addr_stride64_b64 v87, v[70:71], v[72:73] offset0:8 offset1:12
	ds_store_2addr_stride64_b64 v80, v[74:75], v[76:77] offset0:24 offset1:28
	s_waitcnt lgkmcnt(0)
	s_waitcnt_vscnt null, 0x0
	s_barrier
	buffer_gl0_inv
	s_cmp_gt_i32 s14, 8
	s_cbranch_scc0 .LBB149_55
; %bb.27:
	v_mad_i64_i32 v[0:1], null, v79, s3, 0
	v_mad_i64_i32 v[4:5], null, v78, s3, 0
	v_lshlrev_b64 v[2:3], 3, v[68:69]
	v_lshl_add_u32 v93, v81, 5, 0x1000
	v_dual_mov_b32 v68, 0 :: v_dual_add_nc_u32 v91, 0x1000, v87
	v_lshlrev_b64 v[69:70], 3, v[0:1]
	v_or_b32_e32 v92, 0x3000, v80
	v_add_co_u32 v95, vcc_lo, s20, v2
	v_lshlrev_b64 v[71:72], 3, v[4:5]
	v_lshl_add_u32 v94, v82, 5, 0x3000
	v_add_co_ci_u32_e32 v96, vcc_lo, s21, v3, vcc_lo
	v_add_nc_u32_e32 v97, 0x800, v93
	s_add_i32 s20, s14, -8
	s_mov_b32 s21, 0
	s_and_b32 s3, exec_lo, s24
.LBB149_28:                             ; =>This Loop Header: Depth=1
                                        ;     Child Loop BB149_34 Depth 2
                                        ;     Child Loop BB149_36 Depth 2
                                        ;     Child Loop BB149_38 Depth 2
                                        ;     Child Loop BB149_40 Depth 2
                                        ;     Child Loop BB149_47 Depth 2
                                        ;     Child Loop BB149_49 Depth 2
                                        ;     Child Loop BB149_51 Depth 2
                                        ;     Child Loop BB149_53 Depth 2
	s_and_b32 vcc_lo, exec_lo, s2
	s_cbranch_vccnz .LBB149_31
; %bb.29:                               ;   in Loop: Header=BB149_28 Depth=1
	v_or_b32_e32 v67, s23, v83
	s_delay_alu instid0(VALU_DEP_1) | instskip(NEXT) | instid1(VALU_DEP_1)
	v_lshlrev_b64 v[0:1], 3, v[67:68]
	v_add_co_u32 v2, vcc_lo, s12, v0
	s_delay_alu instid0(VALU_DEP_2) | instskip(NEXT) | instid1(VALU_DEP_2)
	v_add_co_ci_u32_e32 v3, vcc_lo, s13, v1, vcc_lo
	v_add_co_u32 v0, vcc_lo, v2, v69
	s_delay_alu instid0(VALU_DEP_2)
	v_add_co_ci_u32_e32 v1, vcc_lo, v3, v70, vcc_lo
	v_add_co_u32 v2, vcc_lo, v2, v71
	v_add_co_ci_u32_e32 v3, vcc_lo, v3, v72, vcc_lo
	s_clause 0x1
	flat_load_b64 v[0:1], v[0:1]
	flat_load_b64 v[2:3], v[2:3]
	s_waitcnt vmcnt(1) lgkmcnt(1)
	v_mul_f64 v[73:74], v[0:1], s[8:9]
	s_waitcnt vmcnt(0) lgkmcnt(0)
	v_mul_f64 v[75:76], v[2:3], s[8:9]
	s_and_b32 vcc_lo, exec_lo, s2
	s_mov_b64 s[14:15], 0
	s_cbranch_vccnz .LBB149_32
.LBB149_30:                             ;   in Loop: Header=BB149_28 Depth=1
	v_add_nc_u32_e32 v4, s23, v84
	s_delay_alu instid0(VALU_DEP_1) | instskip(NEXT) | instid1(VALU_DEP_1)
	v_mad_u64_u32 v[0:1], null, v4, s19, 0
	v_mad_u64_u32 v[2:3], null, v4, s22, v[1:2]
	s_delay_alu instid0(VALU_DEP_1) | instskip(NEXT) | instid1(VALU_DEP_1)
	v_mov_b32_e32 v1, v2
	v_lshlrev_b64 v[0:1], 3, v[0:1]
	s_delay_alu instid0(VALU_DEP_1) | instskip(NEXT) | instid1(VALU_DEP_2)
	v_add_co_u32 v0, vcc_lo, v95, v0
	v_add_co_ci_u32_e32 v1, vcc_lo, v96, v1, vcc_lo
	s_clause 0x1
	flat_load_b64 v[2:3], v[0:1]
	flat_load_b64 v[0:1], v[0:1] offset:512
	s_waitcnt vmcnt(1) lgkmcnt(1)
	v_mul_f64 v[77:78], v[2:3], s[8:9]
	s_waitcnt vmcnt(0) lgkmcnt(0)
	v_mul_f64 v[79:80], v[0:1], s[8:9]
	s_branch .LBB149_33
.LBB149_31:                             ;   in Loop: Header=BB149_28 Depth=1
	v_mov_b32_e32 v73, 0
	v_dual_mov_b32 v74, 0 :: v_dual_mov_b32 v75, 0
	v_mov_b32_e32 v76, 0
	s_and_b32 vcc_lo, exec_lo, s2
	s_mov_b64 s[14:15], 0
	s_cbranch_vccz .LBB149_30
.LBB149_32:                             ;   in Loop: Header=BB149_28 Depth=1
	v_mov_b32_e32 v77, 0
	v_dual_mov_b32 v78, 0 :: v_dual_mov_b32 v79, 0
	v_mov_b32_e32 v80, 0
.LBB149_33:                             ;   in Loop: Header=BB149_28 Depth=1
	ds_load_2addr_b64 v[0:3], v93 offset1:16
	ds_load_2addr_b64 v[4:7], v93 offset0:32 offset1:48
	ds_load_2addr_b64 v[8:11], v93 offset0:64 offset1:80
	;; [unrolled: 1-line block ×7, first 2 shown]
	ds_load_2addr_b64 v[32:35], v97 offset1:16
	ds_load_2addr_b64 v[36:39], v97 offset0:32 offset1:48
	ds_load_2addr_b64 v[40:43], v97 offset0:64 offset1:80
	;; [unrolled: 1-line block ×7, first 2 shown]
	ds_load_2addr_stride64_b64 v[64:67], v94 offset1:4
	v_dual_mov_b32 v129, 0 :: v_dual_mov_b32 v128, 8
	v_dual_mov_b32 v127, 16 :: v_dual_mov_b32 v126, 24
	;; [unrolled: 1-line block ×5, first 2 shown]
	v_mov_b32_e32 v119, 0x50
	v_mov_b32_e32 v118, 0x58
	;; [unrolled: 1-line block ×22, first 2 shown]
	s_mov_b32 s24, -1
.LBB149_34:                             ;   Parent Loop BB149_28 Depth=1
                                        ; =>  This Inner Loop Header: Depth=2
	scratch_load_b64 v[134:135], v129, off
	s_cmp_eq_u32 s14, 1
	s_waitcnt lgkmcnt(16)
	v_max_f64 v[132:133], v[0:1], v[0:1]
	s_cselect_b32 vcc_lo, -1, 0
	s_mov_b64 s[14:15], 1
	s_waitcnt lgkmcnt(0)
	v_dual_cndmask_b32 v131, v65, v67 :: v_dual_cndmask_b32 v130, v64, v66
	s_and_b32 vcc_lo, exec_lo, s24
	s_mov_b32 s24, 0
	s_delay_alu instid0(VALU_DEP_1) | instskip(NEXT) | instid1(VALU_DEP_1)
	v_max_f64 v[130:131], v[130:131], v[130:131]
	v_min_f64 v[132:133], v[132:133], v[130:131]
	s_waitcnt vmcnt(0)
	s_delay_alu instid0(VALU_DEP_1) | instskip(SKIP_3) | instid1(VALU_DEP_1)
	v_add_f64 v[132:133], v[134:135], v[132:133]
	scratch_load_b64 v[134:135], v128, off
	scratch_store_b64 v129, v[132:133], off
	v_max_f64 v[132:133], v[2:3], v[2:3]
	v_min_f64 v[132:133], v[132:133], v[130:131]
	s_waitcnt vmcnt(0)
	s_delay_alu instid0(VALU_DEP_1) | instskip(SKIP_3) | instid1(VALU_DEP_1)
	v_add_f64 v[132:133], v[132:133], v[134:135]
	scratch_store_b64 v128, v[132:133], off
	scratch_load_b64 v[132:133], v127, off
	v_max_f64 v[128:129], v[4:5], v[4:5]
	v_min_f64 v[128:129], v[128:129], v[130:131]
	s_waitcnt vmcnt(0)
	s_delay_alu instid0(VALU_DEP_1) | instskip(SKIP_3) | instid1(VALU_DEP_1)
	v_add_f64 v[128:129], v[128:129], v[132:133]
	scratch_load_b64 v[132:133], v126, off
	scratch_store_b64 v127, v[128:129], off
	v_max_f64 v[127:128], v[6:7], v[6:7]
	v_min_f64 v[127:128], v[127:128], v[130:131]
	s_waitcnt vmcnt(0)
	s_delay_alu instid0(VALU_DEP_1) | instskip(SKIP_3) | instid1(VALU_DEP_1)
	v_add_f64 v[127:128], v[127:128], v[132:133]
	scratch_store_b64 v126, v[127:128], off
	scratch_load_b64 v[128:129], v125, off
	v_max_f64 v[126:127], v[8:9], v[8:9]
	v_min_f64 v[126:127], v[126:127], v[130:131]
	s_waitcnt vmcnt(0)
	s_delay_alu instid0(VALU_DEP_1) | instskip(SKIP_4) | instid1(VALU_DEP_1)
	v_add_f64 v[126:127], v[126:127], v[128:129]
	v_mov_b32_e32 v129, 0x100
	scratch_store_b64 v125, v[126:127], off
	scratch_load_b64 v[127:128], v124, off
	v_max_f64 v[125:126], v[10:11], v[10:11]
	v_min_f64 v[125:126], v[125:126], v[130:131]
	s_waitcnt vmcnt(0)
	s_delay_alu instid0(VALU_DEP_1) | instskip(SKIP_4) | instid1(VALU_DEP_1)
	v_add_f64 v[125:126], v[125:126], v[127:128]
	v_mov_b32_e32 v128, 0x108
	;; [unrolled: 8-line block ×27, first 2 shown]
	scratch_store_b64 v99, v[100:101], off
	scratch_load_b64 v[101:102], v98, off
	v_max_f64 v[99:100], v[62:63], v[62:63]
	v_min_f64 v[99:100], v[99:100], v[130:131]
	s_waitcnt vmcnt(0)
	s_delay_alu instid0(VALU_DEP_1)
	v_add_f64 v[99:100], v[99:100], v[101:102]
	v_mov_b32_e32 v102, 0x1d8
	v_mov_b32_e32 v101, 0x1e0
	scratch_store_b64 v98, v[99:100], off
	v_mov_b32_e32 v100, 0x1e8
	v_mov_b32_e32 v99, 0x1f0
	;; [unrolled: 1-line block ×3, first 2 shown]
	s_cbranch_vccnz .LBB149_34
; %bb.35:                               ;   in Loop: Header=BB149_28 Depth=1
	ds_load_2addr_b64 v[0:3], v93 offset0:1 offset1:17
	ds_load_2addr_b64 v[4:7], v93 offset0:33 offset1:49
	;; [unrolled: 1-line block ×12, first 2 shown]
	v_dual_mov_b32 v129, 0 :: v_dual_add_nc_u32 v64, 8, v94
	ds_load_2addr_b64 v[48:51], v97 offset0:129 offset1:145
	ds_load_2addr_b64 v[52:55], v97 offset0:161 offset1:177
	ds_load_2addr_b64 v[56:59], v97 offset0:193 offset1:209
	ds_load_2addr_b64 v[60:63], v97 offset0:225 offset1:241
	ds_load_2addr_stride64_b64 v[64:67], v64 offset1:4
	v_dual_mov_b32 v128, 8 :: v_dual_mov_b32 v127, 16
	v_dual_mov_b32 v126, 24 :: v_dual_mov_b32 v125, 32
	;; [unrolled: 1-line block ×4, first 2 shown]
	v_mov_b32_e32 v120, 0x48
	v_mov_b32_e32 v119, 0x50
	;; [unrolled: 1-line block ×23, first 2 shown]
	s_mov_b64 s[14:15], 0
	s_mov_b32 s24, -1
.LBB149_36:                             ;   Parent Loop BB149_28 Depth=1
                                        ; =>  This Inner Loop Header: Depth=2
	scratch_load_b64 v[134:135], v129, off
	s_cmp_eq_u32 s14, 1
	s_waitcnt lgkmcnt(16)
	v_max_f64 v[132:133], v[0:1], v[0:1]
	s_cselect_b32 vcc_lo, -1, 0
	s_mov_b64 s[14:15], 1
	s_waitcnt lgkmcnt(0)
	v_dual_cndmask_b32 v131, v65, v67 :: v_dual_cndmask_b32 v130, v64, v66
	s_and_b32 vcc_lo, exec_lo, s24
	s_mov_b32 s24, 0
	s_delay_alu instid0(VALU_DEP_1) | instskip(NEXT) | instid1(VALU_DEP_1)
	v_max_f64 v[130:131], v[130:131], v[130:131]
	v_min_f64 v[132:133], v[132:133], v[130:131]
	s_waitcnt vmcnt(0)
	s_delay_alu instid0(VALU_DEP_1) | instskip(SKIP_3) | instid1(VALU_DEP_1)
	v_add_f64 v[132:133], v[134:135], v[132:133]
	scratch_load_b64 v[134:135], v128, off
	scratch_store_b64 v129, v[132:133], off
	v_max_f64 v[132:133], v[2:3], v[2:3]
	v_min_f64 v[132:133], v[132:133], v[130:131]
	s_waitcnt vmcnt(0)
	s_delay_alu instid0(VALU_DEP_1) | instskip(SKIP_3) | instid1(VALU_DEP_1)
	v_add_f64 v[132:133], v[132:133], v[134:135]
	scratch_store_b64 v128, v[132:133], off
	scratch_load_b64 v[132:133], v127, off
	v_max_f64 v[128:129], v[4:5], v[4:5]
	v_min_f64 v[128:129], v[128:129], v[130:131]
	s_waitcnt vmcnt(0)
	s_delay_alu instid0(VALU_DEP_1) | instskip(SKIP_3) | instid1(VALU_DEP_1)
	v_add_f64 v[128:129], v[128:129], v[132:133]
	scratch_load_b64 v[132:133], v126, off
	scratch_store_b64 v127, v[128:129], off
	v_max_f64 v[127:128], v[6:7], v[6:7]
	v_min_f64 v[127:128], v[127:128], v[130:131]
	s_waitcnt vmcnt(0)
	s_delay_alu instid0(VALU_DEP_1) | instskip(SKIP_3) | instid1(VALU_DEP_1)
	v_add_f64 v[127:128], v[127:128], v[132:133]
	scratch_store_b64 v126, v[127:128], off
	scratch_load_b64 v[128:129], v125, off
	v_max_f64 v[126:127], v[8:9], v[8:9]
	v_min_f64 v[126:127], v[126:127], v[130:131]
	s_waitcnt vmcnt(0)
	s_delay_alu instid0(VALU_DEP_1) | instskip(SKIP_4) | instid1(VALU_DEP_1)
	v_add_f64 v[126:127], v[126:127], v[128:129]
	v_mov_b32_e32 v129, 0x100
	scratch_store_b64 v125, v[126:127], off
	scratch_load_b64 v[127:128], v124, off
	v_max_f64 v[125:126], v[10:11], v[10:11]
	v_min_f64 v[125:126], v[125:126], v[130:131]
	s_waitcnt vmcnt(0)
	s_delay_alu instid0(VALU_DEP_1) | instskip(SKIP_4) | instid1(VALU_DEP_1)
	v_add_f64 v[125:126], v[125:126], v[127:128]
	v_mov_b32_e32 v128, 0x108
	;; [unrolled: 8-line block ×27, first 2 shown]
	scratch_store_b64 v99, v[100:101], off
	scratch_load_b64 v[101:102], v98, off
	v_max_f64 v[99:100], v[62:63], v[62:63]
	v_min_f64 v[99:100], v[99:100], v[130:131]
	s_waitcnt vmcnt(0)
	s_delay_alu instid0(VALU_DEP_1)
	v_add_f64 v[99:100], v[99:100], v[101:102]
	v_mov_b32_e32 v102, 0x1d8
	v_mov_b32_e32 v101, 0x1e0
	scratch_store_b64 v98, v[99:100], off
	v_mov_b32_e32 v100, 0x1e8
	v_mov_b32_e32 v99, 0x1f0
	;; [unrolled: 1-line block ×3, first 2 shown]
	s_cbranch_vccnz .LBB149_36
; %bb.37:                               ;   in Loop: Header=BB149_28 Depth=1
	ds_load_2addr_b64 v[0:3], v93 offset0:2 offset1:18
	ds_load_2addr_b64 v[4:7], v93 offset0:34 offset1:50
	;; [unrolled: 1-line block ×12, first 2 shown]
	v_dual_mov_b32 v129, 0 :: v_dual_add_nc_u32 v64, 16, v94
	ds_load_2addr_b64 v[48:51], v97 offset0:130 offset1:146
	ds_load_2addr_b64 v[52:55], v97 offset0:162 offset1:178
	;; [unrolled: 1-line block ×4, first 2 shown]
	ds_load_2addr_stride64_b64 v[64:67], v64 offset1:4
	v_dual_mov_b32 v128, 8 :: v_dual_mov_b32 v127, 16
	v_dual_mov_b32 v126, 24 :: v_dual_mov_b32 v125, 32
	;; [unrolled: 1-line block ×4, first 2 shown]
	v_mov_b32_e32 v120, 0x48
	v_mov_b32_e32 v119, 0x50
	;; [unrolled: 1-line block ×23, first 2 shown]
	s_mov_b64 s[14:15], 0
	s_mov_b32 s24, -1
.LBB149_38:                             ;   Parent Loop BB149_28 Depth=1
                                        ; =>  This Inner Loop Header: Depth=2
	scratch_load_b64 v[134:135], v129, off
	s_cmp_eq_u32 s14, 1
	s_waitcnt lgkmcnt(16)
	v_max_f64 v[132:133], v[0:1], v[0:1]
	s_cselect_b32 vcc_lo, -1, 0
	s_mov_b64 s[14:15], 1
	s_waitcnt lgkmcnt(0)
	v_dual_cndmask_b32 v131, v65, v67 :: v_dual_cndmask_b32 v130, v64, v66
	s_and_b32 vcc_lo, exec_lo, s24
	s_mov_b32 s24, 0
	s_delay_alu instid0(VALU_DEP_1) | instskip(NEXT) | instid1(VALU_DEP_1)
	v_max_f64 v[130:131], v[130:131], v[130:131]
	v_min_f64 v[132:133], v[132:133], v[130:131]
	s_waitcnt vmcnt(0)
	s_delay_alu instid0(VALU_DEP_1) | instskip(SKIP_3) | instid1(VALU_DEP_1)
	v_add_f64 v[132:133], v[134:135], v[132:133]
	scratch_load_b64 v[134:135], v128, off
	scratch_store_b64 v129, v[132:133], off
	v_max_f64 v[132:133], v[2:3], v[2:3]
	v_min_f64 v[132:133], v[132:133], v[130:131]
	s_waitcnt vmcnt(0)
	s_delay_alu instid0(VALU_DEP_1) | instskip(SKIP_3) | instid1(VALU_DEP_1)
	v_add_f64 v[132:133], v[132:133], v[134:135]
	scratch_store_b64 v128, v[132:133], off
	scratch_load_b64 v[132:133], v127, off
	v_max_f64 v[128:129], v[4:5], v[4:5]
	v_min_f64 v[128:129], v[128:129], v[130:131]
	s_waitcnt vmcnt(0)
	s_delay_alu instid0(VALU_DEP_1) | instskip(SKIP_3) | instid1(VALU_DEP_1)
	v_add_f64 v[128:129], v[128:129], v[132:133]
	scratch_load_b64 v[132:133], v126, off
	scratch_store_b64 v127, v[128:129], off
	v_max_f64 v[127:128], v[6:7], v[6:7]
	v_min_f64 v[127:128], v[127:128], v[130:131]
	s_waitcnt vmcnt(0)
	s_delay_alu instid0(VALU_DEP_1) | instskip(SKIP_3) | instid1(VALU_DEP_1)
	v_add_f64 v[127:128], v[127:128], v[132:133]
	scratch_store_b64 v126, v[127:128], off
	scratch_load_b64 v[128:129], v125, off
	v_max_f64 v[126:127], v[8:9], v[8:9]
	v_min_f64 v[126:127], v[126:127], v[130:131]
	s_waitcnt vmcnt(0)
	s_delay_alu instid0(VALU_DEP_1) | instskip(SKIP_4) | instid1(VALU_DEP_1)
	v_add_f64 v[126:127], v[126:127], v[128:129]
	v_mov_b32_e32 v129, 0x100
	scratch_store_b64 v125, v[126:127], off
	scratch_load_b64 v[127:128], v124, off
	v_max_f64 v[125:126], v[10:11], v[10:11]
	v_min_f64 v[125:126], v[125:126], v[130:131]
	s_waitcnt vmcnt(0)
	s_delay_alu instid0(VALU_DEP_1) | instskip(SKIP_4) | instid1(VALU_DEP_1)
	v_add_f64 v[125:126], v[125:126], v[127:128]
	v_mov_b32_e32 v128, 0x108
	;; [unrolled: 8-line block ×27, first 2 shown]
	scratch_store_b64 v99, v[100:101], off
	scratch_load_b64 v[101:102], v98, off
	v_max_f64 v[99:100], v[62:63], v[62:63]
	v_min_f64 v[99:100], v[99:100], v[130:131]
	s_waitcnt vmcnt(0)
	s_delay_alu instid0(VALU_DEP_1)
	v_add_f64 v[99:100], v[99:100], v[101:102]
	v_mov_b32_e32 v102, 0x1d8
	v_mov_b32_e32 v101, 0x1e0
	scratch_store_b64 v98, v[99:100], off
	v_mov_b32_e32 v100, 0x1e8
	v_mov_b32_e32 v99, 0x1f0
	;; [unrolled: 1-line block ×3, first 2 shown]
	s_cbranch_vccnz .LBB149_38
; %bb.39:                               ;   in Loop: Header=BB149_28 Depth=1
	ds_load_2addr_b64 v[0:3], v93 offset0:3 offset1:19
	ds_load_2addr_b64 v[4:7], v93 offset0:35 offset1:51
	;; [unrolled: 1-line block ×12, first 2 shown]
	v_dual_mov_b32 v129, 0 :: v_dual_add_nc_u32 v64, 24, v94
	ds_load_2addr_b64 v[48:51], v97 offset0:131 offset1:147
	ds_load_2addr_b64 v[52:55], v97 offset0:163 offset1:179
	ds_load_2addr_b64 v[56:59], v97 offset0:195 offset1:211
	ds_load_2addr_b64 v[60:63], v97 offset0:227 offset1:243
	ds_load_2addr_stride64_b64 v[64:67], v64 offset1:4
	v_dual_mov_b32 v128, 8 :: v_dual_mov_b32 v127, 16
	v_dual_mov_b32 v126, 24 :: v_dual_mov_b32 v125, 32
	;; [unrolled: 1-line block ×4, first 2 shown]
	v_mov_b32_e32 v120, 0x48
	v_mov_b32_e32 v119, 0x50
	;; [unrolled: 1-line block ×23, first 2 shown]
	s_mov_b64 s[14:15], 0
	s_mov_b32 s24, -1
.LBB149_40:                             ;   Parent Loop BB149_28 Depth=1
                                        ; =>  This Inner Loop Header: Depth=2
	scratch_load_b64 v[134:135], v129, off
	s_cmp_eq_u32 s14, 1
	s_waitcnt lgkmcnt(16)
	v_max_f64 v[132:133], v[0:1], v[0:1]
	s_cselect_b32 vcc_lo, -1, 0
	s_mov_b64 s[14:15], 1
	s_waitcnt lgkmcnt(0)
	v_dual_cndmask_b32 v131, v65, v67 :: v_dual_cndmask_b32 v130, v64, v66
	s_and_b32 vcc_lo, exec_lo, s24
	s_mov_b32 s24, 0
	s_delay_alu instid0(VALU_DEP_1) | instskip(NEXT) | instid1(VALU_DEP_1)
	v_max_f64 v[130:131], v[130:131], v[130:131]
	v_min_f64 v[132:133], v[132:133], v[130:131]
	s_waitcnt vmcnt(0)
	s_delay_alu instid0(VALU_DEP_1) | instskip(SKIP_3) | instid1(VALU_DEP_1)
	v_add_f64 v[132:133], v[134:135], v[132:133]
	scratch_load_b64 v[134:135], v128, off
	scratch_store_b64 v129, v[132:133], off
	v_max_f64 v[132:133], v[2:3], v[2:3]
	v_min_f64 v[132:133], v[132:133], v[130:131]
	s_waitcnt vmcnt(0)
	s_delay_alu instid0(VALU_DEP_1) | instskip(SKIP_3) | instid1(VALU_DEP_1)
	v_add_f64 v[132:133], v[132:133], v[134:135]
	scratch_store_b64 v128, v[132:133], off
	scratch_load_b64 v[132:133], v127, off
	v_max_f64 v[128:129], v[4:5], v[4:5]
	v_min_f64 v[128:129], v[128:129], v[130:131]
	s_waitcnt vmcnt(0)
	s_delay_alu instid0(VALU_DEP_1) | instskip(SKIP_3) | instid1(VALU_DEP_1)
	v_add_f64 v[128:129], v[128:129], v[132:133]
	scratch_load_b64 v[132:133], v126, off
	scratch_store_b64 v127, v[128:129], off
	v_max_f64 v[127:128], v[6:7], v[6:7]
	v_min_f64 v[127:128], v[127:128], v[130:131]
	s_waitcnt vmcnt(0)
	s_delay_alu instid0(VALU_DEP_1) | instskip(SKIP_3) | instid1(VALU_DEP_1)
	v_add_f64 v[127:128], v[127:128], v[132:133]
	scratch_store_b64 v126, v[127:128], off
	scratch_load_b64 v[128:129], v125, off
	v_max_f64 v[126:127], v[8:9], v[8:9]
	v_min_f64 v[126:127], v[126:127], v[130:131]
	s_waitcnt vmcnt(0)
	s_delay_alu instid0(VALU_DEP_1) | instskip(SKIP_4) | instid1(VALU_DEP_1)
	v_add_f64 v[126:127], v[126:127], v[128:129]
	v_mov_b32_e32 v129, 0x100
	scratch_store_b64 v125, v[126:127], off
	scratch_load_b64 v[127:128], v124, off
	v_max_f64 v[125:126], v[10:11], v[10:11]
	v_min_f64 v[125:126], v[125:126], v[130:131]
	s_waitcnt vmcnt(0)
	s_delay_alu instid0(VALU_DEP_1) | instskip(SKIP_4) | instid1(VALU_DEP_1)
	v_add_f64 v[125:126], v[125:126], v[127:128]
	v_mov_b32_e32 v128, 0x108
	;; [unrolled: 8-line block ×27, first 2 shown]
	scratch_store_b64 v99, v[100:101], off
	scratch_load_b64 v[101:102], v98, off
	v_max_f64 v[99:100], v[62:63], v[62:63]
	v_min_f64 v[99:100], v[99:100], v[130:131]
	s_waitcnt vmcnt(0)
	s_delay_alu instid0(VALU_DEP_1)
	v_add_f64 v[99:100], v[99:100], v[101:102]
	v_mov_b32_e32 v102, 0x1d8
	v_mov_b32_e32 v101, 0x1e0
	scratch_store_b64 v98, v[99:100], off
	v_mov_b32_e32 v100, 0x1e8
	v_mov_b32_e32 v99, 0x1f0
	;; [unrolled: 1-line block ×3, first 2 shown]
	s_cbranch_vccnz .LBB149_40
; %bb.41:                               ;   in Loop: Header=BB149_28 Depth=1
	s_mov_b32 vcc_lo, s3
	ds_store_2addr_stride64_b64 v87, v[73:74], v[75:76] offset1:4
	ds_store_2addr_stride64_b64 v89, v[77:78], v[79:80] offset1:4
	s_waitcnt lgkmcnt(0)
	s_waitcnt_vscnt null, 0x0
	s_barrier
	buffer_gl0_inv
	s_cbranch_vccz .LBB149_44
; %bb.42:                               ;   in Loop: Header=BB149_28 Depth=1
	v_or_b32_e32 v67, s23, v83
	s_delay_alu instid0(VALU_DEP_1) | instskip(NEXT) | instid1(VALU_DEP_1)
	v_lshlrev_b64 v[0:1], 3, v[67:68]
	v_add_co_u32 v2, vcc_lo, s12, v0
	s_delay_alu instid0(VALU_DEP_2) | instskip(NEXT) | instid1(VALU_DEP_2)
	v_add_co_ci_u32_e32 v3, vcc_lo, s13, v1, vcc_lo
	v_add_co_u32 v0, vcc_lo, v2, v69
	s_delay_alu instid0(VALU_DEP_2)
	v_add_co_ci_u32_e32 v1, vcc_lo, v3, v70, vcc_lo
	v_add_co_u32 v2, vcc_lo, v2, v71
	v_add_co_ci_u32_e32 v3, vcc_lo, v3, v72, vcc_lo
	s_clause 0x1
	flat_load_b64 v[0:1], v[0:1] offset:32
	flat_load_b64 v[2:3], v[2:3] offset:32
	s_waitcnt vmcnt(1) lgkmcnt(1)
	v_mul_f64 v[73:74], v[0:1], s[8:9]
	s_waitcnt vmcnt(0) lgkmcnt(0)
	v_mul_f64 v[75:76], v[2:3], s[8:9]
	s_and_b32 vcc_lo, exec_lo, s2
	s_mov_b64 s[14:15], 0
	s_cbranch_vccnz .LBB149_45
.LBB149_43:                             ;   in Loop: Header=BB149_28 Depth=1
	v_add_nc_u32_e32 v4, s23, v85
	s_delay_alu instid0(VALU_DEP_1) | instskip(NEXT) | instid1(VALU_DEP_1)
	v_mad_u64_u32 v[0:1], null, v4, s19, 0
	v_mad_u64_u32 v[2:3], null, v4, s22, v[1:2]
	s_delay_alu instid0(VALU_DEP_1) | instskip(NEXT) | instid1(VALU_DEP_1)
	v_mov_b32_e32 v1, v2
	v_lshlrev_b64 v[0:1], 3, v[0:1]
	s_delay_alu instid0(VALU_DEP_1) | instskip(NEXT) | instid1(VALU_DEP_2)
	v_add_co_u32 v0, vcc_lo, v95, v0
	v_add_co_ci_u32_e32 v1, vcc_lo, v96, v1, vcc_lo
	s_clause 0x1
	flat_load_b64 v[2:3], v[0:1]
	flat_load_b64 v[0:1], v[0:1] offset:512
	s_waitcnt vmcnt(1) lgkmcnt(1)
	v_mul_f64 v[77:78], v[2:3], s[8:9]
	s_waitcnt vmcnt(0) lgkmcnt(0)
	v_mul_f64 v[79:80], v[0:1], s[8:9]
	s_branch .LBB149_46
.LBB149_44:                             ;   in Loop: Header=BB149_28 Depth=1
	v_mov_b32_e32 v73, 0
	v_dual_mov_b32 v74, 0 :: v_dual_mov_b32 v75, 0
	v_mov_b32_e32 v76, 0
	s_and_b32 vcc_lo, exec_lo, s2
	s_mov_b64 s[14:15], 0
	s_cbranch_vccz .LBB149_43
.LBB149_45:                             ;   in Loop: Header=BB149_28 Depth=1
	v_mov_b32_e32 v77, 0
	v_dual_mov_b32 v78, 0 :: v_dual_mov_b32 v79, 0
	v_mov_b32_e32 v80, 0
.LBB149_46:                             ;   in Loop: Header=BB149_28 Depth=1
	v_dual_mov_b32 v129, 8 :: v_dual_add_nc_u32 v98, 0x800, v86
	ds_load_2addr_b64 v[0:3], v86 offset1:16
	ds_load_2addr_b64 v[4:7], v86 offset0:32 offset1:48
	ds_load_2addr_b64 v[8:11], v86 offset0:64 offset1:80
	;; [unrolled: 1-line block ×7, first 2 shown]
	ds_load_2addr_b64 v[32:35], v98 offset1:16
	ds_load_2addr_b64 v[36:39], v98 offset0:32 offset1:48
	ds_load_2addr_b64 v[40:43], v98 offset0:64 offset1:80
	;; [unrolled: 1-line block ×7, first 2 shown]
	ds_load_2addr_stride64_b64 v[64:67], v90 offset1:4
	v_dual_mov_b32 v130, 0 :: v_dual_mov_b32 v127, 24
	v_dual_mov_b32 v128, 16 :: v_dual_mov_b32 v125, 40
	v_dual_mov_b32 v126, 32 :: v_dual_mov_b32 v123, 56
	v_dual_mov_b32 v124, 48 :: v_dual_mov_b32 v121, 0x48
	v_dual_mov_b32 v122, 64 :: v_dual_mov_b32 v119, 0x58
	v_mov_b32_e32 v120, 0x50
	v_mov_b32_e32 v118, 0x60
	;; [unrolled: 1-line block ×21, first 2 shown]
	s_mov_b32 s24, -1
.LBB149_47:                             ;   Parent Loop BB149_28 Depth=1
                                        ; =>  This Inner Loop Header: Depth=2
	scratch_load_b64 v[135:136], v130, off
	s_cmp_eq_u32 s14, 1
	s_waitcnt lgkmcnt(16)
	v_max_f64 v[133:134], v[0:1], v[0:1]
	s_cselect_b32 vcc_lo, -1, 0
	s_mov_b64 s[14:15], 1
	s_waitcnt lgkmcnt(0)
	v_dual_cndmask_b32 v132, v65, v67 :: v_dual_cndmask_b32 v131, v64, v66
	s_and_b32 vcc_lo, exec_lo, s24
	s_mov_b32 s24, 0
	s_delay_alu instid0(VALU_DEP_1) | instskip(NEXT) | instid1(VALU_DEP_1)
	v_max_f64 v[131:132], v[131:132], v[131:132]
	v_min_f64 v[133:134], v[133:134], v[131:132]
	s_waitcnt vmcnt(0)
	s_delay_alu instid0(VALU_DEP_1) | instskip(SKIP_3) | instid1(VALU_DEP_1)
	v_add_f64 v[133:134], v[135:136], v[133:134]
	scratch_load_b64 v[135:136], v129, off
	scratch_store_b64 v130, v[133:134], off
	v_max_f64 v[133:134], v[2:3], v[2:3]
	v_min_f64 v[133:134], v[133:134], v[131:132]
	s_waitcnt vmcnt(0)
	s_delay_alu instid0(VALU_DEP_1) | instskip(SKIP_3) | instid1(VALU_DEP_1)
	v_add_f64 v[133:134], v[133:134], v[135:136]
	scratch_store_b64 v129, v[133:134], off
	scratch_load_b64 v[133:134], v128, off
	v_max_f64 v[129:130], v[4:5], v[4:5]
	v_min_f64 v[129:130], v[129:130], v[131:132]
	s_waitcnt vmcnt(0)
	s_delay_alu instid0(VALU_DEP_1) | instskip(SKIP_3) | instid1(VALU_DEP_1)
	v_add_f64 v[129:130], v[129:130], v[133:134]
	scratch_load_b64 v[133:134], v127, off
	scratch_store_b64 v128, v[129:130], off
	v_max_f64 v[128:129], v[6:7], v[6:7]
	v_min_f64 v[128:129], v[128:129], v[131:132]
	s_waitcnt vmcnt(0)
	s_delay_alu instid0(VALU_DEP_1) | instskip(SKIP_3) | instid1(VALU_DEP_1)
	v_add_f64 v[128:129], v[128:129], v[133:134]
	scratch_store_b64 v127, v[128:129], off
	scratch_load_b64 v[129:130], v126, off
	v_max_f64 v[127:128], v[8:9], v[8:9]
	v_min_f64 v[127:128], v[127:128], v[131:132]
	s_waitcnt vmcnt(0)
	s_delay_alu instid0(VALU_DEP_1) | instskip(SKIP_4) | instid1(VALU_DEP_1)
	v_add_f64 v[127:128], v[127:128], v[129:130]
	v_mov_b32_e32 v130, 0x100
	scratch_store_b64 v126, v[127:128], off
	scratch_load_b64 v[128:129], v125, off
	v_max_f64 v[126:127], v[10:11], v[10:11]
	v_min_f64 v[126:127], v[126:127], v[131:132]
	s_waitcnt vmcnt(0)
	s_delay_alu instid0(VALU_DEP_1) | instskip(SKIP_4) | instid1(VALU_DEP_1)
	v_add_f64 v[126:127], v[126:127], v[128:129]
	v_mov_b32_e32 v129, 0x108
	;; [unrolled: 8-line block ×27, first 2 shown]
	scratch_store_b64 v100, v[101:102], off
	scratch_load_b64 v[102:103], v99, off
	v_max_f64 v[100:101], v[62:63], v[62:63]
	v_min_f64 v[100:101], v[100:101], v[131:132]
	s_waitcnt vmcnt(0)
	s_delay_alu instid0(VALU_DEP_1)
	v_add_f64 v[100:101], v[100:101], v[102:103]
	v_mov_b32_e32 v103, 0x1d8
	v_mov_b32_e32 v102, 0x1e0
	scratch_store_b64 v99, v[100:101], off
	v_mov_b32_e32 v101, 0x1e8
	v_mov_b32_e32 v100, 0x1f0
	;; [unrolled: 1-line block ×3, first 2 shown]
	s_cbranch_vccnz .LBB149_47
; %bb.48:                               ;   in Loop: Header=BB149_28 Depth=1
	ds_load_2addr_b64 v[0:3], v86 offset0:1 offset1:17
	ds_load_2addr_b64 v[4:7], v86 offset0:33 offset1:49
	;; [unrolled: 1-line block ×12, first 2 shown]
	v_dual_mov_b32 v129, 8 :: v_dual_add_nc_u32 v64, 8, v90
	ds_load_2addr_b64 v[48:51], v98 offset0:129 offset1:145
	ds_load_2addr_b64 v[52:55], v98 offset0:161 offset1:177
	;; [unrolled: 1-line block ×4, first 2 shown]
	ds_load_2addr_stride64_b64 v[64:67], v64 offset1:4
	v_dual_mov_b32 v130, 0 :: v_dual_mov_b32 v127, 24
	v_dual_mov_b32 v128, 16 :: v_dual_mov_b32 v125, 40
	;; [unrolled: 1-line block ×5, first 2 shown]
	v_mov_b32_e32 v120, 0x50
	v_mov_b32_e32 v118, 0x60
	v_mov_b32_e32 v117, 0x68
	v_mov_b32_e32 v116, 0x70
	v_mov_b32_e32 v115, 0x78
	v_mov_b32_e32 v114, 0x80
	v_mov_b32_e32 v113, 0x88
	v_mov_b32_e32 v112, 0x90
	v_mov_b32_e32 v111, 0x98
	v_mov_b32_e32 v110, 0xa0
	v_mov_b32_e32 v109, 0xa8
	v_mov_b32_e32 v108, 0xb0
	v_mov_b32_e32 v107, 0xb8
	v_mov_b32_e32 v106, 0xc0
	v_mov_b32_e32 v105, 0xc8
	v_mov_b32_e32 v104, 0xd0
	v_mov_b32_e32 v103, 0xd8
	v_mov_b32_e32 v102, 0xe0
	v_mov_b32_e32 v101, 0xe8
	v_mov_b32_e32 v100, 0xf0
	v_mov_b32_e32 v99, 0xf8
	s_mov_b64 s[14:15], 0
	s_mov_b32 s24, -1
.LBB149_49:                             ;   Parent Loop BB149_28 Depth=1
                                        ; =>  This Inner Loop Header: Depth=2
	scratch_load_b64 v[135:136], v130, off
	s_cmp_eq_u32 s14, 1
	s_waitcnt lgkmcnt(16)
	v_max_f64 v[133:134], v[0:1], v[0:1]
	s_cselect_b32 vcc_lo, -1, 0
	s_mov_b64 s[14:15], 1
	s_waitcnt lgkmcnt(0)
	v_dual_cndmask_b32 v132, v65, v67 :: v_dual_cndmask_b32 v131, v64, v66
	s_and_b32 vcc_lo, exec_lo, s24
	s_mov_b32 s24, 0
	s_delay_alu instid0(VALU_DEP_1) | instskip(NEXT) | instid1(VALU_DEP_1)
	v_max_f64 v[131:132], v[131:132], v[131:132]
	v_min_f64 v[133:134], v[133:134], v[131:132]
	s_waitcnt vmcnt(0)
	s_delay_alu instid0(VALU_DEP_1) | instskip(SKIP_3) | instid1(VALU_DEP_1)
	v_add_f64 v[133:134], v[135:136], v[133:134]
	scratch_load_b64 v[135:136], v129, off
	scratch_store_b64 v130, v[133:134], off
	v_max_f64 v[133:134], v[2:3], v[2:3]
	v_min_f64 v[133:134], v[133:134], v[131:132]
	s_waitcnt vmcnt(0)
	s_delay_alu instid0(VALU_DEP_1) | instskip(SKIP_3) | instid1(VALU_DEP_1)
	v_add_f64 v[133:134], v[133:134], v[135:136]
	scratch_store_b64 v129, v[133:134], off
	scratch_load_b64 v[133:134], v128, off
	v_max_f64 v[129:130], v[4:5], v[4:5]
	v_min_f64 v[129:130], v[129:130], v[131:132]
	s_waitcnt vmcnt(0)
	s_delay_alu instid0(VALU_DEP_1) | instskip(SKIP_3) | instid1(VALU_DEP_1)
	v_add_f64 v[129:130], v[129:130], v[133:134]
	scratch_load_b64 v[133:134], v127, off
	scratch_store_b64 v128, v[129:130], off
	v_max_f64 v[128:129], v[6:7], v[6:7]
	v_min_f64 v[128:129], v[128:129], v[131:132]
	s_waitcnt vmcnt(0)
	s_delay_alu instid0(VALU_DEP_1) | instskip(SKIP_3) | instid1(VALU_DEP_1)
	v_add_f64 v[128:129], v[128:129], v[133:134]
	scratch_store_b64 v127, v[128:129], off
	scratch_load_b64 v[129:130], v126, off
	v_max_f64 v[127:128], v[8:9], v[8:9]
	v_min_f64 v[127:128], v[127:128], v[131:132]
	s_waitcnt vmcnt(0)
	s_delay_alu instid0(VALU_DEP_1) | instskip(SKIP_4) | instid1(VALU_DEP_1)
	v_add_f64 v[127:128], v[127:128], v[129:130]
	v_mov_b32_e32 v130, 0x100
	scratch_store_b64 v126, v[127:128], off
	scratch_load_b64 v[128:129], v125, off
	v_max_f64 v[126:127], v[10:11], v[10:11]
	v_min_f64 v[126:127], v[126:127], v[131:132]
	s_waitcnt vmcnt(0)
	s_delay_alu instid0(VALU_DEP_1) | instskip(SKIP_4) | instid1(VALU_DEP_1)
	v_add_f64 v[126:127], v[126:127], v[128:129]
	v_mov_b32_e32 v129, 0x108
	;; [unrolled: 8-line block ×27, first 2 shown]
	scratch_store_b64 v100, v[101:102], off
	scratch_load_b64 v[102:103], v99, off
	v_max_f64 v[100:101], v[62:63], v[62:63]
	v_min_f64 v[100:101], v[100:101], v[131:132]
	s_waitcnt vmcnt(0)
	s_delay_alu instid0(VALU_DEP_1)
	v_add_f64 v[100:101], v[100:101], v[102:103]
	v_mov_b32_e32 v103, 0x1d8
	v_mov_b32_e32 v102, 0x1e0
	scratch_store_b64 v99, v[100:101], off
	v_mov_b32_e32 v101, 0x1e8
	v_mov_b32_e32 v100, 0x1f0
	;; [unrolled: 1-line block ×3, first 2 shown]
	s_cbranch_vccnz .LBB149_49
; %bb.50:                               ;   in Loop: Header=BB149_28 Depth=1
	ds_load_2addr_b64 v[0:3], v86 offset0:2 offset1:18
	ds_load_2addr_b64 v[4:7], v86 offset0:34 offset1:50
	ds_load_2addr_b64 v[8:11], v86 offset0:66 offset1:82
	ds_load_2addr_b64 v[12:15], v86 offset0:98 offset1:114
	ds_load_2addr_b64 v[16:19], v86 offset0:130 offset1:146
	ds_load_2addr_b64 v[20:23], v86 offset0:162 offset1:178
	ds_load_2addr_b64 v[24:27], v86 offset0:194 offset1:210
	ds_load_2addr_b64 v[28:31], v86 offset0:226 offset1:242
	ds_load_2addr_b64 v[32:35], v98 offset0:2 offset1:18
	ds_load_2addr_b64 v[36:39], v98 offset0:34 offset1:50
	ds_load_2addr_b64 v[40:43], v98 offset0:66 offset1:82
	ds_load_2addr_b64 v[44:47], v98 offset0:98 offset1:114
	v_dual_mov_b32 v129, 8 :: v_dual_add_nc_u32 v64, 16, v90
	ds_load_2addr_b64 v[48:51], v98 offset0:130 offset1:146
	ds_load_2addr_b64 v[52:55], v98 offset0:162 offset1:178
	ds_load_2addr_b64 v[56:59], v98 offset0:194 offset1:210
	ds_load_2addr_b64 v[60:63], v98 offset0:226 offset1:242
	ds_load_2addr_stride64_b64 v[64:67], v64 offset1:4
	v_dual_mov_b32 v130, 0 :: v_dual_mov_b32 v127, 24
	v_dual_mov_b32 v128, 16 :: v_dual_mov_b32 v125, 40
	;; [unrolled: 1-line block ×5, first 2 shown]
	v_mov_b32_e32 v120, 0x50
	v_mov_b32_e32 v118, 0x60
	;; [unrolled: 1-line block ×21, first 2 shown]
	s_mov_b64 s[14:15], 0
	s_mov_b32 s24, -1
.LBB149_51:                             ;   Parent Loop BB149_28 Depth=1
                                        ; =>  This Inner Loop Header: Depth=2
	scratch_load_b64 v[135:136], v130, off
	s_cmp_eq_u32 s14, 1
	s_waitcnt lgkmcnt(16)
	v_max_f64 v[133:134], v[0:1], v[0:1]
	s_cselect_b32 vcc_lo, -1, 0
	s_mov_b64 s[14:15], 1
	s_waitcnt lgkmcnt(0)
	v_dual_cndmask_b32 v132, v65, v67 :: v_dual_cndmask_b32 v131, v64, v66
	s_and_b32 vcc_lo, exec_lo, s24
	s_mov_b32 s24, 0
	s_delay_alu instid0(VALU_DEP_1) | instskip(NEXT) | instid1(VALU_DEP_1)
	v_max_f64 v[131:132], v[131:132], v[131:132]
	v_min_f64 v[133:134], v[133:134], v[131:132]
	s_waitcnt vmcnt(0)
	s_delay_alu instid0(VALU_DEP_1) | instskip(SKIP_3) | instid1(VALU_DEP_1)
	v_add_f64 v[133:134], v[135:136], v[133:134]
	scratch_load_b64 v[135:136], v129, off
	scratch_store_b64 v130, v[133:134], off
	v_max_f64 v[133:134], v[2:3], v[2:3]
	v_min_f64 v[133:134], v[133:134], v[131:132]
	s_waitcnt vmcnt(0)
	s_delay_alu instid0(VALU_DEP_1) | instskip(SKIP_3) | instid1(VALU_DEP_1)
	v_add_f64 v[133:134], v[133:134], v[135:136]
	scratch_store_b64 v129, v[133:134], off
	scratch_load_b64 v[133:134], v128, off
	v_max_f64 v[129:130], v[4:5], v[4:5]
	v_min_f64 v[129:130], v[129:130], v[131:132]
	s_waitcnt vmcnt(0)
	s_delay_alu instid0(VALU_DEP_1) | instskip(SKIP_3) | instid1(VALU_DEP_1)
	v_add_f64 v[129:130], v[129:130], v[133:134]
	scratch_load_b64 v[133:134], v127, off
	scratch_store_b64 v128, v[129:130], off
	v_max_f64 v[128:129], v[6:7], v[6:7]
	v_min_f64 v[128:129], v[128:129], v[131:132]
	s_waitcnt vmcnt(0)
	s_delay_alu instid0(VALU_DEP_1) | instskip(SKIP_3) | instid1(VALU_DEP_1)
	v_add_f64 v[128:129], v[128:129], v[133:134]
	scratch_store_b64 v127, v[128:129], off
	scratch_load_b64 v[129:130], v126, off
	v_max_f64 v[127:128], v[8:9], v[8:9]
	v_min_f64 v[127:128], v[127:128], v[131:132]
	s_waitcnt vmcnt(0)
	s_delay_alu instid0(VALU_DEP_1) | instskip(SKIP_4) | instid1(VALU_DEP_1)
	v_add_f64 v[127:128], v[127:128], v[129:130]
	v_mov_b32_e32 v130, 0x100
	scratch_store_b64 v126, v[127:128], off
	scratch_load_b64 v[128:129], v125, off
	v_max_f64 v[126:127], v[10:11], v[10:11]
	v_min_f64 v[126:127], v[126:127], v[131:132]
	s_waitcnt vmcnt(0)
	s_delay_alu instid0(VALU_DEP_1) | instskip(SKIP_4) | instid1(VALU_DEP_1)
	v_add_f64 v[126:127], v[126:127], v[128:129]
	v_mov_b32_e32 v129, 0x108
	;; [unrolled: 8-line block ×27, first 2 shown]
	scratch_store_b64 v100, v[101:102], off
	scratch_load_b64 v[102:103], v99, off
	v_max_f64 v[100:101], v[62:63], v[62:63]
	v_min_f64 v[100:101], v[100:101], v[131:132]
	s_waitcnt vmcnt(0)
	s_delay_alu instid0(VALU_DEP_1)
	v_add_f64 v[100:101], v[100:101], v[102:103]
	v_mov_b32_e32 v103, 0x1d8
	v_mov_b32_e32 v102, 0x1e0
	scratch_store_b64 v99, v[100:101], off
	v_mov_b32_e32 v101, 0x1e8
	v_mov_b32_e32 v100, 0x1f0
	;; [unrolled: 1-line block ×3, first 2 shown]
	s_cbranch_vccnz .LBB149_51
; %bb.52:                               ;   in Loop: Header=BB149_28 Depth=1
	ds_load_2addr_b64 v[0:3], v86 offset0:3 offset1:19
	ds_load_2addr_b64 v[4:7], v86 offset0:35 offset1:51
	;; [unrolled: 1-line block ×12, first 2 shown]
	v_dual_mov_b32 v129, 0 :: v_dual_add_nc_u32 v64, 24, v90
	ds_load_2addr_b64 v[48:51], v98 offset0:131 offset1:147
	ds_load_2addr_b64 v[52:55], v98 offset0:163 offset1:179
	;; [unrolled: 1-line block ×4, first 2 shown]
	ds_load_2addr_stride64_b64 v[64:67], v64 offset1:4
	v_dual_mov_b32 v128, 8 :: v_dual_mov_b32 v127, 16
	v_dual_mov_b32 v126, 24 :: v_dual_mov_b32 v125, 32
	;; [unrolled: 1-line block ×4, first 2 shown]
	v_mov_b32_e32 v120, 0x48
	v_mov_b32_e32 v119, 0x50
	v_mov_b32_e32 v118, 0x58
	v_mov_b32_e32 v117, 0x60
	v_mov_b32_e32 v116, 0x68
	v_mov_b32_e32 v115, 0x70
	v_mov_b32_e32 v114, 0x78
	v_mov_b32_e32 v113, 0x80
	v_mov_b32_e32 v112, 0x88
	v_mov_b32_e32 v111, 0x90
	v_mov_b32_e32 v110, 0x98
	v_mov_b32_e32 v109, 0xa0
	v_mov_b32_e32 v108, 0xa8
	v_mov_b32_e32 v107, 0xb0
	v_mov_b32_e32 v106, 0xb8
	v_mov_b32_e32 v105, 0xc0
	v_mov_b32_e32 v104, 0xc8
	v_mov_b32_e32 v103, 0xd0
	v_mov_b32_e32 v102, 0xd8
	v_mov_b32_e32 v101, 0xe0
	v_mov_b32_e32 v100, 0xe8
	v_mov_b32_e32 v99, 0xf0
	v_mov_b32_e32 v98, 0xf8
	s_mov_b64 s[14:15], 0
	s_mov_b32 s24, -1
.LBB149_53:                             ;   Parent Loop BB149_28 Depth=1
                                        ; =>  This Inner Loop Header: Depth=2
	scratch_load_b64 v[134:135], v129, off
	s_cmp_eq_u32 s14, 1
	s_waitcnt lgkmcnt(16)
	v_max_f64 v[132:133], v[0:1], v[0:1]
	s_cselect_b32 vcc_lo, -1, 0
	s_mov_b64 s[14:15], 1
	s_waitcnt lgkmcnt(0)
	v_dual_cndmask_b32 v131, v65, v67 :: v_dual_cndmask_b32 v130, v64, v66
	s_and_b32 vcc_lo, exec_lo, s24
	s_mov_b32 s24, 0
	s_delay_alu instid0(VALU_DEP_1) | instskip(NEXT) | instid1(VALU_DEP_1)
	v_max_f64 v[130:131], v[130:131], v[130:131]
	v_min_f64 v[132:133], v[132:133], v[130:131]
	s_waitcnt vmcnt(0)
	s_delay_alu instid0(VALU_DEP_1) | instskip(SKIP_3) | instid1(VALU_DEP_1)
	v_add_f64 v[132:133], v[134:135], v[132:133]
	scratch_load_b64 v[134:135], v128, off
	scratch_store_b64 v129, v[132:133], off
	v_max_f64 v[132:133], v[2:3], v[2:3]
	v_min_f64 v[132:133], v[132:133], v[130:131]
	s_waitcnt vmcnt(0)
	s_delay_alu instid0(VALU_DEP_1) | instskip(SKIP_3) | instid1(VALU_DEP_1)
	v_add_f64 v[132:133], v[132:133], v[134:135]
	scratch_store_b64 v128, v[132:133], off
	scratch_load_b64 v[132:133], v127, off
	v_max_f64 v[128:129], v[4:5], v[4:5]
	v_min_f64 v[128:129], v[128:129], v[130:131]
	s_waitcnt vmcnt(0)
	s_delay_alu instid0(VALU_DEP_1) | instskip(SKIP_3) | instid1(VALU_DEP_1)
	v_add_f64 v[128:129], v[128:129], v[132:133]
	scratch_load_b64 v[132:133], v126, off
	scratch_store_b64 v127, v[128:129], off
	v_max_f64 v[127:128], v[6:7], v[6:7]
	v_min_f64 v[127:128], v[127:128], v[130:131]
	s_waitcnt vmcnt(0)
	s_delay_alu instid0(VALU_DEP_1) | instskip(SKIP_3) | instid1(VALU_DEP_1)
	v_add_f64 v[127:128], v[127:128], v[132:133]
	scratch_store_b64 v126, v[127:128], off
	scratch_load_b64 v[128:129], v125, off
	v_max_f64 v[126:127], v[8:9], v[8:9]
	v_min_f64 v[126:127], v[126:127], v[130:131]
	s_waitcnt vmcnt(0)
	s_delay_alu instid0(VALU_DEP_1) | instskip(SKIP_4) | instid1(VALU_DEP_1)
	v_add_f64 v[126:127], v[126:127], v[128:129]
	v_mov_b32_e32 v129, 0x100
	scratch_store_b64 v125, v[126:127], off
	scratch_load_b64 v[127:128], v124, off
	v_max_f64 v[125:126], v[10:11], v[10:11]
	v_min_f64 v[125:126], v[125:126], v[130:131]
	s_waitcnt vmcnt(0)
	s_delay_alu instid0(VALU_DEP_1) | instskip(SKIP_4) | instid1(VALU_DEP_1)
	v_add_f64 v[125:126], v[125:126], v[127:128]
	v_mov_b32_e32 v128, 0x108
	;; [unrolled: 8-line block ×27, first 2 shown]
	scratch_store_b64 v99, v[100:101], off
	scratch_load_b64 v[101:102], v98, off
	v_max_f64 v[99:100], v[62:63], v[62:63]
	v_min_f64 v[99:100], v[99:100], v[130:131]
	s_waitcnt vmcnt(0)
	s_delay_alu instid0(VALU_DEP_1)
	v_add_f64 v[99:100], v[99:100], v[101:102]
	v_mov_b32_e32 v102, 0x1d8
	v_mov_b32_e32 v101, 0x1e0
	scratch_store_b64 v98, v[99:100], off
	v_mov_b32_e32 v100, 0x1e8
	v_mov_b32_e32 v99, 0x1f0
	v_mov_b32_e32 v98, 0x1f8
	s_cbranch_vccnz .LBB149_53
; %bb.54:                               ;   in Loop: Header=BB149_28 Depth=1
	s_add_i32 s21, s21, 8
	s_add_i32 s23, s23, 8
	s_cmp_ge_i32 s21, s20
	ds_store_2addr_stride64_b64 v91, v[73:74], v[75:76] offset1:4
	ds_store_2addr_stride64_b64 v92, v[77:78], v[79:80] offset1:4
	s_waitcnt lgkmcnt(0)
	s_waitcnt_vscnt null, 0x0
	s_barrier
	buffer_gl0_inv
	s_cbranch_scc0 .LBB149_28
.LBB149_55:
	v_dual_mov_b32 v71, 8 :: v_dual_add_nc_u32 v28, 0x1000, v86
	v_dual_mov_b32 v75, 40 :: v_dual_add_nc_u32 v60, 0x1800, v86
	;; [unrolled: 1-line block ×3, first 2 shown]
	ds_load_2addr_b64 v[0:3], v28 offset1:16
	ds_load_2addr_b64 v[4:7], v28 offset0:32 offset1:48
	ds_load_2addr_b64 v[8:11], v28 offset0:64 offset1:80
	;; [unrolled: 1-line block ×7, first 2 shown]
	ds_load_2addr_b64 v[32:35], v60 offset1:16
	ds_load_2addr_b64 v[36:39], v60 offset0:32 offset1:48
	ds_load_2addr_b64 v[40:43], v60 offset0:64 offset1:80
	;; [unrolled: 1-line block ×7, first 2 shown]
	ds_load_2addr_stride64_b64 v[64:67], v88 offset0:24 offset1:28
	v_dual_mov_b32 v70, 0 :: v_dual_add_nc_u32 v69, 0x3000, v88
	v_dual_mov_b32 v72, 16 :: v_dual_mov_b32 v77, 56
	v_dual_mov_b32 v74, 32 :: v_dual_mov_b32 v79, 0x48
	;; [unrolled: 1-line block ×4, first 2 shown]
	v_mov_b32_e32 v80, 0x50
	v_mov_b32_e32 v84, 0x60
	;; [unrolled: 1-line block ×20, first 2 shown]
	s_mov_b64 s[2:3], 0
	s_mov_b32 s8, -1
.LBB149_56:                             ; =>This Inner Loop Header: Depth=1
	scratch_load_b64 v[104:105], v70, off
	scratch_load_b64 v[106:107], v71, off
	;; [unrolled: 1-line block ×32, first 2 shown]
	s_cmp_eq_u32 s2, 1
	s_waitcnt lgkmcnt(16)
	v_max_f64 v[170:171], v[0:1], v[0:1]
	s_cselect_b32 vcc_lo, -1, 0
	v_max_f64 v[172:173], v[2:3], v[2:3]
	s_waitcnt lgkmcnt(0)
	v_dual_cndmask_b32 v169, v65, v67 :: v_dual_cndmask_b32 v168, v64, v66
	v_max_f64 v[174:175], v[4:5], v[4:5]
	v_max_f64 v[176:177], v[6:7], v[6:7]
	;; [unrolled: 1-line block ×31, first 2 shown]
	s_mov_b64 s[2:3], 1
	s_and_b32 vcc_lo, exec_lo, s8
	s_mov_b32 s8, 0
	v_min_f64 v[170:171], v[170:171], v[168:169]
	v_min_f64 v[172:173], v[172:173], v[168:169]
	;; [unrolled: 1-line block ×32, first 2 shown]
	s_waitcnt vmcnt(31)
	v_add_f64 v[104:105], v[104:105], v[170:171]
	s_waitcnt vmcnt(30)
	v_add_f64 v[106:107], v[172:173], v[106:107]
	;; [unrolled: 2-line block ×32, first 2 shown]
	scratch_store_b64 v70, v[104:105], off
	scratch_store_b64 v71, v[106:107], off
	;; [unrolled: 1-line block ×32, first 2 shown]
	v_mov_b32_e32 v70, 0x100
	v_mov_b32_e32 v71, 0x108
	;; [unrolled: 1-line block ×32, first 2 shown]
	s_cbranch_vccnz .LBB149_56
; %bb.57:
	v_dual_mov_b32 v71, 8 :: v_dual_add_nc_u32 v60, 0x800, v68
	ds_load_2addr_b64 v[0:3], v68 offset0:1 offset1:17
	ds_load_2addr_b64 v[4:7], v68 offset0:33 offset1:49
	;; [unrolled: 1-line block ×12, first 2 shown]
	v_dual_mov_b32 v73, 24 :: v_dual_add_nc_u32 v64, 8, v69
	ds_load_2addr_b64 v[48:51], v60 offset0:129 offset1:145
	ds_load_2addr_b64 v[52:55], v60 offset0:161 offset1:177
	;; [unrolled: 1-line block ×4, first 2 shown]
	ds_load_2addr_stride64_b64 v[64:67], v64 offset1:4
	v_dual_mov_b32 v70, 0 :: v_dual_mov_b32 v75, 40
	v_dual_mov_b32 v72, 16 :: v_dual_mov_b32 v77, 56
	;; [unrolled: 1-line block ×5, first 2 shown]
	v_mov_b32_e32 v80, 0x50
	v_mov_b32_e32 v84, 0x60
	;; [unrolled: 1-line block ×20, first 2 shown]
	s_mov_b64 s[2:3], 0
	s_mov_b32 s8, -1
.LBB149_58:                             ; =>This Inner Loop Header: Depth=1
	scratch_load_b64 v[104:105], v70, off
	scratch_load_b64 v[106:107], v71, off
	;; [unrolled: 1-line block ×32, first 2 shown]
	s_cmp_eq_u32 s2, 1
	s_waitcnt lgkmcnt(16)
	v_max_f64 v[170:171], v[0:1], v[0:1]
	s_cselect_b32 vcc_lo, -1, 0
	v_max_f64 v[172:173], v[2:3], v[2:3]
	s_waitcnt lgkmcnt(0)
	v_dual_cndmask_b32 v169, v65, v67 :: v_dual_cndmask_b32 v168, v64, v66
	v_max_f64 v[174:175], v[4:5], v[4:5]
	v_max_f64 v[176:177], v[6:7], v[6:7]
	;; [unrolled: 1-line block ×31, first 2 shown]
	s_mov_b64 s[2:3], 1
	s_and_b32 vcc_lo, exec_lo, s8
	s_mov_b32 s8, 0
	v_min_f64 v[170:171], v[170:171], v[168:169]
	v_min_f64 v[172:173], v[172:173], v[168:169]
	v_min_f64 v[174:175], v[174:175], v[168:169]
	v_min_f64 v[176:177], v[176:177], v[168:169]
	v_min_f64 v[178:179], v[178:179], v[168:169]
	v_min_f64 v[180:181], v[180:181], v[168:169]
	v_min_f64 v[182:183], v[182:183], v[168:169]
	v_min_f64 v[184:185], v[184:185], v[168:169]
	v_min_f64 v[186:187], v[186:187], v[168:169]
	v_min_f64 v[188:189], v[188:189], v[168:169]
	v_min_f64 v[190:191], v[190:191], v[168:169]
	v_min_f64 v[192:193], v[192:193], v[168:169]
	v_min_f64 v[194:195], v[194:195], v[168:169]
	v_min_f64 v[196:197], v[196:197], v[168:169]
	v_min_f64 v[198:199], v[198:199], v[168:169]
	v_min_f64 v[200:201], v[200:201], v[168:169]
	v_min_f64 v[202:203], v[202:203], v[168:169]
	v_min_f64 v[204:205], v[204:205], v[168:169]
	v_min_f64 v[206:207], v[206:207], v[168:169]
	v_min_f64 v[208:209], v[208:209], v[168:169]
	v_min_f64 v[210:211], v[210:211], v[168:169]
	v_min_f64 v[212:213], v[212:213], v[168:169]
	v_min_f64 v[214:215], v[214:215], v[168:169]
	v_min_f64 v[216:217], v[216:217], v[168:169]
	v_min_f64 v[218:219], v[218:219], v[168:169]
	v_min_f64 v[220:221], v[220:221], v[168:169]
	v_min_f64 v[222:223], v[222:223], v[168:169]
	v_min_f64 v[224:225], v[224:225], v[168:169]
	v_min_f64 v[226:227], v[226:227], v[168:169]
	v_min_f64 v[228:229], v[228:229], v[168:169]
	v_min_f64 v[230:231], v[230:231], v[168:169]
	v_min_f64 v[168:169], v[232:233], v[168:169]
	s_waitcnt vmcnt(31)
	v_add_f64 v[104:105], v[104:105], v[170:171]
	s_waitcnt vmcnt(30)
	v_add_f64 v[106:107], v[172:173], v[106:107]
	s_waitcnt vmcnt(29)
	v_add_f64 v[108:109], v[174:175], v[108:109]
	s_waitcnt vmcnt(28)
	v_add_f64 v[110:111], v[176:177], v[110:111]
	s_waitcnt vmcnt(27)
	v_add_f64 v[112:113], v[178:179], v[112:113]
	s_waitcnt vmcnt(26)
	v_add_f64 v[114:115], v[180:181], v[114:115]
	s_waitcnt vmcnt(25)
	v_add_f64 v[116:117], v[182:183], v[116:117]
	s_waitcnt vmcnt(24)
	v_add_f64 v[118:119], v[184:185], v[118:119]
	s_waitcnt vmcnt(23)
	v_add_f64 v[120:121], v[186:187], v[120:121]
	s_waitcnt vmcnt(22)
	v_add_f64 v[122:123], v[188:189], v[122:123]
	s_waitcnt vmcnt(21)
	v_add_f64 v[124:125], v[190:191], v[124:125]
	s_waitcnt vmcnt(20)
	v_add_f64 v[126:127], v[192:193], v[126:127]
	s_waitcnt vmcnt(19)
	v_add_f64 v[128:129], v[194:195], v[128:129]
	s_waitcnt vmcnt(18)
	v_add_f64 v[130:131], v[196:197], v[130:131]
	s_waitcnt vmcnt(17)
	v_add_f64 v[132:133], v[198:199], v[132:133]
	s_waitcnt vmcnt(16)
	v_add_f64 v[134:135], v[200:201], v[134:135]
	s_waitcnt vmcnt(15)
	v_add_f64 v[136:137], v[202:203], v[136:137]
	s_waitcnt vmcnt(14)
	v_add_f64 v[138:139], v[204:205], v[138:139]
	s_waitcnt vmcnt(13)
	v_add_f64 v[140:141], v[206:207], v[140:141]
	s_waitcnt vmcnt(12)
	v_add_f64 v[142:143], v[208:209], v[142:143]
	s_waitcnt vmcnt(11)
	v_add_f64 v[144:145], v[210:211], v[144:145]
	s_waitcnt vmcnt(10)
	v_add_f64 v[146:147], v[212:213], v[146:147]
	s_waitcnt vmcnt(9)
	v_add_f64 v[148:149], v[214:215], v[148:149]
	s_waitcnt vmcnt(8)
	v_add_f64 v[150:151], v[216:217], v[150:151]
	s_waitcnt vmcnt(7)
	v_add_f64 v[152:153], v[218:219], v[152:153]
	s_waitcnt vmcnt(6)
	v_add_f64 v[154:155], v[220:221], v[154:155]
	s_waitcnt vmcnt(5)
	v_add_f64 v[156:157], v[222:223], v[156:157]
	s_waitcnt vmcnt(4)
	v_add_f64 v[158:159], v[224:225], v[158:159]
	s_waitcnt vmcnt(3)
	v_add_f64 v[160:161], v[226:227], v[160:161]
	s_waitcnt vmcnt(2)
	v_add_f64 v[162:163], v[228:229], v[162:163]
	s_waitcnt vmcnt(1)
	v_add_f64 v[164:165], v[230:231], v[164:165]
	s_waitcnt vmcnt(0)
	v_add_f64 v[166:167], v[168:169], v[166:167]
	scratch_store_b64 v70, v[104:105], off
	scratch_store_b64 v71, v[106:107], off
	;; [unrolled: 1-line block ×32, first 2 shown]
	v_mov_b32_e32 v70, 0x100
	v_mov_b32_e32 v71, 0x108
	;; [unrolled: 1-line block ×32, first 2 shown]
	s_cbranch_vccnz .LBB149_58
; %bb.59:
	v_dual_mov_b32 v71, 8 :: v_dual_add_nc_u32 v60, 0x800, v68
	ds_load_2addr_b64 v[0:3], v68 offset0:2 offset1:18
	ds_load_2addr_b64 v[4:7], v68 offset0:34 offset1:50
	;; [unrolled: 1-line block ×12, first 2 shown]
	v_dual_mov_b32 v73, 24 :: v_dual_add_nc_u32 v64, 16, v69
	ds_load_2addr_b64 v[48:51], v60 offset0:130 offset1:146
	ds_load_2addr_b64 v[52:55], v60 offset0:162 offset1:178
	ds_load_2addr_b64 v[56:59], v60 offset0:194 offset1:210
	ds_load_2addr_b64 v[60:63], v60 offset0:226 offset1:242
	ds_load_2addr_stride64_b64 v[64:67], v64 offset1:4
	v_dual_mov_b32 v70, 0 :: v_dual_mov_b32 v75, 40
	v_dual_mov_b32 v72, 16 :: v_dual_mov_b32 v77, 56
	;; [unrolled: 1-line block ×5, first 2 shown]
	v_mov_b32_e32 v80, 0x50
	v_mov_b32_e32 v84, 0x60
	;; [unrolled: 1-line block ×20, first 2 shown]
	s_mov_b64 s[2:3], 0
	s_mov_b32 s8, -1
.LBB149_60:                             ; =>This Inner Loop Header: Depth=1
	scratch_load_b64 v[104:105], v70, off
	scratch_load_b64 v[106:107], v71, off
	;; [unrolled: 1-line block ×32, first 2 shown]
	s_cmp_eq_u32 s2, 1
	s_waitcnt lgkmcnt(16)
	v_max_f64 v[170:171], v[0:1], v[0:1]
	s_cselect_b32 vcc_lo, -1, 0
	v_max_f64 v[172:173], v[2:3], v[2:3]
	s_waitcnt lgkmcnt(0)
	v_dual_cndmask_b32 v169, v65, v67 :: v_dual_cndmask_b32 v168, v64, v66
	v_max_f64 v[174:175], v[4:5], v[4:5]
	v_max_f64 v[176:177], v[6:7], v[6:7]
	;; [unrolled: 1-line block ×31, first 2 shown]
	s_mov_b64 s[2:3], 1
	s_and_b32 vcc_lo, exec_lo, s8
	s_mov_b32 s8, 0
	v_min_f64 v[170:171], v[170:171], v[168:169]
	v_min_f64 v[172:173], v[172:173], v[168:169]
	v_min_f64 v[174:175], v[174:175], v[168:169]
	v_min_f64 v[176:177], v[176:177], v[168:169]
	v_min_f64 v[178:179], v[178:179], v[168:169]
	v_min_f64 v[180:181], v[180:181], v[168:169]
	v_min_f64 v[182:183], v[182:183], v[168:169]
	v_min_f64 v[184:185], v[184:185], v[168:169]
	v_min_f64 v[186:187], v[186:187], v[168:169]
	v_min_f64 v[188:189], v[188:189], v[168:169]
	v_min_f64 v[190:191], v[190:191], v[168:169]
	v_min_f64 v[192:193], v[192:193], v[168:169]
	v_min_f64 v[194:195], v[194:195], v[168:169]
	v_min_f64 v[196:197], v[196:197], v[168:169]
	v_min_f64 v[198:199], v[198:199], v[168:169]
	v_min_f64 v[200:201], v[200:201], v[168:169]
	v_min_f64 v[202:203], v[202:203], v[168:169]
	v_min_f64 v[204:205], v[204:205], v[168:169]
	v_min_f64 v[206:207], v[206:207], v[168:169]
	v_min_f64 v[208:209], v[208:209], v[168:169]
	v_min_f64 v[210:211], v[210:211], v[168:169]
	v_min_f64 v[212:213], v[212:213], v[168:169]
	v_min_f64 v[214:215], v[214:215], v[168:169]
	v_min_f64 v[216:217], v[216:217], v[168:169]
	v_min_f64 v[218:219], v[218:219], v[168:169]
	v_min_f64 v[220:221], v[220:221], v[168:169]
	v_min_f64 v[222:223], v[222:223], v[168:169]
	v_min_f64 v[224:225], v[224:225], v[168:169]
	v_min_f64 v[226:227], v[226:227], v[168:169]
	v_min_f64 v[228:229], v[228:229], v[168:169]
	v_min_f64 v[230:231], v[230:231], v[168:169]
	v_min_f64 v[168:169], v[232:233], v[168:169]
	s_waitcnt vmcnt(31)
	v_add_f64 v[104:105], v[104:105], v[170:171]
	s_waitcnt vmcnt(30)
	v_add_f64 v[106:107], v[172:173], v[106:107]
	;; [unrolled: 2-line block ×32, first 2 shown]
	scratch_store_b64 v70, v[104:105], off
	scratch_store_b64 v71, v[106:107], off
	scratch_store_b64 v72, v[108:109], off
	scratch_store_b64 v73, v[110:111], off
	scratch_store_b64 v74, v[112:113], off
	scratch_store_b64 v75, v[114:115], off
	scratch_store_b64 v76, v[116:117], off
	scratch_store_b64 v77, v[118:119], off
	scratch_store_b64 v78, v[120:121], off
	scratch_store_b64 v79, v[122:123], off
	scratch_store_b64 v80, v[124:125], off
	scratch_store_b64 v83, v[126:127], off
	scratch_store_b64 v84, v[128:129], off
	scratch_store_b64 v85, v[130:131], off
	scratch_store_b64 v86, v[132:133], off
	scratch_store_b64 v87, v[134:135], off
	scratch_store_b64 v88, v[136:137], off
	scratch_store_b64 v89, v[138:139], off
	scratch_store_b64 v90, v[140:141], off
	scratch_store_b64 v91, v[142:143], off
	scratch_store_b64 v92, v[144:145], off
	scratch_store_b64 v93, v[146:147], off
	scratch_store_b64 v94, v[148:149], off
	scratch_store_b64 v95, v[150:151], off
	scratch_store_b64 v96, v[152:153], off
	scratch_store_b64 v97, v[154:155], off
	scratch_store_b64 v98, v[156:157], off
	scratch_store_b64 v99, v[158:159], off
	scratch_store_b64 v100, v[160:161], off
	scratch_store_b64 v101, v[162:163], off
	scratch_store_b64 v102, v[164:165], off
	scratch_store_b64 v103, v[166:167], off
	v_mov_b32_e32 v70, 0x100
	v_mov_b32_e32 v71, 0x108
	;; [unrolled: 1-line block ×32, first 2 shown]
	s_cbranch_vccnz .LBB149_60
; %bb.61:
	v_add_nc_u32_e32 v60, 0x800, v68
	ds_load_2addr_b64 v[0:3], v68 offset0:3 offset1:19
	ds_load_2addr_b64 v[4:7], v68 offset0:35 offset1:51
	;; [unrolled: 1-line block ×4, first 2 shown]
	v_dual_mov_b32 v71, 24 :: v_dual_add_nc_u32 v64, 24, v69
	v_mov_b32_e32 v69, 8
	ds_load_2addr_b64 v[16:19], v68 offset0:131 offset1:147
	ds_load_2addr_b64 v[20:23], v68 offset0:163 offset1:179
	;; [unrolled: 1-line block ×12, first 2 shown]
	ds_load_2addr_stride64_b64 v[64:67], v64 offset1:4
	v_dual_mov_b32 v68, 0 :: v_dual_mov_b32 v73, 40
	v_dual_mov_b32 v70, 16 :: v_dual_mov_b32 v75, 56
	;; [unrolled: 1-line block ×5, first 2 shown]
	v_mov_b32_e32 v78, 0x50
	v_mov_b32_e32 v80, 0x60
	;; [unrolled: 1-line block ×20, first 2 shown]
	s_mov_b64 s[2:3], 0
	s_mov_b32 s8, -1
.LBB149_62:                             ; =>This Inner Loop Header: Depth=1
	scratch_load_b64 v[102:103], v68, off
	scratch_load_b64 v[104:105], v69, off
	;; [unrolled: 1-line block ×32, first 2 shown]
	s_cmp_eq_u32 s2, 1
	s_waitcnt lgkmcnt(16)
	v_max_f64 v[168:169], v[0:1], v[0:1]
	s_cselect_b32 vcc_lo, -1, 0
	v_max_f64 v[170:171], v[2:3], v[2:3]
	s_waitcnt lgkmcnt(0)
	v_dual_cndmask_b32 v167, v65, v67 :: v_dual_cndmask_b32 v166, v64, v66
	v_max_f64 v[172:173], v[4:5], v[4:5]
	v_max_f64 v[174:175], v[6:7], v[6:7]
	;; [unrolled: 1-line block ×31, first 2 shown]
	s_mov_b64 s[2:3], 1
	s_and_b32 vcc_lo, exec_lo, s8
	s_mov_b32 s8, 0
	v_min_f64 v[168:169], v[168:169], v[166:167]
	v_min_f64 v[170:171], v[170:171], v[166:167]
	;; [unrolled: 1-line block ×32, first 2 shown]
	s_waitcnt vmcnt(31)
	v_add_f64 v[102:103], v[102:103], v[168:169]
	s_waitcnt vmcnt(30)
	v_add_f64 v[104:105], v[170:171], v[104:105]
	;; [unrolled: 2-line block ×32, first 2 shown]
	scratch_store_b64 v68, v[102:103], off
	scratch_store_b64 v69, v[104:105], off
	;; [unrolled: 1-line block ×32, first 2 shown]
	v_mov_b32_e32 v68, 0x100
	v_mov_b32_e32 v69, 0x108
	;; [unrolled: 1-line block ×32, first 2 shown]
	s_cbranch_vccnz .LBB149_62
; %bb.63:
	scratch_load_b64 v[2:3], off, off
	s_load_b32 s3, s[0:1], 0x58
	v_dual_mov_b32 v4, 0 :: v_dual_add_nc_u32 v71, s17, v82
	v_dual_mov_b32 v5, 0 :: v_dual_add_nc_u32 v16, s16, v81
	v_mov_b32_e32 v8, 0
	v_mov_b32_e32 v9, 0
	s_and_b32 s2, exec_lo, s18
	s_delay_alu instid0(VALU_DEP_3) | instskip(SKIP_2) | instid1(VALU_DEP_1)
	v_ashrrev_i32_e32 v17, 31, v16
	s_waitcnt lgkmcnt(0)
	v_mad_i64_i32 v[0:1], null, v71, s3, 0
	v_lshlrev_b64 v[0:1], 3, v[0:1]
	s_delay_alu instid0(VALU_DEP_1) | instskip(NEXT) | instid1(VALU_DEP_2)
	v_add_co_u32 v72, vcc_lo, s4, v0
	v_add_co_ci_u32_e32 v73, vcc_lo, s5, v1, vcc_lo
	v_lshlrev_b64 v[0:1], 3, v[16:17]
	s_mov_b32 vcc_lo, s2
	s_cbranch_vccz .LBB149_65
; %bb.64:
	s_delay_alu instid0(VALU_DEP_1) | instskip(NEXT) | instid1(VALU_DEP_2)
	v_add_co_u32 v6, vcc_lo, v72, v0
	v_add_co_ci_u32_e32 v7, vcc_lo, v73, v1, vcc_lo
	flat_load_b64 v[6:7], v[6:7]
	s_waitcnt vmcnt(0) lgkmcnt(0)
	v_mul_f64 v[8:9], v[6:7], s[6:7]
.LBB149_65:
	scratch_load_b64 v[6:7], off, off offset:8
	s_clause 0x1
	s_load_b32 s8, s[0:1], 0x70
	s_load_b64 s[0:1], s[0:1], 0x78
	s_waitcnt vmcnt(1)
	v_add_f64 v[8:9], v[2:3], v[8:9]
	v_add_nc_u32_e32 v10, 4, v16
	v_cndmask_b32_e64 v12, 0, 1, s18
	s_delay_alu instid0(VALU_DEP_2)
	v_ashrrev_i32_e32 v11, 31, v10
	s_waitcnt lgkmcnt(0)
	v_mad_i64_i32 v[2:3], null, v71, s8, 0
	s_lshl_b64 s[12:13], s[0:1], 3
	v_cmp_ne_u32_e64 s0, 1, v12
	s_add_u32 s1, s10, s12
	s_addc_u32 s9, s11, s13
	s_delay_alu instid0(VALU_DEP_2) | instskip(NEXT) | instid1(VALU_DEP_1)
	v_lshlrev_b64 v[2:3], 3, v[2:3]
	v_add_co_u32 v74, vcc_lo, s1, v2
	s_delay_alu instid0(VALU_DEP_2) | instskip(SKIP_1) | instid1(VALU_DEP_3)
	v_add_co_ci_u32_e32 v75, vcc_lo, s9, v3, vcc_lo
	v_lshlrev_b64 v[2:3], 3, v[10:11]
	v_add_co_u32 v12, vcc_lo, v74, v0
	s_delay_alu instid0(VALU_DEP_3)
	v_add_co_ci_u32_e32 v13, vcc_lo, v75, v1, vcc_lo
	s_and_not1_b32 vcc_lo, exec_lo, s18
	global_store_b64 v[12:13], v[8:9], off
	s_cbranch_vccnz .LBB149_67
; %bb.66:
	v_add_co_u32 v4, vcc_lo, v72, v2
	v_add_co_ci_u32_e32 v5, vcc_lo, v73, v3, vcc_lo
	flat_load_b64 v[4:5], v[4:5]
	s_waitcnt vmcnt(0) lgkmcnt(0)
	v_mul_f64 v[4:5], v[4:5], s[6:7]
.LBB149_67:
	scratch_load_b64 v[10:11], off, off offset:16
	s_waitcnt vmcnt(1)
	v_add_f64 v[12:13], v[6:7], v[4:5]
	v_add_nc_u32_e32 v4, 8, v16
	v_mov_b32_e32 v8, 0
	v_mov_b32_e32 v9, 0
	v_add_co_u32 v14, vcc_lo, v74, v2
	s_delay_alu instid0(VALU_DEP_4) | instskip(SKIP_3) | instid1(VALU_DEP_4)
	v_ashrrev_i32_e32 v5, 31, v4
	v_mov_b32_e32 v6, 0
	v_mov_b32_e32 v7, 0
	v_add_co_ci_u32_e32 v15, vcc_lo, v75, v3, vcc_lo
	v_lshlrev_b64 v[4:5], 3, v[4:5]
	s_and_b32 vcc_lo, exec_lo, s0
	global_store_b64 v[14:15], v[12:13], off
	s_cbranch_vccnz .LBB149_69
; %bb.68:
	v_add_co_u32 v6, vcc_lo, v72, v4
	v_add_co_ci_u32_e32 v7, vcc_lo, v73, v5, vcc_lo
	flat_load_b64 v[6:7], v[6:7]
	s_waitcnt vmcnt(0) lgkmcnt(0)
	v_mul_f64 v[6:7], v[6:7], s[6:7]
.LBB149_69:
	scratch_load_b64 v[12:13], off, off offset:24
	s_waitcnt vmcnt(1)
	v_add_f64 v[10:11], v[10:11], v[6:7]
	v_add_nc_u32_e32 v6, 12, v16
	v_add_co_u32 v14, vcc_lo, v74, v4
	v_add_co_ci_u32_e32 v15, vcc_lo, v75, v5, vcc_lo
	s_delay_alu instid0(VALU_DEP_3) | instskip(SKIP_1) | instid1(VALU_DEP_1)
	v_ashrrev_i32_e32 v7, 31, v6
	s_and_b32 vcc_lo, exec_lo, s0
	v_lshlrev_b64 v[6:7], 3, v[6:7]
	global_store_b64 v[14:15], v[10:11], off
	s_cbranch_vccnz .LBB149_71
; %bb.70:
	v_add_co_u32 v8, vcc_lo, v72, v6
	v_add_co_ci_u32_e32 v9, vcc_lo, v73, v7, vcc_lo
	flat_load_b64 v[8:9], v[8:9]
	s_waitcnt vmcnt(0) lgkmcnt(0)
	v_mul_f64 v[8:9], v[8:9], s[6:7]
.LBB149_71:
	scratch_load_b64 v[10:11], off, off offset:32
	s_waitcnt vmcnt(1)
	v_add_f64 v[17:18], v[12:13], v[8:9]
	v_add_nc_u32_e32 v8, 16, v16
	v_mov_b32_e32 v12, 0
	v_mov_b32_e32 v13, 0
	v_add_co_u32 v19, vcc_lo, v74, v6
	s_delay_alu instid0(VALU_DEP_4) | instskip(SKIP_3) | instid1(VALU_DEP_4)
	v_ashrrev_i32_e32 v9, 31, v8
	v_mov_b32_e32 v14, 0
	v_mov_b32_e32 v15, 0
	v_add_co_ci_u32_e32 v20, vcc_lo, v75, v7, vcc_lo
	v_lshlrev_b64 v[8:9], 3, v[8:9]
	s_and_b32 vcc_lo, exec_lo, s0
	global_store_b64 v[19:20], v[17:18], off
	s_cbranch_vccnz .LBB149_73
; %bb.72:
	v_add_co_u32 v14, vcc_lo, v72, v8
	v_add_co_ci_u32_e32 v15, vcc_lo, v73, v9, vcc_lo
	flat_load_b64 v[14:15], v[14:15]
	s_waitcnt vmcnt(0) lgkmcnt(0)
	v_mul_f64 v[14:15], v[14:15], s[6:7]
.LBB149_73:
	scratch_load_b64 v[17:18], off, off offset:40
	s_waitcnt vmcnt(1)
	v_add_f64 v[14:15], v[10:11], v[14:15]
	v_add_nc_u32_e32 v10, 20, v16
	v_add_co_u32 v19, vcc_lo, v74, v8
	v_add_co_ci_u32_e32 v20, vcc_lo, v75, v9, vcc_lo
	s_delay_alu instid0(VALU_DEP_3) | instskip(SKIP_1) | instid1(VALU_DEP_1)
	v_ashrrev_i32_e32 v11, 31, v10
	s_and_b32 vcc_lo, exec_lo, s0
	v_lshlrev_b64 v[10:11], 3, v[10:11]
	global_store_b64 v[19:20], v[14:15], off
	s_cbranch_vccnz .LBB149_75
; %bb.74:
	v_add_co_u32 v12, vcc_lo, v72, v10
	v_add_co_ci_u32_e32 v13, vcc_lo, v73, v11, vcc_lo
	flat_load_b64 v[12:13], v[12:13]
	s_waitcnt vmcnt(0) lgkmcnt(0)
	v_mul_f64 v[12:13], v[12:13], s[6:7]
.LBB149_75:
	scratch_load_b64 v[14:15], off, off offset:48
	s_waitcnt vmcnt(1)
	v_add_f64 v[21:22], v[17:18], v[12:13]
	v_dual_mov_b32 v17, 0 :: v_dual_add_nc_u32 v12, 24, v16
	v_add_co_u32 v23, vcc_lo, v74, v10
	v_dual_mov_b32 v18, 0 :: v_dual_mov_b32 v19, 0
	s_delay_alu instid0(VALU_DEP_3) | instskip(SKIP_3) | instid1(VALU_DEP_3)
	v_ashrrev_i32_e32 v13, 31, v12
	v_add_co_ci_u32_e32 v24, vcc_lo, v75, v11, vcc_lo
	v_mov_b32_e32 v20, 0
	s_and_b32 vcc_lo, exec_lo, s0
	v_lshlrev_b64 v[12:13], 3, v[12:13]
	global_store_b64 v[23:24], v[21:22], off
	s_cbranch_vccnz .LBB149_77
; %bb.76:
	v_add_co_u32 v19, vcc_lo, v72, v12
	v_add_co_ci_u32_e32 v20, vcc_lo, v73, v13, vcc_lo
	flat_load_b64 v[19:20], v[19:20]
	s_waitcnt vmcnt(0) lgkmcnt(0)
	v_mul_f64 v[19:20], v[19:20], s[6:7]
.LBB149_77:
	scratch_load_b64 v[21:22], off, off offset:56
	s_waitcnt vmcnt(1)
	v_add_f64 v[19:20], v[14:15], v[19:20]
	v_add_nc_u32_e32 v14, 28, v16
	v_add_co_u32 v23, vcc_lo, v74, v12
	v_add_co_ci_u32_e32 v24, vcc_lo, v75, v13, vcc_lo
	s_delay_alu instid0(VALU_DEP_3) | instskip(SKIP_1) | instid1(VALU_DEP_1)
	v_ashrrev_i32_e32 v15, 31, v14
	s_and_b32 vcc_lo, exec_lo, s0
	v_lshlrev_b64 v[14:15], 3, v[14:15]
	global_store_b64 v[23:24], v[19:20], off
	s_cbranch_vccnz .LBB149_79
; %bb.78:
	v_add_co_u32 v17, vcc_lo, v72, v14
	v_add_co_ci_u32_e32 v18, vcc_lo, v73, v15, vcc_lo
	flat_load_b64 v[17:18], v[17:18]
	s_waitcnt vmcnt(0) lgkmcnt(0)
	v_mul_f64 v[17:18], v[17:18], s[6:7]
.LBB149_79:
	scratch_load_b64 v[19:20], off, off offset:64
	s_waitcnt vmcnt(1)
	v_add_f64 v[25:26], v[21:22], v[17:18]
	v_add_nc_u32_e32 v17, 32, v16
	v_mov_b32_e32 v21, 0
	v_mov_b32_e32 v22, 0
	v_add_co_u32 v27, vcc_lo, v74, v14
	s_delay_alu instid0(VALU_DEP_4) | instskip(SKIP_3) | instid1(VALU_DEP_4)
	v_ashrrev_i32_e32 v18, 31, v17
	v_mov_b32_e32 v23, 0
	v_mov_b32_e32 v24, 0
	v_add_co_ci_u32_e32 v28, vcc_lo, v75, v15, vcc_lo
	v_lshlrev_b64 v[17:18], 3, v[17:18]
	s_and_b32 vcc_lo, exec_lo, s0
	global_store_b64 v[27:28], v[25:26], off
	s_cbranch_vccnz .LBB149_81
; %bb.80:
	v_add_co_u32 v23, vcc_lo, v72, v17
	v_add_co_ci_u32_e32 v24, vcc_lo, v73, v18, vcc_lo
	flat_load_b64 v[23:24], v[23:24]
	s_waitcnt vmcnt(0) lgkmcnt(0)
	v_mul_f64 v[23:24], v[23:24], s[6:7]
.LBB149_81:
	scratch_load_b64 v[25:26], off, off offset:72
	s_waitcnt vmcnt(1)
	v_add_f64 v[23:24], v[19:20], v[23:24]
	v_add_nc_u32_e32 v19, 36, v16
	v_add_co_u32 v27, vcc_lo, v74, v17
	v_add_co_ci_u32_e32 v28, vcc_lo, v75, v18, vcc_lo
	s_delay_alu instid0(VALU_DEP_3) | instskip(SKIP_1) | instid1(VALU_DEP_1)
	v_ashrrev_i32_e32 v20, 31, v19
	s_and_b32 vcc_lo, exec_lo, s0
	v_lshlrev_b64 v[19:20], 3, v[19:20]
	global_store_b64 v[27:28], v[23:24], off
	s_cbranch_vccnz .LBB149_83
; %bb.82:
	v_add_co_u32 v21, vcc_lo, v72, v19
	v_add_co_ci_u32_e32 v22, vcc_lo, v73, v20, vcc_lo
	flat_load_b64 v[21:22], v[21:22]
	s_waitcnt vmcnt(0) lgkmcnt(0)
	v_mul_f64 v[21:22], v[21:22], s[6:7]
.LBB149_83:
	scratch_load_b64 v[23:24], off, off offset:80
	s_waitcnt vmcnt(1)
	v_add_f64 v[29:30], v[25:26], v[21:22]
	v_add_nc_u32_e32 v21, 40, v16
	v_mov_b32_e32 v25, 0
	v_mov_b32_e32 v26, 0
	v_add_co_u32 v31, vcc_lo, v74, v19
	s_delay_alu instid0(VALU_DEP_4) | instskip(SKIP_3) | instid1(VALU_DEP_4)
	v_ashrrev_i32_e32 v22, 31, v21
	v_mov_b32_e32 v27, 0
	v_mov_b32_e32 v28, 0
	v_add_co_ci_u32_e32 v32, vcc_lo, v75, v20, vcc_lo
	v_lshlrev_b64 v[21:22], 3, v[21:22]
	s_and_b32 vcc_lo, exec_lo, s0
	;; [unrolled: 42-line block ×12, first 2 shown]
	global_store_b64 v[76:77], v[67:68], off
	s_cbranch_vccnz .LBB149_125
; %bb.124:
	v_add_co_u32 v67, vcc_lo, v72, v61
	v_add_co_ci_u32_e32 v68, vcc_lo, v73, v62, vcc_lo
	flat_load_b64 v[67:68], v[67:68]
	s_waitcnt vmcnt(0) lgkmcnt(0)
	v_mul_f64 v[69:70], v[67:68], s[6:7]
.LBB149_125:
	scratch_load_b64 v[67:68], off, off offset:248
	s_waitcnt vmcnt(1)
	v_add_f64 v[69:70], v[63:64], v[69:70]
	v_add_nc_u32_e32 v63, 0x7c, v16
	v_add_co_u32 v76, vcc_lo, v74, v61
	v_add_co_ci_u32_e32 v77, vcc_lo, v75, v62, vcc_lo
	s_delay_alu instid0(VALU_DEP_3) | instskip(SKIP_1) | instid1(VALU_DEP_1)
	v_ashrrev_i32_e32 v64, 31, v63
	s_and_b32 vcc_lo, exec_lo, s0
	v_lshlrev_b64 v[63:64], 3, v[63:64]
	global_store_b64 v[76:77], v[69:70], off
	s_cbranch_vccnz .LBB149_127
; %bb.126:
	v_add_co_u32 v65, vcc_lo, v72, v63
	v_add_co_ci_u32_e32 v66, vcc_lo, v73, v64, vcc_lo
	flat_load_b64 v[65:66], v[65:66]
	s_waitcnt vmcnt(0) lgkmcnt(0)
	v_mul_f64 v[65:66], v[65:66], s[6:7]
.LBB149_127:
	scratch_load_b64 v[69:70], off, off offset:256
	s_waitcnt vmcnt(1)
	v_add_f64 v[67:68], v[67:68], v[65:66]
	v_add_nc_u32_e32 v76, 64, v71
	v_add_co_u32 v74, vcc_lo, v74, v63
	v_add_co_ci_u32_e32 v75, vcc_lo, v75, v64, vcc_lo
	s_delay_alu instid0(VALU_DEP_3) | instskip(SKIP_2) | instid1(VALU_DEP_3)
	v_mad_i64_i32 v[65:66], null, v76, s3, 0
	v_mov_b32_e32 v71, 0
	v_mov_b32_e32 v72, 0
	v_lshlrev_b64 v[77:78], 3, v[65:66]
	v_mov_b32_e32 v65, 0
	v_mov_b32_e32 v66, 0
	s_delay_alu instid0(VALU_DEP_3) | instskip(NEXT) | instid1(VALU_DEP_4)
	v_add_co_u32 v16, vcc_lo, s4, v77
	v_add_co_ci_u32_e32 v73, vcc_lo, s5, v78, vcc_lo
	s_mov_b32 vcc_lo, s2
	global_store_b64 v[74:75], v[67:68], off
	s_cbranch_vccz .LBB149_129
; %bb.128:
	v_add_co_u32 v67, vcc_lo, v16, v0
	v_add_co_ci_u32_e32 v68, vcc_lo, v73, v1, vcc_lo
	flat_load_b64 v[67:68], v[67:68]
	s_waitcnt vmcnt(0) lgkmcnt(0)
	v_mul_f64 v[71:72], v[67:68], s[6:7]
.LBB149_129:
	scratch_load_b64 v[67:68], off, off offset:264
	s_waitcnt vmcnt(1)
	v_add_f64 v[69:70], v[69:70], v[71:72]
	v_mad_i64_i32 v[71:72], null, v76, s8, 0
	s_delay_alu instid0(VALU_DEP_1) | instskip(NEXT) | instid1(VALU_DEP_1)
	v_lshlrev_b64 v[71:72], 3, v[71:72]
	v_add_co_u32 v71, vcc_lo, s1, v71
	s_delay_alu instid0(VALU_DEP_2) | instskip(NEXT) | instid1(VALU_DEP_2)
	v_add_co_ci_u32_e32 v72, vcc_lo, s9, v72, vcc_lo
	v_add_co_u32 v0, vcc_lo, v71, v0
	s_delay_alu instid0(VALU_DEP_2)
	v_add_co_ci_u32_e32 v1, vcc_lo, v72, v1, vcc_lo
	s_and_b32 vcc_lo, exec_lo, s0
	global_store_b64 v[0:1], v[69:70], off
	s_cbranch_vccnz .LBB149_131
; %bb.130:
	v_add_co_u32 v0, vcc_lo, v16, v2
	v_add_co_ci_u32_e32 v1, vcc_lo, v73, v3, vcc_lo
	flat_load_b64 v[0:1], v[0:1]
	s_waitcnt vmcnt(0) lgkmcnt(0)
	v_mul_f64 v[65:66], v[0:1], s[6:7]
.LBB149_131:
	scratch_load_b64 v[69:70], off, off offset:272
	s_waitcnt vmcnt(1)
	v_add_f64 v[65:66], v[67:68], v[65:66]
	v_add_co_u32 v67, vcc_lo, v71, v2
	v_mov_b32_e32 v0, 0
	v_add_co_ci_u32_e32 v68, vcc_lo, v72, v3, vcc_lo
	v_dual_mov_b32 v1, 0 :: v_dual_mov_b32 v2, 0
	v_mov_b32_e32 v3, 0
	s_and_b32 vcc_lo, exec_lo, s0
	global_store_b64 v[67:68], v[65:66], off
	s_cbranch_vccnz .LBB149_133
; %bb.132:
	v_add_co_u32 v2, vcc_lo, v16, v4
	v_add_co_ci_u32_e32 v3, vcc_lo, v73, v5, vcc_lo
	flat_load_b64 v[2:3], v[2:3]
	s_waitcnt vmcnt(0) lgkmcnt(0)
	v_mul_f64 v[2:3], v[2:3], s[6:7]
.LBB149_133:
	scratch_load_b64 v[65:66], off, off offset:280
	s_waitcnt vmcnt(1)
	v_add_f64 v[2:3], v[69:70], v[2:3]
	v_add_co_u32 v4, vcc_lo, v71, v4
	v_add_co_ci_u32_e32 v5, vcc_lo, v72, v5, vcc_lo
	s_and_b32 vcc_lo, exec_lo, s0
	global_store_b64 v[4:5], v[2:3], off
	s_cbranch_vccnz .LBB149_135
; %bb.134:
	v_add_co_u32 v0, vcc_lo, v16, v6
	v_add_co_ci_u32_e32 v1, vcc_lo, v73, v7, vcc_lo
	flat_load_b64 v[0:1], v[0:1]
	s_waitcnt vmcnt(0) lgkmcnt(0)
	v_mul_f64 v[0:1], v[0:1], s[6:7]
.LBB149_135:
	scratch_load_b64 v[2:3], off, off offset:288
	s_waitcnt vmcnt(1)
	v_add_f64 v[4:5], v[65:66], v[0:1]
	v_add_co_u32 v65, vcc_lo, v71, v6
	v_mov_b32_e32 v0, 0
	v_add_co_ci_u32_e32 v66, vcc_lo, v72, v7, vcc_lo
	v_dual_mov_b32 v1, 0 :: v_dual_mov_b32 v6, 0
	v_mov_b32_e32 v7, 0
	s_and_b32 vcc_lo, exec_lo, s0
	global_store_b64 v[65:66], v[4:5], off
	s_cbranch_vccnz .LBB149_137
; %bb.136:
	v_add_co_u32 v4, vcc_lo, v16, v8
	v_add_co_ci_u32_e32 v5, vcc_lo, v73, v9, vcc_lo
	flat_load_b64 v[4:5], v[4:5]
	s_waitcnt vmcnt(0) lgkmcnt(0)
	v_mul_f64 v[6:7], v[4:5], s[6:7]
.LBB149_137:
	scratch_load_b64 v[4:5], off, off offset:296
	s_waitcnt vmcnt(1)
	v_add_f64 v[2:3], v[2:3], v[6:7]
	v_add_co_u32 v6, vcc_lo, v71, v8
	v_add_co_ci_u32_e32 v7, vcc_lo, v72, v9, vcc_lo
	s_and_b32 vcc_lo, exec_lo, s0
	global_store_b64 v[6:7], v[2:3], off
	s_cbranch_vccnz .LBB149_139
; %bb.138:
	v_add_co_u32 v0, vcc_lo, v16, v10
	v_add_co_ci_u32_e32 v1, vcc_lo, v73, v11, vcc_lo
	flat_load_b64 v[0:1], v[0:1]
	s_waitcnt vmcnt(0) lgkmcnt(0)
	v_mul_f64 v[0:1], v[0:1], s[6:7]
.LBB149_139:
	scratch_load_b64 v[2:3], off, off offset:304
	s_waitcnt vmcnt(1)
	v_add_f64 v[4:5], v[4:5], v[0:1]
	v_add_co_u32 v8, vcc_lo, v71, v10
	v_mov_b32_e32 v0, 0
	v_dual_mov_b32 v1, 0 :: v_dual_mov_b32 v6, 0
	v_add_co_ci_u32_e32 v9, vcc_lo, v72, v11, vcc_lo
	v_mov_b32_e32 v7, 0
	s_and_b32 vcc_lo, exec_lo, s0
	global_store_b64 v[8:9], v[4:5], off
	s_cbranch_vccnz .LBB149_141
; %bb.140:
	v_add_co_u32 v4, vcc_lo, v16, v12
	v_add_co_ci_u32_e32 v5, vcc_lo, v73, v13, vcc_lo
	flat_load_b64 v[4:5], v[4:5]
	s_waitcnt vmcnt(0) lgkmcnt(0)
	v_mul_f64 v[6:7], v[4:5], s[6:7]
.LBB149_141:
	scratch_load_b64 v[4:5], off, off offset:312
	s_waitcnt vmcnt(1)
	v_add_f64 v[2:3], v[2:3], v[6:7]
	v_add_co_u32 v6, vcc_lo, v71, v12
	v_add_co_ci_u32_e32 v7, vcc_lo, v72, v13, vcc_lo
	s_and_b32 vcc_lo, exec_lo, s0
	global_store_b64 v[6:7], v[2:3], off
	s_cbranch_vccnz .LBB149_143
; %bb.142:
	v_add_co_u32 v0, vcc_lo, v16, v14
	v_add_co_ci_u32_e32 v1, vcc_lo, v73, v15, vcc_lo
	flat_load_b64 v[0:1], v[0:1]
	s_waitcnt vmcnt(0) lgkmcnt(0)
	v_mul_f64 v[0:1], v[0:1], s[6:7]
.LBB149_143:
	scratch_load_b64 v[2:3], off, off offset:320
	s_waitcnt vmcnt(1)
	v_add_f64 v[4:5], v[4:5], v[0:1]
	v_add_co_u32 v8, vcc_lo, v71, v14
	v_mov_b32_e32 v0, 0
	v_dual_mov_b32 v1, 0 :: v_dual_mov_b32 v6, 0
	v_add_co_ci_u32_e32 v9, vcc_lo, v72, v15, vcc_lo
	;; [unrolled: 33-line block ×13, first 2 shown]
	v_mov_b32_e32 v7, 0
	s_and_b32 vcc_lo, exec_lo, s0
	global_store_b64 v[8:9], v[4:5], off
	s_cbranch_vccnz .LBB149_189
; %bb.188:
	v_add_co_u32 v4, vcc_lo, v16, v61
	v_add_co_ci_u32_e32 v5, vcc_lo, v73, v62, vcc_lo
	flat_load_b64 v[4:5], v[4:5]
	s_waitcnt vmcnt(0) lgkmcnt(0)
	v_mul_f64 v[6:7], v[4:5], s[6:7]
.LBB149_189:
	scratch_load_b64 v[4:5], off, off offset:504
	s_waitcnt vmcnt(1)
	v_add_f64 v[2:3], v[2:3], v[6:7]
	v_add_co_u32 v6, vcc_lo, v71, v61
	v_add_co_ci_u32_e32 v7, vcc_lo, v72, v62, vcc_lo
	s_and_b32 vcc_lo, exec_lo, s0
	global_store_b64 v[6:7], v[2:3], off
	s_cbranch_vccnz .LBB149_191
; %bb.190:
	v_add_co_u32 v0, vcc_lo, v16, v63
	v_add_co_ci_u32_e32 v1, vcc_lo, v73, v64, vcc_lo
	flat_load_b64 v[0:1], v[0:1]
	s_waitcnt vmcnt(0) lgkmcnt(0)
	v_mul_f64 v[0:1], v[0:1], s[6:7]
.LBB149_191:
	s_waitcnt vmcnt(0)
	s_delay_alu instid0(VALU_DEP_1)
	v_add_f64 v[0:1], v[4:5], v[0:1]
	v_add_co_u32 v2, vcc_lo, v71, v63
	v_add_co_ci_u32_e32 v3, vcc_lo, v72, v64, vcc_lo
	global_store_b64 v[2:3], v[0:1], off
	s_endpgm
	.section	.rodata,"a",@progbits
	.p2align	6, 0x0
	.amdhsa_kernel _ZN12_GLOBAL__N_120geam_min_plus_kernelIdddLi4ELi64ELi128ELi128ELi4ELi4ELi64ELi64ELi4ELc84ELc84ELb0ELb0ELb0EdKPKdKPdEEviiiT16_PT17_ilS8_ilS6_S8_ilPT18_ili26rocblas_geam_ex_operation_
		.amdhsa_group_segment_fixed_size 16384
		.amdhsa_private_segment_fixed_size 528
		.amdhsa_kernarg_size 136
		.amdhsa_user_sgpr_count 14
		.amdhsa_user_sgpr_dispatch_ptr 0
		.amdhsa_user_sgpr_queue_ptr 0
		.amdhsa_user_sgpr_kernarg_segment_ptr 1
		.amdhsa_user_sgpr_dispatch_id 0
		.amdhsa_user_sgpr_private_segment_size 0
		.amdhsa_wavefront_size32 1
		.amdhsa_uses_dynamic_stack 0
		.amdhsa_enable_private_segment 1
		.amdhsa_system_sgpr_workgroup_id_x 1
		.amdhsa_system_sgpr_workgroup_id_y 0
		.amdhsa_system_sgpr_workgroup_id_z 1
		.amdhsa_system_sgpr_workgroup_info 0
		.amdhsa_system_vgpr_workitem_id 1
		.amdhsa_next_free_vgpr 253
		.amdhsa_next_free_sgpr 25
		.amdhsa_reserve_vcc 1
		.amdhsa_float_round_mode_32 0
		.amdhsa_float_round_mode_16_64 0
		.amdhsa_float_denorm_mode_32 3
		.amdhsa_float_denorm_mode_16_64 3
		.amdhsa_dx10_clamp 1
		.amdhsa_ieee_mode 1
		.amdhsa_fp16_overflow 0
		.amdhsa_workgroup_processor_mode 1
		.amdhsa_memory_ordered 1
		.amdhsa_forward_progress 0
		.amdhsa_shared_vgpr_count 0
		.amdhsa_exception_fp_ieee_invalid_op 0
		.amdhsa_exception_fp_denorm_src 0
		.amdhsa_exception_fp_ieee_div_zero 0
		.amdhsa_exception_fp_ieee_overflow 0
		.amdhsa_exception_fp_ieee_underflow 0
		.amdhsa_exception_fp_ieee_inexact 0
		.amdhsa_exception_int_div_zero 0
	.end_amdhsa_kernel
	.section	.text._ZN12_GLOBAL__N_120geam_min_plus_kernelIdddLi4ELi64ELi128ELi128ELi4ELi4ELi64ELi64ELi4ELc84ELc84ELb0ELb0ELb0EdKPKdKPdEEviiiT16_PT17_ilS8_ilS6_S8_ilPT18_ili26rocblas_geam_ex_operation_,"axG",@progbits,_ZN12_GLOBAL__N_120geam_min_plus_kernelIdddLi4ELi64ELi128ELi128ELi4ELi4ELi64ELi64ELi4ELc84ELc84ELb0ELb0ELb0EdKPKdKPdEEviiiT16_PT17_ilS8_ilS6_S8_ilPT18_ili26rocblas_geam_ex_operation_,comdat
.Lfunc_end149:
	.size	_ZN12_GLOBAL__N_120geam_min_plus_kernelIdddLi4ELi64ELi128ELi128ELi4ELi4ELi64ELi64ELi4ELc84ELc84ELb0ELb0ELb0EdKPKdKPdEEviiiT16_PT17_ilS8_ilS6_S8_ilPT18_ili26rocblas_geam_ex_operation_, .Lfunc_end149-_ZN12_GLOBAL__N_120geam_min_plus_kernelIdddLi4ELi64ELi128ELi128ELi4ELi4ELi64ELi64ELi4ELc84ELc84ELb0ELb0ELb0EdKPKdKPdEEviiiT16_PT17_ilS8_ilS6_S8_ilPT18_ili26rocblas_geam_ex_operation_
                                        ; -- End function
	.section	.AMDGPU.csdata,"",@progbits
; Kernel info:
; codeLenInByte = 43616
; NumSgprs: 27
; NumVgprs: 253
; ScratchSize: 528
; MemoryBound: 1
; FloatMode: 240
; IeeeMode: 1
; LDSByteSize: 16384 bytes/workgroup (compile time only)
; SGPRBlocks: 3
; VGPRBlocks: 31
; NumSGPRsForWavesPerEU: 27
; NumVGPRsForWavesPerEU: 253
; Occupancy: 5
; WaveLimiterHint : 1
; COMPUTE_PGM_RSRC2:SCRATCH_EN: 1
; COMPUTE_PGM_RSRC2:USER_SGPR: 14
; COMPUTE_PGM_RSRC2:TRAP_HANDLER: 0
; COMPUTE_PGM_RSRC2:TGID_X_EN: 1
; COMPUTE_PGM_RSRC2:TGID_Y_EN: 0
; COMPUTE_PGM_RSRC2:TGID_Z_EN: 1
; COMPUTE_PGM_RSRC2:TIDIG_COMP_CNT: 1
	.section	.text._ZN12_GLOBAL__N_120geam_min_plus_kernelIdddLi4ELi64ELi128ELi128ELi4ELi4ELi64ELi64ELi4ELc84ELc84ELb0ELb1ELb0EPKdKS2_KPdEEviiiT16_PT17_ilS8_ilS6_S8_ilPT18_ili26rocblas_geam_ex_operation_,"axG",@progbits,_ZN12_GLOBAL__N_120geam_min_plus_kernelIdddLi4ELi64ELi128ELi128ELi4ELi4ELi64ELi64ELi4ELc84ELc84ELb0ELb1ELb0EPKdKS2_KPdEEviiiT16_PT17_ilS8_ilS6_S8_ilPT18_ili26rocblas_geam_ex_operation_,comdat
	.globl	_ZN12_GLOBAL__N_120geam_min_plus_kernelIdddLi4ELi64ELi128ELi128ELi4ELi4ELi64ELi64ELi4ELc84ELc84ELb0ELb1ELb0EPKdKS2_KPdEEviiiT16_PT17_ilS8_ilS6_S8_ilPT18_ili26rocblas_geam_ex_operation_ ; -- Begin function _ZN12_GLOBAL__N_120geam_min_plus_kernelIdddLi4ELi64ELi128ELi128ELi4ELi4ELi64ELi64ELi4ELc84ELc84ELb0ELb1ELb0EPKdKS2_KPdEEviiiT16_PT17_ilS8_ilS6_S8_ilPT18_ili26rocblas_geam_ex_operation_
	.p2align	8
	.type	_ZN12_GLOBAL__N_120geam_min_plus_kernelIdddLi4ELi64ELi128ELi128ELi4ELi4ELi64ELi64ELi4ELc84ELc84ELb0ELb1ELb0EPKdKS2_KPdEEviiiT16_PT17_ilS8_ilS6_S8_ilPT18_ili26rocblas_geam_ex_operation_,@function
_ZN12_GLOBAL__N_120geam_min_plus_kernelIdddLi4ELi64ELi128ELi128ELi4ELi4ELi64ELi64ELi4ELc84ELc84ELb0ELb1ELb0EPKdKS2_KPdEEviiiT16_PT17_ilS8_ilS6_S8_ilPT18_ili26rocblas_geam_ex_operation_: ; @_ZN12_GLOBAL__N_120geam_min_plus_kernelIdddLi4ELi64ELi128ELi128ELi4ELi4ELi64ELi64ELi4ELc84ELc84ELb0ELb1ELb0EPKdKS2_KPdEEviiiT16_PT17_ilS8_ilS6_S8_ilPT18_ili26rocblas_geam_ex_operation_
; %bb.0:
	s_clause 0x1
	s_load_b128 s[16:19], s[0:1], 0x10
	s_load_b128 s[4:7], s[0:1], 0x28
	s_mov_b32 s2, s15
	s_mov_b32 s3, 0
	s_delay_alu instid0(SALU_CYCLE_1)
	s_lshl_b64 s[2:3], s[2:3], 3
	s_waitcnt lgkmcnt(0)
	s_add_u32 s8, s16, s2
	s_addc_u32 s9, s17, s3
	s_load_b64 s[12:13], s[8:9], 0x0
	s_clause 0x1
	s_load_b128 s[8:11], s[0:1], 0x40
	s_load_b64 s[20:21], s[0:1], 0x50
	s_waitcnt lgkmcnt(0)
	s_add_u32 s22, s10, s2
	v_cmp_eq_f64_e64 s16, s[12:13], 0
	v_cmp_neq_f64_e64 s15, s[12:13], 0
	s_addc_u32 s23, s11, s3
	s_mov_b64 s[10:11], 0
	s_delay_alu instid0(VALU_DEP_2)
	s_and_b32 vcc_lo, exec_lo, s16
	s_mov_b64 s[16:17], 0
	s_cbranch_vccnz .LBB150_2
; %bb.1:
	s_add_u32 s16, s18, s2
	s_addc_u32 s17, s19, s3
	s_lshl_b64 s[4:5], s[4:5], 3
	s_load_b64 s[16:17], s[16:17], 0x0
	s_waitcnt lgkmcnt(0)
	s_add_u32 s16, s16, s4
	s_addc_u32 s17, s17, s5
.LBB150_2:
	s_load_b64 s[34:35], s[22:23], 0x0
	s_delay_alu instid0(VALU_DEP_1)
	s_and_not1_b32 vcc_lo, exec_lo, s15
	s_cbranch_vccnz .LBB150_4
; %bb.3:
	s_add_u32 s4, s6, s2
	s_addc_u32 s5, s7, s3
	s_lshl_b64 s[6:7], s[8:9], 3
	s_load_b64 s[4:5], s[4:5], 0x0
	s_waitcnt lgkmcnt(0)
	s_add_u32 s10, s4, s6
	s_addc_u32 s11, s5, s7
.LBB150_4:
	s_waitcnt lgkmcnt(0)
	v_cmp_eq_f64_e64 s8, s[34:35], 0
	v_cmp_neq_f64_e64 s42, s[34:35], 0
	s_load_b128 s[4:7], s[0:1], 0x60
	s_mov_b64 s[40:41], 0
	s_delay_alu instid0(VALU_DEP_2)
	s_and_b32 vcc_lo, exec_lo, s8
	s_cbranch_vccnz .LBB150_6
; %bb.5:
	s_add_u32 s8, s20, s2
	s_addc_u32 s9, s21, s3
	s_waitcnt lgkmcnt(0)
	s_lshl_b64 s[4:5], s[4:5], 3
	s_load_b64 s[8:9], s[8:9], 0x0
	s_waitcnt lgkmcnt(0)
	s_add_u32 s40, s8, s4
	s_addc_u32 s41, s9, s5
.LBB150_6:
	s_clause 0x1
	s_load_b128 s[36:39], s[0:1], 0x0
	s_load_b32 s22, s[0:1], 0x20
	s_waitcnt lgkmcnt(0)
	s_add_u32 s2, s6, s2
	s_addc_u32 s3, s7, s3
	s_mov_b32 s4, 0
	s_load_b64 s[8:9], s[2:3], 0x0
	v_bfe_u32 v83, v0, 10, 10
	s_mov_b32 s5, s4
	v_and_b32_e32 v82, 0x3ff, v0
	v_dual_mov_b32 v4, s4 :: v_dual_mov_b32 v5, s5
	v_cmp_eq_f64_e64 s18, s[12:13], 0
	s_delay_alu instid0(VALU_DEP_3) | instskip(SKIP_1) | instid1(VALU_DEP_1)
	v_and_b32_e32 v84, 3, v82
	v_lshl_add_u32 v6, v83, 2, v82
	v_lshrrev_b32_e32 v8, 2, v6
	s_add_i32 s2, s36, -1
	s_delay_alu instid0(SALU_CYCLE_1) | instskip(NEXT) | instid1(SALU_CYCLE_1)
	s_ashr_i32 s3, s2, 31
	s_lshr_b32 s3, s3, 25
	s_delay_alu instid0(SALU_CYCLE_1) | instskip(NEXT) | instid1(SALU_CYCLE_1)
	s_add_i32 s2, s2, s3
	s_ashr_i32 s2, s2, 7
	s_delay_alu instid0(SALU_CYCLE_1) | instskip(SKIP_2) | instid1(VALU_DEP_1)
	s_add_i32 s3, s2, 1
	s_not_b32 s2, s2
	v_cvt_f32_u32_e32 v0, s3
	v_rcp_iflag_f32_e32 v0, v0
	s_waitcnt_depctr 0xfff
	v_mul_f32_e32 v0, 0x4f7ffffe, v0
	s_delay_alu instid0(VALU_DEP_1) | instskip(NEXT) | instid1(VALU_DEP_1)
	v_cvt_u32_f32_e32 v0, v0
	v_readfirstlane_b32 s4, v0
	s_delay_alu instid0(VALU_DEP_1) | instskip(NEXT) | instid1(SALU_CYCLE_1)
	s_mul_i32 s2, s2, s4
	s_mul_hi_u32 s2, s4, s2
	s_delay_alu instid0(SALU_CYCLE_1) | instskip(NEXT) | instid1(SALU_CYCLE_1)
	s_add_i32 s4, s4, s2
	s_mul_hi_u32 s2, s14, s4
	s_delay_alu instid0(SALU_CYCLE_1) | instskip(SKIP_2) | instid1(SALU_CYCLE_1)
	s_mul_i32 s4, s2, s3
	s_add_i32 s5, s2, 1
	s_sub_i32 s4, s14, s4
	s_sub_i32 s6, s4, s3
	s_cmp_ge_u32 s4, s3
	s_cselect_b32 s2, s5, s2
	s_cselect_b32 s4, s6, s4
	s_add_i32 s5, s2, 1
	s_cmp_ge_u32 s4, s3
	s_cselect_b32 s4, s5, s2
	s_add_i32 s19, s38, -1
	s_mul_i32 s2, s4, s3
	v_min_i32_e32 v0, s19, v84
	s_sub_i32 s2, s14, s2
	s_delay_alu instid0(SALU_CYCLE_1) | instskip(NEXT) | instid1(VALU_DEP_1)
	s_lshl_b32 s14, s2, 7
	v_ashrrev_i32_e32 v1, 31, v0
	v_add_nc_u32_e32 v78, s14, v8
	s_delay_alu instid0(VALU_DEP_2) | instskip(SKIP_2) | instid1(VALU_DEP_4)
	v_lshlrev_b64 v[2:3], 3, v[0:1]
	v_mov_b32_e32 v0, 0
	v_mov_b32_e32 v1, 0
	v_cmp_le_i32_e64 s2, s36, v78
	s_clause 0xa
	scratch_store_b64 off, v[4:5], off
	scratch_store_b64 off, v[4:5], off offset:8
	scratch_store_b64 off, v[4:5], off offset:16
	;; [unrolled: 1-line block ×10, first 2 shown]
	v_add_co_u32 v7, s3, s16, v2
	s_delay_alu instid0(VALU_DEP_1)
	v_add_co_ci_u32_e64 v9, s3, s17, v3, s3
	v_mov_b32_e32 v3, v1
	v_cmp_le_i32_e32 vcc_lo, s38, v84
	v_mov_b32_e32 v2, v0
	s_clause 0x5
	scratch_store_b64 off, v[4:5], off offset:88
	scratch_store_b64 off, v[4:5], off offset:96
	;; [unrolled: 1-line block ×6, first 2 shown]
	s_or_b32 s3, vcc_lo, s2
	s_clause 0x8
	scratch_store_b64 off, v[4:5], off offset:136
	scratch_store_b64 off, v[4:5], off offset:144
	;; [unrolled: 1-line block ×9, first 2 shown]
	s_or_b32 s3, s18, s3
	s_clause 0x3
	scratch_store_b64 off, v[4:5], off offset:208
	scratch_store_b64 off, v[4:5], off offset:216
	;; [unrolled: 1-line block ×4, first 2 shown]
	s_xor_b32 s3, s3, -1
	s_clause 0x1f
	scratch_store_b64 off, v[4:5], off offset:240
	scratch_store_b64 off, v[4:5], off offset:248
	;; [unrolled: 1-line block ×32, first 2 shown]
	s_clause 0x1
	scratch_store_b64 off, v[4:5], off offset:496
	scratch_store_b64 off, v[4:5], off offset:504
	s_and_saveexec_b32 s5, s3
	s_cbranch_execz .LBB150_8
; %bb.7:
	v_mad_i64_i32 v[2:3], null, v78, s22, 0
	s_delay_alu instid0(VALU_DEP_1) | instskip(NEXT) | instid1(VALU_DEP_1)
	v_lshlrev_b64 v[2:3], 3, v[2:3]
	v_add_co_u32 v2, s3, v7, v2
	s_delay_alu instid0(VALU_DEP_1)
	v_add_co_ci_u32_e64 v3, s3, v9, v3, s3
	flat_load_b64 v[2:3], v[2:3]
	s_waitcnt vmcnt(0) lgkmcnt(0)
	v_mul_f64 v[2:3], s[12:13], v[2:3]
.LBB150_8:
	s_or_b32 exec_lo, exec_lo, s5
	v_add_nc_u32_e32 v79, 64, v78
	v_dual_mov_b32 v5, v1 :: v_dual_mov_b32 v4, v0
	s_delay_alu instid0(VALU_DEP_2) | instskip(NEXT) | instid1(VALU_DEP_1)
	v_cmp_le_i32_e64 s3, s36, v79
	s_or_b32 s5, vcc_lo, s3
	s_delay_alu instid0(SALU_CYCLE_1) | instskip(NEXT) | instid1(SALU_CYCLE_1)
	s_or_b32 s5, s18, s5
	s_xor_b32 s6, s5, -1
	s_delay_alu instid0(SALU_CYCLE_1)
	s_and_saveexec_b32 s5, s6
	s_cbranch_execz .LBB150_10
; %bb.9:
	v_mad_i64_i32 v[4:5], null, v79, s22, 0
	s_delay_alu instid0(VALU_DEP_1) | instskip(NEXT) | instid1(VALU_DEP_1)
	v_lshlrev_b64 v[4:5], 3, v[4:5]
	v_add_co_u32 v4, vcc_lo, v7, v4
	s_delay_alu instid0(VALU_DEP_2)
	v_add_co_ci_u32_e32 v5, vcc_lo, v9, v5, vcc_lo
	flat_load_b64 v[4:5], v[4:5]
	s_waitcnt vmcnt(0) lgkmcnt(0)
	v_mul_f64 v[4:5], s[12:13], v[4:5]
.LBB150_10:
	s_or_b32 exec_lo, exec_lo, s5
	s_load_b32 s20, s[0:1], 0x38
	v_lshrrev_b32_e32 v85, 6, v6
	v_and_b32_e32 v9, 63, v6
	s_lshl_b32 s15, s4, 7
	s_delay_alu instid0(VALU_DEP_2) | instskip(NEXT) | instid1(VALU_DEP_2)
	v_min_i32_e32 v10, s19, v85
	v_or_b32_e32 v72, s15, v9
	v_cmp_le_i32_e32 vcc_lo, s38, v85
	s_delay_alu instid0(VALU_DEP_2) | instskip(SKIP_1) | instid1(VALU_DEP_2)
	v_cmp_le_i32_e64 s4, s37, v72
	v_ashrrev_i32_e32 v73, 31, v72
	s_or_b32 s6, s4, vcc_lo
	s_waitcnt lgkmcnt(0)
	v_mad_i64_i32 v[6:7], null, s20, v10, 0
	s_delay_alu instid0(VALU_DEP_1) | instskip(NEXT) | instid1(VALU_DEP_1)
	v_lshlrev_b64 v[6:7], 3, v[6:7]
	v_add_co_u32 v10, s5, s10, v6
	s_delay_alu instid0(VALU_DEP_1) | instskip(SKIP_1) | instid1(SALU_CYCLE_1)
	v_add_co_ci_u32_e64 v11, s5, s11, v7, s5
	s_or_b32 s5, s18, s6
	s_xor_b32 s5, s5, -1
	s_delay_alu instid0(SALU_CYCLE_1)
	s_and_saveexec_b32 s6, s5
	s_cbranch_execz .LBB150_12
; %bb.11:
	v_lshlrev_b64 v[0:1], 3, v[72:73]
	s_delay_alu instid0(VALU_DEP_1) | instskip(NEXT) | instid1(VALU_DEP_1)
	v_add_co_u32 v0, s5, v10, v0
	v_add_co_ci_u32_e64 v1, s5, v11, v1, s5
	flat_load_b64 v[0:1], v[0:1]
	s_waitcnt vmcnt(0) lgkmcnt(0)
	v_mul_f64 v[0:1], s[12:13], v[0:1]
.LBB150_12:
	s_or_b32 exec_lo, exec_lo, s6
	v_or_b32_e32 v6, 64, v72
	v_mov_b32_e32 v68, 0
	v_mov_b32_e32 v69, 0
	s_delay_alu instid0(VALU_DEP_3) | instskip(NEXT) | instid1(VALU_DEP_2)
	v_cmp_le_i32_e64 s5, s37, v6
	v_dual_mov_b32 v6, v68 :: v_dual_mov_b32 v7, v69
	s_delay_alu instid0(VALU_DEP_2) | instskip(NEXT) | instid1(SALU_CYCLE_1)
	s_or_b32 s6, s5, vcc_lo
	s_or_b32 s6, s18, s6
	s_delay_alu instid0(SALU_CYCLE_1) | instskip(NEXT) | instid1(SALU_CYCLE_1)
	s_xor_b32 s7, s6, -1
	s_and_saveexec_b32 s6, s7
	s_cbranch_execz .LBB150_14
; %bb.13:
	v_lshlrev_b64 v[6:7], 3, v[72:73]
	s_delay_alu instid0(VALU_DEP_1) | instskip(NEXT) | instid1(VALU_DEP_2)
	v_add_co_u32 v6, vcc_lo, v10, v6
	v_add_co_ci_u32_e32 v7, vcc_lo, v11, v7, vcc_lo
	flat_load_b64 v[6:7], v[6:7] offset:512
	s_waitcnt vmcnt(0) lgkmcnt(0)
	v_mul_f64 v[6:7], s[12:13], v[6:7]
.LBB150_14:
	s_or_b32 exec_lo, exec_lo, s6
	v_or_b32_e32 v12, 4, v84
	s_delay_alu instid0(VALU_DEP_1) | instskip(SKIP_1) | instid1(VALU_DEP_2)
	v_min_i32_e32 v10, s19, v12
	v_cmp_le_i32_e32 vcc_lo, s38, v12
	v_ashrrev_i32_e32 v11, 31, v10
	s_or_b32 s7, vcc_lo, s2
	s_delay_alu instid0(VALU_DEP_1) | instskip(NEXT) | instid1(VALU_DEP_1)
	v_lshlrev_b64 v[10:11], 3, v[10:11]
	v_add_co_u32 v10, s6, s16, v10
	s_delay_alu instid0(VALU_DEP_1) | instskip(SKIP_1) | instid1(SALU_CYCLE_1)
	v_add_co_ci_u32_e64 v11, s6, s17, v11, s6
	s_or_b32 s6, s18, s7
	s_xor_b32 s6, s6, -1
	s_delay_alu instid0(SALU_CYCLE_1)
	s_and_saveexec_b32 s7, s6
	s_cbranch_execz .LBB150_16
; %bb.15:
	v_mad_i64_i32 v[12:13], null, v78, s22, 0
	s_delay_alu instid0(VALU_DEP_1) | instskip(NEXT) | instid1(VALU_DEP_1)
	v_lshlrev_b64 v[12:13], 3, v[12:13]
	v_add_co_u32 v12, s6, v10, v12
	s_delay_alu instid0(VALU_DEP_1)
	v_add_co_ci_u32_e64 v13, s6, v11, v13, s6
	flat_load_b64 v[12:13], v[12:13]
	s_waitcnt vmcnt(0) lgkmcnt(0)
	v_mul_f64 v[68:69], s[12:13], v[12:13]
.LBB150_16:
	s_or_b32 exec_lo, exec_lo, s7
	v_mov_b32_e32 v70, 0
	v_mov_b32_e32 v71, 0
	s_or_b32 s6, vcc_lo, s3
	s_delay_alu instid0(SALU_CYCLE_1) | instskip(NEXT) | instid1(SALU_CYCLE_1)
	s_or_b32 s6, s18, s6
	s_xor_b32 s7, s6, -1
	s_delay_alu instid0(VALU_DEP_1)
	v_dual_mov_b32 v75, v71 :: v_dual_mov_b32 v74, v70
	s_and_saveexec_b32 s6, s7
	s_cbranch_execz .LBB150_18
; %bb.17:
	v_mad_i64_i32 v[12:13], null, v79, s22, 0
	s_delay_alu instid0(VALU_DEP_1) | instskip(NEXT) | instid1(VALU_DEP_1)
	v_lshlrev_b64 v[12:13], 3, v[12:13]
	v_add_co_u32 v10, vcc_lo, v10, v12
	s_delay_alu instid0(VALU_DEP_2)
	v_add_co_ci_u32_e32 v11, vcc_lo, v11, v13, vcc_lo
	flat_load_b64 v[10:11], v[10:11]
	s_waitcnt vmcnt(0) lgkmcnt(0)
	v_mul_f64 v[74:75], s[12:13], v[10:11]
.LBB150_18:
	s_or_b32 exec_lo, exec_lo, s6
	v_add_nc_u32_e32 v12, 4, v85
	s_delay_alu instid0(VALU_DEP_1) | instskip(SKIP_1) | instid1(VALU_DEP_2)
	v_min_i32_e32 v13, s19, v12
	v_cmp_le_i32_e32 vcc_lo, s38, v12
	v_mad_i64_i32 v[10:11], null, s20, v13, 0
	s_or_b32 s7, s4, vcc_lo
	s_delay_alu instid0(VALU_DEP_1) | instskip(NEXT) | instid1(VALU_DEP_1)
	v_lshlrev_b64 v[10:11], 3, v[10:11]
	v_add_co_u32 v10, s6, s10, v10
	s_delay_alu instid0(VALU_DEP_1) | instskip(SKIP_1) | instid1(SALU_CYCLE_1)
	v_add_co_ci_u32_e64 v11, s6, s11, v11, s6
	s_or_b32 s6, s18, s7
	s_xor_b32 s6, s6, -1
	s_delay_alu instid0(SALU_CYCLE_1)
	s_and_saveexec_b32 s7, s6
	s_cbranch_execz .LBB150_20
; %bb.19:
	v_lshlrev_b64 v[12:13], 3, v[72:73]
	s_delay_alu instid0(VALU_DEP_1) | instskip(NEXT) | instid1(VALU_DEP_1)
	v_add_co_u32 v12, s6, v10, v12
	v_add_co_ci_u32_e64 v13, s6, v11, v13, s6
	flat_load_b64 v[12:13], v[12:13]
	s_waitcnt vmcnt(0) lgkmcnt(0)
	v_mul_f64 v[70:71], s[12:13], v[12:13]
.LBB150_20:
	s_or_b32 exec_lo, exec_lo, s7
	s_or_b32 s6, s5, vcc_lo
	v_mov_b32_e32 v76, 0
	v_mov_b32_e32 v77, 0
	s_or_b32 s6, s18, s6
	s_delay_alu instid0(SALU_CYCLE_1) | instskip(NEXT) | instid1(SALU_CYCLE_1)
	s_xor_b32 s7, s6, -1
	s_and_saveexec_b32 s6, s7
	s_cbranch_execz .LBB150_22
; %bb.21:
	v_lshlrev_b64 v[12:13], 3, v[72:73]
	s_delay_alu instid0(VALU_DEP_1) | instskip(NEXT) | instid1(VALU_DEP_2)
	v_add_co_u32 v10, vcc_lo, v10, v12
	v_add_co_ci_u32_e32 v11, vcc_lo, v11, v13, vcc_lo
	flat_load_b64 v[10:11], v[10:11] offset:512
	s_waitcnt vmcnt(0) lgkmcnt(0)
	v_mul_f64 v[76:77], s[12:13], v[10:11]
.LBB150_22:
	s_or_b32 exec_lo, exec_lo, s6
	v_dual_mov_b32 v81, 0 :: v_dual_lshlrev_b32 v10, 3, v84
	v_dual_mov_b32 v92, 16 :: v_dual_lshlrev_b32 v9, 5, v9
	;; [unrolled: 1-line block ×3, first 2 shown]
	s_delay_alu instid0(VALU_DEP_3) | instskip(NEXT) | instid1(VALU_DEP_3)
	v_lshl_or_b32 v87, v8, 5, v10
	v_lshl_add_u32 v80, v85, 3, v9
	s_delay_alu instid0(VALU_DEP_3)
	v_dual_mov_b32 v93, 24 :: v_dual_add_nc_u32 v48, 0x800, v86
	v_dual_mov_b32 v95, 40 :: v_dual_lshlrev_b32 v88, 5, v83
	ds_store_2addr_stride64_b64 v87, v[2:3], v[4:5] offset1:4
	ds_store_2addr_stride64_b64 v80, v[0:1], v[6:7] offset0:16 offset1:20
	s_waitcnt lgkmcnt(0)
	s_waitcnt_vscnt null, 0x0
	s_barrier
	buffer_gl0_inv
	ds_load_2addr_b64 v[0:3], v86 offset1:16
	ds_load_2addr_b64 v[4:7], v86 offset0:32 offset1:48
	ds_load_2addr_b64 v[8:11], v86 offset0:64 offset1:80
	;; [unrolled: 1-line block ×4, first 2 shown]
	ds_load_2addr_b64 v[20:23], v48 offset1:16
	ds_load_2addr_b64 v[24:27], v48 offset0:32 offset1:48
	ds_load_2addr_b64 v[28:31], v48 offset0:64 offset1:80
	ds_load_2addr_b64 v[32:35], v48 offset0:96 offset1:112
	ds_load_2addr_b64 v[36:39], v48 offset0:128 offset1:144
	ds_load_2addr_b64 v[40:43], v48 offset0:160 offset1:176
	ds_load_2addr_b64 v[44:47], v48 offset0:192 offset1:208
	ds_load_2addr_b64 v[48:51], v48 offset0:224 offset1:240
	ds_load_2addr_b64 v[52:55], v86 offset0:160 offset1:176
	ds_load_2addr_b64 v[56:59], v86 offset0:192 offset1:208
	ds_load_2addr_b64 v[60:63], v86 offset0:224 offset1:240
	ds_load_2addr_stride64_b64 v[64:67], v88 offset0:16 offset1:20
	v_or_b32_e32 v89, 0x2000, v80
	v_dual_mov_b32 v97, 56 :: v_dual_add_nc_u32 v90, 0x2000, v88
	v_dual_mov_b32 v94, 32 :: v_dual_mov_b32 v99, 0x48
	v_dual_mov_b32 v96, 48 :: v_dual_mov_b32 v101, 0x58
	;; [unrolled: 1-line block ×3, first 2 shown]
	v_mov_b32_e32 v100, 0x50
	v_mov_b32_e32 v102, 0x60
	;; [unrolled: 1-line block ×20, first 2 shown]
	s_mov_b64 s[6:7], 0
	s_mov_b32 s21, -1
.LBB150_23:                             ; =>This Inner Loop Header: Depth=1
	scratch_load_b64 v[122:123], v81, off
	scratch_load_b64 v[124:125], v91, off
	;; [unrolled: 1-line block ×32, first 2 shown]
	s_cmp_eq_u32 s6, 1
	s_waitcnt lgkmcnt(16)
	v_max_f64 v[188:189], v[0:1], v[0:1]
	s_cselect_b32 vcc_lo, -1, 0
	v_max_f64 v[190:191], v[2:3], v[2:3]
	s_waitcnt lgkmcnt(0)
	v_dual_cndmask_b32 v187, v65, v67 :: v_dual_cndmask_b32 v186, v64, v66
	v_max_f64 v[192:193], v[4:5], v[4:5]
	v_max_f64 v[194:195], v[6:7], v[6:7]
	;; [unrolled: 1-line block ×31, first 2 shown]
	s_mov_b64 s[6:7], 1
	s_and_b32 vcc_lo, exec_lo, s21
	s_mov_b32 s21, 0
	v_min_f64 v[188:189], v[188:189], v[186:187]
	v_min_f64 v[190:191], v[190:191], v[186:187]
	;; [unrolled: 1-line block ×32, first 2 shown]
	s_waitcnt vmcnt(31)
	v_add_f64 v[122:123], v[122:123], v[188:189]
	s_waitcnt vmcnt(30)
	v_add_f64 v[124:125], v[190:191], v[124:125]
	s_waitcnt vmcnt(29)
	v_add_f64 v[126:127], v[192:193], v[126:127]
	s_waitcnt vmcnt(28)
	v_add_f64 v[128:129], v[194:195], v[128:129]
	s_waitcnt vmcnt(27)
	v_add_f64 v[130:131], v[196:197], v[130:131]
	s_waitcnt vmcnt(26)
	v_add_f64 v[132:133], v[198:199], v[132:133]
	s_waitcnt vmcnt(25)
	v_add_f64 v[134:135], v[200:201], v[134:135]
	s_waitcnt vmcnt(24)
	v_add_f64 v[136:137], v[202:203], v[136:137]
	s_waitcnt vmcnt(23)
	v_add_f64 v[138:139], v[204:205], v[138:139]
	s_waitcnt vmcnt(22)
	v_add_f64 v[140:141], v[206:207], v[140:141]
	s_waitcnt vmcnt(21)
	v_add_f64 v[142:143], v[208:209], v[142:143]
	s_waitcnt vmcnt(20)
	v_add_f64 v[144:145], v[210:211], v[144:145]
	s_waitcnt vmcnt(19)
	v_add_f64 v[146:147], v[212:213], v[146:147]
	s_waitcnt vmcnt(18)
	v_add_f64 v[148:149], v[214:215], v[148:149]
	s_waitcnt vmcnt(17)
	v_add_f64 v[150:151], v[216:217], v[150:151]
	s_waitcnt vmcnt(16)
	v_add_f64 v[152:153], v[218:219], v[152:153]
	s_waitcnt vmcnt(15)
	v_add_f64 v[154:155], v[220:221], v[154:155]
	s_waitcnt vmcnt(14)
	v_add_f64 v[156:157], v[222:223], v[156:157]
	s_waitcnt vmcnt(13)
	v_add_f64 v[158:159], v[224:225], v[158:159]
	s_waitcnt vmcnt(12)
	v_add_f64 v[160:161], v[226:227], v[160:161]
	s_waitcnt vmcnt(11)
	v_add_f64 v[162:163], v[228:229], v[162:163]
	s_waitcnt vmcnt(10)
	v_add_f64 v[164:165], v[230:231], v[164:165]
	s_waitcnt vmcnt(9)
	v_add_f64 v[166:167], v[232:233], v[166:167]
	s_waitcnt vmcnt(8)
	v_add_f64 v[168:169], v[234:235], v[168:169]
	s_waitcnt vmcnt(7)
	v_add_f64 v[170:171], v[236:237], v[170:171]
	s_waitcnt vmcnt(6)
	v_add_f64 v[172:173], v[238:239], v[172:173]
	s_waitcnt vmcnt(5)
	v_add_f64 v[174:175], v[240:241], v[174:175]
	s_waitcnt vmcnt(4)
	v_add_f64 v[176:177], v[242:243], v[176:177]
	s_waitcnt vmcnt(3)
	v_add_f64 v[178:179], v[244:245], v[178:179]
	s_waitcnt vmcnt(2)
	v_add_f64 v[180:181], v[246:247], v[180:181]
	s_waitcnt vmcnt(1)
	v_add_f64 v[182:183], v[248:249], v[182:183]
	s_waitcnt vmcnt(0)
	v_add_f64 v[184:185], v[186:187], v[184:185]
	scratch_store_b64 v81, v[122:123], off
	scratch_store_b64 v91, v[124:125], off
	;; [unrolled: 1-line block ×32, first 2 shown]
	v_mov_b32_e32 v81, 0x100
	v_mov_b32_e32 v91, 0x108
	v_mov_b32_e32 v92, 0x110
	v_mov_b32_e32 v93, 0x118
	v_mov_b32_e32 v94, 0x120
	v_mov_b32_e32 v95, 0x128
	v_mov_b32_e32 v96, 0x130
	v_mov_b32_e32 v97, 0x138
	v_mov_b32_e32 v98, 0x140
	v_mov_b32_e32 v99, 0x148
	v_mov_b32_e32 v100, 0x150
	v_mov_b32_e32 v101, 0x158
	v_mov_b32_e32 v102, 0x160
	v_mov_b32_e32 v103, 0x168
	v_mov_b32_e32 v104, 0x170
	v_mov_b32_e32 v105, 0x178
	v_mov_b32_e32 v106, 0x180
	v_mov_b32_e32 v107, 0x188
	v_mov_b32_e32 v108, 0x190
	v_mov_b32_e32 v109, 0x198
	v_mov_b32_e32 v110, 0x1a0
	v_mov_b32_e32 v111, 0x1a8
	v_mov_b32_e32 v112, 0x1b0
	v_mov_b32_e32 v113, 0x1b8
	v_mov_b32_e32 v114, 0x1c0
	v_mov_b32_e32 v115, 0x1c8
	v_mov_b32_e32 v116, 0x1d0
	v_mov_b32_e32 v117, 0x1d8
	v_mov_b32_e32 v118, 0x1e0
	v_mov_b32_e32 v119, 0x1e8
	v_mov_b32_e32 v120, 0x1f0
	v_mov_b32_e32 v121, 0x1f8
	s_cbranch_vccnz .LBB150_23
; %bb.24:
	v_dual_mov_b32 v81, 0 :: v_dual_add_nc_u32 v60, 0x800, v86
	ds_load_2addr_b64 v[0:3], v86 offset0:1 offset1:17
	ds_load_2addr_b64 v[4:7], v86 offset0:33 offset1:49
	;; [unrolled: 1-line block ×12, first 2 shown]
	v_dual_mov_b32 v91, 8 :: v_dual_add_nc_u32 v64, 8, v90
	ds_load_2addr_b64 v[48:51], v60 offset0:129 offset1:145
	ds_load_2addr_b64 v[52:55], v60 offset0:161 offset1:177
	;; [unrolled: 1-line block ×4, first 2 shown]
	ds_load_2addr_stride64_b64 v[64:67], v64 offset1:4
	v_dual_mov_b32 v92, 16 :: v_dual_mov_b32 v93, 24
	v_dual_mov_b32 v94, 32 :: v_dual_mov_b32 v95, 40
	;; [unrolled: 1-line block ×4, first 2 shown]
	v_mov_b32_e32 v100, 0x50
	v_mov_b32_e32 v101, 0x58
	;; [unrolled: 1-line block ×22, first 2 shown]
	s_mov_b64 s[6:7], 0
	s_mov_b32 s21, -1
.LBB150_25:                             ; =>This Inner Loop Header: Depth=1
	scratch_load_b64 v[122:123], v81, off
	scratch_load_b64 v[124:125], v91, off
	;; [unrolled: 1-line block ×32, first 2 shown]
	s_cmp_eq_u32 s6, 1
	s_waitcnt lgkmcnt(16)
	v_max_f64 v[188:189], v[0:1], v[0:1]
	s_cselect_b32 vcc_lo, -1, 0
	v_max_f64 v[190:191], v[2:3], v[2:3]
	s_waitcnt lgkmcnt(0)
	v_dual_cndmask_b32 v187, v65, v67 :: v_dual_cndmask_b32 v186, v64, v66
	v_max_f64 v[192:193], v[4:5], v[4:5]
	v_max_f64 v[194:195], v[6:7], v[6:7]
	;; [unrolled: 1-line block ×31, first 2 shown]
	s_mov_b64 s[6:7], 1
	s_and_b32 vcc_lo, exec_lo, s21
	s_mov_b32 s21, 0
	v_min_f64 v[188:189], v[188:189], v[186:187]
	v_min_f64 v[190:191], v[190:191], v[186:187]
	;; [unrolled: 1-line block ×32, first 2 shown]
	s_waitcnt vmcnt(31)
	v_add_f64 v[122:123], v[122:123], v[188:189]
	s_waitcnt vmcnt(30)
	v_add_f64 v[124:125], v[190:191], v[124:125]
	s_waitcnt vmcnt(29)
	v_add_f64 v[126:127], v[192:193], v[126:127]
	s_waitcnt vmcnt(28)
	v_add_f64 v[128:129], v[194:195], v[128:129]
	s_waitcnt vmcnt(27)
	v_add_f64 v[130:131], v[196:197], v[130:131]
	s_waitcnt vmcnt(26)
	v_add_f64 v[132:133], v[198:199], v[132:133]
	s_waitcnt vmcnt(25)
	v_add_f64 v[134:135], v[200:201], v[134:135]
	s_waitcnt vmcnt(24)
	v_add_f64 v[136:137], v[202:203], v[136:137]
	s_waitcnt vmcnt(23)
	v_add_f64 v[138:139], v[204:205], v[138:139]
	s_waitcnt vmcnt(22)
	v_add_f64 v[140:141], v[206:207], v[140:141]
	s_waitcnt vmcnt(21)
	v_add_f64 v[142:143], v[208:209], v[142:143]
	s_waitcnt vmcnt(20)
	v_add_f64 v[144:145], v[210:211], v[144:145]
	s_waitcnt vmcnt(19)
	v_add_f64 v[146:147], v[212:213], v[146:147]
	s_waitcnt vmcnt(18)
	v_add_f64 v[148:149], v[214:215], v[148:149]
	s_waitcnt vmcnt(17)
	v_add_f64 v[150:151], v[216:217], v[150:151]
	s_waitcnt vmcnt(16)
	v_add_f64 v[152:153], v[218:219], v[152:153]
	s_waitcnt vmcnt(15)
	v_add_f64 v[154:155], v[220:221], v[154:155]
	s_waitcnt vmcnt(14)
	v_add_f64 v[156:157], v[222:223], v[156:157]
	s_waitcnt vmcnt(13)
	v_add_f64 v[158:159], v[224:225], v[158:159]
	s_waitcnt vmcnt(12)
	v_add_f64 v[160:161], v[226:227], v[160:161]
	s_waitcnt vmcnt(11)
	v_add_f64 v[162:163], v[228:229], v[162:163]
	s_waitcnt vmcnt(10)
	v_add_f64 v[164:165], v[230:231], v[164:165]
	s_waitcnt vmcnt(9)
	v_add_f64 v[166:167], v[232:233], v[166:167]
	s_waitcnt vmcnt(8)
	v_add_f64 v[168:169], v[234:235], v[168:169]
	s_waitcnt vmcnt(7)
	v_add_f64 v[170:171], v[236:237], v[170:171]
	s_waitcnt vmcnt(6)
	v_add_f64 v[172:173], v[238:239], v[172:173]
	s_waitcnt vmcnt(5)
	v_add_f64 v[174:175], v[240:241], v[174:175]
	s_waitcnt vmcnt(4)
	v_add_f64 v[176:177], v[242:243], v[176:177]
	s_waitcnt vmcnt(3)
	v_add_f64 v[178:179], v[244:245], v[178:179]
	s_waitcnt vmcnt(2)
	v_add_f64 v[180:181], v[246:247], v[180:181]
	s_waitcnt vmcnt(1)
	v_add_f64 v[182:183], v[248:249], v[182:183]
	s_waitcnt vmcnt(0)
	v_add_f64 v[184:185], v[186:187], v[184:185]
	scratch_store_b64 v81, v[122:123], off
	scratch_store_b64 v91, v[124:125], off
	;; [unrolled: 1-line block ×32, first 2 shown]
	v_mov_b32_e32 v81, 0x100
	v_mov_b32_e32 v91, 0x108
	v_mov_b32_e32 v92, 0x110
	v_mov_b32_e32 v93, 0x118
	v_mov_b32_e32 v94, 0x120
	v_mov_b32_e32 v95, 0x128
	v_mov_b32_e32 v96, 0x130
	v_mov_b32_e32 v97, 0x138
	v_mov_b32_e32 v98, 0x140
	v_mov_b32_e32 v99, 0x148
	v_mov_b32_e32 v100, 0x150
	v_mov_b32_e32 v101, 0x158
	v_mov_b32_e32 v102, 0x160
	v_mov_b32_e32 v103, 0x168
	v_mov_b32_e32 v104, 0x170
	v_mov_b32_e32 v105, 0x178
	v_mov_b32_e32 v106, 0x180
	v_mov_b32_e32 v107, 0x188
	v_mov_b32_e32 v108, 0x190
	v_mov_b32_e32 v109, 0x198
	v_mov_b32_e32 v110, 0x1a0
	v_mov_b32_e32 v111, 0x1a8
	v_mov_b32_e32 v112, 0x1b0
	v_mov_b32_e32 v113, 0x1b8
	v_mov_b32_e32 v114, 0x1c0
	v_mov_b32_e32 v115, 0x1c8
	v_mov_b32_e32 v116, 0x1d0
	v_mov_b32_e32 v117, 0x1d8
	v_mov_b32_e32 v118, 0x1e0
	v_mov_b32_e32 v119, 0x1e8
	v_mov_b32_e32 v120, 0x1f0
	v_mov_b32_e32 v121, 0x1f8
	s_cbranch_vccnz .LBB150_25
; %bb.26:
	v_dual_mov_b32 v81, 0 :: v_dual_add_nc_u32 v60, 0x800, v86
	ds_load_2addr_b64 v[0:3], v86 offset0:2 offset1:18
	ds_load_2addr_b64 v[4:7], v86 offset0:34 offset1:50
	;; [unrolled: 1-line block ×12, first 2 shown]
	v_dual_mov_b32 v91, 8 :: v_dual_add_nc_u32 v64, 16, v90
	ds_load_2addr_b64 v[48:51], v60 offset0:130 offset1:146
	ds_load_2addr_b64 v[52:55], v60 offset0:162 offset1:178
	;; [unrolled: 1-line block ×4, first 2 shown]
	ds_load_2addr_stride64_b64 v[64:67], v64 offset1:4
	v_dual_mov_b32 v92, 16 :: v_dual_mov_b32 v93, 24
	v_dual_mov_b32 v94, 32 :: v_dual_mov_b32 v95, 40
	;; [unrolled: 1-line block ×4, first 2 shown]
	v_mov_b32_e32 v100, 0x50
	v_mov_b32_e32 v101, 0x58
	;; [unrolled: 1-line block ×22, first 2 shown]
	s_mov_b64 s[6:7], 0
	s_mov_b32 s21, -1
.LBB150_27:                             ; =>This Inner Loop Header: Depth=1
	scratch_load_b64 v[122:123], v81, off
	scratch_load_b64 v[124:125], v91, off
	;; [unrolled: 1-line block ×32, first 2 shown]
	s_cmp_eq_u32 s6, 1
	s_waitcnt lgkmcnt(16)
	v_max_f64 v[188:189], v[0:1], v[0:1]
	s_cselect_b32 vcc_lo, -1, 0
	v_max_f64 v[190:191], v[2:3], v[2:3]
	s_waitcnt lgkmcnt(0)
	v_dual_cndmask_b32 v187, v65, v67 :: v_dual_cndmask_b32 v186, v64, v66
	v_max_f64 v[192:193], v[4:5], v[4:5]
	v_max_f64 v[194:195], v[6:7], v[6:7]
	;; [unrolled: 1-line block ×31, first 2 shown]
	s_mov_b64 s[6:7], 1
	s_and_b32 vcc_lo, exec_lo, s21
	s_mov_b32 s21, 0
	v_min_f64 v[188:189], v[188:189], v[186:187]
	v_min_f64 v[190:191], v[190:191], v[186:187]
	v_min_f64 v[192:193], v[192:193], v[186:187]
	v_min_f64 v[194:195], v[194:195], v[186:187]
	v_min_f64 v[196:197], v[196:197], v[186:187]
	v_min_f64 v[198:199], v[198:199], v[186:187]
	v_min_f64 v[200:201], v[200:201], v[186:187]
	v_min_f64 v[202:203], v[202:203], v[186:187]
	v_min_f64 v[204:205], v[204:205], v[186:187]
	v_min_f64 v[206:207], v[206:207], v[186:187]
	v_min_f64 v[208:209], v[208:209], v[186:187]
	v_min_f64 v[210:211], v[210:211], v[186:187]
	v_min_f64 v[212:213], v[212:213], v[186:187]
	v_min_f64 v[214:215], v[214:215], v[186:187]
	v_min_f64 v[216:217], v[216:217], v[186:187]
	v_min_f64 v[218:219], v[218:219], v[186:187]
	v_min_f64 v[220:221], v[220:221], v[186:187]
	v_min_f64 v[222:223], v[222:223], v[186:187]
	v_min_f64 v[224:225], v[224:225], v[186:187]
	v_min_f64 v[226:227], v[226:227], v[186:187]
	v_min_f64 v[228:229], v[228:229], v[186:187]
	v_min_f64 v[230:231], v[230:231], v[186:187]
	v_min_f64 v[232:233], v[232:233], v[186:187]
	v_min_f64 v[234:235], v[234:235], v[186:187]
	v_min_f64 v[236:237], v[236:237], v[186:187]
	v_min_f64 v[238:239], v[238:239], v[186:187]
	v_min_f64 v[240:241], v[240:241], v[186:187]
	v_min_f64 v[242:243], v[242:243], v[186:187]
	v_min_f64 v[244:245], v[244:245], v[186:187]
	v_min_f64 v[246:247], v[246:247], v[186:187]
	v_min_f64 v[248:249], v[248:249], v[186:187]
	v_min_f64 v[186:187], v[250:251], v[186:187]
	s_waitcnt vmcnt(31)
	v_add_f64 v[122:123], v[122:123], v[188:189]
	s_waitcnt vmcnt(30)
	v_add_f64 v[124:125], v[190:191], v[124:125]
	;; [unrolled: 2-line block ×32, first 2 shown]
	scratch_store_b64 v81, v[122:123], off
	scratch_store_b64 v91, v[124:125], off
	;; [unrolled: 1-line block ×32, first 2 shown]
	v_mov_b32_e32 v81, 0x100
	v_mov_b32_e32 v91, 0x108
	v_mov_b32_e32 v92, 0x110
	v_mov_b32_e32 v93, 0x118
	v_mov_b32_e32 v94, 0x120
	v_mov_b32_e32 v95, 0x128
	v_mov_b32_e32 v96, 0x130
	v_mov_b32_e32 v97, 0x138
	v_mov_b32_e32 v98, 0x140
	v_mov_b32_e32 v99, 0x148
	v_mov_b32_e32 v100, 0x150
	v_mov_b32_e32 v101, 0x158
	v_mov_b32_e32 v102, 0x160
	v_mov_b32_e32 v103, 0x168
	v_mov_b32_e32 v104, 0x170
	v_mov_b32_e32 v105, 0x178
	v_mov_b32_e32 v106, 0x180
	v_mov_b32_e32 v107, 0x188
	v_mov_b32_e32 v108, 0x190
	v_mov_b32_e32 v109, 0x198
	v_mov_b32_e32 v110, 0x1a0
	v_mov_b32_e32 v111, 0x1a8
	v_mov_b32_e32 v112, 0x1b0
	v_mov_b32_e32 v113, 0x1b8
	v_mov_b32_e32 v114, 0x1c0
	v_mov_b32_e32 v115, 0x1c8
	v_mov_b32_e32 v116, 0x1d0
	v_mov_b32_e32 v117, 0x1d8
	v_mov_b32_e32 v118, 0x1e0
	v_mov_b32_e32 v119, 0x1e8
	v_mov_b32_e32 v120, 0x1f0
	v_mov_b32_e32 v121, 0x1f8
	s_cbranch_vccnz .LBB150_27
; %bb.28:
	v_dual_mov_b32 v81, 0 :: v_dual_add_nc_u32 v60, 0x800, v86
	ds_load_2addr_b64 v[0:3], v86 offset0:3 offset1:19
	ds_load_2addr_b64 v[4:7], v86 offset0:35 offset1:51
	;; [unrolled: 1-line block ×12, first 2 shown]
	v_dual_mov_b32 v91, 8 :: v_dual_add_nc_u32 v64, 24, v90
	ds_load_2addr_b64 v[48:51], v60 offset0:131 offset1:147
	ds_load_2addr_b64 v[52:55], v60 offset0:163 offset1:179
	;; [unrolled: 1-line block ×4, first 2 shown]
	ds_load_2addr_stride64_b64 v[64:67], v64 offset1:4
	v_dual_mov_b32 v92, 16 :: v_dual_mov_b32 v93, 24
	v_dual_mov_b32 v94, 32 :: v_dual_mov_b32 v95, 40
	;; [unrolled: 1-line block ×4, first 2 shown]
	v_mov_b32_e32 v100, 0x50
	v_mov_b32_e32 v101, 0x58
	;; [unrolled: 1-line block ×22, first 2 shown]
	s_mov_b64 s[6:7], 0
	s_mov_b32 s21, -1
.LBB150_29:                             ; =>This Inner Loop Header: Depth=1
	scratch_load_b64 v[122:123], v81, off
	scratch_load_b64 v[124:125], v91, off
	;; [unrolled: 1-line block ×32, first 2 shown]
	s_cmp_eq_u32 s6, 1
	s_waitcnt lgkmcnt(16)
	v_max_f64 v[188:189], v[0:1], v[0:1]
	s_cselect_b32 vcc_lo, -1, 0
	v_max_f64 v[190:191], v[2:3], v[2:3]
	s_waitcnt lgkmcnt(0)
	v_dual_cndmask_b32 v187, v65, v67 :: v_dual_cndmask_b32 v186, v64, v66
	v_max_f64 v[192:193], v[4:5], v[4:5]
	v_max_f64 v[194:195], v[6:7], v[6:7]
	;; [unrolled: 1-line block ×31, first 2 shown]
	s_mov_b64 s[6:7], 1
	s_and_b32 vcc_lo, exec_lo, s21
	s_mov_b32 s21, 0
	v_min_f64 v[188:189], v[188:189], v[186:187]
	v_min_f64 v[190:191], v[190:191], v[186:187]
	;; [unrolled: 1-line block ×32, first 2 shown]
	s_waitcnt vmcnt(31)
	v_add_f64 v[122:123], v[122:123], v[188:189]
	s_waitcnt vmcnt(30)
	v_add_f64 v[124:125], v[190:191], v[124:125]
	;; [unrolled: 2-line block ×32, first 2 shown]
	scratch_store_b64 v81, v[122:123], off
	scratch_store_b64 v91, v[124:125], off
	;; [unrolled: 1-line block ×32, first 2 shown]
	v_mov_b32_e32 v81, 0x100
	v_mov_b32_e32 v91, 0x108
	;; [unrolled: 1-line block ×32, first 2 shown]
	s_cbranch_vccnz .LBB150_29
; %bb.30:
	s_cmp_gt_i32 s38, 8
	s_mov_b32 s21, 8
	ds_store_2addr_stride64_b64 v87, v[68:69], v[74:75] offset0:8 offset1:12
	ds_store_2addr_stride64_b64 v80, v[70:71], v[76:77] offset0:24 offset1:28
	s_waitcnt lgkmcnt(0)
	s_waitcnt_vscnt null, 0x0
	s_barrier
	buffer_gl0_inv
	s_cbranch_scc0 .LBB150_65
; %bb.31:
	v_mad_i64_i32 v[0:1], null, v78, s22, 0
	v_mad_i64_i32 v[2:3], null, v79, s22, 0
	v_lshl_add_u32 v93, v82, 5, 0x1000
	v_lshlrev_b64 v[72:73], 3, v[72:73]
	v_add_nc_u32_e32 v91, 0x1000, v87
	v_or_b32_e32 v92, 0x3000, v80
	v_lshlrev_b64 v[68:69], 3, v[0:1]
	v_lshl_add_u32 v94, v83, 5, 0x3000
	v_lshlrev_b64 v[70:71], 3, v[2:3]
	v_add_nc_u32_e32 v95, 0x800, v93
	s_add_i32 s22, s38, -8
	s_mov_b32 s23, 0
.LBB150_32:                             ; =>This Loop Header: Depth=1
                                        ;     Child Loop BB150_41 Depth 2
                                        ;     Child Loop BB150_43 Depth 2
                                        ;     Child Loop BB150_45 Depth 2
                                        ;     Child Loop BB150_47 Depth 2
                                        ;     Child Loop BB150_57 Depth 2
                                        ;     Child Loop BB150_59 Depth 2
                                        ;     Child Loop BB150_61 Depth 2
                                        ;     Child Loop BB150_63 Depth 2
	v_or_b32_e32 v96, s21, v84
	v_mov_b32_e32 v74, 0
	v_mov_b32_e32 v75, 0
	s_delay_alu instid0(VALU_DEP_3) | instskip(SKIP_1) | instid1(VALU_DEP_3)
	v_min_i32_e32 v0, s19, v96
	v_cmp_le_i32_e32 vcc_lo, s38, v96
	v_dual_mov_b32 v77, v75 :: v_dual_mov_b32 v76, v74
	s_delay_alu instid0(VALU_DEP_3) | instskip(SKIP_1) | instid1(VALU_DEP_1)
	v_ashrrev_i32_e32 v1, 31, v0
	s_or_b32 s7, s2, vcc_lo
	v_lshlrev_b64 v[0:1], 3, v[0:1]
	s_delay_alu instid0(VALU_DEP_1) | instskip(NEXT) | instid1(VALU_DEP_1)
	v_add_co_u32 v0, s6, s16, v0
	v_add_co_ci_u32_e64 v1, s6, s17, v1, s6
	s_or_b32 s6, s18, s7
	s_delay_alu instid0(SALU_CYCLE_1) | instskip(NEXT) | instid1(SALU_CYCLE_1)
	s_xor_b32 s6, s6, -1
	s_and_saveexec_b32 s7, s6
	s_cbranch_execz .LBB150_34
; %bb.33:                               ;   in Loop: Header=BB150_32 Depth=1
	v_add_co_u32 v2, s6, v0, v68
	s_delay_alu instid0(VALU_DEP_1)
	v_add_co_ci_u32_e64 v3, s6, v1, v69, s6
	flat_load_b64 v[2:3], v[2:3]
	s_waitcnt vmcnt(0) lgkmcnt(0)
	v_mul_f64 v[76:77], s[12:13], v[2:3]
.LBB150_34:                             ;   in Loop: Header=BB150_32 Depth=1
	s_or_b32 exec_lo, exec_lo, s7
	s_or_b32 s6, s3, vcc_lo
	s_delay_alu instid0(SALU_CYCLE_1) | instskip(NEXT) | instid1(SALU_CYCLE_1)
	s_or_b32 s6, s18, s6
	s_xor_b32 s7, s6, -1
	s_delay_alu instid0(SALU_CYCLE_1)
	s_and_saveexec_b32 s6, s7
	s_cbranch_execz .LBB150_36
; %bb.35:                               ;   in Loop: Header=BB150_32 Depth=1
	v_add_co_u32 v0, vcc_lo, v0, v70
	v_add_co_ci_u32_e32 v1, vcc_lo, v1, v71, vcc_lo
	flat_load_b64 v[0:1], v[0:1]
	s_waitcnt vmcnt(0) lgkmcnt(0)
	v_mul_f64 v[74:75], s[12:13], v[0:1]
.LBB150_36:                             ;   in Loop: Header=BB150_32 Depth=1
	s_or_b32 exec_lo, exec_lo, s6
	v_add_nc_u32_e32 v2, s21, v85
	v_mov_b32_e32 v78, 0
	v_mov_b32_e32 v79, 0
	s_delay_alu instid0(VALU_DEP_3) | instskip(SKIP_1) | instid1(VALU_DEP_3)
	v_min_i32_e32 v3, s19, v2
	v_cmp_le_i32_e32 vcc_lo, s38, v2
	v_dual_mov_b32 v81, v79 :: v_dual_mov_b32 v80, v78
	s_delay_alu instid0(VALU_DEP_3) | instskip(SKIP_1) | instid1(VALU_DEP_1)
	v_mad_i64_i32 v[0:1], null, v3, s20, 0
	s_or_b32 s7, s4, vcc_lo
	v_lshlrev_b64 v[0:1], 3, v[0:1]
	s_delay_alu instid0(VALU_DEP_1) | instskip(NEXT) | instid1(VALU_DEP_1)
	v_add_co_u32 v0, s6, s10, v0
	v_add_co_ci_u32_e64 v1, s6, s11, v1, s6
	s_or_b32 s6, s18, s7
	s_delay_alu instid0(SALU_CYCLE_1) | instskip(NEXT) | instid1(SALU_CYCLE_1)
	s_xor_b32 s6, s6, -1
	s_and_saveexec_b32 s7, s6
	s_cbranch_execz .LBB150_38
; %bb.37:                               ;   in Loop: Header=BB150_32 Depth=1
	v_add_co_u32 v2, s6, v0, v72
	s_delay_alu instid0(VALU_DEP_1)
	v_add_co_ci_u32_e64 v3, s6, v1, v73, s6
	flat_load_b64 v[2:3], v[2:3]
	s_waitcnt vmcnt(0) lgkmcnt(0)
	v_mul_f64 v[80:81], s[12:13], v[2:3]
.LBB150_38:                             ;   in Loop: Header=BB150_32 Depth=1
	s_or_b32 exec_lo, exec_lo, s7
	s_or_b32 s6, s5, vcc_lo
	s_delay_alu instid0(SALU_CYCLE_1) | instskip(NEXT) | instid1(SALU_CYCLE_1)
	s_or_b32 s6, s18, s6
	s_xor_b32 s7, s6, -1
	s_delay_alu instid0(SALU_CYCLE_1)
	s_and_saveexec_b32 s6, s7
	s_cbranch_execz .LBB150_40
; %bb.39:                               ;   in Loop: Header=BB150_32 Depth=1
	v_add_co_u32 v0, vcc_lo, v0, v72
	v_add_co_ci_u32_e32 v1, vcc_lo, v1, v73, vcc_lo
	flat_load_b64 v[0:1], v[0:1] offset:512
	s_waitcnt vmcnt(0) lgkmcnt(0)
	v_mul_f64 v[78:79], s[12:13], v[0:1]
.LBB150_40:                             ;   in Loop: Header=BB150_32 Depth=1
	s_or_b32 exec_lo, exec_lo, s6
	ds_load_2addr_b64 v[0:3], v93 offset1:16
	ds_load_2addr_b64 v[4:7], v93 offset0:32 offset1:48
	ds_load_2addr_b64 v[8:11], v93 offset0:64 offset1:80
	;; [unrolled: 1-line block ×7, first 2 shown]
	ds_load_2addr_b64 v[32:35], v95 offset1:16
	ds_load_2addr_b64 v[36:39], v95 offset0:32 offset1:48
	ds_load_2addr_b64 v[40:43], v95 offset0:64 offset1:80
	;; [unrolled: 1-line block ×7, first 2 shown]
	ds_load_2addr_stride64_b64 v[64:67], v94 offset1:4
	v_dual_mov_b32 v128, 0 :: v_dual_mov_b32 v127, 8
	v_dual_mov_b32 v126, 16 :: v_dual_mov_b32 v125, 24
	;; [unrolled: 1-line block ×5, first 2 shown]
	v_mov_b32_e32 v118, 0x50
	v_mov_b32_e32 v117, 0x58
	;; [unrolled: 1-line block ×22, first 2 shown]
	s_mov_b64 s[6:7], 0
	s_mov_b32 s24, -1
.LBB150_41:                             ;   Parent Loop BB150_32 Depth=1
                                        ; =>  This Inner Loop Header: Depth=2
	scratch_load_b64 v[133:134], v128, off
	s_cmp_eq_u32 s6, 1
	s_waitcnt lgkmcnt(16)
	v_max_f64 v[131:132], v[0:1], v[0:1]
	s_cselect_b32 vcc_lo, -1, 0
	s_mov_b64 s[6:7], 1
	s_waitcnt lgkmcnt(0)
	v_dual_cndmask_b32 v130, v65, v67 :: v_dual_cndmask_b32 v129, v64, v66
	s_and_b32 vcc_lo, exec_lo, s24
	s_mov_b32 s24, 0
	s_delay_alu instid0(VALU_DEP_1) | instskip(NEXT) | instid1(VALU_DEP_1)
	v_max_f64 v[129:130], v[129:130], v[129:130]
	v_min_f64 v[131:132], v[131:132], v[129:130]
	s_waitcnt vmcnt(0)
	s_delay_alu instid0(VALU_DEP_1) | instskip(SKIP_3) | instid1(VALU_DEP_1)
	v_add_f64 v[131:132], v[133:134], v[131:132]
	scratch_load_b64 v[133:134], v127, off
	scratch_store_b64 v128, v[131:132], off
	v_max_f64 v[131:132], v[2:3], v[2:3]
	v_min_f64 v[131:132], v[131:132], v[129:130]
	s_waitcnt vmcnt(0)
	s_delay_alu instid0(VALU_DEP_1) | instskip(SKIP_3) | instid1(VALU_DEP_1)
	v_add_f64 v[131:132], v[131:132], v[133:134]
	scratch_store_b64 v127, v[131:132], off
	scratch_load_b64 v[131:132], v126, off
	v_max_f64 v[127:128], v[4:5], v[4:5]
	v_min_f64 v[127:128], v[127:128], v[129:130]
	s_waitcnt vmcnt(0)
	s_delay_alu instid0(VALU_DEP_1) | instskip(SKIP_3) | instid1(VALU_DEP_1)
	v_add_f64 v[127:128], v[127:128], v[131:132]
	scratch_load_b64 v[131:132], v125, off
	scratch_store_b64 v126, v[127:128], off
	v_max_f64 v[126:127], v[6:7], v[6:7]
	v_min_f64 v[126:127], v[126:127], v[129:130]
	s_waitcnt vmcnt(0)
	s_delay_alu instid0(VALU_DEP_1) | instskip(SKIP_3) | instid1(VALU_DEP_1)
	v_add_f64 v[126:127], v[126:127], v[131:132]
	scratch_store_b64 v125, v[126:127], off
	scratch_load_b64 v[127:128], v124, off
	v_max_f64 v[125:126], v[8:9], v[8:9]
	v_min_f64 v[125:126], v[125:126], v[129:130]
	s_waitcnt vmcnt(0)
	s_delay_alu instid0(VALU_DEP_1) | instskip(SKIP_4) | instid1(VALU_DEP_1)
	v_add_f64 v[125:126], v[125:126], v[127:128]
	v_mov_b32_e32 v128, 0x100
	scratch_store_b64 v124, v[125:126], off
	scratch_load_b64 v[126:127], v123, off
	v_max_f64 v[124:125], v[10:11], v[10:11]
	v_min_f64 v[124:125], v[124:125], v[129:130]
	s_waitcnt vmcnt(0)
	s_delay_alu instid0(VALU_DEP_1) | instskip(SKIP_4) | instid1(VALU_DEP_1)
	v_add_f64 v[124:125], v[124:125], v[126:127]
	v_mov_b32_e32 v127, 0x108
	scratch_store_b64 v123, v[124:125], off
	scratch_load_b64 v[125:126], v122, off
	v_max_f64 v[123:124], v[12:13], v[12:13]
	v_min_f64 v[123:124], v[123:124], v[129:130]
	s_waitcnt vmcnt(0)
	s_delay_alu instid0(VALU_DEP_1) | instskip(SKIP_4) | instid1(VALU_DEP_1)
	v_add_f64 v[123:124], v[123:124], v[125:126]
	v_mov_b32_e32 v126, 0x110
	scratch_store_b64 v122, v[123:124], off
	scratch_load_b64 v[124:125], v121, off
	v_max_f64 v[122:123], v[14:15], v[14:15]
	v_min_f64 v[122:123], v[122:123], v[129:130]
	s_waitcnt vmcnt(0)
	s_delay_alu instid0(VALU_DEP_1) | instskip(SKIP_4) | instid1(VALU_DEP_1)
	v_add_f64 v[122:123], v[122:123], v[124:125]
	v_mov_b32_e32 v125, 0x118
	scratch_store_b64 v121, v[122:123], off
	scratch_load_b64 v[123:124], v120, off
	v_max_f64 v[121:122], v[16:17], v[16:17]
	v_min_f64 v[121:122], v[121:122], v[129:130]
	s_waitcnt vmcnt(0)
	s_delay_alu instid0(VALU_DEP_1) | instskip(SKIP_4) | instid1(VALU_DEP_1)
	v_add_f64 v[121:122], v[121:122], v[123:124]
	v_mov_b32_e32 v124, 0x120
	scratch_store_b64 v120, v[121:122], off
	scratch_load_b64 v[122:123], v119, off
	v_max_f64 v[120:121], v[18:19], v[18:19]
	v_min_f64 v[120:121], v[120:121], v[129:130]
	s_waitcnt vmcnt(0)
	s_delay_alu instid0(VALU_DEP_1) | instskip(SKIP_4) | instid1(VALU_DEP_1)
	v_add_f64 v[120:121], v[120:121], v[122:123]
	v_mov_b32_e32 v123, 0x128
	scratch_store_b64 v119, v[120:121], off
	scratch_load_b64 v[121:122], v118, off
	v_max_f64 v[119:120], v[20:21], v[20:21]
	v_min_f64 v[119:120], v[119:120], v[129:130]
	s_waitcnt vmcnt(0)
	s_delay_alu instid0(VALU_DEP_1) | instskip(SKIP_4) | instid1(VALU_DEP_1)
	v_add_f64 v[119:120], v[119:120], v[121:122]
	v_mov_b32_e32 v122, 0x130
	scratch_store_b64 v118, v[119:120], off
	scratch_load_b64 v[120:121], v117, off
	v_max_f64 v[118:119], v[22:23], v[22:23]
	v_min_f64 v[118:119], v[118:119], v[129:130]
	s_waitcnt vmcnt(0)
	s_delay_alu instid0(VALU_DEP_1) | instskip(SKIP_4) | instid1(VALU_DEP_1)
	v_add_f64 v[118:119], v[118:119], v[120:121]
	v_mov_b32_e32 v121, 0x138
	scratch_store_b64 v117, v[118:119], off
	scratch_load_b64 v[119:120], v116, off
	v_max_f64 v[117:118], v[24:25], v[24:25]
	v_min_f64 v[117:118], v[117:118], v[129:130]
	s_waitcnt vmcnt(0)
	s_delay_alu instid0(VALU_DEP_1) | instskip(SKIP_4) | instid1(VALU_DEP_1)
	v_add_f64 v[117:118], v[117:118], v[119:120]
	v_mov_b32_e32 v120, 0x140
	scratch_store_b64 v116, v[117:118], off
	scratch_load_b64 v[118:119], v115, off
	v_max_f64 v[116:117], v[26:27], v[26:27]
	v_min_f64 v[116:117], v[116:117], v[129:130]
	s_waitcnt vmcnt(0)
	s_delay_alu instid0(VALU_DEP_1) | instskip(SKIP_4) | instid1(VALU_DEP_1)
	v_add_f64 v[116:117], v[116:117], v[118:119]
	v_mov_b32_e32 v119, 0x148
	scratch_store_b64 v115, v[116:117], off
	scratch_load_b64 v[117:118], v114, off
	v_max_f64 v[115:116], v[28:29], v[28:29]
	v_min_f64 v[115:116], v[115:116], v[129:130]
	s_waitcnt vmcnt(0)
	s_delay_alu instid0(VALU_DEP_1) | instskip(SKIP_4) | instid1(VALU_DEP_1)
	v_add_f64 v[115:116], v[115:116], v[117:118]
	v_mov_b32_e32 v118, 0x150
	scratch_store_b64 v114, v[115:116], off
	scratch_load_b64 v[116:117], v113, off
	v_max_f64 v[114:115], v[30:31], v[30:31]
	v_min_f64 v[114:115], v[114:115], v[129:130]
	s_waitcnt vmcnt(0)
	s_delay_alu instid0(VALU_DEP_1) | instskip(SKIP_4) | instid1(VALU_DEP_1)
	v_add_f64 v[114:115], v[114:115], v[116:117]
	v_mov_b32_e32 v117, 0x158
	scratch_store_b64 v113, v[114:115], off
	scratch_load_b64 v[115:116], v112, off
	v_max_f64 v[113:114], v[32:33], v[32:33]
	v_min_f64 v[113:114], v[113:114], v[129:130]
	s_waitcnt vmcnt(0)
	s_delay_alu instid0(VALU_DEP_1) | instskip(SKIP_4) | instid1(VALU_DEP_1)
	v_add_f64 v[113:114], v[113:114], v[115:116]
	v_mov_b32_e32 v116, 0x160
	scratch_store_b64 v112, v[113:114], off
	scratch_load_b64 v[114:115], v111, off
	v_max_f64 v[112:113], v[34:35], v[34:35]
	v_min_f64 v[112:113], v[112:113], v[129:130]
	s_waitcnt vmcnt(0)
	s_delay_alu instid0(VALU_DEP_1) | instskip(SKIP_4) | instid1(VALU_DEP_1)
	v_add_f64 v[112:113], v[112:113], v[114:115]
	v_mov_b32_e32 v115, 0x168
	scratch_store_b64 v111, v[112:113], off
	scratch_load_b64 v[113:114], v110, off
	v_max_f64 v[111:112], v[36:37], v[36:37]
	v_min_f64 v[111:112], v[111:112], v[129:130]
	s_waitcnt vmcnt(0)
	s_delay_alu instid0(VALU_DEP_1) | instskip(SKIP_4) | instid1(VALU_DEP_1)
	v_add_f64 v[111:112], v[111:112], v[113:114]
	v_mov_b32_e32 v114, 0x170
	scratch_store_b64 v110, v[111:112], off
	scratch_load_b64 v[112:113], v109, off
	v_max_f64 v[110:111], v[38:39], v[38:39]
	v_min_f64 v[110:111], v[110:111], v[129:130]
	s_waitcnt vmcnt(0)
	s_delay_alu instid0(VALU_DEP_1) | instskip(SKIP_4) | instid1(VALU_DEP_1)
	v_add_f64 v[110:111], v[110:111], v[112:113]
	v_mov_b32_e32 v113, 0x178
	scratch_store_b64 v109, v[110:111], off
	scratch_load_b64 v[111:112], v108, off
	v_max_f64 v[109:110], v[40:41], v[40:41]
	v_min_f64 v[109:110], v[109:110], v[129:130]
	s_waitcnt vmcnt(0)
	s_delay_alu instid0(VALU_DEP_1) | instskip(SKIP_4) | instid1(VALU_DEP_1)
	v_add_f64 v[109:110], v[109:110], v[111:112]
	v_mov_b32_e32 v112, 0x180
	scratch_store_b64 v108, v[109:110], off
	scratch_load_b64 v[110:111], v107, off
	v_max_f64 v[108:109], v[42:43], v[42:43]
	v_min_f64 v[108:109], v[108:109], v[129:130]
	s_waitcnt vmcnt(0)
	s_delay_alu instid0(VALU_DEP_1) | instskip(SKIP_4) | instid1(VALU_DEP_1)
	v_add_f64 v[108:109], v[108:109], v[110:111]
	v_mov_b32_e32 v111, 0x188
	scratch_store_b64 v107, v[108:109], off
	scratch_load_b64 v[109:110], v106, off
	v_max_f64 v[107:108], v[44:45], v[44:45]
	v_min_f64 v[107:108], v[107:108], v[129:130]
	s_waitcnt vmcnt(0)
	s_delay_alu instid0(VALU_DEP_1) | instskip(SKIP_4) | instid1(VALU_DEP_1)
	v_add_f64 v[107:108], v[107:108], v[109:110]
	v_mov_b32_e32 v110, 0x190
	scratch_store_b64 v106, v[107:108], off
	scratch_load_b64 v[108:109], v105, off
	v_max_f64 v[106:107], v[46:47], v[46:47]
	v_min_f64 v[106:107], v[106:107], v[129:130]
	s_waitcnt vmcnt(0)
	s_delay_alu instid0(VALU_DEP_1) | instskip(SKIP_4) | instid1(VALU_DEP_1)
	v_add_f64 v[106:107], v[106:107], v[108:109]
	v_mov_b32_e32 v109, 0x198
	scratch_store_b64 v105, v[106:107], off
	scratch_load_b64 v[107:108], v104, off
	v_max_f64 v[105:106], v[48:49], v[48:49]
	v_min_f64 v[105:106], v[105:106], v[129:130]
	s_waitcnt vmcnt(0)
	s_delay_alu instid0(VALU_DEP_1) | instskip(SKIP_4) | instid1(VALU_DEP_1)
	v_add_f64 v[105:106], v[105:106], v[107:108]
	v_mov_b32_e32 v108, 0x1a0
	scratch_store_b64 v104, v[105:106], off
	scratch_load_b64 v[106:107], v103, off
	v_max_f64 v[104:105], v[50:51], v[50:51]
	v_min_f64 v[104:105], v[104:105], v[129:130]
	s_waitcnt vmcnt(0)
	s_delay_alu instid0(VALU_DEP_1) | instskip(SKIP_4) | instid1(VALU_DEP_1)
	v_add_f64 v[104:105], v[104:105], v[106:107]
	v_mov_b32_e32 v107, 0x1a8
	scratch_store_b64 v103, v[104:105], off
	scratch_load_b64 v[105:106], v102, off
	v_max_f64 v[103:104], v[52:53], v[52:53]
	v_min_f64 v[103:104], v[103:104], v[129:130]
	s_waitcnt vmcnt(0)
	s_delay_alu instid0(VALU_DEP_1) | instskip(SKIP_4) | instid1(VALU_DEP_1)
	v_add_f64 v[103:104], v[103:104], v[105:106]
	v_mov_b32_e32 v106, 0x1b0
	scratch_store_b64 v102, v[103:104], off
	scratch_load_b64 v[104:105], v101, off
	v_max_f64 v[102:103], v[54:55], v[54:55]
	v_min_f64 v[102:103], v[102:103], v[129:130]
	s_waitcnt vmcnt(0)
	s_delay_alu instid0(VALU_DEP_1) | instskip(SKIP_4) | instid1(VALU_DEP_1)
	v_add_f64 v[102:103], v[102:103], v[104:105]
	v_mov_b32_e32 v105, 0x1b8
	scratch_store_b64 v101, v[102:103], off
	scratch_load_b64 v[103:104], v100, off
	v_max_f64 v[101:102], v[56:57], v[56:57]
	v_min_f64 v[101:102], v[101:102], v[129:130]
	s_waitcnt vmcnt(0)
	s_delay_alu instid0(VALU_DEP_1) | instskip(SKIP_4) | instid1(VALU_DEP_1)
	v_add_f64 v[101:102], v[101:102], v[103:104]
	v_mov_b32_e32 v104, 0x1c0
	scratch_store_b64 v100, v[101:102], off
	scratch_load_b64 v[102:103], v99, off
	v_max_f64 v[100:101], v[58:59], v[58:59]
	v_min_f64 v[100:101], v[100:101], v[129:130]
	s_waitcnt vmcnt(0)
	s_delay_alu instid0(VALU_DEP_1) | instskip(SKIP_4) | instid1(VALU_DEP_1)
	v_add_f64 v[100:101], v[100:101], v[102:103]
	v_mov_b32_e32 v103, 0x1c8
	scratch_store_b64 v99, v[100:101], off
	scratch_load_b64 v[101:102], v98, off
	v_max_f64 v[99:100], v[60:61], v[60:61]
	v_min_f64 v[99:100], v[99:100], v[129:130]
	s_waitcnt vmcnt(0)
	s_delay_alu instid0(VALU_DEP_1) | instskip(SKIP_4) | instid1(VALU_DEP_1)
	v_add_f64 v[99:100], v[99:100], v[101:102]
	v_mov_b32_e32 v102, 0x1d0
	scratch_store_b64 v98, v[99:100], off
	scratch_load_b64 v[100:101], v97, off
	v_max_f64 v[98:99], v[62:63], v[62:63]
	v_min_f64 v[98:99], v[98:99], v[129:130]
	s_waitcnt vmcnt(0)
	s_delay_alu instid0(VALU_DEP_1)
	v_add_f64 v[98:99], v[98:99], v[100:101]
	v_mov_b32_e32 v101, 0x1d8
	v_mov_b32_e32 v100, 0x1e0
	scratch_store_b64 v97, v[98:99], off
	v_mov_b32_e32 v99, 0x1e8
	v_mov_b32_e32 v98, 0x1f0
	;; [unrolled: 1-line block ×3, first 2 shown]
	s_cbranch_vccnz .LBB150_41
; %bb.42:                               ;   in Loop: Header=BB150_32 Depth=1
	ds_load_2addr_b64 v[0:3], v93 offset0:1 offset1:17
	ds_load_2addr_b64 v[4:7], v93 offset0:33 offset1:49
	;; [unrolled: 1-line block ×12, first 2 shown]
	v_dual_mov_b32 v127, 8 :: v_dual_add_nc_u32 v64, 8, v94
	ds_load_2addr_b64 v[48:51], v95 offset0:129 offset1:145
	ds_load_2addr_b64 v[52:55], v95 offset0:161 offset1:177
	;; [unrolled: 1-line block ×4, first 2 shown]
	ds_load_2addr_stride64_b64 v[64:67], v64 offset1:4
	v_dual_mov_b32 v128, 0 :: v_dual_mov_b32 v125, 24
	v_dual_mov_b32 v126, 16 :: v_dual_mov_b32 v123, 40
	;; [unrolled: 1-line block ×5, first 2 shown]
	v_mov_b32_e32 v118, 0x50
	v_mov_b32_e32 v116, 0x60
	;; [unrolled: 1-line block ×21, first 2 shown]
	s_mov_b64 s[6:7], 0
	s_mov_b32 s24, -1
.LBB150_43:                             ;   Parent Loop BB150_32 Depth=1
                                        ; =>  This Inner Loop Header: Depth=2
	scratch_load_b64 v[133:134], v128, off
	s_cmp_eq_u32 s6, 1
	s_waitcnt lgkmcnt(16)
	v_max_f64 v[131:132], v[0:1], v[0:1]
	s_cselect_b32 vcc_lo, -1, 0
	s_mov_b64 s[6:7], 1
	s_waitcnt lgkmcnt(0)
	v_dual_cndmask_b32 v130, v65, v67 :: v_dual_cndmask_b32 v129, v64, v66
	s_and_b32 vcc_lo, exec_lo, s24
	s_mov_b32 s24, 0
	s_delay_alu instid0(VALU_DEP_1) | instskip(NEXT) | instid1(VALU_DEP_1)
	v_max_f64 v[129:130], v[129:130], v[129:130]
	v_min_f64 v[131:132], v[131:132], v[129:130]
	s_waitcnt vmcnt(0)
	s_delay_alu instid0(VALU_DEP_1) | instskip(SKIP_3) | instid1(VALU_DEP_1)
	v_add_f64 v[131:132], v[133:134], v[131:132]
	scratch_load_b64 v[133:134], v127, off
	scratch_store_b64 v128, v[131:132], off
	v_max_f64 v[131:132], v[2:3], v[2:3]
	v_min_f64 v[131:132], v[131:132], v[129:130]
	s_waitcnt vmcnt(0)
	s_delay_alu instid0(VALU_DEP_1) | instskip(SKIP_3) | instid1(VALU_DEP_1)
	v_add_f64 v[131:132], v[131:132], v[133:134]
	scratch_store_b64 v127, v[131:132], off
	scratch_load_b64 v[131:132], v126, off
	v_max_f64 v[127:128], v[4:5], v[4:5]
	v_min_f64 v[127:128], v[127:128], v[129:130]
	s_waitcnt vmcnt(0)
	s_delay_alu instid0(VALU_DEP_1) | instskip(SKIP_3) | instid1(VALU_DEP_1)
	v_add_f64 v[127:128], v[127:128], v[131:132]
	scratch_load_b64 v[131:132], v125, off
	scratch_store_b64 v126, v[127:128], off
	v_max_f64 v[126:127], v[6:7], v[6:7]
	v_min_f64 v[126:127], v[126:127], v[129:130]
	s_waitcnt vmcnt(0)
	s_delay_alu instid0(VALU_DEP_1) | instskip(SKIP_3) | instid1(VALU_DEP_1)
	v_add_f64 v[126:127], v[126:127], v[131:132]
	scratch_store_b64 v125, v[126:127], off
	scratch_load_b64 v[127:128], v124, off
	v_max_f64 v[125:126], v[8:9], v[8:9]
	v_min_f64 v[125:126], v[125:126], v[129:130]
	s_waitcnt vmcnt(0)
	s_delay_alu instid0(VALU_DEP_1) | instskip(SKIP_4) | instid1(VALU_DEP_1)
	v_add_f64 v[125:126], v[125:126], v[127:128]
	v_mov_b32_e32 v128, 0x100
	scratch_store_b64 v124, v[125:126], off
	scratch_load_b64 v[126:127], v123, off
	v_max_f64 v[124:125], v[10:11], v[10:11]
	v_min_f64 v[124:125], v[124:125], v[129:130]
	s_waitcnt vmcnt(0)
	s_delay_alu instid0(VALU_DEP_1) | instskip(SKIP_4) | instid1(VALU_DEP_1)
	v_add_f64 v[124:125], v[124:125], v[126:127]
	v_mov_b32_e32 v127, 0x108
	;; [unrolled: 8-line block ×27, first 2 shown]
	scratch_store_b64 v98, v[99:100], off
	scratch_load_b64 v[100:101], v97, off
	v_max_f64 v[98:99], v[62:63], v[62:63]
	v_min_f64 v[98:99], v[98:99], v[129:130]
	s_waitcnt vmcnt(0)
	s_delay_alu instid0(VALU_DEP_1)
	v_add_f64 v[98:99], v[98:99], v[100:101]
	v_mov_b32_e32 v101, 0x1d8
	v_mov_b32_e32 v100, 0x1e0
	scratch_store_b64 v97, v[98:99], off
	v_mov_b32_e32 v99, 0x1e8
	v_mov_b32_e32 v98, 0x1f0
	;; [unrolled: 1-line block ×3, first 2 shown]
	s_cbranch_vccnz .LBB150_43
; %bb.44:                               ;   in Loop: Header=BB150_32 Depth=1
	ds_load_2addr_b64 v[0:3], v93 offset0:2 offset1:18
	ds_load_2addr_b64 v[4:7], v93 offset0:34 offset1:50
	;; [unrolled: 1-line block ×12, first 2 shown]
	v_dual_mov_b32 v127, 8 :: v_dual_add_nc_u32 v64, 16, v94
	ds_load_2addr_b64 v[48:51], v95 offset0:130 offset1:146
	ds_load_2addr_b64 v[52:55], v95 offset0:162 offset1:178
	;; [unrolled: 1-line block ×4, first 2 shown]
	ds_load_2addr_stride64_b64 v[64:67], v64 offset1:4
	v_dual_mov_b32 v128, 0 :: v_dual_mov_b32 v125, 24
	v_dual_mov_b32 v126, 16 :: v_dual_mov_b32 v123, 40
	;; [unrolled: 1-line block ×5, first 2 shown]
	v_mov_b32_e32 v118, 0x50
	v_mov_b32_e32 v116, 0x60
	v_mov_b32_e32 v115, 0x68
	v_mov_b32_e32 v114, 0x70
	v_mov_b32_e32 v113, 0x78
	v_mov_b32_e32 v112, 0x80
	v_mov_b32_e32 v111, 0x88
	v_mov_b32_e32 v110, 0x90
	v_mov_b32_e32 v109, 0x98
	v_mov_b32_e32 v108, 0xa0
	v_mov_b32_e32 v107, 0xa8
	v_mov_b32_e32 v106, 0xb0
	v_mov_b32_e32 v105, 0xb8
	v_mov_b32_e32 v104, 0xc0
	v_mov_b32_e32 v103, 0xc8
	v_mov_b32_e32 v102, 0xd0
	v_mov_b32_e32 v101, 0xd8
	v_mov_b32_e32 v100, 0xe0
	v_mov_b32_e32 v99, 0xe8
	v_mov_b32_e32 v98, 0xf0
	v_mov_b32_e32 v97, 0xf8
	s_mov_b64 s[6:7], 0
	s_mov_b32 s24, -1
.LBB150_45:                             ;   Parent Loop BB150_32 Depth=1
                                        ; =>  This Inner Loop Header: Depth=2
	scratch_load_b64 v[133:134], v128, off
	s_cmp_eq_u32 s6, 1
	s_waitcnt lgkmcnt(16)
	v_max_f64 v[131:132], v[0:1], v[0:1]
	s_cselect_b32 vcc_lo, -1, 0
	s_mov_b64 s[6:7], 1
	s_waitcnt lgkmcnt(0)
	v_dual_cndmask_b32 v130, v65, v67 :: v_dual_cndmask_b32 v129, v64, v66
	s_and_b32 vcc_lo, exec_lo, s24
	s_mov_b32 s24, 0
	s_delay_alu instid0(VALU_DEP_1) | instskip(NEXT) | instid1(VALU_DEP_1)
	v_max_f64 v[129:130], v[129:130], v[129:130]
	v_min_f64 v[131:132], v[131:132], v[129:130]
	s_waitcnt vmcnt(0)
	s_delay_alu instid0(VALU_DEP_1) | instskip(SKIP_3) | instid1(VALU_DEP_1)
	v_add_f64 v[131:132], v[133:134], v[131:132]
	scratch_load_b64 v[133:134], v127, off
	scratch_store_b64 v128, v[131:132], off
	v_max_f64 v[131:132], v[2:3], v[2:3]
	v_min_f64 v[131:132], v[131:132], v[129:130]
	s_waitcnt vmcnt(0)
	s_delay_alu instid0(VALU_DEP_1) | instskip(SKIP_3) | instid1(VALU_DEP_1)
	v_add_f64 v[131:132], v[131:132], v[133:134]
	scratch_store_b64 v127, v[131:132], off
	scratch_load_b64 v[131:132], v126, off
	v_max_f64 v[127:128], v[4:5], v[4:5]
	v_min_f64 v[127:128], v[127:128], v[129:130]
	s_waitcnt vmcnt(0)
	s_delay_alu instid0(VALU_DEP_1) | instskip(SKIP_3) | instid1(VALU_DEP_1)
	v_add_f64 v[127:128], v[127:128], v[131:132]
	scratch_load_b64 v[131:132], v125, off
	scratch_store_b64 v126, v[127:128], off
	v_max_f64 v[126:127], v[6:7], v[6:7]
	v_min_f64 v[126:127], v[126:127], v[129:130]
	s_waitcnt vmcnt(0)
	s_delay_alu instid0(VALU_DEP_1) | instskip(SKIP_3) | instid1(VALU_DEP_1)
	v_add_f64 v[126:127], v[126:127], v[131:132]
	scratch_store_b64 v125, v[126:127], off
	scratch_load_b64 v[127:128], v124, off
	v_max_f64 v[125:126], v[8:9], v[8:9]
	v_min_f64 v[125:126], v[125:126], v[129:130]
	s_waitcnt vmcnt(0)
	s_delay_alu instid0(VALU_DEP_1) | instskip(SKIP_4) | instid1(VALU_DEP_1)
	v_add_f64 v[125:126], v[125:126], v[127:128]
	v_mov_b32_e32 v128, 0x100
	scratch_store_b64 v124, v[125:126], off
	scratch_load_b64 v[126:127], v123, off
	v_max_f64 v[124:125], v[10:11], v[10:11]
	v_min_f64 v[124:125], v[124:125], v[129:130]
	s_waitcnt vmcnt(0)
	s_delay_alu instid0(VALU_DEP_1) | instskip(SKIP_4) | instid1(VALU_DEP_1)
	v_add_f64 v[124:125], v[124:125], v[126:127]
	v_mov_b32_e32 v127, 0x108
	;; [unrolled: 8-line block ×27, first 2 shown]
	scratch_store_b64 v98, v[99:100], off
	scratch_load_b64 v[100:101], v97, off
	v_max_f64 v[98:99], v[62:63], v[62:63]
	v_min_f64 v[98:99], v[98:99], v[129:130]
	s_waitcnt vmcnt(0)
	s_delay_alu instid0(VALU_DEP_1)
	v_add_f64 v[98:99], v[98:99], v[100:101]
	v_mov_b32_e32 v101, 0x1d8
	v_mov_b32_e32 v100, 0x1e0
	scratch_store_b64 v97, v[98:99], off
	v_mov_b32_e32 v99, 0x1e8
	v_mov_b32_e32 v98, 0x1f0
	;; [unrolled: 1-line block ×3, first 2 shown]
	s_cbranch_vccnz .LBB150_45
; %bb.46:                               ;   in Loop: Header=BB150_32 Depth=1
	ds_load_2addr_b64 v[0:3], v93 offset0:3 offset1:19
	ds_load_2addr_b64 v[4:7], v93 offset0:35 offset1:51
	;; [unrolled: 1-line block ×12, first 2 shown]
	v_dual_mov_b32 v127, 8 :: v_dual_add_nc_u32 v64, 24, v94
	ds_load_2addr_b64 v[48:51], v95 offset0:131 offset1:147
	ds_load_2addr_b64 v[52:55], v95 offset0:163 offset1:179
	;; [unrolled: 1-line block ×4, first 2 shown]
	ds_load_2addr_stride64_b64 v[64:67], v64 offset1:4
	v_dual_mov_b32 v128, 0 :: v_dual_mov_b32 v125, 24
	v_dual_mov_b32 v126, 16 :: v_dual_mov_b32 v123, 40
	;; [unrolled: 1-line block ×5, first 2 shown]
	v_mov_b32_e32 v118, 0x50
	v_mov_b32_e32 v116, 0x60
	;; [unrolled: 1-line block ×21, first 2 shown]
	s_mov_b64 s[6:7], 0
	s_mov_b32 s24, -1
.LBB150_47:                             ;   Parent Loop BB150_32 Depth=1
                                        ; =>  This Inner Loop Header: Depth=2
	scratch_load_b64 v[133:134], v128, off
	s_cmp_eq_u32 s6, 1
	s_waitcnt lgkmcnt(16)
	v_max_f64 v[131:132], v[0:1], v[0:1]
	s_cselect_b32 vcc_lo, -1, 0
	s_mov_b64 s[6:7], 1
	s_waitcnt lgkmcnt(0)
	v_dual_cndmask_b32 v130, v65, v67 :: v_dual_cndmask_b32 v129, v64, v66
	s_and_b32 vcc_lo, exec_lo, s24
	s_mov_b32 s24, 0
	s_delay_alu instid0(VALU_DEP_1) | instskip(NEXT) | instid1(VALU_DEP_1)
	v_max_f64 v[129:130], v[129:130], v[129:130]
	v_min_f64 v[131:132], v[131:132], v[129:130]
	s_waitcnt vmcnt(0)
	s_delay_alu instid0(VALU_DEP_1) | instskip(SKIP_3) | instid1(VALU_DEP_1)
	v_add_f64 v[131:132], v[133:134], v[131:132]
	scratch_load_b64 v[133:134], v127, off
	scratch_store_b64 v128, v[131:132], off
	v_max_f64 v[131:132], v[2:3], v[2:3]
	v_min_f64 v[131:132], v[131:132], v[129:130]
	s_waitcnt vmcnt(0)
	s_delay_alu instid0(VALU_DEP_1) | instskip(SKIP_3) | instid1(VALU_DEP_1)
	v_add_f64 v[131:132], v[131:132], v[133:134]
	scratch_store_b64 v127, v[131:132], off
	scratch_load_b64 v[131:132], v126, off
	v_max_f64 v[127:128], v[4:5], v[4:5]
	v_min_f64 v[127:128], v[127:128], v[129:130]
	s_waitcnt vmcnt(0)
	s_delay_alu instid0(VALU_DEP_1) | instskip(SKIP_3) | instid1(VALU_DEP_1)
	v_add_f64 v[127:128], v[127:128], v[131:132]
	scratch_load_b64 v[131:132], v125, off
	scratch_store_b64 v126, v[127:128], off
	v_max_f64 v[126:127], v[6:7], v[6:7]
	v_min_f64 v[126:127], v[126:127], v[129:130]
	s_waitcnt vmcnt(0)
	s_delay_alu instid0(VALU_DEP_1) | instskip(SKIP_3) | instid1(VALU_DEP_1)
	v_add_f64 v[126:127], v[126:127], v[131:132]
	scratch_store_b64 v125, v[126:127], off
	scratch_load_b64 v[127:128], v124, off
	v_max_f64 v[125:126], v[8:9], v[8:9]
	v_min_f64 v[125:126], v[125:126], v[129:130]
	s_waitcnt vmcnt(0)
	s_delay_alu instid0(VALU_DEP_1) | instskip(SKIP_4) | instid1(VALU_DEP_1)
	v_add_f64 v[125:126], v[125:126], v[127:128]
	v_mov_b32_e32 v128, 0x100
	scratch_store_b64 v124, v[125:126], off
	scratch_load_b64 v[126:127], v123, off
	v_max_f64 v[124:125], v[10:11], v[10:11]
	v_min_f64 v[124:125], v[124:125], v[129:130]
	s_waitcnt vmcnt(0)
	s_delay_alu instid0(VALU_DEP_1) | instskip(SKIP_4) | instid1(VALU_DEP_1)
	v_add_f64 v[124:125], v[124:125], v[126:127]
	v_mov_b32_e32 v127, 0x108
	;; [unrolled: 8-line block ×27, first 2 shown]
	scratch_store_b64 v98, v[99:100], off
	scratch_load_b64 v[100:101], v97, off
	v_max_f64 v[98:99], v[62:63], v[62:63]
	v_min_f64 v[98:99], v[98:99], v[129:130]
	s_waitcnt vmcnt(0)
	s_delay_alu instid0(VALU_DEP_1)
	v_add_f64 v[98:99], v[98:99], v[100:101]
	v_mov_b32_e32 v101, 0x1d8
	v_mov_b32_e32 v100, 0x1e0
	scratch_store_b64 v97, v[98:99], off
	v_mov_b32_e32 v99, 0x1e8
	v_mov_b32_e32 v98, 0x1f0
	;; [unrolled: 1-line block ×3, first 2 shown]
	s_cbranch_vccnz .LBB150_47
; %bb.48:                               ;   in Loop: Header=BB150_32 Depth=1
	v_or_b32_e32 v2, 4, v96
	ds_store_2addr_stride64_b64 v87, v[76:77], v[74:75] offset1:4
	v_mov_b32_e32 v74, 0
	v_mov_b32_e32 v75, 0
	ds_store_2addr_stride64_b64 v89, v[80:81], v[78:79] offset1:4
	v_min_i32_e32 v0, s19, v2
	v_cmp_le_i32_e32 vcc_lo, s38, v2
	s_waitcnt lgkmcnt(0)
	s_waitcnt_vscnt null, 0x0
	v_dual_mov_b32 v77, v75 :: v_dual_mov_b32 v76, v74
	v_ashrrev_i32_e32 v1, 31, v0
	s_or_b32 s7, s2, vcc_lo
	s_barrier
	buffer_gl0_inv
	v_lshlrev_b64 v[0:1], 3, v[0:1]
	s_delay_alu instid0(VALU_DEP_1) | instskip(NEXT) | instid1(VALU_DEP_1)
	v_add_co_u32 v0, s6, s16, v0
	v_add_co_ci_u32_e64 v1, s6, s17, v1, s6
	s_or_b32 s6, s18, s7
	s_delay_alu instid0(SALU_CYCLE_1) | instskip(NEXT) | instid1(SALU_CYCLE_1)
	s_xor_b32 s6, s6, -1
	s_and_saveexec_b32 s7, s6
	s_delay_alu instid0(SALU_CYCLE_1)
	s_xor_b32 s7, exec_lo, s7
	s_cbranch_execz .LBB150_50
; %bb.49:                               ;   in Loop: Header=BB150_32 Depth=1
	v_add_co_u32 v2, s6, v0, v68
	s_delay_alu instid0(VALU_DEP_1)
	v_add_co_ci_u32_e64 v3, s6, v1, v69, s6
	flat_load_b64 v[2:3], v[2:3]
	s_waitcnt vmcnt(0) lgkmcnt(0)
	v_mul_f64 v[76:77], s[12:13], v[2:3]
.LBB150_50:                             ;   in Loop: Header=BB150_32 Depth=1
	s_or_b32 exec_lo, exec_lo, s7
	s_or_b32 s6, s3, vcc_lo
	s_delay_alu instid0(SALU_CYCLE_1) | instskip(NEXT) | instid1(SALU_CYCLE_1)
	s_or_b32 s6, s18, s6
	s_xor_b32 s7, s6, -1
	s_delay_alu instid0(SALU_CYCLE_1)
	s_and_saveexec_b32 s6, s7
	s_cbranch_execz .LBB150_52
; %bb.51:                               ;   in Loop: Header=BB150_32 Depth=1
	v_add_co_u32 v0, vcc_lo, v0, v70
	v_add_co_ci_u32_e32 v1, vcc_lo, v1, v71, vcc_lo
	flat_load_b64 v[0:1], v[0:1]
	s_waitcnt vmcnt(0) lgkmcnt(0)
	v_mul_f64 v[74:75], s[12:13], v[0:1]
.LBB150_52:                             ;   in Loop: Header=BB150_32 Depth=1
	s_or_b32 exec_lo, exec_lo, s6
	v_add3_u32 v2, v85, s21, 4
	v_mov_b32_e32 v78, 0
	v_mov_b32_e32 v79, 0
	s_delay_alu instid0(VALU_DEP_3) | instskip(SKIP_1) | instid1(VALU_DEP_3)
	v_min_i32_e32 v3, s19, v2
	v_cmp_le_i32_e32 vcc_lo, s38, v2
	v_dual_mov_b32 v81, v79 :: v_dual_mov_b32 v80, v78
	s_delay_alu instid0(VALU_DEP_3) | instskip(SKIP_1) | instid1(VALU_DEP_1)
	v_mad_i64_i32 v[0:1], null, v3, s20, 0
	s_or_b32 s7, s4, vcc_lo
	v_lshlrev_b64 v[0:1], 3, v[0:1]
	s_delay_alu instid0(VALU_DEP_1) | instskip(NEXT) | instid1(VALU_DEP_1)
	v_add_co_u32 v0, s6, s10, v0
	v_add_co_ci_u32_e64 v1, s6, s11, v1, s6
	s_or_b32 s6, s18, s7
	s_delay_alu instid0(SALU_CYCLE_1) | instskip(NEXT) | instid1(SALU_CYCLE_1)
	s_xor_b32 s6, s6, -1
	s_and_saveexec_b32 s7, s6
	s_cbranch_execz .LBB150_54
; %bb.53:                               ;   in Loop: Header=BB150_32 Depth=1
	v_add_co_u32 v2, s6, v0, v72
	s_delay_alu instid0(VALU_DEP_1)
	v_add_co_ci_u32_e64 v3, s6, v1, v73, s6
	flat_load_b64 v[2:3], v[2:3]
	s_waitcnt vmcnt(0) lgkmcnt(0)
	v_mul_f64 v[80:81], s[12:13], v[2:3]
.LBB150_54:                             ;   in Loop: Header=BB150_32 Depth=1
	s_or_b32 exec_lo, exec_lo, s7
	s_or_b32 s6, s5, vcc_lo
	s_delay_alu instid0(SALU_CYCLE_1) | instskip(NEXT) | instid1(SALU_CYCLE_1)
	s_or_b32 s6, s18, s6
	s_xor_b32 s7, s6, -1
	s_delay_alu instid0(SALU_CYCLE_1)
	s_and_saveexec_b32 s6, s7
	s_cbranch_execz .LBB150_56
; %bb.55:                               ;   in Loop: Header=BB150_32 Depth=1
	v_add_co_u32 v0, vcc_lo, v0, v72
	v_add_co_ci_u32_e32 v1, vcc_lo, v1, v73, vcc_lo
	flat_load_b64 v[0:1], v[0:1] offset:512
	s_waitcnt vmcnt(0) lgkmcnt(0)
	v_mul_f64 v[78:79], s[12:13], v[0:1]
.LBB150_56:                             ;   in Loop: Header=BB150_32 Depth=1
	s_or_b32 exec_lo, exec_lo, s6
	v_dual_mov_b32 v127, 8 :: v_dual_add_nc_u32 v96, 0x800, v86
	ds_load_2addr_b64 v[0:3], v86 offset1:16
	ds_load_2addr_b64 v[4:7], v86 offset0:32 offset1:48
	ds_load_2addr_b64 v[8:11], v86 offset0:64 offset1:80
	;; [unrolled: 1-line block ×7, first 2 shown]
	ds_load_2addr_b64 v[32:35], v96 offset1:16
	ds_load_2addr_b64 v[36:39], v96 offset0:32 offset1:48
	ds_load_2addr_b64 v[40:43], v96 offset0:64 offset1:80
	;; [unrolled: 1-line block ×7, first 2 shown]
	ds_load_2addr_stride64_b64 v[64:67], v90 offset1:4
	v_dual_mov_b32 v128, 0 :: v_dual_mov_b32 v125, 24
	v_dual_mov_b32 v126, 16 :: v_dual_mov_b32 v123, 40
	;; [unrolled: 1-line block ×5, first 2 shown]
	v_mov_b32_e32 v118, 0x50
	v_mov_b32_e32 v116, 0x60
	;; [unrolled: 1-line block ×21, first 2 shown]
	s_mov_b64 s[6:7], 0
	s_mov_b32 s24, -1
.LBB150_57:                             ;   Parent Loop BB150_32 Depth=1
                                        ; =>  This Inner Loop Header: Depth=2
	scratch_load_b64 v[133:134], v128, off
	s_cmp_eq_u32 s6, 1
	s_waitcnt lgkmcnt(16)
	v_max_f64 v[131:132], v[0:1], v[0:1]
	s_cselect_b32 vcc_lo, -1, 0
	s_mov_b64 s[6:7], 1
	s_waitcnt lgkmcnt(0)
	v_dual_cndmask_b32 v130, v65, v67 :: v_dual_cndmask_b32 v129, v64, v66
	s_and_b32 vcc_lo, exec_lo, s24
	s_mov_b32 s24, 0
	s_delay_alu instid0(VALU_DEP_1) | instskip(NEXT) | instid1(VALU_DEP_1)
	v_max_f64 v[129:130], v[129:130], v[129:130]
	v_min_f64 v[131:132], v[131:132], v[129:130]
	s_waitcnt vmcnt(0)
	s_delay_alu instid0(VALU_DEP_1) | instskip(SKIP_3) | instid1(VALU_DEP_1)
	v_add_f64 v[131:132], v[133:134], v[131:132]
	scratch_load_b64 v[133:134], v127, off
	scratch_store_b64 v128, v[131:132], off
	v_max_f64 v[131:132], v[2:3], v[2:3]
	v_min_f64 v[131:132], v[131:132], v[129:130]
	s_waitcnt vmcnt(0)
	s_delay_alu instid0(VALU_DEP_1) | instskip(SKIP_3) | instid1(VALU_DEP_1)
	v_add_f64 v[131:132], v[131:132], v[133:134]
	scratch_store_b64 v127, v[131:132], off
	scratch_load_b64 v[131:132], v126, off
	v_max_f64 v[127:128], v[4:5], v[4:5]
	v_min_f64 v[127:128], v[127:128], v[129:130]
	s_waitcnt vmcnt(0)
	s_delay_alu instid0(VALU_DEP_1) | instskip(SKIP_3) | instid1(VALU_DEP_1)
	v_add_f64 v[127:128], v[127:128], v[131:132]
	scratch_load_b64 v[131:132], v125, off
	scratch_store_b64 v126, v[127:128], off
	v_max_f64 v[126:127], v[6:7], v[6:7]
	v_min_f64 v[126:127], v[126:127], v[129:130]
	s_waitcnt vmcnt(0)
	s_delay_alu instid0(VALU_DEP_1) | instskip(SKIP_3) | instid1(VALU_DEP_1)
	v_add_f64 v[126:127], v[126:127], v[131:132]
	scratch_store_b64 v125, v[126:127], off
	scratch_load_b64 v[127:128], v124, off
	v_max_f64 v[125:126], v[8:9], v[8:9]
	v_min_f64 v[125:126], v[125:126], v[129:130]
	s_waitcnt vmcnt(0)
	s_delay_alu instid0(VALU_DEP_1) | instskip(SKIP_4) | instid1(VALU_DEP_1)
	v_add_f64 v[125:126], v[125:126], v[127:128]
	v_mov_b32_e32 v128, 0x100
	scratch_store_b64 v124, v[125:126], off
	scratch_load_b64 v[126:127], v123, off
	v_max_f64 v[124:125], v[10:11], v[10:11]
	v_min_f64 v[124:125], v[124:125], v[129:130]
	s_waitcnt vmcnt(0)
	s_delay_alu instid0(VALU_DEP_1) | instskip(SKIP_4) | instid1(VALU_DEP_1)
	v_add_f64 v[124:125], v[124:125], v[126:127]
	v_mov_b32_e32 v127, 0x108
	;; [unrolled: 8-line block ×27, first 2 shown]
	scratch_store_b64 v98, v[99:100], off
	scratch_load_b64 v[100:101], v97, off
	v_max_f64 v[98:99], v[62:63], v[62:63]
	v_min_f64 v[98:99], v[98:99], v[129:130]
	s_waitcnt vmcnt(0)
	s_delay_alu instid0(VALU_DEP_1)
	v_add_f64 v[98:99], v[98:99], v[100:101]
	v_mov_b32_e32 v101, 0x1d8
	v_mov_b32_e32 v100, 0x1e0
	scratch_store_b64 v97, v[98:99], off
	v_mov_b32_e32 v99, 0x1e8
	v_mov_b32_e32 v98, 0x1f0
	;; [unrolled: 1-line block ×3, first 2 shown]
	s_cbranch_vccnz .LBB150_57
; %bb.58:                               ;   in Loop: Header=BB150_32 Depth=1
	ds_load_2addr_b64 v[0:3], v86 offset0:1 offset1:17
	ds_load_2addr_b64 v[4:7], v86 offset0:33 offset1:49
	;; [unrolled: 1-line block ×12, first 2 shown]
	v_dual_mov_b32 v127, 8 :: v_dual_add_nc_u32 v64, 8, v90
	ds_load_2addr_b64 v[48:51], v96 offset0:129 offset1:145
	ds_load_2addr_b64 v[52:55], v96 offset0:161 offset1:177
	;; [unrolled: 1-line block ×4, first 2 shown]
	ds_load_2addr_stride64_b64 v[64:67], v64 offset1:4
	v_dual_mov_b32 v128, 0 :: v_dual_mov_b32 v125, 24
	v_dual_mov_b32 v126, 16 :: v_dual_mov_b32 v123, 40
	v_dual_mov_b32 v124, 32 :: v_dual_mov_b32 v121, 56
	v_dual_mov_b32 v122, 48 :: v_dual_mov_b32 v119, 0x48
	v_dual_mov_b32 v120, 64 :: v_dual_mov_b32 v117, 0x58
	v_mov_b32_e32 v118, 0x50
	v_mov_b32_e32 v116, 0x60
	;; [unrolled: 1-line block ×21, first 2 shown]
	s_mov_b64 s[6:7], 0
	s_mov_b32 s24, -1
.LBB150_59:                             ;   Parent Loop BB150_32 Depth=1
                                        ; =>  This Inner Loop Header: Depth=2
	scratch_load_b64 v[133:134], v128, off
	s_cmp_eq_u32 s6, 1
	s_waitcnt lgkmcnt(16)
	v_max_f64 v[131:132], v[0:1], v[0:1]
	s_cselect_b32 vcc_lo, -1, 0
	s_mov_b64 s[6:7], 1
	s_waitcnt lgkmcnt(0)
	v_dual_cndmask_b32 v130, v65, v67 :: v_dual_cndmask_b32 v129, v64, v66
	s_and_b32 vcc_lo, exec_lo, s24
	s_mov_b32 s24, 0
	s_delay_alu instid0(VALU_DEP_1) | instskip(NEXT) | instid1(VALU_DEP_1)
	v_max_f64 v[129:130], v[129:130], v[129:130]
	v_min_f64 v[131:132], v[131:132], v[129:130]
	s_waitcnt vmcnt(0)
	s_delay_alu instid0(VALU_DEP_1) | instskip(SKIP_3) | instid1(VALU_DEP_1)
	v_add_f64 v[131:132], v[133:134], v[131:132]
	scratch_load_b64 v[133:134], v127, off
	scratch_store_b64 v128, v[131:132], off
	v_max_f64 v[131:132], v[2:3], v[2:3]
	v_min_f64 v[131:132], v[131:132], v[129:130]
	s_waitcnt vmcnt(0)
	s_delay_alu instid0(VALU_DEP_1) | instskip(SKIP_3) | instid1(VALU_DEP_1)
	v_add_f64 v[131:132], v[131:132], v[133:134]
	scratch_store_b64 v127, v[131:132], off
	scratch_load_b64 v[131:132], v126, off
	v_max_f64 v[127:128], v[4:5], v[4:5]
	v_min_f64 v[127:128], v[127:128], v[129:130]
	s_waitcnt vmcnt(0)
	s_delay_alu instid0(VALU_DEP_1) | instskip(SKIP_3) | instid1(VALU_DEP_1)
	v_add_f64 v[127:128], v[127:128], v[131:132]
	scratch_load_b64 v[131:132], v125, off
	scratch_store_b64 v126, v[127:128], off
	v_max_f64 v[126:127], v[6:7], v[6:7]
	v_min_f64 v[126:127], v[126:127], v[129:130]
	s_waitcnt vmcnt(0)
	s_delay_alu instid0(VALU_DEP_1) | instskip(SKIP_3) | instid1(VALU_DEP_1)
	v_add_f64 v[126:127], v[126:127], v[131:132]
	scratch_store_b64 v125, v[126:127], off
	scratch_load_b64 v[127:128], v124, off
	v_max_f64 v[125:126], v[8:9], v[8:9]
	v_min_f64 v[125:126], v[125:126], v[129:130]
	s_waitcnt vmcnt(0)
	s_delay_alu instid0(VALU_DEP_1) | instskip(SKIP_4) | instid1(VALU_DEP_1)
	v_add_f64 v[125:126], v[125:126], v[127:128]
	v_mov_b32_e32 v128, 0x100
	scratch_store_b64 v124, v[125:126], off
	scratch_load_b64 v[126:127], v123, off
	v_max_f64 v[124:125], v[10:11], v[10:11]
	v_min_f64 v[124:125], v[124:125], v[129:130]
	s_waitcnt vmcnt(0)
	s_delay_alu instid0(VALU_DEP_1) | instskip(SKIP_4) | instid1(VALU_DEP_1)
	v_add_f64 v[124:125], v[124:125], v[126:127]
	v_mov_b32_e32 v127, 0x108
	;; [unrolled: 8-line block ×27, first 2 shown]
	scratch_store_b64 v98, v[99:100], off
	scratch_load_b64 v[100:101], v97, off
	v_max_f64 v[98:99], v[62:63], v[62:63]
	v_min_f64 v[98:99], v[98:99], v[129:130]
	s_waitcnt vmcnt(0)
	s_delay_alu instid0(VALU_DEP_1)
	v_add_f64 v[98:99], v[98:99], v[100:101]
	v_mov_b32_e32 v101, 0x1d8
	v_mov_b32_e32 v100, 0x1e0
	scratch_store_b64 v97, v[98:99], off
	v_mov_b32_e32 v99, 0x1e8
	v_mov_b32_e32 v98, 0x1f0
	;; [unrolled: 1-line block ×3, first 2 shown]
	s_cbranch_vccnz .LBB150_59
; %bb.60:                               ;   in Loop: Header=BB150_32 Depth=1
	ds_load_2addr_b64 v[0:3], v86 offset0:2 offset1:18
	ds_load_2addr_b64 v[4:7], v86 offset0:34 offset1:50
	;; [unrolled: 1-line block ×12, first 2 shown]
	v_dual_mov_b32 v127, 8 :: v_dual_add_nc_u32 v64, 16, v90
	ds_load_2addr_b64 v[48:51], v96 offset0:130 offset1:146
	ds_load_2addr_b64 v[52:55], v96 offset0:162 offset1:178
	ds_load_2addr_b64 v[56:59], v96 offset0:194 offset1:210
	ds_load_2addr_b64 v[60:63], v96 offset0:226 offset1:242
	ds_load_2addr_stride64_b64 v[64:67], v64 offset1:4
	v_dual_mov_b32 v128, 0 :: v_dual_mov_b32 v125, 24
	v_dual_mov_b32 v126, 16 :: v_dual_mov_b32 v123, 40
	;; [unrolled: 1-line block ×5, first 2 shown]
	v_mov_b32_e32 v118, 0x50
	v_mov_b32_e32 v116, 0x60
	;; [unrolled: 1-line block ×21, first 2 shown]
	s_mov_b64 s[6:7], 0
	s_mov_b32 s24, -1
.LBB150_61:                             ;   Parent Loop BB150_32 Depth=1
                                        ; =>  This Inner Loop Header: Depth=2
	scratch_load_b64 v[133:134], v128, off
	s_cmp_eq_u32 s6, 1
	s_waitcnt lgkmcnt(16)
	v_max_f64 v[131:132], v[0:1], v[0:1]
	s_cselect_b32 vcc_lo, -1, 0
	s_mov_b64 s[6:7], 1
	s_waitcnt lgkmcnt(0)
	v_dual_cndmask_b32 v130, v65, v67 :: v_dual_cndmask_b32 v129, v64, v66
	s_and_b32 vcc_lo, exec_lo, s24
	s_mov_b32 s24, 0
	s_delay_alu instid0(VALU_DEP_1) | instskip(NEXT) | instid1(VALU_DEP_1)
	v_max_f64 v[129:130], v[129:130], v[129:130]
	v_min_f64 v[131:132], v[131:132], v[129:130]
	s_waitcnt vmcnt(0)
	s_delay_alu instid0(VALU_DEP_1) | instskip(SKIP_3) | instid1(VALU_DEP_1)
	v_add_f64 v[131:132], v[133:134], v[131:132]
	scratch_load_b64 v[133:134], v127, off
	scratch_store_b64 v128, v[131:132], off
	v_max_f64 v[131:132], v[2:3], v[2:3]
	v_min_f64 v[131:132], v[131:132], v[129:130]
	s_waitcnt vmcnt(0)
	s_delay_alu instid0(VALU_DEP_1) | instskip(SKIP_3) | instid1(VALU_DEP_1)
	v_add_f64 v[131:132], v[131:132], v[133:134]
	scratch_store_b64 v127, v[131:132], off
	scratch_load_b64 v[131:132], v126, off
	v_max_f64 v[127:128], v[4:5], v[4:5]
	v_min_f64 v[127:128], v[127:128], v[129:130]
	s_waitcnt vmcnt(0)
	s_delay_alu instid0(VALU_DEP_1) | instskip(SKIP_3) | instid1(VALU_DEP_1)
	v_add_f64 v[127:128], v[127:128], v[131:132]
	scratch_load_b64 v[131:132], v125, off
	scratch_store_b64 v126, v[127:128], off
	v_max_f64 v[126:127], v[6:7], v[6:7]
	v_min_f64 v[126:127], v[126:127], v[129:130]
	s_waitcnt vmcnt(0)
	s_delay_alu instid0(VALU_DEP_1) | instskip(SKIP_3) | instid1(VALU_DEP_1)
	v_add_f64 v[126:127], v[126:127], v[131:132]
	scratch_store_b64 v125, v[126:127], off
	scratch_load_b64 v[127:128], v124, off
	v_max_f64 v[125:126], v[8:9], v[8:9]
	v_min_f64 v[125:126], v[125:126], v[129:130]
	s_waitcnt vmcnt(0)
	s_delay_alu instid0(VALU_DEP_1) | instskip(SKIP_4) | instid1(VALU_DEP_1)
	v_add_f64 v[125:126], v[125:126], v[127:128]
	v_mov_b32_e32 v128, 0x100
	scratch_store_b64 v124, v[125:126], off
	scratch_load_b64 v[126:127], v123, off
	v_max_f64 v[124:125], v[10:11], v[10:11]
	v_min_f64 v[124:125], v[124:125], v[129:130]
	s_waitcnt vmcnt(0)
	s_delay_alu instid0(VALU_DEP_1) | instskip(SKIP_4) | instid1(VALU_DEP_1)
	v_add_f64 v[124:125], v[124:125], v[126:127]
	v_mov_b32_e32 v127, 0x108
	scratch_store_b64 v123, v[124:125], off
	scratch_load_b64 v[125:126], v122, off
	v_max_f64 v[123:124], v[12:13], v[12:13]
	v_min_f64 v[123:124], v[123:124], v[129:130]
	s_waitcnt vmcnt(0)
	s_delay_alu instid0(VALU_DEP_1) | instskip(SKIP_4) | instid1(VALU_DEP_1)
	v_add_f64 v[123:124], v[123:124], v[125:126]
	v_mov_b32_e32 v126, 0x110
	scratch_store_b64 v122, v[123:124], off
	scratch_load_b64 v[124:125], v121, off
	v_max_f64 v[122:123], v[14:15], v[14:15]
	v_min_f64 v[122:123], v[122:123], v[129:130]
	s_waitcnt vmcnt(0)
	s_delay_alu instid0(VALU_DEP_1) | instskip(SKIP_4) | instid1(VALU_DEP_1)
	v_add_f64 v[122:123], v[122:123], v[124:125]
	v_mov_b32_e32 v125, 0x118
	scratch_store_b64 v121, v[122:123], off
	scratch_load_b64 v[123:124], v120, off
	v_max_f64 v[121:122], v[16:17], v[16:17]
	v_min_f64 v[121:122], v[121:122], v[129:130]
	s_waitcnt vmcnt(0)
	s_delay_alu instid0(VALU_DEP_1) | instskip(SKIP_4) | instid1(VALU_DEP_1)
	v_add_f64 v[121:122], v[121:122], v[123:124]
	v_mov_b32_e32 v124, 0x120
	scratch_store_b64 v120, v[121:122], off
	scratch_load_b64 v[122:123], v119, off
	v_max_f64 v[120:121], v[18:19], v[18:19]
	v_min_f64 v[120:121], v[120:121], v[129:130]
	s_waitcnt vmcnt(0)
	s_delay_alu instid0(VALU_DEP_1) | instskip(SKIP_4) | instid1(VALU_DEP_1)
	v_add_f64 v[120:121], v[120:121], v[122:123]
	v_mov_b32_e32 v123, 0x128
	scratch_store_b64 v119, v[120:121], off
	scratch_load_b64 v[121:122], v118, off
	v_max_f64 v[119:120], v[20:21], v[20:21]
	v_min_f64 v[119:120], v[119:120], v[129:130]
	s_waitcnt vmcnt(0)
	s_delay_alu instid0(VALU_DEP_1) | instskip(SKIP_4) | instid1(VALU_DEP_1)
	v_add_f64 v[119:120], v[119:120], v[121:122]
	v_mov_b32_e32 v122, 0x130
	scratch_store_b64 v118, v[119:120], off
	scratch_load_b64 v[120:121], v117, off
	v_max_f64 v[118:119], v[22:23], v[22:23]
	v_min_f64 v[118:119], v[118:119], v[129:130]
	s_waitcnt vmcnt(0)
	s_delay_alu instid0(VALU_DEP_1) | instskip(SKIP_4) | instid1(VALU_DEP_1)
	v_add_f64 v[118:119], v[118:119], v[120:121]
	v_mov_b32_e32 v121, 0x138
	scratch_store_b64 v117, v[118:119], off
	scratch_load_b64 v[119:120], v116, off
	v_max_f64 v[117:118], v[24:25], v[24:25]
	v_min_f64 v[117:118], v[117:118], v[129:130]
	s_waitcnt vmcnt(0)
	s_delay_alu instid0(VALU_DEP_1) | instskip(SKIP_4) | instid1(VALU_DEP_1)
	v_add_f64 v[117:118], v[117:118], v[119:120]
	v_mov_b32_e32 v120, 0x140
	scratch_store_b64 v116, v[117:118], off
	scratch_load_b64 v[118:119], v115, off
	v_max_f64 v[116:117], v[26:27], v[26:27]
	v_min_f64 v[116:117], v[116:117], v[129:130]
	s_waitcnt vmcnt(0)
	s_delay_alu instid0(VALU_DEP_1) | instskip(SKIP_4) | instid1(VALU_DEP_1)
	v_add_f64 v[116:117], v[116:117], v[118:119]
	v_mov_b32_e32 v119, 0x148
	scratch_store_b64 v115, v[116:117], off
	scratch_load_b64 v[117:118], v114, off
	v_max_f64 v[115:116], v[28:29], v[28:29]
	v_min_f64 v[115:116], v[115:116], v[129:130]
	s_waitcnt vmcnt(0)
	s_delay_alu instid0(VALU_DEP_1) | instskip(SKIP_4) | instid1(VALU_DEP_1)
	v_add_f64 v[115:116], v[115:116], v[117:118]
	v_mov_b32_e32 v118, 0x150
	scratch_store_b64 v114, v[115:116], off
	scratch_load_b64 v[116:117], v113, off
	v_max_f64 v[114:115], v[30:31], v[30:31]
	v_min_f64 v[114:115], v[114:115], v[129:130]
	s_waitcnt vmcnt(0)
	s_delay_alu instid0(VALU_DEP_1) | instskip(SKIP_4) | instid1(VALU_DEP_1)
	v_add_f64 v[114:115], v[114:115], v[116:117]
	v_mov_b32_e32 v117, 0x158
	scratch_store_b64 v113, v[114:115], off
	scratch_load_b64 v[115:116], v112, off
	v_max_f64 v[113:114], v[32:33], v[32:33]
	v_min_f64 v[113:114], v[113:114], v[129:130]
	s_waitcnt vmcnt(0)
	s_delay_alu instid0(VALU_DEP_1) | instskip(SKIP_4) | instid1(VALU_DEP_1)
	v_add_f64 v[113:114], v[113:114], v[115:116]
	v_mov_b32_e32 v116, 0x160
	scratch_store_b64 v112, v[113:114], off
	scratch_load_b64 v[114:115], v111, off
	v_max_f64 v[112:113], v[34:35], v[34:35]
	v_min_f64 v[112:113], v[112:113], v[129:130]
	s_waitcnt vmcnt(0)
	s_delay_alu instid0(VALU_DEP_1) | instskip(SKIP_4) | instid1(VALU_DEP_1)
	v_add_f64 v[112:113], v[112:113], v[114:115]
	v_mov_b32_e32 v115, 0x168
	scratch_store_b64 v111, v[112:113], off
	scratch_load_b64 v[113:114], v110, off
	v_max_f64 v[111:112], v[36:37], v[36:37]
	v_min_f64 v[111:112], v[111:112], v[129:130]
	s_waitcnt vmcnt(0)
	s_delay_alu instid0(VALU_DEP_1) | instskip(SKIP_4) | instid1(VALU_DEP_1)
	v_add_f64 v[111:112], v[111:112], v[113:114]
	v_mov_b32_e32 v114, 0x170
	scratch_store_b64 v110, v[111:112], off
	scratch_load_b64 v[112:113], v109, off
	v_max_f64 v[110:111], v[38:39], v[38:39]
	v_min_f64 v[110:111], v[110:111], v[129:130]
	s_waitcnt vmcnt(0)
	s_delay_alu instid0(VALU_DEP_1) | instskip(SKIP_4) | instid1(VALU_DEP_1)
	v_add_f64 v[110:111], v[110:111], v[112:113]
	v_mov_b32_e32 v113, 0x178
	scratch_store_b64 v109, v[110:111], off
	scratch_load_b64 v[111:112], v108, off
	v_max_f64 v[109:110], v[40:41], v[40:41]
	v_min_f64 v[109:110], v[109:110], v[129:130]
	s_waitcnt vmcnt(0)
	s_delay_alu instid0(VALU_DEP_1) | instskip(SKIP_4) | instid1(VALU_DEP_1)
	v_add_f64 v[109:110], v[109:110], v[111:112]
	v_mov_b32_e32 v112, 0x180
	scratch_store_b64 v108, v[109:110], off
	scratch_load_b64 v[110:111], v107, off
	v_max_f64 v[108:109], v[42:43], v[42:43]
	v_min_f64 v[108:109], v[108:109], v[129:130]
	s_waitcnt vmcnt(0)
	s_delay_alu instid0(VALU_DEP_1) | instskip(SKIP_4) | instid1(VALU_DEP_1)
	v_add_f64 v[108:109], v[108:109], v[110:111]
	v_mov_b32_e32 v111, 0x188
	scratch_store_b64 v107, v[108:109], off
	scratch_load_b64 v[109:110], v106, off
	v_max_f64 v[107:108], v[44:45], v[44:45]
	v_min_f64 v[107:108], v[107:108], v[129:130]
	s_waitcnt vmcnt(0)
	s_delay_alu instid0(VALU_DEP_1) | instskip(SKIP_4) | instid1(VALU_DEP_1)
	v_add_f64 v[107:108], v[107:108], v[109:110]
	v_mov_b32_e32 v110, 0x190
	scratch_store_b64 v106, v[107:108], off
	scratch_load_b64 v[108:109], v105, off
	v_max_f64 v[106:107], v[46:47], v[46:47]
	v_min_f64 v[106:107], v[106:107], v[129:130]
	s_waitcnt vmcnt(0)
	s_delay_alu instid0(VALU_DEP_1) | instskip(SKIP_4) | instid1(VALU_DEP_1)
	v_add_f64 v[106:107], v[106:107], v[108:109]
	v_mov_b32_e32 v109, 0x198
	scratch_store_b64 v105, v[106:107], off
	scratch_load_b64 v[107:108], v104, off
	v_max_f64 v[105:106], v[48:49], v[48:49]
	v_min_f64 v[105:106], v[105:106], v[129:130]
	s_waitcnt vmcnt(0)
	s_delay_alu instid0(VALU_DEP_1) | instskip(SKIP_4) | instid1(VALU_DEP_1)
	v_add_f64 v[105:106], v[105:106], v[107:108]
	v_mov_b32_e32 v108, 0x1a0
	scratch_store_b64 v104, v[105:106], off
	scratch_load_b64 v[106:107], v103, off
	v_max_f64 v[104:105], v[50:51], v[50:51]
	v_min_f64 v[104:105], v[104:105], v[129:130]
	s_waitcnt vmcnt(0)
	s_delay_alu instid0(VALU_DEP_1) | instskip(SKIP_4) | instid1(VALU_DEP_1)
	v_add_f64 v[104:105], v[104:105], v[106:107]
	v_mov_b32_e32 v107, 0x1a8
	scratch_store_b64 v103, v[104:105], off
	scratch_load_b64 v[105:106], v102, off
	v_max_f64 v[103:104], v[52:53], v[52:53]
	v_min_f64 v[103:104], v[103:104], v[129:130]
	s_waitcnt vmcnt(0)
	s_delay_alu instid0(VALU_DEP_1) | instskip(SKIP_4) | instid1(VALU_DEP_1)
	v_add_f64 v[103:104], v[103:104], v[105:106]
	v_mov_b32_e32 v106, 0x1b0
	scratch_store_b64 v102, v[103:104], off
	scratch_load_b64 v[104:105], v101, off
	v_max_f64 v[102:103], v[54:55], v[54:55]
	v_min_f64 v[102:103], v[102:103], v[129:130]
	s_waitcnt vmcnt(0)
	s_delay_alu instid0(VALU_DEP_1) | instskip(SKIP_4) | instid1(VALU_DEP_1)
	v_add_f64 v[102:103], v[102:103], v[104:105]
	v_mov_b32_e32 v105, 0x1b8
	scratch_store_b64 v101, v[102:103], off
	scratch_load_b64 v[103:104], v100, off
	v_max_f64 v[101:102], v[56:57], v[56:57]
	v_min_f64 v[101:102], v[101:102], v[129:130]
	s_waitcnt vmcnt(0)
	s_delay_alu instid0(VALU_DEP_1) | instskip(SKIP_4) | instid1(VALU_DEP_1)
	v_add_f64 v[101:102], v[101:102], v[103:104]
	v_mov_b32_e32 v104, 0x1c0
	scratch_store_b64 v100, v[101:102], off
	scratch_load_b64 v[102:103], v99, off
	v_max_f64 v[100:101], v[58:59], v[58:59]
	v_min_f64 v[100:101], v[100:101], v[129:130]
	s_waitcnt vmcnt(0)
	s_delay_alu instid0(VALU_DEP_1) | instskip(SKIP_4) | instid1(VALU_DEP_1)
	v_add_f64 v[100:101], v[100:101], v[102:103]
	v_mov_b32_e32 v103, 0x1c8
	scratch_store_b64 v99, v[100:101], off
	scratch_load_b64 v[101:102], v98, off
	v_max_f64 v[99:100], v[60:61], v[60:61]
	v_min_f64 v[99:100], v[99:100], v[129:130]
	s_waitcnt vmcnt(0)
	s_delay_alu instid0(VALU_DEP_1) | instskip(SKIP_4) | instid1(VALU_DEP_1)
	v_add_f64 v[99:100], v[99:100], v[101:102]
	v_mov_b32_e32 v102, 0x1d0
	scratch_store_b64 v98, v[99:100], off
	scratch_load_b64 v[100:101], v97, off
	v_max_f64 v[98:99], v[62:63], v[62:63]
	v_min_f64 v[98:99], v[98:99], v[129:130]
	s_waitcnt vmcnt(0)
	s_delay_alu instid0(VALU_DEP_1)
	v_add_f64 v[98:99], v[98:99], v[100:101]
	v_mov_b32_e32 v101, 0x1d8
	v_mov_b32_e32 v100, 0x1e0
	scratch_store_b64 v97, v[98:99], off
	v_mov_b32_e32 v99, 0x1e8
	v_mov_b32_e32 v98, 0x1f0
	;; [unrolled: 1-line block ×3, first 2 shown]
	s_cbranch_vccnz .LBB150_61
; %bb.62:                               ;   in Loop: Header=BB150_32 Depth=1
	ds_load_2addr_b64 v[0:3], v86 offset0:3 offset1:19
	ds_load_2addr_b64 v[4:7], v86 offset0:35 offset1:51
	;; [unrolled: 1-line block ×12, first 2 shown]
	v_dual_mov_b32 v127, 0 :: v_dual_add_nc_u32 v64, 24, v90
	ds_load_2addr_b64 v[48:51], v96 offset0:131 offset1:147
	ds_load_2addr_b64 v[52:55], v96 offset0:163 offset1:179
	;; [unrolled: 1-line block ×4, first 2 shown]
	ds_load_2addr_stride64_b64 v[64:67], v64 offset1:4
	v_dual_mov_b32 v126, 8 :: v_dual_mov_b32 v125, 16
	v_dual_mov_b32 v124, 24 :: v_dual_mov_b32 v123, 32
	;; [unrolled: 1-line block ×4, first 2 shown]
	v_mov_b32_e32 v118, 0x48
	v_mov_b32_e32 v117, 0x50
	;; [unrolled: 1-line block ×23, first 2 shown]
	s_mov_b64 s[6:7], 0
	s_mov_b32 s24, -1
.LBB150_63:                             ;   Parent Loop BB150_32 Depth=1
                                        ; =>  This Inner Loop Header: Depth=2
	scratch_load_b64 v[132:133], v127, off
	s_cmp_eq_u32 s6, 1
	s_waitcnt lgkmcnt(16)
	v_max_f64 v[130:131], v[0:1], v[0:1]
	s_cselect_b32 vcc_lo, -1, 0
	s_mov_b64 s[6:7], 1
	s_waitcnt lgkmcnt(0)
	v_dual_cndmask_b32 v129, v65, v67 :: v_dual_cndmask_b32 v128, v64, v66
	s_and_b32 vcc_lo, exec_lo, s24
	s_mov_b32 s24, 0
	s_delay_alu instid0(VALU_DEP_1) | instskip(NEXT) | instid1(VALU_DEP_1)
	v_max_f64 v[128:129], v[128:129], v[128:129]
	v_min_f64 v[130:131], v[130:131], v[128:129]
	s_waitcnt vmcnt(0)
	s_delay_alu instid0(VALU_DEP_1) | instskip(SKIP_3) | instid1(VALU_DEP_1)
	v_add_f64 v[130:131], v[132:133], v[130:131]
	scratch_load_b64 v[132:133], v126, off
	scratch_store_b64 v127, v[130:131], off
	v_max_f64 v[130:131], v[2:3], v[2:3]
	v_min_f64 v[130:131], v[130:131], v[128:129]
	s_waitcnt vmcnt(0)
	s_delay_alu instid0(VALU_DEP_1) | instskip(SKIP_3) | instid1(VALU_DEP_1)
	v_add_f64 v[130:131], v[130:131], v[132:133]
	scratch_store_b64 v126, v[130:131], off
	scratch_load_b64 v[130:131], v125, off
	v_max_f64 v[126:127], v[4:5], v[4:5]
	v_min_f64 v[126:127], v[126:127], v[128:129]
	s_waitcnt vmcnt(0)
	s_delay_alu instid0(VALU_DEP_1) | instskip(SKIP_3) | instid1(VALU_DEP_1)
	v_add_f64 v[126:127], v[126:127], v[130:131]
	scratch_load_b64 v[130:131], v124, off
	scratch_store_b64 v125, v[126:127], off
	v_max_f64 v[125:126], v[6:7], v[6:7]
	v_min_f64 v[125:126], v[125:126], v[128:129]
	s_waitcnt vmcnt(0)
	s_delay_alu instid0(VALU_DEP_1) | instskip(SKIP_3) | instid1(VALU_DEP_1)
	v_add_f64 v[125:126], v[125:126], v[130:131]
	scratch_store_b64 v124, v[125:126], off
	scratch_load_b64 v[126:127], v123, off
	v_max_f64 v[124:125], v[8:9], v[8:9]
	v_min_f64 v[124:125], v[124:125], v[128:129]
	s_waitcnt vmcnt(0)
	s_delay_alu instid0(VALU_DEP_1) | instskip(SKIP_4) | instid1(VALU_DEP_1)
	v_add_f64 v[124:125], v[124:125], v[126:127]
	v_mov_b32_e32 v127, 0x100
	scratch_store_b64 v123, v[124:125], off
	scratch_load_b64 v[125:126], v122, off
	v_max_f64 v[123:124], v[10:11], v[10:11]
	v_min_f64 v[123:124], v[123:124], v[128:129]
	s_waitcnt vmcnt(0)
	s_delay_alu instid0(VALU_DEP_1) | instskip(SKIP_4) | instid1(VALU_DEP_1)
	v_add_f64 v[123:124], v[123:124], v[125:126]
	v_mov_b32_e32 v126, 0x108
	;; [unrolled: 8-line block ×27, first 2 shown]
	scratch_store_b64 v97, v[98:99], off
	scratch_load_b64 v[99:100], v96, off
	v_max_f64 v[97:98], v[62:63], v[62:63]
	v_min_f64 v[97:98], v[97:98], v[128:129]
	s_waitcnt vmcnt(0)
	s_delay_alu instid0(VALU_DEP_1)
	v_add_f64 v[97:98], v[97:98], v[99:100]
	v_mov_b32_e32 v100, 0x1d8
	v_mov_b32_e32 v99, 0x1e0
	scratch_store_b64 v96, v[97:98], off
	v_mov_b32_e32 v98, 0x1e8
	v_mov_b32_e32 v97, 0x1f0
	;; [unrolled: 1-line block ×3, first 2 shown]
	s_cbranch_vccnz .LBB150_63
; %bb.64:                               ;   in Loop: Header=BB150_32 Depth=1
	s_add_i32 s23, s23, 8
	s_add_i32 s21, s21, 8
	s_cmp_ge_i32 s23, s22
	ds_store_2addr_stride64_b64 v91, v[76:77], v[74:75] offset1:4
	ds_store_2addr_stride64_b64 v92, v[80:81], v[78:79] offset1:4
	s_waitcnt lgkmcnt(0)
	s_waitcnt_vscnt null, 0x0
	s_barrier
	buffer_gl0_inv
	s_cbranch_scc0 .LBB150_32
.LBB150_65:
	v_dual_mov_b32 v71, 8 :: v_dual_add_nc_u32 v28, 0x1000, v86
	v_dual_mov_b32 v75, 40 :: v_dual_add_nc_u32 v60, 0x1800, v86
	v_dual_mov_b32 v73, 24 :: v_dual_add_nc_u32 v68, 0x1000, v86
	ds_load_2addr_b64 v[0:3], v28 offset1:16
	ds_load_2addr_b64 v[4:7], v28 offset0:32 offset1:48
	ds_load_2addr_b64 v[8:11], v28 offset0:64 offset1:80
	;; [unrolled: 1-line block ×7, first 2 shown]
	ds_load_2addr_b64 v[32:35], v60 offset1:16
	ds_load_2addr_b64 v[36:39], v60 offset0:32 offset1:48
	ds_load_2addr_b64 v[40:43], v60 offset0:64 offset1:80
	;; [unrolled: 1-line block ×7, first 2 shown]
	ds_load_2addr_stride64_b64 v[64:67], v88 offset0:24 offset1:28
	v_dual_mov_b32 v70, 0 :: v_dual_add_nc_u32 v69, 0x3000, v88
	v_dual_mov_b32 v72, 16 :: v_dual_mov_b32 v77, 56
	v_dual_mov_b32 v74, 32 :: v_dual_mov_b32 v79, 0x48
	;; [unrolled: 1-line block ×4, first 2 shown]
	v_mov_b32_e32 v80, 0x50
	v_mov_b32_e32 v84, 0x60
	;; [unrolled: 1-line block ×20, first 2 shown]
	s_mov_b64 s[2:3], 0
	s_mov_b32 s4, -1
.LBB150_66:                             ; =>This Inner Loop Header: Depth=1
	scratch_load_b64 v[104:105], v70, off
	scratch_load_b64 v[106:107], v71, off
	scratch_load_b64 v[108:109], v72, off
	scratch_load_b64 v[110:111], v73, off
	scratch_load_b64 v[112:113], v74, off
	scratch_load_b64 v[114:115], v75, off
	scratch_load_b64 v[116:117], v76, off
	scratch_load_b64 v[118:119], v77, off
	scratch_load_b64 v[120:121], v78, off
	scratch_load_b64 v[122:123], v79, off
	scratch_load_b64 v[124:125], v80, off
	scratch_load_b64 v[126:127], v81, off
	scratch_load_b64 v[128:129], v84, off
	scratch_load_b64 v[130:131], v85, off
	scratch_load_b64 v[132:133], v86, off
	scratch_load_b64 v[134:135], v87, off
	scratch_load_b64 v[136:137], v88, off
	scratch_load_b64 v[138:139], v89, off
	scratch_load_b64 v[140:141], v90, off
	scratch_load_b64 v[142:143], v91, off
	scratch_load_b64 v[144:145], v92, off
	scratch_load_b64 v[146:147], v93, off
	scratch_load_b64 v[148:149], v94, off
	scratch_load_b64 v[150:151], v95, off
	scratch_load_b64 v[152:153], v96, off
	scratch_load_b64 v[154:155], v97, off
	scratch_load_b64 v[156:157], v98, off
	scratch_load_b64 v[158:159], v99, off
	scratch_load_b64 v[160:161], v100, off
	scratch_load_b64 v[162:163], v101, off
	scratch_load_b64 v[164:165], v102, off
	scratch_load_b64 v[166:167], v103, off
	s_cmp_eq_u32 s2, 1
	s_waitcnt lgkmcnt(16)
	v_max_f64 v[170:171], v[0:1], v[0:1]
	s_cselect_b32 vcc_lo, -1, 0
	v_max_f64 v[172:173], v[2:3], v[2:3]
	s_waitcnt lgkmcnt(0)
	v_dual_cndmask_b32 v169, v65, v67 :: v_dual_cndmask_b32 v168, v64, v66
	v_max_f64 v[174:175], v[4:5], v[4:5]
	v_max_f64 v[176:177], v[6:7], v[6:7]
	;; [unrolled: 1-line block ×31, first 2 shown]
	s_mov_b64 s[2:3], 1
	s_and_b32 vcc_lo, exec_lo, s4
	s_mov_b32 s4, 0
	v_min_f64 v[170:171], v[170:171], v[168:169]
	v_min_f64 v[172:173], v[172:173], v[168:169]
	;; [unrolled: 1-line block ×32, first 2 shown]
	s_waitcnt vmcnt(31)
	v_add_f64 v[104:105], v[104:105], v[170:171]
	s_waitcnt vmcnt(30)
	v_add_f64 v[106:107], v[172:173], v[106:107]
	;; [unrolled: 2-line block ×32, first 2 shown]
	scratch_store_b64 v70, v[104:105], off
	scratch_store_b64 v71, v[106:107], off
	;; [unrolled: 1-line block ×32, first 2 shown]
	v_mov_b32_e32 v70, 0x100
	v_mov_b32_e32 v71, 0x108
	;; [unrolled: 1-line block ×32, first 2 shown]
	s_cbranch_vccnz .LBB150_66
; %bb.67:
	v_dual_mov_b32 v71, 8 :: v_dual_add_nc_u32 v60, 0x800, v68
	ds_load_2addr_b64 v[0:3], v68 offset0:1 offset1:17
	ds_load_2addr_b64 v[4:7], v68 offset0:33 offset1:49
	;; [unrolled: 1-line block ×12, first 2 shown]
	v_dual_mov_b32 v73, 24 :: v_dual_add_nc_u32 v64, 8, v69
	ds_load_2addr_b64 v[48:51], v60 offset0:129 offset1:145
	ds_load_2addr_b64 v[52:55], v60 offset0:161 offset1:177
	;; [unrolled: 1-line block ×4, first 2 shown]
	ds_load_2addr_stride64_b64 v[64:67], v64 offset1:4
	v_dual_mov_b32 v70, 0 :: v_dual_mov_b32 v75, 40
	v_dual_mov_b32 v72, 16 :: v_dual_mov_b32 v77, 56
	;; [unrolled: 1-line block ×5, first 2 shown]
	v_mov_b32_e32 v80, 0x50
	v_mov_b32_e32 v84, 0x60
	;; [unrolled: 1-line block ×20, first 2 shown]
	s_mov_b64 s[2:3], 0
	s_mov_b32 s4, -1
.LBB150_68:                             ; =>This Inner Loop Header: Depth=1
	scratch_load_b64 v[104:105], v70, off
	scratch_load_b64 v[106:107], v71, off
	;; [unrolled: 1-line block ×32, first 2 shown]
	s_cmp_eq_u32 s2, 1
	s_waitcnt lgkmcnt(16)
	v_max_f64 v[170:171], v[0:1], v[0:1]
	s_cselect_b32 vcc_lo, -1, 0
	v_max_f64 v[172:173], v[2:3], v[2:3]
	s_waitcnt lgkmcnt(0)
	v_dual_cndmask_b32 v169, v65, v67 :: v_dual_cndmask_b32 v168, v64, v66
	v_max_f64 v[174:175], v[4:5], v[4:5]
	v_max_f64 v[176:177], v[6:7], v[6:7]
	;; [unrolled: 1-line block ×31, first 2 shown]
	s_mov_b64 s[2:3], 1
	s_and_b32 vcc_lo, exec_lo, s4
	s_mov_b32 s4, 0
	v_min_f64 v[170:171], v[170:171], v[168:169]
	v_min_f64 v[172:173], v[172:173], v[168:169]
	;; [unrolled: 1-line block ×32, first 2 shown]
	s_waitcnt vmcnt(31)
	v_add_f64 v[104:105], v[104:105], v[170:171]
	s_waitcnt vmcnt(30)
	v_add_f64 v[106:107], v[172:173], v[106:107]
	s_waitcnt vmcnt(29)
	v_add_f64 v[108:109], v[174:175], v[108:109]
	s_waitcnt vmcnt(28)
	v_add_f64 v[110:111], v[176:177], v[110:111]
	s_waitcnt vmcnt(27)
	v_add_f64 v[112:113], v[178:179], v[112:113]
	s_waitcnt vmcnt(26)
	v_add_f64 v[114:115], v[180:181], v[114:115]
	s_waitcnt vmcnt(25)
	v_add_f64 v[116:117], v[182:183], v[116:117]
	s_waitcnt vmcnt(24)
	v_add_f64 v[118:119], v[184:185], v[118:119]
	s_waitcnt vmcnt(23)
	v_add_f64 v[120:121], v[186:187], v[120:121]
	s_waitcnt vmcnt(22)
	v_add_f64 v[122:123], v[188:189], v[122:123]
	s_waitcnt vmcnt(21)
	v_add_f64 v[124:125], v[190:191], v[124:125]
	s_waitcnt vmcnt(20)
	v_add_f64 v[126:127], v[192:193], v[126:127]
	s_waitcnt vmcnt(19)
	v_add_f64 v[128:129], v[194:195], v[128:129]
	s_waitcnt vmcnt(18)
	v_add_f64 v[130:131], v[196:197], v[130:131]
	s_waitcnt vmcnt(17)
	v_add_f64 v[132:133], v[198:199], v[132:133]
	s_waitcnt vmcnt(16)
	v_add_f64 v[134:135], v[200:201], v[134:135]
	s_waitcnt vmcnt(15)
	v_add_f64 v[136:137], v[202:203], v[136:137]
	s_waitcnt vmcnt(14)
	v_add_f64 v[138:139], v[204:205], v[138:139]
	s_waitcnt vmcnt(13)
	v_add_f64 v[140:141], v[206:207], v[140:141]
	s_waitcnt vmcnt(12)
	v_add_f64 v[142:143], v[208:209], v[142:143]
	s_waitcnt vmcnt(11)
	v_add_f64 v[144:145], v[210:211], v[144:145]
	s_waitcnt vmcnt(10)
	v_add_f64 v[146:147], v[212:213], v[146:147]
	s_waitcnt vmcnt(9)
	v_add_f64 v[148:149], v[214:215], v[148:149]
	s_waitcnt vmcnt(8)
	v_add_f64 v[150:151], v[216:217], v[150:151]
	s_waitcnt vmcnt(7)
	v_add_f64 v[152:153], v[218:219], v[152:153]
	s_waitcnt vmcnt(6)
	v_add_f64 v[154:155], v[220:221], v[154:155]
	s_waitcnt vmcnt(5)
	v_add_f64 v[156:157], v[222:223], v[156:157]
	s_waitcnt vmcnt(4)
	v_add_f64 v[158:159], v[224:225], v[158:159]
	s_waitcnt vmcnt(3)
	v_add_f64 v[160:161], v[226:227], v[160:161]
	s_waitcnt vmcnt(2)
	v_add_f64 v[162:163], v[228:229], v[162:163]
	s_waitcnt vmcnt(1)
	v_add_f64 v[164:165], v[230:231], v[164:165]
	s_waitcnt vmcnt(0)
	v_add_f64 v[166:167], v[168:169], v[166:167]
	scratch_store_b64 v70, v[104:105], off
	scratch_store_b64 v71, v[106:107], off
	;; [unrolled: 1-line block ×32, first 2 shown]
	v_mov_b32_e32 v70, 0x100
	v_mov_b32_e32 v71, 0x108
	;; [unrolled: 1-line block ×32, first 2 shown]
	s_cbranch_vccnz .LBB150_68
; %bb.69:
	v_dual_mov_b32 v71, 8 :: v_dual_add_nc_u32 v60, 0x800, v68
	ds_load_2addr_b64 v[0:3], v68 offset0:2 offset1:18
	ds_load_2addr_b64 v[4:7], v68 offset0:34 offset1:50
	;; [unrolled: 1-line block ×12, first 2 shown]
	v_dual_mov_b32 v73, 24 :: v_dual_add_nc_u32 v64, 16, v69
	ds_load_2addr_b64 v[48:51], v60 offset0:130 offset1:146
	ds_load_2addr_b64 v[52:55], v60 offset0:162 offset1:178
	;; [unrolled: 1-line block ×4, first 2 shown]
	ds_load_2addr_stride64_b64 v[64:67], v64 offset1:4
	v_dual_mov_b32 v70, 0 :: v_dual_mov_b32 v75, 40
	v_dual_mov_b32 v72, 16 :: v_dual_mov_b32 v77, 56
	;; [unrolled: 1-line block ×5, first 2 shown]
	v_mov_b32_e32 v80, 0x50
	v_mov_b32_e32 v84, 0x60
	;; [unrolled: 1-line block ×20, first 2 shown]
	s_mov_b64 s[2:3], 0
	s_mov_b32 s4, -1
.LBB150_70:                             ; =>This Inner Loop Header: Depth=1
	scratch_load_b64 v[104:105], v70, off
	scratch_load_b64 v[106:107], v71, off
	;; [unrolled: 1-line block ×32, first 2 shown]
	s_cmp_eq_u32 s2, 1
	s_waitcnt lgkmcnt(16)
	v_max_f64 v[170:171], v[0:1], v[0:1]
	s_cselect_b32 vcc_lo, -1, 0
	v_max_f64 v[172:173], v[2:3], v[2:3]
	s_waitcnt lgkmcnt(0)
	v_dual_cndmask_b32 v169, v65, v67 :: v_dual_cndmask_b32 v168, v64, v66
	v_max_f64 v[174:175], v[4:5], v[4:5]
	v_max_f64 v[176:177], v[6:7], v[6:7]
	;; [unrolled: 1-line block ×31, first 2 shown]
	s_mov_b64 s[2:3], 1
	s_and_b32 vcc_lo, exec_lo, s4
	s_mov_b32 s4, 0
	v_min_f64 v[170:171], v[170:171], v[168:169]
	v_min_f64 v[172:173], v[172:173], v[168:169]
	;; [unrolled: 1-line block ×32, first 2 shown]
	s_waitcnt vmcnt(31)
	v_add_f64 v[104:105], v[104:105], v[170:171]
	s_waitcnt vmcnt(30)
	v_add_f64 v[106:107], v[172:173], v[106:107]
	;; [unrolled: 2-line block ×32, first 2 shown]
	scratch_store_b64 v70, v[104:105], off
	scratch_store_b64 v71, v[106:107], off
	;; [unrolled: 1-line block ×32, first 2 shown]
	v_mov_b32_e32 v70, 0x100
	v_mov_b32_e32 v71, 0x108
	;; [unrolled: 1-line block ×32, first 2 shown]
	s_cbranch_vccnz .LBB150_70
; %bb.71:
	v_add_nc_u32_e32 v60, 0x800, v68
	ds_load_2addr_b64 v[0:3], v68 offset0:3 offset1:19
	ds_load_2addr_b64 v[4:7], v68 offset0:35 offset1:51
	;; [unrolled: 1-line block ×4, first 2 shown]
	v_dual_mov_b32 v71, 24 :: v_dual_add_nc_u32 v64, 24, v69
	v_mov_b32_e32 v69, 8
	ds_load_2addr_b64 v[16:19], v68 offset0:131 offset1:147
	ds_load_2addr_b64 v[20:23], v68 offset0:163 offset1:179
	;; [unrolled: 1-line block ×12, first 2 shown]
	ds_load_2addr_stride64_b64 v[64:67], v64 offset1:4
	v_dual_mov_b32 v68, 0 :: v_dual_mov_b32 v73, 40
	v_dual_mov_b32 v70, 16 :: v_dual_mov_b32 v75, 56
	;; [unrolled: 1-line block ×5, first 2 shown]
	v_mov_b32_e32 v78, 0x50
	v_mov_b32_e32 v80, 0x60
	;; [unrolled: 1-line block ×20, first 2 shown]
	s_mov_b64 s[2:3], 0
	s_mov_b32 s4, -1
.LBB150_72:                             ; =>This Inner Loop Header: Depth=1
	scratch_load_b64 v[102:103], v68, off
	scratch_load_b64 v[104:105], v69, off
	;; [unrolled: 1-line block ×32, first 2 shown]
	s_cmp_eq_u32 s2, 1
	s_waitcnt lgkmcnt(16)
	v_max_f64 v[168:169], v[0:1], v[0:1]
	s_cselect_b32 vcc_lo, -1, 0
	v_max_f64 v[170:171], v[2:3], v[2:3]
	s_waitcnt lgkmcnt(0)
	v_dual_cndmask_b32 v167, v65, v67 :: v_dual_cndmask_b32 v166, v64, v66
	v_max_f64 v[172:173], v[4:5], v[4:5]
	v_max_f64 v[174:175], v[6:7], v[6:7]
	;; [unrolled: 1-line block ×31, first 2 shown]
	s_mov_b64 s[2:3], 1
	s_and_b32 vcc_lo, exec_lo, s4
	s_mov_b32 s4, 0
	v_min_f64 v[168:169], v[168:169], v[166:167]
	v_min_f64 v[170:171], v[170:171], v[166:167]
	v_min_f64 v[172:173], v[172:173], v[166:167]
	v_min_f64 v[174:175], v[174:175], v[166:167]
	v_min_f64 v[176:177], v[176:177], v[166:167]
	v_min_f64 v[178:179], v[178:179], v[166:167]
	v_min_f64 v[180:181], v[180:181], v[166:167]
	v_min_f64 v[182:183], v[182:183], v[166:167]
	v_min_f64 v[184:185], v[184:185], v[166:167]
	v_min_f64 v[186:187], v[186:187], v[166:167]
	v_min_f64 v[188:189], v[188:189], v[166:167]
	v_min_f64 v[190:191], v[190:191], v[166:167]
	v_min_f64 v[192:193], v[192:193], v[166:167]
	v_min_f64 v[194:195], v[194:195], v[166:167]
	v_min_f64 v[196:197], v[196:197], v[166:167]
	v_min_f64 v[198:199], v[198:199], v[166:167]
	v_min_f64 v[200:201], v[200:201], v[166:167]
	v_min_f64 v[202:203], v[202:203], v[166:167]
	v_min_f64 v[204:205], v[204:205], v[166:167]
	v_min_f64 v[206:207], v[206:207], v[166:167]
	v_min_f64 v[208:209], v[208:209], v[166:167]
	v_min_f64 v[210:211], v[210:211], v[166:167]
	v_min_f64 v[212:213], v[212:213], v[166:167]
	v_min_f64 v[214:215], v[214:215], v[166:167]
	v_min_f64 v[216:217], v[216:217], v[166:167]
	v_min_f64 v[218:219], v[218:219], v[166:167]
	v_min_f64 v[220:221], v[220:221], v[166:167]
	v_min_f64 v[222:223], v[222:223], v[166:167]
	v_min_f64 v[224:225], v[224:225], v[166:167]
	v_min_f64 v[226:227], v[226:227], v[166:167]
	v_min_f64 v[228:229], v[228:229], v[166:167]
	v_min_f64 v[166:167], v[230:231], v[166:167]
	s_waitcnt vmcnt(31)
	v_add_f64 v[102:103], v[102:103], v[168:169]
	s_waitcnt vmcnt(30)
	v_add_f64 v[104:105], v[170:171], v[104:105]
	;; [unrolled: 2-line block ×32, first 2 shown]
	scratch_store_b64 v68, v[102:103], off
	scratch_store_b64 v69, v[104:105], off
	;; [unrolled: 1-line block ×32, first 2 shown]
	v_mov_b32_e32 v68, 0x100
	v_mov_b32_e32 v69, 0x108
	;; [unrolled: 1-line block ×32, first 2 shown]
	s_cbranch_vccnz .LBB150_72
; %bb.73:
	s_clause 0x2
	s_load_b32 s39, s[0:1], 0x58
	s_load_b32 s38, s[0:1], 0x70
	s_load_b64 s[2:3], s[0:1], 0x78
	v_add_nc_u32_e32 v71, s15, v83
	v_add_nc_u32_e32 v0, s14, v82
	v_cndmask_b32_e64 v70, 0, 1, s42
	s_delay_alu instid0(VALU_DEP_3) | instskip(NEXT) | instid1(VALU_DEP_3)
	v_cmp_gt_i32_e64 s11, s37, v71
	v_cmp_gt_i32_e64 s0, s36, v0
	s_waitcnt lgkmcnt(0)
	v_mad_i64_i32 v[1:2], null, v71, s39, 0
	v_mad_i64_i32 v[3:4], null, v71, s38, 0
	s_lshl_b64 s[2:3], s[2:3], 3
	s_delay_alu instid0(SALU_CYCLE_1) | instskip(SKIP_1) | instid1(VALU_DEP_2)
	s_add_u32 s43, s8, s2
	s_addc_u32 s44, s9, s3
	v_lshlrev_b64 v[5:6], 3, v[1:2]
	v_ashrrev_i32_e32 v1, 31, v0
	s_delay_alu instid0(VALU_DEP_3) | instskip(SKIP_1) | instid1(VALU_DEP_3)
	v_lshlrev_b64 v[2:3], 3, v[3:4]
	s_and_b32 s1, s11, s0
	v_add_co_u32 v68, vcc_lo, s40, v5
	s_delay_alu instid0(VALU_DEP_4) | instskip(NEXT) | instid1(VALU_DEP_3)
	v_add_co_ci_u32_e32 v69, vcc_lo, s41, v6, vcc_lo
	v_add_co_u32 v72, vcc_lo, s43, v2
	s_delay_alu instid0(VALU_DEP_4) | instskip(SKIP_1) | instid1(SALU_CYCLE_1)
	v_add_co_ci_u32_e32 v73, vcc_lo, s44, v3, vcc_lo
	s_and_saveexec_b32 s2, s1
	s_xor_b32 s1, exec_lo, s2
	s_cbranch_execz .LBB150_78
; %bb.74:
	scratch_load_b64 v[2:3], off, off
	v_lshlrev_b64 v[4:5], 3, v[0:1]
	s_and_not1_b32 vcc_lo, exec_lo, s42
	s_cbranch_vccnz .LBB150_76
; %bb.75:
	s_delay_alu instid0(VALU_DEP_1) | instskip(NEXT) | instid1(VALU_DEP_2)
	v_add_co_u32 v6, vcc_lo, v68, v4
	v_add_co_ci_u32_e32 v7, vcc_lo, v69, v5, vcc_lo
	flat_load_b64 v[6:7], v[6:7]
	s_waitcnt vmcnt(0) lgkmcnt(0)
	v_mul_f64 v[6:7], s[34:35], v[6:7]
	s_branch .LBB150_77
.LBB150_76:
	v_mov_b32_e32 v6, 0
	v_mov_b32_e32 v7, 0
.LBB150_77:
	s_waitcnt vmcnt(0)
	s_delay_alu instid0(VALU_DEP_1)
	v_add_f64 v[2:3], v[2:3], v[6:7]
	v_add_co_u32 v4, vcc_lo, v72, v4
	v_add_co_ci_u32_e32 v5, vcc_lo, v73, v5, vcc_lo
	global_store_b64 v[4:5], v[2:3], off
.LBB150_78:
	s_or_b32 exec_lo, exec_lo, s1
	v_add_nc_u32_e32 v2, 4, v0
	s_delay_alu instid0(VALU_DEP_1) | instskip(SKIP_1) | instid1(VALU_DEP_2)
	v_cmp_gt_i32_e64 s1, s36, v2
	v_ashrrev_i32_e32 v3, 31, v2
	s_and_b32 s3, s11, s1
	s_delay_alu instid0(SALU_CYCLE_1)
	s_and_saveexec_b32 s2, s3
	s_cbranch_execz .LBB150_83
; %bb.79:
	scratch_load_b64 v[4:5], off, off offset:8
	v_lshlrev_b64 v[6:7], 3, v[2:3]
	s_and_not1_b32 vcc_lo, exec_lo, s42
	s_cbranch_vccnz .LBB150_81
; %bb.80:
	s_delay_alu instid0(VALU_DEP_1) | instskip(NEXT) | instid1(VALU_DEP_2)
	v_add_co_u32 v8, vcc_lo, v68, v6
	v_add_co_ci_u32_e32 v9, vcc_lo, v69, v7, vcc_lo
	flat_load_b64 v[8:9], v[8:9]
	s_waitcnt vmcnt(0) lgkmcnt(0)
	v_mul_f64 v[8:9], s[34:35], v[8:9]
	s_branch .LBB150_82
.LBB150_81:
	v_mov_b32_e32 v8, 0
	v_mov_b32_e32 v9, 0
.LBB150_82:
	s_waitcnt vmcnt(0)
	s_delay_alu instid0(VALU_DEP_1)
	v_add_f64 v[4:5], v[4:5], v[8:9]
	v_add_co_u32 v6, vcc_lo, v72, v6
	v_add_co_ci_u32_e32 v7, vcc_lo, v73, v7, vcc_lo
	global_store_b64 v[6:7], v[4:5], off
.LBB150_83:
	s_or_b32 exec_lo, exec_lo, s2
	v_add_nc_u32_e32 v4, 8, v0
	s_delay_alu instid0(VALU_DEP_1) | instskip(SKIP_1) | instid1(VALU_DEP_2)
	v_cmp_gt_i32_e64 s2, s36, v4
	v_ashrrev_i32_e32 v5, 31, v4
	s_and_b32 s4, s11, s2
	s_delay_alu instid0(SALU_CYCLE_1)
	s_and_saveexec_b32 s3, s4
	s_cbranch_execz .LBB150_88
; %bb.84:
	scratch_load_b64 v[6:7], off, off offset:16
	v_lshlrev_b64 v[8:9], 3, v[4:5]
	s_and_not1_b32 vcc_lo, exec_lo, s42
	s_cbranch_vccnz .LBB150_86
; %bb.85:
	s_delay_alu instid0(VALU_DEP_1) | instskip(NEXT) | instid1(VALU_DEP_2)
	v_add_co_u32 v10, vcc_lo, v68, v8
	v_add_co_ci_u32_e32 v11, vcc_lo, v69, v9, vcc_lo
	flat_load_b64 v[10:11], v[10:11]
	s_waitcnt vmcnt(0) lgkmcnt(0)
	v_mul_f64 v[10:11], s[34:35], v[10:11]
	s_branch .LBB150_87
.LBB150_86:
	v_mov_b32_e32 v10, 0
	v_mov_b32_e32 v11, 0
.LBB150_87:
	s_waitcnt vmcnt(0)
	s_delay_alu instid0(VALU_DEP_1)
	v_add_f64 v[6:7], v[6:7], v[10:11]
	v_add_co_u32 v8, vcc_lo, v72, v8
	v_add_co_ci_u32_e32 v9, vcc_lo, v73, v9, vcc_lo
	global_store_b64 v[8:9], v[6:7], off
.LBB150_88:
	;; [unrolled: 33-line block ×31, first 2 shown]
	s_or_b32 exec_lo, exec_lo, s11
	v_add_nc_u32_e32 v68, 64, v71
	s_delay_alu instid0(VALU_DEP_1) | instskip(SKIP_2) | instid1(VALU_DEP_3)
	v_mad_i64_i32 v[64:65], null, v68, s39, 0
	v_mad_i64_i32 v[66:67], null, v68, s38, 0
	v_cmp_gt_i32_e64 s11, s37, v68
	v_lshlrev_b64 v[64:65], 3, v[64:65]
	s_delay_alu instid0(VALU_DEP_2) | instskip(NEXT) | instid1(VALU_DEP_3)
	s_and_b32 s0, s11, s0
	v_lshlrev_b64 v[66:67], 3, v[66:67]
	s_delay_alu instid0(VALU_DEP_2) | instskip(NEXT) | instid1(VALU_DEP_3)
	v_add_co_u32 v71, vcc_lo, s40, v64
	v_add_co_ci_u32_e32 v72, vcc_lo, s41, v65, vcc_lo
	s_delay_alu instid0(VALU_DEP_3) | instskip(NEXT) | instid1(VALU_DEP_4)
	v_add_co_u32 v68, vcc_lo, s43, v66
	v_add_co_ci_u32_e32 v69, vcc_lo, s44, v67, vcc_lo
	s_and_saveexec_b32 s36, s0
	s_delay_alu instid0(SALU_CYCLE_1)
	s_xor_b32 s0, exec_lo, s36
	s_cbranch_execnz .LBB150_266
; %bb.234:
	s_or_b32 exec_lo, exec_lo, s0
	s_and_b32 s1, s11, s1
	s_delay_alu instid0(SALU_CYCLE_1)
	s_and_saveexec_b32 s0, s1
	s_cbranch_execnz .LBB150_270
.LBB150_235:
	s_or_b32 exec_lo, exec_lo, s0
	s_and_b32 s1, s11, s2
	s_delay_alu instid0(SALU_CYCLE_1)
	s_and_saveexec_b32 s0, s1
	s_cbranch_execnz .LBB150_274
.LBB150_236:
	s_or_b32 exec_lo, exec_lo, s0
	s_and_b32 s1, s11, s3
	s_delay_alu instid0(SALU_CYCLE_1)
	s_and_saveexec_b32 s0, s1
	s_cbranch_execnz .LBB150_278
.LBB150_237:
	s_or_b32 exec_lo, exec_lo, s0
	s_and_b32 s1, s11, s4
	s_delay_alu instid0(SALU_CYCLE_1)
	s_and_saveexec_b32 s0, s1
	s_cbranch_execnz .LBB150_282
.LBB150_238:
	s_or_b32 exec_lo, exec_lo, s0
	s_and_b32 s1, s11, s5
	s_delay_alu instid0(SALU_CYCLE_1)
	s_and_saveexec_b32 s0, s1
	s_cbranch_execnz .LBB150_286
.LBB150_239:
	s_or_b32 exec_lo, exec_lo, s0
	s_and_b32 s1, s11, s6
	s_delay_alu instid0(SALU_CYCLE_1)
	s_and_saveexec_b32 s0, s1
	s_cbranch_execnz .LBB150_290
.LBB150_240:
	s_or_b32 exec_lo, exec_lo, s0
	s_and_b32 s1, s11, s7
	s_delay_alu instid0(SALU_CYCLE_1)
	s_and_saveexec_b32 s0, s1
	s_cbranch_execnz .LBB150_294
.LBB150_241:
	s_or_b32 exec_lo, exec_lo, s0
	s_and_b32 s1, s11, s8
	s_delay_alu instid0(SALU_CYCLE_1)
	s_and_saveexec_b32 s0, s1
	s_cbranch_execnz .LBB150_298
.LBB150_242:
	s_or_b32 exec_lo, exec_lo, s0
	s_and_b32 s1, s11, s9
	s_delay_alu instid0(SALU_CYCLE_1)
	s_and_saveexec_b32 s0, s1
	s_cbranch_execnz .LBB150_302
.LBB150_243:
	s_or_b32 exec_lo, exec_lo, s0
	s_and_b32 s1, s11, s10
	s_delay_alu instid0(SALU_CYCLE_1)
	s_and_saveexec_b32 s0, s1
	s_cbranch_execnz .LBB150_306
.LBB150_244:
	s_or_b32 exec_lo, exec_lo, s0
	s_and_b32 s1, s11, s12
	s_delay_alu instid0(SALU_CYCLE_1)
	s_and_saveexec_b32 s0, s1
	s_cbranch_execnz .LBB150_310
.LBB150_245:
	s_or_b32 exec_lo, exec_lo, s0
	s_and_b32 s1, s11, s13
	s_delay_alu instid0(SALU_CYCLE_1)
	s_and_saveexec_b32 s0, s1
	s_cbranch_execnz .LBB150_314
.LBB150_246:
	s_or_b32 exec_lo, exec_lo, s0
	s_and_b32 s1, s11, s14
	s_delay_alu instid0(SALU_CYCLE_1)
	s_and_saveexec_b32 s0, s1
	s_cbranch_execnz .LBB150_318
.LBB150_247:
	s_or_b32 exec_lo, exec_lo, s0
	s_and_b32 s1, s11, s15
	s_delay_alu instid0(SALU_CYCLE_1)
	s_and_saveexec_b32 s0, s1
	s_cbranch_execnz .LBB150_322
.LBB150_248:
	s_or_b32 exec_lo, exec_lo, s0
	s_and_b32 s1, s11, s16
	s_delay_alu instid0(SALU_CYCLE_1)
	s_and_saveexec_b32 s0, s1
	s_cbranch_execnz .LBB150_326
.LBB150_249:
	s_or_b32 exec_lo, exec_lo, s0
	s_and_b32 s1, s11, s17
	s_delay_alu instid0(SALU_CYCLE_1)
	s_and_saveexec_b32 s0, s1
	s_cbranch_execnz .LBB150_330
.LBB150_250:
	s_or_b32 exec_lo, exec_lo, s0
	s_and_b32 s1, s11, s18
	s_delay_alu instid0(SALU_CYCLE_1)
	s_and_saveexec_b32 s0, s1
	s_cbranch_execnz .LBB150_334
.LBB150_251:
	s_or_b32 exec_lo, exec_lo, s0
	s_and_b32 s1, s11, s19
	s_delay_alu instid0(SALU_CYCLE_1)
	s_and_saveexec_b32 s0, s1
	s_cbranch_execnz .LBB150_338
.LBB150_252:
	s_or_b32 exec_lo, exec_lo, s0
	s_and_b32 s1, s11, s20
	s_delay_alu instid0(SALU_CYCLE_1)
	s_and_saveexec_b32 s0, s1
	s_cbranch_execnz .LBB150_342
.LBB150_253:
	s_or_b32 exec_lo, exec_lo, s0
	s_and_b32 s1, s11, s21
	s_delay_alu instid0(SALU_CYCLE_1)
	s_and_saveexec_b32 s0, s1
	s_cbranch_execnz .LBB150_346
.LBB150_254:
	s_or_b32 exec_lo, exec_lo, s0
	s_and_b32 s1, s11, s22
	s_delay_alu instid0(SALU_CYCLE_1)
	s_and_saveexec_b32 s0, s1
	s_cbranch_execnz .LBB150_350
.LBB150_255:
	s_or_b32 exec_lo, exec_lo, s0
	s_and_b32 s1, s11, s23
	s_delay_alu instid0(SALU_CYCLE_1)
	s_and_saveexec_b32 s0, s1
	s_cbranch_execnz .LBB150_354
.LBB150_256:
	s_or_b32 exec_lo, exec_lo, s0
	s_and_b32 s1, s11, s24
	s_delay_alu instid0(SALU_CYCLE_1)
	s_and_saveexec_b32 s0, s1
	s_cbranch_execnz .LBB150_358
.LBB150_257:
	s_or_b32 exec_lo, exec_lo, s0
	s_and_b32 s1, s11, s25
	s_delay_alu instid0(SALU_CYCLE_1)
	s_and_saveexec_b32 s0, s1
	s_cbranch_execnz .LBB150_362
.LBB150_258:
	s_or_b32 exec_lo, exec_lo, s0
	s_and_b32 s1, s11, s26
	s_delay_alu instid0(SALU_CYCLE_1)
	s_and_saveexec_b32 s0, s1
	s_cbranch_execnz .LBB150_366
.LBB150_259:
	s_or_b32 exec_lo, exec_lo, s0
	s_and_b32 s1, s11, s27
	s_delay_alu instid0(SALU_CYCLE_1)
	s_and_saveexec_b32 s0, s1
	s_cbranch_execnz .LBB150_370
.LBB150_260:
	s_or_b32 exec_lo, exec_lo, s0
	s_and_b32 s1, s11, s28
	s_delay_alu instid0(SALU_CYCLE_1)
	s_and_saveexec_b32 s0, s1
	s_cbranch_execnz .LBB150_374
.LBB150_261:
	s_or_b32 exec_lo, exec_lo, s0
	s_and_b32 s1, s11, s29
	s_delay_alu instid0(SALU_CYCLE_1)
	s_and_saveexec_b32 s0, s1
	s_cbranch_execnz .LBB150_378
.LBB150_262:
	s_or_b32 exec_lo, exec_lo, s0
	s_and_b32 s1, s11, s30
	s_delay_alu instid0(SALU_CYCLE_1)
	s_and_saveexec_b32 s0, s1
	s_cbranch_execnz .LBB150_382
.LBB150_263:
	s_or_b32 exec_lo, exec_lo, s0
	s_and_b32 s1, s11, s31
	s_delay_alu instid0(SALU_CYCLE_1)
	s_and_saveexec_b32 s0, s1
	s_cbranch_execnz .LBB150_386
.LBB150_264:
	s_or_b32 exec_lo, exec_lo, s0
	s_and_b32 s0, s11, s33
	s_delay_alu instid0(SALU_CYCLE_1)
	s_and_saveexec_b32 s1, s0
	s_cbranch_execnz .LBB150_390
.LBB150_265:
	s_endpgm
.LBB150_266:
	scratch_load_b64 v[64:65], off, off offset:256
	v_lshlrev_b64 v[0:1], 3, v[0:1]
	s_and_not1_b32 vcc_lo, exec_lo, s42
	s_cbranch_vccnz .LBB150_268
; %bb.267:
	s_delay_alu instid0(VALU_DEP_1) | instskip(NEXT) | instid1(VALU_DEP_2)
	v_add_co_u32 v66, vcc_lo, v71, v0
	v_add_co_ci_u32_e32 v67, vcc_lo, v72, v1, vcc_lo
	flat_load_b64 v[66:67], v[66:67]
	s_waitcnt vmcnt(0) lgkmcnt(0)
	v_mul_f64 v[66:67], s[34:35], v[66:67]
	s_branch .LBB150_269
.LBB150_268:
	v_mov_b32_e32 v66, 0
	v_mov_b32_e32 v67, 0
.LBB150_269:
	s_waitcnt vmcnt(0)
	s_delay_alu instid0(VALU_DEP_1)
	v_add_f64 v[64:65], v[64:65], v[66:67]
	v_add_co_u32 v0, vcc_lo, v68, v0
	v_add_co_ci_u32_e32 v1, vcc_lo, v69, v1, vcc_lo
	global_store_b64 v[0:1], v[64:65], off
	s_or_b32 exec_lo, exec_lo, s0
	s_and_b32 s1, s11, s1
	s_delay_alu instid0(SALU_CYCLE_1)
	s_and_saveexec_b32 s0, s1
	s_cbranch_execz .LBB150_235
.LBB150_270:
	scratch_load_b64 v[0:1], off, off offset:264
	v_cmp_ne_u32_e32 vcc_lo, 1, v70
	v_lshlrev_b64 v[2:3], 3, v[2:3]
	s_cbranch_vccnz .LBB150_272
; %bb.271:
	s_delay_alu instid0(VALU_DEP_1) | instskip(NEXT) | instid1(VALU_DEP_2)
	v_add_co_u32 v64, vcc_lo, v71, v2
	v_add_co_ci_u32_e32 v65, vcc_lo, v72, v3, vcc_lo
	flat_load_b64 v[64:65], v[64:65]
	s_waitcnt vmcnt(0) lgkmcnt(0)
	v_mul_f64 v[64:65], s[34:35], v[64:65]
	s_branch .LBB150_273
.LBB150_272:
	v_mov_b32_e32 v64, 0
	v_mov_b32_e32 v65, 0
.LBB150_273:
	s_waitcnt vmcnt(0)
	s_delay_alu instid0(VALU_DEP_1)
	v_add_f64 v[0:1], v[0:1], v[64:65]
	v_add_co_u32 v2, vcc_lo, v68, v2
	v_add_co_ci_u32_e32 v3, vcc_lo, v69, v3, vcc_lo
	global_store_b64 v[2:3], v[0:1], off
	s_or_b32 exec_lo, exec_lo, s0
	s_and_b32 s1, s11, s2
	s_delay_alu instid0(SALU_CYCLE_1)
	s_and_saveexec_b32 s0, s1
	s_cbranch_execz .LBB150_236
.LBB150_274:
	scratch_load_b64 v[0:1], off, off offset:272
	v_cmp_ne_u32_e32 vcc_lo, 1, v70
	v_lshlrev_b64 v[2:3], 3, v[4:5]
	s_cbranch_vccnz .LBB150_276
; %bb.275:
	s_delay_alu instid0(VALU_DEP_1) | instskip(NEXT) | instid1(VALU_DEP_2)
	v_add_co_u32 v4, vcc_lo, v71, v2
	v_add_co_ci_u32_e32 v5, vcc_lo, v72, v3, vcc_lo
	flat_load_b64 v[4:5], v[4:5]
	s_waitcnt vmcnt(0) lgkmcnt(0)
	v_mul_f64 v[4:5], s[34:35], v[4:5]
	s_branch .LBB150_277
.LBB150_276:
	v_mov_b32_e32 v4, 0
	v_mov_b32_e32 v5, 0
.LBB150_277:
	s_waitcnt vmcnt(0)
	s_delay_alu instid0(VALU_DEP_1)
	v_add_f64 v[0:1], v[0:1], v[4:5]
	v_add_co_u32 v2, vcc_lo, v68, v2
	v_add_co_ci_u32_e32 v3, vcc_lo, v69, v3, vcc_lo
	global_store_b64 v[2:3], v[0:1], off
	s_or_b32 exec_lo, exec_lo, s0
	s_and_b32 s1, s11, s3
	s_delay_alu instid0(SALU_CYCLE_1)
	s_and_saveexec_b32 s0, s1
	s_cbranch_execz .LBB150_237
.LBB150_278:
	scratch_load_b64 v[0:1], off, off offset:280
	v_cmp_ne_u32_e32 vcc_lo, 1, v70
	v_lshlrev_b64 v[2:3], 3, v[6:7]
	s_cbranch_vccnz .LBB150_280
; %bb.279:
	s_delay_alu instid0(VALU_DEP_1) | instskip(NEXT) | instid1(VALU_DEP_2)
	v_add_co_u32 v4, vcc_lo, v71, v2
	v_add_co_ci_u32_e32 v5, vcc_lo, v72, v3, vcc_lo
	flat_load_b64 v[4:5], v[4:5]
	s_waitcnt vmcnt(0) lgkmcnt(0)
	v_mul_f64 v[4:5], s[34:35], v[4:5]
	s_branch .LBB150_281
.LBB150_280:
	v_mov_b32_e32 v4, 0
	v_mov_b32_e32 v5, 0
.LBB150_281:
	s_waitcnt vmcnt(0)
	s_delay_alu instid0(VALU_DEP_1)
	v_add_f64 v[0:1], v[0:1], v[4:5]
	v_add_co_u32 v2, vcc_lo, v68, v2
	v_add_co_ci_u32_e32 v3, vcc_lo, v69, v3, vcc_lo
	global_store_b64 v[2:3], v[0:1], off
	s_or_b32 exec_lo, exec_lo, s0
	s_and_b32 s1, s11, s4
	s_delay_alu instid0(SALU_CYCLE_1)
	s_and_saveexec_b32 s0, s1
	s_cbranch_execz .LBB150_238
.LBB150_282:
	scratch_load_b64 v[0:1], off, off offset:288
	v_cmp_ne_u32_e32 vcc_lo, 1, v70
	v_lshlrev_b64 v[2:3], 3, v[8:9]
	s_cbranch_vccnz .LBB150_284
; %bb.283:
	s_delay_alu instid0(VALU_DEP_1) | instskip(NEXT) | instid1(VALU_DEP_2)
	v_add_co_u32 v4, vcc_lo, v71, v2
	v_add_co_ci_u32_e32 v5, vcc_lo, v72, v3, vcc_lo
	flat_load_b64 v[4:5], v[4:5]
	s_waitcnt vmcnt(0) lgkmcnt(0)
	v_mul_f64 v[4:5], s[34:35], v[4:5]
	s_branch .LBB150_285
.LBB150_284:
	v_mov_b32_e32 v4, 0
	v_mov_b32_e32 v5, 0
.LBB150_285:
	s_waitcnt vmcnt(0)
	s_delay_alu instid0(VALU_DEP_1)
	v_add_f64 v[0:1], v[0:1], v[4:5]
	v_add_co_u32 v2, vcc_lo, v68, v2
	v_add_co_ci_u32_e32 v3, vcc_lo, v69, v3, vcc_lo
	global_store_b64 v[2:3], v[0:1], off
	s_or_b32 exec_lo, exec_lo, s0
	s_and_b32 s1, s11, s5
	s_delay_alu instid0(SALU_CYCLE_1)
	s_and_saveexec_b32 s0, s1
	s_cbranch_execz .LBB150_239
.LBB150_286:
	scratch_load_b64 v[0:1], off, off offset:296
	v_cmp_ne_u32_e32 vcc_lo, 1, v70
	v_lshlrev_b64 v[2:3], 3, v[10:11]
	s_cbranch_vccnz .LBB150_288
; %bb.287:
	s_delay_alu instid0(VALU_DEP_1) | instskip(NEXT) | instid1(VALU_DEP_2)
	v_add_co_u32 v4, vcc_lo, v71, v2
	v_add_co_ci_u32_e32 v5, vcc_lo, v72, v3, vcc_lo
	flat_load_b64 v[4:5], v[4:5]
	s_waitcnt vmcnt(0) lgkmcnt(0)
	v_mul_f64 v[4:5], s[34:35], v[4:5]
	s_branch .LBB150_289
.LBB150_288:
	v_mov_b32_e32 v4, 0
	v_mov_b32_e32 v5, 0
.LBB150_289:
	s_waitcnt vmcnt(0)
	s_delay_alu instid0(VALU_DEP_1)
	v_add_f64 v[0:1], v[0:1], v[4:5]
	v_add_co_u32 v2, vcc_lo, v68, v2
	v_add_co_ci_u32_e32 v3, vcc_lo, v69, v3, vcc_lo
	global_store_b64 v[2:3], v[0:1], off
	s_or_b32 exec_lo, exec_lo, s0
	s_and_b32 s1, s11, s6
	s_delay_alu instid0(SALU_CYCLE_1)
	s_and_saveexec_b32 s0, s1
	s_cbranch_execz .LBB150_240
.LBB150_290:
	scratch_load_b64 v[0:1], off, off offset:304
	v_cmp_ne_u32_e32 vcc_lo, 1, v70
	v_lshlrev_b64 v[2:3], 3, v[12:13]
	s_cbranch_vccnz .LBB150_292
; %bb.291:
	s_delay_alu instid0(VALU_DEP_1) | instskip(NEXT) | instid1(VALU_DEP_2)
	v_add_co_u32 v4, vcc_lo, v71, v2
	v_add_co_ci_u32_e32 v5, vcc_lo, v72, v3, vcc_lo
	flat_load_b64 v[4:5], v[4:5]
	s_waitcnt vmcnt(0) lgkmcnt(0)
	v_mul_f64 v[4:5], s[34:35], v[4:5]
	s_branch .LBB150_293
.LBB150_292:
	v_mov_b32_e32 v4, 0
	v_mov_b32_e32 v5, 0
.LBB150_293:
	s_waitcnt vmcnt(0)
	s_delay_alu instid0(VALU_DEP_1)
	v_add_f64 v[0:1], v[0:1], v[4:5]
	v_add_co_u32 v2, vcc_lo, v68, v2
	v_add_co_ci_u32_e32 v3, vcc_lo, v69, v3, vcc_lo
	global_store_b64 v[2:3], v[0:1], off
	s_or_b32 exec_lo, exec_lo, s0
	s_and_b32 s1, s11, s7
	s_delay_alu instid0(SALU_CYCLE_1)
	s_and_saveexec_b32 s0, s1
	s_cbranch_execz .LBB150_241
.LBB150_294:
	scratch_load_b64 v[0:1], off, off offset:312
	v_cmp_ne_u32_e32 vcc_lo, 1, v70
	v_lshlrev_b64 v[2:3], 3, v[14:15]
	s_cbranch_vccnz .LBB150_296
; %bb.295:
	s_delay_alu instid0(VALU_DEP_1) | instskip(NEXT) | instid1(VALU_DEP_2)
	v_add_co_u32 v4, vcc_lo, v71, v2
	v_add_co_ci_u32_e32 v5, vcc_lo, v72, v3, vcc_lo
	flat_load_b64 v[4:5], v[4:5]
	s_waitcnt vmcnt(0) lgkmcnt(0)
	v_mul_f64 v[4:5], s[34:35], v[4:5]
	s_branch .LBB150_297
.LBB150_296:
	v_mov_b32_e32 v4, 0
	v_mov_b32_e32 v5, 0
.LBB150_297:
	s_waitcnt vmcnt(0)
	s_delay_alu instid0(VALU_DEP_1)
	v_add_f64 v[0:1], v[0:1], v[4:5]
	v_add_co_u32 v2, vcc_lo, v68, v2
	v_add_co_ci_u32_e32 v3, vcc_lo, v69, v3, vcc_lo
	global_store_b64 v[2:3], v[0:1], off
	s_or_b32 exec_lo, exec_lo, s0
	s_and_b32 s1, s11, s8
	s_delay_alu instid0(SALU_CYCLE_1)
	s_and_saveexec_b32 s0, s1
	s_cbranch_execz .LBB150_242
.LBB150_298:
	scratch_load_b64 v[0:1], off, off offset:320
	v_cmp_ne_u32_e32 vcc_lo, 1, v70
	v_lshlrev_b64 v[2:3], 3, v[16:17]
	s_cbranch_vccnz .LBB150_300
; %bb.299:
	s_delay_alu instid0(VALU_DEP_1) | instskip(NEXT) | instid1(VALU_DEP_2)
	v_add_co_u32 v4, vcc_lo, v71, v2
	v_add_co_ci_u32_e32 v5, vcc_lo, v72, v3, vcc_lo
	flat_load_b64 v[4:5], v[4:5]
	s_waitcnt vmcnt(0) lgkmcnt(0)
	v_mul_f64 v[4:5], s[34:35], v[4:5]
	s_branch .LBB150_301
.LBB150_300:
	v_mov_b32_e32 v4, 0
	v_mov_b32_e32 v5, 0
.LBB150_301:
	s_waitcnt vmcnt(0)
	s_delay_alu instid0(VALU_DEP_1)
	v_add_f64 v[0:1], v[0:1], v[4:5]
	v_add_co_u32 v2, vcc_lo, v68, v2
	v_add_co_ci_u32_e32 v3, vcc_lo, v69, v3, vcc_lo
	global_store_b64 v[2:3], v[0:1], off
	s_or_b32 exec_lo, exec_lo, s0
	s_and_b32 s1, s11, s9
	s_delay_alu instid0(SALU_CYCLE_1)
	s_and_saveexec_b32 s0, s1
	s_cbranch_execz .LBB150_243
.LBB150_302:
	scratch_load_b64 v[0:1], off, off offset:328
	v_cmp_ne_u32_e32 vcc_lo, 1, v70
	v_lshlrev_b64 v[2:3], 3, v[18:19]
	s_cbranch_vccnz .LBB150_304
; %bb.303:
	s_delay_alu instid0(VALU_DEP_1) | instskip(NEXT) | instid1(VALU_DEP_2)
	v_add_co_u32 v4, vcc_lo, v71, v2
	v_add_co_ci_u32_e32 v5, vcc_lo, v72, v3, vcc_lo
	flat_load_b64 v[4:5], v[4:5]
	s_waitcnt vmcnt(0) lgkmcnt(0)
	v_mul_f64 v[4:5], s[34:35], v[4:5]
	s_branch .LBB150_305
.LBB150_304:
	v_mov_b32_e32 v4, 0
	v_mov_b32_e32 v5, 0
.LBB150_305:
	s_waitcnt vmcnt(0)
	s_delay_alu instid0(VALU_DEP_1)
	v_add_f64 v[0:1], v[0:1], v[4:5]
	v_add_co_u32 v2, vcc_lo, v68, v2
	v_add_co_ci_u32_e32 v3, vcc_lo, v69, v3, vcc_lo
	global_store_b64 v[2:3], v[0:1], off
	s_or_b32 exec_lo, exec_lo, s0
	s_and_b32 s1, s11, s10
	s_delay_alu instid0(SALU_CYCLE_1)
	s_and_saveexec_b32 s0, s1
	s_cbranch_execz .LBB150_244
.LBB150_306:
	scratch_load_b64 v[0:1], off, off offset:336
	v_cmp_ne_u32_e32 vcc_lo, 1, v70
	v_lshlrev_b64 v[2:3], 3, v[20:21]
	s_cbranch_vccnz .LBB150_308
; %bb.307:
	s_delay_alu instid0(VALU_DEP_1) | instskip(NEXT) | instid1(VALU_DEP_2)
	v_add_co_u32 v4, vcc_lo, v71, v2
	v_add_co_ci_u32_e32 v5, vcc_lo, v72, v3, vcc_lo
	flat_load_b64 v[4:5], v[4:5]
	s_waitcnt vmcnt(0) lgkmcnt(0)
	v_mul_f64 v[4:5], s[34:35], v[4:5]
	s_branch .LBB150_309
.LBB150_308:
	v_mov_b32_e32 v4, 0
	v_mov_b32_e32 v5, 0
.LBB150_309:
	s_waitcnt vmcnt(0)
	s_delay_alu instid0(VALU_DEP_1)
	v_add_f64 v[0:1], v[0:1], v[4:5]
	v_add_co_u32 v2, vcc_lo, v68, v2
	v_add_co_ci_u32_e32 v3, vcc_lo, v69, v3, vcc_lo
	global_store_b64 v[2:3], v[0:1], off
	s_or_b32 exec_lo, exec_lo, s0
	s_and_b32 s1, s11, s12
	s_delay_alu instid0(SALU_CYCLE_1)
	s_and_saveexec_b32 s0, s1
	s_cbranch_execz .LBB150_245
.LBB150_310:
	scratch_load_b64 v[0:1], off, off offset:344
	v_cmp_ne_u32_e32 vcc_lo, 1, v70
	v_lshlrev_b64 v[2:3], 3, v[22:23]
	s_cbranch_vccnz .LBB150_312
; %bb.311:
	s_delay_alu instid0(VALU_DEP_1) | instskip(NEXT) | instid1(VALU_DEP_2)
	v_add_co_u32 v4, vcc_lo, v71, v2
	v_add_co_ci_u32_e32 v5, vcc_lo, v72, v3, vcc_lo
	flat_load_b64 v[4:5], v[4:5]
	s_waitcnt vmcnt(0) lgkmcnt(0)
	v_mul_f64 v[4:5], s[34:35], v[4:5]
	s_branch .LBB150_313
.LBB150_312:
	v_mov_b32_e32 v4, 0
	v_mov_b32_e32 v5, 0
.LBB150_313:
	s_waitcnt vmcnt(0)
	s_delay_alu instid0(VALU_DEP_1)
	v_add_f64 v[0:1], v[0:1], v[4:5]
	v_add_co_u32 v2, vcc_lo, v68, v2
	v_add_co_ci_u32_e32 v3, vcc_lo, v69, v3, vcc_lo
	global_store_b64 v[2:3], v[0:1], off
	s_or_b32 exec_lo, exec_lo, s0
	s_and_b32 s1, s11, s13
	s_delay_alu instid0(SALU_CYCLE_1)
	s_and_saveexec_b32 s0, s1
	s_cbranch_execz .LBB150_246
.LBB150_314:
	scratch_load_b64 v[0:1], off, off offset:352
	v_cmp_ne_u32_e32 vcc_lo, 1, v70
	v_lshlrev_b64 v[2:3], 3, v[24:25]
	s_cbranch_vccnz .LBB150_316
; %bb.315:
	s_delay_alu instid0(VALU_DEP_1) | instskip(NEXT) | instid1(VALU_DEP_2)
	v_add_co_u32 v4, vcc_lo, v71, v2
	v_add_co_ci_u32_e32 v5, vcc_lo, v72, v3, vcc_lo
	flat_load_b64 v[4:5], v[4:5]
	s_waitcnt vmcnt(0) lgkmcnt(0)
	v_mul_f64 v[4:5], s[34:35], v[4:5]
	s_branch .LBB150_317
.LBB150_316:
	v_mov_b32_e32 v4, 0
	v_mov_b32_e32 v5, 0
.LBB150_317:
	s_waitcnt vmcnt(0)
	s_delay_alu instid0(VALU_DEP_1)
	v_add_f64 v[0:1], v[0:1], v[4:5]
	v_add_co_u32 v2, vcc_lo, v68, v2
	v_add_co_ci_u32_e32 v3, vcc_lo, v69, v3, vcc_lo
	global_store_b64 v[2:3], v[0:1], off
	s_or_b32 exec_lo, exec_lo, s0
	s_and_b32 s1, s11, s14
	s_delay_alu instid0(SALU_CYCLE_1)
	s_and_saveexec_b32 s0, s1
	s_cbranch_execz .LBB150_247
.LBB150_318:
	scratch_load_b64 v[0:1], off, off offset:360
	v_cmp_ne_u32_e32 vcc_lo, 1, v70
	v_lshlrev_b64 v[2:3], 3, v[26:27]
	s_cbranch_vccnz .LBB150_320
; %bb.319:
	s_delay_alu instid0(VALU_DEP_1) | instskip(NEXT) | instid1(VALU_DEP_2)
	v_add_co_u32 v4, vcc_lo, v71, v2
	v_add_co_ci_u32_e32 v5, vcc_lo, v72, v3, vcc_lo
	flat_load_b64 v[4:5], v[4:5]
	s_waitcnt vmcnt(0) lgkmcnt(0)
	v_mul_f64 v[4:5], s[34:35], v[4:5]
	s_branch .LBB150_321
.LBB150_320:
	v_mov_b32_e32 v4, 0
	v_mov_b32_e32 v5, 0
.LBB150_321:
	s_waitcnt vmcnt(0)
	s_delay_alu instid0(VALU_DEP_1)
	v_add_f64 v[0:1], v[0:1], v[4:5]
	v_add_co_u32 v2, vcc_lo, v68, v2
	v_add_co_ci_u32_e32 v3, vcc_lo, v69, v3, vcc_lo
	global_store_b64 v[2:3], v[0:1], off
	s_or_b32 exec_lo, exec_lo, s0
	s_and_b32 s1, s11, s15
	s_delay_alu instid0(SALU_CYCLE_1)
	s_and_saveexec_b32 s0, s1
	s_cbranch_execz .LBB150_248
.LBB150_322:
	scratch_load_b64 v[0:1], off, off offset:368
	v_cmp_ne_u32_e32 vcc_lo, 1, v70
	v_lshlrev_b64 v[2:3], 3, v[28:29]
	s_cbranch_vccnz .LBB150_324
; %bb.323:
	s_delay_alu instid0(VALU_DEP_1) | instskip(NEXT) | instid1(VALU_DEP_2)
	v_add_co_u32 v4, vcc_lo, v71, v2
	v_add_co_ci_u32_e32 v5, vcc_lo, v72, v3, vcc_lo
	flat_load_b64 v[4:5], v[4:5]
	s_waitcnt vmcnt(0) lgkmcnt(0)
	v_mul_f64 v[4:5], s[34:35], v[4:5]
	s_branch .LBB150_325
.LBB150_324:
	v_mov_b32_e32 v4, 0
	v_mov_b32_e32 v5, 0
.LBB150_325:
	s_waitcnt vmcnt(0)
	s_delay_alu instid0(VALU_DEP_1)
	v_add_f64 v[0:1], v[0:1], v[4:5]
	v_add_co_u32 v2, vcc_lo, v68, v2
	v_add_co_ci_u32_e32 v3, vcc_lo, v69, v3, vcc_lo
	global_store_b64 v[2:3], v[0:1], off
	s_or_b32 exec_lo, exec_lo, s0
	s_and_b32 s1, s11, s16
	s_delay_alu instid0(SALU_CYCLE_1)
	s_and_saveexec_b32 s0, s1
	s_cbranch_execz .LBB150_249
.LBB150_326:
	scratch_load_b64 v[0:1], off, off offset:376
	v_cmp_ne_u32_e32 vcc_lo, 1, v70
	v_lshlrev_b64 v[2:3], 3, v[30:31]
	s_cbranch_vccnz .LBB150_328
; %bb.327:
	s_delay_alu instid0(VALU_DEP_1) | instskip(NEXT) | instid1(VALU_DEP_2)
	v_add_co_u32 v4, vcc_lo, v71, v2
	v_add_co_ci_u32_e32 v5, vcc_lo, v72, v3, vcc_lo
	flat_load_b64 v[4:5], v[4:5]
	s_waitcnt vmcnt(0) lgkmcnt(0)
	v_mul_f64 v[4:5], s[34:35], v[4:5]
	s_branch .LBB150_329
.LBB150_328:
	v_mov_b32_e32 v4, 0
	v_mov_b32_e32 v5, 0
.LBB150_329:
	s_waitcnt vmcnt(0)
	s_delay_alu instid0(VALU_DEP_1)
	v_add_f64 v[0:1], v[0:1], v[4:5]
	v_add_co_u32 v2, vcc_lo, v68, v2
	v_add_co_ci_u32_e32 v3, vcc_lo, v69, v3, vcc_lo
	global_store_b64 v[2:3], v[0:1], off
	s_or_b32 exec_lo, exec_lo, s0
	s_and_b32 s1, s11, s17
	s_delay_alu instid0(SALU_CYCLE_1)
	s_and_saveexec_b32 s0, s1
	s_cbranch_execz .LBB150_250
.LBB150_330:
	scratch_load_b64 v[0:1], off, off offset:384
	v_cmp_ne_u32_e32 vcc_lo, 1, v70
	v_lshlrev_b64 v[2:3], 3, v[32:33]
	s_cbranch_vccnz .LBB150_332
; %bb.331:
	s_delay_alu instid0(VALU_DEP_1) | instskip(NEXT) | instid1(VALU_DEP_2)
	v_add_co_u32 v4, vcc_lo, v71, v2
	v_add_co_ci_u32_e32 v5, vcc_lo, v72, v3, vcc_lo
	flat_load_b64 v[4:5], v[4:5]
	s_waitcnt vmcnt(0) lgkmcnt(0)
	v_mul_f64 v[4:5], s[34:35], v[4:5]
	s_branch .LBB150_333
.LBB150_332:
	v_mov_b32_e32 v4, 0
	v_mov_b32_e32 v5, 0
.LBB150_333:
	s_waitcnt vmcnt(0)
	s_delay_alu instid0(VALU_DEP_1)
	v_add_f64 v[0:1], v[0:1], v[4:5]
	v_add_co_u32 v2, vcc_lo, v68, v2
	v_add_co_ci_u32_e32 v3, vcc_lo, v69, v3, vcc_lo
	global_store_b64 v[2:3], v[0:1], off
	s_or_b32 exec_lo, exec_lo, s0
	s_and_b32 s1, s11, s18
	s_delay_alu instid0(SALU_CYCLE_1)
	s_and_saveexec_b32 s0, s1
	s_cbranch_execz .LBB150_251
.LBB150_334:
	scratch_load_b64 v[0:1], off, off offset:392
	v_cmp_ne_u32_e32 vcc_lo, 1, v70
	v_lshlrev_b64 v[2:3], 3, v[34:35]
	s_cbranch_vccnz .LBB150_336
; %bb.335:
	s_delay_alu instid0(VALU_DEP_1) | instskip(NEXT) | instid1(VALU_DEP_2)
	v_add_co_u32 v4, vcc_lo, v71, v2
	v_add_co_ci_u32_e32 v5, vcc_lo, v72, v3, vcc_lo
	flat_load_b64 v[4:5], v[4:5]
	s_waitcnt vmcnt(0) lgkmcnt(0)
	v_mul_f64 v[4:5], s[34:35], v[4:5]
	s_branch .LBB150_337
.LBB150_336:
	v_mov_b32_e32 v4, 0
	v_mov_b32_e32 v5, 0
.LBB150_337:
	s_waitcnt vmcnt(0)
	s_delay_alu instid0(VALU_DEP_1)
	v_add_f64 v[0:1], v[0:1], v[4:5]
	v_add_co_u32 v2, vcc_lo, v68, v2
	v_add_co_ci_u32_e32 v3, vcc_lo, v69, v3, vcc_lo
	global_store_b64 v[2:3], v[0:1], off
	s_or_b32 exec_lo, exec_lo, s0
	s_and_b32 s1, s11, s19
	s_delay_alu instid0(SALU_CYCLE_1)
	s_and_saveexec_b32 s0, s1
	s_cbranch_execz .LBB150_252
.LBB150_338:
	scratch_load_b64 v[0:1], off, off offset:400
	v_cmp_ne_u32_e32 vcc_lo, 1, v70
	v_lshlrev_b64 v[2:3], 3, v[36:37]
	s_cbranch_vccnz .LBB150_340
; %bb.339:
	s_delay_alu instid0(VALU_DEP_1) | instskip(NEXT) | instid1(VALU_DEP_2)
	v_add_co_u32 v4, vcc_lo, v71, v2
	v_add_co_ci_u32_e32 v5, vcc_lo, v72, v3, vcc_lo
	flat_load_b64 v[4:5], v[4:5]
	s_waitcnt vmcnt(0) lgkmcnt(0)
	v_mul_f64 v[4:5], s[34:35], v[4:5]
	s_branch .LBB150_341
.LBB150_340:
	v_mov_b32_e32 v4, 0
	v_mov_b32_e32 v5, 0
.LBB150_341:
	s_waitcnt vmcnt(0)
	s_delay_alu instid0(VALU_DEP_1)
	v_add_f64 v[0:1], v[0:1], v[4:5]
	v_add_co_u32 v2, vcc_lo, v68, v2
	v_add_co_ci_u32_e32 v3, vcc_lo, v69, v3, vcc_lo
	global_store_b64 v[2:3], v[0:1], off
	s_or_b32 exec_lo, exec_lo, s0
	s_and_b32 s1, s11, s20
	s_delay_alu instid0(SALU_CYCLE_1)
	s_and_saveexec_b32 s0, s1
	s_cbranch_execz .LBB150_253
.LBB150_342:
	scratch_load_b64 v[0:1], off, off offset:408
	v_cmp_ne_u32_e32 vcc_lo, 1, v70
	v_lshlrev_b64 v[2:3], 3, v[38:39]
	s_cbranch_vccnz .LBB150_344
; %bb.343:
	s_delay_alu instid0(VALU_DEP_1) | instskip(NEXT) | instid1(VALU_DEP_2)
	v_add_co_u32 v4, vcc_lo, v71, v2
	v_add_co_ci_u32_e32 v5, vcc_lo, v72, v3, vcc_lo
	flat_load_b64 v[4:5], v[4:5]
	s_waitcnt vmcnt(0) lgkmcnt(0)
	v_mul_f64 v[4:5], s[34:35], v[4:5]
	s_branch .LBB150_345
.LBB150_344:
	v_mov_b32_e32 v4, 0
	v_mov_b32_e32 v5, 0
.LBB150_345:
	s_waitcnt vmcnt(0)
	s_delay_alu instid0(VALU_DEP_1)
	v_add_f64 v[0:1], v[0:1], v[4:5]
	v_add_co_u32 v2, vcc_lo, v68, v2
	v_add_co_ci_u32_e32 v3, vcc_lo, v69, v3, vcc_lo
	global_store_b64 v[2:3], v[0:1], off
	s_or_b32 exec_lo, exec_lo, s0
	s_and_b32 s1, s11, s21
	s_delay_alu instid0(SALU_CYCLE_1)
	s_and_saveexec_b32 s0, s1
	s_cbranch_execz .LBB150_254
.LBB150_346:
	scratch_load_b64 v[0:1], off, off offset:416
	v_cmp_ne_u32_e32 vcc_lo, 1, v70
	v_lshlrev_b64 v[2:3], 3, v[40:41]
	s_cbranch_vccnz .LBB150_348
; %bb.347:
	s_delay_alu instid0(VALU_DEP_1) | instskip(NEXT) | instid1(VALU_DEP_2)
	v_add_co_u32 v4, vcc_lo, v71, v2
	v_add_co_ci_u32_e32 v5, vcc_lo, v72, v3, vcc_lo
	flat_load_b64 v[4:5], v[4:5]
	s_waitcnt vmcnt(0) lgkmcnt(0)
	v_mul_f64 v[4:5], s[34:35], v[4:5]
	s_branch .LBB150_349
.LBB150_348:
	v_mov_b32_e32 v4, 0
	v_mov_b32_e32 v5, 0
.LBB150_349:
	s_waitcnt vmcnt(0)
	s_delay_alu instid0(VALU_DEP_1)
	v_add_f64 v[0:1], v[0:1], v[4:5]
	v_add_co_u32 v2, vcc_lo, v68, v2
	v_add_co_ci_u32_e32 v3, vcc_lo, v69, v3, vcc_lo
	global_store_b64 v[2:3], v[0:1], off
	s_or_b32 exec_lo, exec_lo, s0
	s_and_b32 s1, s11, s22
	s_delay_alu instid0(SALU_CYCLE_1)
	s_and_saveexec_b32 s0, s1
	s_cbranch_execz .LBB150_255
.LBB150_350:
	scratch_load_b64 v[0:1], off, off offset:424
	v_cmp_ne_u32_e32 vcc_lo, 1, v70
	v_lshlrev_b64 v[2:3], 3, v[42:43]
	s_cbranch_vccnz .LBB150_352
; %bb.351:
	s_delay_alu instid0(VALU_DEP_1) | instskip(NEXT) | instid1(VALU_DEP_2)
	v_add_co_u32 v4, vcc_lo, v71, v2
	v_add_co_ci_u32_e32 v5, vcc_lo, v72, v3, vcc_lo
	flat_load_b64 v[4:5], v[4:5]
	s_waitcnt vmcnt(0) lgkmcnt(0)
	v_mul_f64 v[4:5], s[34:35], v[4:5]
	s_branch .LBB150_353
.LBB150_352:
	v_mov_b32_e32 v4, 0
	v_mov_b32_e32 v5, 0
.LBB150_353:
	s_waitcnt vmcnt(0)
	s_delay_alu instid0(VALU_DEP_1)
	v_add_f64 v[0:1], v[0:1], v[4:5]
	v_add_co_u32 v2, vcc_lo, v68, v2
	v_add_co_ci_u32_e32 v3, vcc_lo, v69, v3, vcc_lo
	global_store_b64 v[2:3], v[0:1], off
	s_or_b32 exec_lo, exec_lo, s0
	s_and_b32 s1, s11, s23
	s_delay_alu instid0(SALU_CYCLE_1)
	s_and_saveexec_b32 s0, s1
	s_cbranch_execz .LBB150_256
.LBB150_354:
	scratch_load_b64 v[0:1], off, off offset:432
	v_cmp_ne_u32_e32 vcc_lo, 1, v70
	v_lshlrev_b64 v[2:3], 3, v[44:45]
	s_cbranch_vccnz .LBB150_356
; %bb.355:
	s_delay_alu instid0(VALU_DEP_1) | instskip(NEXT) | instid1(VALU_DEP_2)
	v_add_co_u32 v4, vcc_lo, v71, v2
	v_add_co_ci_u32_e32 v5, vcc_lo, v72, v3, vcc_lo
	flat_load_b64 v[4:5], v[4:5]
	s_waitcnt vmcnt(0) lgkmcnt(0)
	v_mul_f64 v[4:5], s[34:35], v[4:5]
	s_branch .LBB150_357
.LBB150_356:
	v_mov_b32_e32 v4, 0
	v_mov_b32_e32 v5, 0
.LBB150_357:
	s_waitcnt vmcnt(0)
	s_delay_alu instid0(VALU_DEP_1)
	v_add_f64 v[0:1], v[0:1], v[4:5]
	v_add_co_u32 v2, vcc_lo, v68, v2
	v_add_co_ci_u32_e32 v3, vcc_lo, v69, v3, vcc_lo
	global_store_b64 v[2:3], v[0:1], off
	s_or_b32 exec_lo, exec_lo, s0
	s_and_b32 s1, s11, s24
	s_delay_alu instid0(SALU_CYCLE_1)
	s_and_saveexec_b32 s0, s1
	s_cbranch_execz .LBB150_257
.LBB150_358:
	scratch_load_b64 v[0:1], off, off offset:440
	v_cmp_ne_u32_e32 vcc_lo, 1, v70
	v_lshlrev_b64 v[2:3], 3, v[46:47]
	s_cbranch_vccnz .LBB150_360
; %bb.359:
	s_delay_alu instid0(VALU_DEP_1) | instskip(NEXT) | instid1(VALU_DEP_2)
	v_add_co_u32 v4, vcc_lo, v71, v2
	v_add_co_ci_u32_e32 v5, vcc_lo, v72, v3, vcc_lo
	flat_load_b64 v[4:5], v[4:5]
	s_waitcnt vmcnt(0) lgkmcnt(0)
	v_mul_f64 v[4:5], s[34:35], v[4:5]
	s_branch .LBB150_361
.LBB150_360:
	v_mov_b32_e32 v4, 0
	v_mov_b32_e32 v5, 0
.LBB150_361:
	s_waitcnt vmcnt(0)
	s_delay_alu instid0(VALU_DEP_1)
	v_add_f64 v[0:1], v[0:1], v[4:5]
	v_add_co_u32 v2, vcc_lo, v68, v2
	v_add_co_ci_u32_e32 v3, vcc_lo, v69, v3, vcc_lo
	global_store_b64 v[2:3], v[0:1], off
	s_or_b32 exec_lo, exec_lo, s0
	s_and_b32 s1, s11, s25
	s_delay_alu instid0(SALU_CYCLE_1)
	s_and_saveexec_b32 s0, s1
	s_cbranch_execz .LBB150_258
.LBB150_362:
	scratch_load_b64 v[0:1], off, off offset:448
	v_cmp_ne_u32_e32 vcc_lo, 1, v70
	v_lshlrev_b64 v[2:3], 3, v[48:49]
	s_cbranch_vccnz .LBB150_364
; %bb.363:
	s_delay_alu instid0(VALU_DEP_1) | instskip(NEXT) | instid1(VALU_DEP_2)
	v_add_co_u32 v4, vcc_lo, v71, v2
	v_add_co_ci_u32_e32 v5, vcc_lo, v72, v3, vcc_lo
	flat_load_b64 v[4:5], v[4:5]
	s_waitcnt vmcnt(0) lgkmcnt(0)
	v_mul_f64 v[4:5], s[34:35], v[4:5]
	s_branch .LBB150_365
.LBB150_364:
	v_mov_b32_e32 v4, 0
	v_mov_b32_e32 v5, 0
.LBB150_365:
	s_waitcnt vmcnt(0)
	s_delay_alu instid0(VALU_DEP_1)
	v_add_f64 v[0:1], v[0:1], v[4:5]
	v_add_co_u32 v2, vcc_lo, v68, v2
	v_add_co_ci_u32_e32 v3, vcc_lo, v69, v3, vcc_lo
	global_store_b64 v[2:3], v[0:1], off
	s_or_b32 exec_lo, exec_lo, s0
	s_and_b32 s1, s11, s26
	s_delay_alu instid0(SALU_CYCLE_1)
	s_and_saveexec_b32 s0, s1
	s_cbranch_execz .LBB150_259
.LBB150_366:
	scratch_load_b64 v[0:1], off, off offset:456
	v_cmp_ne_u32_e32 vcc_lo, 1, v70
	v_lshlrev_b64 v[2:3], 3, v[50:51]
	s_cbranch_vccnz .LBB150_368
; %bb.367:
	s_delay_alu instid0(VALU_DEP_1) | instskip(NEXT) | instid1(VALU_DEP_2)
	v_add_co_u32 v4, vcc_lo, v71, v2
	v_add_co_ci_u32_e32 v5, vcc_lo, v72, v3, vcc_lo
	flat_load_b64 v[4:5], v[4:5]
	s_waitcnt vmcnt(0) lgkmcnt(0)
	v_mul_f64 v[4:5], s[34:35], v[4:5]
	s_branch .LBB150_369
.LBB150_368:
	v_mov_b32_e32 v4, 0
	v_mov_b32_e32 v5, 0
.LBB150_369:
	s_waitcnt vmcnt(0)
	s_delay_alu instid0(VALU_DEP_1)
	v_add_f64 v[0:1], v[0:1], v[4:5]
	v_add_co_u32 v2, vcc_lo, v68, v2
	v_add_co_ci_u32_e32 v3, vcc_lo, v69, v3, vcc_lo
	global_store_b64 v[2:3], v[0:1], off
	s_or_b32 exec_lo, exec_lo, s0
	s_and_b32 s1, s11, s27
	s_delay_alu instid0(SALU_CYCLE_1)
	s_and_saveexec_b32 s0, s1
	s_cbranch_execz .LBB150_260
.LBB150_370:
	scratch_load_b64 v[0:1], off, off offset:464
	v_cmp_ne_u32_e32 vcc_lo, 1, v70
	v_lshlrev_b64 v[2:3], 3, v[52:53]
	s_cbranch_vccnz .LBB150_372
; %bb.371:
	s_delay_alu instid0(VALU_DEP_1) | instskip(NEXT) | instid1(VALU_DEP_2)
	v_add_co_u32 v4, vcc_lo, v71, v2
	v_add_co_ci_u32_e32 v5, vcc_lo, v72, v3, vcc_lo
	flat_load_b64 v[4:5], v[4:5]
	s_waitcnt vmcnt(0) lgkmcnt(0)
	v_mul_f64 v[4:5], s[34:35], v[4:5]
	s_branch .LBB150_373
.LBB150_372:
	v_mov_b32_e32 v4, 0
	v_mov_b32_e32 v5, 0
.LBB150_373:
	s_waitcnt vmcnt(0)
	s_delay_alu instid0(VALU_DEP_1)
	v_add_f64 v[0:1], v[0:1], v[4:5]
	v_add_co_u32 v2, vcc_lo, v68, v2
	v_add_co_ci_u32_e32 v3, vcc_lo, v69, v3, vcc_lo
	global_store_b64 v[2:3], v[0:1], off
	s_or_b32 exec_lo, exec_lo, s0
	s_and_b32 s1, s11, s28
	s_delay_alu instid0(SALU_CYCLE_1)
	s_and_saveexec_b32 s0, s1
	s_cbranch_execz .LBB150_261
.LBB150_374:
	scratch_load_b64 v[0:1], off, off offset:472
	v_cmp_ne_u32_e32 vcc_lo, 1, v70
	v_lshlrev_b64 v[2:3], 3, v[54:55]
	s_cbranch_vccnz .LBB150_376
; %bb.375:
	s_delay_alu instid0(VALU_DEP_1) | instskip(NEXT) | instid1(VALU_DEP_2)
	v_add_co_u32 v4, vcc_lo, v71, v2
	v_add_co_ci_u32_e32 v5, vcc_lo, v72, v3, vcc_lo
	flat_load_b64 v[4:5], v[4:5]
	s_waitcnt vmcnt(0) lgkmcnt(0)
	v_mul_f64 v[4:5], s[34:35], v[4:5]
	s_branch .LBB150_377
.LBB150_376:
	v_mov_b32_e32 v4, 0
	v_mov_b32_e32 v5, 0
.LBB150_377:
	s_waitcnt vmcnt(0)
	s_delay_alu instid0(VALU_DEP_1)
	v_add_f64 v[0:1], v[0:1], v[4:5]
	v_add_co_u32 v2, vcc_lo, v68, v2
	v_add_co_ci_u32_e32 v3, vcc_lo, v69, v3, vcc_lo
	global_store_b64 v[2:3], v[0:1], off
	s_or_b32 exec_lo, exec_lo, s0
	s_and_b32 s1, s11, s29
	s_delay_alu instid0(SALU_CYCLE_1)
	s_and_saveexec_b32 s0, s1
	s_cbranch_execz .LBB150_262
.LBB150_378:
	scratch_load_b64 v[0:1], off, off offset:480
	v_cmp_ne_u32_e32 vcc_lo, 1, v70
	v_lshlrev_b64 v[2:3], 3, v[56:57]
	s_cbranch_vccnz .LBB150_380
; %bb.379:
	s_delay_alu instid0(VALU_DEP_1) | instskip(NEXT) | instid1(VALU_DEP_2)
	v_add_co_u32 v4, vcc_lo, v71, v2
	v_add_co_ci_u32_e32 v5, vcc_lo, v72, v3, vcc_lo
	flat_load_b64 v[4:5], v[4:5]
	s_waitcnt vmcnt(0) lgkmcnt(0)
	v_mul_f64 v[4:5], s[34:35], v[4:5]
	s_branch .LBB150_381
.LBB150_380:
	v_mov_b32_e32 v4, 0
	v_mov_b32_e32 v5, 0
.LBB150_381:
	s_waitcnt vmcnt(0)
	s_delay_alu instid0(VALU_DEP_1)
	v_add_f64 v[0:1], v[0:1], v[4:5]
	v_add_co_u32 v2, vcc_lo, v68, v2
	v_add_co_ci_u32_e32 v3, vcc_lo, v69, v3, vcc_lo
	global_store_b64 v[2:3], v[0:1], off
	s_or_b32 exec_lo, exec_lo, s0
	s_and_b32 s1, s11, s30
	s_delay_alu instid0(SALU_CYCLE_1)
	s_and_saveexec_b32 s0, s1
	s_cbranch_execz .LBB150_263
.LBB150_382:
	scratch_load_b64 v[0:1], off, off offset:488
	v_cmp_ne_u32_e32 vcc_lo, 1, v70
	v_lshlrev_b64 v[2:3], 3, v[58:59]
	s_cbranch_vccnz .LBB150_384
; %bb.383:
	s_delay_alu instid0(VALU_DEP_1) | instskip(NEXT) | instid1(VALU_DEP_2)
	v_add_co_u32 v4, vcc_lo, v71, v2
	v_add_co_ci_u32_e32 v5, vcc_lo, v72, v3, vcc_lo
	flat_load_b64 v[4:5], v[4:5]
	s_waitcnt vmcnt(0) lgkmcnt(0)
	v_mul_f64 v[4:5], s[34:35], v[4:5]
	s_branch .LBB150_385
.LBB150_384:
	v_mov_b32_e32 v4, 0
	v_mov_b32_e32 v5, 0
.LBB150_385:
	s_waitcnt vmcnt(0)
	s_delay_alu instid0(VALU_DEP_1)
	v_add_f64 v[0:1], v[0:1], v[4:5]
	v_add_co_u32 v2, vcc_lo, v68, v2
	v_add_co_ci_u32_e32 v3, vcc_lo, v69, v3, vcc_lo
	global_store_b64 v[2:3], v[0:1], off
	s_or_b32 exec_lo, exec_lo, s0
	s_and_b32 s1, s11, s31
	s_delay_alu instid0(SALU_CYCLE_1)
	s_and_saveexec_b32 s0, s1
	s_cbranch_execz .LBB150_264
.LBB150_386:
	scratch_load_b64 v[0:1], off, off offset:496
	v_cmp_ne_u32_e32 vcc_lo, 1, v70
	v_lshlrev_b64 v[2:3], 3, v[60:61]
	s_cbranch_vccnz .LBB150_388
; %bb.387:
	s_delay_alu instid0(VALU_DEP_1) | instskip(NEXT) | instid1(VALU_DEP_2)
	v_add_co_u32 v4, vcc_lo, v71, v2
	v_add_co_ci_u32_e32 v5, vcc_lo, v72, v3, vcc_lo
	flat_load_b64 v[4:5], v[4:5]
	s_waitcnt vmcnt(0) lgkmcnt(0)
	v_mul_f64 v[4:5], s[34:35], v[4:5]
	s_branch .LBB150_389
.LBB150_388:
	v_mov_b32_e32 v4, 0
	v_mov_b32_e32 v5, 0
.LBB150_389:
	s_waitcnt vmcnt(0)
	s_delay_alu instid0(VALU_DEP_1)
	v_add_f64 v[0:1], v[0:1], v[4:5]
	v_add_co_u32 v2, vcc_lo, v68, v2
	v_add_co_ci_u32_e32 v3, vcc_lo, v69, v3, vcc_lo
	global_store_b64 v[2:3], v[0:1], off
	s_or_b32 exec_lo, exec_lo, s0
	s_and_b32 s0, s11, s33
	s_delay_alu instid0(SALU_CYCLE_1)
	s_and_saveexec_b32 s1, s0
	s_cbranch_execz .LBB150_265
.LBB150_390:
	scratch_load_b64 v[0:1], off, off offset:504
	v_cmp_ne_u32_e32 vcc_lo, 1, v70
	v_lshlrev_b64 v[2:3], 3, v[62:63]
	s_cbranch_vccnz .LBB150_392
; %bb.391:
	s_delay_alu instid0(VALU_DEP_1) | instskip(NEXT) | instid1(VALU_DEP_2)
	v_add_co_u32 v4, vcc_lo, v71, v2
	v_add_co_ci_u32_e32 v5, vcc_lo, v72, v3, vcc_lo
	flat_load_b64 v[4:5], v[4:5]
	s_waitcnt vmcnt(0) lgkmcnt(0)
	v_mul_f64 v[4:5], s[34:35], v[4:5]
	s_branch .LBB150_393
.LBB150_392:
	v_mov_b32_e32 v4, 0
	v_mov_b32_e32 v5, 0
.LBB150_393:
	s_waitcnt vmcnt(0)
	s_delay_alu instid0(VALU_DEP_1)
	v_add_f64 v[0:1], v[0:1], v[4:5]
	v_add_co_u32 v2, vcc_lo, v68, v2
	v_add_co_ci_u32_e32 v3, vcc_lo, v69, v3, vcc_lo
	global_store_b64 v[2:3], v[0:1], off
	s_endpgm
	.section	.rodata,"a",@progbits
	.p2align	6, 0x0
	.amdhsa_kernel _ZN12_GLOBAL__N_120geam_min_plus_kernelIdddLi4ELi64ELi128ELi128ELi4ELi4ELi64ELi64ELi4ELc84ELc84ELb0ELb1ELb0EPKdKS2_KPdEEviiiT16_PT17_ilS8_ilS6_S8_ilPT18_ili26rocblas_geam_ex_operation_
		.amdhsa_group_segment_fixed_size 16384
		.amdhsa_private_segment_fixed_size 528
		.amdhsa_kernarg_size 136
		.amdhsa_user_sgpr_count 14
		.amdhsa_user_sgpr_dispatch_ptr 0
		.amdhsa_user_sgpr_queue_ptr 0
		.amdhsa_user_sgpr_kernarg_segment_ptr 1
		.amdhsa_user_sgpr_dispatch_id 0
		.amdhsa_user_sgpr_private_segment_size 0
		.amdhsa_wavefront_size32 1
		.amdhsa_uses_dynamic_stack 0
		.amdhsa_enable_private_segment 1
		.amdhsa_system_sgpr_workgroup_id_x 1
		.amdhsa_system_sgpr_workgroup_id_y 0
		.amdhsa_system_sgpr_workgroup_id_z 1
		.amdhsa_system_sgpr_workgroup_info 0
		.amdhsa_system_vgpr_workitem_id 1
		.amdhsa_next_free_vgpr 252
		.amdhsa_next_free_sgpr 46
		.amdhsa_reserve_vcc 1
		.amdhsa_float_round_mode_32 0
		.amdhsa_float_round_mode_16_64 0
		.amdhsa_float_denorm_mode_32 3
		.amdhsa_float_denorm_mode_16_64 3
		.amdhsa_dx10_clamp 1
		.amdhsa_ieee_mode 1
		.amdhsa_fp16_overflow 0
		.amdhsa_workgroup_processor_mode 1
		.amdhsa_memory_ordered 1
		.amdhsa_forward_progress 0
		.amdhsa_shared_vgpr_count 0
		.amdhsa_exception_fp_ieee_invalid_op 0
		.amdhsa_exception_fp_denorm_src 0
		.amdhsa_exception_fp_ieee_div_zero 0
		.amdhsa_exception_fp_ieee_overflow 0
		.amdhsa_exception_fp_ieee_underflow 0
		.amdhsa_exception_fp_ieee_inexact 0
		.amdhsa_exception_int_div_zero 0
	.end_amdhsa_kernel
	.section	.text._ZN12_GLOBAL__N_120geam_min_plus_kernelIdddLi4ELi64ELi128ELi128ELi4ELi4ELi64ELi64ELi4ELc84ELc84ELb0ELb1ELb0EPKdKS2_KPdEEviiiT16_PT17_ilS8_ilS6_S8_ilPT18_ili26rocblas_geam_ex_operation_,"axG",@progbits,_ZN12_GLOBAL__N_120geam_min_plus_kernelIdddLi4ELi64ELi128ELi128ELi4ELi4ELi64ELi64ELi4ELc84ELc84ELb0ELb1ELb0EPKdKS2_KPdEEviiiT16_PT17_ilS8_ilS6_S8_ilPT18_ili26rocblas_geam_ex_operation_,comdat
.Lfunc_end150:
	.size	_ZN12_GLOBAL__N_120geam_min_plus_kernelIdddLi4ELi64ELi128ELi128ELi4ELi4ELi64ELi64ELi4ELc84ELc84ELb0ELb1ELb0EPKdKS2_KPdEEviiiT16_PT17_ilS8_ilS6_S8_ilPT18_ili26rocblas_geam_ex_operation_, .Lfunc_end150-_ZN12_GLOBAL__N_120geam_min_plus_kernelIdddLi4ELi64ELi128ELi128ELi4ELi4ELi64ELi64ELi4ELc84ELc84ELb0ELb1ELb0EPKdKS2_KPdEEviiiT16_PT17_ilS8_ilS6_S8_ilPT18_ili26rocblas_geam_ex_operation_
                                        ; -- End function
	.section	.AMDGPU.csdata,"",@progbits
; Kernel info:
; codeLenInByte = 47380
; NumSgprs: 48
; NumVgprs: 252
; ScratchSize: 528
; MemoryBound: 1
; FloatMode: 240
; IeeeMode: 1
; LDSByteSize: 16384 bytes/workgroup (compile time only)
; SGPRBlocks: 5
; VGPRBlocks: 31
; NumSGPRsForWavesPerEU: 48
; NumVGPRsForWavesPerEU: 252
; Occupancy: 5
; WaveLimiterHint : 1
; COMPUTE_PGM_RSRC2:SCRATCH_EN: 1
; COMPUTE_PGM_RSRC2:USER_SGPR: 14
; COMPUTE_PGM_RSRC2:TRAP_HANDLER: 0
; COMPUTE_PGM_RSRC2:TGID_X_EN: 1
; COMPUTE_PGM_RSRC2:TGID_Y_EN: 0
; COMPUTE_PGM_RSRC2:TGID_Z_EN: 1
; COMPUTE_PGM_RSRC2:TIDIG_COMP_CNT: 1
	.section	.text._ZN12_GLOBAL__N_120geam_min_plus_kernelIdddLi4ELi64ELi128ELi128ELi4ELi4ELi64ELi64ELi4ELc84ELc84ELb1ELb1ELb0EdKPKdKPdEEviiiT16_PT17_ilS8_ilS6_S8_ilPT18_ili26rocblas_geam_ex_operation_,"axG",@progbits,_ZN12_GLOBAL__N_120geam_min_plus_kernelIdddLi4ELi64ELi128ELi128ELi4ELi4ELi64ELi64ELi4ELc84ELc84ELb1ELb1ELb0EdKPKdKPdEEviiiT16_PT17_ilS8_ilS6_S8_ilPT18_ili26rocblas_geam_ex_operation_,comdat
	.globl	_ZN12_GLOBAL__N_120geam_min_plus_kernelIdddLi4ELi64ELi128ELi128ELi4ELi4ELi64ELi64ELi4ELc84ELc84ELb1ELb1ELb0EdKPKdKPdEEviiiT16_PT17_ilS8_ilS6_S8_ilPT18_ili26rocblas_geam_ex_operation_ ; -- Begin function _ZN12_GLOBAL__N_120geam_min_plus_kernelIdddLi4ELi64ELi128ELi128ELi4ELi4ELi64ELi64ELi4ELc84ELc84ELb1ELb1ELb0EdKPKdKPdEEviiiT16_PT17_ilS8_ilS6_S8_ilPT18_ili26rocblas_geam_ex_operation_
	.p2align	8
	.type	_ZN12_GLOBAL__N_120geam_min_plus_kernelIdddLi4ELi64ELi128ELi128ELi4ELi4ELi64ELi64ELi4ELc84ELc84ELb1ELb1ELb0EdKPKdKPdEEviiiT16_PT17_ilS8_ilS6_S8_ilPT18_ili26rocblas_geam_ex_operation_,@function
_ZN12_GLOBAL__N_120geam_min_plus_kernelIdddLi4ELi64ELi128ELi128ELi4ELi4ELi64ELi64ELi4ELc84ELc84ELb1ELb1ELb0EdKPKdKPdEEviiiT16_PT17_ilS8_ilS6_S8_ilPT18_ili26rocblas_geam_ex_operation_: ; @_ZN12_GLOBAL__N_120geam_min_plus_kernelIdddLi4ELi64ELi128ELi128ELi4ELi4ELi64ELi64ELi4ELc84ELc84ELb1ELb1ELb0EdKPKdKPdEEviiiT16_PT17_ilS8_ilS6_S8_ilPT18_ili26rocblas_geam_ex_operation_
; %bb.0:
	s_clause 0x1
	s_load_b128 s[8:11], s[0:1], 0x10
	s_load_b128 s[4:7], s[0:1], 0x28
	s_mov_b32 s2, s15
	s_mov_b64 s[12:13], 0
	s_waitcnt lgkmcnt(0)
	v_cmp_eq_f64_e64 s15, s[8:9], 0
	s_delay_alu instid0(VALU_DEP_1)
	s_and_b32 vcc_lo, exec_lo, s15
	s_cbranch_vccnz .LBB151_2
; %bb.1:
	s_mov_b32 s3, 0
	s_delay_alu instid0(SALU_CYCLE_1) | instskip(NEXT) | instid1(SALU_CYCLE_1)
	s_lshl_b64 s[8:9], s[2:3], 3
	s_add_u32 s8, s10, s8
	s_addc_u32 s9, s11, s9
	s_lshl_b64 s[4:5], s[4:5], 3
	s_load_b64 s[8:9], s[8:9], 0x0
	s_waitcnt lgkmcnt(0)
	s_add_u32 s12, s8, s4
	s_addc_u32 s13, s9, s5
.LBB151_2:
	s_clause 0x1
	s_load_b128 s[36:39], s[0:1], 0x40
	s_load_b64 s[8:9], s[0:1], 0x50
	s_and_not1_b32 vcc_lo, exec_lo, s15
	s_cbranch_vccnz .LBB151_4
; %bb.3:
	s_mov_b32 s3, 0
	s_mov_b64 s[10:11], 0
	s_cbranch_execz .LBB151_5
	s_branch .LBB151_6
.LBB151_4:
	s_mov_b32 s3, -1
                                        ; implicit-def: $sgpr10_sgpr11
.LBB151_5:
	s_mov_b32 s3, 0
	s_delay_alu instid0(SALU_CYCLE_1) | instskip(NEXT) | instid1(SALU_CYCLE_1)
	s_lshl_b64 s[4:5], s[2:3], 3
	s_add_u32 s4, s6, s4
	s_addc_u32 s5, s7, s5
	s_waitcnt lgkmcnt(0)
	s_lshl_b64 s[6:7], s[36:37], 3
	s_load_b64 s[4:5], s[4:5], 0x0
	s_waitcnt lgkmcnt(0)
	s_add_u32 s10, s4, s6
	s_addc_u32 s11, s5, s7
.LBB151_6:
	s_waitcnt lgkmcnt(0)
	v_cmp_eq_f64_e64 s15, s[38:39], 0
	v_cmp_neq_f64_e64 s36, s[38:39], 0
	s_load_b128 s[4:7], s[0:1], 0x60
	s_mov_b64 s[34:35], 0
	s_delay_alu instid0(VALU_DEP_2)
	s_and_b32 vcc_lo, exec_lo, s15
	s_cbranch_vccnz .LBB151_8
; %bb.7:
	s_lshl_b64 s[16:17], s[2:3], 3
	s_delay_alu instid0(SALU_CYCLE_1)
	s_add_u32 s8, s8, s16
	s_addc_u32 s9, s9, s17
	s_waitcnt lgkmcnt(0)
	s_lshl_b64 s[4:5], s[4:5], 3
	s_load_b64 s[8:9], s[8:9], 0x0
	s_waitcnt lgkmcnt(0)
	s_add_u32 s34, s8, s4
	s_addc_u32 s35, s9, s5
.LBB151_8:
	s_load_b128 s[40:43], s[0:1], 0x0
	s_lshl_b64 s[2:3], s[2:3], 3
	s_waitcnt lgkmcnt(0)
	s_mov_b32 s4, 0
	s_add_u32 s2, s6, s2
	s_addc_u32 s3, s7, s3
	s_load_b32 s19, s[0:1], 0x20
	s_load_b64 s[8:9], s[2:3], 0x0
	v_bfe_u32 v87, v0, 10, 10
	s_mov_b32 s5, s4
	v_and_b32_e32 v86, 0x3ff, v0
	v_dual_mov_b32 v6, s5 :: v_dual_mov_b32 v5, s4
	s_delay_alu instid0(VALU_DEP_2) | instskip(SKIP_1) | instid1(VALU_DEP_2)
	v_lshl_add_u32 v4, v87, 2, v86
	v_and_b32_e32 v88, 3, v86
	v_lshrrev_b32_e32 v8, 2, v4
	s_add_i32 s2, s40, -1
	s_delay_alu instid0(SALU_CYCLE_1) | instskip(NEXT) | instid1(SALU_CYCLE_1)
	s_ashr_i32 s3, s2, 31
	s_lshr_b32 s3, s3, 25
	s_delay_alu instid0(SALU_CYCLE_1) | instskip(NEXT) | instid1(SALU_CYCLE_1)
	s_add_i32 s2, s2, s3
	s_ashr_i32 s2, s2, 7
	s_delay_alu instid0(SALU_CYCLE_1) | instskip(SKIP_2) | instid1(VALU_DEP_1)
	s_add_i32 s3, s2, 1
	s_not_b32 s2, s2
	v_cvt_f32_u32_e32 v0, s3
	v_rcp_iflag_f32_e32 v0, v0
	s_waitcnt_depctr 0xfff
	v_mul_f32_e32 v0, 0x4f7ffffe, v0
	s_delay_alu instid0(VALU_DEP_1) | instskip(NEXT) | instid1(VALU_DEP_1)
	v_cvt_u32_f32_e32 v0, v0
	v_readfirstlane_b32 s4, v0
	v_mov_b32_e32 v0, 0
	v_mov_b32_e32 v1, 0
	v_lshlrev_b32_e32 v9, 3, v88
	v_cmp_le_i32_e32 vcc_lo, s42, v88
	s_mul_i32 s2, s2, s4
	s_clause 0x6
	scratch_store_b64 off, v[5:6], off
	scratch_store_b64 off, v[5:6], off offset:8
	scratch_store_b64 off, v[5:6], off offset:16
	;; [unrolled: 1-line block ×6, first 2 shown]
	s_mul_hi_u32 s2, s4, s2
	s_clause 0x3
	scratch_store_b64 off, v[5:6], off offset:56
	scratch_store_b64 off, v[5:6], off offset:64
	;; [unrolled: 1-line block ×4, first 2 shown]
	s_add_i32 s4, s4, s2
	s_clause 0x1
	scratch_store_b64 off, v[5:6], off offset:88
	scratch_store_b64 off, v[5:6], off offset:96
	s_mul_hi_u32 s2, s14, s4
	s_clause 0x3
	scratch_store_b64 off, v[5:6], off offset:104
	scratch_store_b64 off, v[5:6], off offset:112
	;; [unrolled: 1-line block ×4, first 2 shown]
	s_mul_i32 s4, s2, s3
	s_add_i32 s5, s2, 1
	s_sub_i32 s4, s14, s4
	s_clause 0x8
	scratch_store_b64 off, v[5:6], off offset:136
	scratch_store_b64 off, v[5:6], off offset:144
	;; [unrolled: 1-line block ×9, first 2 shown]
	s_sub_i32 s6, s4, s3
	s_cmp_ge_u32 s4, s3
	s_clause 0x3
	scratch_store_b64 off, v[5:6], off offset:208
	scratch_store_b64 off, v[5:6], off offset:216
	;; [unrolled: 1-line block ×4, first 2 shown]
	s_cselect_b32 s2, s5, s2
	s_cselect_b32 s4, s6, s4
	s_add_i32 s5, s2, 1
	s_cmp_ge_u32 s4, s3
	s_clause 0x3
	scratch_store_b64 off, v[5:6], off offset:240
	scratch_store_b64 off, v[5:6], off offset:248
	;; [unrolled: 1-line block ×4, first 2 shown]
	s_cselect_b32 s4, s5, s2
	s_clause 0x1
	scratch_store_b64 off, v[5:6], off offset:272
	scratch_store_b64 off, v[5:6], off offset:280
	s_mul_i32 s2, s4, s3
	v_add_co_u32 v11, s3, s12, v9
	s_sub_i32 s2, s14, s2
	v_mov_b32_e32 v3, v1
	s_lshl_b32 s14, s2, 7
	v_add_co_ci_u32_e64 v12, null, s13, 0, s3
	v_add_nc_u32_e32 v78, s14, v8
	v_mov_b32_e32 v2, v0
	s_clause 0x3
	scratch_store_b64 off, v[5:6], off offset:288
	scratch_store_b64 off, v[5:6], off offset:296
	;; [unrolled: 1-line block ×4, first 2 shown]
	v_cmp_le_i32_e64 s2, s40, v78
	s_clause 0x3
	scratch_store_b64 off, v[5:6], off offset:320
	scratch_store_b64 off, v[5:6], off offset:328
	;; [unrolled: 1-line block ×4, first 2 shown]
	s_or_b32 s3, vcc_lo, s2
	s_clause 0x1
	scratch_store_b64 off, v[5:6], off offset:352
	scratch_store_b64 off, v[5:6], off offset:360
	s_xor_b32 s3, s3, -1
	s_clause 0x11
	scratch_store_b64 off, v[5:6], off offset:368
	scratch_store_b64 off, v[5:6], off offset:376
	;; [unrolled: 1-line block ×18, first 2 shown]
	s_and_saveexec_b32 s5, s3
	s_cbranch_execz .LBB151_10
; %bb.9:
	s_waitcnt lgkmcnt(0)
	v_mad_i64_i32 v[2:3], null, v78, s19, 0
	s_delay_alu instid0(VALU_DEP_1) | instskip(NEXT) | instid1(VALU_DEP_1)
	v_lshlrev_b64 v[2:3], 3, v[2:3]
	v_add_co_u32 v2, s3, v11, v2
	s_delay_alu instid0(VALU_DEP_1)
	v_add_co_ci_u32_e64 v3, s3, v12, v3, s3
	flat_load_b64 v[2:3], v[2:3]
.LBB151_10:
	s_or_b32 exec_lo, exec_lo, s5
	v_add_nc_u32_e32 v79, 64, v78
	s_delay_alu instid0(VALU_DEP_1) | instskip(NEXT) | instid1(VALU_DEP_1)
	v_cmp_le_i32_e64 s3, s40, v79
	s_or_b32 s5, vcc_lo, s3
	s_delay_alu instid0(SALU_CYCLE_1) | instskip(NEXT) | instid1(SALU_CYCLE_1)
	s_xor_b32 s6, s5, -1
	s_and_saveexec_b32 s5, s6
	s_cbranch_execz .LBB151_12
; %bb.11:
	s_waitcnt lgkmcnt(0)
	v_mad_i64_i32 v[0:1], null, v79, s19, 0
	s_delay_alu instid0(VALU_DEP_1) | instskip(NEXT) | instid1(VALU_DEP_1)
	v_lshlrev_b64 v[0:1], 3, v[0:1]
	v_add_co_u32 v0, vcc_lo, v11, v0
	s_delay_alu instid0(VALU_DEP_2)
	v_add_co_ci_u32_e32 v1, vcc_lo, v12, v1, vcc_lo
	flat_load_b64 v[0:1], v[0:1]
.LBB151_12:
	s_or_b32 exec_lo, exec_lo, s5
	s_load_b32 s16, s[0:1], 0x38
	v_lshrrev_b32_e32 v89, 6, v4
	v_and_b32_e32 v10, 63, v4
	s_lshl_b32 s15, s4, 7
	s_delay_alu instid0(VALU_DEP_2) | instskip(SKIP_2) | instid1(VALU_DEP_1)
	v_cmp_le_i32_e32 vcc_lo, s42, v89
	s_waitcnt lgkmcnt(0)
	v_mad_i64_i32 v[5:6], null, s16, v89, 0
	v_lshlrev_b64 v[6:7], 3, v[5:6]
	v_mov_b32_e32 v4, 0
	v_mov_b32_e32 v5, 0
	v_or_b32_e32 v74, s15, v10
	s_delay_alu instid0(VALU_DEP_4) | instskip(NEXT) | instid1(VALU_DEP_2)
	v_add_co_u32 v13, s5, s10, v6
	v_cmp_le_i32_e64 s4, s41, v74
	v_ashrrev_i32_e32 v75, 31, v74
	v_add_co_ci_u32_e64 v14, s5, s11, v7, s5
	v_dual_mov_b32 v7, v5 :: v_dual_mov_b32 v6, v4
	s_delay_alu instid0(VALU_DEP_4) | instskip(NEXT) | instid1(SALU_CYCLE_1)
	s_or_b32 s5, s4, vcc_lo
	s_xor_b32 s5, s5, -1
	s_delay_alu instid0(SALU_CYCLE_1)
	s_and_saveexec_b32 s6, s5
	s_cbranch_execz .LBB151_14
; %bb.13:
	v_lshlrev_b64 v[6:7], 3, v[74:75]
	s_delay_alu instid0(VALU_DEP_1) | instskip(NEXT) | instid1(VALU_DEP_1)
	v_add_co_u32 v6, s5, v13, v6
	v_add_co_ci_u32_e64 v7, s5, v14, v7, s5
	flat_load_b64 v[6:7], v[6:7]
.LBB151_14:
	s_or_b32 exec_lo, exec_lo, s6
	v_or_b32_e32 v15, 64, v74
	s_ashr_i32 s17, s16, 31
	s_delay_alu instid0(VALU_DEP_1) | instskip(NEXT) | instid1(VALU_DEP_1)
	v_cmp_le_i32_e64 s5, s41, v15
	s_or_b32 s6, s5, vcc_lo
	s_delay_alu instid0(SALU_CYCLE_1) | instskip(NEXT) | instid1(SALU_CYCLE_1)
	s_xor_b32 s7, s6, -1
	s_and_saveexec_b32 s6, s7
	s_cbranch_execz .LBB151_16
; %bb.15:
	v_lshlrev_b64 v[4:5], 3, v[74:75]
	s_delay_alu instid0(VALU_DEP_1) | instskip(NEXT) | instid1(VALU_DEP_2)
	v_add_co_u32 v4, vcc_lo, v13, v4
	v_add_co_ci_u32_e32 v5, vcc_lo, v14, v5, vcc_lo
	flat_load_b64 v[4:5], v[4:5] offset:512
.LBB151_16:
	s_or_b32 exec_lo, exec_lo, s6
	v_or_b32_e32 v13, 4, v88
	v_mov_b32_e32 v68, 0
	v_mov_b32_e32 v69, 0
	s_delay_alu instid0(VALU_DEP_3) | instskip(NEXT) | instid1(VALU_DEP_2)
	v_cmp_le_i32_e32 vcc_lo, s42, v13
	v_dual_mov_b32 v71, v69 :: v_dual_mov_b32 v70, v68
	s_or_b32 s6, vcc_lo, s2
	s_delay_alu instid0(SALU_CYCLE_1) | instskip(NEXT) | instid1(SALU_CYCLE_1)
	s_xor_b32 s6, s6, -1
	s_and_saveexec_b32 s7, s6
	s_cbranch_execz .LBB151_18
; %bb.17:
	v_mad_i64_i32 v[13:14], null, v78, s19, 0
	s_delay_alu instid0(VALU_DEP_1) | instskip(NEXT) | instid1(VALU_DEP_1)
	v_lshlrev_b64 v[13:14], 3, v[13:14]
	v_add_co_u32 v13, s6, v11, v13
	s_delay_alu instid0(VALU_DEP_1)
	v_add_co_ci_u32_e64 v14, s6, v12, v14, s6
	flat_load_b64 v[70:71], v[13:14] offset:32
.LBB151_18:
	s_or_b32 exec_lo, exec_lo, s7
	s_or_b32 s6, vcc_lo, s3
	s_delay_alu instid0(SALU_CYCLE_1) | instskip(NEXT) | instid1(SALU_CYCLE_1)
	s_xor_b32 s7, s6, -1
	s_and_saveexec_b32 s6, s7
	s_cbranch_execz .LBB151_20
; %bb.19:
	v_mad_i64_i32 v[13:14], null, v79, s19, 0
	s_delay_alu instid0(VALU_DEP_1) | instskip(NEXT) | instid1(VALU_DEP_1)
	v_lshlrev_b64 v[13:14], 3, v[13:14]
	v_add_co_u32 v11, vcc_lo, v11, v13
	s_delay_alu instid0(VALU_DEP_2)
	v_add_co_ci_u32_e32 v12, vcc_lo, v12, v14, vcc_lo
	flat_load_b64 v[68:69], v[11:12] offset:32
.LBB151_20:
	s_or_b32 exec_lo, exec_lo, s6
	v_dual_mov_b32 v72, 0 :: v_dual_add_nc_u32 v13, 4, v89
	v_mov_b32_e32 v73, 0
	s_delay_alu instid0(VALU_DEP_2) | instskip(SKIP_1) | instid1(VALU_DEP_3)
	v_mad_i64_i32 v[11:12], null, s16, v13, 0
	v_cmp_le_i32_e32 vcc_lo, s42, v13
	v_dual_mov_b32 v77, v73 :: v_dual_mov_b32 v76, v72
	s_delay_alu instid0(VALU_DEP_3) | instskip(NEXT) | instid1(VALU_DEP_1)
	v_lshlrev_b64 v[11:12], 3, v[11:12]
	v_add_co_u32 v11, s6, s10, v11
	s_delay_alu instid0(VALU_DEP_1) | instskip(SKIP_1) | instid1(SALU_CYCLE_1)
	v_add_co_ci_u32_e64 v12, s6, s11, v12, s6
	s_or_b32 s6, s4, vcc_lo
	s_xor_b32 s6, s6, -1
	s_delay_alu instid0(SALU_CYCLE_1)
	s_and_saveexec_b32 s7, s6
	s_cbranch_execz .LBB151_22
; %bb.21:
	v_lshlrev_b64 v[13:14], 3, v[74:75]
	s_delay_alu instid0(VALU_DEP_1) | instskip(NEXT) | instid1(VALU_DEP_1)
	v_add_co_u32 v13, s6, v11, v13
	v_add_co_ci_u32_e64 v14, s6, v12, v14, s6
	flat_load_b64 v[76:77], v[13:14]
.LBB151_22:
	s_or_b32 exec_lo, exec_lo, s7
	s_or_b32 s6, s5, vcc_lo
	s_delay_alu instid0(SALU_CYCLE_1) | instskip(NEXT) | instid1(SALU_CYCLE_1)
	s_xor_b32 s7, s6, -1
	s_and_saveexec_b32 s6, s7
	s_cbranch_execz .LBB151_24
; %bb.23:
	v_lshlrev_b64 v[13:14], 3, v[74:75]
	s_delay_alu instid0(VALU_DEP_1) | instskip(NEXT) | instid1(VALU_DEP_2)
	v_add_co_u32 v11, vcc_lo, v11, v13
	v_add_co_ci_u32_e32 v12, vcc_lo, v12, v14, vcc_lo
	flat_load_b64 v[72:73], v[11:12] offset:512
.LBB151_24:
	s_or_b32 exec_lo, exec_lo, s6
	v_dual_mov_b32 v81, 0 :: v_dual_lshlrev_b32 v10, 5, v10
	v_dual_mov_b32 v83, 16 :: v_dual_lshlrev_b32 v90, 5, v86
	v_lshl_or_b32 v91, v8, 5, v9
	s_delay_alu instid0(VALU_DEP_3) | instskip(NEXT) | instid1(VALU_DEP_3)
	v_lshl_add_u32 v80, v89, 3, v10
	v_dual_mov_b32 v85, 32 :: v_dual_add_nc_u32 v48, 0x800, v90
	v_dual_mov_b32 v95, 40 :: v_dual_lshlrev_b32 v92, 5, v87
	s_waitcnt vmcnt(0)
	ds_store_2addr_stride64_b64 v91, v[2:3], v[0:1] offset1:4
	s_waitcnt lgkmcnt(1)
	ds_store_2addr_stride64_b64 v80, v[6:7], v[4:5] offset0:16 offset1:20
	s_waitcnt lgkmcnt(0)
	s_waitcnt_vscnt null, 0x0
	s_barrier
	buffer_gl0_inv
	ds_load_2addr_b64 v[0:3], v90 offset1:16
	ds_load_2addr_b64 v[4:7], v90 offset0:32 offset1:48
	ds_load_2addr_b64 v[8:11], v90 offset0:64 offset1:80
	ds_load_2addr_b64 v[12:15], v90 offset0:96 offset1:112
	ds_load_2addr_b64 v[16:19], v90 offset0:128 offset1:144
	ds_load_2addr_b64 v[20:23], v48 offset1:16
	ds_load_2addr_b64 v[24:27], v48 offset0:32 offset1:48
	ds_load_2addr_b64 v[28:31], v48 offset0:64 offset1:80
	ds_load_2addr_b64 v[32:35], v48 offset0:96 offset1:112
	ds_load_2addr_b64 v[36:39], v48 offset0:128 offset1:144
	ds_load_2addr_b64 v[40:43], v48 offset0:160 offset1:176
	ds_load_2addr_b64 v[44:47], v48 offset0:192 offset1:208
	ds_load_2addr_b64 v[48:51], v48 offset0:224 offset1:240
	ds_load_2addr_b64 v[52:55], v90 offset0:160 offset1:176
	ds_load_2addr_b64 v[56:59], v90 offset0:192 offset1:208
	ds_load_2addr_b64 v[60:63], v90 offset0:224 offset1:240
	ds_load_2addr_stride64_b64 v[64:67], v92 offset0:16 offset1:20
	v_or_b32_e32 v93, 0x2000, v80
	v_dual_mov_b32 v97, 56 :: v_dual_add_nc_u32 v94, 0x2000, v92
	v_dual_mov_b32 v82, 8 :: v_dual_mov_b32 v99, 0x48
	v_dual_mov_b32 v84, 24 :: v_dual_mov_b32 v101, 0x58
	v_dual_mov_b32 v96, 48 :: v_dual_mov_b32 v103, 0x68
	v_dual_mov_b32 v98, 64 :: v_dual_mov_b32 v105, 0x78
	v_mov_b32_e32 v100, 0x50
	v_mov_b32_e32 v102, 0x60
	v_mov_b32_e32 v104, 0x70
	v_mov_b32_e32 v106, 0x80
	v_mov_b32_e32 v107, 0x88
	v_mov_b32_e32 v108, 0x90
	v_mov_b32_e32 v109, 0x98
	v_mov_b32_e32 v110, 0xa0
	v_mov_b32_e32 v111, 0xa8
	v_mov_b32_e32 v112, 0xb0
	v_mov_b32_e32 v113, 0xb8
	v_mov_b32_e32 v114, 0xc0
	v_mov_b32_e32 v115, 0xc8
	v_mov_b32_e32 v116, 0xd0
	v_mov_b32_e32 v117, 0xd8
	v_mov_b32_e32 v118, 0xe0
	v_mov_b32_e32 v119, 0xe8
	v_mov_b32_e32 v120, 0xf0
	v_mov_b32_e32 v121, 0xf8
	s_mov_b64 s[6:7], 0
	s_mov_b32 s18, -1
.LBB151_25:                             ; =>This Inner Loop Header: Depth=1
	scratch_load_b64 v[122:123], v81, off
	scratch_load_b64 v[124:125], v82, off
	;; [unrolled: 1-line block ×32, first 2 shown]
	s_cmp_eq_u32 s6, 1
	s_waitcnt lgkmcnt(16)
	v_max_f64 v[188:189], v[0:1], v[0:1]
	s_cselect_b32 vcc_lo, -1, 0
	v_max_f64 v[190:191], v[2:3], v[2:3]
	s_waitcnt lgkmcnt(0)
	v_dual_cndmask_b32 v187, v65, v67 :: v_dual_cndmask_b32 v186, v64, v66
	v_max_f64 v[192:193], v[4:5], v[4:5]
	v_max_f64 v[194:195], v[6:7], v[6:7]
	;; [unrolled: 1-line block ×31, first 2 shown]
	s_mov_b64 s[6:7], 1
	s_and_b32 vcc_lo, exec_lo, s18
	s_mov_b32 s18, 0
	v_min_f64 v[188:189], v[188:189], v[186:187]
	v_min_f64 v[190:191], v[190:191], v[186:187]
	;; [unrolled: 1-line block ×32, first 2 shown]
	s_waitcnt vmcnt(31)
	v_add_f64 v[122:123], v[122:123], v[188:189]
	s_waitcnt vmcnt(30)
	v_add_f64 v[124:125], v[190:191], v[124:125]
	s_waitcnt vmcnt(29)
	v_add_f64 v[126:127], v[192:193], v[126:127]
	s_waitcnt vmcnt(28)
	v_add_f64 v[128:129], v[194:195], v[128:129]
	s_waitcnt vmcnt(27)
	v_add_f64 v[130:131], v[196:197], v[130:131]
	s_waitcnt vmcnt(26)
	v_add_f64 v[132:133], v[198:199], v[132:133]
	s_waitcnt vmcnt(25)
	v_add_f64 v[134:135], v[200:201], v[134:135]
	s_waitcnt vmcnt(24)
	v_add_f64 v[136:137], v[202:203], v[136:137]
	s_waitcnt vmcnt(23)
	v_add_f64 v[138:139], v[204:205], v[138:139]
	s_waitcnt vmcnt(22)
	v_add_f64 v[140:141], v[206:207], v[140:141]
	s_waitcnt vmcnt(21)
	v_add_f64 v[142:143], v[208:209], v[142:143]
	s_waitcnt vmcnt(20)
	v_add_f64 v[144:145], v[210:211], v[144:145]
	s_waitcnt vmcnt(19)
	v_add_f64 v[146:147], v[212:213], v[146:147]
	s_waitcnt vmcnt(18)
	v_add_f64 v[148:149], v[214:215], v[148:149]
	s_waitcnt vmcnt(17)
	v_add_f64 v[150:151], v[216:217], v[150:151]
	s_waitcnt vmcnt(16)
	v_add_f64 v[152:153], v[218:219], v[152:153]
	s_waitcnt vmcnt(15)
	v_add_f64 v[154:155], v[220:221], v[154:155]
	s_waitcnt vmcnt(14)
	v_add_f64 v[156:157], v[222:223], v[156:157]
	s_waitcnt vmcnt(13)
	v_add_f64 v[158:159], v[224:225], v[158:159]
	s_waitcnt vmcnt(12)
	v_add_f64 v[160:161], v[226:227], v[160:161]
	s_waitcnt vmcnt(11)
	v_add_f64 v[162:163], v[228:229], v[162:163]
	s_waitcnt vmcnt(10)
	v_add_f64 v[164:165], v[230:231], v[164:165]
	s_waitcnt vmcnt(9)
	v_add_f64 v[166:167], v[232:233], v[166:167]
	s_waitcnt vmcnt(8)
	v_add_f64 v[168:169], v[234:235], v[168:169]
	s_waitcnt vmcnt(7)
	v_add_f64 v[170:171], v[236:237], v[170:171]
	s_waitcnt vmcnt(6)
	v_add_f64 v[172:173], v[238:239], v[172:173]
	s_waitcnt vmcnt(5)
	v_add_f64 v[174:175], v[240:241], v[174:175]
	s_waitcnt vmcnt(4)
	v_add_f64 v[176:177], v[242:243], v[176:177]
	s_waitcnt vmcnt(3)
	v_add_f64 v[178:179], v[244:245], v[178:179]
	s_waitcnt vmcnt(2)
	v_add_f64 v[180:181], v[246:247], v[180:181]
	s_waitcnt vmcnt(1)
	v_add_f64 v[182:183], v[248:249], v[182:183]
	s_waitcnt vmcnt(0)
	v_add_f64 v[184:185], v[186:187], v[184:185]
	scratch_store_b64 v81, v[122:123], off
	scratch_store_b64 v82, v[124:125], off
	;; [unrolled: 1-line block ×32, first 2 shown]
	v_mov_b32_e32 v81, 0x100
	v_mov_b32_e32 v82, 0x108
	;; [unrolled: 1-line block ×32, first 2 shown]
	s_cbranch_vccnz .LBB151_25
; %bb.26:
	v_dual_mov_b32 v81, 0 :: v_dual_add_nc_u32 v60, 0x800, v90
	ds_load_2addr_b64 v[0:3], v90 offset0:1 offset1:17
	ds_load_2addr_b64 v[4:7], v90 offset0:33 offset1:49
	;; [unrolled: 1-line block ×12, first 2 shown]
	v_dual_mov_b32 v83, 16 :: v_dual_add_nc_u32 v64, 8, v94
	ds_load_2addr_b64 v[48:51], v60 offset0:129 offset1:145
	ds_load_2addr_b64 v[52:55], v60 offset0:161 offset1:177
	;; [unrolled: 1-line block ×4, first 2 shown]
	ds_load_2addr_stride64_b64 v[64:67], v64 offset1:4
	v_dual_mov_b32 v82, 8 :: v_dual_mov_b32 v85, 32
	v_dual_mov_b32 v84, 24 :: v_dual_mov_b32 v95, 40
	;; [unrolled: 1-line block ×4, first 2 shown]
	v_mov_b32_e32 v100, 0x50
	v_mov_b32_e32 v101, 0x58
	;; [unrolled: 1-line block ×22, first 2 shown]
	s_mov_b64 s[6:7], 0
	s_mov_b32 s18, -1
.LBB151_27:                             ; =>This Inner Loop Header: Depth=1
	scratch_load_b64 v[122:123], v81, off
	scratch_load_b64 v[124:125], v82, off
	;; [unrolled: 1-line block ×32, first 2 shown]
	s_cmp_eq_u32 s6, 1
	s_waitcnt lgkmcnt(16)
	v_max_f64 v[188:189], v[0:1], v[0:1]
	s_cselect_b32 vcc_lo, -1, 0
	v_max_f64 v[190:191], v[2:3], v[2:3]
	s_waitcnt lgkmcnt(0)
	v_dual_cndmask_b32 v187, v65, v67 :: v_dual_cndmask_b32 v186, v64, v66
	v_max_f64 v[192:193], v[4:5], v[4:5]
	v_max_f64 v[194:195], v[6:7], v[6:7]
	;; [unrolled: 1-line block ×31, first 2 shown]
	s_mov_b64 s[6:7], 1
	s_and_b32 vcc_lo, exec_lo, s18
	s_mov_b32 s18, 0
	v_min_f64 v[188:189], v[188:189], v[186:187]
	v_min_f64 v[190:191], v[190:191], v[186:187]
	;; [unrolled: 1-line block ×32, first 2 shown]
	s_waitcnt vmcnt(31)
	v_add_f64 v[122:123], v[122:123], v[188:189]
	s_waitcnt vmcnt(30)
	v_add_f64 v[124:125], v[190:191], v[124:125]
	;; [unrolled: 2-line block ×32, first 2 shown]
	scratch_store_b64 v81, v[122:123], off
	scratch_store_b64 v82, v[124:125], off
	;; [unrolled: 1-line block ×32, first 2 shown]
	v_mov_b32_e32 v81, 0x100
	v_mov_b32_e32 v82, 0x108
	;; [unrolled: 1-line block ×32, first 2 shown]
	s_cbranch_vccnz .LBB151_27
; %bb.28:
	v_dual_mov_b32 v81, 0 :: v_dual_add_nc_u32 v60, 0x800, v90
	ds_load_2addr_b64 v[0:3], v90 offset0:2 offset1:18
	ds_load_2addr_b64 v[4:7], v90 offset0:34 offset1:50
	;; [unrolled: 1-line block ×12, first 2 shown]
	v_dual_mov_b32 v83, 16 :: v_dual_add_nc_u32 v64, 16, v94
	ds_load_2addr_b64 v[48:51], v60 offset0:130 offset1:146
	ds_load_2addr_b64 v[52:55], v60 offset0:162 offset1:178
	;; [unrolled: 1-line block ×4, first 2 shown]
	ds_load_2addr_stride64_b64 v[64:67], v64 offset1:4
	v_dual_mov_b32 v82, 8 :: v_dual_mov_b32 v85, 32
	v_dual_mov_b32 v84, 24 :: v_dual_mov_b32 v95, 40
	;; [unrolled: 1-line block ×4, first 2 shown]
	v_mov_b32_e32 v100, 0x50
	v_mov_b32_e32 v101, 0x58
	;; [unrolled: 1-line block ×22, first 2 shown]
	s_mov_b64 s[6:7], 0
	s_mov_b32 s18, -1
.LBB151_29:                             ; =>This Inner Loop Header: Depth=1
	scratch_load_b64 v[122:123], v81, off
	scratch_load_b64 v[124:125], v82, off
	;; [unrolled: 1-line block ×32, first 2 shown]
	s_cmp_eq_u32 s6, 1
	s_waitcnt lgkmcnt(16)
	v_max_f64 v[188:189], v[0:1], v[0:1]
	s_cselect_b32 vcc_lo, -1, 0
	v_max_f64 v[190:191], v[2:3], v[2:3]
	s_waitcnt lgkmcnt(0)
	v_dual_cndmask_b32 v187, v65, v67 :: v_dual_cndmask_b32 v186, v64, v66
	v_max_f64 v[192:193], v[4:5], v[4:5]
	v_max_f64 v[194:195], v[6:7], v[6:7]
	;; [unrolled: 1-line block ×31, first 2 shown]
	s_mov_b64 s[6:7], 1
	s_and_b32 vcc_lo, exec_lo, s18
	s_mov_b32 s18, 0
	v_min_f64 v[188:189], v[188:189], v[186:187]
	v_min_f64 v[190:191], v[190:191], v[186:187]
	;; [unrolled: 1-line block ×32, first 2 shown]
	s_waitcnt vmcnt(31)
	v_add_f64 v[122:123], v[122:123], v[188:189]
	s_waitcnt vmcnt(30)
	v_add_f64 v[124:125], v[190:191], v[124:125]
	;; [unrolled: 2-line block ×32, first 2 shown]
	scratch_store_b64 v81, v[122:123], off
	scratch_store_b64 v82, v[124:125], off
	;; [unrolled: 1-line block ×32, first 2 shown]
	v_mov_b32_e32 v81, 0x100
	v_mov_b32_e32 v82, 0x108
	;; [unrolled: 1-line block ×32, first 2 shown]
	s_cbranch_vccnz .LBB151_29
; %bb.30:
	v_dual_mov_b32 v81, 0 :: v_dual_add_nc_u32 v60, 0x800, v90
	ds_load_2addr_b64 v[0:3], v90 offset0:3 offset1:19
	ds_load_2addr_b64 v[4:7], v90 offset0:35 offset1:51
	ds_load_2addr_b64 v[8:11], v90 offset0:67 offset1:83
	ds_load_2addr_b64 v[12:15], v90 offset0:99 offset1:115
	ds_load_2addr_b64 v[16:19], v90 offset0:131 offset1:147
	ds_load_2addr_b64 v[20:23], v90 offset0:163 offset1:179
	ds_load_2addr_b64 v[24:27], v90 offset0:195 offset1:211
	ds_load_2addr_b64 v[28:31], v90 offset0:227 offset1:243
	ds_load_2addr_b64 v[32:35], v60 offset0:3 offset1:19
	ds_load_2addr_b64 v[36:39], v60 offset0:35 offset1:51
	ds_load_2addr_b64 v[40:43], v60 offset0:67 offset1:83
	ds_load_2addr_b64 v[44:47], v60 offset0:99 offset1:115
	v_dual_mov_b32 v83, 16 :: v_dual_add_nc_u32 v64, 24, v94
	ds_load_2addr_b64 v[48:51], v60 offset0:131 offset1:147
	ds_load_2addr_b64 v[52:55], v60 offset0:163 offset1:179
	;; [unrolled: 1-line block ×4, first 2 shown]
	ds_load_2addr_stride64_b64 v[64:67], v64 offset1:4
	v_dual_mov_b32 v82, 8 :: v_dual_mov_b32 v85, 32
	v_dual_mov_b32 v84, 24 :: v_dual_mov_b32 v95, 40
	;; [unrolled: 1-line block ×4, first 2 shown]
	v_mov_b32_e32 v100, 0x50
	v_mov_b32_e32 v101, 0x58
	;; [unrolled: 1-line block ×22, first 2 shown]
	s_mov_b64 s[6:7], 0
	s_mov_b32 s18, -1
.LBB151_31:                             ; =>This Inner Loop Header: Depth=1
	scratch_load_b64 v[122:123], v81, off
	scratch_load_b64 v[124:125], v82, off
	;; [unrolled: 1-line block ×32, first 2 shown]
	s_cmp_eq_u32 s6, 1
	s_waitcnt lgkmcnt(16)
	v_max_f64 v[188:189], v[0:1], v[0:1]
	s_cselect_b32 vcc_lo, -1, 0
	v_max_f64 v[190:191], v[2:3], v[2:3]
	s_waitcnt lgkmcnt(0)
	v_dual_cndmask_b32 v187, v65, v67 :: v_dual_cndmask_b32 v186, v64, v66
	v_max_f64 v[192:193], v[4:5], v[4:5]
	v_max_f64 v[194:195], v[6:7], v[6:7]
	;; [unrolled: 1-line block ×31, first 2 shown]
	s_mov_b64 s[6:7], 1
	s_and_b32 vcc_lo, exec_lo, s18
	s_mov_b32 s18, 0
	v_min_f64 v[188:189], v[188:189], v[186:187]
	v_min_f64 v[190:191], v[190:191], v[186:187]
	;; [unrolled: 1-line block ×32, first 2 shown]
	s_waitcnt vmcnt(31)
	v_add_f64 v[122:123], v[122:123], v[188:189]
	s_waitcnt vmcnt(30)
	v_add_f64 v[124:125], v[190:191], v[124:125]
	;; [unrolled: 2-line block ×32, first 2 shown]
	scratch_store_b64 v81, v[122:123], off
	scratch_store_b64 v82, v[124:125], off
	;; [unrolled: 1-line block ×32, first 2 shown]
	v_mov_b32_e32 v81, 0x100
	v_mov_b32_e32 v82, 0x108
	;; [unrolled: 1-line block ×32, first 2 shown]
	s_cbranch_vccnz .LBB151_31
; %bb.32:
	s_cmp_gt_i32 s42, 8
	s_mov_b32 s18, 8
	ds_store_2addr_stride64_b64 v91, v[70:71], v[68:69] offset0:8 offset1:12
	ds_store_2addr_stride64_b64 v80, v[76:77], v[72:73] offset0:24 offset1:28
	s_waitcnt lgkmcnt(0)
	s_waitcnt_vscnt null, 0x0
	s_barrier
	buffer_gl0_inv
	s_cbranch_scc0 .LBB151_67
; %bb.33:
	v_mad_i64_i32 v[0:1], null, v78, s19, 0
	v_mad_i64_i32 v[2:3], null, v79, s19, 0
	v_lshl_add_u32 v97, v86, 5, 0x1000
	v_lshlrev_b64 v[74:75], 3, v[74:75]
	v_add_nc_u32_e32 v95, 0x1000, v91
	v_or_b32_e32 v96, 0x3000, v80
	v_lshlrev_b64 v[68:69], 3, v[0:1]
	v_lshl_add_u32 v98, v87, 5, 0x3000
	v_lshlrev_b64 v[70:71], 3, v[2:3]
	v_mov_b32_e32 v73, 0
	v_add_nc_u32_e32 v103, 0x800, v97
	s_add_i32 s19, s42, -8
	v_add_co_u32 v99, vcc_lo, s12, v68
	v_add_co_ci_u32_e32 v100, vcc_lo, s13, v69, vcc_lo
	v_add_co_u32 v101, vcc_lo, s12, v70
	v_add_co_ci_u32_e32 v102, vcc_lo, s13, v71, vcc_lo
	s_mov_b32 s20, 0
.LBB151_34:                             ; =>This Loop Header: Depth=1
                                        ;     Child Loop BB151_43 Depth 2
                                        ;     Child Loop BB151_45 Depth 2
	;; [unrolled: 1-line block ×8, first 2 shown]
	v_or_b32_e32 v72, s18, v88
	v_mov_b32_e32 v76, 0
	v_mov_b32_e32 v77, 0
	s_delay_alu instid0(VALU_DEP_3) | instskip(SKIP_1) | instid1(VALU_DEP_3)
	v_lshlrev_b64 v[0:1], 3, v[72:73]
	v_cmp_le_i32_e32 vcc_lo, s42, v72
	v_dual_mov_b32 v81, v77 :: v_dual_mov_b32 v80, v76
	s_delay_alu instid0(VALU_DEP_3) | instskip(NEXT) | instid1(VALU_DEP_1)
	v_add_co_u32 v0, s6, s12, v0
	v_add_co_ci_u32_e64 v1, s6, s13, v1, s6
	s_or_b32 s6, s2, vcc_lo
	s_delay_alu instid0(SALU_CYCLE_1) | instskip(NEXT) | instid1(SALU_CYCLE_1)
	s_xor_b32 s6, s6, -1
	s_and_saveexec_b32 s7, s6
	s_cbranch_execz .LBB151_36
; %bb.35:                               ;   in Loop: Header=BB151_34 Depth=1
	v_add_co_u32 v2, s6, v0, v68
	s_delay_alu instid0(VALU_DEP_1)
	v_add_co_ci_u32_e64 v3, s6, v1, v69, s6
	flat_load_b64 v[80:81], v[2:3]
.LBB151_36:                             ;   in Loop: Header=BB151_34 Depth=1
	s_or_b32 exec_lo, exec_lo, s7
	s_or_b32 s6, s3, vcc_lo
	s_delay_alu instid0(SALU_CYCLE_1) | instskip(NEXT) | instid1(SALU_CYCLE_1)
	s_xor_b32 s7, s6, -1
	s_and_saveexec_b32 s6, s7
	s_cbranch_execz .LBB151_38
; %bb.37:                               ;   in Loop: Header=BB151_34 Depth=1
	v_add_co_u32 v0, vcc_lo, v0, v70
	v_add_co_ci_u32_e32 v1, vcc_lo, v1, v71, vcc_lo
	flat_load_b64 v[76:77], v[0:1]
.LBB151_38:                             ;   in Loop: Header=BB151_34 Depth=1
	s_or_b32 exec_lo, exec_lo, s6
	v_add_nc_u32_e32 v4, s18, v89
	v_mov_b32_e32 v82, 0
	v_mov_b32_e32 v83, 0
	s_delay_alu instid0(VALU_DEP_3) | instskip(NEXT) | instid1(VALU_DEP_2)
	v_mad_u64_u32 v[0:1], null, v4, s16, 0
	v_dual_mov_b32 v85, v83 :: v_dual_mov_b32 v84, v82
	s_delay_alu instid0(VALU_DEP_2) | instskip(NEXT) | instid1(VALU_DEP_1)
	v_mad_u64_u32 v[2:3], null, v4, s17, v[1:2]
	v_mov_b32_e32 v1, v2
	v_cmp_le_i32_e32 vcc_lo, s42, v4
	s_delay_alu instid0(VALU_DEP_2) | instskip(NEXT) | instid1(VALU_DEP_1)
	v_lshlrev_b64 v[0:1], 3, v[0:1]
	v_add_co_u32 v0, s6, s10, v0
	s_delay_alu instid0(VALU_DEP_1) | instskip(SKIP_1) | instid1(SALU_CYCLE_1)
	v_add_co_ci_u32_e64 v1, s6, s11, v1, s6
	s_or_b32 s6, s4, vcc_lo
	s_xor_b32 s6, s6, -1
	s_delay_alu instid0(SALU_CYCLE_1)
	s_and_saveexec_b32 s7, s6
	s_cbranch_execz .LBB151_40
; %bb.39:                               ;   in Loop: Header=BB151_34 Depth=1
	v_add_co_u32 v2, s6, v0, v74
	s_delay_alu instid0(VALU_DEP_1)
	v_add_co_ci_u32_e64 v3, s6, v1, v75, s6
	flat_load_b64 v[84:85], v[2:3]
.LBB151_40:                             ;   in Loop: Header=BB151_34 Depth=1
	s_or_b32 exec_lo, exec_lo, s7
	s_or_b32 s6, s5, vcc_lo
	s_delay_alu instid0(SALU_CYCLE_1) | instskip(NEXT) | instid1(SALU_CYCLE_1)
	s_xor_b32 s7, s6, -1
	s_and_saveexec_b32 s6, s7
	s_cbranch_execz .LBB151_42
; %bb.41:                               ;   in Loop: Header=BB151_34 Depth=1
	v_add_co_u32 v0, vcc_lo, v0, v74
	v_add_co_ci_u32_e32 v1, vcc_lo, v1, v75, vcc_lo
	flat_load_b64 v[82:83], v[0:1] offset:512
.LBB151_42:                             ;   in Loop: Header=BB151_34 Depth=1
	s_or_b32 exec_lo, exec_lo, s6
	ds_load_2addr_b64 v[0:3], v97 offset1:16
	ds_load_2addr_b64 v[4:7], v97 offset0:32 offset1:48
	ds_load_2addr_b64 v[8:11], v97 offset0:64 offset1:80
	;; [unrolled: 1-line block ×7, first 2 shown]
	ds_load_2addr_b64 v[32:35], v103 offset1:16
	ds_load_2addr_b64 v[36:39], v103 offset0:32 offset1:48
	ds_load_2addr_b64 v[40:43], v103 offset0:64 offset1:80
	ds_load_2addr_b64 v[44:47], v103 offset0:96 offset1:112
	ds_load_2addr_b64 v[48:51], v103 offset0:128 offset1:144
	ds_load_2addr_b64 v[52:55], v103 offset0:160 offset1:176
	ds_load_2addr_b64 v[56:59], v103 offset0:192 offset1:208
	ds_load_2addr_b64 v[60:63], v103 offset0:224 offset1:240
	ds_load_2addr_stride64_b64 v[64:67], v98 offset1:4
	v_dual_mov_b32 v133, 0 :: v_dual_mov_b32 v132, 8
	v_dual_mov_b32 v131, 16 :: v_dual_mov_b32 v130, 24
	;; [unrolled: 1-line block ×5, first 2 shown]
	v_mov_b32_e32 v123, 0x50
	v_mov_b32_e32 v122, 0x58
	;; [unrolled: 1-line block ×22, first 2 shown]
	s_mov_b64 s[6:7], 0
	s_mov_b32 s21, -1
.LBB151_43:                             ;   Parent Loop BB151_34 Depth=1
                                        ; =>  This Inner Loop Header: Depth=2
	scratch_load_b64 v[138:139], v133, off
	s_cmp_eq_u32 s6, 1
	s_waitcnt lgkmcnt(16)
	v_max_f64 v[136:137], v[0:1], v[0:1]
	s_cselect_b32 vcc_lo, -1, 0
	s_mov_b64 s[6:7], 1
	s_waitcnt lgkmcnt(0)
	v_dual_cndmask_b32 v135, v65, v67 :: v_dual_cndmask_b32 v134, v64, v66
	s_and_b32 vcc_lo, exec_lo, s21
	s_mov_b32 s21, 0
	s_delay_alu instid0(VALU_DEP_1) | instskip(NEXT) | instid1(VALU_DEP_1)
	v_max_f64 v[134:135], v[134:135], v[134:135]
	v_min_f64 v[136:137], v[136:137], v[134:135]
	s_waitcnt vmcnt(0)
	s_delay_alu instid0(VALU_DEP_1) | instskip(SKIP_3) | instid1(VALU_DEP_1)
	v_add_f64 v[136:137], v[138:139], v[136:137]
	scratch_load_b64 v[138:139], v132, off
	scratch_store_b64 v133, v[136:137], off
	v_max_f64 v[136:137], v[2:3], v[2:3]
	v_min_f64 v[136:137], v[136:137], v[134:135]
	s_waitcnt vmcnt(0)
	s_delay_alu instid0(VALU_DEP_1) | instskip(SKIP_3) | instid1(VALU_DEP_1)
	v_add_f64 v[136:137], v[136:137], v[138:139]
	scratch_store_b64 v132, v[136:137], off
	scratch_load_b64 v[136:137], v131, off
	v_max_f64 v[132:133], v[4:5], v[4:5]
	v_min_f64 v[132:133], v[132:133], v[134:135]
	s_waitcnt vmcnt(0)
	s_delay_alu instid0(VALU_DEP_1) | instskip(SKIP_3) | instid1(VALU_DEP_1)
	v_add_f64 v[132:133], v[132:133], v[136:137]
	scratch_load_b64 v[136:137], v130, off
	scratch_store_b64 v131, v[132:133], off
	v_max_f64 v[131:132], v[6:7], v[6:7]
	v_min_f64 v[131:132], v[131:132], v[134:135]
	s_waitcnt vmcnt(0)
	s_delay_alu instid0(VALU_DEP_1) | instskip(SKIP_3) | instid1(VALU_DEP_1)
	v_add_f64 v[131:132], v[131:132], v[136:137]
	scratch_store_b64 v130, v[131:132], off
	scratch_load_b64 v[132:133], v129, off
	v_max_f64 v[130:131], v[8:9], v[8:9]
	v_min_f64 v[130:131], v[130:131], v[134:135]
	s_waitcnt vmcnt(0)
	s_delay_alu instid0(VALU_DEP_1) | instskip(SKIP_4) | instid1(VALU_DEP_1)
	v_add_f64 v[130:131], v[130:131], v[132:133]
	v_mov_b32_e32 v133, 0x100
	scratch_store_b64 v129, v[130:131], off
	scratch_load_b64 v[131:132], v128, off
	v_max_f64 v[129:130], v[10:11], v[10:11]
	v_min_f64 v[129:130], v[129:130], v[134:135]
	s_waitcnt vmcnt(0)
	s_delay_alu instid0(VALU_DEP_1) | instskip(SKIP_4) | instid1(VALU_DEP_1)
	v_add_f64 v[129:130], v[129:130], v[131:132]
	v_mov_b32_e32 v132, 0x108
	;; [unrolled: 8-line block ×26, first 2 shown]
	scratch_store_b64 v104, v[105:106], off
	scratch_load_b64 v[106:107], v79, off
	v_max_f64 v[104:105], v[60:61], v[60:61]
	v_min_f64 v[104:105], v[104:105], v[134:135]
	s_waitcnt vmcnt(0)
	s_delay_alu instid0(VALU_DEP_1) | instskip(SKIP_4) | instid1(VALU_DEP_2)
	v_add_f64 v[104:105], v[104:105], v[106:107]
	scratch_load_b64 v[106:107], v78, off
	scratch_store_b64 v79, v[104:105], off
	v_max_f64 v[104:105], v[62:63], v[62:63]
	v_mov_b32_e32 v79, 0x1f0
	v_min_f64 v[104:105], v[104:105], v[134:135]
	s_waitcnt vmcnt(0)
	s_delay_alu instid0(VALU_DEP_1)
	v_add_f64 v[104:105], v[104:105], v[106:107]
	v_mov_b32_e32 v107, 0x1d0
	v_mov_b32_e32 v106, 0x1d8
	scratch_store_b64 v78, v[104:105], off
	v_mov_b32_e32 v105, 0x1e0
	v_mov_b32_e32 v104, 0x1e8
	;; [unrolled: 1-line block ×3, first 2 shown]
	s_cbranch_vccnz .LBB151_43
; %bb.44:                               ;   in Loop: Header=BB151_34 Depth=1
	ds_load_2addr_b64 v[0:3], v97 offset0:1 offset1:17
	ds_load_2addr_b64 v[4:7], v97 offset0:33 offset1:49
	ds_load_2addr_b64 v[8:11], v97 offset0:65 offset1:81
	ds_load_2addr_b64 v[12:15], v97 offset0:97 offset1:113
	ds_load_2addr_b64 v[16:19], v97 offset0:129 offset1:145
	ds_load_2addr_b64 v[20:23], v97 offset0:161 offset1:177
	ds_load_2addr_b64 v[24:27], v97 offset0:193 offset1:209
	ds_load_2addr_b64 v[28:31], v97 offset0:225 offset1:241
	ds_load_2addr_b64 v[32:35], v103 offset0:1 offset1:17
	ds_load_2addr_b64 v[36:39], v103 offset0:33 offset1:49
	ds_load_2addr_b64 v[40:43], v103 offset0:65 offset1:81
	ds_load_2addr_b64 v[44:47], v103 offset0:97 offset1:113
	v_dual_mov_b32 v133, 0 :: v_dual_add_nc_u32 v64, 8, v98
	ds_load_2addr_b64 v[48:51], v103 offset0:129 offset1:145
	ds_load_2addr_b64 v[52:55], v103 offset0:161 offset1:177
	;; [unrolled: 1-line block ×4, first 2 shown]
	ds_load_2addr_stride64_b64 v[64:67], v64 offset1:4
	v_dual_mov_b32 v132, 8 :: v_dual_mov_b32 v131, 16
	v_dual_mov_b32 v130, 24 :: v_dual_mov_b32 v129, 32
	;; [unrolled: 1-line block ×4, first 2 shown]
	v_mov_b32_e32 v124, 0x48
	v_mov_b32_e32 v123, 0x50
	;; [unrolled: 1-line block ×23, first 2 shown]
	s_mov_b64 s[6:7], 0
	s_mov_b32 s21, -1
.LBB151_45:                             ;   Parent Loop BB151_34 Depth=1
                                        ; =>  This Inner Loop Header: Depth=2
	scratch_load_b64 v[138:139], v133, off
	s_cmp_eq_u32 s6, 1
	s_waitcnt lgkmcnt(16)
	v_max_f64 v[136:137], v[0:1], v[0:1]
	s_cselect_b32 vcc_lo, -1, 0
	s_mov_b64 s[6:7], 1
	s_waitcnt lgkmcnt(0)
	v_dual_cndmask_b32 v135, v65, v67 :: v_dual_cndmask_b32 v134, v64, v66
	s_and_b32 vcc_lo, exec_lo, s21
	s_mov_b32 s21, 0
	s_delay_alu instid0(VALU_DEP_1) | instskip(NEXT) | instid1(VALU_DEP_1)
	v_max_f64 v[134:135], v[134:135], v[134:135]
	v_min_f64 v[136:137], v[136:137], v[134:135]
	s_waitcnt vmcnt(0)
	s_delay_alu instid0(VALU_DEP_1) | instskip(SKIP_3) | instid1(VALU_DEP_1)
	v_add_f64 v[136:137], v[138:139], v[136:137]
	scratch_load_b64 v[138:139], v132, off
	scratch_store_b64 v133, v[136:137], off
	v_max_f64 v[136:137], v[2:3], v[2:3]
	v_min_f64 v[136:137], v[136:137], v[134:135]
	s_waitcnt vmcnt(0)
	s_delay_alu instid0(VALU_DEP_1) | instskip(SKIP_3) | instid1(VALU_DEP_1)
	v_add_f64 v[136:137], v[136:137], v[138:139]
	scratch_store_b64 v132, v[136:137], off
	scratch_load_b64 v[136:137], v131, off
	v_max_f64 v[132:133], v[4:5], v[4:5]
	v_min_f64 v[132:133], v[132:133], v[134:135]
	s_waitcnt vmcnt(0)
	s_delay_alu instid0(VALU_DEP_1) | instskip(SKIP_3) | instid1(VALU_DEP_1)
	v_add_f64 v[132:133], v[132:133], v[136:137]
	scratch_load_b64 v[136:137], v130, off
	scratch_store_b64 v131, v[132:133], off
	v_max_f64 v[131:132], v[6:7], v[6:7]
	v_min_f64 v[131:132], v[131:132], v[134:135]
	s_waitcnt vmcnt(0)
	s_delay_alu instid0(VALU_DEP_1) | instskip(SKIP_3) | instid1(VALU_DEP_1)
	v_add_f64 v[131:132], v[131:132], v[136:137]
	scratch_store_b64 v130, v[131:132], off
	scratch_load_b64 v[132:133], v129, off
	v_max_f64 v[130:131], v[8:9], v[8:9]
	v_min_f64 v[130:131], v[130:131], v[134:135]
	s_waitcnt vmcnt(0)
	s_delay_alu instid0(VALU_DEP_1) | instskip(SKIP_4) | instid1(VALU_DEP_1)
	v_add_f64 v[130:131], v[130:131], v[132:133]
	v_mov_b32_e32 v133, 0x100
	scratch_store_b64 v129, v[130:131], off
	scratch_load_b64 v[131:132], v128, off
	v_max_f64 v[129:130], v[10:11], v[10:11]
	v_min_f64 v[129:130], v[129:130], v[134:135]
	s_waitcnt vmcnt(0)
	s_delay_alu instid0(VALU_DEP_1) | instskip(SKIP_4) | instid1(VALU_DEP_1)
	v_add_f64 v[129:130], v[129:130], v[131:132]
	v_mov_b32_e32 v132, 0x108
	;; [unrolled: 8-line block ×26, first 2 shown]
	scratch_store_b64 v104, v[105:106], off
	scratch_load_b64 v[106:107], v79, off
	v_max_f64 v[104:105], v[60:61], v[60:61]
	v_min_f64 v[104:105], v[104:105], v[134:135]
	s_waitcnt vmcnt(0)
	s_delay_alu instid0(VALU_DEP_1) | instskip(SKIP_4) | instid1(VALU_DEP_2)
	v_add_f64 v[104:105], v[104:105], v[106:107]
	scratch_load_b64 v[106:107], v78, off
	scratch_store_b64 v79, v[104:105], off
	v_max_f64 v[104:105], v[62:63], v[62:63]
	v_mov_b32_e32 v79, 0x1f0
	v_min_f64 v[104:105], v[104:105], v[134:135]
	s_waitcnt vmcnt(0)
	s_delay_alu instid0(VALU_DEP_1)
	v_add_f64 v[104:105], v[104:105], v[106:107]
	v_mov_b32_e32 v107, 0x1d0
	v_mov_b32_e32 v106, 0x1d8
	scratch_store_b64 v78, v[104:105], off
	v_mov_b32_e32 v105, 0x1e0
	v_mov_b32_e32 v104, 0x1e8
	;; [unrolled: 1-line block ×3, first 2 shown]
	s_cbranch_vccnz .LBB151_45
; %bb.46:                               ;   in Loop: Header=BB151_34 Depth=1
	ds_load_2addr_b64 v[0:3], v97 offset0:2 offset1:18
	ds_load_2addr_b64 v[4:7], v97 offset0:34 offset1:50
	;; [unrolled: 1-line block ×12, first 2 shown]
	v_dual_mov_b32 v133, 0 :: v_dual_add_nc_u32 v64, 16, v98
	ds_load_2addr_b64 v[48:51], v103 offset0:130 offset1:146
	ds_load_2addr_b64 v[52:55], v103 offset0:162 offset1:178
	;; [unrolled: 1-line block ×4, first 2 shown]
	ds_load_2addr_stride64_b64 v[64:67], v64 offset1:4
	v_dual_mov_b32 v132, 8 :: v_dual_mov_b32 v131, 16
	v_dual_mov_b32 v130, 24 :: v_dual_mov_b32 v129, 32
	;; [unrolled: 1-line block ×4, first 2 shown]
	v_mov_b32_e32 v124, 0x48
	v_mov_b32_e32 v123, 0x50
	;; [unrolled: 1-line block ×23, first 2 shown]
	s_mov_b64 s[6:7], 0
	s_mov_b32 s21, -1
.LBB151_47:                             ;   Parent Loop BB151_34 Depth=1
                                        ; =>  This Inner Loop Header: Depth=2
	scratch_load_b64 v[138:139], v133, off
	s_cmp_eq_u32 s6, 1
	s_waitcnt lgkmcnt(16)
	v_max_f64 v[136:137], v[0:1], v[0:1]
	s_cselect_b32 vcc_lo, -1, 0
	s_mov_b64 s[6:7], 1
	s_waitcnt lgkmcnt(0)
	v_dual_cndmask_b32 v135, v65, v67 :: v_dual_cndmask_b32 v134, v64, v66
	s_and_b32 vcc_lo, exec_lo, s21
	s_mov_b32 s21, 0
	s_delay_alu instid0(VALU_DEP_1) | instskip(NEXT) | instid1(VALU_DEP_1)
	v_max_f64 v[134:135], v[134:135], v[134:135]
	v_min_f64 v[136:137], v[136:137], v[134:135]
	s_waitcnt vmcnt(0)
	s_delay_alu instid0(VALU_DEP_1) | instskip(SKIP_3) | instid1(VALU_DEP_1)
	v_add_f64 v[136:137], v[138:139], v[136:137]
	scratch_load_b64 v[138:139], v132, off
	scratch_store_b64 v133, v[136:137], off
	v_max_f64 v[136:137], v[2:3], v[2:3]
	v_min_f64 v[136:137], v[136:137], v[134:135]
	s_waitcnt vmcnt(0)
	s_delay_alu instid0(VALU_DEP_1) | instskip(SKIP_3) | instid1(VALU_DEP_1)
	v_add_f64 v[136:137], v[136:137], v[138:139]
	scratch_store_b64 v132, v[136:137], off
	scratch_load_b64 v[136:137], v131, off
	v_max_f64 v[132:133], v[4:5], v[4:5]
	v_min_f64 v[132:133], v[132:133], v[134:135]
	s_waitcnt vmcnt(0)
	s_delay_alu instid0(VALU_DEP_1) | instskip(SKIP_3) | instid1(VALU_DEP_1)
	v_add_f64 v[132:133], v[132:133], v[136:137]
	scratch_load_b64 v[136:137], v130, off
	scratch_store_b64 v131, v[132:133], off
	v_max_f64 v[131:132], v[6:7], v[6:7]
	v_min_f64 v[131:132], v[131:132], v[134:135]
	s_waitcnt vmcnt(0)
	s_delay_alu instid0(VALU_DEP_1) | instskip(SKIP_3) | instid1(VALU_DEP_1)
	v_add_f64 v[131:132], v[131:132], v[136:137]
	scratch_store_b64 v130, v[131:132], off
	scratch_load_b64 v[132:133], v129, off
	v_max_f64 v[130:131], v[8:9], v[8:9]
	v_min_f64 v[130:131], v[130:131], v[134:135]
	s_waitcnt vmcnt(0)
	s_delay_alu instid0(VALU_DEP_1) | instskip(SKIP_4) | instid1(VALU_DEP_1)
	v_add_f64 v[130:131], v[130:131], v[132:133]
	v_mov_b32_e32 v133, 0x100
	scratch_store_b64 v129, v[130:131], off
	scratch_load_b64 v[131:132], v128, off
	v_max_f64 v[129:130], v[10:11], v[10:11]
	v_min_f64 v[129:130], v[129:130], v[134:135]
	s_waitcnt vmcnt(0)
	s_delay_alu instid0(VALU_DEP_1) | instskip(SKIP_4) | instid1(VALU_DEP_1)
	v_add_f64 v[129:130], v[129:130], v[131:132]
	v_mov_b32_e32 v132, 0x108
	;; [unrolled: 8-line block ×26, first 2 shown]
	scratch_store_b64 v104, v[105:106], off
	scratch_load_b64 v[106:107], v79, off
	v_max_f64 v[104:105], v[60:61], v[60:61]
	v_min_f64 v[104:105], v[104:105], v[134:135]
	s_waitcnt vmcnt(0)
	s_delay_alu instid0(VALU_DEP_1) | instskip(SKIP_4) | instid1(VALU_DEP_2)
	v_add_f64 v[104:105], v[104:105], v[106:107]
	scratch_load_b64 v[106:107], v78, off
	scratch_store_b64 v79, v[104:105], off
	v_max_f64 v[104:105], v[62:63], v[62:63]
	v_mov_b32_e32 v79, 0x1f0
	v_min_f64 v[104:105], v[104:105], v[134:135]
	s_waitcnt vmcnt(0)
	s_delay_alu instid0(VALU_DEP_1)
	v_add_f64 v[104:105], v[104:105], v[106:107]
	v_mov_b32_e32 v107, 0x1d0
	v_mov_b32_e32 v106, 0x1d8
	scratch_store_b64 v78, v[104:105], off
	v_mov_b32_e32 v105, 0x1e0
	v_mov_b32_e32 v104, 0x1e8
	;; [unrolled: 1-line block ×3, first 2 shown]
	s_cbranch_vccnz .LBB151_47
; %bb.48:                               ;   in Loop: Header=BB151_34 Depth=1
	ds_load_2addr_b64 v[0:3], v97 offset0:3 offset1:19
	ds_load_2addr_b64 v[4:7], v97 offset0:35 offset1:51
	;; [unrolled: 1-line block ×12, first 2 shown]
	v_dual_mov_b32 v133, 0 :: v_dual_add_nc_u32 v64, 24, v98
	ds_load_2addr_b64 v[48:51], v103 offset0:131 offset1:147
	ds_load_2addr_b64 v[52:55], v103 offset0:163 offset1:179
	;; [unrolled: 1-line block ×4, first 2 shown]
	ds_load_2addr_stride64_b64 v[64:67], v64 offset1:4
	v_dual_mov_b32 v132, 8 :: v_dual_mov_b32 v131, 16
	v_dual_mov_b32 v130, 24 :: v_dual_mov_b32 v129, 32
	;; [unrolled: 1-line block ×4, first 2 shown]
	v_mov_b32_e32 v124, 0x48
	v_mov_b32_e32 v123, 0x50
	;; [unrolled: 1-line block ×23, first 2 shown]
	s_mov_b64 s[6:7], 0
	s_mov_b32 s21, -1
.LBB151_49:                             ;   Parent Loop BB151_34 Depth=1
                                        ; =>  This Inner Loop Header: Depth=2
	scratch_load_b64 v[138:139], v133, off
	s_cmp_eq_u32 s6, 1
	s_waitcnt lgkmcnt(16)
	v_max_f64 v[136:137], v[0:1], v[0:1]
	s_cselect_b32 vcc_lo, -1, 0
	s_mov_b64 s[6:7], 1
	s_waitcnt lgkmcnt(0)
	v_dual_cndmask_b32 v135, v65, v67 :: v_dual_cndmask_b32 v134, v64, v66
	s_and_b32 vcc_lo, exec_lo, s21
	s_mov_b32 s21, 0
	s_delay_alu instid0(VALU_DEP_1) | instskip(NEXT) | instid1(VALU_DEP_1)
	v_max_f64 v[134:135], v[134:135], v[134:135]
	v_min_f64 v[136:137], v[136:137], v[134:135]
	s_waitcnt vmcnt(0)
	s_delay_alu instid0(VALU_DEP_1) | instskip(SKIP_3) | instid1(VALU_DEP_1)
	v_add_f64 v[136:137], v[138:139], v[136:137]
	scratch_load_b64 v[138:139], v132, off
	scratch_store_b64 v133, v[136:137], off
	v_max_f64 v[136:137], v[2:3], v[2:3]
	v_min_f64 v[136:137], v[136:137], v[134:135]
	s_waitcnt vmcnt(0)
	s_delay_alu instid0(VALU_DEP_1) | instskip(SKIP_3) | instid1(VALU_DEP_1)
	v_add_f64 v[136:137], v[136:137], v[138:139]
	scratch_store_b64 v132, v[136:137], off
	scratch_load_b64 v[136:137], v131, off
	v_max_f64 v[132:133], v[4:5], v[4:5]
	v_min_f64 v[132:133], v[132:133], v[134:135]
	s_waitcnt vmcnt(0)
	s_delay_alu instid0(VALU_DEP_1) | instskip(SKIP_3) | instid1(VALU_DEP_1)
	v_add_f64 v[132:133], v[132:133], v[136:137]
	scratch_load_b64 v[136:137], v130, off
	scratch_store_b64 v131, v[132:133], off
	v_max_f64 v[131:132], v[6:7], v[6:7]
	v_min_f64 v[131:132], v[131:132], v[134:135]
	s_waitcnt vmcnt(0)
	s_delay_alu instid0(VALU_DEP_1) | instskip(SKIP_3) | instid1(VALU_DEP_1)
	v_add_f64 v[131:132], v[131:132], v[136:137]
	scratch_store_b64 v130, v[131:132], off
	scratch_load_b64 v[132:133], v129, off
	v_max_f64 v[130:131], v[8:9], v[8:9]
	v_min_f64 v[130:131], v[130:131], v[134:135]
	s_waitcnt vmcnt(0)
	s_delay_alu instid0(VALU_DEP_1) | instskip(SKIP_4) | instid1(VALU_DEP_1)
	v_add_f64 v[130:131], v[130:131], v[132:133]
	v_mov_b32_e32 v133, 0x100
	scratch_store_b64 v129, v[130:131], off
	scratch_load_b64 v[131:132], v128, off
	v_max_f64 v[129:130], v[10:11], v[10:11]
	v_min_f64 v[129:130], v[129:130], v[134:135]
	s_waitcnt vmcnt(0)
	s_delay_alu instid0(VALU_DEP_1) | instskip(SKIP_4) | instid1(VALU_DEP_1)
	v_add_f64 v[129:130], v[129:130], v[131:132]
	v_mov_b32_e32 v132, 0x108
	;; [unrolled: 8-line block ×26, first 2 shown]
	scratch_store_b64 v104, v[105:106], off
	scratch_load_b64 v[106:107], v79, off
	v_max_f64 v[104:105], v[60:61], v[60:61]
	v_min_f64 v[104:105], v[104:105], v[134:135]
	s_waitcnt vmcnt(0)
	s_delay_alu instid0(VALU_DEP_1) | instskip(SKIP_4) | instid1(VALU_DEP_2)
	v_add_f64 v[104:105], v[104:105], v[106:107]
	scratch_load_b64 v[106:107], v78, off
	scratch_store_b64 v79, v[104:105], off
	v_max_f64 v[104:105], v[62:63], v[62:63]
	v_mov_b32_e32 v79, 0x1f0
	v_min_f64 v[104:105], v[104:105], v[134:135]
	s_waitcnt vmcnt(0)
	s_delay_alu instid0(VALU_DEP_1)
	v_add_f64 v[104:105], v[104:105], v[106:107]
	v_mov_b32_e32 v107, 0x1d0
	v_mov_b32_e32 v106, 0x1d8
	scratch_store_b64 v78, v[104:105], off
	v_mov_b32_e32 v105, 0x1e0
	v_mov_b32_e32 v104, 0x1e8
	;; [unrolled: 1-line block ×3, first 2 shown]
	s_cbranch_vccnz .LBB151_49
; %bb.50:                               ;   in Loop: Header=BB151_34 Depth=1
	v_or_b32_e32 v72, 4, v72
	v_mov_b32_e32 v78, 0
	v_mov_b32_e32 v79, 0
	ds_store_2addr_stride64_b64 v91, v[80:81], v[76:77] offset1:4
	v_mov_b32_e32 v76, v78
	v_cmp_le_i32_e32 vcc_lo, s42, v72
	v_lshlrev_b64 v[0:1], 3, v[72:73]
	v_mov_b32_e32 v77, v79
	ds_store_2addr_stride64_b64 v93, v[84:85], v[82:83] offset1:4
	s_waitcnt lgkmcnt(0)
	s_waitcnt_vscnt null, 0x0
	s_or_b32 s6, s2, vcc_lo
	s_barrier
	s_xor_b32 s6, s6, -1
	buffer_gl0_inv
	s_and_saveexec_b32 s7, s6
	s_delay_alu instid0(SALU_CYCLE_1)
	s_xor_b32 s7, exec_lo, s7
	s_cbranch_execz .LBB151_52
; %bb.51:                               ;   in Loop: Header=BB151_34 Depth=1
	v_add_co_u32 v2, s6, v99, v0
	s_delay_alu instid0(VALU_DEP_1)
	v_add_co_ci_u32_e64 v3, s6, v100, v1, s6
	flat_load_b64 v[76:77], v[2:3]
.LBB151_52:                             ;   in Loop: Header=BB151_34 Depth=1
	s_or_b32 exec_lo, exec_lo, s7
	s_or_b32 s6, s3, vcc_lo
	s_delay_alu instid0(SALU_CYCLE_1) | instskip(NEXT) | instid1(SALU_CYCLE_1)
	s_xor_b32 s7, s6, -1
	s_and_saveexec_b32 s6, s7
	s_cbranch_execz .LBB151_54
; %bb.53:                               ;   in Loop: Header=BB151_34 Depth=1
	v_add_co_u32 v0, vcc_lo, v101, v0
	v_add_co_ci_u32_e32 v1, vcc_lo, v102, v1, vcc_lo
	flat_load_b64 v[78:79], v[0:1]
.LBB151_54:                             ;   in Loop: Header=BB151_34 Depth=1
	s_or_b32 exec_lo, exec_lo, s6
	v_add3_u32 v4, v89, s18, 4
	v_mov_b32_e32 v80, 0
	v_mov_b32_e32 v81, 0
	s_delay_alu instid0(VALU_DEP_3) | instskip(SKIP_1) | instid1(VALU_DEP_3)
	v_mad_u64_u32 v[0:1], null, v4, s16, 0
	v_cmp_le_i32_e32 vcc_lo, s42, v4
	v_dual_mov_b32 v83, v81 :: v_dual_mov_b32 v82, v80
	s_delay_alu instid0(VALU_DEP_3) | instskip(NEXT) | instid1(VALU_DEP_1)
	v_mad_u64_u32 v[2:3], null, v4, s17, v[1:2]
	v_mov_b32_e32 v1, v2
	s_delay_alu instid0(VALU_DEP_1) | instskip(NEXT) | instid1(VALU_DEP_1)
	v_lshlrev_b64 v[0:1], 3, v[0:1]
	v_add_co_u32 v0, s6, s10, v0
	s_delay_alu instid0(VALU_DEP_1) | instskip(SKIP_1) | instid1(SALU_CYCLE_1)
	v_add_co_ci_u32_e64 v1, s6, s11, v1, s6
	s_or_b32 s6, s4, vcc_lo
	s_xor_b32 s6, s6, -1
	s_delay_alu instid0(SALU_CYCLE_1)
	s_and_saveexec_b32 s7, s6
	s_cbranch_execz .LBB151_56
; %bb.55:                               ;   in Loop: Header=BB151_34 Depth=1
	v_add_co_u32 v2, s6, v0, v74
	s_delay_alu instid0(VALU_DEP_1)
	v_add_co_ci_u32_e64 v3, s6, v1, v75, s6
	flat_load_b64 v[82:83], v[2:3]
.LBB151_56:                             ;   in Loop: Header=BB151_34 Depth=1
	s_or_b32 exec_lo, exec_lo, s7
	s_or_b32 s6, s5, vcc_lo
	s_delay_alu instid0(SALU_CYCLE_1) | instskip(NEXT) | instid1(SALU_CYCLE_1)
	s_xor_b32 s7, s6, -1
	s_and_saveexec_b32 s6, s7
	s_cbranch_execz .LBB151_58
; %bb.57:                               ;   in Loop: Header=BB151_34 Depth=1
	v_add_co_u32 v0, vcc_lo, v0, v74
	v_add_co_ci_u32_e32 v1, vcc_lo, v1, v75, vcc_lo
	flat_load_b64 v[80:81], v[0:1] offset:512
.LBB151_58:                             ;   in Loop: Header=BB151_34 Depth=1
	s_or_b32 exec_lo, exec_lo, s6
	v_dual_mov_b32 v133, 0 :: v_dual_add_nc_u32 v72, 0x800, v90
	ds_load_2addr_b64 v[0:3], v90 offset1:16
	ds_load_2addr_b64 v[4:7], v90 offset0:32 offset1:48
	ds_load_2addr_b64 v[8:11], v90 offset0:64 offset1:80
	;; [unrolled: 1-line block ×7, first 2 shown]
	ds_load_2addr_b64 v[32:35], v72 offset1:16
	ds_load_2addr_b64 v[36:39], v72 offset0:32 offset1:48
	ds_load_2addr_b64 v[40:43], v72 offset0:64 offset1:80
	;; [unrolled: 1-line block ×7, first 2 shown]
	ds_load_2addr_stride64_b64 v[64:67], v94 offset1:4
	v_dual_mov_b32 v132, 8 :: v_dual_mov_b32 v131, 16
	v_dual_mov_b32 v130, 24 :: v_dual_mov_b32 v129, 32
	;; [unrolled: 1-line block ×4, first 2 shown]
	v_mov_b32_e32 v124, 0x48
	v_mov_b32_e32 v123, 0x50
	;; [unrolled: 1-line block ×23, first 2 shown]
	s_mov_b64 s[6:7], 0
	s_mov_b32 s21, -1
.LBB151_59:                             ;   Parent Loop BB151_34 Depth=1
                                        ; =>  This Inner Loop Header: Depth=2
	scratch_load_b64 v[138:139], v133, off
	s_cmp_eq_u32 s6, 1
	s_waitcnt lgkmcnt(16)
	v_max_f64 v[136:137], v[0:1], v[0:1]
	s_cselect_b32 vcc_lo, -1, 0
	s_mov_b64 s[6:7], 1
	s_waitcnt lgkmcnt(0)
	v_dual_cndmask_b32 v135, v65, v67 :: v_dual_cndmask_b32 v134, v64, v66
	s_and_b32 vcc_lo, exec_lo, s21
	s_mov_b32 s21, 0
	s_delay_alu instid0(VALU_DEP_1) | instskip(NEXT) | instid1(VALU_DEP_1)
	v_max_f64 v[134:135], v[134:135], v[134:135]
	v_min_f64 v[136:137], v[136:137], v[134:135]
	s_waitcnt vmcnt(0)
	s_delay_alu instid0(VALU_DEP_1) | instskip(SKIP_3) | instid1(VALU_DEP_1)
	v_add_f64 v[136:137], v[138:139], v[136:137]
	scratch_load_b64 v[138:139], v132, off
	scratch_store_b64 v133, v[136:137], off
	v_max_f64 v[136:137], v[2:3], v[2:3]
	v_min_f64 v[136:137], v[136:137], v[134:135]
	s_waitcnt vmcnt(0)
	s_delay_alu instid0(VALU_DEP_1) | instskip(SKIP_3) | instid1(VALU_DEP_1)
	v_add_f64 v[136:137], v[136:137], v[138:139]
	scratch_store_b64 v132, v[136:137], off
	scratch_load_b64 v[136:137], v131, off
	v_max_f64 v[132:133], v[4:5], v[4:5]
	v_min_f64 v[132:133], v[132:133], v[134:135]
	s_waitcnt vmcnt(0)
	s_delay_alu instid0(VALU_DEP_1) | instskip(SKIP_3) | instid1(VALU_DEP_1)
	v_add_f64 v[132:133], v[132:133], v[136:137]
	scratch_load_b64 v[136:137], v130, off
	scratch_store_b64 v131, v[132:133], off
	v_max_f64 v[131:132], v[6:7], v[6:7]
	v_min_f64 v[131:132], v[131:132], v[134:135]
	s_waitcnt vmcnt(0)
	s_delay_alu instid0(VALU_DEP_1) | instskip(SKIP_3) | instid1(VALU_DEP_1)
	v_add_f64 v[131:132], v[131:132], v[136:137]
	scratch_store_b64 v130, v[131:132], off
	scratch_load_b64 v[132:133], v129, off
	v_max_f64 v[130:131], v[8:9], v[8:9]
	v_min_f64 v[130:131], v[130:131], v[134:135]
	s_waitcnt vmcnt(0)
	s_delay_alu instid0(VALU_DEP_1) | instskip(SKIP_4) | instid1(VALU_DEP_1)
	v_add_f64 v[130:131], v[130:131], v[132:133]
	v_mov_b32_e32 v133, 0x100
	scratch_store_b64 v129, v[130:131], off
	scratch_load_b64 v[131:132], v128, off
	v_max_f64 v[129:130], v[10:11], v[10:11]
	v_min_f64 v[129:130], v[129:130], v[134:135]
	s_waitcnt vmcnt(0)
	s_delay_alu instid0(VALU_DEP_1) | instskip(SKIP_4) | instid1(VALU_DEP_1)
	v_add_f64 v[129:130], v[129:130], v[131:132]
	v_mov_b32_e32 v132, 0x108
	;; [unrolled: 8-line block ×26, first 2 shown]
	scratch_store_b64 v104, v[105:106], off
	scratch_load_b64 v[106:107], v85, off
	v_max_f64 v[104:105], v[60:61], v[60:61]
	v_min_f64 v[104:105], v[104:105], v[134:135]
	s_waitcnt vmcnt(0)
	s_delay_alu instid0(VALU_DEP_1) | instskip(SKIP_4) | instid1(VALU_DEP_2)
	v_add_f64 v[104:105], v[104:105], v[106:107]
	scratch_load_b64 v[106:107], v84, off
	scratch_store_b64 v85, v[104:105], off
	v_max_f64 v[104:105], v[62:63], v[62:63]
	v_mov_b32_e32 v85, 0x1f0
	v_min_f64 v[104:105], v[104:105], v[134:135]
	s_waitcnt vmcnt(0)
	s_delay_alu instid0(VALU_DEP_1)
	v_add_f64 v[104:105], v[104:105], v[106:107]
	v_mov_b32_e32 v107, 0x1d0
	v_mov_b32_e32 v106, 0x1d8
	scratch_store_b64 v84, v[104:105], off
	v_mov_b32_e32 v105, 0x1e0
	v_mov_b32_e32 v104, 0x1e8
	;; [unrolled: 1-line block ×3, first 2 shown]
	s_cbranch_vccnz .LBB151_59
; %bb.60:                               ;   in Loop: Header=BB151_34 Depth=1
	ds_load_2addr_b64 v[0:3], v90 offset0:1 offset1:17
	ds_load_2addr_b64 v[4:7], v90 offset0:33 offset1:49
	;; [unrolled: 1-line block ×12, first 2 shown]
	v_dual_mov_b32 v133, 0 :: v_dual_add_nc_u32 v64, 8, v94
	ds_load_2addr_b64 v[48:51], v72 offset0:129 offset1:145
	ds_load_2addr_b64 v[52:55], v72 offset0:161 offset1:177
	;; [unrolled: 1-line block ×4, first 2 shown]
	ds_load_2addr_stride64_b64 v[64:67], v64 offset1:4
	v_dual_mov_b32 v132, 8 :: v_dual_mov_b32 v131, 16
	v_dual_mov_b32 v130, 24 :: v_dual_mov_b32 v129, 32
	;; [unrolled: 1-line block ×4, first 2 shown]
	v_mov_b32_e32 v124, 0x48
	v_mov_b32_e32 v123, 0x50
	;; [unrolled: 1-line block ×23, first 2 shown]
	s_mov_b64 s[6:7], 0
	s_mov_b32 s21, -1
.LBB151_61:                             ;   Parent Loop BB151_34 Depth=1
                                        ; =>  This Inner Loop Header: Depth=2
	scratch_load_b64 v[138:139], v133, off
	s_cmp_eq_u32 s6, 1
	s_waitcnt lgkmcnt(16)
	v_max_f64 v[136:137], v[0:1], v[0:1]
	s_cselect_b32 vcc_lo, -1, 0
	s_mov_b64 s[6:7], 1
	s_waitcnt lgkmcnt(0)
	v_dual_cndmask_b32 v135, v65, v67 :: v_dual_cndmask_b32 v134, v64, v66
	s_and_b32 vcc_lo, exec_lo, s21
	s_mov_b32 s21, 0
	s_delay_alu instid0(VALU_DEP_1) | instskip(NEXT) | instid1(VALU_DEP_1)
	v_max_f64 v[134:135], v[134:135], v[134:135]
	v_min_f64 v[136:137], v[136:137], v[134:135]
	s_waitcnt vmcnt(0)
	s_delay_alu instid0(VALU_DEP_1) | instskip(SKIP_3) | instid1(VALU_DEP_1)
	v_add_f64 v[136:137], v[138:139], v[136:137]
	scratch_load_b64 v[138:139], v132, off
	scratch_store_b64 v133, v[136:137], off
	v_max_f64 v[136:137], v[2:3], v[2:3]
	v_min_f64 v[136:137], v[136:137], v[134:135]
	s_waitcnt vmcnt(0)
	s_delay_alu instid0(VALU_DEP_1) | instskip(SKIP_3) | instid1(VALU_DEP_1)
	v_add_f64 v[136:137], v[136:137], v[138:139]
	scratch_store_b64 v132, v[136:137], off
	scratch_load_b64 v[136:137], v131, off
	v_max_f64 v[132:133], v[4:5], v[4:5]
	v_min_f64 v[132:133], v[132:133], v[134:135]
	s_waitcnt vmcnt(0)
	s_delay_alu instid0(VALU_DEP_1) | instskip(SKIP_3) | instid1(VALU_DEP_1)
	v_add_f64 v[132:133], v[132:133], v[136:137]
	scratch_load_b64 v[136:137], v130, off
	scratch_store_b64 v131, v[132:133], off
	v_max_f64 v[131:132], v[6:7], v[6:7]
	v_min_f64 v[131:132], v[131:132], v[134:135]
	s_waitcnt vmcnt(0)
	s_delay_alu instid0(VALU_DEP_1) | instskip(SKIP_3) | instid1(VALU_DEP_1)
	v_add_f64 v[131:132], v[131:132], v[136:137]
	scratch_store_b64 v130, v[131:132], off
	scratch_load_b64 v[132:133], v129, off
	v_max_f64 v[130:131], v[8:9], v[8:9]
	v_min_f64 v[130:131], v[130:131], v[134:135]
	s_waitcnt vmcnt(0)
	s_delay_alu instid0(VALU_DEP_1) | instskip(SKIP_4) | instid1(VALU_DEP_1)
	v_add_f64 v[130:131], v[130:131], v[132:133]
	v_mov_b32_e32 v133, 0x100
	scratch_store_b64 v129, v[130:131], off
	scratch_load_b64 v[131:132], v128, off
	v_max_f64 v[129:130], v[10:11], v[10:11]
	v_min_f64 v[129:130], v[129:130], v[134:135]
	s_waitcnt vmcnt(0)
	s_delay_alu instid0(VALU_DEP_1) | instskip(SKIP_4) | instid1(VALU_DEP_1)
	v_add_f64 v[129:130], v[129:130], v[131:132]
	v_mov_b32_e32 v132, 0x108
	;; [unrolled: 8-line block ×26, first 2 shown]
	scratch_store_b64 v104, v[105:106], off
	scratch_load_b64 v[106:107], v85, off
	v_max_f64 v[104:105], v[60:61], v[60:61]
	v_min_f64 v[104:105], v[104:105], v[134:135]
	s_waitcnt vmcnt(0)
	s_delay_alu instid0(VALU_DEP_1) | instskip(SKIP_4) | instid1(VALU_DEP_2)
	v_add_f64 v[104:105], v[104:105], v[106:107]
	scratch_load_b64 v[106:107], v84, off
	scratch_store_b64 v85, v[104:105], off
	v_max_f64 v[104:105], v[62:63], v[62:63]
	v_mov_b32_e32 v85, 0x1f0
	v_min_f64 v[104:105], v[104:105], v[134:135]
	s_waitcnt vmcnt(0)
	s_delay_alu instid0(VALU_DEP_1)
	v_add_f64 v[104:105], v[104:105], v[106:107]
	v_mov_b32_e32 v107, 0x1d0
	v_mov_b32_e32 v106, 0x1d8
	scratch_store_b64 v84, v[104:105], off
	v_mov_b32_e32 v105, 0x1e0
	v_mov_b32_e32 v104, 0x1e8
	;; [unrolled: 1-line block ×3, first 2 shown]
	s_cbranch_vccnz .LBB151_61
; %bb.62:                               ;   in Loop: Header=BB151_34 Depth=1
	ds_load_2addr_b64 v[0:3], v90 offset0:2 offset1:18
	ds_load_2addr_b64 v[4:7], v90 offset0:34 offset1:50
	;; [unrolled: 1-line block ×12, first 2 shown]
	v_dual_mov_b32 v133, 0 :: v_dual_add_nc_u32 v64, 16, v94
	ds_load_2addr_b64 v[48:51], v72 offset0:130 offset1:146
	ds_load_2addr_b64 v[52:55], v72 offset0:162 offset1:178
	;; [unrolled: 1-line block ×4, first 2 shown]
	ds_load_2addr_stride64_b64 v[64:67], v64 offset1:4
	v_dual_mov_b32 v132, 8 :: v_dual_mov_b32 v131, 16
	v_dual_mov_b32 v130, 24 :: v_dual_mov_b32 v129, 32
	v_dual_mov_b32 v128, 40 :: v_dual_mov_b32 v127, 48
	v_dual_mov_b32 v126, 56 :: v_dual_mov_b32 v125, 64
	v_mov_b32_e32 v124, 0x48
	v_mov_b32_e32 v123, 0x50
	;; [unrolled: 1-line block ×23, first 2 shown]
	s_mov_b64 s[6:7], 0
	s_mov_b32 s21, -1
.LBB151_63:                             ;   Parent Loop BB151_34 Depth=1
                                        ; =>  This Inner Loop Header: Depth=2
	scratch_load_b64 v[138:139], v133, off
	s_cmp_eq_u32 s6, 1
	s_waitcnt lgkmcnt(16)
	v_max_f64 v[136:137], v[0:1], v[0:1]
	s_cselect_b32 vcc_lo, -1, 0
	s_mov_b64 s[6:7], 1
	s_waitcnt lgkmcnt(0)
	v_dual_cndmask_b32 v135, v65, v67 :: v_dual_cndmask_b32 v134, v64, v66
	s_and_b32 vcc_lo, exec_lo, s21
	s_mov_b32 s21, 0
	s_delay_alu instid0(VALU_DEP_1) | instskip(NEXT) | instid1(VALU_DEP_1)
	v_max_f64 v[134:135], v[134:135], v[134:135]
	v_min_f64 v[136:137], v[136:137], v[134:135]
	s_waitcnt vmcnt(0)
	s_delay_alu instid0(VALU_DEP_1) | instskip(SKIP_3) | instid1(VALU_DEP_1)
	v_add_f64 v[136:137], v[138:139], v[136:137]
	scratch_load_b64 v[138:139], v132, off
	scratch_store_b64 v133, v[136:137], off
	v_max_f64 v[136:137], v[2:3], v[2:3]
	v_min_f64 v[136:137], v[136:137], v[134:135]
	s_waitcnt vmcnt(0)
	s_delay_alu instid0(VALU_DEP_1) | instskip(SKIP_3) | instid1(VALU_DEP_1)
	v_add_f64 v[136:137], v[136:137], v[138:139]
	scratch_store_b64 v132, v[136:137], off
	scratch_load_b64 v[136:137], v131, off
	v_max_f64 v[132:133], v[4:5], v[4:5]
	v_min_f64 v[132:133], v[132:133], v[134:135]
	s_waitcnt vmcnt(0)
	s_delay_alu instid0(VALU_DEP_1) | instskip(SKIP_3) | instid1(VALU_DEP_1)
	v_add_f64 v[132:133], v[132:133], v[136:137]
	scratch_load_b64 v[136:137], v130, off
	scratch_store_b64 v131, v[132:133], off
	v_max_f64 v[131:132], v[6:7], v[6:7]
	v_min_f64 v[131:132], v[131:132], v[134:135]
	s_waitcnt vmcnt(0)
	s_delay_alu instid0(VALU_DEP_1) | instskip(SKIP_3) | instid1(VALU_DEP_1)
	v_add_f64 v[131:132], v[131:132], v[136:137]
	scratch_store_b64 v130, v[131:132], off
	scratch_load_b64 v[132:133], v129, off
	v_max_f64 v[130:131], v[8:9], v[8:9]
	v_min_f64 v[130:131], v[130:131], v[134:135]
	s_waitcnt vmcnt(0)
	s_delay_alu instid0(VALU_DEP_1) | instskip(SKIP_4) | instid1(VALU_DEP_1)
	v_add_f64 v[130:131], v[130:131], v[132:133]
	v_mov_b32_e32 v133, 0x100
	scratch_store_b64 v129, v[130:131], off
	scratch_load_b64 v[131:132], v128, off
	v_max_f64 v[129:130], v[10:11], v[10:11]
	v_min_f64 v[129:130], v[129:130], v[134:135]
	s_waitcnt vmcnt(0)
	s_delay_alu instid0(VALU_DEP_1) | instskip(SKIP_4) | instid1(VALU_DEP_1)
	v_add_f64 v[129:130], v[129:130], v[131:132]
	v_mov_b32_e32 v132, 0x108
	;; [unrolled: 8-line block ×26, first 2 shown]
	scratch_store_b64 v104, v[105:106], off
	scratch_load_b64 v[106:107], v85, off
	v_max_f64 v[104:105], v[60:61], v[60:61]
	v_min_f64 v[104:105], v[104:105], v[134:135]
	s_waitcnt vmcnt(0)
	s_delay_alu instid0(VALU_DEP_1) | instskip(SKIP_4) | instid1(VALU_DEP_2)
	v_add_f64 v[104:105], v[104:105], v[106:107]
	scratch_load_b64 v[106:107], v84, off
	scratch_store_b64 v85, v[104:105], off
	v_max_f64 v[104:105], v[62:63], v[62:63]
	v_mov_b32_e32 v85, 0x1f0
	v_min_f64 v[104:105], v[104:105], v[134:135]
	s_waitcnt vmcnt(0)
	s_delay_alu instid0(VALU_DEP_1)
	v_add_f64 v[104:105], v[104:105], v[106:107]
	v_mov_b32_e32 v107, 0x1d0
	v_mov_b32_e32 v106, 0x1d8
	scratch_store_b64 v84, v[104:105], off
	v_mov_b32_e32 v105, 0x1e0
	v_mov_b32_e32 v104, 0x1e8
	;; [unrolled: 1-line block ×3, first 2 shown]
	s_cbranch_vccnz .LBB151_63
; %bb.64:                               ;   in Loop: Header=BB151_34 Depth=1
	ds_load_2addr_b64 v[0:3], v90 offset0:3 offset1:19
	ds_load_2addr_b64 v[4:7], v90 offset0:35 offset1:51
	;; [unrolled: 1-line block ×12, first 2 shown]
	v_dual_mov_b32 v131, 8 :: v_dual_add_nc_u32 v64, 24, v94
	ds_load_2addr_b64 v[48:51], v72 offset0:131 offset1:147
	ds_load_2addr_b64 v[52:55], v72 offset0:163 offset1:179
	;; [unrolled: 1-line block ×4, first 2 shown]
	ds_load_2addr_stride64_b64 v[64:67], v64 offset1:4
	v_dual_mov_b32 v132, 0 :: v_dual_mov_b32 v129, 24
	v_dual_mov_b32 v130, 16 :: v_dual_mov_b32 v127, 40
	;; [unrolled: 1-line block ×5, first 2 shown]
	v_mov_b32_e32 v122, 0x50
	v_mov_b32_e32 v120, 0x60
	;; [unrolled: 1-line block ×21, first 2 shown]
	s_mov_b64 s[6:7], 0
	s_mov_b32 s21, -1
.LBB151_65:                             ;   Parent Loop BB151_34 Depth=1
                                        ; =>  This Inner Loop Header: Depth=2
	scratch_load_b64 v[137:138], v132, off
	s_cmp_eq_u32 s6, 1
	s_waitcnt lgkmcnt(16)
	v_max_f64 v[135:136], v[0:1], v[0:1]
	s_cselect_b32 vcc_lo, -1, 0
	s_mov_b64 s[6:7], 1
	s_waitcnt lgkmcnt(0)
	v_dual_cndmask_b32 v134, v65, v67 :: v_dual_cndmask_b32 v133, v64, v66
	s_and_b32 vcc_lo, exec_lo, s21
	s_mov_b32 s21, 0
	s_delay_alu instid0(VALU_DEP_1) | instskip(NEXT) | instid1(VALU_DEP_1)
	v_max_f64 v[133:134], v[133:134], v[133:134]
	v_min_f64 v[135:136], v[135:136], v[133:134]
	s_waitcnt vmcnt(0)
	s_delay_alu instid0(VALU_DEP_1) | instskip(SKIP_3) | instid1(VALU_DEP_1)
	v_add_f64 v[135:136], v[137:138], v[135:136]
	scratch_load_b64 v[137:138], v131, off
	scratch_store_b64 v132, v[135:136], off
	v_max_f64 v[135:136], v[2:3], v[2:3]
	v_min_f64 v[135:136], v[135:136], v[133:134]
	s_waitcnt vmcnt(0)
	s_delay_alu instid0(VALU_DEP_1) | instskip(SKIP_3) | instid1(VALU_DEP_1)
	v_add_f64 v[135:136], v[135:136], v[137:138]
	scratch_store_b64 v131, v[135:136], off
	scratch_load_b64 v[135:136], v130, off
	v_max_f64 v[131:132], v[4:5], v[4:5]
	v_min_f64 v[131:132], v[131:132], v[133:134]
	s_waitcnt vmcnt(0)
	s_delay_alu instid0(VALU_DEP_1) | instskip(SKIP_3) | instid1(VALU_DEP_1)
	v_add_f64 v[131:132], v[131:132], v[135:136]
	scratch_load_b64 v[135:136], v129, off
	scratch_store_b64 v130, v[131:132], off
	v_max_f64 v[130:131], v[6:7], v[6:7]
	v_min_f64 v[130:131], v[130:131], v[133:134]
	s_waitcnt vmcnt(0)
	s_delay_alu instid0(VALU_DEP_1) | instskip(SKIP_3) | instid1(VALU_DEP_1)
	v_add_f64 v[130:131], v[130:131], v[135:136]
	scratch_store_b64 v129, v[130:131], off
	scratch_load_b64 v[131:132], v128, off
	v_max_f64 v[129:130], v[8:9], v[8:9]
	v_min_f64 v[129:130], v[129:130], v[133:134]
	s_waitcnt vmcnt(0)
	s_delay_alu instid0(VALU_DEP_1) | instskip(SKIP_4) | instid1(VALU_DEP_1)
	v_add_f64 v[129:130], v[129:130], v[131:132]
	v_mov_b32_e32 v132, 0x100
	scratch_store_b64 v128, v[129:130], off
	scratch_load_b64 v[130:131], v127, off
	v_max_f64 v[128:129], v[10:11], v[10:11]
	v_min_f64 v[128:129], v[128:129], v[133:134]
	s_waitcnt vmcnt(0)
	s_delay_alu instid0(VALU_DEP_1) | instskip(SKIP_4) | instid1(VALU_DEP_1)
	v_add_f64 v[128:129], v[128:129], v[130:131]
	v_mov_b32_e32 v131, 0x108
	;; [unrolled: 8-line block ×25, first 2 shown]
	scratch_store_b64 v104, v[105:106], off
	scratch_load_b64 v[106:107], v85, off
	v_max_f64 v[104:105], v[58:59], v[58:59]
	v_min_f64 v[104:105], v[104:105], v[133:134]
	s_waitcnt vmcnt(0)
	s_delay_alu instid0(VALU_DEP_1) | instskip(SKIP_3) | instid1(VALU_DEP_1)
	v_add_f64 v[104:105], v[104:105], v[106:107]
	scratch_load_b64 v[106:107], v84, off
	scratch_store_b64 v85, v[104:105], off
	v_max_f64 v[104:105], v[60:61], v[60:61]
	v_min_f64 v[104:105], v[104:105], v[133:134]
	s_waitcnt vmcnt(0)
	s_delay_alu instid0(VALU_DEP_1)
	v_add_f64 v[104:105], v[104:105], v[106:107]
	v_mov_b32_e32 v107, 0x1c8
	v_mov_b32_e32 v106, 0x1d0
	scratch_store_b64 v84, v[104:105], off
	scratch_load_b64 v[104:105], v72, off
	v_max_f64 v[84:85], v[62:63], v[62:63]
	s_delay_alu instid0(VALU_DEP_1) | instskip(SKIP_1) | instid1(VALU_DEP_1)
	v_min_f64 v[84:85], v[84:85], v[133:134]
	s_waitcnt vmcnt(0)
	v_add_f64 v[84:85], v[84:85], v[104:105]
	v_mov_b32_e32 v105, 0x1d8
	v_mov_b32_e32 v104, 0x1e0
	scratch_store_b64 v72, v[84:85], off
	v_mov_b32_e32 v85, 0x1e8
	v_mov_b32_e32 v84, 0x1f0
	;; [unrolled: 1-line block ×3, first 2 shown]
	s_cbranch_vccnz .LBB151_65
; %bb.66:                               ;   in Loop: Header=BB151_34 Depth=1
	s_add_i32 s20, s20, 8
	s_add_i32 s18, s18, 8
	s_cmp_ge_i32 s20, s19
	ds_store_2addr_stride64_b64 v95, v[76:77], v[78:79] offset1:4
	ds_store_2addr_stride64_b64 v96, v[82:83], v[80:81] offset1:4
	s_waitcnt lgkmcnt(0)
	s_waitcnt_vscnt null, 0x0
	s_barrier
	buffer_gl0_inv
	s_cbranch_scc0 .LBB151_34
.LBB151_67:
	v_dual_mov_b32 v71, 8 :: v_dual_add_nc_u32 v28, 0x1000, v90
	v_dual_mov_b32 v75, 40 :: v_dual_add_nc_u32 v60, 0x1800, v90
	;; [unrolled: 1-line block ×3, first 2 shown]
	ds_load_2addr_b64 v[0:3], v28 offset1:16
	ds_load_2addr_b64 v[4:7], v28 offset0:32 offset1:48
	ds_load_2addr_b64 v[8:11], v28 offset0:64 offset1:80
	;; [unrolled: 1-line block ×7, first 2 shown]
	ds_load_2addr_b64 v[32:35], v60 offset1:16
	ds_load_2addr_b64 v[36:39], v60 offset0:32 offset1:48
	ds_load_2addr_b64 v[40:43], v60 offset0:64 offset1:80
	ds_load_2addr_b64 v[44:47], v60 offset0:96 offset1:112
	ds_load_2addr_b64 v[48:51], v60 offset0:128 offset1:144
	ds_load_2addr_b64 v[52:55], v60 offset0:160 offset1:176
	ds_load_2addr_b64 v[56:59], v60 offset0:192 offset1:208
	ds_load_2addr_b64 v[60:63], v60 offset0:224 offset1:240
	ds_load_2addr_stride64_b64 v[64:67], v92 offset0:24 offset1:28
	v_dual_mov_b32 v70, 0 :: v_dual_add_nc_u32 v69, 0x3000, v92
	v_dual_mov_b32 v72, 16 :: v_dual_mov_b32 v77, 56
	v_dual_mov_b32 v74, 32 :: v_dual_mov_b32 v79, 0x48
	;; [unrolled: 1-line block ×4, first 2 shown]
	v_mov_b32_e32 v80, 0x50
	v_mov_b32_e32 v82, 0x60
	;; [unrolled: 1-line block ×20, first 2 shown]
	s_mov_b64 s[2:3], 0
	s_mov_b32 s4, -1
.LBB151_68:                             ; =>This Inner Loop Header: Depth=1
	scratch_load_b64 v[104:105], v70, off
	scratch_load_b64 v[106:107], v71, off
	scratch_load_b64 v[108:109], v72, off
	scratch_load_b64 v[110:111], v73, off
	scratch_load_b64 v[112:113], v74, off
	scratch_load_b64 v[114:115], v75, off
	scratch_load_b64 v[116:117], v76, off
	scratch_load_b64 v[118:119], v77, off
	scratch_load_b64 v[120:121], v78, off
	scratch_load_b64 v[122:123], v79, off
	scratch_load_b64 v[124:125], v80, off
	scratch_load_b64 v[126:127], v81, off
	scratch_load_b64 v[128:129], v82, off
	scratch_load_b64 v[130:131], v83, off
	scratch_load_b64 v[132:133], v84, off
	scratch_load_b64 v[134:135], v85, off
	scratch_load_b64 v[136:137], v88, off
	scratch_load_b64 v[138:139], v89, off
	scratch_load_b64 v[140:141], v90, off
	scratch_load_b64 v[142:143], v91, off
	scratch_load_b64 v[144:145], v92, off
	scratch_load_b64 v[146:147], v93, off
	scratch_load_b64 v[148:149], v94, off
	scratch_load_b64 v[150:151], v95, off
	scratch_load_b64 v[152:153], v96, off
	scratch_load_b64 v[154:155], v97, off
	scratch_load_b64 v[156:157], v98, off
	scratch_load_b64 v[158:159], v99, off
	scratch_load_b64 v[160:161], v100, off
	scratch_load_b64 v[162:163], v101, off
	scratch_load_b64 v[164:165], v102, off
	scratch_load_b64 v[166:167], v103, off
	s_cmp_eq_u32 s2, 1
	s_waitcnt lgkmcnt(16)
	v_max_f64 v[170:171], v[0:1], v[0:1]
	s_cselect_b32 vcc_lo, -1, 0
	v_max_f64 v[172:173], v[2:3], v[2:3]
	s_waitcnt lgkmcnt(0)
	v_dual_cndmask_b32 v169, v65, v67 :: v_dual_cndmask_b32 v168, v64, v66
	v_max_f64 v[174:175], v[4:5], v[4:5]
	v_max_f64 v[176:177], v[6:7], v[6:7]
	;; [unrolled: 1-line block ×31, first 2 shown]
	s_mov_b64 s[2:3], 1
	s_and_b32 vcc_lo, exec_lo, s4
	s_mov_b32 s4, 0
	v_min_f64 v[170:171], v[170:171], v[168:169]
	v_min_f64 v[172:173], v[172:173], v[168:169]
	;; [unrolled: 1-line block ×32, first 2 shown]
	s_waitcnt vmcnt(31)
	v_add_f64 v[104:105], v[104:105], v[170:171]
	s_waitcnt vmcnt(30)
	v_add_f64 v[106:107], v[172:173], v[106:107]
	;; [unrolled: 2-line block ×32, first 2 shown]
	scratch_store_b64 v70, v[104:105], off
	scratch_store_b64 v71, v[106:107], off
	scratch_store_b64 v72, v[108:109], off
	scratch_store_b64 v73, v[110:111], off
	scratch_store_b64 v74, v[112:113], off
	scratch_store_b64 v75, v[114:115], off
	scratch_store_b64 v76, v[116:117], off
	scratch_store_b64 v77, v[118:119], off
	scratch_store_b64 v78, v[120:121], off
	scratch_store_b64 v79, v[122:123], off
	scratch_store_b64 v80, v[124:125], off
	scratch_store_b64 v81, v[126:127], off
	scratch_store_b64 v82, v[128:129], off
	scratch_store_b64 v83, v[130:131], off
	scratch_store_b64 v84, v[132:133], off
	scratch_store_b64 v85, v[134:135], off
	scratch_store_b64 v88, v[136:137], off
	scratch_store_b64 v89, v[138:139], off
	scratch_store_b64 v90, v[140:141], off
	scratch_store_b64 v91, v[142:143], off
	scratch_store_b64 v92, v[144:145], off
	scratch_store_b64 v93, v[146:147], off
	scratch_store_b64 v94, v[148:149], off
	scratch_store_b64 v95, v[150:151], off
	scratch_store_b64 v96, v[152:153], off
	scratch_store_b64 v97, v[154:155], off
	scratch_store_b64 v98, v[156:157], off
	scratch_store_b64 v99, v[158:159], off
	scratch_store_b64 v100, v[160:161], off
	scratch_store_b64 v101, v[162:163], off
	scratch_store_b64 v102, v[164:165], off
	scratch_store_b64 v103, v[166:167], off
	v_mov_b32_e32 v70, 0x100
	v_mov_b32_e32 v71, 0x108
	;; [unrolled: 1-line block ×32, first 2 shown]
	s_cbranch_vccnz .LBB151_68
; %bb.69:
	v_dual_mov_b32 v71, 8 :: v_dual_add_nc_u32 v60, 0x800, v68
	ds_load_2addr_b64 v[0:3], v68 offset0:1 offset1:17
	ds_load_2addr_b64 v[4:7], v68 offset0:33 offset1:49
	;; [unrolled: 1-line block ×12, first 2 shown]
	v_dual_mov_b32 v73, 24 :: v_dual_add_nc_u32 v64, 8, v69
	ds_load_2addr_b64 v[48:51], v60 offset0:129 offset1:145
	ds_load_2addr_b64 v[52:55], v60 offset0:161 offset1:177
	;; [unrolled: 1-line block ×4, first 2 shown]
	ds_load_2addr_stride64_b64 v[64:67], v64 offset1:4
	v_dual_mov_b32 v70, 0 :: v_dual_mov_b32 v75, 40
	v_dual_mov_b32 v72, 16 :: v_dual_mov_b32 v77, 56
	;; [unrolled: 1-line block ×5, first 2 shown]
	v_mov_b32_e32 v80, 0x50
	v_mov_b32_e32 v82, 0x60
	;; [unrolled: 1-line block ×20, first 2 shown]
	s_mov_b64 s[2:3], 0
	s_mov_b32 s4, -1
.LBB151_70:                             ; =>This Inner Loop Header: Depth=1
	scratch_load_b64 v[104:105], v70, off
	scratch_load_b64 v[106:107], v71, off
	;; [unrolled: 1-line block ×32, first 2 shown]
	s_cmp_eq_u32 s2, 1
	s_waitcnt lgkmcnt(16)
	v_max_f64 v[170:171], v[0:1], v[0:1]
	s_cselect_b32 vcc_lo, -1, 0
	v_max_f64 v[172:173], v[2:3], v[2:3]
	s_waitcnt lgkmcnt(0)
	v_dual_cndmask_b32 v169, v65, v67 :: v_dual_cndmask_b32 v168, v64, v66
	v_max_f64 v[174:175], v[4:5], v[4:5]
	v_max_f64 v[176:177], v[6:7], v[6:7]
	;; [unrolled: 1-line block ×31, first 2 shown]
	s_mov_b64 s[2:3], 1
	s_and_b32 vcc_lo, exec_lo, s4
	s_mov_b32 s4, 0
	v_min_f64 v[170:171], v[170:171], v[168:169]
	v_min_f64 v[172:173], v[172:173], v[168:169]
	;; [unrolled: 1-line block ×32, first 2 shown]
	s_waitcnt vmcnt(31)
	v_add_f64 v[104:105], v[104:105], v[170:171]
	s_waitcnt vmcnt(30)
	v_add_f64 v[106:107], v[172:173], v[106:107]
	;; [unrolled: 2-line block ×32, first 2 shown]
	scratch_store_b64 v70, v[104:105], off
	scratch_store_b64 v71, v[106:107], off
	;; [unrolled: 1-line block ×32, first 2 shown]
	v_mov_b32_e32 v70, 0x100
	v_mov_b32_e32 v71, 0x108
	;; [unrolled: 1-line block ×32, first 2 shown]
	s_cbranch_vccnz .LBB151_70
; %bb.71:
	v_dual_mov_b32 v71, 8 :: v_dual_add_nc_u32 v60, 0x800, v68
	ds_load_2addr_b64 v[0:3], v68 offset0:2 offset1:18
	ds_load_2addr_b64 v[4:7], v68 offset0:34 offset1:50
	;; [unrolled: 1-line block ×12, first 2 shown]
	v_dual_mov_b32 v73, 24 :: v_dual_add_nc_u32 v64, 16, v69
	ds_load_2addr_b64 v[48:51], v60 offset0:130 offset1:146
	ds_load_2addr_b64 v[52:55], v60 offset0:162 offset1:178
	;; [unrolled: 1-line block ×4, first 2 shown]
	ds_load_2addr_stride64_b64 v[64:67], v64 offset1:4
	v_dual_mov_b32 v70, 0 :: v_dual_mov_b32 v75, 40
	v_dual_mov_b32 v72, 16 :: v_dual_mov_b32 v77, 56
	;; [unrolled: 1-line block ×5, first 2 shown]
	v_mov_b32_e32 v80, 0x50
	v_mov_b32_e32 v82, 0x60
	;; [unrolled: 1-line block ×20, first 2 shown]
	s_mov_b64 s[2:3], 0
	s_mov_b32 s4, -1
.LBB151_72:                             ; =>This Inner Loop Header: Depth=1
	scratch_load_b64 v[104:105], v70, off
	scratch_load_b64 v[106:107], v71, off
	;; [unrolled: 1-line block ×32, first 2 shown]
	s_cmp_eq_u32 s2, 1
	s_waitcnt lgkmcnt(16)
	v_max_f64 v[170:171], v[0:1], v[0:1]
	s_cselect_b32 vcc_lo, -1, 0
	v_max_f64 v[172:173], v[2:3], v[2:3]
	s_waitcnt lgkmcnt(0)
	v_dual_cndmask_b32 v169, v65, v67 :: v_dual_cndmask_b32 v168, v64, v66
	v_max_f64 v[174:175], v[4:5], v[4:5]
	v_max_f64 v[176:177], v[6:7], v[6:7]
	;; [unrolled: 1-line block ×31, first 2 shown]
	s_mov_b64 s[2:3], 1
	s_and_b32 vcc_lo, exec_lo, s4
	s_mov_b32 s4, 0
	v_min_f64 v[170:171], v[170:171], v[168:169]
	v_min_f64 v[172:173], v[172:173], v[168:169]
	;; [unrolled: 1-line block ×32, first 2 shown]
	s_waitcnt vmcnt(31)
	v_add_f64 v[104:105], v[104:105], v[170:171]
	s_waitcnt vmcnt(30)
	v_add_f64 v[106:107], v[172:173], v[106:107]
	;; [unrolled: 2-line block ×32, first 2 shown]
	scratch_store_b64 v70, v[104:105], off
	scratch_store_b64 v71, v[106:107], off
	;; [unrolled: 1-line block ×32, first 2 shown]
	v_mov_b32_e32 v70, 0x100
	v_mov_b32_e32 v71, 0x108
	;; [unrolled: 1-line block ×32, first 2 shown]
	s_cbranch_vccnz .LBB151_72
; %bb.73:
	v_add_nc_u32_e32 v60, 0x800, v68
	ds_load_2addr_b64 v[0:3], v68 offset0:3 offset1:19
	ds_load_2addr_b64 v[4:7], v68 offset0:35 offset1:51
	;; [unrolled: 1-line block ×4, first 2 shown]
	v_dual_mov_b32 v71, 24 :: v_dual_add_nc_u32 v64, 24, v69
	v_mov_b32_e32 v69, 8
	ds_load_2addr_b64 v[16:19], v68 offset0:131 offset1:147
	ds_load_2addr_b64 v[20:23], v68 offset0:163 offset1:179
	;; [unrolled: 1-line block ×12, first 2 shown]
	ds_load_2addr_stride64_b64 v[64:67], v64 offset1:4
	v_dual_mov_b32 v68, 0 :: v_dual_mov_b32 v73, 40
	v_dual_mov_b32 v70, 16 :: v_dual_mov_b32 v75, 56
	;; [unrolled: 1-line block ×5, first 2 shown]
	v_mov_b32_e32 v78, 0x50
	v_mov_b32_e32 v80, 0x60
	;; [unrolled: 1-line block ×20, first 2 shown]
	s_mov_b64 s[2:3], 0
	s_mov_b32 s4, -1
.LBB151_74:                             ; =>This Inner Loop Header: Depth=1
	scratch_load_b64 v[102:103], v68, off
	scratch_load_b64 v[104:105], v69, off
	;; [unrolled: 1-line block ×32, first 2 shown]
	s_cmp_eq_u32 s2, 1
	s_waitcnt lgkmcnt(16)
	v_max_f64 v[168:169], v[0:1], v[0:1]
	s_cselect_b32 vcc_lo, -1, 0
	v_max_f64 v[170:171], v[2:3], v[2:3]
	s_waitcnt lgkmcnt(0)
	v_dual_cndmask_b32 v167, v65, v67 :: v_dual_cndmask_b32 v166, v64, v66
	v_max_f64 v[172:173], v[4:5], v[4:5]
	v_max_f64 v[174:175], v[6:7], v[6:7]
	;; [unrolled: 1-line block ×31, first 2 shown]
	s_mov_b64 s[2:3], 1
	s_and_b32 vcc_lo, exec_lo, s4
	s_mov_b32 s4, 0
	v_min_f64 v[168:169], v[168:169], v[166:167]
	v_min_f64 v[170:171], v[170:171], v[166:167]
	;; [unrolled: 1-line block ×32, first 2 shown]
	s_waitcnt vmcnt(31)
	v_add_f64 v[102:103], v[102:103], v[168:169]
	s_waitcnt vmcnt(30)
	v_add_f64 v[104:105], v[170:171], v[104:105]
	;; [unrolled: 2-line block ×32, first 2 shown]
	scratch_store_b64 v68, v[102:103], off
	scratch_store_b64 v69, v[104:105], off
	;; [unrolled: 1-line block ×32, first 2 shown]
	v_mov_b32_e32 v68, 0x100
	v_mov_b32_e32 v69, 0x108
	v_mov_b32_e32 v70, 0x110
	v_mov_b32_e32 v71, 0x118
	v_mov_b32_e32 v72, 0x120
	v_mov_b32_e32 v73, 0x128
	v_mov_b32_e32 v74, 0x130
	v_mov_b32_e32 v75, 0x138
	v_mov_b32_e32 v76, 0x140
	v_mov_b32_e32 v77, 0x148
	v_mov_b32_e32 v78, 0x150
	v_mov_b32_e32 v79, 0x158
	v_mov_b32_e32 v80, 0x160
	v_mov_b32_e32 v81, 0x168
	v_mov_b32_e32 v82, 0x170
	v_mov_b32_e32 v83, 0x178
	v_mov_b32_e32 v84, 0x180
	v_mov_b32_e32 v85, 0x188
	v_mov_b32_e32 v88, 0x190
	v_mov_b32_e32 v89, 0x198
	v_mov_b32_e32 v90, 0x1a0
	v_mov_b32_e32 v91, 0x1a8
	v_mov_b32_e32 v92, 0x1b0
	v_mov_b32_e32 v93, 0x1b8
	v_mov_b32_e32 v94, 0x1c0
	v_mov_b32_e32 v95, 0x1c8
	v_mov_b32_e32 v96, 0x1d0
	v_mov_b32_e32 v97, 0x1d8
	v_mov_b32_e32 v98, 0x1e0
	v_mov_b32_e32 v99, 0x1e8
	v_mov_b32_e32 v100, 0x1f0
	v_mov_b32_e32 v101, 0x1f8
	s_cbranch_vccnz .LBB151_74
; %bb.75:
	s_clause 0x2
	s_load_b32 s42, s[0:1], 0x58
	s_load_b32 s37, s[0:1], 0x70
	s_load_b64 s[2:3], s[0:1], 0x78
	v_add_nc_u32_e32 v71, s15, v87
	v_add_nc_u32_e32 v0, s14, v86
	v_cndmask_b32_e64 v70, 0, 1, s36
	s_delay_alu instid0(VALU_DEP_3) | instskip(NEXT) | instid1(VALU_DEP_3)
	v_cmp_gt_i32_e64 s11, s41, v71
	v_cmp_gt_i32_e64 s0, s40, v0
	s_waitcnt lgkmcnt(0)
	v_mad_i64_i32 v[1:2], null, v71, s42, 0
	v_mad_i64_i32 v[3:4], null, v71, s37, 0
	s_lshl_b64 s[2:3], s[2:3], 3
	s_delay_alu instid0(SALU_CYCLE_1) | instskip(SKIP_1) | instid1(VALU_DEP_2)
	s_add_u32 s43, s8, s2
	s_addc_u32 s44, s9, s3
	v_lshlrev_b64 v[5:6], 3, v[1:2]
	v_ashrrev_i32_e32 v1, 31, v0
	s_delay_alu instid0(VALU_DEP_3) | instskip(SKIP_1) | instid1(VALU_DEP_3)
	v_lshlrev_b64 v[2:3], 3, v[3:4]
	s_and_b32 s1, s11, s0
	v_add_co_u32 v68, vcc_lo, s34, v5
	s_delay_alu instid0(VALU_DEP_4) | instskip(NEXT) | instid1(VALU_DEP_3)
	v_add_co_ci_u32_e32 v69, vcc_lo, s35, v6, vcc_lo
	v_add_co_u32 v72, vcc_lo, s43, v2
	s_delay_alu instid0(VALU_DEP_4) | instskip(SKIP_1) | instid1(SALU_CYCLE_1)
	v_add_co_ci_u32_e32 v73, vcc_lo, s44, v3, vcc_lo
	s_and_saveexec_b32 s2, s1
	s_xor_b32 s1, exec_lo, s2
	s_cbranch_execz .LBB151_80
; %bb.76:
	scratch_load_b64 v[2:3], off, off
	v_lshlrev_b64 v[4:5], 3, v[0:1]
	s_and_not1_b32 vcc_lo, exec_lo, s36
	s_cbranch_vccnz .LBB151_78
; %bb.77:
	s_delay_alu instid0(VALU_DEP_1) | instskip(NEXT) | instid1(VALU_DEP_2)
	v_add_co_u32 v6, vcc_lo, v68, v4
	v_add_co_ci_u32_e32 v7, vcc_lo, v69, v5, vcc_lo
	flat_load_b64 v[6:7], v[6:7]
	s_waitcnt vmcnt(0) lgkmcnt(0)
	v_mul_f64 v[6:7], v[6:7], s[38:39]
	s_branch .LBB151_79
.LBB151_78:
	v_mov_b32_e32 v6, 0
	v_mov_b32_e32 v7, 0
.LBB151_79:
	s_waitcnt vmcnt(0)
	s_delay_alu instid0(VALU_DEP_1)
	v_add_f64 v[2:3], v[2:3], v[6:7]
	v_add_co_u32 v4, vcc_lo, v72, v4
	v_add_co_ci_u32_e32 v5, vcc_lo, v73, v5, vcc_lo
	global_store_b64 v[4:5], v[2:3], off
.LBB151_80:
	s_or_b32 exec_lo, exec_lo, s1
	v_add_nc_u32_e32 v2, 4, v0
	s_delay_alu instid0(VALU_DEP_1) | instskip(SKIP_1) | instid1(VALU_DEP_2)
	v_cmp_gt_i32_e64 s1, s40, v2
	v_ashrrev_i32_e32 v3, 31, v2
	s_and_b32 s3, s11, s1
	s_delay_alu instid0(SALU_CYCLE_1)
	s_and_saveexec_b32 s2, s3
	s_cbranch_execz .LBB151_85
; %bb.81:
	scratch_load_b64 v[4:5], off, off offset:8
	v_lshlrev_b64 v[6:7], 3, v[2:3]
	s_and_not1_b32 vcc_lo, exec_lo, s36
	s_cbranch_vccnz .LBB151_83
; %bb.82:
	s_delay_alu instid0(VALU_DEP_1) | instskip(NEXT) | instid1(VALU_DEP_2)
	v_add_co_u32 v8, vcc_lo, v68, v6
	v_add_co_ci_u32_e32 v9, vcc_lo, v69, v7, vcc_lo
	flat_load_b64 v[8:9], v[8:9]
	s_waitcnt vmcnt(0) lgkmcnt(0)
	v_mul_f64 v[8:9], v[8:9], s[38:39]
	s_branch .LBB151_84
.LBB151_83:
	v_mov_b32_e32 v8, 0
	v_mov_b32_e32 v9, 0
.LBB151_84:
	s_waitcnt vmcnt(0)
	s_delay_alu instid0(VALU_DEP_1)
	v_add_f64 v[4:5], v[4:5], v[8:9]
	v_add_co_u32 v6, vcc_lo, v72, v6
	v_add_co_ci_u32_e32 v7, vcc_lo, v73, v7, vcc_lo
	global_store_b64 v[6:7], v[4:5], off
.LBB151_85:
	s_or_b32 exec_lo, exec_lo, s2
	v_add_nc_u32_e32 v4, 8, v0
	s_delay_alu instid0(VALU_DEP_1) | instskip(SKIP_1) | instid1(VALU_DEP_2)
	v_cmp_gt_i32_e64 s2, s40, v4
	v_ashrrev_i32_e32 v5, 31, v4
	s_and_b32 s4, s11, s2
	s_delay_alu instid0(SALU_CYCLE_1)
	s_and_saveexec_b32 s3, s4
	s_cbranch_execz .LBB151_90
; %bb.86:
	scratch_load_b64 v[6:7], off, off offset:16
	v_lshlrev_b64 v[8:9], 3, v[4:5]
	s_and_not1_b32 vcc_lo, exec_lo, s36
	s_cbranch_vccnz .LBB151_88
; %bb.87:
	s_delay_alu instid0(VALU_DEP_1) | instskip(NEXT) | instid1(VALU_DEP_2)
	v_add_co_u32 v10, vcc_lo, v68, v8
	v_add_co_ci_u32_e32 v11, vcc_lo, v69, v9, vcc_lo
	flat_load_b64 v[10:11], v[10:11]
	s_waitcnt vmcnt(0) lgkmcnt(0)
	v_mul_f64 v[10:11], v[10:11], s[38:39]
	s_branch .LBB151_89
.LBB151_88:
	v_mov_b32_e32 v10, 0
	v_mov_b32_e32 v11, 0
.LBB151_89:
	s_waitcnt vmcnt(0)
	s_delay_alu instid0(VALU_DEP_1)
	v_add_f64 v[6:7], v[6:7], v[10:11]
	v_add_co_u32 v8, vcc_lo, v72, v8
	v_add_co_ci_u32_e32 v9, vcc_lo, v73, v9, vcc_lo
	global_store_b64 v[8:9], v[6:7], off
.LBB151_90:
	;; [unrolled: 33-line block ×31, first 2 shown]
	s_or_b32 exec_lo, exec_lo, s11
	v_add_nc_u32_e32 v68, 64, v71
	s_delay_alu instid0(VALU_DEP_1) | instskip(SKIP_2) | instid1(VALU_DEP_3)
	v_mad_i64_i32 v[64:65], null, v68, s42, 0
	v_mad_i64_i32 v[66:67], null, v68, s37, 0
	v_cmp_gt_i32_e64 s11, s41, v68
	v_lshlrev_b64 v[64:65], 3, v[64:65]
	s_delay_alu instid0(VALU_DEP_2) | instskip(NEXT) | instid1(VALU_DEP_3)
	s_and_b32 s0, s11, s0
	v_lshlrev_b64 v[66:67], 3, v[66:67]
	s_delay_alu instid0(VALU_DEP_2) | instskip(NEXT) | instid1(VALU_DEP_3)
	v_add_co_u32 v71, vcc_lo, s34, v64
	v_add_co_ci_u32_e32 v72, vcc_lo, s35, v65, vcc_lo
	s_delay_alu instid0(VALU_DEP_3) | instskip(NEXT) | instid1(VALU_DEP_4)
	v_add_co_u32 v68, vcc_lo, s43, v66
	v_add_co_ci_u32_e32 v69, vcc_lo, s44, v67, vcc_lo
	s_and_saveexec_b32 s34, s0
	s_delay_alu instid0(SALU_CYCLE_1)
	s_xor_b32 s0, exec_lo, s34
	s_cbranch_execnz .LBB151_268
; %bb.236:
	s_or_b32 exec_lo, exec_lo, s0
	s_and_b32 s1, s11, s1
	s_delay_alu instid0(SALU_CYCLE_1)
	s_and_saveexec_b32 s0, s1
	s_cbranch_execnz .LBB151_272
.LBB151_237:
	s_or_b32 exec_lo, exec_lo, s0
	s_and_b32 s1, s11, s2
	s_delay_alu instid0(SALU_CYCLE_1)
	s_and_saveexec_b32 s0, s1
	s_cbranch_execnz .LBB151_276
.LBB151_238:
	s_or_b32 exec_lo, exec_lo, s0
	s_and_b32 s1, s11, s3
	s_delay_alu instid0(SALU_CYCLE_1)
	s_and_saveexec_b32 s0, s1
	s_cbranch_execnz .LBB151_280
.LBB151_239:
	s_or_b32 exec_lo, exec_lo, s0
	s_and_b32 s1, s11, s4
	s_delay_alu instid0(SALU_CYCLE_1)
	s_and_saveexec_b32 s0, s1
	s_cbranch_execnz .LBB151_284
.LBB151_240:
	s_or_b32 exec_lo, exec_lo, s0
	s_and_b32 s1, s11, s5
	s_delay_alu instid0(SALU_CYCLE_1)
	s_and_saveexec_b32 s0, s1
	s_cbranch_execnz .LBB151_288
.LBB151_241:
	s_or_b32 exec_lo, exec_lo, s0
	s_and_b32 s1, s11, s6
	s_delay_alu instid0(SALU_CYCLE_1)
	s_and_saveexec_b32 s0, s1
	s_cbranch_execnz .LBB151_292
.LBB151_242:
	s_or_b32 exec_lo, exec_lo, s0
	s_and_b32 s1, s11, s7
	s_delay_alu instid0(SALU_CYCLE_1)
	s_and_saveexec_b32 s0, s1
	s_cbranch_execnz .LBB151_296
.LBB151_243:
	s_or_b32 exec_lo, exec_lo, s0
	s_and_b32 s1, s11, s8
	s_delay_alu instid0(SALU_CYCLE_1)
	s_and_saveexec_b32 s0, s1
	s_cbranch_execnz .LBB151_300
.LBB151_244:
	s_or_b32 exec_lo, exec_lo, s0
	s_and_b32 s1, s11, s9
	s_delay_alu instid0(SALU_CYCLE_1)
	s_and_saveexec_b32 s0, s1
	s_cbranch_execnz .LBB151_304
.LBB151_245:
	s_or_b32 exec_lo, exec_lo, s0
	s_and_b32 s1, s11, s10
	s_delay_alu instid0(SALU_CYCLE_1)
	s_and_saveexec_b32 s0, s1
	s_cbranch_execnz .LBB151_308
.LBB151_246:
	s_or_b32 exec_lo, exec_lo, s0
	s_and_b32 s1, s11, s12
	s_delay_alu instid0(SALU_CYCLE_1)
	s_and_saveexec_b32 s0, s1
	s_cbranch_execnz .LBB151_312
.LBB151_247:
	s_or_b32 exec_lo, exec_lo, s0
	s_and_b32 s1, s11, s13
	s_delay_alu instid0(SALU_CYCLE_1)
	s_and_saveexec_b32 s0, s1
	s_cbranch_execnz .LBB151_316
.LBB151_248:
	s_or_b32 exec_lo, exec_lo, s0
	s_and_b32 s1, s11, s14
	s_delay_alu instid0(SALU_CYCLE_1)
	s_and_saveexec_b32 s0, s1
	s_cbranch_execnz .LBB151_320
.LBB151_249:
	s_or_b32 exec_lo, exec_lo, s0
	s_and_b32 s1, s11, s15
	s_delay_alu instid0(SALU_CYCLE_1)
	s_and_saveexec_b32 s0, s1
	s_cbranch_execnz .LBB151_324
.LBB151_250:
	s_or_b32 exec_lo, exec_lo, s0
	s_and_b32 s1, s11, s16
	s_delay_alu instid0(SALU_CYCLE_1)
	s_and_saveexec_b32 s0, s1
	s_cbranch_execnz .LBB151_328
.LBB151_251:
	s_or_b32 exec_lo, exec_lo, s0
	s_and_b32 s1, s11, s17
	s_delay_alu instid0(SALU_CYCLE_1)
	s_and_saveexec_b32 s0, s1
	s_cbranch_execnz .LBB151_332
.LBB151_252:
	s_or_b32 exec_lo, exec_lo, s0
	s_and_b32 s1, s11, s18
	s_delay_alu instid0(SALU_CYCLE_1)
	s_and_saveexec_b32 s0, s1
	s_cbranch_execnz .LBB151_336
.LBB151_253:
	s_or_b32 exec_lo, exec_lo, s0
	s_and_b32 s1, s11, s19
	s_delay_alu instid0(SALU_CYCLE_1)
	s_and_saveexec_b32 s0, s1
	s_cbranch_execnz .LBB151_340
.LBB151_254:
	s_or_b32 exec_lo, exec_lo, s0
	s_and_b32 s1, s11, s20
	s_delay_alu instid0(SALU_CYCLE_1)
	s_and_saveexec_b32 s0, s1
	s_cbranch_execnz .LBB151_344
.LBB151_255:
	s_or_b32 exec_lo, exec_lo, s0
	s_and_b32 s1, s11, s21
	s_delay_alu instid0(SALU_CYCLE_1)
	s_and_saveexec_b32 s0, s1
	s_cbranch_execnz .LBB151_348
.LBB151_256:
	s_or_b32 exec_lo, exec_lo, s0
	s_and_b32 s1, s11, s22
	s_delay_alu instid0(SALU_CYCLE_1)
	s_and_saveexec_b32 s0, s1
	s_cbranch_execnz .LBB151_352
.LBB151_257:
	s_or_b32 exec_lo, exec_lo, s0
	s_and_b32 s1, s11, s23
	s_delay_alu instid0(SALU_CYCLE_1)
	s_and_saveexec_b32 s0, s1
	s_cbranch_execnz .LBB151_356
.LBB151_258:
	s_or_b32 exec_lo, exec_lo, s0
	s_and_b32 s1, s11, s24
	s_delay_alu instid0(SALU_CYCLE_1)
	s_and_saveexec_b32 s0, s1
	s_cbranch_execnz .LBB151_360
.LBB151_259:
	s_or_b32 exec_lo, exec_lo, s0
	s_and_b32 s1, s11, s25
	s_delay_alu instid0(SALU_CYCLE_1)
	s_and_saveexec_b32 s0, s1
	s_cbranch_execnz .LBB151_364
.LBB151_260:
	s_or_b32 exec_lo, exec_lo, s0
	s_and_b32 s1, s11, s26
	s_delay_alu instid0(SALU_CYCLE_1)
	s_and_saveexec_b32 s0, s1
	s_cbranch_execnz .LBB151_368
.LBB151_261:
	s_or_b32 exec_lo, exec_lo, s0
	s_and_b32 s1, s11, s27
	s_delay_alu instid0(SALU_CYCLE_1)
	s_and_saveexec_b32 s0, s1
	s_cbranch_execnz .LBB151_372
.LBB151_262:
	s_or_b32 exec_lo, exec_lo, s0
	s_and_b32 s1, s11, s28
	s_delay_alu instid0(SALU_CYCLE_1)
	s_and_saveexec_b32 s0, s1
	s_cbranch_execnz .LBB151_376
.LBB151_263:
	s_or_b32 exec_lo, exec_lo, s0
	s_and_b32 s1, s11, s29
	s_delay_alu instid0(SALU_CYCLE_1)
	s_and_saveexec_b32 s0, s1
	s_cbranch_execnz .LBB151_380
.LBB151_264:
	s_or_b32 exec_lo, exec_lo, s0
	s_and_b32 s1, s11, s30
	s_delay_alu instid0(SALU_CYCLE_1)
	s_and_saveexec_b32 s0, s1
	s_cbranch_execnz .LBB151_384
.LBB151_265:
	s_or_b32 exec_lo, exec_lo, s0
	s_and_b32 s1, s11, s31
	s_delay_alu instid0(SALU_CYCLE_1)
	s_and_saveexec_b32 s0, s1
	s_cbranch_execnz .LBB151_388
.LBB151_266:
	s_or_b32 exec_lo, exec_lo, s0
	s_and_b32 s0, s11, s33
	s_delay_alu instid0(SALU_CYCLE_1)
	s_and_saveexec_b32 s1, s0
	s_cbranch_execnz .LBB151_392
.LBB151_267:
	s_endpgm
.LBB151_268:
	scratch_load_b64 v[64:65], off, off offset:256
	v_lshlrev_b64 v[0:1], 3, v[0:1]
	s_and_not1_b32 vcc_lo, exec_lo, s36
	s_cbranch_vccnz .LBB151_270
; %bb.269:
	s_delay_alu instid0(VALU_DEP_1) | instskip(NEXT) | instid1(VALU_DEP_2)
	v_add_co_u32 v66, vcc_lo, v71, v0
	v_add_co_ci_u32_e32 v67, vcc_lo, v72, v1, vcc_lo
	flat_load_b64 v[66:67], v[66:67]
	s_waitcnt vmcnt(0) lgkmcnt(0)
	v_mul_f64 v[66:67], v[66:67], s[38:39]
	s_branch .LBB151_271
.LBB151_270:
	v_mov_b32_e32 v66, 0
	v_mov_b32_e32 v67, 0
.LBB151_271:
	s_waitcnt vmcnt(0)
	s_delay_alu instid0(VALU_DEP_1)
	v_add_f64 v[64:65], v[64:65], v[66:67]
	v_add_co_u32 v0, vcc_lo, v68, v0
	v_add_co_ci_u32_e32 v1, vcc_lo, v69, v1, vcc_lo
	global_store_b64 v[0:1], v[64:65], off
	s_or_b32 exec_lo, exec_lo, s0
	s_and_b32 s1, s11, s1
	s_delay_alu instid0(SALU_CYCLE_1)
	s_and_saveexec_b32 s0, s1
	s_cbranch_execz .LBB151_237
.LBB151_272:
	scratch_load_b64 v[0:1], off, off offset:264
	v_cmp_ne_u32_e32 vcc_lo, 1, v70
	v_lshlrev_b64 v[2:3], 3, v[2:3]
	s_cbranch_vccnz .LBB151_274
; %bb.273:
	s_delay_alu instid0(VALU_DEP_1) | instskip(NEXT) | instid1(VALU_DEP_2)
	v_add_co_u32 v64, vcc_lo, v71, v2
	v_add_co_ci_u32_e32 v65, vcc_lo, v72, v3, vcc_lo
	flat_load_b64 v[64:65], v[64:65]
	s_waitcnt vmcnt(0) lgkmcnt(0)
	v_mul_f64 v[64:65], v[64:65], s[38:39]
	s_branch .LBB151_275
.LBB151_274:
	v_mov_b32_e32 v64, 0
	v_mov_b32_e32 v65, 0
.LBB151_275:
	s_waitcnt vmcnt(0)
	s_delay_alu instid0(VALU_DEP_1)
	v_add_f64 v[0:1], v[0:1], v[64:65]
	v_add_co_u32 v2, vcc_lo, v68, v2
	v_add_co_ci_u32_e32 v3, vcc_lo, v69, v3, vcc_lo
	global_store_b64 v[2:3], v[0:1], off
	s_or_b32 exec_lo, exec_lo, s0
	s_and_b32 s1, s11, s2
	s_delay_alu instid0(SALU_CYCLE_1)
	s_and_saveexec_b32 s0, s1
	s_cbranch_execz .LBB151_238
.LBB151_276:
	scratch_load_b64 v[0:1], off, off offset:272
	v_cmp_ne_u32_e32 vcc_lo, 1, v70
	v_lshlrev_b64 v[2:3], 3, v[4:5]
	s_cbranch_vccnz .LBB151_278
; %bb.277:
	s_delay_alu instid0(VALU_DEP_1) | instskip(NEXT) | instid1(VALU_DEP_2)
	v_add_co_u32 v4, vcc_lo, v71, v2
	v_add_co_ci_u32_e32 v5, vcc_lo, v72, v3, vcc_lo
	flat_load_b64 v[4:5], v[4:5]
	s_waitcnt vmcnt(0) lgkmcnt(0)
	v_mul_f64 v[4:5], v[4:5], s[38:39]
	s_branch .LBB151_279
.LBB151_278:
	v_mov_b32_e32 v4, 0
	v_mov_b32_e32 v5, 0
.LBB151_279:
	s_waitcnt vmcnt(0)
	s_delay_alu instid0(VALU_DEP_1)
	v_add_f64 v[0:1], v[0:1], v[4:5]
	v_add_co_u32 v2, vcc_lo, v68, v2
	v_add_co_ci_u32_e32 v3, vcc_lo, v69, v3, vcc_lo
	global_store_b64 v[2:3], v[0:1], off
	s_or_b32 exec_lo, exec_lo, s0
	s_and_b32 s1, s11, s3
	s_delay_alu instid0(SALU_CYCLE_1)
	s_and_saveexec_b32 s0, s1
	s_cbranch_execz .LBB151_239
.LBB151_280:
	scratch_load_b64 v[0:1], off, off offset:280
	v_cmp_ne_u32_e32 vcc_lo, 1, v70
	v_lshlrev_b64 v[2:3], 3, v[6:7]
	s_cbranch_vccnz .LBB151_282
; %bb.281:
	s_delay_alu instid0(VALU_DEP_1) | instskip(NEXT) | instid1(VALU_DEP_2)
	v_add_co_u32 v4, vcc_lo, v71, v2
	v_add_co_ci_u32_e32 v5, vcc_lo, v72, v3, vcc_lo
	flat_load_b64 v[4:5], v[4:5]
	s_waitcnt vmcnt(0) lgkmcnt(0)
	v_mul_f64 v[4:5], v[4:5], s[38:39]
	s_branch .LBB151_283
.LBB151_282:
	v_mov_b32_e32 v4, 0
	v_mov_b32_e32 v5, 0
.LBB151_283:
	s_waitcnt vmcnt(0)
	s_delay_alu instid0(VALU_DEP_1)
	v_add_f64 v[0:1], v[0:1], v[4:5]
	v_add_co_u32 v2, vcc_lo, v68, v2
	v_add_co_ci_u32_e32 v3, vcc_lo, v69, v3, vcc_lo
	global_store_b64 v[2:3], v[0:1], off
	s_or_b32 exec_lo, exec_lo, s0
	s_and_b32 s1, s11, s4
	s_delay_alu instid0(SALU_CYCLE_1)
	s_and_saveexec_b32 s0, s1
	s_cbranch_execz .LBB151_240
.LBB151_284:
	scratch_load_b64 v[0:1], off, off offset:288
	v_cmp_ne_u32_e32 vcc_lo, 1, v70
	v_lshlrev_b64 v[2:3], 3, v[8:9]
	s_cbranch_vccnz .LBB151_286
; %bb.285:
	s_delay_alu instid0(VALU_DEP_1) | instskip(NEXT) | instid1(VALU_DEP_2)
	v_add_co_u32 v4, vcc_lo, v71, v2
	v_add_co_ci_u32_e32 v5, vcc_lo, v72, v3, vcc_lo
	flat_load_b64 v[4:5], v[4:5]
	s_waitcnt vmcnt(0) lgkmcnt(0)
	v_mul_f64 v[4:5], v[4:5], s[38:39]
	s_branch .LBB151_287
.LBB151_286:
	v_mov_b32_e32 v4, 0
	v_mov_b32_e32 v5, 0
.LBB151_287:
	s_waitcnt vmcnt(0)
	s_delay_alu instid0(VALU_DEP_1)
	v_add_f64 v[0:1], v[0:1], v[4:5]
	v_add_co_u32 v2, vcc_lo, v68, v2
	v_add_co_ci_u32_e32 v3, vcc_lo, v69, v3, vcc_lo
	global_store_b64 v[2:3], v[0:1], off
	s_or_b32 exec_lo, exec_lo, s0
	s_and_b32 s1, s11, s5
	s_delay_alu instid0(SALU_CYCLE_1)
	s_and_saveexec_b32 s0, s1
	s_cbranch_execz .LBB151_241
.LBB151_288:
	scratch_load_b64 v[0:1], off, off offset:296
	v_cmp_ne_u32_e32 vcc_lo, 1, v70
	v_lshlrev_b64 v[2:3], 3, v[10:11]
	s_cbranch_vccnz .LBB151_290
; %bb.289:
	s_delay_alu instid0(VALU_DEP_1) | instskip(NEXT) | instid1(VALU_DEP_2)
	v_add_co_u32 v4, vcc_lo, v71, v2
	v_add_co_ci_u32_e32 v5, vcc_lo, v72, v3, vcc_lo
	flat_load_b64 v[4:5], v[4:5]
	s_waitcnt vmcnt(0) lgkmcnt(0)
	v_mul_f64 v[4:5], v[4:5], s[38:39]
	s_branch .LBB151_291
.LBB151_290:
	v_mov_b32_e32 v4, 0
	v_mov_b32_e32 v5, 0
.LBB151_291:
	s_waitcnt vmcnt(0)
	s_delay_alu instid0(VALU_DEP_1)
	v_add_f64 v[0:1], v[0:1], v[4:5]
	v_add_co_u32 v2, vcc_lo, v68, v2
	v_add_co_ci_u32_e32 v3, vcc_lo, v69, v3, vcc_lo
	global_store_b64 v[2:3], v[0:1], off
	s_or_b32 exec_lo, exec_lo, s0
	s_and_b32 s1, s11, s6
	s_delay_alu instid0(SALU_CYCLE_1)
	s_and_saveexec_b32 s0, s1
	s_cbranch_execz .LBB151_242
.LBB151_292:
	scratch_load_b64 v[0:1], off, off offset:304
	v_cmp_ne_u32_e32 vcc_lo, 1, v70
	v_lshlrev_b64 v[2:3], 3, v[12:13]
	s_cbranch_vccnz .LBB151_294
; %bb.293:
	s_delay_alu instid0(VALU_DEP_1) | instskip(NEXT) | instid1(VALU_DEP_2)
	v_add_co_u32 v4, vcc_lo, v71, v2
	v_add_co_ci_u32_e32 v5, vcc_lo, v72, v3, vcc_lo
	flat_load_b64 v[4:5], v[4:5]
	s_waitcnt vmcnt(0) lgkmcnt(0)
	v_mul_f64 v[4:5], v[4:5], s[38:39]
	s_branch .LBB151_295
.LBB151_294:
	v_mov_b32_e32 v4, 0
	v_mov_b32_e32 v5, 0
.LBB151_295:
	s_waitcnt vmcnt(0)
	s_delay_alu instid0(VALU_DEP_1)
	v_add_f64 v[0:1], v[0:1], v[4:5]
	v_add_co_u32 v2, vcc_lo, v68, v2
	v_add_co_ci_u32_e32 v3, vcc_lo, v69, v3, vcc_lo
	global_store_b64 v[2:3], v[0:1], off
	s_or_b32 exec_lo, exec_lo, s0
	s_and_b32 s1, s11, s7
	s_delay_alu instid0(SALU_CYCLE_1)
	s_and_saveexec_b32 s0, s1
	s_cbranch_execz .LBB151_243
.LBB151_296:
	scratch_load_b64 v[0:1], off, off offset:312
	v_cmp_ne_u32_e32 vcc_lo, 1, v70
	v_lshlrev_b64 v[2:3], 3, v[14:15]
	s_cbranch_vccnz .LBB151_298
; %bb.297:
	s_delay_alu instid0(VALU_DEP_1) | instskip(NEXT) | instid1(VALU_DEP_2)
	v_add_co_u32 v4, vcc_lo, v71, v2
	v_add_co_ci_u32_e32 v5, vcc_lo, v72, v3, vcc_lo
	flat_load_b64 v[4:5], v[4:5]
	s_waitcnt vmcnt(0) lgkmcnt(0)
	v_mul_f64 v[4:5], v[4:5], s[38:39]
	s_branch .LBB151_299
.LBB151_298:
	v_mov_b32_e32 v4, 0
	v_mov_b32_e32 v5, 0
.LBB151_299:
	s_waitcnt vmcnt(0)
	s_delay_alu instid0(VALU_DEP_1)
	v_add_f64 v[0:1], v[0:1], v[4:5]
	v_add_co_u32 v2, vcc_lo, v68, v2
	v_add_co_ci_u32_e32 v3, vcc_lo, v69, v3, vcc_lo
	global_store_b64 v[2:3], v[0:1], off
	s_or_b32 exec_lo, exec_lo, s0
	s_and_b32 s1, s11, s8
	s_delay_alu instid0(SALU_CYCLE_1)
	s_and_saveexec_b32 s0, s1
	s_cbranch_execz .LBB151_244
.LBB151_300:
	scratch_load_b64 v[0:1], off, off offset:320
	v_cmp_ne_u32_e32 vcc_lo, 1, v70
	v_lshlrev_b64 v[2:3], 3, v[16:17]
	s_cbranch_vccnz .LBB151_302
; %bb.301:
	s_delay_alu instid0(VALU_DEP_1) | instskip(NEXT) | instid1(VALU_DEP_2)
	v_add_co_u32 v4, vcc_lo, v71, v2
	v_add_co_ci_u32_e32 v5, vcc_lo, v72, v3, vcc_lo
	flat_load_b64 v[4:5], v[4:5]
	s_waitcnt vmcnt(0) lgkmcnt(0)
	v_mul_f64 v[4:5], v[4:5], s[38:39]
	s_branch .LBB151_303
.LBB151_302:
	v_mov_b32_e32 v4, 0
	v_mov_b32_e32 v5, 0
.LBB151_303:
	s_waitcnt vmcnt(0)
	s_delay_alu instid0(VALU_DEP_1)
	v_add_f64 v[0:1], v[0:1], v[4:5]
	v_add_co_u32 v2, vcc_lo, v68, v2
	v_add_co_ci_u32_e32 v3, vcc_lo, v69, v3, vcc_lo
	global_store_b64 v[2:3], v[0:1], off
	s_or_b32 exec_lo, exec_lo, s0
	s_and_b32 s1, s11, s9
	s_delay_alu instid0(SALU_CYCLE_1)
	s_and_saveexec_b32 s0, s1
	s_cbranch_execz .LBB151_245
.LBB151_304:
	scratch_load_b64 v[0:1], off, off offset:328
	v_cmp_ne_u32_e32 vcc_lo, 1, v70
	v_lshlrev_b64 v[2:3], 3, v[18:19]
	s_cbranch_vccnz .LBB151_306
; %bb.305:
	s_delay_alu instid0(VALU_DEP_1) | instskip(NEXT) | instid1(VALU_DEP_2)
	v_add_co_u32 v4, vcc_lo, v71, v2
	v_add_co_ci_u32_e32 v5, vcc_lo, v72, v3, vcc_lo
	flat_load_b64 v[4:5], v[4:5]
	s_waitcnt vmcnt(0) lgkmcnt(0)
	v_mul_f64 v[4:5], v[4:5], s[38:39]
	s_branch .LBB151_307
.LBB151_306:
	v_mov_b32_e32 v4, 0
	v_mov_b32_e32 v5, 0
.LBB151_307:
	s_waitcnt vmcnt(0)
	s_delay_alu instid0(VALU_DEP_1)
	v_add_f64 v[0:1], v[0:1], v[4:5]
	v_add_co_u32 v2, vcc_lo, v68, v2
	v_add_co_ci_u32_e32 v3, vcc_lo, v69, v3, vcc_lo
	global_store_b64 v[2:3], v[0:1], off
	s_or_b32 exec_lo, exec_lo, s0
	s_and_b32 s1, s11, s10
	s_delay_alu instid0(SALU_CYCLE_1)
	s_and_saveexec_b32 s0, s1
	s_cbranch_execz .LBB151_246
.LBB151_308:
	scratch_load_b64 v[0:1], off, off offset:336
	v_cmp_ne_u32_e32 vcc_lo, 1, v70
	v_lshlrev_b64 v[2:3], 3, v[20:21]
	s_cbranch_vccnz .LBB151_310
; %bb.309:
	s_delay_alu instid0(VALU_DEP_1) | instskip(NEXT) | instid1(VALU_DEP_2)
	v_add_co_u32 v4, vcc_lo, v71, v2
	v_add_co_ci_u32_e32 v5, vcc_lo, v72, v3, vcc_lo
	flat_load_b64 v[4:5], v[4:5]
	s_waitcnt vmcnt(0) lgkmcnt(0)
	v_mul_f64 v[4:5], v[4:5], s[38:39]
	s_branch .LBB151_311
.LBB151_310:
	v_mov_b32_e32 v4, 0
	v_mov_b32_e32 v5, 0
.LBB151_311:
	s_waitcnt vmcnt(0)
	s_delay_alu instid0(VALU_DEP_1)
	v_add_f64 v[0:1], v[0:1], v[4:5]
	v_add_co_u32 v2, vcc_lo, v68, v2
	v_add_co_ci_u32_e32 v3, vcc_lo, v69, v3, vcc_lo
	global_store_b64 v[2:3], v[0:1], off
	s_or_b32 exec_lo, exec_lo, s0
	s_and_b32 s1, s11, s12
	s_delay_alu instid0(SALU_CYCLE_1)
	s_and_saveexec_b32 s0, s1
	s_cbranch_execz .LBB151_247
.LBB151_312:
	scratch_load_b64 v[0:1], off, off offset:344
	v_cmp_ne_u32_e32 vcc_lo, 1, v70
	v_lshlrev_b64 v[2:3], 3, v[22:23]
	s_cbranch_vccnz .LBB151_314
; %bb.313:
	s_delay_alu instid0(VALU_DEP_1) | instskip(NEXT) | instid1(VALU_DEP_2)
	v_add_co_u32 v4, vcc_lo, v71, v2
	v_add_co_ci_u32_e32 v5, vcc_lo, v72, v3, vcc_lo
	flat_load_b64 v[4:5], v[4:5]
	s_waitcnt vmcnt(0) lgkmcnt(0)
	v_mul_f64 v[4:5], v[4:5], s[38:39]
	s_branch .LBB151_315
.LBB151_314:
	v_mov_b32_e32 v4, 0
	v_mov_b32_e32 v5, 0
.LBB151_315:
	s_waitcnt vmcnt(0)
	s_delay_alu instid0(VALU_DEP_1)
	v_add_f64 v[0:1], v[0:1], v[4:5]
	v_add_co_u32 v2, vcc_lo, v68, v2
	v_add_co_ci_u32_e32 v3, vcc_lo, v69, v3, vcc_lo
	global_store_b64 v[2:3], v[0:1], off
	s_or_b32 exec_lo, exec_lo, s0
	s_and_b32 s1, s11, s13
	s_delay_alu instid0(SALU_CYCLE_1)
	s_and_saveexec_b32 s0, s1
	s_cbranch_execz .LBB151_248
.LBB151_316:
	scratch_load_b64 v[0:1], off, off offset:352
	v_cmp_ne_u32_e32 vcc_lo, 1, v70
	v_lshlrev_b64 v[2:3], 3, v[24:25]
	s_cbranch_vccnz .LBB151_318
; %bb.317:
	s_delay_alu instid0(VALU_DEP_1) | instskip(NEXT) | instid1(VALU_DEP_2)
	v_add_co_u32 v4, vcc_lo, v71, v2
	v_add_co_ci_u32_e32 v5, vcc_lo, v72, v3, vcc_lo
	flat_load_b64 v[4:5], v[4:5]
	s_waitcnt vmcnt(0) lgkmcnt(0)
	v_mul_f64 v[4:5], v[4:5], s[38:39]
	s_branch .LBB151_319
.LBB151_318:
	v_mov_b32_e32 v4, 0
	v_mov_b32_e32 v5, 0
.LBB151_319:
	s_waitcnt vmcnt(0)
	s_delay_alu instid0(VALU_DEP_1)
	v_add_f64 v[0:1], v[0:1], v[4:5]
	v_add_co_u32 v2, vcc_lo, v68, v2
	v_add_co_ci_u32_e32 v3, vcc_lo, v69, v3, vcc_lo
	global_store_b64 v[2:3], v[0:1], off
	s_or_b32 exec_lo, exec_lo, s0
	s_and_b32 s1, s11, s14
	s_delay_alu instid0(SALU_CYCLE_1)
	s_and_saveexec_b32 s0, s1
	s_cbranch_execz .LBB151_249
.LBB151_320:
	scratch_load_b64 v[0:1], off, off offset:360
	v_cmp_ne_u32_e32 vcc_lo, 1, v70
	v_lshlrev_b64 v[2:3], 3, v[26:27]
	s_cbranch_vccnz .LBB151_322
; %bb.321:
	s_delay_alu instid0(VALU_DEP_1) | instskip(NEXT) | instid1(VALU_DEP_2)
	v_add_co_u32 v4, vcc_lo, v71, v2
	v_add_co_ci_u32_e32 v5, vcc_lo, v72, v3, vcc_lo
	flat_load_b64 v[4:5], v[4:5]
	s_waitcnt vmcnt(0) lgkmcnt(0)
	v_mul_f64 v[4:5], v[4:5], s[38:39]
	s_branch .LBB151_323
.LBB151_322:
	v_mov_b32_e32 v4, 0
	v_mov_b32_e32 v5, 0
.LBB151_323:
	s_waitcnt vmcnt(0)
	s_delay_alu instid0(VALU_DEP_1)
	v_add_f64 v[0:1], v[0:1], v[4:5]
	v_add_co_u32 v2, vcc_lo, v68, v2
	v_add_co_ci_u32_e32 v3, vcc_lo, v69, v3, vcc_lo
	global_store_b64 v[2:3], v[0:1], off
	s_or_b32 exec_lo, exec_lo, s0
	s_and_b32 s1, s11, s15
	s_delay_alu instid0(SALU_CYCLE_1)
	s_and_saveexec_b32 s0, s1
	s_cbranch_execz .LBB151_250
.LBB151_324:
	scratch_load_b64 v[0:1], off, off offset:368
	v_cmp_ne_u32_e32 vcc_lo, 1, v70
	v_lshlrev_b64 v[2:3], 3, v[28:29]
	s_cbranch_vccnz .LBB151_326
; %bb.325:
	s_delay_alu instid0(VALU_DEP_1) | instskip(NEXT) | instid1(VALU_DEP_2)
	v_add_co_u32 v4, vcc_lo, v71, v2
	v_add_co_ci_u32_e32 v5, vcc_lo, v72, v3, vcc_lo
	flat_load_b64 v[4:5], v[4:5]
	s_waitcnt vmcnt(0) lgkmcnt(0)
	v_mul_f64 v[4:5], v[4:5], s[38:39]
	s_branch .LBB151_327
.LBB151_326:
	v_mov_b32_e32 v4, 0
	v_mov_b32_e32 v5, 0
.LBB151_327:
	s_waitcnt vmcnt(0)
	s_delay_alu instid0(VALU_DEP_1)
	v_add_f64 v[0:1], v[0:1], v[4:5]
	v_add_co_u32 v2, vcc_lo, v68, v2
	v_add_co_ci_u32_e32 v3, vcc_lo, v69, v3, vcc_lo
	global_store_b64 v[2:3], v[0:1], off
	s_or_b32 exec_lo, exec_lo, s0
	s_and_b32 s1, s11, s16
	s_delay_alu instid0(SALU_CYCLE_1)
	s_and_saveexec_b32 s0, s1
	s_cbranch_execz .LBB151_251
.LBB151_328:
	scratch_load_b64 v[0:1], off, off offset:376
	v_cmp_ne_u32_e32 vcc_lo, 1, v70
	v_lshlrev_b64 v[2:3], 3, v[30:31]
	s_cbranch_vccnz .LBB151_330
; %bb.329:
	s_delay_alu instid0(VALU_DEP_1) | instskip(NEXT) | instid1(VALU_DEP_2)
	v_add_co_u32 v4, vcc_lo, v71, v2
	v_add_co_ci_u32_e32 v5, vcc_lo, v72, v3, vcc_lo
	flat_load_b64 v[4:5], v[4:5]
	s_waitcnt vmcnt(0) lgkmcnt(0)
	v_mul_f64 v[4:5], v[4:5], s[38:39]
	s_branch .LBB151_331
.LBB151_330:
	v_mov_b32_e32 v4, 0
	v_mov_b32_e32 v5, 0
.LBB151_331:
	s_waitcnt vmcnt(0)
	s_delay_alu instid0(VALU_DEP_1)
	v_add_f64 v[0:1], v[0:1], v[4:5]
	v_add_co_u32 v2, vcc_lo, v68, v2
	v_add_co_ci_u32_e32 v3, vcc_lo, v69, v3, vcc_lo
	global_store_b64 v[2:3], v[0:1], off
	s_or_b32 exec_lo, exec_lo, s0
	s_and_b32 s1, s11, s17
	s_delay_alu instid0(SALU_CYCLE_1)
	s_and_saveexec_b32 s0, s1
	s_cbranch_execz .LBB151_252
.LBB151_332:
	scratch_load_b64 v[0:1], off, off offset:384
	v_cmp_ne_u32_e32 vcc_lo, 1, v70
	v_lshlrev_b64 v[2:3], 3, v[32:33]
	s_cbranch_vccnz .LBB151_334
; %bb.333:
	s_delay_alu instid0(VALU_DEP_1) | instskip(NEXT) | instid1(VALU_DEP_2)
	v_add_co_u32 v4, vcc_lo, v71, v2
	v_add_co_ci_u32_e32 v5, vcc_lo, v72, v3, vcc_lo
	flat_load_b64 v[4:5], v[4:5]
	s_waitcnt vmcnt(0) lgkmcnt(0)
	v_mul_f64 v[4:5], v[4:5], s[38:39]
	s_branch .LBB151_335
.LBB151_334:
	v_mov_b32_e32 v4, 0
	v_mov_b32_e32 v5, 0
.LBB151_335:
	s_waitcnt vmcnt(0)
	s_delay_alu instid0(VALU_DEP_1)
	v_add_f64 v[0:1], v[0:1], v[4:5]
	v_add_co_u32 v2, vcc_lo, v68, v2
	v_add_co_ci_u32_e32 v3, vcc_lo, v69, v3, vcc_lo
	global_store_b64 v[2:3], v[0:1], off
	s_or_b32 exec_lo, exec_lo, s0
	s_and_b32 s1, s11, s18
	s_delay_alu instid0(SALU_CYCLE_1)
	s_and_saveexec_b32 s0, s1
	s_cbranch_execz .LBB151_253
.LBB151_336:
	scratch_load_b64 v[0:1], off, off offset:392
	v_cmp_ne_u32_e32 vcc_lo, 1, v70
	v_lshlrev_b64 v[2:3], 3, v[34:35]
	s_cbranch_vccnz .LBB151_338
; %bb.337:
	s_delay_alu instid0(VALU_DEP_1) | instskip(NEXT) | instid1(VALU_DEP_2)
	v_add_co_u32 v4, vcc_lo, v71, v2
	v_add_co_ci_u32_e32 v5, vcc_lo, v72, v3, vcc_lo
	flat_load_b64 v[4:5], v[4:5]
	s_waitcnt vmcnt(0) lgkmcnt(0)
	v_mul_f64 v[4:5], v[4:5], s[38:39]
	s_branch .LBB151_339
.LBB151_338:
	v_mov_b32_e32 v4, 0
	v_mov_b32_e32 v5, 0
.LBB151_339:
	s_waitcnt vmcnt(0)
	s_delay_alu instid0(VALU_DEP_1)
	v_add_f64 v[0:1], v[0:1], v[4:5]
	v_add_co_u32 v2, vcc_lo, v68, v2
	v_add_co_ci_u32_e32 v3, vcc_lo, v69, v3, vcc_lo
	global_store_b64 v[2:3], v[0:1], off
	s_or_b32 exec_lo, exec_lo, s0
	s_and_b32 s1, s11, s19
	s_delay_alu instid0(SALU_CYCLE_1)
	s_and_saveexec_b32 s0, s1
	s_cbranch_execz .LBB151_254
.LBB151_340:
	scratch_load_b64 v[0:1], off, off offset:400
	v_cmp_ne_u32_e32 vcc_lo, 1, v70
	v_lshlrev_b64 v[2:3], 3, v[36:37]
	s_cbranch_vccnz .LBB151_342
; %bb.341:
	s_delay_alu instid0(VALU_DEP_1) | instskip(NEXT) | instid1(VALU_DEP_2)
	v_add_co_u32 v4, vcc_lo, v71, v2
	v_add_co_ci_u32_e32 v5, vcc_lo, v72, v3, vcc_lo
	flat_load_b64 v[4:5], v[4:5]
	s_waitcnt vmcnt(0) lgkmcnt(0)
	v_mul_f64 v[4:5], v[4:5], s[38:39]
	s_branch .LBB151_343
.LBB151_342:
	v_mov_b32_e32 v4, 0
	v_mov_b32_e32 v5, 0
.LBB151_343:
	s_waitcnt vmcnt(0)
	s_delay_alu instid0(VALU_DEP_1)
	v_add_f64 v[0:1], v[0:1], v[4:5]
	v_add_co_u32 v2, vcc_lo, v68, v2
	v_add_co_ci_u32_e32 v3, vcc_lo, v69, v3, vcc_lo
	global_store_b64 v[2:3], v[0:1], off
	s_or_b32 exec_lo, exec_lo, s0
	s_and_b32 s1, s11, s20
	s_delay_alu instid0(SALU_CYCLE_1)
	s_and_saveexec_b32 s0, s1
	s_cbranch_execz .LBB151_255
.LBB151_344:
	scratch_load_b64 v[0:1], off, off offset:408
	v_cmp_ne_u32_e32 vcc_lo, 1, v70
	v_lshlrev_b64 v[2:3], 3, v[38:39]
	s_cbranch_vccnz .LBB151_346
; %bb.345:
	s_delay_alu instid0(VALU_DEP_1) | instskip(NEXT) | instid1(VALU_DEP_2)
	v_add_co_u32 v4, vcc_lo, v71, v2
	v_add_co_ci_u32_e32 v5, vcc_lo, v72, v3, vcc_lo
	flat_load_b64 v[4:5], v[4:5]
	s_waitcnt vmcnt(0) lgkmcnt(0)
	v_mul_f64 v[4:5], v[4:5], s[38:39]
	s_branch .LBB151_347
.LBB151_346:
	v_mov_b32_e32 v4, 0
	v_mov_b32_e32 v5, 0
.LBB151_347:
	s_waitcnt vmcnt(0)
	s_delay_alu instid0(VALU_DEP_1)
	v_add_f64 v[0:1], v[0:1], v[4:5]
	v_add_co_u32 v2, vcc_lo, v68, v2
	v_add_co_ci_u32_e32 v3, vcc_lo, v69, v3, vcc_lo
	global_store_b64 v[2:3], v[0:1], off
	s_or_b32 exec_lo, exec_lo, s0
	s_and_b32 s1, s11, s21
	s_delay_alu instid0(SALU_CYCLE_1)
	s_and_saveexec_b32 s0, s1
	s_cbranch_execz .LBB151_256
.LBB151_348:
	scratch_load_b64 v[0:1], off, off offset:416
	v_cmp_ne_u32_e32 vcc_lo, 1, v70
	v_lshlrev_b64 v[2:3], 3, v[40:41]
	s_cbranch_vccnz .LBB151_350
; %bb.349:
	s_delay_alu instid0(VALU_DEP_1) | instskip(NEXT) | instid1(VALU_DEP_2)
	v_add_co_u32 v4, vcc_lo, v71, v2
	v_add_co_ci_u32_e32 v5, vcc_lo, v72, v3, vcc_lo
	flat_load_b64 v[4:5], v[4:5]
	s_waitcnt vmcnt(0) lgkmcnt(0)
	v_mul_f64 v[4:5], v[4:5], s[38:39]
	s_branch .LBB151_351
.LBB151_350:
	v_mov_b32_e32 v4, 0
	v_mov_b32_e32 v5, 0
.LBB151_351:
	s_waitcnt vmcnt(0)
	s_delay_alu instid0(VALU_DEP_1)
	v_add_f64 v[0:1], v[0:1], v[4:5]
	v_add_co_u32 v2, vcc_lo, v68, v2
	v_add_co_ci_u32_e32 v3, vcc_lo, v69, v3, vcc_lo
	global_store_b64 v[2:3], v[0:1], off
	s_or_b32 exec_lo, exec_lo, s0
	s_and_b32 s1, s11, s22
	s_delay_alu instid0(SALU_CYCLE_1)
	s_and_saveexec_b32 s0, s1
	s_cbranch_execz .LBB151_257
.LBB151_352:
	scratch_load_b64 v[0:1], off, off offset:424
	v_cmp_ne_u32_e32 vcc_lo, 1, v70
	v_lshlrev_b64 v[2:3], 3, v[42:43]
	s_cbranch_vccnz .LBB151_354
; %bb.353:
	s_delay_alu instid0(VALU_DEP_1) | instskip(NEXT) | instid1(VALU_DEP_2)
	v_add_co_u32 v4, vcc_lo, v71, v2
	v_add_co_ci_u32_e32 v5, vcc_lo, v72, v3, vcc_lo
	flat_load_b64 v[4:5], v[4:5]
	s_waitcnt vmcnt(0) lgkmcnt(0)
	v_mul_f64 v[4:5], v[4:5], s[38:39]
	s_branch .LBB151_355
.LBB151_354:
	v_mov_b32_e32 v4, 0
	v_mov_b32_e32 v5, 0
.LBB151_355:
	s_waitcnt vmcnt(0)
	s_delay_alu instid0(VALU_DEP_1)
	v_add_f64 v[0:1], v[0:1], v[4:5]
	v_add_co_u32 v2, vcc_lo, v68, v2
	v_add_co_ci_u32_e32 v3, vcc_lo, v69, v3, vcc_lo
	global_store_b64 v[2:3], v[0:1], off
	s_or_b32 exec_lo, exec_lo, s0
	s_and_b32 s1, s11, s23
	s_delay_alu instid0(SALU_CYCLE_1)
	s_and_saveexec_b32 s0, s1
	s_cbranch_execz .LBB151_258
.LBB151_356:
	scratch_load_b64 v[0:1], off, off offset:432
	v_cmp_ne_u32_e32 vcc_lo, 1, v70
	v_lshlrev_b64 v[2:3], 3, v[44:45]
	s_cbranch_vccnz .LBB151_358
; %bb.357:
	s_delay_alu instid0(VALU_DEP_1) | instskip(NEXT) | instid1(VALU_DEP_2)
	v_add_co_u32 v4, vcc_lo, v71, v2
	v_add_co_ci_u32_e32 v5, vcc_lo, v72, v3, vcc_lo
	flat_load_b64 v[4:5], v[4:5]
	s_waitcnt vmcnt(0) lgkmcnt(0)
	v_mul_f64 v[4:5], v[4:5], s[38:39]
	s_branch .LBB151_359
.LBB151_358:
	v_mov_b32_e32 v4, 0
	v_mov_b32_e32 v5, 0
.LBB151_359:
	s_waitcnt vmcnt(0)
	s_delay_alu instid0(VALU_DEP_1)
	v_add_f64 v[0:1], v[0:1], v[4:5]
	v_add_co_u32 v2, vcc_lo, v68, v2
	v_add_co_ci_u32_e32 v3, vcc_lo, v69, v3, vcc_lo
	global_store_b64 v[2:3], v[0:1], off
	s_or_b32 exec_lo, exec_lo, s0
	s_and_b32 s1, s11, s24
	s_delay_alu instid0(SALU_CYCLE_1)
	s_and_saveexec_b32 s0, s1
	s_cbranch_execz .LBB151_259
.LBB151_360:
	scratch_load_b64 v[0:1], off, off offset:440
	v_cmp_ne_u32_e32 vcc_lo, 1, v70
	v_lshlrev_b64 v[2:3], 3, v[46:47]
	s_cbranch_vccnz .LBB151_362
; %bb.361:
	s_delay_alu instid0(VALU_DEP_1) | instskip(NEXT) | instid1(VALU_DEP_2)
	v_add_co_u32 v4, vcc_lo, v71, v2
	v_add_co_ci_u32_e32 v5, vcc_lo, v72, v3, vcc_lo
	flat_load_b64 v[4:5], v[4:5]
	s_waitcnt vmcnt(0) lgkmcnt(0)
	v_mul_f64 v[4:5], v[4:5], s[38:39]
	s_branch .LBB151_363
.LBB151_362:
	v_mov_b32_e32 v4, 0
	v_mov_b32_e32 v5, 0
.LBB151_363:
	s_waitcnt vmcnt(0)
	s_delay_alu instid0(VALU_DEP_1)
	v_add_f64 v[0:1], v[0:1], v[4:5]
	v_add_co_u32 v2, vcc_lo, v68, v2
	v_add_co_ci_u32_e32 v3, vcc_lo, v69, v3, vcc_lo
	global_store_b64 v[2:3], v[0:1], off
	s_or_b32 exec_lo, exec_lo, s0
	s_and_b32 s1, s11, s25
	s_delay_alu instid0(SALU_CYCLE_1)
	s_and_saveexec_b32 s0, s1
	s_cbranch_execz .LBB151_260
.LBB151_364:
	scratch_load_b64 v[0:1], off, off offset:448
	v_cmp_ne_u32_e32 vcc_lo, 1, v70
	v_lshlrev_b64 v[2:3], 3, v[48:49]
	s_cbranch_vccnz .LBB151_366
; %bb.365:
	s_delay_alu instid0(VALU_DEP_1) | instskip(NEXT) | instid1(VALU_DEP_2)
	v_add_co_u32 v4, vcc_lo, v71, v2
	v_add_co_ci_u32_e32 v5, vcc_lo, v72, v3, vcc_lo
	flat_load_b64 v[4:5], v[4:5]
	s_waitcnt vmcnt(0) lgkmcnt(0)
	v_mul_f64 v[4:5], v[4:5], s[38:39]
	s_branch .LBB151_367
.LBB151_366:
	v_mov_b32_e32 v4, 0
	v_mov_b32_e32 v5, 0
.LBB151_367:
	s_waitcnt vmcnt(0)
	s_delay_alu instid0(VALU_DEP_1)
	v_add_f64 v[0:1], v[0:1], v[4:5]
	v_add_co_u32 v2, vcc_lo, v68, v2
	v_add_co_ci_u32_e32 v3, vcc_lo, v69, v3, vcc_lo
	global_store_b64 v[2:3], v[0:1], off
	s_or_b32 exec_lo, exec_lo, s0
	s_and_b32 s1, s11, s26
	s_delay_alu instid0(SALU_CYCLE_1)
	s_and_saveexec_b32 s0, s1
	s_cbranch_execz .LBB151_261
.LBB151_368:
	scratch_load_b64 v[0:1], off, off offset:456
	v_cmp_ne_u32_e32 vcc_lo, 1, v70
	v_lshlrev_b64 v[2:3], 3, v[50:51]
	s_cbranch_vccnz .LBB151_370
; %bb.369:
	s_delay_alu instid0(VALU_DEP_1) | instskip(NEXT) | instid1(VALU_DEP_2)
	v_add_co_u32 v4, vcc_lo, v71, v2
	v_add_co_ci_u32_e32 v5, vcc_lo, v72, v3, vcc_lo
	flat_load_b64 v[4:5], v[4:5]
	s_waitcnt vmcnt(0) lgkmcnt(0)
	v_mul_f64 v[4:5], v[4:5], s[38:39]
	s_branch .LBB151_371
.LBB151_370:
	v_mov_b32_e32 v4, 0
	v_mov_b32_e32 v5, 0
.LBB151_371:
	s_waitcnt vmcnt(0)
	s_delay_alu instid0(VALU_DEP_1)
	v_add_f64 v[0:1], v[0:1], v[4:5]
	v_add_co_u32 v2, vcc_lo, v68, v2
	v_add_co_ci_u32_e32 v3, vcc_lo, v69, v3, vcc_lo
	global_store_b64 v[2:3], v[0:1], off
	s_or_b32 exec_lo, exec_lo, s0
	s_and_b32 s1, s11, s27
	s_delay_alu instid0(SALU_CYCLE_1)
	s_and_saveexec_b32 s0, s1
	s_cbranch_execz .LBB151_262
.LBB151_372:
	scratch_load_b64 v[0:1], off, off offset:464
	v_cmp_ne_u32_e32 vcc_lo, 1, v70
	v_lshlrev_b64 v[2:3], 3, v[52:53]
	s_cbranch_vccnz .LBB151_374
; %bb.373:
	s_delay_alu instid0(VALU_DEP_1) | instskip(NEXT) | instid1(VALU_DEP_2)
	v_add_co_u32 v4, vcc_lo, v71, v2
	v_add_co_ci_u32_e32 v5, vcc_lo, v72, v3, vcc_lo
	flat_load_b64 v[4:5], v[4:5]
	s_waitcnt vmcnt(0) lgkmcnt(0)
	v_mul_f64 v[4:5], v[4:5], s[38:39]
	s_branch .LBB151_375
.LBB151_374:
	v_mov_b32_e32 v4, 0
	v_mov_b32_e32 v5, 0
.LBB151_375:
	s_waitcnt vmcnt(0)
	s_delay_alu instid0(VALU_DEP_1)
	v_add_f64 v[0:1], v[0:1], v[4:5]
	v_add_co_u32 v2, vcc_lo, v68, v2
	v_add_co_ci_u32_e32 v3, vcc_lo, v69, v3, vcc_lo
	global_store_b64 v[2:3], v[0:1], off
	s_or_b32 exec_lo, exec_lo, s0
	s_and_b32 s1, s11, s28
	s_delay_alu instid0(SALU_CYCLE_1)
	s_and_saveexec_b32 s0, s1
	s_cbranch_execz .LBB151_263
.LBB151_376:
	scratch_load_b64 v[0:1], off, off offset:472
	v_cmp_ne_u32_e32 vcc_lo, 1, v70
	v_lshlrev_b64 v[2:3], 3, v[54:55]
	s_cbranch_vccnz .LBB151_378
; %bb.377:
	s_delay_alu instid0(VALU_DEP_1) | instskip(NEXT) | instid1(VALU_DEP_2)
	v_add_co_u32 v4, vcc_lo, v71, v2
	v_add_co_ci_u32_e32 v5, vcc_lo, v72, v3, vcc_lo
	flat_load_b64 v[4:5], v[4:5]
	s_waitcnt vmcnt(0) lgkmcnt(0)
	v_mul_f64 v[4:5], v[4:5], s[38:39]
	s_branch .LBB151_379
.LBB151_378:
	v_mov_b32_e32 v4, 0
	v_mov_b32_e32 v5, 0
.LBB151_379:
	s_waitcnt vmcnt(0)
	s_delay_alu instid0(VALU_DEP_1)
	v_add_f64 v[0:1], v[0:1], v[4:5]
	v_add_co_u32 v2, vcc_lo, v68, v2
	v_add_co_ci_u32_e32 v3, vcc_lo, v69, v3, vcc_lo
	global_store_b64 v[2:3], v[0:1], off
	s_or_b32 exec_lo, exec_lo, s0
	s_and_b32 s1, s11, s29
	s_delay_alu instid0(SALU_CYCLE_1)
	s_and_saveexec_b32 s0, s1
	s_cbranch_execz .LBB151_264
.LBB151_380:
	scratch_load_b64 v[0:1], off, off offset:480
	v_cmp_ne_u32_e32 vcc_lo, 1, v70
	v_lshlrev_b64 v[2:3], 3, v[56:57]
	s_cbranch_vccnz .LBB151_382
; %bb.381:
	s_delay_alu instid0(VALU_DEP_1) | instskip(NEXT) | instid1(VALU_DEP_2)
	v_add_co_u32 v4, vcc_lo, v71, v2
	v_add_co_ci_u32_e32 v5, vcc_lo, v72, v3, vcc_lo
	flat_load_b64 v[4:5], v[4:5]
	s_waitcnt vmcnt(0) lgkmcnt(0)
	v_mul_f64 v[4:5], v[4:5], s[38:39]
	s_branch .LBB151_383
.LBB151_382:
	v_mov_b32_e32 v4, 0
	v_mov_b32_e32 v5, 0
.LBB151_383:
	s_waitcnt vmcnt(0)
	s_delay_alu instid0(VALU_DEP_1)
	v_add_f64 v[0:1], v[0:1], v[4:5]
	v_add_co_u32 v2, vcc_lo, v68, v2
	v_add_co_ci_u32_e32 v3, vcc_lo, v69, v3, vcc_lo
	global_store_b64 v[2:3], v[0:1], off
	s_or_b32 exec_lo, exec_lo, s0
	s_and_b32 s1, s11, s30
	s_delay_alu instid0(SALU_CYCLE_1)
	s_and_saveexec_b32 s0, s1
	s_cbranch_execz .LBB151_265
.LBB151_384:
	scratch_load_b64 v[0:1], off, off offset:488
	v_cmp_ne_u32_e32 vcc_lo, 1, v70
	v_lshlrev_b64 v[2:3], 3, v[58:59]
	s_cbranch_vccnz .LBB151_386
; %bb.385:
	s_delay_alu instid0(VALU_DEP_1) | instskip(NEXT) | instid1(VALU_DEP_2)
	v_add_co_u32 v4, vcc_lo, v71, v2
	v_add_co_ci_u32_e32 v5, vcc_lo, v72, v3, vcc_lo
	flat_load_b64 v[4:5], v[4:5]
	s_waitcnt vmcnt(0) lgkmcnt(0)
	v_mul_f64 v[4:5], v[4:5], s[38:39]
	s_branch .LBB151_387
.LBB151_386:
	v_mov_b32_e32 v4, 0
	v_mov_b32_e32 v5, 0
.LBB151_387:
	s_waitcnt vmcnt(0)
	s_delay_alu instid0(VALU_DEP_1)
	v_add_f64 v[0:1], v[0:1], v[4:5]
	v_add_co_u32 v2, vcc_lo, v68, v2
	v_add_co_ci_u32_e32 v3, vcc_lo, v69, v3, vcc_lo
	global_store_b64 v[2:3], v[0:1], off
	s_or_b32 exec_lo, exec_lo, s0
	s_and_b32 s1, s11, s31
	s_delay_alu instid0(SALU_CYCLE_1)
	s_and_saveexec_b32 s0, s1
	s_cbranch_execz .LBB151_266
.LBB151_388:
	scratch_load_b64 v[0:1], off, off offset:496
	v_cmp_ne_u32_e32 vcc_lo, 1, v70
	v_lshlrev_b64 v[2:3], 3, v[60:61]
	s_cbranch_vccnz .LBB151_390
; %bb.389:
	s_delay_alu instid0(VALU_DEP_1) | instskip(NEXT) | instid1(VALU_DEP_2)
	v_add_co_u32 v4, vcc_lo, v71, v2
	v_add_co_ci_u32_e32 v5, vcc_lo, v72, v3, vcc_lo
	flat_load_b64 v[4:5], v[4:5]
	s_waitcnt vmcnt(0) lgkmcnt(0)
	v_mul_f64 v[4:5], v[4:5], s[38:39]
	s_branch .LBB151_391
.LBB151_390:
	v_mov_b32_e32 v4, 0
	v_mov_b32_e32 v5, 0
.LBB151_391:
	s_waitcnt vmcnt(0)
	s_delay_alu instid0(VALU_DEP_1)
	v_add_f64 v[0:1], v[0:1], v[4:5]
	v_add_co_u32 v2, vcc_lo, v68, v2
	v_add_co_ci_u32_e32 v3, vcc_lo, v69, v3, vcc_lo
	global_store_b64 v[2:3], v[0:1], off
	s_or_b32 exec_lo, exec_lo, s0
	s_and_b32 s0, s11, s33
	s_delay_alu instid0(SALU_CYCLE_1)
	s_and_saveexec_b32 s1, s0
	s_cbranch_execz .LBB151_267
.LBB151_392:
	scratch_load_b64 v[0:1], off, off offset:504
	v_cmp_ne_u32_e32 vcc_lo, 1, v70
	v_lshlrev_b64 v[2:3], 3, v[62:63]
	s_cbranch_vccnz .LBB151_394
; %bb.393:
	s_delay_alu instid0(VALU_DEP_1) | instskip(NEXT) | instid1(VALU_DEP_2)
	v_add_co_u32 v4, vcc_lo, v71, v2
	v_add_co_ci_u32_e32 v5, vcc_lo, v72, v3, vcc_lo
	flat_load_b64 v[4:5], v[4:5]
	s_waitcnt vmcnt(0) lgkmcnt(0)
	v_mul_f64 v[4:5], v[4:5], s[38:39]
	s_branch .LBB151_395
.LBB151_394:
	v_mov_b32_e32 v4, 0
	v_mov_b32_e32 v5, 0
.LBB151_395:
	s_waitcnt vmcnt(0)
	s_delay_alu instid0(VALU_DEP_1)
	v_add_f64 v[0:1], v[0:1], v[4:5]
	v_add_co_u32 v2, vcc_lo, v68, v2
	v_add_co_ci_u32_e32 v3, vcc_lo, v69, v3, vcc_lo
	global_store_b64 v[2:3], v[0:1], off
	s_endpgm
	.section	.rodata,"a",@progbits
	.p2align	6, 0x0
	.amdhsa_kernel _ZN12_GLOBAL__N_120geam_min_plus_kernelIdddLi4ELi64ELi128ELi128ELi4ELi4ELi64ELi64ELi4ELc84ELc84ELb1ELb1ELb0EdKPKdKPdEEviiiT16_PT17_ilS8_ilS6_S8_ilPT18_ili26rocblas_geam_ex_operation_
		.amdhsa_group_segment_fixed_size 16384
		.amdhsa_private_segment_fixed_size 528
		.amdhsa_kernarg_size 136
		.amdhsa_user_sgpr_count 14
		.amdhsa_user_sgpr_dispatch_ptr 0
		.amdhsa_user_sgpr_queue_ptr 0
		.amdhsa_user_sgpr_kernarg_segment_ptr 1
		.amdhsa_user_sgpr_dispatch_id 0
		.amdhsa_user_sgpr_private_segment_size 0
		.amdhsa_wavefront_size32 1
		.amdhsa_uses_dynamic_stack 0
		.amdhsa_enable_private_segment 1
		.amdhsa_system_sgpr_workgroup_id_x 1
		.amdhsa_system_sgpr_workgroup_id_y 0
		.amdhsa_system_sgpr_workgroup_id_z 1
		.amdhsa_system_sgpr_workgroup_info 0
		.amdhsa_system_vgpr_workitem_id 1
		.amdhsa_next_free_vgpr 252
		.amdhsa_next_free_sgpr 46
		.amdhsa_reserve_vcc 1
		.amdhsa_float_round_mode_32 0
		.amdhsa_float_round_mode_16_64 0
		.amdhsa_float_denorm_mode_32 3
		.amdhsa_float_denorm_mode_16_64 3
		.amdhsa_dx10_clamp 1
		.amdhsa_ieee_mode 1
		.amdhsa_fp16_overflow 0
		.amdhsa_workgroup_processor_mode 1
		.amdhsa_memory_ordered 1
		.amdhsa_forward_progress 0
		.amdhsa_shared_vgpr_count 0
		.amdhsa_exception_fp_ieee_invalid_op 0
		.amdhsa_exception_fp_denorm_src 0
		.amdhsa_exception_fp_ieee_div_zero 0
		.amdhsa_exception_fp_ieee_overflow 0
		.amdhsa_exception_fp_ieee_underflow 0
		.amdhsa_exception_fp_ieee_inexact 0
		.amdhsa_exception_int_div_zero 0
	.end_amdhsa_kernel
	.section	.text._ZN12_GLOBAL__N_120geam_min_plus_kernelIdddLi4ELi64ELi128ELi128ELi4ELi4ELi64ELi64ELi4ELc84ELc84ELb1ELb1ELb0EdKPKdKPdEEviiiT16_PT17_ilS8_ilS6_S8_ilPT18_ili26rocblas_geam_ex_operation_,"axG",@progbits,_ZN12_GLOBAL__N_120geam_min_plus_kernelIdddLi4ELi64ELi128ELi128ELi4ELi4ELi64ELi64ELi4ELc84ELc84ELb1ELb1ELb0EdKPKdKPdEEviiiT16_PT17_ilS8_ilS6_S8_ilPT18_ili26rocblas_geam_ex_operation_,comdat
.Lfunc_end151:
	.size	_ZN12_GLOBAL__N_120geam_min_plus_kernelIdddLi4ELi64ELi128ELi128ELi4ELi4ELi64ELi64ELi4ELc84ELc84ELb1ELb1ELb0EdKPKdKPdEEviiiT16_PT17_ilS8_ilS6_S8_ilPT18_ili26rocblas_geam_ex_operation_, .Lfunc_end151-_ZN12_GLOBAL__N_120geam_min_plus_kernelIdddLi4ELi64ELi128ELi128ELi4ELi4ELi64ELi64ELi4ELc84ELc84ELb1ELb1ELb0EdKPKdKPdEEviiiT16_PT17_ilS8_ilS6_S8_ilPT18_ili26rocblas_geam_ex_operation_
                                        ; -- End function
	.section	.AMDGPU.csdata,"",@progbits
; Kernel info:
; codeLenInByte = 47032
; NumSgprs: 48
; NumVgprs: 252
; ScratchSize: 528
; MemoryBound: 1
; FloatMode: 240
; IeeeMode: 1
; LDSByteSize: 16384 bytes/workgroup (compile time only)
; SGPRBlocks: 5
; VGPRBlocks: 31
; NumSGPRsForWavesPerEU: 48
; NumVGPRsForWavesPerEU: 252
; Occupancy: 5
; WaveLimiterHint : 1
; COMPUTE_PGM_RSRC2:SCRATCH_EN: 1
; COMPUTE_PGM_RSRC2:USER_SGPR: 14
; COMPUTE_PGM_RSRC2:TRAP_HANDLER: 0
; COMPUTE_PGM_RSRC2:TGID_X_EN: 1
; COMPUTE_PGM_RSRC2:TGID_Y_EN: 0
; COMPUTE_PGM_RSRC2:TGID_Z_EN: 1
; COMPUTE_PGM_RSRC2:TIDIG_COMP_CNT: 1
	.section	.text._ZN12_GLOBAL__N_120geam_min_plus_kernelIdddLi4ELi64ELi128ELi128ELi4ELi4ELi64ELi64ELi4ELc84ELc84ELb0ELb1ELb0EdKPKdKPdEEviiiT16_PT17_ilS8_ilS6_S8_ilPT18_ili26rocblas_geam_ex_operation_,"axG",@progbits,_ZN12_GLOBAL__N_120geam_min_plus_kernelIdddLi4ELi64ELi128ELi128ELi4ELi4ELi64ELi64ELi4ELc84ELc84ELb0ELb1ELb0EdKPKdKPdEEviiiT16_PT17_ilS8_ilS6_S8_ilPT18_ili26rocblas_geam_ex_operation_,comdat
	.globl	_ZN12_GLOBAL__N_120geam_min_plus_kernelIdddLi4ELi64ELi128ELi128ELi4ELi4ELi64ELi64ELi4ELc84ELc84ELb0ELb1ELb0EdKPKdKPdEEviiiT16_PT17_ilS8_ilS6_S8_ilPT18_ili26rocblas_geam_ex_operation_ ; -- Begin function _ZN12_GLOBAL__N_120geam_min_plus_kernelIdddLi4ELi64ELi128ELi128ELi4ELi4ELi64ELi64ELi4ELc84ELc84ELb0ELb1ELb0EdKPKdKPdEEviiiT16_PT17_ilS8_ilS6_S8_ilPT18_ili26rocblas_geam_ex_operation_
	.p2align	8
	.type	_ZN12_GLOBAL__N_120geam_min_plus_kernelIdddLi4ELi64ELi128ELi128ELi4ELi4ELi64ELi64ELi4ELc84ELc84ELb0ELb1ELb0EdKPKdKPdEEviiiT16_PT17_ilS8_ilS6_S8_ilPT18_ili26rocblas_geam_ex_operation_,@function
_ZN12_GLOBAL__N_120geam_min_plus_kernelIdddLi4ELi64ELi128ELi128ELi4ELi4ELi64ELi64ELi4ELc84ELc84ELb0ELb1ELb0EdKPKdKPdEEviiiT16_PT17_ilS8_ilS6_S8_ilPT18_ili26rocblas_geam_ex_operation_: ; @_ZN12_GLOBAL__N_120geam_min_plus_kernelIdddLi4ELi64ELi128ELi128ELi4ELi4ELi64ELi64ELi4ELc84ELc84ELb0ELb1ELb0EdKPKdKPdEEviiiT16_PT17_ilS8_ilS6_S8_ilPT18_ili26rocblas_geam_ex_operation_
; %bb.0:
	s_clause 0x1
	s_load_b128 s[8:11], s[0:1], 0x10
	s_load_b128 s[4:7], s[0:1], 0x28
	s_mov_b32 s2, s15
	s_mov_b64 s[16:17], 0
	s_waitcnt lgkmcnt(0)
	v_cmp_eq_f64_e64 s15, s[8:9], 0
	s_delay_alu instid0(VALU_DEP_1)
	s_and_b32 vcc_lo, exec_lo, s15
	s_cbranch_vccnz .LBB152_2
; %bb.1:
	s_mov_b32 s3, 0
	s_delay_alu instid0(SALU_CYCLE_1) | instskip(NEXT) | instid1(SALU_CYCLE_1)
	s_lshl_b64 s[12:13], s[2:3], 3
	s_add_u32 s10, s10, s12
	s_addc_u32 s11, s11, s13
	s_lshl_b64 s[4:5], s[4:5], 3
	s_load_b64 s[10:11], s[10:11], 0x0
	s_waitcnt lgkmcnt(0)
	s_add_u32 s16, s10, s4
	s_addc_u32 s17, s11, s5
.LBB152_2:
	s_clause 0x1
	s_load_b128 s[36:39], s[0:1], 0x40
	s_load_b64 s[12:13], s[0:1], 0x50
	s_and_not1_b32 vcc_lo, exec_lo, s15
	s_cbranch_vccnz .LBB152_4
; %bb.3:
	s_mov_b32 s3, 0
	s_mov_b64 s[10:11], 0
	s_cbranch_execz .LBB152_5
	s_branch .LBB152_6
.LBB152_4:
	s_mov_b32 s3, -1
                                        ; implicit-def: $sgpr10_sgpr11
.LBB152_5:
	s_mov_b32 s3, 0
	s_delay_alu instid0(SALU_CYCLE_1) | instskip(NEXT) | instid1(SALU_CYCLE_1)
	s_lshl_b64 s[4:5], s[2:3], 3
	s_add_u32 s4, s6, s4
	s_addc_u32 s5, s7, s5
	s_waitcnt lgkmcnt(0)
	s_lshl_b64 s[6:7], s[36:37], 3
	s_load_b64 s[4:5], s[4:5], 0x0
	s_waitcnt lgkmcnt(0)
	s_add_u32 s10, s4, s6
	s_addc_u32 s11, s5, s7
.LBB152_6:
	s_waitcnt lgkmcnt(0)
	v_cmp_eq_f64_e64 s15, s[38:39], 0
	v_cmp_neq_f64_e64 s36, s[38:39], 0
	s_load_b128 s[4:7], s[0:1], 0x60
	s_mov_b64 s[34:35], 0
	s_delay_alu instid0(VALU_DEP_2)
	s_and_b32 vcc_lo, exec_lo, s15
	s_cbranch_vccnz .LBB152_8
; %bb.7:
	s_lshl_b64 s[18:19], s[2:3], 3
	s_delay_alu instid0(SALU_CYCLE_1)
	s_add_u32 s12, s12, s18
	s_addc_u32 s13, s13, s19
	s_waitcnt lgkmcnt(0)
	s_lshl_b64 s[4:5], s[4:5], 3
	s_load_b64 s[12:13], s[12:13], 0x0
	s_waitcnt lgkmcnt(0)
	s_add_u32 s34, s12, s4
	s_addc_u32 s35, s13, s5
.LBB152_8:
	s_clause 0x1
	s_load_b128 s[40:43], s[0:1], 0x0
	s_load_b32 s22, s[0:1], 0x20
	s_lshl_b64 s[2:3], s[2:3], 3
	s_waitcnt lgkmcnt(0)
	s_mov_b32 s4, 0
	s_add_u32 s2, s6, s2
	s_addc_u32 s3, s7, s3
	v_bfe_u32 v83, v0, 10, 10
	s_load_b64 s[12:13], s[2:3], 0x0
	s_mov_b32 s5, s4
	v_and_b32_e32 v82, 0x3ff, v0
	v_dual_mov_b32 v4, s4 :: v_dual_mov_b32 v5, s5
	v_cmp_eq_f64_e64 s18, s[8:9], 0
	s_delay_alu instid0(VALU_DEP_3) | instskip(SKIP_1) | instid1(VALU_DEP_1)
	v_and_b32_e32 v84, 3, v82
	v_lshl_add_u32 v6, v83, 2, v82
	v_lshrrev_b32_e32 v8, 2, v6
	s_add_i32 s2, s40, -1
	s_delay_alu instid0(SALU_CYCLE_1) | instskip(NEXT) | instid1(SALU_CYCLE_1)
	s_ashr_i32 s3, s2, 31
	s_lshr_b32 s3, s3, 25
	s_delay_alu instid0(SALU_CYCLE_1) | instskip(NEXT) | instid1(SALU_CYCLE_1)
	s_add_i32 s2, s2, s3
	s_ashr_i32 s2, s2, 7
	s_delay_alu instid0(SALU_CYCLE_1) | instskip(SKIP_2) | instid1(VALU_DEP_1)
	s_add_i32 s3, s2, 1
	s_not_b32 s2, s2
	v_cvt_f32_u32_e32 v0, s3
	v_rcp_iflag_f32_e32 v0, v0
	s_waitcnt_depctr 0xfff
	v_mul_f32_e32 v0, 0x4f7ffffe, v0
	s_delay_alu instid0(VALU_DEP_1) | instskip(NEXT) | instid1(VALU_DEP_1)
	v_cvt_u32_f32_e32 v0, v0
	v_readfirstlane_b32 s4, v0
	s_delay_alu instid0(VALU_DEP_1) | instskip(NEXT) | instid1(SALU_CYCLE_1)
	s_mul_i32 s2, s2, s4
	s_mul_hi_u32 s2, s4, s2
	s_delay_alu instid0(SALU_CYCLE_1) | instskip(NEXT) | instid1(SALU_CYCLE_1)
	s_add_i32 s4, s4, s2
	s_mul_hi_u32 s2, s14, s4
	s_delay_alu instid0(SALU_CYCLE_1) | instskip(SKIP_2) | instid1(SALU_CYCLE_1)
	s_mul_i32 s4, s2, s3
	s_add_i32 s5, s2, 1
	s_sub_i32 s4, s14, s4
	s_sub_i32 s6, s4, s3
	s_cmp_ge_u32 s4, s3
	s_cselect_b32 s2, s5, s2
	s_cselect_b32 s4, s6, s4
	s_add_i32 s5, s2, 1
	s_cmp_ge_u32 s4, s3
	s_cselect_b32 s4, s5, s2
	s_add_i32 s19, s42, -1
	s_mul_i32 s2, s4, s3
	v_min_i32_e32 v0, s19, v84
	s_sub_i32 s2, s14, s2
	s_delay_alu instid0(SALU_CYCLE_1) | instskip(NEXT) | instid1(VALU_DEP_1)
	s_lshl_b32 s14, s2, 7
	v_ashrrev_i32_e32 v1, 31, v0
	v_add_nc_u32_e32 v78, s14, v8
	s_delay_alu instid0(VALU_DEP_2) | instskip(SKIP_2) | instid1(VALU_DEP_4)
	v_lshlrev_b64 v[2:3], 3, v[0:1]
	v_mov_b32_e32 v0, 0
	v_mov_b32_e32 v1, 0
	v_cmp_le_i32_e64 s2, s40, v78
	s_clause 0x9
	scratch_store_b64 off, v[4:5], off
	scratch_store_b64 off, v[4:5], off offset:8
	scratch_store_b64 off, v[4:5], off offset:16
	;; [unrolled: 1-line block ×9, first 2 shown]
	v_add_co_u32 v7, s3, s16, v2
	s_delay_alu instid0(VALU_DEP_1)
	v_add_co_ci_u32_e64 v9, s3, s17, v3, s3
	v_mov_b32_e32 v3, v1
	v_cmp_le_i32_e32 vcc_lo, s42, v84
	v_mov_b32_e32 v2, v0
	s_clause 0x5
	scratch_store_b64 off, v[4:5], off offset:80
	scratch_store_b64 off, v[4:5], off offset:88
	scratch_store_b64 off, v[4:5], off offset:96
	scratch_store_b64 off, v[4:5], off offset:104
	scratch_store_b64 off, v[4:5], off offset:112
	scratch_store_b64 off, v[4:5], off offset:120
	s_or_b32 s3, vcc_lo, s2
	s_clause 0x8
	scratch_store_b64 off, v[4:5], off offset:128
	scratch_store_b64 off, v[4:5], off offset:136
	;; [unrolled: 1-line block ×9, first 2 shown]
	s_or_b32 s3, s18, s3
	s_clause 0x3
	scratch_store_b64 off, v[4:5], off offset:200
	scratch_store_b64 off, v[4:5], off offset:208
	;; [unrolled: 1-line block ×4, first 2 shown]
	s_xor_b32 s3, s3, -1
	s_clause 0x1f
	scratch_store_b64 off, v[4:5], off offset:232
	scratch_store_b64 off, v[4:5], off offset:240
	;; [unrolled: 1-line block ×32, first 2 shown]
	s_clause 0x2
	scratch_store_b64 off, v[4:5], off offset:488
	scratch_store_b64 off, v[4:5], off offset:496
	;; [unrolled: 1-line block ×3, first 2 shown]
	s_and_saveexec_b32 s5, s3
	s_cbranch_execz .LBB152_10
; %bb.9:
	v_mad_i64_i32 v[2:3], null, v78, s22, 0
	s_delay_alu instid0(VALU_DEP_1) | instskip(NEXT) | instid1(VALU_DEP_1)
	v_lshlrev_b64 v[2:3], 3, v[2:3]
	v_add_co_u32 v2, s3, v7, v2
	s_delay_alu instid0(VALU_DEP_1)
	v_add_co_ci_u32_e64 v3, s3, v9, v3, s3
	flat_load_b64 v[2:3], v[2:3]
	s_waitcnt vmcnt(0) lgkmcnt(0)
	v_mul_f64 v[2:3], v[2:3], s[8:9]
.LBB152_10:
	s_or_b32 exec_lo, exec_lo, s5
	v_add_nc_u32_e32 v79, 64, v78
	v_dual_mov_b32 v5, v1 :: v_dual_mov_b32 v4, v0
	s_delay_alu instid0(VALU_DEP_2) | instskip(NEXT) | instid1(VALU_DEP_1)
	v_cmp_le_i32_e64 s3, s40, v79
	s_or_b32 s5, vcc_lo, s3
	s_delay_alu instid0(SALU_CYCLE_1) | instskip(NEXT) | instid1(SALU_CYCLE_1)
	s_or_b32 s5, s18, s5
	s_xor_b32 s6, s5, -1
	s_delay_alu instid0(SALU_CYCLE_1)
	s_and_saveexec_b32 s5, s6
	s_cbranch_execz .LBB152_12
; %bb.11:
	v_mad_i64_i32 v[4:5], null, v79, s22, 0
	s_delay_alu instid0(VALU_DEP_1) | instskip(NEXT) | instid1(VALU_DEP_1)
	v_lshlrev_b64 v[4:5], 3, v[4:5]
	v_add_co_u32 v4, vcc_lo, v7, v4
	s_delay_alu instid0(VALU_DEP_2)
	v_add_co_ci_u32_e32 v5, vcc_lo, v9, v5, vcc_lo
	flat_load_b64 v[4:5], v[4:5]
	s_waitcnt vmcnt(0) lgkmcnt(0)
	v_mul_f64 v[4:5], v[4:5], s[8:9]
.LBB152_12:
	s_or_b32 exec_lo, exec_lo, s5
	s_load_b32 s20, s[0:1], 0x38
	v_lshrrev_b32_e32 v85, 6, v6
	v_and_b32_e32 v9, 63, v6
	s_lshl_b32 s15, s4, 7
	s_delay_alu instid0(VALU_DEP_2) | instskip(NEXT) | instid1(VALU_DEP_2)
	v_min_i32_e32 v10, s19, v85
	v_or_b32_e32 v72, s15, v9
	v_cmp_le_i32_e32 vcc_lo, s42, v85
	s_delay_alu instid0(VALU_DEP_2) | instskip(SKIP_1) | instid1(VALU_DEP_2)
	v_cmp_le_i32_e64 s4, s41, v72
	v_ashrrev_i32_e32 v73, 31, v72
	s_or_b32 s6, s4, vcc_lo
	s_waitcnt lgkmcnt(0)
	v_mad_i64_i32 v[6:7], null, s20, v10, 0
	s_delay_alu instid0(VALU_DEP_1) | instskip(NEXT) | instid1(VALU_DEP_1)
	v_lshlrev_b64 v[6:7], 3, v[6:7]
	v_add_co_u32 v10, s5, s10, v6
	s_delay_alu instid0(VALU_DEP_1) | instskip(SKIP_1) | instid1(SALU_CYCLE_1)
	v_add_co_ci_u32_e64 v11, s5, s11, v7, s5
	s_or_b32 s5, s18, s6
	s_xor_b32 s5, s5, -1
	s_delay_alu instid0(SALU_CYCLE_1)
	s_and_saveexec_b32 s6, s5
	s_cbranch_execz .LBB152_14
; %bb.13:
	v_lshlrev_b64 v[0:1], 3, v[72:73]
	s_delay_alu instid0(VALU_DEP_1) | instskip(NEXT) | instid1(VALU_DEP_1)
	v_add_co_u32 v0, s5, v10, v0
	v_add_co_ci_u32_e64 v1, s5, v11, v1, s5
	flat_load_b64 v[0:1], v[0:1]
	s_waitcnt vmcnt(0) lgkmcnt(0)
	v_mul_f64 v[0:1], v[0:1], s[8:9]
.LBB152_14:
	s_or_b32 exec_lo, exec_lo, s6
	v_or_b32_e32 v6, 64, v72
	v_mov_b32_e32 v68, 0
	v_mov_b32_e32 v69, 0
	s_delay_alu instid0(VALU_DEP_3) | instskip(NEXT) | instid1(VALU_DEP_2)
	v_cmp_le_i32_e64 s5, s41, v6
	v_dual_mov_b32 v6, v68 :: v_dual_mov_b32 v7, v69
	s_delay_alu instid0(VALU_DEP_2) | instskip(NEXT) | instid1(SALU_CYCLE_1)
	s_or_b32 s6, s5, vcc_lo
	s_or_b32 s6, s18, s6
	s_delay_alu instid0(SALU_CYCLE_1) | instskip(NEXT) | instid1(SALU_CYCLE_1)
	s_xor_b32 s7, s6, -1
	s_and_saveexec_b32 s6, s7
	s_cbranch_execz .LBB152_16
; %bb.15:
	v_lshlrev_b64 v[6:7], 3, v[72:73]
	s_delay_alu instid0(VALU_DEP_1) | instskip(NEXT) | instid1(VALU_DEP_2)
	v_add_co_u32 v6, vcc_lo, v10, v6
	v_add_co_ci_u32_e32 v7, vcc_lo, v11, v7, vcc_lo
	flat_load_b64 v[6:7], v[6:7] offset:512
	s_waitcnt vmcnt(0) lgkmcnt(0)
	v_mul_f64 v[6:7], v[6:7], s[8:9]
.LBB152_16:
	s_or_b32 exec_lo, exec_lo, s6
	v_or_b32_e32 v12, 4, v84
	s_delay_alu instid0(VALU_DEP_1) | instskip(SKIP_1) | instid1(VALU_DEP_2)
	v_min_i32_e32 v10, s19, v12
	v_cmp_le_i32_e32 vcc_lo, s42, v12
	v_ashrrev_i32_e32 v11, 31, v10
	s_or_b32 s7, vcc_lo, s2
	s_delay_alu instid0(VALU_DEP_1) | instskip(NEXT) | instid1(VALU_DEP_1)
	v_lshlrev_b64 v[10:11], 3, v[10:11]
	v_add_co_u32 v10, s6, s16, v10
	s_delay_alu instid0(VALU_DEP_1) | instskip(SKIP_1) | instid1(SALU_CYCLE_1)
	v_add_co_ci_u32_e64 v11, s6, s17, v11, s6
	s_or_b32 s6, s18, s7
	s_xor_b32 s6, s6, -1
	s_delay_alu instid0(SALU_CYCLE_1)
	s_and_saveexec_b32 s7, s6
	s_cbranch_execz .LBB152_18
; %bb.17:
	v_mad_i64_i32 v[12:13], null, v78, s22, 0
	s_delay_alu instid0(VALU_DEP_1) | instskip(NEXT) | instid1(VALU_DEP_1)
	v_lshlrev_b64 v[12:13], 3, v[12:13]
	v_add_co_u32 v12, s6, v10, v12
	s_delay_alu instid0(VALU_DEP_1)
	v_add_co_ci_u32_e64 v13, s6, v11, v13, s6
	flat_load_b64 v[12:13], v[12:13]
	s_waitcnt vmcnt(0) lgkmcnt(0)
	v_mul_f64 v[68:69], v[12:13], s[8:9]
.LBB152_18:
	s_or_b32 exec_lo, exec_lo, s7
	v_mov_b32_e32 v70, 0
	v_mov_b32_e32 v71, 0
	s_or_b32 s6, vcc_lo, s3
	s_delay_alu instid0(SALU_CYCLE_1) | instskip(NEXT) | instid1(SALU_CYCLE_1)
	s_or_b32 s6, s18, s6
	s_xor_b32 s7, s6, -1
	s_delay_alu instid0(VALU_DEP_1)
	v_dual_mov_b32 v75, v71 :: v_dual_mov_b32 v74, v70
	s_and_saveexec_b32 s6, s7
	s_cbranch_execz .LBB152_20
; %bb.19:
	v_mad_i64_i32 v[12:13], null, v79, s22, 0
	s_delay_alu instid0(VALU_DEP_1) | instskip(NEXT) | instid1(VALU_DEP_1)
	v_lshlrev_b64 v[12:13], 3, v[12:13]
	v_add_co_u32 v10, vcc_lo, v10, v12
	s_delay_alu instid0(VALU_DEP_2)
	v_add_co_ci_u32_e32 v11, vcc_lo, v11, v13, vcc_lo
	flat_load_b64 v[10:11], v[10:11]
	s_waitcnt vmcnt(0) lgkmcnt(0)
	v_mul_f64 v[74:75], v[10:11], s[8:9]
.LBB152_20:
	s_or_b32 exec_lo, exec_lo, s6
	v_add_nc_u32_e32 v12, 4, v85
	s_delay_alu instid0(VALU_DEP_1) | instskip(SKIP_1) | instid1(VALU_DEP_2)
	v_min_i32_e32 v13, s19, v12
	v_cmp_le_i32_e32 vcc_lo, s42, v12
	v_mad_i64_i32 v[10:11], null, s20, v13, 0
	s_or_b32 s7, s4, vcc_lo
	s_delay_alu instid0(VALU_DEP_1) | instskip(NEXT) | instid1(VALU_DEP_1)
	v_lshlrev_b64 v[10:11], 3, v[10:11]
	v_add_co_u32 v10, s6, s10, v10
	s_delay_alu instid0(VALU_DEP_1) | instskip(SKIP_1) | instid1(SALU_CYCLE_1)
	v_add_co_ci_u32_e64 v11, s6, s11, v11, s6
	s_or_b32 s6, s18, s7
	s_xor_b32 s6, s6, -1
	s_delay_alu instid0(SALU_CYCLE_1)
	s_and_saveexec_b32 s7, s6
	s_cbranch_execz .LBB152_22
; %bb.21:
	v_lshlrev_b64 v[12:13], 3, v[72:73]
	s_delay_alu instid0(VALU_DEP_1) | instskip(NEXT) | instid1(VALU_DEP_1)
	v_add_co_u32 v12, s6, v10, v12
	v_add_co_ci_u32_e64 v13, s6, v11, v13, s6
	flat_load_b64 v[12:13], v[12:13]
	s_waitcnt vmcnt(0) lgkmcnt(0)
	v_mul_f64 v[70:71], v[12:13], s[8:9]
.LBB152_22:
	s_or_b32 exec_lo, exec_lo, s7
	s_or_b32 s6, s5, vcc_lo
	v_mov_b32_e32 v76, 0
	v_mov_b32_e32 v77, 0
	s_or_b32 s6, s18, s6
	s_delay_alu instid0(SALU_CYCLE_1) | instskip(NEXT) | instid1(SALU_CYCLE_1)
	s_xor_b32 s7, s6, -1
	s_and_saveexec_b32 s6, s7
	s_cbranch_execz .LBB152_24
; %bb.23:
	v_lshlrev_b64 v[12:13], 3, v[72:73]
	s_delay_alu instid0(VALU_DEP_1) | instskip(NEXT) | instid1(VALU_DEP_2)
	v_add_co_u32 v10, vcc_lo, v10, v12
	v_add_co_ci_u32_e32 v11, vcc_lo, v11, v13, vcc_lo
	flat_load_b64 v[10:11], v[10:11] offset:512
	s_waitcnt vmcnt(0) lgkmcnt(0)
	v_mul_f64 v[76:77], v[10:11], s[8:9]
.LBB152_24:
	s_or_b32 exec_lo, exec_lo, s6
	v_dual_mov_b32 v81, 0 :: v_dual_lshlrev_b32 v10, 3, v84
	v_dual_mov_b32 v92, 16 :: v_dual_lshlrev_b32 v9, 5, v9
	;; [unrolled: 1-line block ×3, first 2 shown]
	s_delay_alu instid0(VALU_DEP_3) | instskip(NEXT) | instid1(VALU_DEP_3)
	v_lshl_or_b32 v87, v8, 5, v10
	v_lshl_add_u32 v80, v85, 3, v9
	s_delay_alu instid0(VALU_DEP_3)
	v_dual_mov_b32 v93, 24 :: v_dual_add_nc_u32 v48, 0x800, v86
	v_dual_mov_b32 v95, 40 :: v_dual_lshlrev_b32 v88, 5, v83
	ds_store_2addr_stride64_b64 v87, v[2:3], v[4:5] offset1:4
	ds_store_2addr_stride64_b64 v80, v[0:1], v[6:7] offset0:16 offset1:20
	s_waitcnt lgkmcnt(0)
	s_waitcnt_vscnt null, 0x0
	s_barrier
	buffer_gl0_inv
	ds_load_2addr_b64 v[0:3], v86 offset1:16
	ds_load_2addr_b64 v[4:7], v86 offset0:32 offset1:48
	ds_load_2addr_b64 v[8:11], v86 offset0:64 offset1:80
	;; [unrolled: 1-line block ×4, first 2 shown]
	ds_load_2addr_b64 v[20:23], v48 offset1:16
	ds_load_2addr_b64 v[24:27], v48 offset0:32 offset1:48
	ds_load_2addr_b64 v[28:31], v48 offset0:64 offset1:80
	;; [unrolled: 1-line block ×10, first 2 shown]
	ds_load_2addr_stride64_b64 v[64:67], v88 offset0:16 offset1:20
	v_or_b32_e32 v89, 0x2000, v80
	v_dual_mov_b32 v97, 56 :: v_dual_add_nc_u32 v90, 0x2000, v88
	v_dual_mov_b32 v94, 32 :: v_dual_mov_b32 v99, 0x48
	v_dual_mov_b32 v96, 48 :: v_dual_mov_b32 v101, 0x58
	;; [unrolled: 1-line block ×3, first 2 shown]
	v_mov_b32_e32 v100, 0x50
	v_mov_b32_e32 v102, 0x60
	;; [unrolled: 1-line block ×20, first 2 shown]
	s_mov_b64 s[6:7], 0
	s_mov_b32 s21, -1
.LBB152_25:                             ; =>This Inner Loop Header: Depth=1
	scratch_load_b64 v[122:123], v81, off
	scratch_load_b64 v[124:125], v91, off
	scratch_load_b64 v[126:127], v92, off
	scratch_load_b64 v[128:129], v93, off
	scratch_load_b64 v[130:131], v94, off
	scratch_load_b64 v[132:133], v95, off
	scratch_load_b64 v[134:135], v96, off
	scratch_load_b64 v[136:137], v97, off
	scratch_load_b64 v[138:139], v98, off
	scratch_load_b64 v[140:141], v99, off
	scratch_load_b64 v[142:143], v100, off
	scratch_load_b64 v[144:145], v101, off
	scratch_load_b64 v[146:147], v102, off
	scratch_load_b64 v[148:149], v103, off
	scratch_load_b64 v[150:151], v104, off
	scratch_load_b64 v[152:153], v105, off
	scratch_load_b64 v[154:155], v106, off
	scratch_load_b64 v[156:157], v107, off
	scratch_load_b64 v[158:159], v108, off
	scratch_load_b64 v[160:161], v109, off
	scratch_load_b64 v[162:163], v110, off
	scratch_load_b64 v[164:165], v111, off
	scratch_load_b64 v[166:167], v112, off
	scratch_load_b64 v[168:169], v113, off
	scratch_load_b64 v[170:171], v114, off
	scratch_load_b64 v[172:173], v115, off
	scratch_load_b64 v[174:175], v116, off
	scratch_load_b64 v[176:177], v117, off
	scratch_load_b64 v[178:179], v118, off
	scratch_load_b64 v[180:181], v119, off
	scratch_load_b64 v[182:183], v120, off
	scratch_load_b64 v[184:185], v121, off
	s_cmp_eq_u32 s6, 1
	s_waitcnt lgkmcnt(16)
	v_max_f64 v[188:189], v[0:1], v[0:1]
	s_cselect_b32 vcc_lo, -1, 0
	v_max_f64 v[190:191], v[2:3], v[2:3]
	s_waitcnt lgkmcnt(0)
	v_dual_cndmask_b32 v187, v65, v67 :: v_dual_cndmask_b32 v186, v64, v66
	v_max_f64 v[192:193], v[4:5], v[4:5]
	v_max_f64 v[194:195], v[6:7], v[6:7]
	;; [unrolled: 1-line block ×31, first 2 shown]
	s_mov_b64 s[6:7], 1
	s_and_b32 vcc_lo, exec_lo, s21
	s_mov_b32 s21, 0
	v_min_f64 v[188:189], v[188:189], v[186:187]
	v_min_f64 v[190:191], v[190:191], v[186:187]
	;; [unrolled: 1-line block ×32, first 2 shown]
	s_waitcnt vmcnt(31)
	v_add_f64 v[122:123], v[122:123], v[188:189]
	s_waitcnt vmcnt(30)
	v_add_f64 v[124:125], v[190:191], v[124:125]
	;; [unrolled: 2-line block ×32, first 2 shown]
	scratch_store_b64 v81, v[122:123], off
	scratch_store_b64 v91, v[124:125], off
	;; [unrolled: 1-line block ×32, first 2 shown]
	v_mov_b32_e32 v81, 0x100
	v_mov_b32_e32 v91, 0x108
	;; [unrolled: 1-line block ×32, first 2 shown]
	s_cbranch_vccnz .LBB152_25
; %bb.26:
	v_dual_mov_b32 v81, 0 :: v_dual_add_nc_u32 v60, 0x800, v86
	ds_load_2addr_b64 v[0:3], v86 offset0:1 offset1:17
	ds_load_2addr_b64 v[4:7], v86 offset0:33 offset1:49
	;; [unrolled: 1-line block ×12, first 2 shown]
	v_dual_mov_b32 v91, 8 :: v_dual_add_nc_u32 v64, 8, v90
	ds_load_2addr_b64 v[48:51], v60 offset0:129 offset1:145
	ds_load_2addr_b64 v[52:55], v60 offset0:161 offset1:177
	ds_load_2addr_b64 v[56:59], v60 offset0:193 offset1:209
	ds_load_2addr_b64 v[60:63], v60 offset0:225 offset1:241
	ds_load_2addr_stride64_b64 v[64:67], v64 offset1:4
	v_dual_mov_b32 v92, 16 :: v_dual_mov_b32 v93, 24
	v_dual_mov_b32 v94, 32 :: v_dual_mov_b32 v95, 40
	;; [unrolled: 1-line block ×4, first 2 shown]
	v_mov_b32_e32 v100, 0x50
	v_mov_b32_e32 v101, 0x58
	;; [unrolled: 1-line block ×22, first 2 shown]
	s_mov_b64 s[6:7], 0
	s_mov_b32 s21, -1
.LBB152_27:                             ; =>This Inner Loop Header: Depth=1
	scratch_load_b64 v[122:123], v81, off
	scratch_load_b64 v[124:125], v91, off
	;; [unrolled: 1-line block ×32, first 2 shown]
	s_cmp_eq_u32 s6, 1
	s_waitcnt lgkmcnt(16)
	v_max_f64 v[188:189], v[0:1], v[0:1]
	s_cselect_b32 vcc_lo, -1, 0
	v_max_f64 v[190:191], v[2:3], v[2:3]
	s_waitcnt lgkmcnt(0)
	v_dual_cndmask_b32 v187, v65, v67 :: v_dual_cndmask_b32 v186, v64, v66
	v_max_f64 v[192:193], v[4:5], v[4:5]
	v_max_f64 v[194:195], v[6:7], v[6:7]
	;; [unrolled: 1-line block ×31, first 2 shown]
	s_mov_b64 s[6:7], 1
	s_and_b32 vcc_lo, exec_lo, s21
	s_mov_b32 s21, 0
	v_min_f64 v[188:189], v[188:189], v[186:187]
	v_min_f64 v[190:191], v[190:191], v[186:187]
	;; [unrolled: 1-line block ×32, first 2 shown]
	s_waitcnt vmcnt(31)
	v_add_f64 v[122:123], v[122:123], v[188:189]
	s_waitcnt vmcnt(30)
	v_add_f64 v[124:125], v[190:191], v[124:125]
	;; [unrolled: 2-line block ×32, first 2 shown]
	scratch_store_b64 v81, v[122:123], off
	scratch_store_b64 v91, v[124:125], off
	;; [unrolled: 1-line block ×32, first 2 shown]
	v_mov_b32_e32 v81, 0x100
	v_mov_b32_e32 v91, 0x108
	;; [unrolled: 1-line block ×32, first 2 shown]
	s_cbranch_vccnz .LBB152_27
; %bb.28:
	v_dual_mov_b32 v81, 0 :: v_dual_add_nc_u32 v60, 0x800, v86
	ds_load_2addr_b64 v[0:3], v86 offset0:2 offset1:18
	ds_load_2addr_b64 v[4:7], v86 offset0:34 offset1:50
	;; [unrolled: 1-line block ×12, first 2 shown]
	v_dual_mov_b32 v91, 8 :: v_dual_add_nc_u32 v64, 16, v90
	ds_load_2addr_b64 v[48:51], v60 offset0:130 offset1:146
	ds_load_2addr_b64 v[52:55], v60 offset0:162 offset1:178
	ds_load_2addr_b64 v[56:59], v60 offset0:194 offset1:210
	ds_load_2addr_b64 v[60:63], v60 offset0:226 offset1:242
	ds_load_2addr_stride64_b64 v[64:67], v64 offset1:4
	v_dual_mov_b32 v92, 16 :: v_dual_mov_b32 v93, 24
	v_dual_mov_b32 v94, 32 :: v_dual_mov_b32 v95, 40
	;; [unrolled: 1-line block ×4, first 2 shown]
	v_mov_b32_e32 v100, 0x50
	v_mov_b32_e32 v101, 0x58
	;; [unrolled: 1-line block ×22, first 2 shown]
	s_mov_b64 s[6:7], 0
	s_mov_b32 s21, -1
.LBB152_29:                             ; =>This Inner Loop Header: Depth=1
	scratch_load_b64 v[122:123], v81, off
	scratch_load_b64 v[124:125], v91, off
	scratch_load_b64 v[126:127], v92, off
	scratch_load_b64 v[128:129], v93, off
	scratch_load_b64 v[130:131], v94, off
	scratch_load_b64 v[132:133], v95, off
	scratch_load_b64 v[134:135], v96, off
	scratch_load_b64 v[136:137], v97, off
	scratch_load_b64 v[138:139], v98, off
	scratch_load_b64 v[140:141], v99, off
	scratch_load_b64 v[142:143], v100, off
	scratch_load_b64 v[144:145], v101, off
	scratch_load_b64 v[146:147], v102, off
	scratch_load_b64 v[148:149], v103, off
	scratch_load_b64 v[150:151], v104, off
	scratch_load_b64 v[152:153], v105, off
	scratch_load_b64 v[154:155], v106, off
	scratch_load_b64 v[156:157], v107, off
	scratch_load_b64 v[158:159], v108, off
	scratch_load_b64 v[160:161], v109, off
	scratch_load_b64 v[162:163], v110, off
	scratch_load_b64 v[164:165], v111, off
	scratch_load_b64 v[166:167], v112, off
	scratch_load_b64 v[168:169], v113, off
	scratch_load_b64 v[170:171], v114, off
	scratch_load_b64 v[172:173], v115, off
	scratch_load_b64 v[174:175], v116, off
	scratch_load_b64 v[176:177], v117, off
	scratch_load_b64 v[178:179], v118, off
	scratch_load_b64 v[180:181], v119, off
	scratch_load_b64 v[182:183], v120, off
	scratch_load_b64 v[184:185], v121, off
	s_cmp_eq_u32 s6, 1
	s_waitcnt lgkmcnt(16)
	v_max_f64 v[188:189], v[0:1], v[0:1]
	s_cselect_b32 vcc_lo, -1, 0
	v_max_f64 v[190:191], v[2:3], v[2:3]
	s_waitcnt lgkmcnt(0)
	v_dual_cndmask_b32 v187, v65, v67 :: v_dual_cndmask_b32 v186, v64, v66
	v_max_f64 v[192:193], v[4:5], v[4:5]
	v_max_f64 v[194:195], v[6:7], v[6:7]
	v_max_f64 v[196:197], v[8:9], v[8:9]
	v_max_f64 v[198:199], v[10:11], v[10:11]
	v_max_f64 v[186:187], v[186:187], v[186:187]
	v_max_f64 v[200:201], v[12:13], v[12:13]
	v_max_f64 v[202:203], v[14:15], v[14:15]
	v_max_f64 v[204:205], v[16:17], v[16:17]
	v_max_f64 v[206:207], v[18:19], v[18:19]
	v_max_f64 v[208:209], v[20:21], v[20:21]
	v_max_f64 v[210:211], v[22:23], v[22:23]
	v_max_f64 v[212:213], v[24:25], v[24:25]
	v_max_f64 v[214:215], v[26:27], v[26:27]
	v_max_f64 v[216:217], v[28:29], v[28:29]
	v_max_f64 v[218:219], v[30:31], v[30:31]
	v_max_f64 v[220:221], v[32:33], v[32:33]
	v_max_f64 v[222:223], v[34:35], v[34:35]
	v_max_f64 v[224:225], v[36:37], v[36:37]
	v_max_f64 v[226:227], v[38:39], v[38:39]
	v_max_f64 v[228:229], v[40:41], v[40:41]
	v_max_f64 v[230:231], v[42:43], v[42:43]
	v_max_f64 v[232:233], v[44:45], v[44:45]
	v_max_f64 v[234:235], v[46:47], v[46:47]
	v_max_f64 v[236:237], v[48:49], v[48:49]
	v_max_f64 v[238:239], v[50:51], v[50:51]
	v_max_f64 v[240:241], v[52:53], v[52:53]
	v_max_f64 v[242:243], v[54:55], v[54:55]
	v_max_f64 v[244:245], v[56:57], v[56:57]
	v_max_f64 v[246:247], v[58:59], v[58:59]
	v_max_f64 v[248:249], v[60:61], v[60:61]
	v_max_f64 v[250:251], v[62:63], v[62:63]
	s_mov_b64 s[6:7], 1
	s_and_b32 vcc_lo, exec_lo, s21
	s_mov_b32 s21, 0
	v_min_f64 v[188:189], v[188:189], v[186:187]
	v_min_f64 v[190:191], v[190:191], v[186:187]
	;; [unrolled: 1-line block ×32, first 2 shown]
	s_waitcnt vmcnt(31)
	v_add_f64 v[122:123], v[122:123], v[188:189]
	s_waitcnt vmcnt(30)
	v_add_f64 v[124:125], v[190:191], v[124:125]
	;; [unrolled: 2-line block ×32, first 2 shown]
	scratch_store_b64 v81, v[122:123], off
	scratch_store_b64 v91, v[124:125], off
	;; [unrolled: 1-line block ×32, first 2 shown]
	v_mov_b32_e32 v81, 0x100
	v_mov_b32_e32 v91, 0x108
	;; [unrolled: 1-line block ×32, first 2 shown]
	s_cbranch_vccnz .LBB152_29
; %bb.30:
	v_dual_mov_b32 v81, 0 :: v_dual_add_nc_u32 v60, 0x800, v86
	ds_load_2addr_b64 v[0:3], v86 offset0:3 offset1:19
	ds_load_2addr_b64 v[4:7], v86 offset0:35 offset1:51
	;; [unrolled: 1-line block ×12, first 2 shown]
	v_dual_mov_b32 v91, 8 :: v_dual_add_nc_u32 v64, 24, v90
	ds_load_2addr_b64 v[48:51], v60 offset0:131 offset1:147
	ds_load_2addr_b64 v[52:55], v60 offset0:163 offset1:179
	;; [unrolled: 1-line block ×4, first 2 shown]
	ds_load_2addr_stride64_b64 v[64:67], v64 offset1:4
	v_dual_mov_b32 v92, 16 :: v_dual_mov_b32 v93, 24
	v_dual_mov_b32 v94, 32 :: v_dual_mov_b32 v95, 40
	;; [unrolled: 1-line block ×4, first 2 shown]
	v_mov_b32_e32 v100, 0x50
	v_mov_b32_e32 v101, 0x58
	v_mov_b32_e32 v102, 0x60
	v_mov_b32_e32 v103, 0x68
	v_mov_b32_e32 v104, 0x70
	v_mov_b32_e32 v105, 0x78
	v_mov_b32_e32 v106, 0x80
	v_mov_b32_e32 v107, 0x88
	v_mov_b32_e32 v108, 0x90
	v_mov_b32_e32 v109, 0x98
	v_mov_b32_e32 v110, 0xa0
	v_mov_b32_e32 v111, 0xa8
	v_mov_b32_e32 v112, 0xb0
	v_mov_b32_e32 v113, 0xb8
	v_mov_b32_e32 v114, 0xc0
	v_mov_b32_e32 v115, 0xc8
	v_mov_b32_e32 v116, 0xd0
	v_mov_b32_e32 v117, 0xd8
	v_mov_b32_e32 v118, 0xe0
	v_mov_b32_e32 v119, 0xe8
	v_mov_b32_e32 v120, 0xf0
	v_mov_b32_e32 v121, 0xf8
	s_mov_b64 s[6:7], 0
	s_mov_b32 s21, -1
.LBB152_31:                             ; =>This Inner Loop Header: Depth=1
	scratch_load_b64 v[122:123], v81, off
	scratch_load_b64 v[124:125], v91, off
	;; [unrolled: 1-line block ×32, first 2 shown]
	s_cmp_eq_u32 s6, 1
	s_waitcnt lgkmcnt(16)
	v_max_f64 v[188:189], v[0:1], v[0:1]
	s_cselect_b32 vcc_lo, -1, 0
	v_max_f64 v[190:191], v[2:3], v[2:3]
	s_waitcnt lgkmcnt(0)
	v_dual_cndmask_b32 v187, v65, v67 :: v_dual_cndmask_b32 v186, v64, v66
	v_max_f64 v[192:193], v[4:5], v[4:5]
	v_max_f64 v[194:195], v[6:7], v[6:7]
	v_max_f64 v[196:197], v[8:9], v[8:9]
	v_max_f64 v[198:199], v[10:11], v[10:11]
	v_max_f64 v[186:187], v[186:187], v[186:187]
	v_max_f64 v[200:201], v[12:13], v[12:13]
	v_max_f64 v[202:203], v[14:15], v[14:15]
	v_max_f64 v[204:205], v[16:17], v[16:17]
	v_max_f64 v[206:207], v[18:19], v[18:19]
	v_max_f64 v[208:209], v[20:21], v[20:21]
	v_max_f64 v[210:211], v[22:23], v[22:23]
	v_max_f64 v[212:213], v[24:25], v[24:25]
	v_max_f64 v[214:215], v[26:27], v[26:27]
	v_max_f64 v[216:217], v[28:29], v[28:29]
	v_max_f64 v[218:219], v[30:31], v[30:31]
	v_max_f64 v[220:221], v[32:33], v[32:33]
	v_max_f64 v[222:223], v[34:35], v[34:35]
	v_max_f64 v[224:225], v[36:37], v[36:37]
	v_max_f64 v[226:227], v[38:39], v[38:39]
	v_max_f64 v[228:229], v[40:41], v[40:41]
	v_max_f64 v[230:231], v[42:43], v[42:43]
	v_max_f64 v[232:233], v[44:45], v[44:45]
	v_max_f64 v[234:235], v[46:47], v[46:47]
	v_max_f64 v[236:237], v[48:49], v[48:49]
	v_max_f64 v[238:239], v[50:51], v[50:51]
	v_max_f64 v[240:241], v[52:53], v[52:53]
	v_max_f64 v[242:243], v[54:55], v[54:55]
	v_max_f64 v[244:245], v[56:57], v[56:57]
	v_max_f64 v[246:247], v[58:59], v[58:59]
	v_max_f64 v[248:249], v[60:61], v[60:61]
	v_max_f64 v[250:251], v[62:63], v[62:63]
	s_mov_b64 s[6:7], 1
	s_and_b32 vcc_lo, exec_lo, s21
	s_mov_b32 s21, 0
	v_min_f64 v[188:189], v[188:189], v[186:187]
	v_min_f64 v[190:191], v[190:191], v[186:187]
	v_min_f64 v[192:193], v[192:193], v[186:187]
	v_min_f64 v[194:195], v[194:195], v[186:187]
	v_min_f64 v[196:197], v[196:197], v[186:187]
	v_min_f64 v[198:199], v[198:199], v[186:187]
	v_min_f64 v[200:201], v[200:201], v[186:187]
	v_min_f64 v[202:203], v[202:203], v[186:187]
	v_min_f64 v[204:205], v[204:205], v[186:187]
	v_min_f64 v[206:207], v[206:207], v[186:187]
	v_min_f64 v[208:209], v[208:209], v[186:187]
	v_min_f64 v[210:211], v[210:211], v[186:187]
	v_min_f64 v[212:213], v[212:213], v[186:187]
	v_min_f64 v[214:215], v[214:215], v[186:187]
	v_min_f64 v[216:217], v[216:217], v[186:187]
	v_min_f64 v[218:219], v[218:219], v[186:187]
	v_min_f64 v[220:221], v[220:221], v[186:187]
	v_min_f64 v[222:223], v[222:223], v[186:187]
	v_min_f64 v[224:225], v[224:225], v[186:187]
	v_min_f64 v[226:227], v[226:227], v[186:187]
	v_min_f64 v[228:229], v[228:229], v[186:187]
	v_min_f64 v[230:231], v[230:231], v[186:187]
	v_min_f64 v[232:233], v[232:233], v[186:187]
	v_min_f64 v[234:235], v[234:235], v[186:187]
	v_min_f64 v[236:237], v[236:237], v[186:187]
	v_min_f64 v[238:239], v[238:239], v[186:187]
	v_min_f64 v[240:241], v[240:241], v[186:187]
	v_min_f64 v[242:243], v[242:243], v[186:187]
	v_min_f64 v[244:245], v[244:245], v[186:187]
	v_min_f64 v[246:247], v[246:247], v[186:187]
	v_min_f64 v[248:249], v[248:249], v[186:187]
	v_min_f64 v[186:187], v[250:251], v[186:187]
	s_waitcnt vmcnt(31)
	v_add_f64 v[122:123], v[122:123], v[188:189]
	s_waitcnt vmcnt(30)
	v_add_f64 v[124:125], v[190:191], v[124:125]
	;; [unrolled: 2-line block ×32, first 2 shown]
	scratch_store_b64 v81, v[122:123], off
	scratch_store_b64 v91, v[124:125], off
	;; [unrolled: 1-line block ×32, first 2 shown]
	v_mov_b32_e32 v81, 0x100
	v_mov_b32_e32 v91, 0x108
	;; [unrolled: 1-line block ×32, first 2 shown]
	s_cbranch_vccnz .LBB152_31
; %bb.32:
	s_cmp_gt_i32 s42, 8
	s_mov_b32 s21, 8
	ds_store_2addr_stride64_b64 v87, v[68:69], v[74:75] offset0:8 offset1:12
	ds_store_2addr_stride64_b64 v80, v[70:71], v[76:77] offset0:24 offset1:28
	s_waitcnt lgkmcnt(0)
	s_waitcnt_vscnt null, 0x0
	s_barrier
	buffer_gl0_inv
	s_cbranch_scc0 .LBB152_67
; %bb.33:
	v_mad_i64_i32 v[0:1], null, v78, s22, 0
	v_mad_i64_i32 v[2:3], null, v79, s22, 0
	v_lshl_add_u32 v93, v82, 5, 0x1000
	v_lshlrev_b64 v[72:73], 3, v[72:73]
	v_add_nc_u32_e32 v91, 0x1000, v87
	v_or_b32_e32 v92, 0x3000, v80
	v_lshlrev_b64 v[68:69], 3, v[0:1]
	v_lshl_add_u32 v94, v83, 5, 0x3000
	v_lshlrev_b64 v[70:71], 3, v[2:3]
	v_add_nc_u32_e32 v95, 0x800, v93
	s_add_i32 s22, s42, -8
	s_mov_b32 s23, 0
.LBB152_34:                             ; =>This Loop Header: Depth=1
                                        ;     Child Loop BB152_43 Depth 2
                                        ;     Child Loop BB152_45 Depth 2
	;; [unrolled: 1-line block ×8, first 2 shown]
	v_or_b32_e32 v96, s21, v84
	v_mov_b32_e32 v74, 0
	v_mov_b32_e32 v75, 0
	s_delay_alu instid0(VALU_DEP_3) | instskip(SKIP_1) | instid1(VALU_DEP_3)
	v_min_i32_e32 v0, s19, v96
	v_cmp_le_i32_e32 vcc_lo, s42, v96
	v_dual_mov_b32 v77, v75 :: v_dual_mov_b32 v76, v74
	s_delay_alu instid0(VALU_DEP_3) | instskip(SKIP_1) | instid1(VALU_DEP_1)
	v_ashrrev_i32_e32 v1, 31, v0
	s_or_b32 s7, s2, vcc_lo
	v_lshlrev_b64 v[0:1], 3, v[0:1]
	s_delay_alu instid0(VALU_DEP_1) | instskip(NEXT) | instid1(VALU_DEP_1)
	v_add_co_u32 v0, s6, s16, v0
	v_add_co_ci_u32_e64 v1, s6, s17, v1, s6
	s_or_b32 s6, s18, s7
	s_delay_alu instid0(SALU_CYCLE_1) | instskip(NEXT) | instid1(SALU_CYCLE_1)
	s_xor_b32 s6, s6, -1
	s_and_saveexec_b32 s7, s6
	s_cbranch_execz .LBB152_36
; %bb.35:                               ;   in Loop: Header=BB152_34 Depth=1
	v_add_co_u32 v2, s6, v0, v68
	s_delay_alu instid0(VALU_DEP_1)
	v_add_co_ci_u32_e64 v3, s6, v1, v69, s6
	flat_load_b64 v[2:3], v[2:3]
	s_waitcnt vmcnt(0) lgkmcnt(0)
	v_mul_f64 v[76:77], v[2:3], s[8:9]
.LBB152_36:                             ;   in Loop: Header=BB152_34 Depth=1
	s_or_b32 exec_lo, exec_lo, s7
	s_or_b32 s6, s3, vcc_lo
	s_delay_alu instid0(SALU_CYCLE_1) | instskip(NEXT) | instid1(SALU_CYCLE_1)
	s_or_b32 s6, s18, s6
	s_xor_b32 s7, s6, -1
	s_delay_alu instid0(SALU_CYCLE_1)
	s_and_saveexec_b32 s6, s7
	s_cbranch_execz .LBB152_38
; %bb.37:                               ;   in Loop: Header=BB152_34 Depth=1
	v_add_co_u32 v0, vcc_lo, v0, v70
	v_add_co_ci_u32_e32 v1, vcc_lo, v1, v71, vcc_lo
	flat_load_b64 v[0:1], v[0:1]
	s_waitcnt vmcnt(0) lgkmcnt(0)
	v_mul_f64 v[74:75], v[0:1], s[8:9]
.LBB152_38:                             ;   in Loop: Header=BB152_34 Depth=1
	s_or_b32 exec_lo, exec_lo, s6
	v_add_nc_u32_e32 v2, s21, v85
	v_mov_b32_e32 v78, 0
	v_mov_b32_e32 v79, 0
	s_delay_alu instid0(VALU_DEP_3) | instskip(SKIP_1) | instid1(VALU_DEP_3)
	v_min_i32_e32 v3, s19, v2
	v_cmp_le_i32_e32 vcc_lo, s42, v2
	v_dual_mov_b32 v81, v79 :: v_dual_mov_b32 v80, v78
	s_delay_alu instid0(VALU_DEP_3) | instskip(SKIP_1) | instid1(VALU_DEP_1)
	v_mad_i64_i32 v[0:1], null, v3, s20, 0
	s_or_b32 s7, s4, vcc_lo
	v_lshlrev_b64 v[0:1], 3, v[0:1]
	s_delay_alu instid0(VALU_DEP_1) | instskip(NEXT) | instid1(VALU_DEP_1)
	v_add_co_u32 v0, s6, s10, v0
	v_add_co_ci_u32_e64 v1, s6, s11, v1, s6
	s_or_b32 s6, s18, s7
	s_delay_alu instid0(SALU_CYCLE_1) | instskip(NEXT) | instid1(SALU_CYCLE_1)
	s_xor_b32 s6, s6, -1
	s_and_saveexec_b32 s7, s6
	s_cbranch_execz .LBB152_40
; %bb.39:                               ;   in Loop: Header=BB152_34 Depth=1
	v_add_co_u32 v2, s6, v0, v72
	s_delay_alu instid0(VALU_DEP_1)
	v_add_co_ci_u32_e64 v3, s6, v1, v73, s6
	flat_load_b64 v[2:3], v[2:3]
	s_waitcnt vmcnt(0) lgkmcnt(0)
	v_mul_f64 v[80:81], v[2:3], s[8:9]
.LBB152_40:                             ;   in Loop: Header=BB152_34 Depth=1
	s_or_b32 exec_lo, exec_lo, s7
	s_or_b32 s6, s5, vcc_lo
	s_delay_alu instid0(SALU_CYCLE_1) | instskip(NEXT) | instid1(SALU_CYCLE_1)
	s_or_b32 s6, s18, s6
	s_xor_b32 s7, s6, -1
	s_delay_alu instid0(SALU_CYCLE_1)
	s_and_saveexec_b32 s6, s7
	s_cbranch_execz .LBB152_42
; %bb.41:                               ;   in Loop: Header=BB152_34 Depth=1
	v_add_co_u32 v0, vcc_lo, v0, v72
	v_add_co_ci_u32_e32 v1, vcc_lo, v1, v73, vcc_lo
	flat_load_b64 v[0:1], v[0:1] offset:512
	s_waitcnt vmcnt(0) lgkmcnt(0)
	v_mul_f64 v[78:79], v[0:1], s[8:9]
.LBB152_42:                             ;   in Loop: Header=BB152_34 Depth=1
	s_or_b32 exec_lo, exec_lo, s6
	ds_load_2addr_b64 v[0:3], v93 offset1:16
	ds_load_2addr_b64 v[4:7], v93 offset0:32 offset1:48
	ds_load_2addr_b64 v[8:11], v93 offset0:64 offset1:80
	;; [unrolled: 1-line block ×7, first 2 shown]
	ds_load_2addr_b64 v[32:35], v95 offset1:16
	ds_load_2addr_b64 v[36:39], v95 offset0:32 offset1:48
	ds_load_2addr_b64 v[40:43], v95 offset0:64 offset1:80
	;; [unrolled: 1-line block ×7, first 2 shown]
	ds_load_2addr_stride64_b64 v[64:67], v94 offset1:4
	v_dual_mov_b32 v128, 0 :: v_dual_mov_b32 v127, 8
	v_dual_mov_b32 v126, 16 :: v_dual_mov_b32 v125, 24
	v_dual_mov_b32 v124, 32 :: v_dual_mov_b32 v123, 40
	v_dual_mov_b32 v122, 48 :: v_dual_mov_b32 v121, 56
	v_dual_mov_b32 v120, 64 :: v_dual_mov_b32 v119, 0x48
	v_mov_b32_e32 v118, 0x50
	v_mov_b32_e32 v117, 0x58
	;; [unrolled: 1-line block ×22, first 2 shown]
	s_mov_b64 s[6:7], 0
	s_mov_b32 s24, -1
.LBB152_43:                             ;   Parent Loop BB152_34 Depth=1
                                        ; =>  This Inner Loop Header: Depth=2
	scratch_load_b64 v[133:134], v128, off
	s_cmp_eq_u32 s6, 1
	s_waitcnt lgkmcnt(16)
	v_max_f64 v[131:132], v[0:1], v[0:1]
	s_cselect_b32 vcc_lo, -1, 0
	s_mov_b64 s[6:7], 1
	s_waitcnt lgkmcnt(0)
	v_dual_cndmask_b32 v130, v65, v67 :: v_dual_cndmask_b32 v129, v64, v66
	s_and_b32 vcc_lo, exec_lo, s24
	s_mov_b32 s24, 0
	s_delay_alu instid0(VALU_DEP_1) | instskip(NEXT) | instid1(VALU_DEP_1)
	v_max_f64 v[129:130], v[129:130], v[129:130]
	v_min_f64 v[131:132], v[131:132], v[129:130]
	s_waitcnt vmcnt(0)
	s_delay_alu instid0(VALU_DEP_1) | instskip(SKIP_3) | instid1(VALU_DEP_1)
	v_add_f64 v[131:132], v[133:134], v[131:132]
	scratch_load_b64 v[133:134], v127, off
	scratch_store_b64 v128, v[131:132], off
	v_max_f64 v[131:132], v[2:3], v[2:3]
	v_min_f64 v[131:132], v[131:132], v[129:130]
	s_waitcnt vmcnt(0)
	s_delay_alu instid0(VALU_DEP_1) | instskip(SKIP_3) | instid1(VALU_DEP_1)
	v_add_f64 v[131:132], v[131:132], v[133:134]
	scratch_store_b64 v127, v[131:132], off
	scratch_load_b64 v[131:132], v126, off
	v_max_f64 v[127:128], v[4:5], v[4:5]
	v_min_f64 v[127:128], v[127:128], v[129:130]
	s_waitcnt vmcnt(0)
	s_delay_alu instid0(VALU_DEP_1) | instskip(SKIP_3) | instid1(VALU_DEP_1)
	v_add_f64 v[127:128], v[127:128], v[131:132]
	scratch_load_b64 v[131:132], v125, off
	scratch_store_b64 v126, v[127:128], off
	v_max_f64 v[126:127], v[6:7], v[6:7]
	v_min_f64 v[126:127], v[126:127], v[129:130]
	s_waitcnt vmcnt(0)
	s_delay_alu instid0(VALU_DEP_1) | instskip(SKIP_3) | instid1(VALU_DEP_1)
	v_add_f64 v[126:127], v[126:127], v[131:132]
	scratch_store_b64 v125, v[126:127], off
	scratch_load_b64 v[127:128], v124, off
	v_max_f64 v[125:126], v[8:9], v[8:9]
	v_min_f64 v[125:126], v[125:126], v[129:130]
	s_waitcnt vmcnt(0)
	s_delay_alu instid0(VALU_DEP_1) | instskip(SKIP_4) | instid1(VALU_DEP_1)
	v_add_f64 v[125:126], v[125:126], v[127:128]
	v_mov_b32_e32 v128, 0x100
	scratch_store_b64 v124, v[125:126], off
	scratch_load_b64 v[126:127], v123, off
	v_max_f64 v[124:125], v[10:11], v[10:11]
	v_min_f64 v[124:125], v[124:125], v[129:130]
	s_waitcnt vmcnt(0)
	s_delay_alu instid0(VALU_DEP_1) | instskip(SKIP_4) | instid1(VALU_DEP_1)
	v_add_f64 v[124:125], v[124:125], v[126:127]
	v_mov_b32_e32 v127, 0x108
	;; [unrolled: 8-line block ×27, first 2 shown]
	scratch_store_b64 v98, v[99:100], off
	scratch_load_b64 v[100:101], v97, off
	v_max_f64 v[98:99], v[62:63], v[62:63]
	v_min_f64 v[98:99], v[98:99], v[129:130]
	s_waitcnt vmcnt(0)
	s_delay_alu instid0(VALU_DEP_1)
	v_add_f64 v[98:99], v[98:99], v[100:101]
	v_mov_b32_e32 v101, 0x1d8
	v_mov_b32_e32 v100, 0x1e0
	scratch_store_b64 v97, v[98:99], off
	v_mov_b32_e32 v99, 0x1e8
	v_mov_b32_e32 v98, 0x1f0
	;; [unrolled: 1-line block ×3, first 2 shown]
	s_cbranch_vccnz .LBB152_43
; %bb.44:                               ;   in Loop: Header=BB152_34 Depth=1
	ds_load_2addr_b64 v[0:3], v93 offset0:1 offset1:17
	ds_load_2addr_b64 v[4:7], v93 offset0:33 offset1:49
	;; [unrolled: 1-line block ×12, first 2 shown]
	v_dual_mov_b32 v127, 8 :: v_dual_add_nc_u32 v64, 8, v94
	ds_load_2addr_b64 v[48:51], v95 offset0:129 offset1:145
	ds_load_2addr_b64 v[52:55], v95 offset0:161 offset1:177
	;; [unrolled: 1-line block ×4, first 2 shown]
	ds_load_2addr_stride64_b64 v[64:67], v64 offset1:4
	v_dual_mov_b32 v128, 0 :: v_dual_mov_b32 v125, 24
	v_dual_mov_b32 v126, 16 :: v_dual_mov_b32 v123, 40
	;; [unrolled: 1-line block ×5, first 2 shown]
	v_mov_b32_e32 v118, 0x50
	v_mov_b32_e32 v116, 0x60
	;; [unrolled: 1-line block ×21, first 2 shown]
	s_mov_b64 s[6:7], 0
	s_mov_b32 s24, -1
.LBB152_45:                             ;   Parent Loop BB152_34 Depth=1
                                        ; =>  This Inner Loop Header: Depth=2
	scratch_load_b64 v[133:134], v128, off
	s_cmp_eq_u32 s6, 1
	s_waitcnt lgkmcnt(16)
	v_max_f64 v[131:132], v[0:1], v[0:1]
	s_cselect_b32 vcc_lo, -1, 0
	s_mov_b64 s[6:7], 1
	s_waitcnt lgkmcnt(0)
	v_dual_cndmask_b32 v130, v65, v67 :: v_dual_cndmask_b32 v129, v64, v66
	s_and_b32 vcc_lo, exec_lo, s24
	s_mov_b32 s24, 0
	s_delay_alu instid0(VALU_DEP_1) | instskip(NEXT) | instid1(VALU_DEP_1)
	v_max_f64 v[129:130], v[129:130], v[129:130]
	v_min_f64 v[131:132], v[131:132], v[129:130]
	s_waitcnt vmcnt(0)
	s_delay_alu instid0(VALU_DEP_1) | instskip(SKIP_3) | instid1(VALU_DEP_1)
	v_add_f64 v[131:132], v[133:134], v[131:132]
	scratch_load_b64 v[133:134], v127, off
	scratch_store_b64 v128, v[131:132], off
	v_max_f64 v[131:132], v[2:3], v[2:3]
	v_min_f64 v[131:132], v[131:132], v[129:130]
	s_waitcnt vmcnt(0)
	s_delay_alu instid0(VALU_DEP_1) | instskip(SKIP_3) | instid1(VALU_DEP_1)
	v_add_f64 v[131:132], v[131:132], v[133:134]
	scratch_store_b64 v127, v[131:132], off
	scratch_load_b64 v[131:132], v126, off
	v_max_f64 v[127:128], v[4:5], v[4:5]
	v_min_f64 v[127:128], v[127:128], v[129:130]
	s_waitcnt vmcnt(0)
	s_delay_alu instid0(VALU_DEP_1) | instskip(SKIP_3) | instid1(VALU_DEP_1)
	v_add_f64 v[127:128], v[127:128], v[131:132]
	scratch_load_b64 v[131:132], v125, off
	scratch_store_b64 v126, v[127:128], off
	v_max_f64 v[126:127], v[6:7], v[6:7]
	v_min_f64 v[126:127], v[126:127], v[129:130]
	s_waitcnt vmcnt(0)
	s_delay_alu instid0(VALU_DEP_1) | instskip(SKIP_3) | instid1(VALU_DEP_1)
	v_add_f64 v[126:127], v[126:127], v[131:132]
	scratch_store_b64 v125, v[126:127], off
	scratch_load_b64 v[127:128], v124, off
	v_max_f64 v[125:126], v[8:9], v[8:9]
	v_min_f64 v[125:126], v[125:126], v[129:130]
	s_waitcnt vmcnt(0)
	s_delay_alu instid0(VALU_DEP_1) | instskip(SKIP_4) | instid1(VALU_DEP_1)
	v_add_f64 v[125:126], v[125:126], v[127:128]
	v_mov_b32_e32 v128, 0x100
	scratch_store_b64 v124, v[125:126], off
	scratch_load_b64 v[126:127], v123, off
	v_max_f64 v[124:125], v[10:11], v[10:11]
	v_min_f64 v[124:125], v[124:125], v[129:130]
	s_waitcnt vmcnt(0)
	s_delay_alu instid0(VALU_DEP_1) | instskip(SKIP_4) | instid1(VALU_DEP_1)
	v_add_f64 v[124:125], v[124:125], v[126:127]
	v_mov_b32_e32 v127, 0x108
	;; [unrolled: 8-line block ×27, first 2 shown]
	scratch_store_b64 v98, v[99:100], off
	scratch_load_b64 v[100:101], v97, off
	v_max_f64 v[98:99], v[62:63], v[62:63]
	v_min_f64 v[98:99], v[98:99], v[129:130]
	s_waitcnt vmcnt(0)
	s_delay_alu instid0(VALU_DEP_1)
	v_add_f64 v[98:99], v[98:99], v[100:101]
	v_mov_b32_e32 v101, 0x1d8
	v_mov_b32_e32 v100, 0x1e0
	scratch_store_b64 v97, v[98:99], off
	v_mov_b32_e32 v99, 0x1e8
	v_mov_b32_e32 v98, 0x1f0
	;; [unrolled: 1-line block ×3, first 2 shown]
	s_cbranch_vccnz .LBB152_45
; %bb.46:                               ;   in Loop: Header=BB152_34 Depth=1
	ds_load_2addr_b64 v[0:3], v93 offset0:2 offset1:18
	ds_load_2addr_b64 v[4:7], v93 offset0:34 offset1:50
	;; [unrolled: 1-line block ×12, first 2 shown]
	v_dual_mov_b32 v127, 8 :: v_dual_add_nc_u32 v64, 16, v94
	ds_load_2addr_b64 v[48:51], v95 offset0:130 offset1:146
	ds_load_2addr_b64 v[52:55], v95 offset0:162 offset1:178
	;; [unrolled: 1-line block ×4, first 2 shown]
	ds_load_2addr_stride64_b64 v[64:67], v64 offset1:4
	v_dual_mov_b32 v128, 0 :: v_dual_mov_b32 v125, 24
	v_dual_mov_b32 v126, 16 :: v_dual_mov_b32 v123, 40
	;; [unrolled: 1-line block ×5, first 2 shown]
	v_mov_b32_e32 v118, 0x50
	v_mov_b32_e32 v116, 0x60
	;; [unrolled: 1-line block ×21, first 2 shown]
	s_mov_b64 s[6:7], 0
	s_mov_b32 s24, -1
.LBB152_47:                             ;   Parent Loop BB152_34 Depth=1
                                        ; =>  This Inner Loop Header: Depth=2
	scratch_load_b64 v[133:134], v128, off
	s_cmp_eq_u32 s6, 1
	s_waitcnt lgkmcnt(16)
	v_max_f64 v[131:132], v[0:1], v[0:1]
	s_cselect_b32 vcc_lo, -1, 0
	s_mov_b64 s[6:7], 1
	s_waitcnt lgkmcnt(0)
	v_dual_cndmask_b32 v130, v65, v67 :: v_dual_cndmask_b32 v129, v64, v66
	s_and_b32 vcc_lo, exec_lo, s24
	s_mov_b32 s24, 0
	s_delay_alu instid0(VALU_DEP_1) | instskip(NEXT) | instid1(VALU_DEP_1)
	v_max_f64 v[129:130], v[129:130], v[129:130]
	v_min_f64 v[131:132], v[131:132], v[129:130]
	s_waitcnt vmcnt(0)
	s_delay_alu instid0(VALU_DEP_1) | instskip(SKIP_3) | instid1(VALU_DEP_1)
	v_add_f64 v[131:132], v[133:134], v[131:132]
	scratch_load_b64 v[133:134], v127, off
	scratch_store_b64 v128, v[131:132], off
	v_max_f64 v[131:132], v[2:3], v[2:3]
	v_min_f64 v[131:132], v[131:132], v[129:130]
	s_waitcnt vmcnt(0)
	s_delay_alu instid0(VALU_DEP_1) | instskip(SKIP_3) | instid1(VALU_DEP_1)
	v_add_f64 v[131:132], v[131:132], v[133:134]
	scratch_store_b64 v127, v[131:132], off
	scratch_load_b64 v[131:132], v126, off
	v_max_f64 v[127:128], v[4:5], v[4:5]
	v_min_f64 v[127:128], v[127:128], v[129:130]
	s_waitcnt vmcnt(0)
	s_delay_alu instid0(VALU_DEP_1) | instskip(SKIP_3) | instid1(VALU_DEP_1)
	v_add_f64 v[127:128], v[127:128], v[131:132]
	scratch_load_b64 v[131:132], v125, off
	scratch_store_b64 v126, v[127:128], off
	v_max_f64 v[126:127], v[6:7], v[6:7]
	v_min_f64 v[126:127], v[126:127], v[129:130]
	s_waitcnt vmcnt(0)
	s_delay_alu instid0(VALU_DEP_1) | instskip(SKIP_3) | instid1(VALU_DEP_1)
	v_add_f64 v[126:127], v[126:127], v[131:132]
	scratch_store_b64 v125, v[126:127], off
	scratch_load_b64 v[127:128], v124, off
	v_max_f64 v[125:126], v[8:9], v[8:9]
	v_min_f64 v[125:126], v[125:126], v[129:130]
	s_waitcnt vmcnt(0)
	s_delay_alu instid0(VALU_DEP_1) | instskip(SKIP_4) | instid1(VALU_DEP_1)
	v_add_f64 v[125:126], v[125:126], v[127:128]
	v_mov_b32_e32 v128, 0x100
	scratch_store_b64 v124, v[125:126], off
	scratch_load_b64 v[126:127], v123, off
	v_max_f64 v[124:125], v[10:11], v[10:11]
	v_min_f64 v[124:125], v[124:125], v[129:130]
	s_waitcnt vmcnt(0)
	s_delay_alu instid0(VALU_DEP_1) | instskip(SKIP_4) | instid1(VALU_DEP_1)
	v_add_f64 v[124:125], v[124:125], v[126:127]
	v_mov_b32_e32 v127, 0x108
	;; [unrolled: 8-line block ×27, first 2 shown]
	scratch_store_b64 v98, v[99:100], off
	scratch_load_b64 v[100:101], v97, off
	v_max_f64 v[98:99], v[62:63], v[62:63]
	v_min_f64 v[98:99], v[98:99], v[129:130]
	s_waitcnt vmcnt(0)
	s_delay_alu instid0(VALU_DEP_1)
	v_add_f64 v[98:99], v[98:99], v[100:101]
	v_mov_b32_e32 v101, 0x1d8
	v_mov_b32_e32 v100, 0x1e0
	scratch_store_b64 v97, v[98:99], off
	v_mov_b32_e32 v99, 0x1e8
	v_mov_b32_e32 v98, 0x1f0
	;; [unrolled: 1-line block ×3, first 2 shown]
	s_cbranch_vccnz .LBB152_47
; %bb.48:                               ;   in Loop: Header=BB152_34 Depth=1
	ds_load_2addr_b64 v[0:3], v93 offset0:3 offset1:19
	ds_load_2addr_b64 v[4:7], v93 offset0:35 offset1:51
	;; [unrolled: 1-line block ×12, first 2 shown]
	v_dual_mov_b32 v127, 8 :: v_dual_add_nc_u32 v64, 24, v94
	ds_load_2addr_b64 v[48:51], v95 offset0:131 offset1:147
	ds_load_2addr_b64 v[52:55], v95 offset0:163 offset1:179
	;; [unrolled: 1-line block ×4, first 2 shown]
	ds_load_2addr_stride64_b64 v[64:67], v64 offset1:4
	v_dual_mov_b32 v128, 0 :: v_dual_mov_b32 v125, 24
	v_dual_mov_b32 v126, 16 :: v_dual_mov_b32 v123, 40
	;; [unrolled: 1-line block ×5, first 2 shown]
	v_mov_b32_e32 v118, 0x50
	v_mov_b32_e32 v116, 0x60
	;; [unrolled: 1-line block ×21, first 2 shown]
	s_mov_b64 s[6:7], 0
	s_mov_b32 s24, -1
.LBB152_49:                             ;   Parent Loop BB152_34 Depth=1
                                        ; =>  This Inner Loop Header: Depth=2
	scratch_load_b64 v[133:134], v128, off
	s_cmp_eq_u32 s6, 1
	s_waitcnt lgkmcnt(16)
	v_max_f64 v[131:132], v[0:1], v[0:1]
	s_cselect_b32 vcc_lo, -1, 0
	s_mov_b64 s[6:7], 1
	s_waitcnt lgkmcnt(0)
	v_dual_cndmask_b32 v130, v65, v67 :: v_dual_cndmask_b32 v129, v64, v66
	s_and_b32 vcc_lo, exec_lo, s24
	s_mov_b32 s24, 0
	s_delay_alu instid0(VALU_DEP_1) | instskip(NEXT) | instid1(VALU_DEP_1)
	v_max_f64 v[129:130], v[129:130], v[129:130]
	v_min_f64 v[131:132], v[131:132], v[129:130]
	s_waitcnt vmcnt(0)
	s_delay_alu instid0(VALU_DEP_1) | instskip(SKIP_3) | instid1(VALU_DEP_1)
	v_add_f64 v[131:132], v[133:134], v[131:132]
	scratch_load_b64 v[133:134], v127, off
	scratch_store_b64 v128, v[131:132], off
	v_max_f64 v[131:132], v[2:3], v[2:3]
	v_min_f64 v[131:132], v[131:132], v[129:130]
	s_waitcnt vmcnt(0)
	s_delay_alu instid0(VALU_DEP_1) | instskip(SKIP_3) | instid1(VALU_DEP_1)
	v_add_f64 v[131:132], v[131:132], v[133:134]
	scratch_store_b64 v127, v[131:132], off
	scratch_load_b64 v[131:132], v126, off
	v_max_f64 v[127:128], v[4:5], v[4:5]
	v_min_f64 v[127:128], v[127:128], v[129:130]
	s_waitcnt vmcnt(0)
	s_delay_alu instid0(VALU_DEP_1) | instskip(SKIP_3) | instid1(VALU_DEP_1)
	v_add_f64 v[127:128], v[127:128], v[131:132]
	scratch_load_b64 v[131:132], v125, off
	scratch_store_b64 v126, v[127:128], off
	v_max_f64 v[126:127], v[6:7], v[6:7]
	v_min_f64 v[126:127], v[126:127], v[129:130]
	s_waitcnt vmcnt(0)
	s_delay_alu instid0(VALU_DEP_1) | instskip(SKIP_3) | instid1(VALU_DEP_1)
	v_add_f64 v[126:127], v[126:127], v[131:132]
	scratch_store_b64 v125, v[126:127], off
	scratch_load_b64 v[127:128], v124, off
	v_max_f64 v[125:126], v[8:9], v[8:9]
	v_min_f64 v[125:126], v[125:126], v[129:130]
	s_waitcnt vmcnt(0)
	s_delay_alu instid0(VALU_DEP_1) | instskip(SKIP_4) | instid1(VALU_DEP_1)
	v_add_f64 v[125:126], v[125:126], v[127:128]
	v_mov_b32_e32 v128, 0x100
	scratch_store_b64 v124, v[125:126], off
	scratch_load_b64 v[126:127], v123, off
	v_max_f64 v[124:125], v[10:11], v[10:11]
	v_min_f64 v[124:125], v[124:125], v[129:130]
	s_waitcnt vmcnt(0)
	s_delay_alu instid0(VALU_DEP_1) | instskip(SKIP_4) | instid1(VALU_DEP_1)
	v_add_f64 v[124:125], v[124:125], v[126:127]
	v_mov_b32_e32 v127, 0x108
	;; [unrolled: 8-line block ×27, first 2 shown]
	scratch_store_b64 v98, v[99:100], off
	scratch_load_b64 v[100:101], v97, off
	v_max_f64 v[98:99], v[62:63], v[62:63]
	v_min_f64 v[98:99], v[98:99], v[129:130]
	s_waitcnt vmcnt(0)
	s_delay_alu instid0(VALU_DEP_1)
	v_add_f64 v[98:99], v[98:99], v[100:101]
	v_mov_b32_e32 v101, 0x1d8
	v_mov_b32_e32 v100, 0x1e0
	scratch_store_b64 v97, v[98:99], off
	v_mov_b32_e32 v99, 0x1e8
	v_mov_b32_e32 v98, 0x1f0
	;; [unrolled: 1-line block ×3, first 2 shown]
	s_cbranch_vccnz .LBB152_49
; %bb.50:                               ;   in Loop: Header=BB152_34 Depth=1
	v_or_b32_e32 v2, 4, v96
	ds_store_2addr_stride64_b64 v87, v[76:77], v[74:75] offset1:4
	v_mov_b32_e32 v74, 0
	v_mov_b32_e32 v75, 0
	ds_store_2addr_stride64_b64 v89, v[80:81], v[78:79] offset1:4
	v_min_i32_e32 v0, s19, v2
	v_cmp_le_i32_e32 vcc_lo, s42, v2
	s_waitcnt lgkmcnt(0)
	s_waitcnt_vscnt null, 0x0
	v_dual_mov_b32 v77, v75 :: v_dual_mov_b32 v76, v74
	v_ashrrev_i32_e32 v1, 31, v0
	s_or_b32 s7, s2, vcc_lo
	s_barrier
	buffer_gl0_inv
	v_lshlrev_b64 v[0:1], 3, v[0:1]
	s_delay_alu instid0(VALU_DEP_1) | instskip(NEXT) | instid1(VALU_DEP_1)
	v_add_co_u32 v0, s6, s16, v0
	v_add_co_ci_u32_e64 v1, s6, s17, v1, s6
	s_or_b32 s6, s18, s7
	s_delay_alu instid0(SALU_CYCLE_1) | instskip(NEXT) | instid1(SALU_CYCLE_1)
	s_xor_b32 s6, s6, -1
	s_and_saveexec_b32 s7, s6
	s_delay_alu instid0(SALU_CYCLE_1)
	s_xor_b32 s7, exec_lo, s7
	s_cbranch_execz .LBB152_52
; %bb.51:                               ;   in Loop: Header=BB152_34 Depth=1
	v_add_co_u32 v2, s6, v0, v68
	s_delay_alu instid0(VALU_DEP_1)
	v_add_co_ci_u32_e64 v3, s6, v1, v69, s6
	flat_load_b64 v[2:3], v[2:3]
	s_waitcnt vmcnt(0) lgkmcnt(0)
	v_mul_f64 v[76:77], v[2:3], s[8:9]
.LBB152_52:                             ;   in Loop: Header=BB152_34 Depth=1
	s_or_b32 exec_lo, exec_lo, s7
	s_or_b32 s6, s3, vcc_lo
	s_delay_alu instid0(SALU_CYCLE_1) | instskip(NEXT) | instid1(SALU_CYCLE_1)
	s_or_b32 s6, s18, s6
	s_xor_b32 s7, s6, -1
	s_delay_alu instid0(SALU_CYCLE_1)
	s_and_saveexec_b32 s6, s7
	s_cbranch_execz .LBB152_54
; %bb.53:                               ;   in Loop: Header=BB152_34 Depth=1
	v_add_co_u32 v0, vcc_lo, v0, v70
	v_add_co_ci_u32_e32 v1, vcc_lo, v1, v71, vcc_lo
	flat_load_b64 v[0:1], v[0:1]
	s_waitcnt vmcnt(0) lgkmcnt(0)
	v_mul_f64 v[74:75], v[0:1], s[8:9]
.LBB152_54:                             ;   in Loop: Header=BB152_34 Depth=1
	s_or_b32 exec_lo, exec_lo, s6
	v_add3_u32 v2, v85, s21, 4
	v_mov_b32_e32 v78, 0
	v_mov_b32_e32 v79, 0
	s_delay_alu instid0(VALU_DEP_3) | instskip(SKIP_1) | instid1(VALU_DEP_3)
	v_min_i32_e32 v3, s19, v2
	v_cmp_le_i32_e32 vcc_lo, s42, v2
	v_dual_mov_b32 v81, v79 :: v_dual_mov_b32 v80, v78
	s_delay_alu instid0(VALU_DEP_3) | instskip(SKIP_1) | instid1(VALU_DEP_1)
	v_mad_i64_i32 v[0:1], null, v3, s20, 0
	s_or_b32 s7, s4, vcc_lo
	v_lshlrev_b64 v[0:1], 3, v[0:1]
	s_delay_alu instid0(VALU_DEP_1) | instskip(NEXT) | instid1(VALU_DEP_1)
	v_add_co_u32 v0, s6, s10, v0
	v_add_co_ci_u32_e64 v1, s6, s11, v1, s6
	s_or_b32 s6, s18, s7
	s_delay_alu instid0(SALU_CYCLE_1) | instskip(NEXT) | instid1(SALU_CYCLE_1)
	s_xor_b32 s6, s6, -1
	s_and_saveexec_b32 s7, s6
	s_cbranch_execz .LBB152_56
; %bb.55:                               ;   in Loop: Header=BB152_34 Depth=1
	v_add_co_u32 v2, s6, v0, v72
	s_delay_alu instid0(VALU_DEP_1)
	v_add_co_ci_u32_e64 v3, s6, v1, v73, s6
	flat_load_b64 v[2:3], v[2:3]
	s_waitcnt vmcnt(0) lgkmcnt(0)
	v_mul_f64 v[80:81], v[2:3], s[8:9]
.LBB152_56:                             ;   in Loop: Header=BB152_34 Depth=1
	s_or_b32 exec_lo, exec_lo, s7
	s_or_b32 s6, s5, vcc_lo
	s_delay_alu instid0(SALU_CYCLE_1) | instskip(NEXT) | instid1(SALU_CYCLE_1)
	s_or_b32 s6, s18, s6
	s_xor_b32 s7, s6, -1
	s_delay_alu instid0(SALU_CYCLE_1)
	s_and_saveexec_b32 s6, s7
	s_cbranch_execz .LBB152_58
; %bb.57:                               ;   in Loop: Header=BB152_34 Depth=1
	v_add_co_u32 v0, vcc_lo, v0, v72
	v_add_co_ci_u32_e32 v1, vcc_lo, v1, v73, vcc_lo
	flat_load_b64 v[0:1], v[0:1] offset:512
	s_waitcnt vmcnt(0) lgkmcnt(0)
	v_mul_f64 v[78:79], v[0:1], s[8:9]
.LBB152_58:                             ;   in Loop: Header=BB152_34 Depth=1
	s_or_b32 exec_lo, exec_lo, s6
	v_dual_mov_b32 v127, 8 :: v_dual_add_nc_u32 v96, 0x800, v86
	ds_load_2addr_b64 v[0:3], v86 offset1:16
	ds_load_2addr_b64 v[4:7], v86 offset0:32 offset1:48
	ds_load_2addr_b64 v[8:11], v86 offset0:64 offset1:80
	;; [unrolled: 1-line block ×7, first 2 shown]
	ds_load_2addr_b64 v[32:35], v96 offset1:16
	ds_load_2addr_b64 v[36:39], v96 offset0:32 offset1:48
	ds_load_2addr_b64 v[40:43], v96 offset0:64 offset1:80
	;; [unrolled: 1-line block ×7, first 2 shown]
	ds_load_2addr_stride64_b64 v[64:67], v90 offset1:4
	v_dual_mov_b32 v128, 0 :: v_dual_mov_b32 v125, 24
	v_dual_mov_b32 v126, 16 :: v_dual_mov_b32 v123, 40
	;; [unrolled: 1-line block ×5, first 2 shown]
	v_mov_b32_e32 v118, 0x50
	v_mov_b32_e32 v116, 0x60
	;; [unrolled: 1-line block ×21, first 2 shown]
	s_mov_b64 s[6:7], 0
	s_mov_b32 s24, -1
.LBB152_59:                             ;   Parent Loop BB152_34 Depth=1
                                        ; =>  This Inner Loop Header: Depth=2
	scratch_load_b64 v[133:134], v128, off
	s_cmp_eq_u32 s6, 1
	s_waitcnt lgkmcnt(16)
	v_max_f64 v[131:132], v[0:1], v[0:1]
	s_cselect_b32 vcc_lo, -1, 0
	s_mov_b64 s[6:7], 1
	s_waitcnt lgkmcnt(0)
	v_dual_cndmask_b32 v130, v65, v67 :: v_dual_cndmask_b32 v129, v64, v66
	s_and_b32 vcc_lo, exec_lo, s24
	s_mov_b32 s24, 0
	s_delay_alu instid0(VALU_DEP_1) | instskip(NEXT) | instid1(VALU_DEP_1)
	v_max_f64 v[129:130], v[129:130], v[129:130]
	v_min_f64 v[131:132], v[131:132], v[129:130]
	s_waitcnt vmcnt(0)
	s_delay_alu instid0(VALU_DEP_1) | instskip(SKIP_3) | instid1(VALU_DEP_1)
	v_add_f64 v[131:132], v[133:134], v[131:132]
	scratch_load_b64 v[133:134], v127, off
	scratch_store_b64 v128, v[131:132], off
	v_max_f64 v[131:132], v[2:3], v[2:3]
	v_min_f64 v[131:132], v[131:132], v[129:130]
	s_waitcnt vmcnt(0)
	s_delay_alu instid0(VALU_DEP_1) | instskip(SKIP_3) | instid1(VALU_DEP_1)
	v_add_f64 v[131:132], v[131:132], v[133:134]
	scratch_store_b64 v127, v[131:132], off
	scratch_load_b64 v[131:132], v126, off
	v_max_f64 v[127:128], v[4:5], v[4:5]
	v_min_f64 v[127:128], v[127:128], v[129:130]
	s_waitcnt vmcnt(0)
	s_delay_alu instid0(VALU_DEP_1) | instskip(SKIP_3) | instid1(VALU_DEP_1)
	v_add_f64 v[127:128], v[127:128], v[131:132]
	scratch_load_b64 v[131:132], v125, off
	scratch_store_b64 v126, v[127:128], off
	v_max_f64 v[126:127], v[6:7], v[6:7]
	v_min_f64 v[126:127], v[126:127], v[129:130]
	s_waitcnt vmcnt(0)
	s_delay_alu instid0(VALU_DEP_1) | instskip(SKIP_3) | instid1(VALU_DEP_1)
	v_add_f64 v[126:127], v[126:127], v[131:132]
	scratch_store_b64 v125, v[126:127], off
	scratch_load_b64 v[127:128], v124, off
	v_max_f64 v[125:126], v[8:9], v[8:9]
	v_min_f64 v[125:126], v[125:126], v[129:130]
	s_waitcnt vmcnt(0)
	s_delay_alu instid0(VALU_DEP_1) | instskip(SKIP_4) | instid1(VALU_DEP_1)
	v_add_f64 v[125:126], v[125:126], v[127:128]
	v_mov_b32_e32 v128, 0x100
	scratch_store_b64 v124, v[125:126], off
	scratch_load_b64 v[126:127], v123, off
	v_max_f64 v[124:125], v[10:11], v[10:11]
	v_min_f64 v[124:125], v[124:125], v[129:130]
	s_waitcnt vmcnt(0)
	s_delay_alu instid0(VALU_DEP_1) | instskip(SKIP_4) | instid1(VALU_DEP_1)
	v_add_f64 v[124:125], v[124:125], v[126:127]
	v_mov_b32_e32 v127, 0x108
	;; [unrolled: 8-line block ×27, first 2 shown]
	scratch_store_b64 v98, v[99:100], off
	scratch_load_b64 v[100:101], v97, off
	v_max_f64 v[98:99], v[62:63], v[62:63]
	v_min_f64 v[98:99], v[98:99], v[129:130]
	s_waitcnt vmcnt(0)
	s_delay_alu instid0(VALU_DEP_1)
	v_add_f64 v[98:99], v[98:99], v[100:101]
	v_mov_b32_e32 v101, 0x1d8
	v_mov_b32_e32 v100, 0x1e0
	scratch_store_b64 v97, v[98:99], off
	v_mov_b32_e32 v99, 0x1e8
	v_mov_b32_e32 v98, 0x1f0
	;; [unrolled: 1-line block ×3, first 2 shown]
	s_cbranch_vccnz .LBB152_59
; %bb.60:                               ;   in Loop: Header=BB152_34 Depth=1
	ds_load_2addr_b64 v[0:3], v86 offset0:1 offset1:17
	ds_load_2addr_b64 v[4:7], v86 offset0:33 offset1:49
	;; [unrolled: 1-line block ×12, first 2 shown]
	v_dual_mov_b32 v127, 8 :: v_dual_add_nc_u32 v64, 8, v90
	ds_load_2addr_b64 v[48:51], v96 offset0:129 offset1:145
	ds_load_2addr_b64 v[52:55], v96 offset0:161 offset1:177
	ds_load_2addr_b64 v[56:59], v96 offset0:193 offset1:209
	ds_load_2addr_b64 v[60:63], v96 offset0:225 offset1:241
	ds_load_2addr_stride64_b64 v[64:67], v64 offset1:4
	v_dual_mov_b32 v128, 0 :: v_dual_mov_b32 v125, 24
	v_dual_mov_b32 v126, 16 :: v_dual_mov_b32 v123, 40
	;; [unrolled: 1-line block ×5, first 2 shown]
	v_mov_b32_e32 v118, 0x50
	v_mov_b32_e32 v116, 0x60
	v_mov_b32_e32 v115, 0x68
	v_mov_b32_e32 v114, 0x70
	v_mov_b32_e32 v113, 0x78
	v_mov_b32_e32 v112, 0x80
	v_mov_b32_e32 v111, 0x88
	v_mov_b32_e32 v110, 0x90
	v_mov_b32_e32 v109, 0x98
	v_mov_b32_e32 v108, 0xa0
	v_mov_b32_e32 v107, 0xa8
	v_mov_b32_e32 v106, 0xb0
	v_mov_b32_e32 v105, 0xb8
	v_mov_b32_e32 v104, 0xc0
	v_mov_b32_e32 v103, 0xc8
	v_mov_b32_e32 v102, 0xd0
	v_mov_b32_e32 v101, 0xd8
	v_mov_b32_e32 v100, 0xe0
	v_mov_b32_e32 v99, 0xe8
	v_mov_b32_e32 v98, 0xf0
	v_mov_b32_e32 v97, 0xf8
	s_mov_b64 s[6:7], 0
	s_mov_b32 s24, -1
.LBB152_61:                             ;   Parent Loop BB152_34 Depth=1
                                        ; =>  This Inner Loop Header: Depth=2
	scratch_load_b64 v[133:134], v128, off
	s_cmp_eq_u32 s6, 1
	s_waitcnt lgkmcnt(16)
	v_max_f64 v[131:132], v[0:1], v[0:1]
	s_cselect_b32 vcc_lo, -1, 0
	s_mov_b64 s[6:7], 1
	s_waitcnt lgkmcnt(0)
	v_dual_cndmask_b32 v130, v65, v67 :: v_dual_cndmask_b32 v129, v64, v66
	s_and_b32 vcc_lo, exec_lo, s24
	s_mov_b32 s24, 0
	s_delay_alu instid0(VALU_DEP_1) | instskip(NEXT) | instid1(VALU_DEP_1)
	v_max_f64 v[129:130], v[129:130], v[129:130]
	v_min_f64 v[131:132], v[131:132], v[129:130]
	s_waitcnt vmcnt(0)
	s_delay_alu instid0(VALU_DEP_1) | instskip(SKIP_3) | instid1(VALU_DEP_1)
	v_add_f64 v[131:132], v[133:134], v[131:132]
	scratch_load_b64 v[133:134], v127, off
	scratch_store_b64 v128, v[131:132], off
	v_max_f64 v[131:132], v[2:3], v[2:3]
	v_min_f64 v[131:132], v[131:132], v[129:130]
	s_waitcnt vmcnt(0)
	s_delay_alu instid0(VALU_DEP_1) | instskip(SKIP_3) | instid1(VALU_DEP_1)
	v_add_f64 v[131:132], v[131:132], v[133:134]
	scratch_store_b64 v127, v[131:132], off
	scratch_load_b64 v[131:132], v126, off
	v_max_f64 v[127:128], v[4:5], v[4:5]
	v_min_f64 v[127:128], v[127:128], v[129:130]
	s_waitcnt vmcnt(0)
	s_delay_alu instid0(VALU_DEP_1) | instskip(SKIP_3) | instid1(VALU_DEP_1)
	v_add_f64 v[127:128], v[127:128], v[131:132]
	scratch_load_b64 v[131:132], v125, off
	scratch_store_b64 v126, v[127:128], off
	v_max_f64 v[126:127], v[6:7], v[6:7]
	v_min_f64 v[126:127], v[126:127], v[129:130]
	s_waitcnt vmcnt(0)
	s_delay_alu instid0(VALU_DEP_1) | instskip(SKIP_3) | instid1(VALU_DEP_1)
	v_add_f64 v[126:127], v[126:127], v[131:132]
	scratch_store_b64 v125, v[126:127], off
	scratch_load_b64 v[127:128], v124, off
	v_max_f64 v[125:126], v[8:9], v[8:9]
	v_min_f64 v[125:126], v[125:126], v[129:130]
	s_waitcnt vmcnt(0)
	s_delay_alu instid0(VALU_DEP_1) | instskip(SKIP_4) | instid1(VALU_DEP_1)
	v_add_f64 v[125:126], v[125:126], v[127:128]
	v_mov_b32_e32 v128, 0x100
	scratch_store_b64 v124, v[125:126], off
	scratch_load_b64 v[126:127], v123, off
	v_max_f64 v[124:125], v[10:11], v[10:11]
	v_min_f64 v[124:125], v[124:125], v[129:130]
	s_waitcnt vmcnt(0)
	s_delay_alu instid0(VALU_DEP_1) | instskip(SKIP_4) | instid1(VALU_DEP_1)
	v_add_f64 v[124:125], v[124:125], v[126:127]
	v_mov_b32_e32 v127, 0x108
	;; [unrolled: 8-line block ×27, first 2 shown]
	scratch_store_b64 v98, v[99:100], off
	scratch_load_b64 v[100:101], v97, off
	v_max_f64 v[98:99], v[62:63], v[62:63]
	v_min_f64 v[98:99], v[98:99], v[129:130]
	s_waitcnt vmcnt(0)
	s_delay_alu instid0(VALU_DEP_1)
	v_add_f64 v[98:99], v[98:99], v[100:101]
	v_mov_b32_e32 v101, 0x1d8
	v_mov_b32_e32 v100, 0x1e0
	scratch_store_b64 v97, v[98:99], off
	v_mov_b32_e32 v99, 0x1e8
	v_mov_b32_e32 v98, 0x1f0
	;; [unrolled: 1-line block ×3, first 2 shown]
	s_cbranch_vccnz .LBB152_61
; %bb.62:                               ;   in Loop: Header=BB152_34 Depth=1
	ds_load_2addr_b64 v[0:3], v86 offset0:2 offset1:18
	ds_load_2addr_b64 v[4:7], v86 offset0:34 offset1:50
	;; [unrolled: 1-line block ×12, first 2 shown]
	v_dual_mov_b32 v127, 8 :: v_dual_add_nc_u32 v64, 16, v90
	ds_load_2addr_b64 v[48:51], v96 offset0:130 offset1:146
	ds_load_2addr_b64 v[52:55], v96 offset0:162 offset1:178
	;; [unrolled: 1-line block ×4, first 2 shown]
	ds_load_2addr_stride64_b64 v[64:67], v64 offset1:4
	v_dual_mov_b32 v128, 0 :: v_dual_mov_b32 v125, 24
	v_dual_mov_b32 v126, 16 :: v_dual_mov_b32 v123, 40
	;; [unrolled: 1-line block ×5, first 2 shown]
	v_mov_b32_e32 v118, 0x50
	v_mov_b32_e32 v116, 0x60
	v_mov_b32_e32 v115, 0x68
	v_mov_b32_e32 v114, 0x70
	v_mov_b32_e32 v113, 0x78
	v_mov_b32_e32 v112, 0x80
	v_mov_b32_e32 v111, 0x88
	v_mov_b32_e32 v110, 0x90
	v_mov_b32_e32 v109, 0x98
	v_mov_b32_e32 v108, 0xa0
	v_mov_b32_e32 v107, 0xa8
	v_mov_b32_e32 v106, 0xb0
	v_mov_b32_e32 v105, 0xb8
	v_mov_b32_e32 v104, 0xc0
	v_mov_b32_e32 v103, 0xc8
	v_mov_b32_e32 v102, 0xd0
	v_mov_b32_e32 v101, 0xd8
	v_mov_b32_e32 v100, 0xe0
	v_mov_b32_e32 v99, 0xe8
	v_mov_b32_e32 v98, 0xf0
	v_mov_b32_e32 v97, 0xf8
	s_mov_b64 s[6:7], 0
	s_mov_b32 s24, -1
.LBB152_63:                             ;   Parent Loop BB152_34 Depth=1
                                        ; =>  This Inner Loop Header: Depth=2
	scratch_load_b64 v[133:134], v128, off
	s_cmp_eq_u32 s6, 1
	s_waitcnt lgkmcnt(16)
	v_max_f64 v[131:132], v[0:1], v[0:1]
	s_cselect_b32 vcc_lo, -1, 0
	s_mov_b64 s[6:7], 1
	s_waitcnt lgkmcnt(0)
	v_dual_cndmask_b32 v130, v65, v67 :: v_dual_cndmask_b32 v129, v64, v66
	s_and_b32 vcc_lo, exec_lo, s24
	s_mov_b32 s24, 0
	s_delay_alu instid0(VALU_DEP_1) | instskip(NEXT) | instid1(VALU_DEP_1)
	v_max_f64 v[129:130], v[129:130], v[129:130]
	v_min_f64 v[131:132], v[131:132], v[129:130]
	s_waitcnt vmcnt(0)
	s_delay_alu instid0(VALU_DEP_1) | instskip(SKIP_3) | instid1(VALU_DEP_1)
	v_add_f64 v[131:132], v[133:134], v[131:132]
	scratch_load_b64 v[133:134], v127, off
	scratch_store_b64 v128, v[131:132], off
	v_max_f64 v[131:132], v[2:3], v[2:3]
	v_min_f64 v[131:132], v[131:132], v[129:130]
	s_waitcnt vmcnt(0)
	s_delay_alu instid0(VALU_DEP_1) | instskip(SKIP_3) | instid1(VALU_DEP_1)
	v_add_f64 v[131:132], v[131:132], v[133:134]
	scratch_store_b64 v127, v[131:132], off
	scratch_load_b64 v[131:132], v126, off
	v_max_f64 v[127:128], v[4:5], v[4:5]
	v_min_f64 v[127:128], v[127:128], v[129:130]
	s_waitcnt vmcnt(0)
	s_delay_alu instid0(VALU_DEP_1) | instskip(SKIP_3) | instid1(VALU_DEP_1)
	v_add_f64 v[127:128], v[127:128], v[131:132]
	scratch_load_b64 v[131:132], v125, off
	scratch_store_b64 v126, v[127:128], off
	v_max_f64 v[126:127], v[6:7], v[6:7]
	v_min_f64 v[126:127], v[126:127], v[129:130]
	s_waitcnt vmcnt(0)
	s_delay_alu instid0(VALU_DEP_1) | instskip(SKIP_3) | instid1(VALU_DEP_1)
	v_add_f64 v[126:127], v[126:127], v[131:132]
	scratch_store_b64 v125, v[126:127], off
	scratch_load_b64 v[127:128], v124, off
	v_max_f64 v[125:126], v[8:9], v[8:9]
	v_min_f64 v[125:126], v[125:126], v[129:130]
	s_waitcnt vmcnt(0)
	s_delay_alu instid0(VALU_DEP_1) | instskip(SKIP_4) | instid1(VALU_DEP_1)
	v_add_f64 v[125:126], v[125:126], v[127:128]
	v_mov_b32_e32 v128, 0x100
	scratch_store_b64 v124, v[125:126], off
	scratch_load_b64 v[126:127], v123, off
	v_max_f64 v[124:125], v[10:11], v[10:11]
	v_min_f64 v[124:125], v[124:125], v[129:130]
	s_waitcnt vmcnt(0)
	s_delay_alu instid0(VALU_DEP_1) | instskip(SKIP_4) | instid1(VALU_DEP_1)
	v_add_f64 v[124:125], v[124:125], v[126:127]
	v_mov_b32_e32 v127, 0x108
	;; [unrolled: 8-line block ×27, first 2 shown]
	scratch_store_b64 v98, v[99:100], off
	scratch_load_b64 v[100:101], v97, off
	v_max_f64 v[98:99], v[62:63], v[62:63]
	v_min_f64 v[98:99], v[98:99], v[129:130]
	s_waitcnt vmcnt(0)
	s_delay_alu instid0(VALU_DEP_1)
	v_add_f64 v[98:99], v[98:99], v[100:101]
	v_mov_b32_e32 v101, 0x1d8
	v_mov_b32_e32 v100, 0x1e0
	scratch_store_b64 v97, v[98:99], off
	v_mov_b32_e32 v99, 0x1e8
	v_mov_b32_e32 v98, 0x1f0
	;; [unrolled: 1-line block ×3, first 2 shown]
	s_cbranch_vccnz .LBB152_63
; %bb.64:                               ;   in Loop: Header=BB152_34 Depth=1
	ds_load_2addr_b64 v[0:3], v86 offset0:3 offset1:19
	ds_load_2addr_b64 v[4:7], v86 offset0:35 offset1:51
	;; [unrolled: 1-line block ×12, first 2 shown]
	v_dual_mov_b32 v127, 0 :: v_dual_add_nc_u32 v64, 24, v90
	ds_load_2addr_b64 v[48:51], v96 offset0:131 offset1:147
	ds_load_2addr_b64 v[52:55], v96 offset0:163 offset1:179
	;; [unrolled: 1-line block ×4, first 2 shown]
	ds_load_2addr_stride64_b64 v[64:67], v64 offset1:4
	v_dual_mov_b32 v126, 8 :: v_dual_mov_b32 v125, 16
	v_dual_mov_b32 v124, 24 :: v_dual_mov_b32 v123, 32
	;; [unrolled: 1-line block ×4, first 2 shown]
	v_mov_b32_e32 v118, 0x48
	v_mov_b32_e32 v117, 0x50
	;; [unrolled: 1-line block ×23, first 2 shown]
	s_mov_b64 s[6:7], 0
	s_mov_b32 s24, -1
.LBB152_65:                             ;   Parent Loop BB152_34 Depth=1
                                        ; =>  This Inner Loop Header: Depth=2
	scratch_load_b64 v[132:133], v127, off
	s_cmp_eq_u32 s6, 1
	s_waitcnt lgkmcnt(16)
	v_max_f64 v[130:131], v[0:1], v[0:1]
	s_cselect_b32 vcc_lo, -1, 0
	s_mov_b64 s[6:7], 1
	s_waitcnt lgkmcnt(0)
	v_dual_cndmask_b32 v129, v65, v67 :: v_dual_cndmask_b32 v128, v64, v66
	s_and_b32 vcc_lo, exec_lo, s24
	s_mov_b32 s24, 0
	s_delay_alu instid0(VALU_DEP_1) | instskip(NEXT) | instid1(VALU_DEP_1)
	v_max_f64 v[128:129], v[128:129], v[128:129]
	v_min_f64 v[130:131], v[130:131], v[128:129]
	s_waitcnt vmcnt(0)
	s_delay_alu instid0(VALU_DEP_1) | instskip(SKIP_3) | instid1(VALU_DEP_1)
	v_add_f64 v[130:131], v[132:133], v[130:131]
	scratch_load_b64 v[132:133], v126, off
	scratch_store_b64 v127, v[130:131], off
	v_max_f64 v[130:131], v[2:3], v[2:3]
	v_min_f64 v[130:131], v[130:131], v[128:129]
	s_waitcnt vmcnt(0)
	s_delay_alu instid0(VALU_DEP_1) | instskip(SKIP_3) | instid1(VALU_DEP_1)
	v_add_f64 v[130:131], v[130:131], v[132:133]
	scratch_store_b64 v126, v[130:131], off
	scratch_load_b64 v[130:131], v125, off
	v_max_f64 v[126:127], v[4:5], v[4:5]
	v_min_f64 v[126:127], v[126:127], v[128:129]
	s_waitcnt vmcnt(0)
	s_delay_alu instid0(VALU_DEP_1) | instskip(SKIP_3) | instid1(VALU_DEP_1)
	v_add_f64 v[126:127], v[126:127], v[130:131]
	scratch_load_b64 v[130:131], v124, off
	scratch_store_b64 v125, v[126:127], off
	v_max_f64 v[125:126], v[6:7], v[6:7]
	v_min_f64 v[125:126], v[125:126], v[128:129]
	s_waitcnt vmcnt(0)
	s_delay_alu instid0(VALU_DEP_1) | instskip(SKIP_3) | instid1(VALU_DEP_1)
	v_add_f64 v[125:126], v[125:126], v[130:131]
	scratch_store_b64 v124, v[125:126], off
	scratch_load_b64 v[126:127], v123, off
	v_max_f64 v[124:125], v[8:9], v[8:9]
	v_min_f64 v[124:125], v[124:125], v[128:129]
	s_waitcnt vmcnt(0)
	s_delay_alu instid0(VALU_DEP_1) | instskip(SKIP_4) | instid1(VALU_DEP_1)
	v_add_f64 v[124:125], v[124:125], v[126:127]
	v_mov_b32_e32 v127, 0x100
	scratch_store_b64 v123, v[124:125], off
	scratch_load_b64 v[125:126], v122, off
	v_max_f64 v[123:124], v[10:11], v[10:11]
	v_min_f64 v[123:124], v[123:124], v[128:129]
	s_waitcnt vmcnt(0)
	s_delay_alu instid0(VALU_DEP_1) | instskip(SKIP_4) | instid1(VALU_DEP_1)
	v_add_f64 v[123:124], v[123:124], v[125:126]
	v_mov_b32_e32 v126, 0x108
	;; [unrolled: 8-line block ×27, first 2 shown]
	scratch_store_b64 v97, v[98:99], off
	scratch_load_b64 v[99:100], v96, off
	v_max_f64 v[97:98], v[62:63], v[62:63]
	v_min_f64 v[97:98], v[97:98], v[128:129]
	s_waitcnt vmcnt(0)
	s_delay_alu instid0(VALU_DEP_1)
	v_add_f64 v[97:98], v[97:98], v[99:100]
	v_mov_b32_e32 v100, 0x1d8
	v_mov_b32_e32 v99, 0x1e0
	scratch_store_b64 v96, v[97:98], off
	v_mov_b32_e32 v98, 0x1e8
	v_mov_b32_e32 v97, 0x1f0
	;; [unrolled: 1-line block ×3, first 2 shown]
	s_cbranch_vccnz .LBB152_65
; %bb.66:                               ;   in Loop: Header=BB152_34 Depth=1
	s_add_i32 s23, s23, 8
	s_add_i32 s21, s21, 8
	s_cmp_ge_i32 s23, s22
	ds_store_2addr_stride64_b64 v91, v[76:77], v[74:75] offset1:4
	ds_store_2addr_stride64_b64 v92, v[80:81], v[78:79] offset1:4
	s_waitcnt lgkmcnt(0)
	s_waitcnt_vscnt null, 0x0
	s_barrier
	buffer_gl0_inv
	s_cbranch_scc0 .LBB152_34
.LBB152_67:
	v_dual_mov_b32 v71, 8 :: v_dual_add_nc_u32 v28, 0x1000, v86
	v_dual_mov_b32 v75, 40 :: v_dual_add_nc_u32 v60, 0x1800, v86
	;; [unrolled: 1-line block ×3, first 2 shown]
	ds_load_2addr_b64 v[0:3], v28 offset1:16
	ds_load_2addr_b64 v[4:7], v28 offset0:32 offset1:48
	ds_load_2addr_b64 v[8:11], v28 offset0:64 offset1:80
	;; [unrolled: 1-line block ×7, first 2 shown]
	ds_load_2addr_b64 v[32:35], v60 offset1:16
	ds_load_2addr_b64 v[36:39], v60 offset0:32 offset1:48
	ds_load_2addr_b64 v[40:43], v60 offset0:64 offset1:80
	;; [unrolled: 1-line block ×7, first 2 shown]
	ds_load_2addr_stride64_b64 v[64:67], v88 offset0:24 offset1:28
	v_dual_mov_b32 v70, 0 :: v_dual_add_nc_u32 v69, 0x3000, v88
	v_dual_mov_b32 v72, 16 :: v_dual_mov_b32 v77, 56
	v_dual_mov_b32 v74, 32 :: v_dual_mov_b32 v79, 0x48
	;; [unrolled: 1-line block ×4, first 2 shown]
	v_mov_b32_e32 v80, 0x50
	v_mov_b32_e32 v84, 0x60
	;; [unrolled: 1-line block ×20, first 2 shown]
	s_mov_b64 s[2:3], 0
	s_mov_b32 s4, -1
.LBB152_68:                             ; =>This Inner Loop Header: Depth=1
	scratch_load_b64 v[104:105], v70, off
	scratch_load_b64 v[106:107], v71, off
	;; [unrolled: 1-line block ×32, first 2 shown]
	s_cmp_eq_u32 s2, 1
	s_waitcnt lgkmcnt(16)
	v_max_f64 v[170:171], v[0:1], v[0:1]
	s_cselect_b32 vcc_lo, -1, 0
	v_max_f64 v[172:173], v[2:3], v[2:3]
	s_waitcnt lgkmcnt(0)
	v_dual_cndmask_b32 v169, v65, v67 :: v_dual_cndmask_b32 v168, v64, v66
	v_max_f64 v[174:175], v[4:5], v[4:5]
	v_max_f64 v[176:177], v[6:7], v[6:7]
	;; [unrolled: 1-line block ×31, first 2 shown]
	s_mov_b64 s[2:3], 1
	s_and_b32 vcc_lo, exec_lo, s4
	s_mov_b32 s4, 0
	v_min_f64 v[170:171], v[170:171], v[168:169]
	v_min_f64 v[172:173], v[172:173], v[168:169]
	;; [unrolled: 1-line block ×32, first 2 shown]
	s_waitcnt vmcnt(31)
	v_add_f64 v[104:105], v[104:105], v[170:171]
	s_waitcnt vmcnt(30)
	v_add_f64 v[106:107], v[172:173], v[106:107]
	;; [unrolled: 2-line block ×32, first 2 shown]
	scratch_store_b64 v70, v[104:105], off
	scratch_store_b64 v71, v[106:107], off
	;; [unrolled: 1-line block ×32, first 2 shown]
	v_mov_b32_e32 v70, 0x100
	v_mov_b32_e32 v71, 0x108
	;; [unrolled: 1-line block ×32, first 2 shown]
	s_cbranch_vccnz .LBB152_68
; %bb.69:
	v_dual_mov_b32 v71, 8 :: v_dual_add_nc_u32 v60, 0x800, v68
	ds_load_2addr_b64 v[0:3], v68 offset0:1 offset1:17
	ds_load_2addr_b64 v[4:7], v68 offset0:33 offset1:49
	;; [unrolled: 1-line block ×12, first 2 shown]
	v_dual_mov_b32 v73, 24 :: v_dual_add_nc_u32 v64, 8, v69
	ds_load_2addr_b64 v[48:51], v60 offset0:129 offset1:145
	ds_load_2addr_b64 v[52:55], v60 offset0:161 offset1:177
	;; [unrolled: 1-line block ×4, first 2 shown]
	ds_load_2addr_stride64_b64 v[64:67], v64 offset1:4
	v_dual_mov_b32 v70, 0 :: v_dual_mov_b32 v75, 40
	v_dual_mov_b32 v72, 16 :: v_dual_mov_b32 v77, 56
	;; [unrolled: 1-line block ×5, first 2 shown]
	v_mov_b32_e32 v80, 0x50
	v_mov_b32_e32 v84, 0x60
	;; [unrolled: 1-line block ×20, first 2 shown]
	s_mov_b64 s[2:3], 0
	s_mov_b32 s4, -1
.LBB152_70:                             ; =>This Inner Loop Header: Depth=1
	scratch_load_b64 v[104:105], v70, off
	scratch_load_b64 v[106:107], v71, off
	;; [unrolled: 1-line block ×32, first 2 shown]
	s_cmp_eq_u32 s2, 1
	s_waitcnt lgkmcnt(16)
	v_max_f64 v[170:171], v[0:1], v[0:1]
	s_cselect_b32 vcc_lo, -1, 0
	v_max_f64 v[172:173], v[2:3], v[2:3]
	s_waitcnt lgkmcnt(0)
	v_dual_cndmask_b32 v169, v65, v67 :: v_dual_cndmask_b32 v168, v64, v66
	v_max_f64 v[174:175], v[4:5], v[4:5]
	v_max_f64 v[176:177], v[6:7], v[6:7]
	;; [unrolled: 1-line block ×31, first 2 shown]
	s_mov_b64 s[2:3], 1
	s_and_b32 vcc_lo, exec_lo, s4
	s_mov_b32 s4, 0
	v_min_f64 v[170:171], v[170:171], v[168:169]
	v_min_f64 v[172:173], v[172:173], v[168:169]
	;; [unrolled: 1-line block ×32, first 2 shown]
	s_waitcnt vmcnt(31)
	v_add_f64 v[104:105], v[104:105], v[170:171]
	s_waitcnt vmcnt(30)
	v_add_f64 v[106:107], v[172:173], v[106:107]
	;; [unrolled: 2-line block ×32, first 2 shown]
	scratch_store_b64 v70, v[104:105], off
	scratch_store_b64 v71, v[106:107], off
	;; [unrolled: 1-line block ×32, first 2 shown]
	v_mov_b32_e32 v70, 0x100
	v_mov_b32_e32 v71, 0x108
	;; [unrolled: 1-line block ×32, first 2 shown]
	s_cbranch_vccnz .LBB152_70
; %bb.71:
	v_dual_mov_b32 v71, 8 :: v_dual_add_nc_u32 v60, 0x800, v68
	ds_load_2addr_b64 v[0:3], v68 offset0:2 offset1:18
	ds_load_2addr_b64 v[4:7], v68 offset0:34 offset1:50
	;; [unrolled: 1-line block ×12, first 2 shown]
	v_dual_mov_b32 v73, 24 :: v_dual_add_nc_u32 v64, 16, v69
	ds_load_2addr_b64 v[48:51], v60 offset0:130 offset1:146
	ds_load_2addr_b64 v[52:55], v60 offset0:162 offset1:178
	;; [unrolled: 1-line block ×4, first 2 shown]
	ds_load_2addr_stride64_b64 v[64:67], v64 offset1:4
	v_dual_mov_b32 v70, 0 :: v_dual_mov_b32 v75, 40
	v_dual_mov_b32 v72, 16 :: v_dual_mov_b32 v77, 56
	v_dual_mov_b32 v74, 32 :: v_dual_mov_b32 v79, 0x48
	v_dual_mov_b32 v76, 48 :: v_dual_mov_b32 v81, 0x58
	v_dual_mov_b32 v78, 64 :: v_dual_mov_b32 v85, 0x68
	v_mov_b32_e32 v80, 0x50
	v_mov_b32_e32 v84, 0x60
	;; [unrolled: 1-line block ×20, first 2 shown]
	s_mov_b64 s[2:3], 0
	s_mov_b32 s4, -1
.LBB152_72:                             ; =>This Inner Loop Header: Depth=1
	scratch_load_b64 v[104:105], v70, off
	scratch_load_b64 v[106:107], v71, off
	;; [unrolled: 1-line block ×32, first 2 shown]
	s_cmp_eq_u32 s2, 1
	s_waitcnt lgkmcnt(16)
	v_max_f64 v[170:171], v[0:1], v[0:1]
	s_cselect_b32 vcc_lo, -1, 0
	v_max_f64 v[172:173], v[2:3], v[2:3]
	s_waitcnt lgkmcnt(0)
	v_dual_cndmask_b32 v169, v65, v67 :: v_dual_cndmask_b32 v168, v64, v66
	v_max_f64 v[174:175], v[4:5], v[4:5]
	v_max_f64 v[176:177], v[6:7], v[6:7]
	;; [unrolled: 1-line block ×31, first 2 shown]
	s_mov_b64 s[2:3], 1
	s_and_b32 vcc_lo, exec_lo, s4
	s_mov_b32 s4, 0
	v_min_f64 v[170:171], v[170:171], v[168:169]
	v_min_f64 v[172:173], v[172:173], v[168:169]
	;; [unrolled: 1-line block ×32, first 2 shown]
	s_waitcnt vmcnt(31)
	v_add_f64 v[104:105], v[104:105], v[170:171]
	s_waitcnt vmcnt(30)
	v_add_f64 v[106:107], v[172:173], v[106:107]
	;; [unrolled: 2-line block ×32, first 2 shown]
	scratch_store_b64 v70, v[104:105], off
	scratch_store_b64 v71, v[106:107], off
	;; [unrolled: 1-line block ×32, first 2 shown]
	v_mov_b32_e32 v70, 0x100
	v_mov_b32_e32 v71, 0x108
	;; [unrolled: 1-line block ×32, first 2 shown]
	s_cbranch_vccnz .LBB152_72
; %bb.73:
	v_add_nc_u32_e32 v60, 0x800, v68
	ds_load_2addr_b64 v[0:3], v68 offset0:3 offset1:19
	ds_load_2addr_b64 v[4:7], v68 offset0:35 offset1:51
	;; [unrolled: 1-line block ×4, first 2 shown]
	v_dual_mov_b32 v71, 24 :: v_dual_add_nc_u32 v64, 24, v69
	v_mov_b32_e32 v69, 8
	ds_load_2addr_b64 v[16:19], v68 offset0:131 offset1:147
	ds_load_2addr_b64 v[20:23], v68 offset0:163 offset1:179
	;; [unrolled: 1-line block ×12, first 2 shown]
	ds_load_2addr_stride64_b64 v[64:67], v64 offset1:4
	v_dual_mov_b32 v68, 0 :: v_dual_mov_b32 v73, 40
	v_dual_mov_b32 v70, 16 :: v_dual_mov_b32 v75, 56
	;; [unrolled: 1-line block ×5, first 2 shown]
	v_mov_b32_e32 v78, 0x50
	v_mov_b32_e32 v80, 0x60
	;; [unrolled: 1-line block ×20, first 2 shown]
	s_mov_b64 s[2:3], 0
	s_mov_b32 s4, -1
.LBB152_74:                             ; =>This Inner Loop Header: Depth=1
	scratch_load_b64 v[102:103], v68, off
	scratch_load_b64 v[104:105], v69, off
	;; [unrolled: 1-line block ×32, first 2 shown]
	s_cmp_eq_u32 s2, 1
	s_waitcnt lgkmcnt(16)
	v_max_f64 v[168:169], v[0:1], v[0:1]
	s_cselect_b32 vcc_lo, -1, 0
	v_max_f64 v[170:171], v[2:3], v[2:3]
	s_waitcnt lgkmcnt(0)
	v_dual_cndmask_b32 v167, v65, v67 :: v_dual_cndmask_b32 v166, v64, v66
	v_max_f64 v[172:173], v[4:5], v[4:5]
	v_max_f64 v[174:175], v[6:7], v[6:7]
	;; [unrolled: 1-line block ×31, first 2 shown]
	s_mov_b64 s[2:3], 1
	s_and_b32 vcc_lo, exec_lo, s4
	s_mov_b32 s4, 0
	v_min_f64 v[168:169], v[168:169], v[166:167]
	v_min_f64 v[170:171], v[170:171], v[166:167]
	;; [unrolled: 1-line block ×32, first 2 shown]
	s_waitcnt vmcnt(31)
	v_add_f64 v[102:103], v[102:103], v[168:169]
	s_waitcnt vmcnt(30)
	v_add_f64 v[104:105], v[170:171], v[104:105]
	;; [unrolled: 2-line block ×32, first 2 shown]
	scratch_store_b64 v68, v[102:103], off
	scratch_store_b64 v69, v[104:105], off
	scratch_store_b64 v70, v[106:107], off
	scratch_store_b64 v71, v[108:109], off
	scratch_store_b64 v72, v[110:111], off
	scratch_store_b64 v73, v[112:113], off
	scratch_store_b64 v74, v[114:115], off
	scratch_store_b64 v75, v[116:117], off
	scratch_store_b64 v76, v[118:119], off
	scratch_store_b64 v77, v[120:121], off
	scratch_store_b64 v78, v[122:123], off
	scratch_store_b64 v79, v[124:125], off
	scratch_store_b64 v80, v[126:127], off
	scratch_store_b64 v81, v[128:129], off
	scratch_store_b64 v84, v[130:131], off
	scratch_store_b64 v85, v[132:133], off
	scratch_store_b64 v86, v[134:135], off
	scratch_store_b64 v87, v[136:137], off
	scratch_store_b64 v88, v[138:139], off
	scratch_store_b64 v89, v[140:141], off
	scratch_store_b64 v90, v[142:143], off
	scratch_store_b64 v91, v[144:145], off
	scratch_store_b64 v92, v[146:147], off
	scratch_store_b64 v93, v[148:149], off
	scratch_store_b64 v94, v[150:151], off
	scratch_store_b64 v95, v[152:153], off
	scratch_store_b64 v96, v[154:155], off
	scratch_store_b64 v97, v[156:157], off
	scratch_store_b64 v98, v[158:159], off
	scratch_store_b64 v99, v[160:161], off
	scratch_store_b64 v100, v[162:163], off
	scratch_store_b64 v101, v[164:165], off
	v_mov_b32_e32 v68, 0x100
	v_mov_b32_e32 v69, 0x108
	;; [unrolled: 1-line block ×32, first 2 shown]
	s_cbranch_vccnz .LBB152_74
; %bb.75:
	s_clause 0x2
	s_load_b32 s42, s[0:1], 0x58
	s_load_b32 s37, s[0:1], 0x70
	s_load_b64 s[2:3], s[0:1], 0x78
	v_add_nc_u32_e32 v71, s15, v83
	v_add_nc_u32_e32 v0, s14, v82
	v_cndmask_b32_e64 v70, 0, 1, s36
	s_delay_alu instid0(VALU_DEP_3) | instskip(NEXT) | instid1(VALU_DEP_3)
	v_cmp_gt_i32_e64 s11, s41, v71
	v_cmp_gt_i32_e64 s0, s40, v0
	s_waitcnt lgkmcnt(0)
	v_mad_i64_i32 v[1:2], null, v71, s42, 0
	v_mad_i64_i32 v[3:4], null, v71, s37, 0
	s_lshl_b64 s[2:3], s[2:3], 3
	s_delay_alu instid0(SALU_CYCLE_1) | instskip(SKIP_1) | instid1(VALU_DEP_2)
	s_add_u32 s43, s12, s2
	s_addc_u32 s44, s13, s3
	v_lshlrev_b64 v[5:6], 3, v[1:2]
	v_ashrrev_i32_e32 v1, 31, v0
	s_delay_alu instid0(VALU_DEP_3) | instskip(SKIP_1) | instid1(VALU_DEP_3)
	v_lshlrev_b64 v[2:3], 3, v[3:4]
	s_and_b32 s1, s11, s0
	v_add_co_u32 v68, vcc_lo, s34, v5
	s_delay_alu instid0(VALU_DEP_4) | instskip(NEXT) | instid1(VALU_DEP_3)
	v_add_co_ci_u32_e32 v69, vcc_lo, s35, v6, vcc_lo
	v_add_co_u32 v72, vcc_lo, s43, v2
	s_delay_alu instid0(VALU_DEP_4) | instskip(SKIP_1) | instid1(SALU_CYCLE_1)
	v_add_co_ci_u32_e32 v73, vcc_lo, s44, v3, vcc_lo
	s_and_saveexec_b32 s2, s1
	s_xor_b32 s1, exec_lo, s2
	s_cbranch_execz .LBB152_80
; %bb.76:
	scratch_load_b64 v[2:3], off, off
	v_lshlrev_b64 v[4:5], 3, v[0:1]
	s_and_not1_b32 vcc_lo, exec_lo, s36
	s_cbranch_vccnz .LBB152_78
; %bb.77:
	s_delay_alu instid0(VALU_DEP_1) | instskip(NEXT) | instid1(VALU_DEP_2)
	v_add_co_u32 v6, vcc_lo, v68, v4
	v_add_co_ci_u32_e32 v7, vcc_lo, v69, v5, vcc_lo
	flat_load_b64 v[6:7], v[6:7]
	s_waitcnt vmcnt(0) lgkmcnt(0)
	v_mul_f64 v[6:7], v[6:7], s[38:39]
	s_branch .LBB152_79
.LBB152_78:
	v_mov_b32_e32 v6, 0
	v_mov_b32_e32 v7, 0
.LBB152_79:
	s_waitcnt vmcnt(0)
	s_delay_alu instid0(VALU_DEP_1)
	v_add_f64 v[2:3], v[2:3], v[6:7]
	v_add_co_u32 v4, vcc_lo, v72, v4
	v_add_co_ci_u32_e32 v5, vcc_lo, v73, v5, vcc_lo
	global_store_b64 v[4:5], v[2:3], off
.LBB152_80:
	s_or_b32 exec_lo, exec_lo, s1
	v_add_nc_u32_e32 v2, 4, v0
	s_delay_alu instid0(VALU_DEP_1) | instskip(SKIP_1) | instid1(VALU_DEP_2)
	v_cmp_gt_i32_e64 s1, s40, v2
	v_ashrrev_i32_e32 v3, 31, v2
	s_and_b32 s3, s11, s1
	s_delay_alu instid0(SALU_CYCLE_1)
	s_and_saveexec_b32 s2, s3
	s_cbranch_execz .LBB152_85
; %bb.81:
	scratch_load_b64 v[4:5], off, off offset:8
	v_lshlrev_b64 v[6:7], 3, v[2:3]
	s_and_not1_b32 vcc_lo, exec_lo, s36
	s_cbranch_vccnz .LBB152_83
; %bb.82:
	s_delay_alu instid0(VALU_DEP_1) | instskip(NEXT) | instid1(VALU_DEP_2)
	v_add_co_u32 v8, vcc_lo, v68, v6
	v_add_co_ci_u32_e32 v9, vcc_lo, v69, v7, vcc_lo
	flat_load_b64 v[8:9], v[8:9]
	s_waitcnt vmcnt(0) lgkmcnt(0)
	v_mul_f64 v[8:9], v[8:9], s[38:39]
	s_branch .LBB152_84
.LBB152_83:
	v_mov_b32_e32 v8, 0
	v_mov_b32_e32 v9, 0
.LBB152_84:
	s_waitcnt vmcnt(0)
	s_delay_alu instid0(VALU_DEP_1)
	v_add_f64 v[4:5], v[4:5], v[8:9]
	v_add_co_u32 v6, vcc_lo, v72, v6
	v_add_co_ci_u32_e32 v7, vcc_lo, v73, v7, vcc_lo
	global_store_b64 v[6:7], v[4:5], off
.LBB152_85:
	s_or_b32 exec_lo, exec_lo, s2
	v_add_nc_u32_e32 v4, 8, v0
	s_delay_alu instid0(VALU_DEP_1) | instskip(SKIP_1) | instid1(VALU_DEP_2)
	v_cmp_gt_i32_e64 s2, s40, v4
	v_ashrrev_i32_e32 v5, 31, v4
	s_and_b32 s4, s11, s2
	s_delay_alu instid0(SALU_CYCLE_1)
	s_and_saveexec_b32 s3, s4
	s_cbranch_execz .LBB152_90
; %bb.86:
	scratch_load_b64 v[6:7], off, off offset:16
	v_lshlrev_b64 v[8:9], 3, v[4:5]
	s_and_not1_b32 vcc_lo, exec_lo, s36
	s_cbranch_vccnz .LBB152_88
; %bb.87:
	s_delay_alu instid0(VALU_DEP_1) | instskip(NEXT) | instid1(VALU_DEP_2)
	v_add_co_u32 v10, vcc_lo, v68, v8
	v_add_co_ci_u32_e32 v11, vcc_lo, v69, v9, vcc_lo
	flat_load_b64 v[10:11], v[10:11]
	s_waitcnt vmcnt(0) lgkmcnt(0)
	v_mul_f64 v[10:11], v[10:11], s[38:39]
	s_branch .LBB152_89
.LBB152_88:
	v_mov_b32_e32 v10, 0
	v_mov_b32_e32 v11, 0
.LBB152_89:
	s_waitcnt vmcnt(0)
	s_delay_alu instid0(VALU_DEP_1)
	v_add_f64 v[6:7], v[6:7], v[10:11]
	v_add_co_u32 v8, vcc_lo, v72, v8
	v_add_co_ci_u32_e32 v9, vcc_lo, v73, v9, vcc_lo
	global_store_b64 v[8:9], v[6:7], off
.LBB152_90:
	;; [unrolled: 33-line block ×31, first 2 shown]
	s_or_b32 exec_lo, exec_lo, s11
	v_add_nc_u32_e32 v68, 64, v71
	s_delay_alu instid0(VALU_DEP_1) | instskip(SKIP_2) | instid1(VALU_DEP_3)
	v_mad_i64_i32 v[64:65], null, v68, s42, 0
	v_mad_i64_i32 v[66:67], null, v68, s37, 0
	v_cmp_gt_i32_e64 s11, s41, v68
	v_lshlrev_b64 v[64:65], 3, v[64:65]
	s_delay_alu instid0(VALU_DEP_2) | instskip(NEXT) | instid1(VALU_DEP_3)
	s_and_b32 s0, s11, s0
	v_lshlrev_b64 v[66:67], 3, v[66:67]
	s_delay_alu instid0(VALU_DEP_2) | instskip(NEXT) | instid1(VALU_DEP_3)
	v_add_co_u32 v71, vcc_lo, s34, v64
	v_add_co_ci_u32_e32 v72, vcc_lo, s35, v65, vcc_lo
	s_delay_alu instid0(VALU_DEP_3) | instskip(NEXT) | instid1(VALU_DEP_4)
	v_add_co_u32 v68, vcc_lo, s43, v66
	v_add_co_ci_u32_e32 v69, vcc_lo, s44, v67, vcc_lo
	s_and_saveexec_b32 s34, s0
	s_delay_alu instid0(SALU_CYCLE_1)
	s_xor_b32 s0, exec_lo, s34
	s_cbranch_execnz .LBB152_268
; %bb.236:
	s_or_b32 exec_lo, exec_lo, s0
	s_and_b32 s1, s11, s1
	s_delay_alu instid0(SALU_CYCLE_1)
	s_and_saveexec_b32 s0, s1
	s_cbranch_execnz .LBB152_272
.LBB152_237:
	s_or_b32 exec_lo, exec_lo, s0
	s_and_b32 s1, s11, s2
	s_delay_alu instid0(SALU_CYCLE_1)
	s_and_saveexec_b32 s0, s1
	s_cbranch_execnz .LBB152_276
.LBB152_238:
	s_or_b32 exec_lo, exec_lo, s0
	s_and_b32 s1, s11, s3
	s_delay_alu instid0(SALU_CYCLE_1)
	s_and_saveexec_b32 s0, s1
	s_cbranch_execnz .LBB152_280
.LBB152_239:
	s_or_b32 exec_lo, exec_lo, s0
	s_and_b32 s1, s11, s4
	s_delay_alu instid0(SALU_CYCLE_1)
	s_and_saveexec_b32 s0, s1
	s_cbranch_execnz .LBB152_284
.LBB152_240:
	s_or_b32 exec_lo, exec_lo, s0
	s_and_b32 s1, s11, s5
	s_delay_alu instid0(SALU_CYCLE_1)
	s_and_saveexec_b32 s0, s1
	s_cbranch_execnz .LBB152_288
.LBB152_241:
	s_or_b32 exec_lo, exec_lo, s0
	s_and_b32 s1, s11, s6
	s_delay_alu instid0(SALU_CYCLE_1)
	s_and_saveexec_b32 s0, s1
	s_cbranch_execnz .LBB152_292
.LBB152_242:
	s_or_b32 exec_lo, exec_lo, s0
	s_and_b32 s1, s11, s7
	s_delay_alu instid0(SALU_CYCLE_1)
	s_and_saveexec_b32 s0, s1
	s_cbranch_execnz .LBB152_296
.LBB152_243:
	s_or_b32 exec_lo, exec_lo, s0
	s_and_b32 s1, s11, s8
	s_delay_alu instid0(SALU_CYCLE_1)
	s_and_saveexec_b32 s0, s1
	s_cbranch_execnz .LBB152_300
.LBB152_244:
	s_or_b32 exec_lo, exec_lo, s0
	s_and_b32 s1, s11, s9
	s_delay_alu instid0(SALU_CYCLE_1)
	s_and_saveexec_b32 s0, s1
	s_cbranch_execnz .LBB152_304
.LBB152_245:
	s_or_b32 exec_lo, exec_lo, s0
	s_and_b32 s1, s11, s10
	s_delay_alu instid0(SALU_CYCLE_1)
	s_and_saveexec_b32 s0, s1
	s_cbranch_execnz .LBB152_308
.LBB152_246:
	s_or_b32 exec_lo, exec_lo, s0
	s_and_b32 s1, s11, s12
	s_delay_alu instid0(SALU_CYCLE_1)
	s_and_saveexec_b32 s0, s1
	s_cbranch_execnz .LBB152_312
.LBB152_247:
	s_or_b32 exec_lo, exec_lo, s0
	s_and_b32 s1, s11, s13
	s_delay_alu instid0(SALU_CYCLE_1)
	s_and_saveexec_b32 s0, s1
	s_cbranch_execnz .LBB152_316
.LBB152_248:
	s_or_b32 exec_lo, exec_lo, s0
	s_and_b32 s1, s11, s14
	s_delay_alu instid0(SALU_CYCLE_1)
	s_and_saveexec_b32 s0, s1
	s_cbranch_execnz .LBB152_320
.LBB152_249:
	s_or_b32 exec_lo, exec_lo, s0
	s_and_b32 s1, s11, s15
	s_delay_alu instid0(SALU_CYCLE_1)
	s_and_saveexec_b32 s0, s1
	s_cbranch_execnz .LBB152_324
.LBB152_250:
	s_or_b32 exec_lo, exec_lo, s0
	s_and_b32 s1, s11, s16
	s_delay_alu instid0(SALU_CYCLE_1)
	s_and_saveexec_b32 s0, s1
	s_cbranch_execnz .LBB152_328
.LBB152_251:
	s_or_b32 exec_lo, exec_lo, s0
	s_and_b32 s1, s11, s17
	s_delay_alu instid0(SALU_CYCLE_1)
	s_and_saveexec_b32 s0, s1
	s_cbranch_execnz .LBB152_332
.LBB152_252:
	s_or_b32 exec_lo, exec_lo, s0
	s_and_b32 s1, s11, s18
	s_delay_alu instid0(SALU_CYCLE_1)
	s_and_saveexec_b32 s0, s1
	s_cbranch_execnz .LBB152_336
.LBB152_253:
	s_or_b32 exec_lo, exec_lo, s0
	s_and_b32 s1, s11, s19
	s_delay_alu instid0(SALU_CYCLE_1)
	s_and_saveexec_b32 s0, s1
	s_cbranch_execnz .LBB152_340
.LBB152_254:
	s_or_b32 exec_lo, exec_lo, s0
	s_and_b32 s1, s11, s20
	s_delay_alu instid0(SALU_CYCLE_1)
	s_and_saveexec_b32 s0, s1
	s_cbranch_execnz .LBB152_344
.LBB152_255:
	s_or_b32 exec_lo, exec_lo, s0
	s_and_b32 s1, s11, s21
	s_delay_alu instid0(SALU_CYCLE_1)
	s_and_saveexec_b32 s0, s1
	s_cbranch_execnz .LBB152_348
.LBB152_256:
	s_or_b32 exec_lo, exec_lo, s0
	s_and_b32 s1, s11, s22
	s_delay_alu instid0(SALU_CYCLE_1)
	s_and_saveexec_b32 s0, s1
	s_cbranch_execnz .LBB152_352
.LBB152_257:
	s_or_b32 exec_lo, exec_lo, s0
	s_and_b32 s1, s11, s23
	s_delay_alu instid0(SALU_CYCLE_1)
	s_and_saveexec_b32 s0, s1
	s_cbranch_execnz .LBB152_356
.LBB152_258:
	s_or_b32 exec_lo, exec_lo, s0
	s_and_b32 s1, s11, s24
	s_delay_alu instid0(SALU_CYCLE_1)
	s_and_saveexec_b32 s0, s1
	s_cbranch_execnz .LBB152_360
.LBB152_259:
	s_or_b32 exec_lo, exec_lo, s0
	s_and_b32 s1, s11, s25
	s_delay_alu instid0(SALU_CYCLE_1)
	s_and_saveexec_b32 s0, s1
	s_cbranch_execnz .LBB152_364
.LBB152_260:
	s_or_b32 exec_lo, exec_lo, s0
	s_and_b32 s1, s11, s26
	s_delay_alu instid0(SALU_CYCLE_1)
	s_and_saveexec_b32 s0, s1
	s_cbranch_execnz .LBB152_368
.LBB152_261:
	s_or_b32 exec_lo, exec_lo, s0
	s_and_b32 s1, s11, s27
	s_delay_alu instid0(SALU_CYCLE_1)
	s_and_saveexec_b32 s0, s1
	s_cbranch_execnz .LBB152_372
.LBB152_262:
	s_or_b32 exec_lo, exec_lo, s0
	s_and_b32 s1, s11, s28
	s_delay_alu instid0(SALU_CYCLE_1)
	s_and_saveexec_b32 s0, s1
	s_cbranch_execnz .LBB152_376
.LBB152_263:
	s_or_b32 exec_lo, exec_lo, s0
	s_and_b32 s1, s11, s29
	s_delay_alu instid0(SALU_CYCLE_1)
	s_and_saveexec_b32 s0, s1
	s_cbranch_execnz .LBB152_380
.LBB152_264:
	s_or_b32 exec_lo, exec_lo, s0
	s_and_b32 s1, s11, s30
	s_delay_alu instid0(SALU_CYCLE_1)
	s_and_saveexec_b32 s0, s1
	s_cbranch_execnz .LBB152_384
.LBB152_265:
	s_or_b32 exec_lo, exec_lo, s0
	s_and_b32 s1, s11, s31
	s_delay_alu instid0(SALU_CYCLE_1)
	s_and_saveexec_b32 s0, s1
	s_cbranch_execnz .LBB152_388
.LBB152_266:
	s_or_b32 exec_lo, exec_lo, s0
	s_and_b32 s0, s11, s33
	s_delay_alu instid0(SALU_CYCLE_1)
	s_and_saveexec_b32 s1, s0
	s_cbranch_execnz .LBB152_392
.LBB152_267:
	s_endpgm
.LBB152_268:
	scratch_load_b64 v[64:65], off, off offset:256
	v_lshlrev_b64 v[0:1], 3, v[0:1]
	s_and_not1_b32 vcc_lo, exec_lo, s36
	s_cbranch_vccnz .LBB152_270
; %bb.269:
	s_delay_alu instid0(VALU_DEP_1) | instskip(NEXT) | instid1(VALU_DEP_2)
	v_add_co_u32 v66, vcc_lo, v71, v0
	v_add_co_ci_u32_e32 v67, vcc_lo, v72, v1, vcc_lo
	flat_load_b64 v[66:67], v[66:67]
	s_waitcnt vmcnt(0) lgkmcnt(0)
	v_mul_f64 v[66:67], v[66:67], s[38:39]
	s_branch .LBB152_271
.LBB152_270:
	v_mov_b32_e32 v66, 0
	v_mov_b32_e32 v67, 0
.LBB152_271:
	s_waitcnt vmcnt(0)
	s_delay_alu instid0(VALU_DEP_1)
	v_add_f64 v[64:65], v[64:65], v[66:67]
	v_add_co_u32 v0, vcc_lo, v68, v0
	v_add_co_ci_u32_e32 v1, vcc_lo, v69, v1, vcc_lo
	global_store_b64 v[0:1], v[64:65], off
	s_or_b32 exec_lo, exec_lo, s0
	s_and_b32 s1, s11, s1
	s_delay_alu instid0(SALU_CYCLE_1)
	s_and_saveexec_b32 s0, s1
	s_cbranch_execz .LBB152_237
.LBB152_272:
	scratch_load_b64 v[0:1], off, off offset:264
	v_cmp_ne_u32_e32 vcc_lo, 1, v70
	v_lshlrev_b64 v[2:3], 3, v[2:3]
	s_cbranch_vccnz .LBB152_274
; %bb.273:
	s_delay_alu instid0(VALU_DEP_1) | instskip(NEXT) | instid1(VALU_DEP_2)
	v_add_co_u32 v64, vcc_lo, v71, v2
	v_add_co_ci_u32_e32 v65, vcc_lo, v72, v3, vcc_lo
	flat_load_b64 v[64:65], v[64:65]
	s_waitcnt vmcnt(0) lgkmcnt(0)
	v_mul_f64 v[64:65], v[64:65], s[38:39]
	s_branch .LBB152_275
.LBB152_274:
	v_mov_b32_e32 v64, 0
	v_mov_b32_e32 v65, 0
.LBB152_275:
	s_waitcnt vmcnt(0)
	s_delay_alu instid0(VALU_DEP_1)
	v_add_f64 v[0:1], v[0:1], v[64:65]
	v_add_co_u32 v2, vcc_lo, v68, v2
	v_add_co_ci_u32_e32 v3, vcc_lo, v69, v3, vcc_lo
	global_store_b64 v[2:3], v[0:1], off
	s_or_b32 exec_lo, exec_lo, s0
	s_and_b32 s1, s11, s2
	s_delay_alu instid0(SALU_CYCLE_1)
	s_and_saveexec_b32 s0, s1
	s_cbranch_execz .LBB152_238
.LBB152_276:
	scratch_load_b64 v[0:1], off, off offset:272
	v_cmp_ne_u32_e32 vcc_lo, 1, v70
	v_lshlrev_b64 v[2:3], 3, v[4:5]
	s_cbranch_vccnz .LBB152_278
; %bb.277:
	s_delay_alu instid0(VALU_DEP_1) | instskip(NEXT) | instid1(VALU_DEP_2)
	v_add_co_u32 v4, vcc_lo, v71, v2
	v_add_co_ci_u32_e32 v5, vcc_lo, v72, v3, vcc_lo
	flat_load_b64 v[4:5], v[4:5]
	s_waitcnt vmcnt(0) lgkmcnt(0)
	v_mul_f64 v[4:5], v[4:5], s[38:39]
	s_branch .LBB152_279
.LBB152_278:
	v_mov_b32_e32 v4, 0
	v_mov_b32_e32 v5, 0
.LBB152_279:
	s_waitcnt vmcnt(0)
	s_delay_alu instid0(VALU_DEP_1)
	v_add_f64 v[0:1], v[0:1], v[4:5]
	v_add_co_u32 v2, vcc_lo, v68, v2
	v_add_co_ci_u32_e32 v3, vcc_lo, v69, v3, vcc_lo
	global_store_b64 v[2:3], v[0:1], off
	s_or_b32 exec_lo, exec_lo, s0
	s_and_b32 s1, s11, s3
	s_delay_alu instid0(SALU_CYCLE_1)
	s_and_saveexec_b32 s0, s1
	s_cbranch_execz .LBB152_239
.LBB152_280:
	scratch_load_b64 v[0:1], off, off offset:280
	v_cmp_ne_u32_e32 vcc_lo, 1, v70
	v_lshlrev_b64 v[2:3], 3, v[6:7]
	s_cbranch_vccnz .LBB152_282
; %bb.281:
	s_delay_alu instid0(VALU_DEP_1) | instskip(NEXT) | instid1(VALU_DEP_2)
	v_add_co_u32 v4, vcc_lo, v71, v2
	v_add_co_ci_u32_e32 v5, vcc_lo, v72, v3, vcc_lo
	flat_load_b64 v[4:5], v[4:5]
	s_waitcnt vmcnt(0) lgkmcnt(0)
	v_mul_f64 v[4:5], v[4:5], s[38:39]
	s_branch .LBB152_283
.LBB152_282:
	v_mov_b32_e32 v4, 0
	v_mov_b32_e32 v5, 0
.LBB152_283:
	s_waitcnt vmcnt(0)
	s_delay_alu instid0(VALU_DEP_1)
	v_add_f64 v[0:1], v[0:1], v[4:5]
	v_add_co_u32 v2, vcc_lo, v68, v2
	v_add_co_ci_u32_e32 v3, vcc_lo, v69, v3, vcc_lo
	global_store_b64 v[2:3], v[0:1], off
	s_or_b32 exec_lo, exec_lo, s0
	s_and_b32 s1, s11, s4
	s_delay_alu instid0(SALU_CYCLE_1)
	s_and_saveexec_b32 s0, s1
	s_cbranch_execz .LBB152_240
.LBB152_284:
	scratch_load_b64 v[0:1], off, off offset:288
	v_cmp_ne_u32_e32 vcc_lo, 1, v70
	v_lshlrev_b64 v[2:3], 3, v[8:9]
	s_cbranch_vccnz .LBB152_286
; %bb.285:
	s_delay_alu instid0(VALU_DEP_1) | instskip(NEXT) | instid1(VALU_DEP_2)
	v_add_co_u32 v4, vcc_lo, v71, v2
	v_add_co_ci_u32_e32 v5, vcc_lo, v72, v3, vcc_lo
	flat_load_b64 v[4:5], v[4:5]
	s_waitcnt vmcnt(0) lgkmcnt(0)
	v_mul_f64 v[4:5], v[4:5], s[38:39]
	s_branch .LBB152_287
.LBB152_286:
	v_mov_b32_e32 v4, 0
	v_mov_b32_e32 v5, 0
.LBB152_287:
	s_waitcnt vmcnt(0)
	s_delay_alu instid0(VALU_DEP_1)
	v_add_f64 v[0:1], v[0:1], v[4:5]
	v_add_co_u32 v2, vcc_lo, v68, v2
	v_add_co_ci_u32_e32 v3, vcc_lo, v69, v3, vcc_lo
	global_store_b64 v[2:3], v[0:1], off
	s_or_b32 exec_lo, exec_lo, s0
	s_and_b32 s1, s11, s5
	s_delay_alu instid0(SALU_CYCLE_1)
	s_and_saveexec_b32 s0, s1
	s_cbranch_execz .LBB152_241
.LBB152_288:
	scratch_load_b64 v[0:1], off, off offset:296
	v_cmp_ne_u32_e32 vcc_lo, 1, v70
	v_lshlrev_b64 v[2:3], 3, v[10:11]
	s_cbranch_vccnz .LBB152_290
; %bb.289:
	s_delay_alu instid0(VALU_DEP_1) | instskip(NEXT) | instid1(VALU_DEP_2)
	v_add_co_u32 v4, vcc_lo, v71, v2
	v_add_co_ci_u32_e32 v5, vcc_lo, v72, v3, vcc_lo
	flat_load_b64 v[4:5], v[4:5]
	s_waitcnt vmcnt(0) lgkmcnt(0)
	v_mul_f64 v[4:5], v[4:5], s[38:39]
	s_branch .LBB152_291
.LBB152_290:
	v_mov_b32_e32 v4, 0
	v_mov_b32_e32 v5, 0
.LBB152_291:
	s_waitcnt vmcnt(0)
	s_delay_alu instid0(VALU_DEP_1)
	v_add_f64 v[0:1], v[0:1], v[4:5]
	v_add_co_u32 v2, vcc_lo, v68, v2
	v_add_co_ci_u32_e32 v3, vcc_lo, v69, v3, vcc_lo
	global_store_b64 v[2:3], v[0:1], off
	s_or_b32 exec_lo, exec_lo, s0
	s_and_b32 s1, s11, s6
	s_delay_alu instid0(SALU_CYCLE_1)
	s_and_saveexec_b32 s0, s1
	s_cbranch_execz .LBB152_242
.LBB152_292:
	scratch_load_b64 v[0:1], off, off offset:304
	v_cmp_ne_u32_e32 vcc_lo, 1, v70
	v_lshlrev_b64 v[2:3], 3, v[12:13]
	s_cbranch_vccnz .LBB152_294
; %bb.293:
	s_delay_alu instid0(VALU_DEP_1) | instskip(NEXT) | instid1(VALU_DEP_2)
	v_add_co_u32 v4, vcc_lo, v71, v2
	v_add_co_ci_u32_e32 v5, vcc_lo, v72, v3, vcc_lo
	flat_load_b64 v[4:5], v[4:5]
	s_waitcnt vmcnt(0) lgkmcnt(0)
	v_mul_f64 v[4:5], v[4:5], s[38:39]
	s_branch .LBB152_295
.LBB152_294:
	v_mov_b32_e32 v4, 0
	v_mov_b32_e32 v5, 0
.LBB152_295:
	s_waitcnt vmcnt(0)
	s_delay_alu instid0(VALU_DEP_1)
	v_add_f64 v[0:1], v[0:1], v[4:5]
	v_add_co_u32 v2, vcc_lo, v68, v2
	v_add_co_ci_u32_e32 v3, vcc_lo, v69, v3, vcc_lo
	global_store_b64 v[2:3], v[0:1], off
	s_or_b32 exec_lo, exec_lo, s0
	s_and_b32 s1, s11, s7
	s_delay_alu instid0(SALU_CYCLE_1)
	s_and_saveexec_b32 s0, s1
	s_cbranch_execz .LBB152_243
.LBB152_296:
	scratch_load_b64 v[0:1], off, off offset:312
	v_cmp_ne_u32_e32 vcc_lo, 1, v70
	v_lshlrev_b64 v[2:3], 3, v[14:15]
	s_cbranch_vccnz .LBB152_298
; %bb.297:
	s_delay_alu instid0(VALU_DEP_1) | instskip(NEXT) | instid1(VALU_DEP_2)
	v_add_co_u32 v4, vcc_lo, v71, v2
	v_add_co_ci_u32_e32 v5, vcc_lo, v72, v3, vcc_lo
	flat_load_b64 v[4:5], v[4:5]
	s_waitcnt vmcnt(0) lgkmcnt(0)
	v_mul_f64 v[4:5], v[4:5], s[38:39]
	s_branch .LBB152_299
.LBB152_298:
	v_mov_b32_e32 v4, 0
	v_mov_b32_e32 v5, 0
.LBB152_299:
	s_waitcnt vmcnt(0)
	s_delay_alu instid0(VALU_DEP_1)
	v_add_f64 v[0:1], v[0:1], v[4:5]
	v_add_co_u32 v2, vcc_lo, v68, v2
	v_add_co_ci_u32_e32 v3, vcc_lo, v69, v3, vcc_lo
	global_store_b64 v[2:3], v[0:1], off
	s_or_b32 exec_lo, exec_lo, s0
	s_and_b32 s1, s11, s8
	s_delay_alu instid0(SALU_CYCLE_1)
	s_and_saveexec_b32 s0, s1
	s_cbranch_execz .LBB152_244
.LBB152_300:
	scratch_load_b64 v[0:1], off, off offset:320
	v_cmp_ne_u32_e32 vcc_lo, 1, v70
	v_lshlrev_b64 v[2:3], 3, v[16:17]
	s_cbranch_vccnz .LBB152_302
; %bb.301:
	s_delay_alu instid0(VALU_DEP_1) | instskip(NEXT) | instid1(VALU_DEP_2)
	v_add_co_u32 v4, vcc_lo, v71, v2
	v_add_co_ci_u32_e32 v5, vcc_lo, v72, v3, vcc_lo
	flat_load_b64 v[4:5], v[4:5]
	s_waitcnt vmcnt(0) lgkmcnt(0)
	v_mul_f64 v[4:5], v[4:5], s[38:39]
	s_branch .LBB152_303
.LBB152_302:
	v_mov_b32_e32 v4, 0
	v_mov_b32_e32 v5, 0
.LBB152_303:
	s_waitcnt vmcnt(0)
	s_delay_alu instid0(VALU_DEP_1)
	v_add_f64 v[0:1], v[0:1], v[4:5]
	v_add_co_u32 v2, vcc_lo, v68, v2
	v_add_co_ci_u32_e32 v3, vcc_lo, v69, v3, vcc_lo
	global_store_b64 v[2:3], v[0:1], off
	s_or_b32 exec_lo, exec_lo, s0
	s_and_b32 s1, s11, s9
	s_delay_alu instid0(SALU_CYCLE_1)
	s_and_saveexec_b32 s0, s1
	s_cbranch_execz .LBB152_245
.LBB152_304:
	scratch_load_b64 v[0:1], off, off offset:328
	v_cmp_ne_u32_e32 vcc_lo, 1, v70
	v_lshlrev_b64 v[2:3], 3, v[18:19]
	s_cbranch_vccnz .LBB152_306
; %bb.305:
	s_delay_alu instid0(VALU_DEP_1) | instskip(NEXT) | instid1(VALU_DEP_2)
	v_add_co_u32 v4, vcc_lo, v71, v2
	v_add_co_ci_u32_e32 v5, vcc_lo, v72, v3, vcc_lo
	flat_load_b64 v[4:5], v[4:5]
	s_waitcnt vmcnt(0) lgkmcnt(0)
	v_mul_f64 v[4:5], v[4:5], s[38:39]
	s_branch .LBB152_307
.LBB152_306:
	v_mov_b32_e32 v4, 0
	v_mov_b32_e32 v5, 0
.LBB152_307:
	s_waitcnt vmcnt(0)
	s_delay_alu instid0(VALU_DEP_1)
	v_add_f64 v[0:1], v[0:1], v[4:5]
	v_add_co_u32 v2, vcc_lo, v68, v2
	v_add_co_ci_u32_e32 v3, vcc_lo, v69, v3, vcc_lo
	global_store_b64 v[2:3], v[0:1], off
	s_or_b32 exec_lo, exec_lo, s0
	s_and_b32 s1, s11, s10
	s_delay_alu instid0(SALU_CYCLE_1)
	s_and_saveexec_b32 s0, s1
	s_cbranch_execz .LBB152_246
.LBB152_308:
	scratch_load_b64 v[0:1], off, off offset:336
	v_cmp_ne_u32_e32 vcc_lo, 1, v70
	v_lshlrev_b64 v[2:3], 3, v[20:21]
	s_cbranch_vccnz .LBB152_310
; %bb.309:
	s_delay_alu instid0(VALU_DEP_1) | instskip(NEXT) | instid1(VALU_DEP_2)
	v_add_co_u32 v4, vcc_lo, v71, v2
	v_add_co_ci_u32_e32 v5, vcc_lo, v72, v3, vcc_lo
	flat_load_b64 v[4:5], v[4:5]
	s_waitcnt vmcnt(0) lgkmcnt(0)
	v_mul_f64 v[4:5], v[4:5], s[38:39]
	s_branch .LBB152_311
.LBB152_310:
	v_mov_b32_e32 v4, 0
	v_mov_b32_e32 v5, 0
.LBB152_311:
	s_waitcnt vmcnt(0)
	s_delay_alu instid0(VALU_DEP_1)
	v_add_f64 v[0:1], v[0:1], v[4:5]
	v_add_co_u32 v2, vcc_lo, v68, v2
	v_add_co_ci_u32_e32 v3, vcc_lo, v69, v3, vcc_lo
	global_store_b64 v[2:3], v[0:1], off
	s_or_b32 exec_lo, exec_lo, s0
	s_and_b32 s1, s11, s12
	s_delay_alu instid0(SALU_CYCLE_1)
	s_and_saveexec_b32 s0, s1
	s_cbranch_execz .LBB152_247
.LBB152_312:
	scratch_load_b64 v[0:1], off, off offset:344
	v_cmp_ne_u32_e32 vcc_lo, 1, v70
	v_lshlrev_b64 v[2:3], 3, v[22:23]
	s_cbranch_vccnz .LBB152_314
; %bb.313:
	s_delay_alu instid0(VALU_DEP_1) | instskip(NEXT) | instid1(VALU_DEP_2)
	v_add_co_u32 v4, vcc_lo, v71, v2
	v_add_co_ci_u32_e32 v5, vcc_lo, v72, v3, vcc_lo
	flat_load_b64 v[4:5], v[4:5]
	s_waitcnt vmcnt(0) lgkmcnt(0)
	v_mul_f64 v[4:5], v[4:5], s[38:39]
	s_branch .LBB152_315
.LBB152_314:
	v_mov_b32_e32 v4, 0
	v_mov_b32_e32 v5, 0
.LBB152_315:
	s_waitcnt vmcnt(0)
	s_delay_alu instid0(VALU_DEP_1)
	v_add_f64 v[0:1], v[0:1], v[4:5]
	v_add_co_u32 v2, vcc_lo, v68, v2
	v_add_co_ci_u32_e32 v3, vcc_lo, v69, v3, vcc_lo
	global_store_b64 v[2:3], v[0:1], off
	s_or_b32 exec_lo, exec_lo, s0
	s_and_b32 s1, s11, s13
	s_delay_alu instid0(SALU_CYCLE_1)
	s_and_saveexec_b32 s0, s1
	s_cbranch_execz .LBB152_248
.LBB152_316:
	scratch_load_b64 v[0:1], off, off offset:352
	v_cmp_ne_u32_e32 vcc_lo, 1, v70
	v_lshlrev_b64 v[2:3], 3, v[24:25]
	s_cbranch_vccnz .LBB152_318
; %bb.317:
	s_delay_alu instid0(VALU_DEP_1) | instskip(NEXT) | instid1(VALU_DEP_2)
	v_add_co_u32 v4, vcc_lo, v71, v2
	v_add_co_ci_u32_e32 v5, vcc_lo, v72, v3, vcc_lo
	flat_load_b64 v[4:5], v[4:5]
	s_waitcnt vmcnt(0) lgkmcnt(0)
	v_mul_f64 v[4:5], v[4:5], s[38:39]
	s_branch .LBB152_319
.LBB152_318:
	v_mov_b32_e32 v4, 0
	v_mov_b32_e32 v5, 0
.LBB152_319:
	s_waitcnt vmcnt(0)
	s_delay_alu instid0(VALU_DEP_1)
	v_add_f64 v[0:1], v[0:1], v[4:5]
	v_add_co_u32 v2, vcc_lo, v68, v2
	v_add_co_ci_u32_e32 v3, vcc_lo, v69, v3, vcc_lo
	global_store_b64 v[2:3], v[0:1], off
	s_or_b32 exec_lo, exec_lo, s0
	s_and_b32 s1, s11, s14
	s_delay_alu instid0(SALU_CYCLE_1)
	s_and_saveexec_b32 s0, s1
	s_cbranch_execz .LBB152_249
.LBB152_320:
	scratch_load_b64 v[0:1], off, off offset:360
	v_cmp_ne_u32_e32 vcc_lo, 1, v70
	v_lshlrev_b64 v[2:3], 3, v[26:27]
	s_cbranch_vccnz .LBB152_322
; %bb.321:
	s_delay_alu instid0(VALU_DEP_1) | instskip(NEXT) | instid1(VALU_DEP_2)
	v_add_co_u32 v4, vcc_lo, v71, v2
	v_add_co_ci_u32_e32 v5, vcc_lo, v72, v3, vcc_lo
	flat_load_b64 v[4:5], v[4:5]
	s_waitcnt vmcnt(0) lgkmcnt(0)
	v_mul_f64 v[4:5], v[4:5], s[38:39]
	s_branch .LBB152_323
.LBB152_322:
	v_mov_b32_e32 v4, 0
	v_mov_b32_e32 v5, 0
.LBB152_323:
	s_waitcnt vmcnt(0)
	s_delay_alu instid0(VALU_DEP_1)
	v_add_f64 v[0:1], v[0:1], v[4:5]
	v_add_co_u32 v2, vcc_lo, v68, v2
	v_add_co_ci_u32_e32 v3, vcc_lo, v69, v3, vcc_lo
	global_store_b64 v[2:3], v[0:1], off
	s_or_b32 exec_lo, exec_lo, s0
	s_and_b32 s1, s11, s15
	s_delay_alu instid0(SALU_CYCLE_1)
	s_and_saveexec_b32 s0, s1
	s_cbranch_execz .LBB152_250
.LBB152_324:
	scratch_load_b64 v[0:1], off, off offset:368
	v_cmp_ne_u32_e32 vcc_lo, 1, v70
	v_lshlrev_b64 v[2:3], 3, v[28:29]
	s_cbranch_vccnz .LBB152_326
; %bb.325:
	s_delay_alu instid0(VALU_DEP_1) | instskip(NEXT) | instid1(VALU_DEP_2)
	v_add_co_u32 v4, vcc_lo, v71, v2
	v_add_co_ci_u32_e32 v5, vcc_lo, v72, v3, vcc_lo
	flat_load_b64 v[4:5], v[4:5]
	s_waitcnt vmcnt(0) lgkmcnt(0)
	v_mul_f64 v[4:5], v[4:5], s[38:39]
	s_branch .LBB152_327
.LBB152_326:
	v_mov_b32_e32 v4, 0
	v_mov_b32_e32 v5, 0
.LBB152_327:
	s_waitcnt vmcnt(0)
	s_delay_alu instid0(VALU_DEP_1)
	v_add_f64 v[0:1], v[0:1], v[4:5]
	v_add_co_u32 v2, vcc_lo, v68, v2
	v_add_co_ci_u32_e32 v3, vcc_lo, v69, v3, vcc_lo
	global_store_b64 v[2:3], v[0:1], off
	s_or_b32 exec_lo, exec_lo, s0
	s_and_b32 s1, s11, s16
	s_delay_alu instid0(SALU_CYCLE_1)
	s_and_saveexec_b32 s0, s1
	s_cbranch_execz .LBB152_251
.LBB152_328:
	scratch_load_b64 v[0:1], off, off offset:376
	v_cmp_ne_u32_e32 vcc_lo, 1, v70
	v_lshlrev_b64 v[2:3], 3, v[30:31]
	s_cbranch_vccnz .LBB152_330
; %bb.329:
	s_delay_alu instid0(VALU_DEP_1) | instskip(NEXT) | instid1(VALU_DEP_2)
	v_add_co_u32 v4, vcc_lo, v71, v2
	v_add_co_ci_u32_e32 v5, vcc_lo, v72, v3, vcc_lo
	flat_load_b64 v[4:5], v[4:5]
	s_waitcnt vmcnt(0) lgkmcnt(0)
	v_mul_f64 v[4:5], v[4:5], s[38:39]
	s_branch .LBB152_331
.LBB152_330:
	v_mov_b32_e32 v4, 0
	v_mov_b32_e32 v5, 0
.LBB152_331:
	s_waitcnt vmcnt(0)
	s_delay_alu instid0(VALU_DEP_1)
	v_add_f64 v[0:1], v[0:1], v[4:5]
	v_add_co_u32 v2, vcc_lo, v68, v2
	v_add_co_ci_u32_e32 v3, vcc_lo, v69, v3, vcc_lo
	global_store_b64 v[2:3], v[0:1], off
	s_or_b32 exec_lo, exec_lo, s0
	s_and_b32 s1, s11, s17
	s_delay_alu instid0(SALU_CYCLE_1)
	s_and_saveexec_b32 s0, s1
	s_cbranch_execz .LBB152_252
.LBB152_332:
	scratch_load_b64 v[0:1], off, off offset:384
	v_cmp_ne_u32_e32 vcc_lo, 1, v70
	v_lshlrev_b64 v[2:3], 3, v[32:33]
	s_cbranch_vccnz .LBB152_334
; %bb.333:
	s_delay_alu instid0(VALU_DEP_1) | instskip(NEXT) | instid1(VALU_DEP_2)
	v_add_co_u32 v4, vcc_lo, v71, v2
	v_add_co_ci_u32_e32 v5, vcc_lo, v72, v3, vcc_lo
	flat_load_b64 v[4:5], v[4:5]
	s_waitcnt vmcnt(0) lgkmcnt(0)
	v_mul_f64 v[4:5], v[4:5], s[38:39]
	s_branch .LBB152_335
.LBB152_334:
	v_mov_b32_e32 v4, 0
	v_mov_b32_e32 v5, 0
.LBB152_335:
	s_waitcnt vmcnt(0)
	s_delay_alu instid0(VALU_DEP_1)
	v_add_f64 v[0:1], v[0:1], v[4:5]
	v_add_co_u32 v2, vcc_lo, v68, v2
	v_add_co_ci_u32_e32 v3, vcc_lo, v69, v3, vcc_lo
	global_store_b64 v[2:3], v[0:1], off
	s_or_b32 exec_lo, exec_lo, s0
	s_and_b32 s1, s11, s18
	s_delay_alu instid0(SALU_CYCLE_1)
	s_and_saveexec_b32 s0, s1
	s_cbranch_execz .LBB152_253
.LBB152_336:
	scratch_load_b64 v[0:1], off, off offset:392
	v_cmp_ne_u32_e32 vcc_lo, 1, v70
	v_lshlrev_b64 v[2:3], 3, v[34:35]
	s_cbranch_vccnz .LBB152_338
; %bb.337:
	s_delay_alu instid0(VALU_DEP_1) | instskip(NEXT) | instid1(VALU_DEP_2)
	v_add_co_u32 v4, vcc_lo, v71, v2
	v_add_co_ci_u32_e32 v5, vcc_lo, v72, v3, vcc_lo
	flat_load_b64 v[4:5], v[4:5]
	s_waitcnt vmcnt(0) lgkmcnt(0)
	v_mul_f64 v[4:5], v[4:5], s[38:39]
	s_branch .LBB152_339
.LBB152_338:
	v_mov_b32_e32 v4, 0
	v_mov_b32_e32 v5, 0
.LBB152_339:
	s_waitcnt vmcnt(0)
	s_delay_alu instid0(VALU_DEP_1)
	v_add_f64 v[0:1], v[0:1], v[4:5]
	v_add_co_u32 v2, vcc_lo, v68, v2
	v_add_co_ci_u32_e32 v3, vcc_lo, v69, v3, vcc_lo
	global_store_b64 v[2:3], v[0:1], off
	s_or_b32 exec_lo, exec_lo, s0
	s_and_b32 s1, s11, s19
	s_delay_alu instid0(SALU_CYCLE_1)
	s_and_saveexec_b32 s0, s1
	s_cbranch_execz .LBB152_254
.LBB152_340:
	scratch_load_b64 v[0:1], off, off offset:400
	v_cmp_ne_u32_e32 vcc_lo, 1, v70
	v_lshlrev_b64 v[2:3], 3, v[36:37]
	s_cbranch_vccnz .LBB152_342
; %bb.341:
	s_delay_alu instid0(VALU_DEP_1) | instskip(NEXT) | instid1(VALU_DEP_2)
	v_add_co_u32 v4, vcc_lo, v71, v2
	v_add_co_ci_u32_e32 v5, vcc_lo, v72, v3, vcc_lo
	flat_load_b64 v[4:5], v[4:5]
	s_waitcnt vmcnt(0) lgkmcnt(0)
	v_mul_f64 v[4:5], v[4:5], s[38:39]
	s_branch .LBB152_343
.LBB152_342:
	v_mov_b32_e32 v4, 0
	v_mov_b32_e32 v5, 0
.LBB152_343:
	s_waitcnt vmcnt(0)
	s_delay_alu instid0(VALU_DEP_1)
	v_add_f64 v[0:1], v[0:1], v[4:5]
	v_add_co_u32 v2, vcc_lo, v68, v2
	v_add_co_ci_u32_e32 v3, vcc_lo, v69, v3, vcc_lo
	global_store_b64 v[2:3], v[0:1], off
	s_or_b32 exec_lo, exec_lo, s0
	s_and_b32 s1, s11, s20
	s_delay_alu instid0(SALU_CYCLE_1)
	s_and_saveexec_b32 s0, s1
	s_cbranch_execz .LBB152_255
.LBB152_344:
	scratch_load_b64 v[0:1], off, off offset:408
	v_cmp_ne_u32_e32 vcc_lo, 1, v70
	v_lshlrev_b64 v[2:3], 3, v[38:39]
	s_cbranch_vccnz .LBB152_346
; %bb.345:
	s_delay_alu instid0(VALU_DEP_1) | instskip(NEXT) | instid1(VALU_DEP_2)
	v_add_co_u32 v4, vcc_lo, v71, v2
	v_add_co_ci_u32_e32 v5, vcc_lo, v72, v3, vcc_lo
	flat_load_b64 v[4:5], v[4:5]
	s_waitcnt vmcnt(0) lgkmcnt(0)
	v_mul_f64 v[4:5], v[4:5], s[38:39]
	s_branch .LBB152_347
.LBB152_346:
	v_mov_b32_e32 v4, 0
	v_mov_b32_e32 v5, 0
.LBB152_347:
	s_waitcnt vmcnt(0)
	s_delay_alu instid0(VALU_DEP_1)
	v_add_f64 v[0:1], v[0:1], v[4:5]
	v_add_co_u32 v2, vcc_lo, v68, v2
	v_add_co_ci_u32_e32 v3, vcc_lo, v69, v3, vcc_lo
	global_store_b64 v[2:3], v[0:1], off
	s_or_b32 exec_lo, exec_lo, s0
	s_and_b32 s1, s11, s21
	s_delay_alu instid0(SALU_CYCLE_1)
	s_and_saveexec_b32 s0, s1
	s_cbranch_execz .LBB152_256
.LBB152_348:
	scratch_load_b64 v[0:1], off, off offset:416
	v_cmp_ne_u32_e32 vcc_lo, 1, v70
	v_lshlrev_b64 v[2:3], 3, v[40:41]
	s_cbranch_vccnz .LBB152_350
; %bb.349:
	s_delay_alu instid0(VALU_DEP_1) | instskip(NEXT) | instid1(VALU_DEP_2)
	v_add_co_u32 v4, vcc_lo, v71, v2
	v_add_co_ci_u32_e32 v5, vcc_lo, v72, v3, vcc_lo
	flat_load_b64 v[4:5], v[4:5]
	s_waitcnt vmcnt(0) lgkmcnt(0)
	v_mul_f64 v[4:5], v[4:5], s[38:39]
	s_branch .LBB152_351
.LBB152_350:
	v_mov_b32_e32 v4, 0
	v_mov_b32_e32 v5, 0
.LBB152_351:
	s_waitcnt vmcnt(0)
	s_delay_alu instid0(VALU_DEP_1)
	v_add_f64 v[0:1], v[0:1], v[4:5]
	v_add_co_u32 v2, vcc_lo, v68, v2
	v_add_co_ci_u32_e32 v3, vcc_lo, v69, v3, vcc_lo
	global_store_b64 v[2:3], v[0:1], off
	s_or_b32 exec_lo, exec_lo, s0
	s_and_b32 s1, s11, s22
	s_delay_alu instid0(SALU_CYCLE_1)
	s_and_saveexec_b32 s0, s1
	s_cbranch_execz .LBB152_257
.LBB152_352:
	scratch_load_b64 v[0:1], off, off offset:424
	v_cmp_ne_u32_e32 vcc_lo, 1, v70
	v_lshlrev_b64 v[2:3], 3, v[42:43]
	s_cbranch_vccnz .LBB152_354
; %bb.353:
	s_delay_alu instid0(VALU_DEP_1) | instskip(NEXT) | instid1(VALU_DEP_2)
	v_add_co_u32 v4, vcc_lo, v71, v2
	v_add_co_ci_u32_e32 v5, vcc_lo, v72, v3, vcc_lo
	flat_load_b64 v[4:5], v[4:5]
	s_waitcnt vmcnt(0) lgkmcnt(0)
	v_mul_f64 v[4:5], v[4:5], s[38:39]
	s_branch .LBB152_355
.LBB152_354:
	v_mov_b32_e32 v4, 0
	v_mov_b32_e32 v5, 0
.LBB152_355:
	s_waitcnt vmcnt(0)
	s_delay_alu instid0(VALU_DEP_1)
	v_add_f64 v[0:1], v[0:1], v[4:5]
	v_add_co_u32 v2, vcc_lo, v68, v2
	v_add_co_ci_u32_e32 v3, vcc_lo, v69, v3, vcc_lo
	global_store_b64 v[2:3], v[0:1], off
	s_or_b32 exec_lo, exec_lo, s0
	s_and_b32 s1, s11, s23
	s_delay_alu instid0(SALU_CYCLE_1)
	s_and_saveexec_b32 s0, s1
	s_cbranch_execz .LBB152_258
.LBB152_356:
	scratch_load_b64 v[0:1], off, off offset:432
	v_cmp_ne_u32_e32 vcc_lo, 1, v70
	v_lshlrev_b64 v[2:3], 3, v[44:45]
	s_cbranch_vccnz .LBB152_358
; %bb.357:
	s_delay_alu instid0(VALU_DEP_1) | instskip(NEXT) | instid1(VALU_DEP_2)
	v_add_co_u32 v4, vcc_lo, v71, v2
	v_add_co_ci_u32_e32 v5, vcc_lo, v72, v3, vcc_lo
	flat_load_b64 v[4:5], v[4:5]
	s_waitcnt vmcnt(0) lgkmcnt(0)
	v_mul_f64 v[4:5], v[4:5], s[38:39]
	s_branch .LBB152_359
.LBB152_358:
	v_mov_b32_e32 v4, 0
	v_mov_b32_e32 v5, 0
.LBB152_359:
	s_waitcnt vmcnt(0)
	s_delay_alu instid0(VALU_DEP_1)
	v_add_f64 v[0:1], v[0:1], v[4:5]
	v_add_co_u32 v2, vcc_lo, v68, v2
	v_add_co_ci_u32_e32 v3, vcc_lo, v69, v3, vcc_lo
	global_store_b64 v[2:3], v[0:1], off
	s_or_b32 exec_lo, exec_lo, s0
	s_and_b32 s1, s11, s24
	s_delay_alu instid0(SALU_CYCLE_1)
	s_and_saveexec_b32 s0, s1
	s_cbranch_execz .LBB152_259
.LBB152_360:
	scratch_load_b64 v[0:1], off, off offset:440
	v_cmp_ne_u32_e32 vcc_lo, 1, v70
	v_lshlrev_b64 v[2:3], 3, v[46:47]
	s_cbranch_vccnz .LBB152_362
; %bb.361:
	s_delay_alu instid0(VALU_DEP_1) | instskip(NEXT) | instid1(VALU_DEP_2)
	v_add_co_u32 v4, vcc_lo, v71, v2
	v_add_co_ci_u32_e32 v5, vcc_lo, v72, v3, vcc_lo
	flat_load_b64 v[4:5], v[4:5]
	s_waitcnt vmcnt(0) lgkmcnt(0)
	v_mul_f64 v[4:5], v[4:5], s[38:39]
	s_branch .LBB152_363
.LBB152_362:
	v_mov_b32_e32 v4, 0
	v_mov_b32_e32 v5, 0
.LBB152_363:
	s_waitcnt vmcnt(0)
	s_delay_alu instid0(VALU_DEP_1)
	v_add_f64 v[0:1], v[0:1], v[4:5]
	v_add_co_u32 v2, vcc_lo, v68, v2
	v_add_co_ci_u32_e32 v3, vcc_lo, v69, v3, vcc_lo
	global_store_b64 v[2:3], v[0:1], off
	s_or_b32 exec_lo, exec_lo, s0
	s_and_b32 s1, s11, s25
	s_delay_alu instid0(SALU_CYCLE_1)
	s_and_saveexec_b32 s0, s1
	s_cbranch_execz .LBB152_260
.LBB152_364:
	scratch_load_b64 v[0:1], off, off offset:448
	v_cmp_ne_u32_e32 vcc_lo, 1, v70
	v_lshlrev_b64 v[2:3], 3, v[48:49]
	s_cbranch_vccnz .LBB152_366
; %bb.365:
	s_delay_alu instid0(VALU_DEP_1) | instskip(NEXT) | instid1(VALU_DEP_2)
	v_add_co_u32 v4, vcc_lo, v71, v2
	v_add_co_ci_u32_e32 v5, vcc_lo, v72, v3, vcc_lo
	flat_load_b64 v[4:5], v[4:5]
	s_waitcnt vmcnt(0) lgkmcnt(0)
	v_mul_f64 v[4:5], v[4:5], s[38:39]
	s_branch .LBB152_367
.LBB152_366:
	v_mov_b32_e32 v4, 0
	v_mov_b32_e32 v5, 0
.LBB152_367:
	s_waitcnt vmcnt(0)
	s_delay_alu instid0(VALU_DEP_1)
	v_add_f64 v[0:1], v[0:1], v[4:5]
	v_add_co_u32 v2, vcc_lo, v68, v2
	v_add_co_ci_u32_e32 v3, vcc_lo, v69, v3, vcc_lo
	global_store_b64 v[2:3], v[0:1], off
	s_or_b32 exec_lo, exec_lo, s0
	s_and_b32 s1, s11, s26
	s_delay_alu instid0(SALU_CYCLE_1)
	s_and_saveexec_b32 s0, s1
	s_cbranch_execz .LBB152_261
.LBB152_368:
	scratch_load_b64 v[0:1], off, off offset:456
	v_cmp_ne_u32_e32 vcc_lo, 1, v70
	v_lshlrev_b64 v[2:3], 3, v[50:51]
	s_cbranch_vccnz .LBB152_370
; %bb.369:
	s_delay_alu instid0(VALU_DEP_1) | instskip(NEXT) | instid1(VALU_DEP_2)
	v_add_co_u32 v4, vcc_lo, v71, v2
	v_add_co_ci_u32_e32 v5, vcc_lo, v72, v3, vcc_lo
	flat_load_b64 v[4:5], v[4:5]
	s_waitcnt vmcnt(0) lgkmcnt(0)
	v_mul_f64 v[4:5], v[4:5], s[38:39]
	s_branch .LBB152_371
.LBB152_370:
	v_mov_b32_e32 v4, 0
	v_mov_b32_e32 v5, 0
.LBB152_371:
	s_waitcnt vmcnt(0)
	s_delay_alu instid0(VALU_DEP_1)
	v_add_f64 v[0:1], v[0:1], v[4:5]
	v_add_co_u32 v2, vcc_lo, v68, v2
	v_add_co_ci_u32_e32 v3, vcc_lo, v69, v3, vcc_lo
	global_store_b64 v[2:3], v[0:1], off
	s_or_b32 exec_lo, exec_lo, s0
	s_and_b32 s1, s11, s27
	s_delay_alu instid0(SALU_CYCLE_1)
	s_and_saveexec_b32 s0, s1
	s_cbranch_execz .LBB152_262
.LBB152_372:
	scratch_load_b64 v[0:1], off, off offset:464
	v_cmp_ne_u32_e32 vcc_lo, 1, v70
	v_lshlrev_b64 v[2:3], 3, v[52:53]
	s_cbranch_vccnz .LBB152_374
; %bb.373:
	s_delay_alu instid0(VALU_DEP_1) | instskip(NEXT) | instid1(VALU_DEP_2)
	v_add_co_u32 v4, vcc_lo, v71, v2
	v_add_co_ci_u32_e32 v5, vcc_lo, v72, v3, vcc_lo
	flat_load_b64 v[4:5], v[4:5]
	s_waitcnt vmcnt(0) lgkmcnt(0)
	v_mul_f64 v[4:5], v[4:5], s[38:39]
	s_branch .LBB152_375
.LBB152_374:
	v_mov_b32_e32 v4, 0
	v_mov_b32_e32 v5, 0
.LBB152_375:
	s_waitcnt vmcnt(0)
	s_delay_alu instid0(VALU_DEP_1)
	v_add_f64 v[0:1], v[0:1], v[4:5]
	v_add_co_u32 v2, vcc_lo, v68, v2
	v_add_co_ci_u32_e32 v3, vcc_lo, v69, v3, vcc_lo
	global_store_b64 v[2:3], v[0:1], off
	s_or_b32 exec_lo, exec_lo, s0
	s_and_b32 s1, s11, s28
	s_delay_alu instid0(SALU_CYCLE_1)
	s_and_saveexec_b32 s0, s1
	s_cbranch_execz .LBB152_263
.LBB152_376:
	scratch_load_b64 v[0:1], off, off offset:472
	v_cmp_ne_u32_e32 vcc_lo, 1, v70
	v_lshlrev_b64 v[2:3], 3, v[54:55]
	s_cbranch_vccnz .LBB152_378
; %bb.377:
	s_delay_alu instid0(VALU_DEP_1) | instskip(NEXT) | instid1(VALU_DEP_2)
	v_add_co_u32 v4, vcc_lo, v71, v2
	v_add_co_ci_u32_e32 v5, vcc_lo, v72, v3, vcc_lo
	flat_load_b64 v[4:5], v[4:5]
	s_waitcnt vmcnt(0) lgkmcnt(0)
	v_mul_f64 v[4:5], v[4:5], s[38:39]
	s_branch .LBB152_379
.LBB152_378:
	v_mov_b32_e32 v4, 0
	v_mov_b32_e32 v5, 0
.LBB152_379:
	s_waitcnt vmcnt(0)
	s_delay_alu instid0(VALU_DEP_1)
	v_add_f64 v[0:1], v[0:1], v[4:5]
	v_add_co_u32 v2, vcc_lo, v68, v2
	v_add_co_ci_u32_e32 v3, vcc_lo, v69, v3, vcc_lo
	global_store_b64 v[2:3], v[0:1], off
	s_or_b32 exec_lo, exec_lo, s0
	s_and_b32 s1, s11, s29
	s_delay_alu instid0(SALU_CYCLE_1)
	s_and_saveexec_b32 s0, s1
	s_cbranch_execz .LBB152_264
.LBB152_380:
	scratch_load_b64 v[0:1], off, off offset:480
	v_cmp_ne_u32_e32 vcc_lo, 1, v70
	v_lshlrev_b64 v[2:3], 3, v[56:57]
	s_cbranch_vccnz .LBB152_382
; %bb.381:
	s_delay_alu instid0(VALU_DEP_1) | instskip(NEXT) | instid1(VALU_DEP_2)
	v_add_co_u32 v4, vcc_lo, v71, v2
	v_add_co_ci_u32_e32 v5, vcc_lo, v72, v3, vcc_lo
	flat_load_b64 v[4:5], v[4:5]
	s_waitcnt vmcnt(0) lgkmcnt(0)
	v_mul_f64 v[4:5], v[4:5], s[38:39]
	s_branch .LBB152_383
.LBB152_382:
	v_mov_b32_e32 v4, 0
	v_mov_b32_e32 v5, 0
.LBB152_383:
	s_waitcnt vmcnt(0)
	s_delay_alu instid0(VALU_DEP_1)
	v_add_f64 v[0:1], v[0:1], v[4:5]
	v_add_co_u32 v2, vcc_lo, v68, v2
	v_add_co_ci_u32_e32 v3, vcc_lo, v69, v3, vcc_lo
	global_store_b64 v[2:3], v[0:1], off
	s_or_b32 exec_lo, exec_lo, s0
	s_and_b32 s1, s11, s30
	s_delay_alu instid0(SALU_CYCLE_1)
	s_and_saveexec_b32 s0, s1
	s_cbranch_execz .LBB152_265
.LBB152_384:
	scratch_load_b64 v[0:1], off, off offset:488
	v_cmp_ne_u32_e32 vcc_lo, 1, v70
	v_lshlrev_b64 v[2:3], 3, v[58:59]
	s_cbranch_vccnz .LBB152_386
; %bb.385:
	s_delay_alu instid0(VALU_DEP_1) | instskip(NEXT) | instid1(VALU_DEP_2)
	v_add_co_u32 v4, vcc_lo, v71, v2
	v_add_co_ci_u32_e32 v5, vcc_lo, v72, v3, vcc_lo
	flat_load_b64 v[4:5], v[4:5]
	s_waitcnt vmcnt(0) lgkmcnt(0)
	v_mul_f64 v[4:5], v[4:5], s[38:39]
	s_branch .LBB152_387
.LBB152_386:
	v_mov_b32_e32 v4, 0
	v_mov_b32_e32 v5, 0
.LBB152_387:
	s_waitcnt vmcnt(0)
	s_delay_alu instid0(VALU_DEP_1)
	v_add_f64 v[0:1], v[0:1], v[4:5]
	v_add_co_u32 v2, vcc_lo, v68, v2
	v_add_co_ci_u32_e32 v3, vcc_lo, v69, v3, vcc_lo
	global_store_b64 v[2:3], v[0:1], off
	s_or_b32 exec_lo, exec_lo, s0
	s_and_b32 s1, s11, s31
	s_delay_alu instid0(SALU_CYCLE_1)
	s_and_saveexec_b32 s0, s1
	s_cbranch_execz .LBB152_266
.LBB152_388:
	scratch_load_b64 v[0:1], off, off offset:496
	v_cmp_ne_u32_e32 vcc_lo, 1, v70
	v_lshlrev_b64 v[2:3], 3, v[60:61]
	s_cbranch_vccnz .LBB152_390
; %bb.389:
	s_delay_alu instid0(VALU_DEP_1) | instskip(NEXT) | instid1(VALU_DEP_2)
	v_add_co_u32 v4, vcc_lo, v71, v2
	v_add_co_ci_u32_e32 v5, vcc_lo, v72, v3, vcc_lo
	flat_load_b64 v[4:5], v[4:5]
	s_waitcnt vmcnt(0) lgkmcnt(0)
	v_mul_f64 v[4:5], v[4:5], s[38:39]
	s_branch .LBB152_391
.LBB152_390:
	v_mov_b32_e32 v4, 0
	v_mov_b32_e32 v5, 0
.LBB152_391:
	s_waitcnt vmcnt(0)
	s_delay_alu instid0(VALU_DEP_1)
	v_add_f64 v[0:1], v[0:1], v[4:5]
	v_add_co_u32 v2, vcc_lo, v68, v2
	v_add_co_ci_u32_e32 v3, vcc_lo, v69, v3, vcc_lo
	global_store_b64 v[2:3], v[0:1], off
	s_or_b32 exec_lo, exec_lo, s0
	s_and_b32 s0, s11, s33
	s_delay_alu instid0(SALU_CYCLE_1)
	s_and_saveexec_b32 s1, s0
	s_cbranch_execz .LBB152_267
.LBB152_392:
	scratch_load_b64 v[0:1], off, off offset:504
	v_cmp_ne_u32_e32 vcc_lo, 1, v70
	v_lshlrev_b64 v[2:3], 3, v[62:63]
	s_cbranch_vccnz .LBB152_394
; %bb.393:
	s_delay_alu instid0(VALU_DEP_1) | instskip(NEXT) | instid1(VALU_DEP_2)
	v_add_co_u32 v4, vcc_lo, v71, v2
	v_add_co_ci_u32_e32 v5, vcc_lo, v72, v3, vcc_lo
	flat_load_b64 v[4:5], v[4:5]
	s_waitcnt vmcnt(0) lgkmcnt(0)
	v_mul_f64 v[4:5], v[4:5], s[38:39]
	s_branch .LBB152_395
.LBB152_394:
	v_mov_b32_e32 v4, 0
	v_mov_b32_e32 v5, 0
.LBB152_395:
	s_waitcnt vmcnt(0)
	s_delay_alu instid0(VALU_DEP_1)
	v_add_f64 v[0:1], v[0:1], v[4:5]
	v_add_co_u32 v2, vcc_lo, v68, v2
	v_add_co_ci_u32_e32 v3, vcc_lo, v69, v3, vcc_lo
	global_store_b64 v[2:3], v[0:1], off
	s_endpgm
	.section	.rodata,"a",@progbits
	.p2align	6, 0x0
	.amdhsa_kernel _ZN12_GLOBAL__N_120geam_min_plus_kernelIdddLi4ELi64ELi128ELi128ELi4ELi4ELi64ELi64ELi4ELc84ELc84ELb0ELb1ELb0EdKPKdKPdEEviiiT16_PT17_ilS8_ilS6_S8_ilPT18_ili26rocblas_geam_ex_operation_
		.amdhsa_group_segment_fixed_size 16384
		.amdhsa_private_segment_fixed_size 528
		.amdhsa_kernarg_size 136
		.amdhsa_user_sgpr_count 14
		.amdhsa_user_sgpr_dispatch_ptr 0
		.amdhsa_user_sgpr_queue_ptr 0
		.amdhsa_user_sgpr_kernarg_segment_ptr 1
		.amdhsa_user_sgpr_dispatch_id 0
		.amdhsa_user_sgpr_private_segment_size 0
		.amdhsa_wavefront_size32 1
		.amdhsa_uses_dynamic_stack 0
		.amdhsa_enable_private_segment 1
		.amdhsa_system_sgpr_workgroup_id_x 1
		.amdhsa_system_sgpr_workgroup_id_y 0
		.amdhsa_system_sgpr_workgroup_id_z 1
		.amdhsa_system_sgpr_workgroup_info 0
		.amdhsa_system_vgpr_workitem_id 1
		.amdhsa_next_free_vgpr 252
		.amdhsa_next_free_sgpr 46
		.amdhsa_reserve_vcc 1
		.amdhsa_float_round_mode_32 0
		.amdhsa_float_round_mode_16_64 0
		.amdhsa_float_denorm_mode_32 3
		.amdhsa_float_denorm_mode_16_64 3
		.amdhsa_dx10_clamp 1
		.amdhsa_ieee_mode 1
		.amdhsa_fp16_overflow 0
		.amdhsa_workgroup_processor_mode 1
		.amdhsa_memory_ordered 1
		.amdhsa_forward_progress 0
		.amdhsa_shared_vgpr_count 0
		.amdhsa_exception_fp_ieee_invalid_op 0
		.amdhsa_exception_fp_denorm_src 0
		.amdhsa_exception_fp_ieee_div_zero 0
		.amdhsa_exception_fp_ieee_overflow 0
		.amdhsa_exception_fp_ieee_underflow 0
		.amdhsa_exception_fp_ieee_inexact 0
		.amdhsa_exception_int_div_zero 0
	.end_amdhsa_kernel
	.section	.text._ZN12_GLOBAL__N_120geam_min_plus_kernelIdddLi4ELi64ELi128ELi128ELi4ELi4ELi64ELi64ELi4ELc84ELc84ELb0ELb1ELb0EdKPKdKPdEEviiiT16_PT17_ilS8_ilS6_S8_ilPT18_ili26rocblas_geam_ex_operation_,"axG",@progbits,_ZN12_GLOBAL__N_120geam_min_plus_kernelIdddLi4ELi64ELi128ELi128ELi4ELi4ELi64ELi64ELi4ELc84ELc84ELb0ELb1ELb0EdKPKdKPdEEviiiT16_PT17_ilS8_ilS6_S8_ilPT18_ili26rocblas_geam_ex_operation_,comdat
.Lfunc_end152:
	.size	_ZN12_GLOBAL__N_120geam_min_plus_kernelIdddLi4ELi64ELi128ELi128ELi4ELi4ELi64ELi64ELi4ELc84ELc84ELb0ELb1ELb0EdKPKdKPdEEviiiT16_PT17_ilS8_ilS6_S8_ilPT18_ili26rocblas_geam_ex_operation_, .Lfunc_end152-_ZN12_GLOBAL__N_120geam_min_plus_kernelIdddLi4ELi64ELi128ELi128ELi4ELi4ELi64ELi64ELi4ELc84ELc84ELb0ELb1ELb0EdKPKdKPdEEviiiT16_PT17_ilS8_ilS6_S8_ilPT18_ili26rocblas_geam_ex_operation_
                                        ; -- End function
	.section	.AMDGPU.csdata,"",@progbits
; Kernel info:
; codeLenInByte = 47376
; NumSgprs: 48
; NumVgprs: 252
; ScratchSize: 528
; MemoryBound: 1
; FloatMode: 240
; IeeeMode: 1
; LDSByteSize: 16384 bytes/workgroup (compile time only)
; SGPRBlocks: 5
; VGPRBlocks: 31
; NumSGPRsForWavesPerEU: 48
; NumVGPRsForWavesPerEU: 252
; Occupancy: 5
; WaveLimiterHint : 1
; COMPUTE_PGM_RSRC2:SCRATCH_EN: 1
; COMPUTE_PGM_RSRC2:USER_SGPR: 14
; COMPUTE_PGM_RSRC2:TRAP_HANDLER: 0
; COMPUTE_PGM_RSRC2:TGID_X_EN: 1
; COMPUTE_PGM_RSRC2:TGID_Y_EN: 0
; COMPUTE_PGM_RSRC2:TGID_Z_EN: 1
; COMPUTE_PGM_RSRC2:TIDIG_COMP_CNT: 1
	.section	.text._ZN12_GLOBAL__N_120geam_ex_scale_kernelILi32ELi32EddPKdPdEEviiT2_T3_lilT4_lil,"axG",@progbits,_ZN12_GLOBAL__N_120geam_ex_scale_kernelILi32ELi32EddPKdPdEEviiT2_T3_lilT4_lil,comdat
	.globl	_ZN12_GLOBAL__N_120geam_ex_scale_kernelILi32ELi32EddPKdPdEEviiT2_T3_lilT4_lil ; -- Begin function _ZN12_GLOBAL__N_120geam_ex_scale_kernelILi32ELi32EddPKdPdEEviiT2_T3_lilT4_lil
	.p2align	8
	.type	_ZN12_GLOBAL__N_120geam_ex_scale_kernelILi32ELi32EddPKdPdEEviiT2_T3_lilT4_lil,@function
_ZN12_GLOBAL__N_120geam_ex_scale_kernelILi32ELi32EddPKdPdEEviiT2_T3_lilT4_lil: ; @_ZN12_GLOBAL__N_120geam_ex_scale_kernelILi32ELi32EddPKdPdEEviiT2_T3_lilT4_lil
; %bb.0:
	s_clause 0x2
	s_load_b128 s[8:11], s[0:1], 0x8
	s_load_b128 s[4:7], s[0:1], 0x28
	s_load_b64 s[12:13], s[0:1], 0x38
	s_mov_b64 s[16:17], 0
	s_waitcnt lgkmcnt(0)
	v_cmp_eq_f64_e64 s3, s[8:9], 0
	s_delay_alu instid0(VALU_DEP_1)
	s_and_b32 vcc_lo, exec_lo, s3
	s_cbranch_vccnz .LBB153_2
; %bb.1:
	s_load_b64 s[16:17], s[0:1], 0x18
	s_mul_i32 s2, s15, s5
	s_mul_hi_u32 s5, s15, s4
	s_mul_i32 s4, s15, s4
	s_add_i32 s5, s5, s2
	s_delay_alu instid0(SALU_CYCLE_1) | instskip(NEXT) | instid1(SALU_CYCLE_1)
	s_lshl_b64 s[4:5], s[4:5], 3
	s_add_u32 s2, s10, s4
	s_addc_u32 s10, s11, s5
	s_waitcnt lgkmcnt(0)
	s_lshl_b64 s[4:5], s[16:17], 3
	s_delay_alu instid0(SALU_CYCLE_1)
	s_add_u32 s16, s2, s4
	s_addc_u32 s17, s10, s5
.LBB153_2:
	s_load_b64 s[4:5], s[0:1], 0x0
	v_bfe_u32 v2, v0, 10, 10
	s_waitcnt lgkmcnt(0)
	s_add_i32 s2, s4, -1
	s_delay_alu instid0(SALU_CYCLE_1) | instskip(NEXT) | instid1(SALU_CYCLE_1)
	s_ashr_i32 s10, s2, 31
	s_lshr_b32 s10, s10, 27
	s_delay_alu instid0(SALU_CYCLE_1) | instskip(NEXT) | instid1(SALU_CYCLE_1)
	s_add_i32 s2, s2, s10
	s_ashr_i32 s2, s2, 5
	s_delay_alu instid0(SALU_CYCLE_1) | instskip(SKIP_2) | instid1(VALU_DEP_1)
	s_add_i32 s10, s2, 1
	s_not_b32 s2, s2
	v_cvt_f32_u32_e32 v1, s10
	v_rcp_iflag_f32_e32 v1, v1
	s_waitcnt_depctr 0xfff
	v_mul_f32_e32 v1, 0x4f7ffffe, v1
	s_delay_alu instid0(VALU_DEP_1) | instskip(NEXT) | instid1(VALU_DEP_1)
	v_cvt_u32_f32_e32 v1, v1
	v_readfirstlane_b32 s11, v1
	v_and_b32_e32 v1, 0x3ff, v0
	s_delay_alu instid0(VALU_DEP_2) | instskip(NEXT) | instid1(SALU_CYCLE_1)
	s_mul_i32 s2, s2, s11
	s_mul_hi_u32 s2, s11, s2
	s_delay_alu instid0(SALU_CYCLE_1) | instskip(NEXT) | instid1(SALU_CYCLE_1)
	s_add_i32 s11, s11, s2
	s_mul_hi_u32 s2, s14, s11
	s_delay_alu instid0(SALU_CYCLE_1) | instskip(SKIP_2) | instid1(SALU_CYCLE_1)
	s_mul_i32 s11, s2, s10
	s_add_i32 s18, s2, 1
	s_sub_i32 s11, s14, s11
	s_sub_i32 s19, s11, s10
	s_cmp_ge_u32 s11, s10
	s_cselect_b32 s2, s18, s2
	s_cselect_b32 s11, s19, s11
	s_add_i32 s18, s2, 1
	s_cmp_ge_u32 s11, s10
	s_cselect_b32 s2, s18, s2
	s_delay_alu instid0(SALU_CYCLE_1) | instskip(SKIP_2) | instid1(SALU_CYCLE_1)
	s_mul_i32 s10, s2, s10
	v_lshl_add_u32 v4, s2, 5, v2
	s_sub_i32 s10, s14, s10
	v_lshl_add_u32 v0, s10, 5, v1
	s_delay_alu instid0(VALU_DEP_2) | instskip(NEXT) | instid1(VALU_DEP_2)
	v_cmp_gt_u32_e64 s2, s5, v4
	v_cmp_gt_u32_e32 vcc_lo, s4, v0
	s_mov_b32 s4, -1
	s_delay_alu instid0(VALU_DEP_2) | instskip(NEXT) | instid1(SALU_CYCLE_1)
	s_and_b32 s2, vcc_lo, s2
	s_and_saveexec_b32 s5, s2
	s_cbranch_execz .LBB153_8
; %bb.3:
	s_and_not1_b32 vcc_lo, exec_lo, s3
	s_cbranch_vccnz .LBB153_5
; %bb.4:
	v_mov_b32_e32 v1, 0
	s_mov_b64 s[2:3], 0
	s_delay_alu instid0(SALU_CYCLE_1)
	v_dual_mov_b32 v2, s2 :: v_dual_mov_b32 v3, s3
	s_cbranch_execz .LBB153_6
	s_branch .LBB153_7
.LBB153_5:
                                        ; implicit-def: $sgpr2_sgpr3
	v_dual_mov_b32 v2, s2 :: v_dual_mov_b32 v3, s3
	s_and_not1_b32 vcc_lo, exec_lo, s4
	s_cbranch_vccnz .LBB153_7
.LBB153_6:
	s_load_b32 s2, s[0:1], 0x20
	v_mov_b32_e32 v1, 0
	s_waitcnt lgkmcnt(0)
	s_delay_alu instid0(VALU_DEP_1)
	v_mad_u64_u32 v[2:3], null, v4, s2, v[0:1]
	s_ashr_i32 s2, s2, 31
	s_delay_alu instid0(VALU_DEP_1) | instid1(SALU_CYCLE_1)
	v_mad_u64_u32 v[5:6], null, v4, s2, v[3:4]
	s_delay_alu instid0(VALU_DEP_1) | instskip(NEXT) | instid1(VALU_DEP_1)
	v_mov_b32_e32 v3, v5
	v_lshlrev_b64 v[2:3], 3, v[2:3]
	s_delay_alu instid0(VALU_DEP_1) | instskip(NEXT) | instid1(VALU_DEP_2)
	v_add_co_u32 v2, vcc_lo, s16, v2
	v_add_co_ci_u32_e32 v3, vcc_lo, s17, v3, vcc_lo
	flat_load_b64 v[2:3], v[2:3]
	s_waitcnt vmcnt(0) lgkmcnt(0)
	v_mul_f64 v[2:3], v[2:3], s[8:9]
.LBB153_7:
	s_clause 0x1
	s_load_b64 s[2:3], s[0:1], 0x48
	s_load_b32 s4, s[0:1], 0x40
	v_lshlrev_b64 v[0:1], 3, v[0:1]
	s_waitcnt lgkmcnt(0)
	s_mul_i32 s1, s15, s3
	s_mul_hi_u32 s3, s15, s2
	s_mul_i32 s0, s15, s2
	s_add_i32 s1, s3, s1
	v_mad_u64_u32 v[5:6], null, v4, s4, 0
	s_lshl_b64 s[0:1], s[0:1], 3
	s_delay_alu instid0(SALU_CYCLE_1) | instskip(SKIP_2) | instid1(SALU_CYCLE_1)
	s_add_u32 s2, s6, s0
	s_addc_u32 s3, s7, s1
	s_lshl_b64 s[0:1], s[12:13], 3
	s_add_u32 s0, s2, s0
	s_addc_u32 s1, s3, s1
	s_ashr_i32 s2, s4, 31
	s_delay_alu instid0(SALU_CYCLE_1) | instskip(NEXT) | instid1(VALU_DEP_1)
	v_mad_u64_u32 v[7:8], null, v4, s2, v[6:7]
	v_mov_b32_e32 v6, v7
	s_delay_alu instid0(VALU_DEP_1) | instskip(NEXT) | instid1(VALU_DEP_1)
	v_lshlrev_b64 v[4:5], 3, v[5:6]
	v_add_co_u32 v4, vcc_lo, s0, v4
	s_delay_alu instid0(VALU_DEP_2) | instskip(NEXT) | instid1(VALU_DEP_2)
	v_add_co_ci_u32_e32 v5, vcc_lo, s1, v5, vcc_lo
	v_add_co_u32 v0, vcc_lo, v4, v0
	s_delay_alu instid0(VALU_DEP_2)
	v_add_co_ci_u32_e32 v1, vcc_lo, v5, v1, vcc_lo
	global_store_b64 v[0:1], v[2:3], off
.LBB153_8:
	s_nop 0
	s_sendmsg sendmsg(MSG_DEALLOC_VGPRS)
	s_endpgm
	.section	.rodata,"a",@progbits
	.p2align	6, 0x0
	.amdhsa_kernel _ZN12_GLOBAL__N_120geam_ex_scale_kernelILi32ELi32EddPKdPdEEviiT2_T3_lilT4_lil
		.amdhsa_group_segment_fixed_size 0
		.amdhsa_private_segment_fixed_size 0
		.amdhsa_kernarg_size 80
		.amdhsa_user_sgpr_count 14
		.amdhsa_user_sgpr_dispatch_ptr 0
		.amdhsa_user_sgpr_queue_ptr 0
		.amdhsa_user_sgpr_kernarg_segment_ptr 1
		.amdhsa_user_sgpr_dispatch_id 0
		.amdhsa_user_sgpr_private_segment_size 0
		.amdhsa_wavefront_size32 1
		.amdhsa_uses_dynamic_stack 0
		.amdhsa_enable_private_segment 0
		.amdhsa_system_sgpr_workgroup_id_x 1
		.amdhsa_system_sgpr_workgroup_id_y 0
		.amdhsa_system_sgpr_workgroup_id_z 1
		.amdhsa_system_sgpr_workgroup_info 0
		.amdhsa_system_vgpr_workitem_id 1
		.amdhsa_next_free_vgpr 9
		.amdhsa_next_free_sgpr 20
		.amdhsa_reserve_vcc 1
		.amdhsa_float_round_mode_32 0
		.amdhsa_float_round_mode_16_64 0
		.amdhsa_float_denorm_mode_32 3
		.amdhsa_float_denorm_mode_16_64 3
		.amdhsa_dx10_clamp 1
		.amdhsa_ieee_mode 1
		.amdhsa_fp16_overflow 0
		.amdhsa_workgroup_processor_mode 1
		.amdhsa_memory_ordered 1
		.amdhsa_forward_progress 0
		.amdhsa_shared_vgpr_count 0
		.amdhsa_exception_fp_ieee_invalid_op 0
		.amdhsa_exception_fp_denorm_src 0
		.amdhsa_exception_fp_ieee_div_zero 0
		.amdhsa_exception_fp_ieee_overflow 0
		.amdhsa_exception_fp_ieee_underflow 0
		.amdhsa_exception_fp_ieee_inexact 0
		.amdhsa_exception_int_div_zero 0
	.end_amdhsa_kernel
	.section	.text._ZN12_GLOBAL__N_120geam_ex_scale_kernelILi32ELi32EddPKdPdEEviiT2_T3_lilT4_lil,"axG",@progbits,_ZN12_GLOBAL__N_120geam_ex_scale_kernelILi32ELi32EddPKdPdEEviiT2_T3_lilT4_lil,comdat
.Lfunc_end153:
	.size	_ZN12_GLOBAL__N_120geam_ex_scale_kernelILi32ELi32EddPKdPdEEviiT2_T3_lilT4_lil, .Lfunc_end153-_ZN12_GLOBAL__N_120geam_ex_scale_kernelILi32ELi32EddPKdPdEEviiT2_T3_lilT4_lil
                                        ; -- End function
	.section	.AMDGPU.csdata,"",@progbits
; Kernel info:
; codeLenInByte = 664
; NumSgprs: 22
; NumVgprs: 9
; ScratchSize: 0
; MemoryBound: 0
; FloatMode: 240
; IeeeMode: 1
; LDSByteSize: 0 bytes/workgroup (compile time only)
; SGPRBlocks: 2
; VGPRBlocks: 1
; NumSGPRsForWavesPerEU: 22
; NumVGPRsForWavesPerEU: 9
; Occupancy: 16
; WaveLimiterHint : 0
; COMPUTE_PGM_RSRC2:SCRATCH_EN: 0
; COMPUTE_PGM_RSRC2:USER_SGPR: 14
; COMPUTE_PGM_RSRC2:TRAP_HANDLER: 0
; COMPUTE_PGM_RSRC2:TGID_X_EN: 1
; COMPUTE_PGM_RSRC2:TGID_Y_EN: 0
; COMPUTE_PGM_RSRC2:TGID_Z_EN: 1
; COMPUTE_PGM_RSRC2:TIDIG_COMP_CNT: 1
	.section	.text._ZN12_GLOBAL__N_120geam_ex_scale_kernelILi32ELi32EdPKdS2_PdEEviiT2_T3_lilT4_lil,"axG",@progbits,_ZN12_GLOBAL__N_120geam_ex_scale_kernelILi32ELi32EdPKdS2_PdEEviiT2_T3_lilT4_lil,comdat
	.globl	_ZN12_GLOBAL__N_120geam_ex_scale_kernelILi32ELi32EdPKdS2_PdEEviiT2_T3_lilT4_lil ; -- Begin function _ZN12_GLOBAL__N_120geam_ex_scale_kernelILi32ELi32EdPKdS2_PdEEviiT2_T3_lilT4_lil
	.p2align	8
	.type	_ZN12_GLOBAL__N_120geam_ex_scale_kernelILi32ELi32EdPKdS2_PdEEviiT2_T3_lilT4_lil,@function
_ZN12_GLOBAL__N_120geam_ex_scale_kernelILi32ELi32EdPKdS2_PdEEviiT2_T3_lilT4_lil: ; @_ZN12_GLOBAL__N_120geam_ex_scale_kernelILi32ELi32EdPKdS2_PdEEviiT2_T3_lilT4_lil
; %bb.0:
	s_clause 0x1
	s_load_b128 s[8:11], s[0:1], 0x8
	s_load_b128 s[4:7], s[0:1], 0x28
	s_mov_b64 s[16:17], 0
	s_waitcnt lgkmcnt(0)
	s_load_b64 s[12:13], s[8:9], 0x0
	s_load_b64 s[8:9], s[0:1], 0x38
	s_waitcnt lgkmcnt(0)
	v_cmp_eq_f64_e64 s3, s[12:13], 0
	s_delay_alu instid0(VALU_DEP_1)
	s_and_b32 vcc_lo, exec_lo, s3
	s_cbranch_vccnz .LBB154_2
; %bb.1:
	s_load_b64 s[16:17], s[0:1], 0x18
	s_mul_i32 s2, s15, s5
	s_mul_hi_u32 s5, s15, s4
	s_mul_i32 s4, s15, s4
	s_add_i32 s5, s5, s2
	s_delay_alu instid0(SALU_CYCLE_1) | instskip(NEXT) | instid1(SALU_CYCLE_1)
	s_lshl_b64 s[4:5], s[4:5], 3
	s_add_u32 s2, s10, s4
	s_addc_u32 s10, s11, s5
	s_waitcnt lgkmcnt(0)
	s_lshl_b64 s[4:5], s[16:17], 3
	s_delay_alu instid0(SALU_CYCLE_1)
	s_add_u32 s16, s2, s4
	s_addc_u32 s17, s10, s5
.LBB154_2:
	s_load_b64 s[4:5], s[0:1], 0x0
	v_bfe_u32 v2, v0, 10, 10
	s_waitcnt lgkmcnt(0)
	s_add_i32 s2, s4, -1
	s_delay_alu instid0(SALU_CYCLE_1) | instskip(NEXT) | instid1(SALU_CYCLE_1)
	s_ashr_i32 s10, s2, 31
	s_lshr_b32 s10, s10, 27
	s_delay_alu instid0(SALU_CYCLE_1) | instskip(NEXT) | instid1(SALU_CYCLE_1)
	s_add_i32 s2, s2, s10
	s_ashr_i32 s2, s2, 5
	s_delay_alu instid0(SALU_CYCLE_1) | instskip(SKIP_2) | instid1(VALU_DEP_1)
	s_add_i32 s10, s2, 1
	s_not_b32 s2, s2
	v_cvt_f32_u32_e32 v1, s10
	v_rcp_iflag_f32_e32 v1, v1
	s_waitcnt_depctr 0xfff
	v_mul_f32_e32 v1, 0x4f7ffffe, v1
	s_delay_alu instid0(VALU_DEP_1) | instskip(NEXT) | instid1(VALU_DEP_1)
	v_cvt_u32_f32_e32 v1, v1
	v_readfirstlane_b32 s11, v1
	v_and_b32_e32 v1, 0x3ff, v0
	s_delay_alu instid0(VALU_DEP_2) | instskip(NEXT) | instid1(SALU_CYCLE_1)
	s_mul_i32 s2, s2, s11
	s_mul_hi_u32 s2, s11, s2
	s_delay_alu instid0(SALU_CYCLE_1) | instskip(NEXT) | instid1(SALU_CYCLE_1)
	s_add_i32 s11, s11, s2
	s_mul_hi_u32 s2, s14, s11
	s_delay_alu instid0(SALU_CYCLE_1) | instskip(SKIP_2) | instid1(SALU_CYCLE_1)
	s_mul_i32 s11, s2, s10
	s_add_i32 s18, s2, 1
	s_sub_i32 s11, s14, s11
	s_sub_i32 s19, s11, s10
	s_cmp_ge_u32 s11, s10
	s_cselect_b32 s2, s18, s2
	s_cselect_b32 s11, s19, s11
	s_add_i32 s18, s2, 1
	s_cmp_ge_u32 s11, s10
	s_cselect_b32 s2, s18, s2
	s_delay_alu instid0(SALU_CYCLE_1) | instskip(SKIP_2) | instid1(SALU_CYCLE_1)
	s_mul_i32 s10, s2, s10
	v_lshl_add_u32 v4, s2, 5, v2
	s_sub_i32 s10, s14, s10
	v_lshl_add_u32 v0, s10, 5, v1
	s_delay_alu instid0(VALU_DEP_2) | instskip(NEXT) | instid1(VALU_DEP_2)
	v_cmp_gt_u32_e64 s2, s5, v4
	v_cmp_gt_u32_e32 vcc_lo, s4, v0
	s_mov_b32 s4, -1
	s_delay_alu instid0(VALU_DEP_2) | instskip(NEXT) | instid1(SALU_CYCLE_1)
	s_and_b32 s2, vcc_lo, s2
	s_and_saveexec_b32 s5, s2
	s_cbranch_execz .LBB154_8
; %bb.3:
	s_and_not1_b32 vcc_lo, exec_lo, s3
	s_cbranch_vccnz .LBB154_5
; %bb.4:
	v_mov_b32_e32 v1, 0
	s_mov_b64 s[2:3], 0
	s_delay_alu instid0(SALU_CYCLE_1)
	v_dual_mov_b32 v2, s2 :: v_dual_mov_b32 v3, s3
	s_cbranch_execz .LBB154_6
	s_branch .LBB154_7
.LBB154_5:
                                        ; implicit-def: $sgpr2_sgpr3
	v_dual_mov_b32 v2, s2 :: v_dual_mov_b32 v3, s3
	s_and_not1_b32 vcc_lo, exec_lo, s4
	s_cbranch_vccnz .LBB154_7
.LBB154_6:
	s_load_b32 s2, s[0:1], 0x20
	v_mov_b32_e32 v1, 0
	s_waitcnt lgkmcnt(0)
	s_delay_alu instid0(VALU_DEP_1)
	v_mad_u64_u32 v[2:3], null, v4, s2, v[0:1]
	s_ashr_i32 s2, s2, 31
	s_delay_alu instid0(VALU_DEP_1) | instid1(SALU_CYCLE_1)
	v_mad_u64_u32 v[5:6], null, v4, s2, v[3:4]
	s_delay_alu instid0(VALU_DEP_1) | instskip(NEXT) | instid1(VALU_DEP_1)
	v_mov_b32_e32 v3, v5
	v_lshlrev_b64 v[2:3], 3, v[2:3]
	s_delay_alu instid0(VALU_DEP_1) | instskip(NEXT) | instid1(VALU_DEP_2)
	v_add_co_u32 v2, vcc_lo, s16, v2
	v_add_co_ci_u32_e32 v3, vcc_lo, s17, v3, vcc_lo
	flat_load_b64 v[2:3], v[2:3]
	s_waitcnt vmcnt(0) lgkmcnt(0)
	v_mul_f64 v[2:3], s[12:13], v[2:3]
.LBB154_7:
	s_clause 0x1
	s_load_b64 s[2:3], s[0:1], 0x48
	s_load_b32 s4, s[0:1], 0x40
	v_lshlrev_b64 v[0:1], 3, v[0:1]
	s_waitcnt lgkmcnt(0)
	s_mul_i32 s1, s15, s3
	s_mul_hi_u32 s3, s15, s2
	s_mul_i32 s0, s15, s2
	s_add_i32 s1, s3, s1
	v_mad_u64_u32 v[5:6], null, v4, s4, 0
	s_lshl_b64 s[0:1], s[0:1], 3
	s_delay_alu instid0(SALU_CYCLE_1) | instskip(SKIP_2) | instid1(SALU_CYCLE_1)
	s_add_u32 s2, s6, s0
	s_addc_u32 s3, s7, s1
	s_lshl_b64 s[0:1], s[8:9], 3
	s_add_u32 s0, s2, s0
	s_addc_u32 s1, s3, s1
	s_ashr_i32 s2, s4, 31
	s_delay_alu instid0(SALU_CYCLE_1) | instskip(NEXT) | instid1(VALU_DEP_1)
	v_mad_u64_u32 v[7:8], null, v4, s2, v[6:7]
	v_mov_b32_e32 v6, v7
	s_delay_alu instid0(VALU_DEP_1) | instskip(NEXT) | instid1(VALU_DEP_1)
	v_lshlrev_b64 v[4:5], 3, v[5:6]
	v_add_co_u32 v4, vcc_lo, s0, v4
	s_delay_alu instid0(VALU_DEP_2) | instskip(NEXT) | instid1(VALU_DEP_2)
	v_add_co_ci_u32_e32 v5, vcc_lo, s1, v5, vcc_lo
	v_add_co_u32 v0, vcc_lo, v4, v0
	s_delay_alu instid0(VALU_DEP_2)
	v_add_co_ci_u32_e32 v1, vcc_lo, v5, v1, vcc_lo
	global_store_b64 v[0:1], v[2:3], off
.LBB154_8:
	s_nop 0
	s_sendmsg sendmsg(MSG_DEALLOC_VGPRS)
	s_endpgm
	.section	.rodata,"a",@progbits
	.p2align	6, 0x0
	.amdhsa_kernel _ZN12_GLOBAL__N_120geam_ex_scale_kernelILi32ELi32EdPKdS2_PdEEviiT2_T3_lilT4_lil
		.amdhsa_group_segment_fixed_size 0
		.amdhsa_private_segment_fixed_size 0
		.amdhsa_kernarg_size 80
		.amdhsa_user_sgpr_count 14
		.amdhsa_user_sgpr_dispatch_ptr 0
		.amdhsa_user_sgpr_queue_ptr 0
		.amdhsa_user_sgpr_kernarg_segment_ptr 1
		.amdhsa_user_sgpr_dispatch_id 0
		.amdhsa_user_sgpr_private_segment_size 0
		.amdhsa_wavefront_size32 1
		.amdhsa_uses_dynamic_stack 0
		.amdhsa_enable_private_segment 0
		.amdhsa_system_sgpr_workgroup_id_x 1
		.amdhsa_system_sgpr_workgroup_id_y 0
		.amdhsa_system_sgpr_workgroup_id_z 1
		.amdhsa_system_sgpr_workgroup_info 0
		.amdhsa_system_vgpr_workitem_id 1
		.amdhsa_next_free_vgpr 9
		.amdhsa_next_free_sgpr 20
		.amdhsa_reserve_vcc 1
		.amdhsa_float_round_mode_32 0
		.amdhsa_float_round_mode_16_64 0
		.amdhsa_float_denorm_mode_32 3
		.amdhsa_float_denorm_mode_16_64 3
		.amdhsa_dx10_clamp 1
		.amdhsa_ieee_mode 1
		.amdhsa_fp16_overflow 0
		.amdhsa_workgroup_processor_mode 1
		.amdhsa_memory_ordered 1
		.amdhsa_forward_progress 0
		.amdhsa_shared_vgpr_count 0
		.amdhsa_exception_fp_ieee_invalid_op 0
		.amdhsa_exception_fp_denorm_src 0
		.amdhsa_exception_fp_ieee_div_zero 0
		.amdhsa_exception_fp_ieee_overflow 0
		.amdhsa_exception_fp_ieee_underflow 0
		.amdhsa_exception_fp_ieee_inexact 0
		.amdhsa_exception_int_div_zero 0
	.end_amdhsa_kernel
	.section	.text._ZN12_GLOBAL__N_120geam_ex_scale_kernelILi32ELi32EdPKdS2_PdEEviiT2_T3_lilT4_lil,"axG",@progbits,_ZN12_GLOBAL__N_120geam_ex_scale_kernelILi32ELi32EdPKdS2_PdEEviiT2_T3_lilT4_lil,comdat
.Lfunc_end154:
	.size	_ZN12_GLOBAL__N_120geam_ex_scale_kernelILi32ELi32EdPKdS2_PdEEviiT2_T3_lilT4_lil, .Lfunc_end154-_ZN12_GLOBAL__N_120geam_ex_scale_kernelILi32ELi32EdPKdS2_PdEEviiT2_T3_lilT4_lil
                                        ; -- End function
	.section	.AMDGPU.csdata,"",@progbits
; Kernel info:
; codeLenInByte = 676
; NumSgprs: 22
; NumVgprs: 9
; ScratchSize: 0
; MemoryBound: 0
; FloatMode: 240
; IeeeMode: 1
; LDSByteSize: 0 bytes/workgroup (compile time only)
; SGPRBlocks: 2
; VGPRBlocks: 1
; NumSGPRsForWavesPerEU: 22
; NumVGPRsForWavesPerEU: 9
; Occupancy: 16
; WaveLimiterHint : 0
; COMPUTE_PGM_RSRC2:SCRATCH_EN: 0
; COMPUTE_PGM_RSRC2:USER_SGPR: 14
; COMPUTE_PGM_RSRC2:TRAP_HANDLER: 0
; COMPUTE_PGM_RSRC2:TGID_X_EN: 1
; COMPUTE_PGM_RSRC2:TGID_Y_EN: 0
; COMPUTE_PGM_RSRC2:TGID_Z_EN: 1
; COMPUTE_PGM_RSRC2:TIDIG_COMP_CNT: 1
	.section	.text._ZN12_GLOBAL__N_120geam_ex_round_kernelILi32ELi32EddPKdPdEEviiT2_T3_lilT4_lil,"axG",@progbits,_ZN12_GLOBAL__N_120geam_ex_round_kernelILi32ELi32EddPKdPdEEviiT2_T3_lilT4_lil,comdat
	.globl	_ZN12_GLOBAL__N_120geam_ex_round_kernelILi32ELi32EddPKdPdEEviiT2_T3_lilT4_lil ; -- Begin function _ZN12_GLOBAL__N_120geam_ex_round_kernelILi32ELi32EddPKdPdEEviiT2_T3_lilT4_lil
	.p2align	8
	.type	_ZN12_GLOBAL__N_120geam_ex_round_kernelILi32ELi32EddPKdPdEEviiT2_T3_lilT4_lil,@function
_ZN12_GLOBAL__N_120geam_ex_round_kernelILi32ELi32EddPKdPdEEviiT2_T3_lilT4_lil: ; @_ZN12_GLOBAL__N_120geam_ex_round_kernelILi32ELi32EddPKdPdEEviiT2_T3_lilT4_lil
; %bb.0:
	s_clause 0x2
	s_load_b128 s[8:11], s[0:1], 0x8
	s_load_b128 s[4:7], s[0:1], 0x28
	s_load_b64 s[12:13], s[0:1], 0x38
	s_mov_b64 s[16:17], 0
	s_waitcnt lgkmcnt(0)
	v_cmp_eq_f64_e64 s3, s[8:9], 0
	s_delay_alu instid0(VALU_DEP_1)
	s_and_b32 vcc_lo, exec_lo, s3
	s_cbranch_vccnz .LBB155_2
; %bb.1:
	s_load_b64 s[16:17], s[0:1], 0x18
	s_mul_i32 s2, s15, s5
	s_mul_hi_u32 s5, s15, s4
	s_mul_i32 s4, s15, s4
	s_add_i32 s5, s5, s2
	s_delay_alu instid0(SALU_CYCLE_1) | instskip(NEXT) | instid1(SALU_CYCLE_1)
	s_lshl_b64 s[4:5], s[4:5], 3
	s_add_u32 s2, s10, s4
	s_addc_u32 s10, s11, s5
	s_waitcnt lgkmcnt(0)
	s_lshl_b64 s[4:5], s[16:17], 3
	s_delay_alu instid0(SALU_CYCLE_1)
	s_add_u32 s16, s2, s4
	s_addc_u32 s17, s10, s5
.LBB155_2:
	s_load_b64 s[4:5], s[0:1], 0x0
	v_bfe_u32 v2, v0, 10, 10
	s_waitcnt lgkmcnt(0)
	s_add_i32 s2, s4, -1
	s_delay_alu instid0(SALU_CYCLE_1) | instskip(NEXT) | instid1(SALU_CYCLE_1)
	s_ashr_i32 s10, s2, 31
	s_lshr_b32 s10, s10, 27
	s_delay_alu instid0(SALU_CYCLE_1) | instskip(NEXT) | instid1(SALU_CYCLE_1)
	s_add_i32 s2, s2, s10
	s_ashr_i32 s2, s2, 5
	s_delay_alu instid0(SALU_CYCLE_1) | instskip(SKIP_2) | instid1(VALU_DEP_1)
	s_add_i32 s10, s2, 1
	s_not_b32 s2, s2
	v_cvt_f32_u32_e32 v1, s10
	v_rcp_iflag_f32_e32 v1, v1
	s_waitcnt_depctr 0xfff
	v_mul_f32_e32 v1, 0x4f7ffffe, v1
	s_delay_alu instid0(VALU_DEP_1) | instskip(NEXT) | instid1(VALU_DEP_1)
	v_cvt_u32_f32_e32 v1, v1
	v_readfirstlane_b32 s11, v1
	v_and_b32_e32 v1, 0x3ff, v0
	s_delay_alu instid0(VALU_DEP_2) | instskip(NEXT) | instid1(SALU_CYCLE_1)
	s_mul_i32 s2, s2, s11
	s_mul_hi_u32 s2, s11, s2
	s_delay_alu instid0(SALU_CYCLE_1) | instskip(NEXT) | instid1(SALU_CYCLE_1)
	s_add_i32 s11, s11, s2
	s_mul_hi_u32 s2, s14, s11
	s_delay_alu instid0(SALU_CYCLE_1) | instskip(SKIP_2) | instid1(SALU_CYCLE_1)
	s_mul_i32 s11, s2, s10
	s_add_i32 s18, s2, 1
	s_sub_i32 s11, s14, s11
	s_sub_i32 s19, s11, s10
	s_cmp_ge_u32 s11, s10
	s_cselect_b32 s2, s18, s2
	s_cselect_b32 s11, s19, s11
	s_add_i32 s18, s2, 1
	s_cmp_ge_u32 s11, s10
	s_cselect_b32 s2, s18, s2
	s_delay_alu instid0(SALU_CYCLE_1) | instskip(SKIP_2) | instid1(SALU_CYCLE_1)
	s_mul_i32 s10, s2, s10
	v_lshl_add_u32 v5, s2, 5, v2
	s_sub_i32 s10, s14, s10
	v_lshl_add_u32 v0, s10, 5, v1
	s_delay_alu instid0(VALU_DEP_2) | instskip(NEXT) | instid1(VALU_DEP_2)
	v_cmp_gt_u32_e64 s2, s5, v5
	v_cmp_gt_u32_e32 vcc_lo, s4, v0
	s_mov_b32 s4, -1
	s_delay_alu instid0(VALU_DEP_2) | instskip(NEXT) | instid1(SALU_CYCLE_1)
	s_and_b32 s2, vcc_lo, s2
	s_and_saveexec_b32 s5, s2
	s_cbranch_execz .LBB155_8
; %bb.3:
	s_and_not1_b32 vcc_lo, exec_lo, s3
	s_cbranch_vccnz .LBB155_5
; %bb.4:
	v_mov_b32_e32 v2, 0
	s_mov_b64 s[2:3], 0
	s_delay_alu instid0(VALU_DEP_1) | instid1(SALU_CYCLE_1)
	v_dual_mov_b32 v1, v2 :: v_dual_mov_b32 v4, s3
	v_mov_b32_e32 v3, s2
	s_cbranch_execz .LBB155_6
	s_branch .LBB155_7
.LBB155_5:
                                        ; implicit-def: $sgpr2_sgpr3
                                        ; implicit-def: $vgpr1_vgpr2
	v_dual_mov_b32 v4, s3 :: v_dual_mov_b32 v3, s2
	s_and_not1_b32 vcc_lo, exec_lo, s4
	s_cbranch_vccnz .LBB155_7
.LBB155_6:
	s_load_b32 s2, s[0:1], 0x20
	v_mov_b32_e32 v2, 0
	s_delay_alu instid0(VALU_DEP_1) | instskip(SKIP_1) | instid1(VALU_DEP_1)
	v_mov_b32_e32 v1, v2
	s_waitcnt lgkmcnt(0)
	v_mad_u64_u32 v[3:4], null, v5, s2, v[0:1]
	s_ashr_i32 s2, s2, 31
	s_delay_alu instid0(VALU_DEP_1) | instid1(SALU_CYCLE_1)
	v_mad_u64_u32 v[6:7], null, v5, s2, v[4:5]
	s_delay_alu instid0(VALU_DEP_1) | instskip(NEXT) | instid1(VALU_DEP_1)
	v_mov_b32_e32 v4, v6
	v_lshlrev_b64 v[3:4], 3, v[3:4]
	s_delay_alu instid0(VALU_DEP_1) | instskip(NEXT) | instid1(VALU_DEP_2)
	v_add_co_u32 v3, vcc_lo, s16, v3
	v_add_co_ci_u32_e32 v4, vcc_lo, s17, v4, vcc_lo
	flat_load_b64 v[3:4], v[3:4]
	s_waitcnt vmcnt(0) lgkmcnt(0)
	v_mul_f64 v[3:4], v[3:4], s[8:9]
.LBB155_7:
	s_clause 0x1
	s_load_b64 s[2:3], s[0:1], 0x48
	s_load_b32 s4, s[0:1], 0x40
	s_delay_alu instid0(VALU_DEP_1)
	v_cmp_nlt_f64_e32 vcc_lo, 0, v[3:4]
	v_lshlrev_b64 v[0:1], 3, v[0:1]
	s_waitcnt lgkmcnt(0)
	s_mul_i32 s1, s15, s3
	s_mul_hi_u32 s3, s15, s2
	s_mul_i32 s0, s15, s2
	s_add_i32 s1, s3, s1
	v_mul_lo_u32 v2, v2, s4
	s_lshl_b64 s[0:1], s[0:1], 3
	v_mad_u64_u32 v[6:7], null, v5, s4, 0
	s_add_u32 s2, s6, s0
	s_addc_u32 s3, s7, s1
	s_lshl_b64 s[0:1], s[12:13], 3
	s_delay_alu instid0(SALU_CYCLE_1) | instskip(SKIP_2) | instid1(SALU_CYCLE_1)
	s_add_u32 s0, s2, s0
	s_addc_u32 s1, s3, s1
	s_ashr_i32 s2, s4, 31
	v_mul_lo_u32 v5, v5, s2
	s_delay_alu instid0(VALU_DEP_1) | instskip(SKIP_1) | instid1(VALU_DEP_2)
	v_add3_u32 v7, v7, v5, v2
	v_cndmask_b32_e32 v2, 0, v4, vcc_lo
	v_lshlrev_b64 v[5:6], 3, v[6:7]
	s_delay_alu instid0(VALU_DEP_1) | instskip(NEXT) | instid1(VALU_DEP_1)
	v_add_co_u32 v5, s0, s0, v5
	v_add_co_ci_u32_e64 v6, s0, s1, v6, s0
	s_delay_alu instid0(VALU_DEP_2) | instskip(NEXT) | instid1(VALU_DEP_1)
	v_add_co_u32 v4, s0, v5, v0
	v_add_co_ci_u32_e64 v5, s0, v6, v1, s0
	v_cndmask_b32_e32 v1, 0, v3, vcc_lo
	global_store_b64 v[4:5], v[1:2], off
.LBB155_8:
	s_nop 0
	s_sendmsg sendmsg(MSG_DEALLOC_VGPRS)
	s_endpgm
	.section	.rodata,"a",@progbits
	.p2align	6, 0x0
	.amdhsa_kernel _ZN12_GLOBAL__N_120geam_ex_round_kernelILi32ELi32EddPKdPdEEviiT2_T3_lilT4_lil
		.amdhsa_group_segment_fixed_size 0
		.amdhsa_private_segment_fixed_size 0
		.amdhsa_kernarg_size 80
		.amdhsa_user_sgpr_count 14
		.amdhsa_user_sgpr_dispatch_ptr 0
		.amdhsa_user_sgpr_queue_ptr 0
		.amdhsa_user_sgpr_kernarg_segment_ptr 1
		.amdhsa_user_sgpr_dispatch_id 0
		.amdhsa_user_sgpr_private_segment_size 0
		.amdhsa_wavefront_size32 1
		.amdhsa_uses_dynamic_stack 0
		.amdhsa_enable_private_segment 0
		.amdhsa_system_sgpr_workgroup_id_x 1
		.amdhsa_system_sgpr_workgroup_id_y 0
		.amdhsa_system_sgpr_workgroup_id_z 1
		.amdhsa_system_sgpr_workgroup_info 0
		.amdhsa_system_vgpr_workitem_id 1
		.amdhsa_next_free_vgpr 8
		.amdhsa_next_free_sgpr 20
		.amdhsa_reserve_vcc 1
		.amdhsa_float_round_mode_32 0
		.amdhsa_float_round_mode_16_64 0
		.amdhsa_float_denorm_mode_32 3
		.amdhsa_float_denorm_mode_16_64 3
		.amdhsa_dx10_clamp 1
		.amdhsa_ieee_mode 1
		.amdhsa_fp16_overflow 0
		.amdhsa_workgroup_processor_mode 1
		.amdhsa_memory_ordered 1
		.amdhsa_forward_progress 0
		.amdhsa_shared_vgpr_count 0
		.amdhsa_exception_fp_ieee_invalid_op 0
		.amdhsa_exception_fp_denorm_src 0
		.amdhsa_exception_fp_ieee_div_zero 0
		.amdhsa_exception_fp_ieee_overflow 0
		.amdhsa_exception_fp_ieee_underflow 0
		.amdhsa_exception_fp_ieee_inexact 0
		.amdhsa_exception_int_div_zero 0
	.end_amdhsa_kernel
	.section	.text._ZN12_GLOBAL__N_120geam_ex_round_kernelILi32ELi32EddPKdPdEEviiT2_T3_lilT4_lil,"axG",@progbits,_ZN12_GLOBAL__N_120geam_ex_round_kernelILi32ELi32EddPKdPdEEviiT2_T3_lilT4_lil,comdat
.Lfunc_end155:
	.size	_ZN12_GLOBAL__N_120geam_ex_round_kernelILi32ELi32EddPKdPdEEviiT2_T3_lilT4_lil, .Lfunc_end155-_ZN12_GLOBAL__N_120geam_ex_round_kernelILi32ELi32EddPKdPdEEviiT2_T3_lilT4_lil
                                        ; -- End function
	.section	.AMDGPU.csdata,"",@progbits
; Kernel info:
; codeLenInByte = 704
; NumSgprs: 22
; NumVgprs: 8
; ScratchSize: 0
; MemoryBound: 0
; FloatMode: 240
; IeeeMode: 1
; LDSByteSize: 0 bytes/workgroup (compile time only)
; SGPRBlocks: 2
; VGPRBlocks: 0
; NumSGPRsForWavesPerEU: 22
; NumVGPRsForWavesPerEU: 8
; Occupancy: 16
; WaveLimiterHint : 0
; COMPUTE_PGM_RSRC2:SCRATCH_EN: 0
; COMPUTE_PGM_RSRC2:USER_SGPR: 14
; COMPUTE_PGM_RSRC2:TRAP_HANDLER: 0
; COMPUTE_PGM_RSRC2:TGID_X_EN: 1
; COMPUTE_PGM_RSRC2:TGID_Y_EN: 0
; COMPUTE_PGM_RSRC2:TGID_Z_EN: 1
; COMPUTE_PGM_RSRC2:TIDIG_COMP_CNT: 1
	.section	.text._ZN12_GLOBAL__N_120geam_min_plus_kernelId15HIP_vector_typeIdLj2EEdLi32ELi8ELi256ELi64ELi4ELi64ELi4ELi4ELi64ELc78ELc78ELb0ELb0ELb1EPKdS3_dEEviiiT16_PT17_ilS7_ilS5_S7_ilPT18_ili26rocblas_geam_ex_operation_,"axG",@progbits,_ZN12_GLOBAL__N_120geam_min_plus_kernelId15HIP_vector_typeIdLj2EEdLi32ELi8ELi256ELi64ELi4ELi64ELi4ELi4ELi64ELc78ELc78ELb0ELb0ELb1EPKdS3_dEEviiiT16_PT17_ilS7_ilS5_S7_ilPT18_ili26rocblas_geam_ex_operation_,comdat
	.globl	_ZN12_GLOBAL__N_120geam_min_plus_kernelId15HIP_vector_typeIdLj2EEdLi32ELi8ELi256ELi64ELi4ELi64ELi4ELi4ELi64ELc78ELc78ELb0ELb0ELb1EPKdS3_dEEviiiT16_PT17_ilS7_ilS5_S7_ilPT18_ili26rocblas_geam_ex_operation_ ; -- Begin function _ZN12_GLOBAL__N_120geam_min_plus_kernelId15HIP_vector_typeIdLj2EEdLi32ELi8ELi256ELi64ELi4ELi64ELi4ELi4ELi64ELc78ELc78ELb0ELb0ELb1EPKdS3_dEEviiiT16_PT17_ilS7_ilS5_S7_ilPT18_ili26rocblas_geam_ex_operation_
	.p2align	8
	.type	_ZN12_GLOBAL__N_120geam_min_plus_kernelId15HIP_vector_typeIdLj2EEdLi32ELi8ELi256ELi64ELi4ELi64ELi4ELi4ELi64ELc78ELc78ELb0ELb0ELb1EPKdS3_dEEviiiT16_PT17_ilS7_ilS5_S7_ilPT18_ili26rocblas_geam_ex_operation_,@function
_ZN12_GLOBAL__N_120geam_min_plus_kernelId15HIP_vector_typeIdLj2EEdLi32ELi8ELi256ELi64ELi4ELi64ELi4ELi4ELi64ELc78ELc78ELb0ELb0ELb1EPKdS3_dEEviiiT16_PT17_ilS7_ilS5_S7_ilPT18_ili26rocblas_geam_ex_operation_: ; @_ZN12_GLOBAL__N_120geam_min_plus_kernelId15HIP_vector_typeIdLj2EEdLi32ELi8ELi256ELi64ELi4ELi64ELi4ELi4ELi64ELc78ELc78ELb0ELb0ELb1EPKdS3_dEEviiiT16_PT17_ilS7_ilS5_S7_ilPT18_ili26rocblas_geam_ex_operation_
; %bb.0:
	s_clause 0x1
	s_load_b128 s[8:11], s[0:1], 0x10
	s_load_b128 s[4:7], s[0:1], 0x28
	s_mov_b32 s12, s15
	s_mov_b32 s13, 0
	s_mov_b64 s[22:23], 0
	s_lshl_b64 s[2:3], s[12:13], 3
	s_waitcnt lgkmcnt(0)
	s_add_u32 s8, s8, s2
	s_addc_u32 s9, s9, s3
	s_load_b64 s[20:21], s[8:9], 0x0
	s_clause 0x1
	s_load_b128 s[16:19], s[0:1], 0x40
	s_load_b64 s[24:25], s[0:1], 0x50
	s_waitcnt lgkmcnt(0)
	s_add_u32 s2, s18, s2
	v_cmp_eq_f64_e64 s8, s[20:21], 0
	v_cmp_neq_f64_e64 s13, s[20:21], 0
	s_addc_u32 s3, s19, s3
	s_mov_b64 s[18:19], 0
	s_delay_alu instid0(VALU_DEP_2)
	s_and_b32 vcc_lo, exec_lo, s8
	s_cbranch_vccnz .LBB156_2
; %bb.1:
	s_mul_i32 s5, s12, s5
	s_mul_hi_u32 s8, s12, s4
	s_mul_i32 s4, s12, s4
	s_add_i32 s5, s8, s5
	s_delay_alu instid0(SALU_CYCLE_1) | instskip(NEXT) | instid1(SALU_CYCLE_1)
	s_lshl_b64 s[4:5], s[4:5], 3
	s_add_u32 s18, s10, s4
	s_addc_u32 s19, s11, s5
.LBB156_2:
	s_load_b64 s[8:9], s[2:3], 0x0
	s_delay_alu instid0(VALU_DEP_1) | instskip(SKIP_1) | instid1(VALU_DEP_1)
	v_cndmask_b32_e64 v1, 0, 1, s13
	s_and_not1_b32 vcc_lo, exec_lo, s13
	v_cmp_ne_u32_e64 s3, 1, v1
	s_cbranch_vccnz .LBB156_4
; %bb.3:
	s_mul_i32 s2, s12, s17
	s_mul_hi_u32 s4, s12, s16
	s_delay_alu instid0(SALU_CYCLE_1) | instskip(SKIP_1) | instid1(SALU_CYCLE_1)
	s_add_i32 s5, s4, s2
	s_mul_i32 s4, s12, s16
	s_lshl_b64 s[4:5], s[4:5], 3
	s_delay_alu instid0(SALU_CYCLE_1)
	s_add_u32 s22, s6, s4
	s_addc_u32 s23, s7, s5
.LBB156_4:
	s_waitcnt lgkmcnt(0)
	v_cmp_eq_f64_e64 s2, s[8:9], 0
	s_load_b128 s[4:7], s[0:1], 0x60
	s_mov_b64 s[10:11], 0
	s_delay_alu instid0(VALU_DEP_1) | instskip(NEXT) | instid1(SALU_CYCLE_1)
	s_and_b32 s2, exec_lo, s2
	s_mov_b32 vcc_lo, s2
	s_cbranch_vccnz .LBB156_6
; %bb.5:
	s_waitcnt lgkmcnt(0)
	s_mul_i32 s5, s12, s5
	s_mul_hi_u32 s10, s12, s4
	s_mul_i32 s4, s12, s4
	s_add_i32 s5, s10, s5
	s_delay_alu instid0(SALU_CYCLE_1) | instskip(NEXT) | instid1(SALU_CYCLE_1)
	s_lshl_b64 s[4:5], s[4:5], 3
	s_add_u32 s10, s24, s4
	s_addc_u32 s11, s25, s5
.LBB156_6:
	s_waitcnt lgkmcnt(0)
	s_clause 0x1
	s_load_b32 s4, s[0:1], 0x0
	s_load_b32 s13, s[0:1], 0x20
	v_and_b32_e32 v2, 0x3ff, v0
	v_bfe_u32 v111, v0, 10, 10
	s_delay_alu instid0(VALU_DEP_2) | instskip(NEXT) | instid1(VALU_DEP_2)
	v_mov_b32_e32 v45, v2
	v_lshl_add_u32 v6, v111, 5, v2
	s_delay_alu instid0(VALU_DEP_1)
	v_lshrrev_b32_e32 v2, 6, v6
	v_and_b32_e32 v77, 63, v6
	scratch_store_b32 off, v2, off offset:364 ; 4-byte Folded Spill
	s_waitcnt lgkmcnt(0)
	s_add_i32 s4, s4, -1
	s_ashr_i32 s15, s13, 31
	s_ashr_i32 s5, s4, 31
	s_delay_alu instid0(SALU_CYCLE_1) | instskip(NEXT) | instid1(SALU_CYCLE_1)
	s_lshr_b32 s5, s5, 24
	s_add_i32 s4, s4, s5
	s_delay_alu instid0(SALU_CYCLE_1) | instskip(NEXT) | instid1(SALU_CYCLE_1)
	s_ashr_i32 s4, s4, 8
	s_add_i32 s16, s4, 1
	s_not_b32 s4, s4
	v_cvt_f32_u32_e32 v1, s16
	s_delay_alu instid0(VALU_DEP_1) | instskip(SKIP_2) | instid1(VALU_DEP_1)
	v_rcp_iflag_f32_e32 v1, v1
	s_waitcnt_depctr 0xfff
	v_mul_f32_e32 v1, 0x4f7ffffe, v1
	v_cvt_u32_f32_e32 v1, v1
	s_delay_alu instid0(VALU_DEP_1) | instskip(SKIP_1) | instid1(VALU_DEP_2)
	v_readfirstlane_b32 s5, v1
	v_mad_i64_i32 v[0:1], null, s13, v2, 0
	s_mul_i32 s4, s4, s5
	s_delay_alu instid0(SALU_CYCLE_1) | instskip(NEXT) | instid1(VALU_DEP_1)
	s_mul_hi_u32 s4, s5, s4
	v_lshlrev_b64 v[0:1], 3, v[0:1]
	s_add_i32 s5, s5, s4
	s_delay_alu instid0(SALU_CYCLE_1) | instskip(NEXT) | instid1(SALU_CYCLE_1)
	s_mul_hi_u32 s4, s14, s5
	s_mul_i32 s5, s4, s16
	s_add_i32 s17, s4, 1
	s_sub_i32 s5, s14, s5
	v_add_co_u32 v7, vcc_lo, s18, v0
	s_sub_i32 s24, s5, s16
	s_cmp_ge_u32 s5, s16
	v_add_co_ci_u32_e32 v8, vcc_lo, s19, v1, vcc_lo
	s_cselect_b32 s4, s17, s4
	s_cselect_b32 s5, s24, s5
	s_add_i32 s17, s4, 1
	s_cmp_ge_u32 s5, s16
	s_cselect_b32 s5, s17, s4
	s_and_b32 vcc_lo, exec_lo, s3
	s_mul_i32 s4, s5, s16
	s_delay_alu instid0(SALU_CYCLE_1) | instskip(NEXT) | instid1(SALU_CYCLE_1)
	s_sub_i32 s4, s14, s4
	s_lshl_b32 s4, s4, 8
	s_delay_alu instid0(SALU_CYCLE_1) | instskip(NEXT) | instid1(VALU_DEP_1)
	v_or_b32_e32 v218, s4, v77
	v_ashrrev_i32_e32 v219, 31, v218
	s_cbranch_vccnz .LBB156_9
; %bb.7:
	s_delay_alu instid0(VALU_DEP_1) | instskip(NEXT) | instid1(VALU_DEP_1)
	v_lshlrev_b64 v[0:1], 3, v[218:219]
	v_add_co_u32 v0, vcc_lo, v7, v0
	s_delay_alu instid0(VALU_DEP_2)
	v_add_co_ci_u32_e32 v1, vcc_lo, v8, v1, vcc_lo
	s_clause 0x1
	flat_load_b64 v[2:3], v[0:1]
	flat_load_b64 v[9:10], v[0:1] offset:512
	s_waitcnt vmcnt(1) lgkmcnt(1)
	v_mul_f64 v[0:1], s[20:21], v[2:3]
	s_waitcnt vmcnt(0) lgkmcnt(0)
	v_mul_f64 v[2:3], s[20:21], v[9:10]
	s_and_b32 vcc_lo, exec_lo, s3
	s_cbranch_vccnz .LBB156_10
.LBB156_8:
	v_lshlrev_b64 v[9:10], 3, v[218:219]
	s_delay_alu instid0(VALU_DEP_1) | instskip(NEXT) | instid1(VALU_DEP_2)
	v_add_co_u32 v7, vcc_lo, v7, v9
	v_add_co_ci_u32_e32 v8, vcc_lo, v8, v10, vcc_lo
	s_clause 0x1
	flat_load_b64 v[9:10], v[7:8] offset:1024
	flat_load_b64 v[7:8], v[7:8] offset:1536
	s_waitcnt vmcnt(1) lgkmcnt(1)
	v_mul_f64 v[16:17], s[20:21], v[9:10]
	s_waitcnt vmcnt(0) lgkmcnt(0)
	v_mul_f64 v[18:19], s[20:21], v[7:8]
	s_branch .LBB156_11
.LBB156_9:
	v_mov_b32_e32 v0, 0
	v_dual_mov_b32 v1, 0 :: v_dual_mov_b32 v2, 0
	v_mov_b32_e32 v3, 0
	s_and_b32 vcc_lo, exec_lo, s3
	s_cbranch_vccz .LBB156_8
.LBB156_10:
	v_mov_b32_e32 v16, 0
	v_dual_mov_b32 v17, 0 :: v_dual_mov_b32 v18, 0
	v_mov_b32_e32 v19, 0
.LBB156_11:
	s_load_b32 s16, s[0:1], 0x38
	v_lshrrev_b32_e32 v24, 2, v6
	v_and_b32_e32 v4, 3, v45
	s_lshl_b32 s5, s5, 6
	s_and_b32 vcc_lo, exec_lo, s3
	s_delay_alu instid0(VALU_DEP_2) | instskip(NEXT) | instid1(VALU_DEP_2)
	v_add_nc_u32_e32 v224, s5, v24
	v_lshlrev_b32_e32 v25, 3, v4
	scratch_store_b32 off, v4, off offset:360 ; 4-byte Folded Spill
	s_cbranch_vccnz .LBB156_13
; %bb.12:
	s_waitcnt lgkmcnt(0)
	v_mad_i64_i32 v[6:7], null, v224, s16, 0
	s_delay_alu instid0(VALU_DEP_1) | instskip(NEXT) | instid1(VALU_DEP_1)
	v_lshlrev_b64 v[6:7], 3, v[6:7]
	v_add_co_u32 v4, vcc_lo, s22, v6
	s_delay_alu instid0(VALU_DEP_2) | instskip(NEXT) | instid1(VALU_DEP_2)
	v_add_co_ci_u32_e32 v5, vcc_lo, s23, v7, vcc_lo
	v_add_co_u32 v6, vcc_lo, v4, v25
	s_delay_alu instid0(VALU_DEP_2)
	v_add_co_ci_u32_e32 v7, vcc_lo, 0, v5, vcc_lo
	flat_load_b64 v[6:7], v[6:7]
	s_waitcnt vmcnt(0) lgkmcnt(0)
	v_mul_f64 v[20:21], s[20:21], v[6:7]
	s_branch .LBB156_14
.LBB156_13:
	v_mov_b32_e32 v20, 0
	v_mov_b32_e32 v21, 0
.LBB156_14:
	scratch_load_b32 v4, off, off offset:364 ; 4-byte Folded Reload
	s_waitcnt vmcnt(0)
	v_add_nc_u32_e32 v4, 4, v4
	s_delay_alu instid0(VALU_DEP_1) | instskip(SKIP_2) | instid1(VALU_DEP_1)
	v_mad_i64_i32 v[6:7], null, s13, v4, 0
	scratch_store_b32 off, v4, off offset:368 ; 4-byte Folded Spill
	v_lshlrev_b64 v[6:7], 3, v[6:7]
	v_add_co_u32 v10, vcc_lo, s18, v6
	s_delay_alu instid0(VALU_DEP_2)
	v_add_co_ci_u32_e32 v11, vcc_lo, s19, v7, vcc_lo
	s_and_b32 vcc_lo, exec_lo, s3
	s_cbranch_vccnz .LBB156_18
; %bb.15:
	v_lshlrev_b64 v[6:7], 3, v[218:219]
	s_delay_alu instid0(VALU_DEP_1) | instskip(NEXT) | instid1(VALU_DEP_2)
	v_add_co_u32 v6, vcc_lo, v10, v6
	v_add_co_ci_u32_e32 v7, vcc_lo, v11, v7, vcc_lo
	s_clause 0x1
	flat_load_b64 v[8:9], v[6:7]
	flat_load_b64 v[12:13], v[6:7] offset:512
	s_waitcnt vmcnt(1) lgkmcnt(0)
	v_mul_f64 v[4:5], s[20:21], v[8:9]
	scratch_store_b64 off, v[4:5], off offset:304 ; 8-byte Folded Spill
	s_waitcnt vmcnt(0)
	v_mul_f64 v[4:5], s[20:21], v[12:13]
	s_and_b32 vcc_lo, exec_lo, s3
	scratch_store_b64 off, v[4:5], off offset:312 ; 8-byte Folded Spill
	s_cbranch_vccnz .LBB156_19
.LBB156_16:
	v_lshlrev_b64 v[12:13], 3, v[218:219]
	s_delay_alu instid0(VALU_DEP_1) | instskip(NEXT) | instid1(VALU_DEP_2)
	v_add_co_u32 v10, vcc_lo, v10, v12
	v_add_co_ci_u32_e32 v11, vcc_lo, v11, v13, vcc_lo
	s_clause 0x1
	flat_load_b64 v[12:13], v[10:11] offset:1024
	flat_load_b64 v[14:15], v[10:11] offset:1536
	s_waitcnt vmcnt(1) lgkmcnt(0)
	v_mul_f64 v[4:5], s[20:21], v[12:13]
	scratch_store_b64 off, v[4:5], off offset:320 ; 8-byte Folded Spill
	s_waitcnt vmcnt(0)
	v_mul_f64 v[4:5], s[20:21], v[14:15]
	s_and_b32 vcc_lo, exec_lo, s3
	scratch_store_b64 off, v[4:5], off offset:328 ; 8-byte Folded Spill
	s_cbranch_vccnz .LBB156_20
.LBB156_17:
	s_waitcnt lgkmcnt(0)
	v_mad_i64_i32 v[14:15], null, v224, s16, 0
	s_delay_alu instid0(VALU_DEP_1) | instskip(NEXT) | instid1(VALU_DEP_1)
	v_lshlrev_b64 v[14:15], 3, v[14:15]
	v_add_co_u32 v4, vcc_lo, s22, v14
	s_delay_alu instid0(VALU_DEP_2) | instskip(NEXT) | instid1(VALU_DEP_2)
	v_add_co_ci_u32_e32 v5, vcc_lo, s23, v15, vcc_lo
	v_add_co_u32 v14, vcc_lo, v4, v25
	s_delay_alu instid0(VALU_DEP_2)
	v_add_co_ci_u32_e32 v15, vcc_lo, 0, v5, vcc_lo
	flat_load_b64 v[14:15], v[14:15] offset:32
	s_waitcnt vmcnt(0) lgkmcnt(0)
	v_mul_f64 v[4:5], s[20:21], v[14:15]
	s_branch .LBB156_21
.LBB156_18:
	v_mov_b32_e32 v4, 0
	v_mov_b32_e32 v5, 0
	scratch_store_b64 off, v[4:5], off offset:304 ; 8-byte Folded Spill
	v_mov_b32_e32 v4, 0
	v_mov_b32_e32 v5, 0
	s_and_b32 vcc_lo, exec_lo, s3
	scratch_store_b64 off, v[4:5], off offset:312 ; 8-byte Folded Spill
	s_cbranch_vccz .LBB156_16
.LBB156_19:
	v_mov_b32_e32 v4, 0
	v_mov_b32_e32 v5, 0
	scratch_store_b64 off, v[4:5], off offset:320 ; 8-byte Folded Spill
	v_mov_b32_e32 v4, 0
	v_mov_b32_e32 v5, 0
	s_and_b32 vcc_lo, exec_lo, s3
	scratch_store_b64 off, v[4:5], off offset:328 ; 8-byte Folded Spill
	s_cbranch_vccz .LBB156_17
.LBB156_20:
	v_mov_b32_e32 v4, 0
	v_mov_b32_e32 v5, 0
.LBB156_21:
	scratch_store_b64 off, v[4:5], off offset:336 ; 8-byte Folded Spill
	scratch_load_b32 v4, off, off offset:364 ; 4-byte Folded Reload
	v_lshl_or_b32 v22, v24, 5, v25
	v_dual_mov_b32 v116, 0x7f800000 :: v_dual_mov_b32 v123, 0x7f800000
	v_dual_mov_b32 v122, 0x7f800000 :: v_dual_mov_b32 v129, 0x7f800000
	s_delay_alu instid0(VALU_DEP_3)
	v_add_nc_u32_e32 v5, 0x4000, v22
	v_dual_mov_b32 v126, 0x7f800000 :: v_dual_mov_b32 v137, 0x7f800000
	v_dual_mov_b32 v128, 0x7f800000 :: v_dual_mov_b32 v199, 0x7f800000
	scratch_store_b32 off, v5, off offset:376 ; 4-byte Folded Spill
	v_dual_mov_b32 v130, 0x7f800000 :: v_dual_mov_b32 v83, 0x7f800000
	v_dual_mov_b32 v82, 0x7f800000 :: v_dual_mov_b32 v203, 0x7f800000
	;; [unrolled: 1-line block ×19, first 2 shown]
	v_mov_b32_e32 v95, 0x7f800000
	v_dual_mov_b32 v213, 0x7f800000 :: v_dual_mov_b32 v238, 0x7f800000
	v_dual_mov_b32 v127, 0x7f800000 :: v_dual_mov_b32 v138, 0x7f800000
	;; [unrolled: 1-line block ×7, first 2 shown]
	v_mov_b32_e32 v142, 0x7f800000
	s_mov_b32 s17, 0
	s_mov_b32 s14, -1
	s_waitcnt vmcnt(0)
	v_dual_mov_b32 v117, 0x7f800000 :: v_dual_lshlrev_b32 v4, 3, v4
	s_delay_alu instid0(VALU_DEP_1)
	v_lshl_add_u32 v4, v77, 5, v4
	ds_store_b64 v22, v[20:21] offset:16384
	ds_store_2addr_stride64_b64 v4, v[0:1], v[2:3] offset1:4
	v_mov_b32_e32 v20, 0x7f800000
	scratch_store_b32 off, v4, off offset:372 ; 4-byte Folded Spill
	ds_store_2addr_stride64_b64 v4, v[16:17], v[18:19] offset0:8 offset1:12
	s_waitcnt lgkmcnt(0)
	s_waitcnt_vscnt null, 0x0
	s_barrier
	buffer_gl0_inv
	s_clause 0x1
	scratch_store_b32 off, v45, off offset:300
	scratch_store_b32 off, v111, off
.LBB156_22:                             ; =>This Inner Loop Header: Depth=1
	s_lshl_b32 s17, s17, 3
	v_dual_mov_b32 v212, v95 :: v_dual_mov_b32 v217, v254
	v_lshl_add_u32 v4, v111, 5, s17
	v_lshl_add_u32 v5, v45, 5, s17
	v_mov_b32_e32 v21, v55
	v_mov_b32_e32 v209, v91
	ds_load_b128 v[16:19], v4 offset:16384
	ds_load_b128 v[0:3], v5
	ds_load_b128 v[108:111], v5 offset:1024
	ds_load_b128 v[29:32], v4 offset:16640
	v_mov_b32_e32 v215, v63
	s_mov_b32 s17, 2
	s_and_not1_b32 vcc_lo, exec_lo, s14
	s_mov_b32 s14, 0
	s_waitcnt lgkmcnt(2)
	v_add_f64 v[6:7], v[2:3], v[18:19]
	scratch_store_b64 off, v[6:7], off offset:36 ; 8-byte Folded Spill
	v_add_f64 v[6:7], v[0:1], v[16:17]
	scratch_store_b64 off, v[6:7], off offset:100 ; 8-byte Folded Spill
	s_waitcnt lgkmcnt(1)
	v_add_f64 v[6:7], v[110:111], v[18:19]
	scratch_store_b64 off, v[6:7], off offset:4 ; 8-byte Folded Spill
	v_add_f64 v[6:7], v[108:109], v[16:17]
	scratch_store_b64 off, v[6:7], off offset:68 ; 8-byte Folded Spill
	ds_load_b128 v[33:36], v5 offset:2048
	ds_load_b128 v[37:40], v5 offset:3072
	s_waitcnt lgkmcnt(1)
	v_add_f64 v[6:7], v[35:36], v[18:19]
	scratch_store_b64 off, v[6:7], off offset:44 ; 8-byte Folded Spill
	v_add_f64 v[6:7], v[33:34], v[16:17]
	scratch_store_b64 off, v[6:7], off offset:108 ; 8-byte Folded Spill
	s_waitcnt lgkmcnt(0)
	v_add_f64 v[6:7], v[39:40], v[18:19]
	scratch_store_b64 off, v[6:7], off offset:12 ; 8-byte Folded Spill
	v_add_f64 v[6:7], v[37:38], v[16:17]
	scratch_store_b64 off, v[6:7], off offset:76 ; 8-byte Folded Spill
	ds_load_b128 v[41:44], v5 offset:4096
	ds_load_b128 v[45:48], v5 offset:5120
	;; [unrolled: 1-line block ×4, first 2 shown]
	s_waitcnt lgkmcnt(3)
	v_add_f64 v[6:7], v[43:44], v[18:19]
	scratch_store_b64 off, v[6:7], off offset:52 ; 8-byte Folded Spill
	v_add_f64 v[6:7], v[41:42], v[16:17]
	scratch_store_b64 off, v[6:7], off offset:116 ; 8-byte Folded Spill
	s_waitcnt lgkmcnt(2)
	v_add_f64 v[6:7], v[47:48], v[18:19]
	scratch_store_b64 off, v[6:7], off offset:20 ; 8-byte Folded Spill
	v_add_f64 v[6:7], v[45:46], v[16:17]
	scratch_store_b64 off, v[6:7], off offset:84 ; 8-byte Folded Spill
	;; [unrolled: 5-line block ×4, first 2 shown]
	v_add_f64 v[5:6], v[2:3], v[31:32]
	scratch_store_b64 off, v[5:6], off offset:132 ; 8-byte Folded Spill
	v_add_f64 v[5:6], v[0:1], v[29:30]
	scratch_store_b64 off, v[5:6], off offset:140 ; 8-byte Folded Spill
	;; [unrolled: 2-line block ×16, first 2 shown]
	ds_load_b128 v[16:19], v4 offset:16896
	ds_load_b128 v[29:32], v4 offset:17152
	s_waitcnt lgkmcnt(1)
	v_add_f64 v[5:6], v[43:44], v[18:19]
	v_add_f64 v[102:103], v[2:3], v[18:19]
	v_add_f64 v[98:99], v[0:1], v[16:17]
	v_add_f64 v[174:175], v[110:111], v[18:19]
	v_add_f64 v[94:95], v[108:109], v[16:17]
	v_add_f64 v[182:183], v[35:36], v[18:19]
	v_add_f64 v[90:91], v[33:34], v[16:17]
	v_add_f64 v[186:187], v[39:40], v[18:19]
	v_add_f64 v[176:177], v[37:38], v[16:17]
	v_add_f64 v[180:181], v[41:42], v[16:17]
	v_add_f64 v[184:185], v[45:46], v[16:17]
	v_add_f64 v[188:189], v[49:50], v[16:17]
	s_waitcnt lgkmcnt(0)
	v_add_f64 v[178:179], v[2:3], v[31:32]
	v_add_f64 v[225:226], v[0:1], v[29:30]
	;; [unrolled: 1-line block ×16, first 2 shown]
	scratch_store_b64 off, v[5:6], off offset:292 ; 8-byte Folded Spill
	v_add_f64 v[5:6], v[47:48], v[18:19]
	scratch_store_b64 off, v[5:6], off offset:276 ; 8-byte Folded Spill
	v_add_f64 v[5:6], v[51:52], v[18:19]
	;; [unrolled: 2-line block ×4, first 2 shown]
	scratch_store_b64 off, v[5:6], off offset:284 ; 8-byte Folded Spill
	ds_load_b128 v[16:19], v4 offset:17408
	ds_load_b128 v[29:32], v4 offset:17664
	s_waitcnt lgkmcnt(1)
	v_add_f64 v[78:79], v[2:3], v[18:19]
	v_add_f64 v[6:7], v[0:1], v[16:17]
	;; [unrolled: 1-line block ×16, first 2 shown]
	s_waitcnt lgkmcnt(0)
	v_add_f64 v[172:173], v[2:3], v[31:32]
	v_add_f64 v[168:169], v[0:1], v[29:30]
	;; [unrolled: 1-line block ×16, first 2 shown]
	ds_load_b128 v[16:19], v4 offset:17920
	ds_load_b128 v[29:32], v4 offset:18176
	v_cvt_f32_f64_e32 v6, v[6:7]
	v_cvt_f32_f64_e32 v7, v[78:79]
	s_waitcnt lgkmcnt(1)
	v_add_f64 v[65:66], v[0:1], v[16:17]
	v_add_f64 v[88:89], v[108:109], v[16:17]
	;; [unrolled: 1-line block ×8, first 2 shown]
	s_waitcnt lgkmcnt(0)
	v_add_f64 v[0:1], v[0:1], v[29:30]
	v_add_f64 v[108:109], v[108:109], v[29:30]
	;; [unrolled: 1-line block ×8, first 2 shown]
	scratch_load_b64 v[53:54], off, off offset:100 ; 8-byte Folded Reload
	v_add_f64 v[4:5], v[2:3], v[18:19]
	v_add_f64 v[84:85], v[110:111], v[18:19]
	;; [unrolled: 1-line block ×16, first 2 shown]
	v_mov_b32_e32 v55, v21
	v_min3_f32 v195, v6, v7, v195
	v_cvt_f32_f64_e32 v6, v[10:11]
	v_cvt_f32_f64_e32 v7, v[8:9]
	;; [unrolled: 1-line block ×6, first 2 shown]
	v_min3_f32 v194, v6, v7, v194
	v_cvt_f32_f64_e32 v6, v[14:15]
	v_cvt_f32_f64_e32 v7, v[23:24]
	s_delay_alu instid0(VALU_DEP_4) | instskip(SKIP_2) | instid1(VALU_DEP_4)
	v_min3_f32 v137, v0, v1, v137
	v_cvt_f32_f64_e32 v0, v[108:109]
	v_cvt_f32_f64_e32 v1, v[110:111]
	v_min3_f32 v193, v6, v7, v193
	v_cvt_f32_f64_e32 v6, v[12:13]
	v_cvt_f32_f64_e32 v7, v[144:145]
	s_delay_alu instid0(VALU_DEP_4) | instskip(SKIP_2) | instid1(VALU_DEP_4)
	v_min3_f32 v129, v0, v1, v129
	v_cvt_f32_f64_e32 v0, v[33:34]
	v_cvt_f32_f64_e32 v1, v[35:36]
	v_min3_f32 v192, v6, v7, v192
	v_cvt_f32_f64_e32 v6, v[67:68]
	v_cvt_f32_f64_e32 v7, v[146:147]
	s_delay_alu instid0(VALU_DEP_4) | instskip(SKIP_2) | instid1(VALU_DEP_1)
	v_min3_f32 v128, v0, v1, v128
	v_cvt_f32_f64_e32 v0, v[37:38]
	v_cvt_f32_f64_e32 v1, v[39:40]
	v_min3_f32 v126, v0, v1, v126
	v_cvt_f32_f64_e32 v0, v[41:42]
	v_cvt_f32_f64_e32 v1, v[43:44]
	s_delay_alu instid0(VALU_DEP_1)
	v_min3_f32 v123, v0, v1, v123
	v_cvt_f32_f64_e32 v0, v[45:46]
	v_cvt_f32_f64_e32 v1, v[47:48]
	s_clause 0x1
	scratch_load_b32 v45, off, off offset:300
	scratch_load_b32 v111, off, off
	v_min3_f32 v122, v0, v1, v122
	v_cvt_f32_f64_e32 v0, v[49:50]
	v_cvt_f32_f64_e32 v1, v[51:52]
	s_waitcnt vmcnt(2)
	v_cvt_f32_f64_e32 v21, v[53:54]
	scratch_load_b64 v[53:54], off, off offset:36 ; 8-byte Folded Reload
	v_min3_f32 v117, v0, v1, v117
	v_cvt_f32_f64_e32 v0, v[29:30]
	v_cvt_f32_f64_e32 v1, v[31:32]
	s_delay_alu instid0(VALU_DEP_1)
	v_min3_f32 v116, v0, v1, v116
	s_waitcnt vmcnt(0)
	v_cvt_f32_f64_e32 v25, v[53:54]
	scratch_load_b64 v[53:54], off, off offset:68 ; 8-byte Folded Reload
	v_min3_f32 v143, v21, v25, v143
	s_waitcnt vmcnt(0)
	v_cvt_f32_f64_e32 v21, v[53:54]
	scratch_load_b64 v[53:54], off, off offset:4 ; 8-byte Folded Reload
	s_waitcnt vmcnt(0)
	v_cvt_f32_f64_e32 v25, v[53:54]
	scratch_load_b64 v[53:54], off, off offset:108 ; 8-byte Folded Reload
	v_min3_f32 v142, v21, v25, v142
	s_waitcnt vmcnt(0)
	v_cvt_f32_f64_e32 v21, v[53:54]
	scratch_load_b64 v[53:54], off, off offset:44 ; 8-byte Folded Reload
	;; [unrolled: 7-line block ×15, first 2 shown]
	s_waitcnt vmcnt(0)
	v_cvt_f32_f64_e32 v25, v[53:54]
	scratch_load_b64 v[53:54], off, off offset:292 ; 8-byte Folded Reload
	v_min3_f32 v214, v21, v25, v214
	v_cvt_f32_f64_e32 v21, v[98:99]
	v_cvt_f32_f64_e32 v25, v[102:103]
	s_delay_alu instid0(VALU_DEP_1) | instskip(SKIP_3) | instid1(VALU_DEP_1)
	v_min3_f32 v213, v21, v25, v213
	v_cvt_f32_f64_e32 v21, v[94:95]
	v_cvt_f32_f64_e32 v25, v[174:175]
	v_mov_b32_e32 v95, v212
	v_min3_f32 v95, v21, v25, v95
	v_cvt_f32_f64_e32 v21, v[90:91]
	v_cvt_f32_f64_e32 v25, v[182:183]
	v_mov_b32_e32 v91, v209
	s_delay_alu instid0(VALU_DEP_2) | instskip(SKIP_2) | instid1(VALU_DEP_1)
	v_min3_f32 v211, v21, v25, v211
	v_cvt_f32_f64_e32 v21, v[176:177]
	v_cvt_f32_f64_e32 v25, v[186:187]
	v_min3_f32 v210, v21, v25, v210
	v_cvt_f32_f64_e32 v21, v[180:181]
	s_waitcnt vmcnt(0)
	v_cvt_f32_f64_e32 v25, v[53:54]
	scratch_load_b64 v[53:54], off, off offset:276 ; 8-byte Folded Reload
	v_min3_f32 v91, v21, v25, v91
	v_cvt_f32_f64_e32 v21, v[184:185]
	s_waitcnt vmcnt(0)
	v_cvt_f32_f64_e32 v25, v[53:54]
	scratch_load_b64 v[53:54], off, off offset:268 ; 8-byte Folded Reload
	;; [unrolled: 5-line block ×3, first 2 shown]
	v_min3_f32 v55, v21, v25, v55
	s_waitcnt vmcnt(0)
	v_cvt_f32_f64_e32 v21, v[53:54]
	scratch_load_b64 v[53:54], off, off offset:260 ; 8-byte Folded Reload
	s_waitcnt vmcnt(0)
	v_cvt_f32_f64_e32 v25, v[53:54]
	s_delay_alu instid0(VALU_DEP_1) | instskip(SKIP_2) | instid1(VALU_DEP_1)
	v_min3_f32 v207, v21, v25, v207
	v_cvt_f32_f64_e32 v21, v[225:226]
	v_cvt_f32_f64_e32 v25, v[178:179]
	v_min3_f32 v206, v21, v25, v206
	v_cvt_f32_f64_e32 v21, v[229:230]
	v_cvt_f32_f64_e32 v25, v[227:228]
	s_delay_alu instid0(VALU_DEP_1) | instskip(SKIP_2) | instid1(VALU_DEP_1)
	v_min3_f32 v205, v21, v25, v205
	v_cvt_f32_f64_e32 v21, v[233:234]
	v_cvt_f32_f64_e32 v25, v[231:232]
	v_min3_f32 v243, v21, v25, v243
	v_cvt_f32_f64_e32 v21, v[80:81]
	;; [unrolled: 7-line block ×4, first 2 shown]
	v_mov_b32_e32 v254, v217
	v_cvt_f32_f64_e32 v25, v[251:252]
	s_delay_alu instid0(VALU_DEP_2) | instskip(SKIP_2) | instid1(VALU_DEP_4)
	v_min3_f32 v254, v6, v7, v254
	v_cvt_f32_f64_e32 v6, v[120:121]
	v_cvt_f32_f64_e32 v7, v[27:28]
	v_min3_f32 v196, v21, v25, v196
	s_delay_alu instid0(VALU_DEP_2) | instskip(SKIP_3) | instid1(VALU_DEP_2)
	v_min3_f32 v242, v6, v7, v242
	v_cvt_f32_f64_e32 v6, v[57:58]
	v_cvt_f32_f64_e32 v7, v[63:64]
	v_mov_b32_e32 v63, v215
	v_min3_f32 v220, v6, v7, v220
	v_cvt_f32_f64_e32 v6, v[112:113]
	v_cvt_f32_f64_e32 v7, v[69:70]
	s_delay_alu instid0(VALU_DEP_1) | instskip(SKIP_2) | instid1(VALU_DEP_1)
	v_min3_f32 v191, v6, v7, v191
	v_cvt_f32_f64_e32 v6, v[168:169]
	v_cvt_f32_f64_e32 v7, v[172:173]
	v_min3_f32 v132, v6, v7, v132
	v_cvt_f32_f64_e32 v6, v[164:165]
	v_cvt_f32_f64_e32 v7, v[170:171]
	s_delay_alu instid0(VALU_DEP_1) | instskip(SKIP_2) | instid1(VALU_DEP_1)
	v_min3_f32 v223, v6, v7, v223
	v_cvt_f32_f64_e32 v6, v[160:161]
	v_cvt_f32_f64_e32 v7, v[166:167]
	;; [unrolled: 7-line block ×4, first 2 shown]
	v_min3_f32 v255, v6, v7, v255
	v_cvt_f32_f64_e32 v6, v[71:72]
	v_cvt_f32_f64_e32 v7, v[59:60]
	s_delay_alu instid0(VALU_DEP_1) | instskip(SKIP_1) | instid1(VALU_DEP_1)
	v_min3_f32 v244, v6, v7, v244
	v_cvt_f32_f64_e32 v6, v[65:66]
	v_min3_f32 v241, v6, v4, v241
	v_cvt_f32_f64_e32 v4, v[88:89]
	s_delay_alu instid0(VALU_DEP_1) | instskip(SKIP_2) | instid1(VALU_DEP_1)
	v_min3_f32 v237, v4, v5, v237
	v_cvt_f32_f64_e32 v4, v[221:222]
	v_cvt_f32_f64_e32 v5, v[92:93]
	v_min3_f32 v204, v4, v5, v204
	v_cvt_f32_f64_e32 v4, v[61:62]
	v_cvt_f32_f64_e32 v5, v[96:97]
	s_delay_alu instid0(VALU_DEP_1) | instskip(SKIP_2) | instid1(VALU_DEP_1)
	v_min3_f32 v203, v4, v5, v203
	v_cvt_f32_f64_e32 v4, v[75:76]
	v_cvt_f32_f64_e32 v5, v[100:101]
	v_min3_f32 v83, v4, v5, v83
	v_cvt_f32_f64_e32 v4, v[124:125]
	;; [unrolled: 7-line block ×3, first 2 shown]
	v_cvt_f32_f64_e32 v5, v[18:19]
	s_delay_alu instid0(VALU_DEP_1)
	v_min3_f32 v130, v4, v5, v130
	s_cbranch_vccz .LBB156_22
; %bb.23:
	scratch_load_b32 v1, off, off offset:364 ; 4-byte Folded Reload
	v_dual_mov_b32 v221, v191 :: v_dual_lshlrev_b32 v0, 5, v77
	s_load_b32 s17, s[0:1], 0x8
	v_dual_mov_b32 v90, v205 :: v_dual_mov_b32 v105, v214
	v_dual_mov_b32 v43, v213 :: v_dual_mov_b32 v94, v211
	v_dual_mov_b32 v103, v206 :: v_dual_mov_b32 v106, v201
	v_dual_mov_b32 v107, v202 :: v_dual_mov_b32 v68, v197
	v_dual_mov_b32 v69, v198 :: v_dual_mov_b32 v74, v195
	v_dual_mov_b32 v75, v196 :: v_dual_mov_b32 v72, v193
	v_dual_mov_b32 v73, v194 :: v_dual_mov_b32 v222, v132
	v_dual_mov_b32 v71, v192 :: v_dual_mov_b32 v40, v131
	s_mov_b32 s14, 8
	s_waitcnt lgkmcnt(0)
	s_cmp_gt_i32 s17, 8
	s_waitcnt vmcnt(0)
	v_lshl_add_u32 v0, v1, 3, v0
	s_clause 0x1
	scratch_load_b64 v[1:2], off, off offset:304
	scratch_load_b64 v[3:4], off, off offset:312
	s_waitcnt vmcnt(0)
	ds_store_2addr_stride64_b64 v0, v[1:2], v[3:4] offset0:16 offset1:20
	s_clause 0x1
	scratch_load_b64 v[1:2], off, off offset:320
	scratch_load_b64 v[3:4], off, off offset:328
	s_waitcnt vmcnt(0)
	ds_store_2addr_stride64_b64 v0, v[1:2], v[3:4] offset0:24 offset1:28
	scratch_load_b64 v[1:2], off, off offset:336 ; 8-byte Folded Reload
	s_waitcnt vmcnt(0)
	ds_store_b64 v22, v[1:2] offset:18432
	s_waitcnt lgkmcnt(0)
	s_waitcnt_vscnt null, 0x0
	s_barrier
	buffer_gl0_inv
	s_cbranch_scc0 .LBB156_50
; %bb.24:
	v_mad_i64_i32 v[1:2], null, v224, s16, 0
	v_add_nc_u32_e32 v0, 0x2000, v0
	v_mov_b32_e32 v152, v40
	v_mov_b32_e32 v70, v72
	s_add_i32 s16, s17, -8
	s_mov_b32 s17, 0
	scratch_store_b32 off, v0, off offset:380 ; 4-byte Folded Spill
	v_lshlrev_b64 v[1:2], 3, v[1:2]
	v_add_nc_u32_e32 v0, 0x4800, v22
	scratch_store_b32 off, v0, off offset:384 ; 4-byte Folded Spill
	v_add_co_u32 v0, vcc_lo, s22, v1
	v_add_co_ci_u32_e32 v1, vcc_lo, s23, v2, vcc_lo
	v_lshlrev_b64 v[2:3], 3, v[218:219]
	s_clause 0x1
	scratch_store_b64 off, v[2:3], off offset:304
	scratch_store_b32 off, v0, off offset:388
	v_add_co_u32 v0, vcc_lo, v0, 32
	s_clause 0x1
	scratch_store_b32 off, v0, off offset:396
	scratch_store_b32 off, v1, off offset:392
	v_add_co_ci_u32_e32 v0, vcc_lo, 0, v1, vcc_lo
	v_mov_b32_e32 v1, 0
	s_clause 0x1
	scratch_store_b32 off, v0, off offset:400
	scratch_store_b64 off, v[0:1], off offset:312
.LBB156_25:                             ; =>This Loop Header: Depth=1
                                        ;     Child Loop BB156_35 Depth 2
                                        ;     Child Loop BB156_46 Depth 2
	scratch_load_b32 v0, off, off offset:364 ; 4-byte Folded Reload
	v_dual_mov_b32 v72, v74 :: v_dual_mov_b32 v65, v103
	s_waitcnt vmcnt(0)
	v_dual_mov_b32 v51, v94 :: v_dual_add_nc_u32 v4, s14, v0
	s_delay_alu instid0(VALU_DEP_1) | instskip(NEXT) | instid1(VALU_DEP_1)
	v_mad_u64_u32 v[0:1], null, v4, s13, 0
	v_mad_u64_u32 v[2:3], null, v4, s15, v[1:2]
	s_delay_alu instid0(VALU_DEP_1) | instskip(NEXT) | instid1(VALU_DEP_1)
	v_mov_b32_e32 v1, v2
	v_lshlrev_b64 v[0:1], 3, v[0:1]
	s_delay_alu instid0(VALU_DEP_1) | instskip(NEXT) | instid1(VALU_DEP_2)
	v_add_co_u32 v0, vcc_lo, s18, v0
	v_add_co_ci_u32_e32 v1, vcc_lo, s19, v1, vcc_lo
	s_and_b32 vcc_lo, exec_lo, s3
	s_cbranch_vccnz .LBB156_27
; %bb.26:                               ;   in Loop: Header=BB156_25 Depth=1
	scratch_load_b64 v[2:3], off, off offset:304 ; 8-byte Folded Reload
	s_waitcnt vmcnt(0)
	v_add_co_u32 v2, vcc_lo, v0, v2
	v_add_co_ci_u32_e32 v3, vcc_lo, v1, v3, vcc_lo
	s_clause 0x1
	flat_load_b64 v[8:9], v[2:3]
	flat_load_b64 v[2:3], v[2:3] offset:512
	s_waitcnt vmcnt(1) lgkmcnt(1)
	v_mul_f64 v[4:5], s[20:21], v[8:9]
	s_waitcnt vmcnt(0) lgkmcnt(0)
	v_mul_f64 v[2:3], s[20:21], v[2:3]
	scratch_store_b64 off, v[4:5], off offset:292 ; 8-byte Folded Spill
	s_branch .LBB156_28
.LBB156_27:                             ;   in Loop: Header=BB156_25 Depth=1
	v_mov_b32_e32 v2, 0
	v_mov_b32_e32 v3, 0
	scratch_store_b64 off, v[2:3], off offset:292 ; 8-byte Folded Spill
	v_mov_b32_e32 v2, 0
	v_mov_b32_e32 v3, 0
.LBB156_28:                             ;   in Loop: Header=BB156_25 Depth=1
	v_mov_b32_e32 v74, v68
	v_mov_b32_e32 v68, v106
	s_and_b32 vcc_lo, exec_lo, s3
	scratch_store_b64 off, v[2:3], off offset:320 ; 8-byte Folded Spill
	s_cbranch_vccnz .LBB156_30
; %bb.29:                               ;   in Loop: Header=BB156_25 Depth=1
	scratch_load_b64 v[2:3], off, off offset:304 ; 8-byte Folded Reload
	s_waitcnt vmcnt(0)
	v_add_co_u32 v0, vcc_lo, v0, v2
	v_add_co_ci_u32_e32 v1, vcc_lo, v1, v3, vcc_lo
	s_clause 0x1
	flat_load_b64 v[2:3], v[0:1] offset:1024
	flat_load_b64 v[0:1], v[0:1] offset:1536
	s_waitcnt vmcnt(1) lgkmcnt(1)
	v_mul_f64 v[2:3], s[20:21], v[2:3]
	s_waitcnt vmcnt(0) lgkmcnt(0)
	v_mul_f64 v[0:1], s[20:21], v[0:1]
	scratch_store_b64 off, v[2:3], off offset:328 ; 8-byte Folded Spill
	s_branch .LBB156_31
.LBB156_30:                             ;   in Loop: Header=BB156_25 Depth=1
	v_mov_b32_e32 v0, 0
	v_mov_b32_e32 v1, 0
	scratch_store_b64 off, v[0:1], off offset:328 ; 8-byte Folded Spill
	v_mov_b32_e32 v0, 0
	v_mov_b32_e32 v1, 0
.LBB156_31:                             ;   in Loop: Header=BB156_25 Depth=1
	v_dual_mov_b32 v62, v216 :: v_dual_mov_b32 v99, v91
	v_mov_b32_e32 v44, v105
	v_mov_b32_e32 v42, v95
	;; [unrolled: 1-line block ×6, first 2 shown]
	v_dual_mov_b32 v243, v107 :: v_dual_mov_b32 v224, v220
	s_and_b32 vcc_lo, exec_lo, s3
	scratch_store_b64 off, v[0:1], off offset:336 ; 8-byte Folded Spill
	s_cbranch_vccnz .LBB156_33
; %bb.32:                               ;   in Loop: Header=BB156_25 Depth=1
	s_clause 0x1
	scratch_load_b32 v0, off, off offset:360
	scratch_load_b64 v[1:2], off, off offset:312
	s_waitcnt vmcnt(0)
	v_mov_b32_e32 v3, v2
	v_or_b32_e32 v2, s14, v0
	s_delay_alu instid0(VALU_DEP_2)
	v_mov_b32_e32 v1, v3
	scratch_store_b64 off, v[0:1], off offset:312 ; 8-byte Folded Spill
	v_lshlrev_b64 v[0:1], 3, v[2:3]
	scratch_load_b32 v2, off, off offset:388 ; 4-byte Folded Reload
	s_waitcnt vmcnt(0)
	v_add_co_u32 v0, vcc_lo, v2, v0
	scratch_load_b32 v2, off, off offset:392 ; 4-byte Folded Reload
	s_waitcnt vmcnt(0)
	v_add_co_ci_u32_e32 v1, vcc_lo, v2, v1, vcc_lo
	flat_load_b64 v[0:1], v[0:1]
	s_waitcnt vmcnt(0) lgkmcnt(0)
	v_mul_f64 v[0:1], s[20:21], v[0:1]
	s_branch .LBB156_34
.LBB156_33:                             ;   in Loop: Header=BB156_25 Depth=1
	v_mov_b32_e32 v0, 0
	v_mov_b32_e32 v1, 0
.LBB156_34:                             ;   in Loop: Header=BB156_25 Depth=1
	v_dual_mov_b32 v64, v90 :: v_dual_mov_b32 v53, v99
	s_mov_b32 s23, 0
	s_mov_b32 s22, -1
	scratch_store_b64 off, v[0:1], off offset:344 ; 8-byte Folded Spill
.LBB156_35:                             ;   Parent Loop BB156_25 Depth=1
                                        ; =>  This Inner Loop Header: Depth=2
	s_lshl_b32 s23, s23, 3
	v_mov_b32_e32 v29, v190
	v_lshl_add_u32 v21, v111, 5, s23
	v_lshl_add_u32 v4, v45, 5, s23
	s_mov_b32 s23, 2
	s_and_not1_b32 vcc_lo, exec_lo, s22
	s_mov_b32 s22, 0
	ds_load_b128 v[46:49], v21 offset:18432
	ds_load_b128 v[0:3], v4 offset:8192
	;; [unrolled: 1-line block ×4, first 2 shown]
	s_waitcnt lgkmcnt(2)
	v_add_f64 v[66:67], v[2:3], v[48:49]
	s_waitcnt lgkmcnt(1)
	v_add_f64 v[5:6], v[157:158], v[48:49]
	v_add_f64 v[144:145], v[0:1], v[46:47]
	scratch_store_b64 off, v[5:6], off offset:4 ; 8-byte Folded Spill
	v_add_f64 v[5:6], v[155:156], v[46:47]
	scratch_store_b64 off, v[5:6], off offset:60 ; 8-byte Folded Spill
	ds_load_b128 v[163:166], v4 offset:10240
	ds_load_b128 v[167:170], v4 offset:11264
	s_waitcnt lgkmcnt(1)
	v_add_f64 v[5:6], v[165:166], v[48:49]
	scratch_store_b64 off, v[5:6], off offset:36 ; 8-byte Folded Spill
	v_add_f64 v[5:6], v[163:164], v[46:47]
	scratch_store_b64 off, v[5:6], off offset:92 ; 8-byte Folded Spill
	s_waitcnt lgkmcnt(0)
	v_add_f64 v[5:6], v[169:170], v[48:49]
	scratch_store_b64 off, v[5:6], off offset:12 ; 8-byte Folded Spill
	v_add_f64 v[5:6], v[167:168], v[46:47]
	scratch_store_b64 off, v[5:6], off offset:68 ; 8-byte Folded Spill
	ds_load_b128 v[171:174], v4 offset:12288
	ds_load_b128 v[175:178], v4 offset:13312
	s_waitcnt lgkmcnt(1)
	v_add_f64 v[5:6], v[173:174], v[48:49]
	scratch_store_b64 off, v[5:6], off offset:44 ; 8-byte Folded Spill
	v_add_f64 v[5:6], v[171:172], v[46:47]
	scratch_store_b64 off, v[5:6], off offset:100 ; 8-byte Folded Spill
	s_waitcnt lgkmcnt(0)
	v_add_f64 v[5:6], v[177:178], v[48:49]
	scratch_store_b64 off, v[5:6], off offset:20 ; 8-byte Folded Spill
	v_add_f64 v[5:6], v[175:176], v[46:47]
	scratch_store_b64 off, v[5:6], off offset:76 ; 8-byte Folded Spill
	ds_load_b128 v[179:182], v4 offset:14336
	ds_load_b128 v[183:186], v4 offset:15360
	;; [unrolled: 1-line block ×3, first 2 shown]
	s_waitcnt lgkmcnt(2)
	v_add_f64 v[4:5], v[181:182], v[48:49]
	s_waitcnt lgkmcnt(0)
	v_add_f64 v[36:37], v[2:3], v[189:190]
	v_add_f64 v[225:226], v[0:1], v[187:188]
	;; [unrolled: 1-line block ×16, first 2 shown]
	scratch_store_b64 off, v[4:5], off offset:52 ; 8-byte Folded Spill
	v_add_f64 v[4:5], v[179:180], v[46:47]
	scratch_store_b64 off, v[4:5], off offset:108 ; 8-byte Folded Spill
	v_add_f64 v[4:5], v[185:186], v[48:49]
	;; [unrolled: 2-line block ×19, first 2 shown]
	ds_load_b128 v[159:162], v21 offset:18944
	s_waitcnt lgkmcnt(0)
	v_add_f64 v[146:147], v[2:3], v[161:162]
	v_add_f64 v[108:109], v[0:1], v[159:160]
	v_add_f64 v[191:192], v[157:158], v[161:162]
	v_add_f64 v[110:111], v[155:156], v[159:160]
	v_add_f64 v[38:39], v[165:166], v[161:162]
	v_add_f64 v[112:113], v[163:164], v[159:160]
	v_add_f64 v[46:47], v[169:170], v[161:162]
	v_add_f64 v[195:196], v[167:168], v[159:160]
	v_add_f64 v[40:41], v[171:172], v[159:160]
	v_add_f64 v[48:49], v[175:176], v[159:160]
	scratch_store_b64 off, v[4:5], off offset:236 ; 8-byte Folded Spill
	v_add_f64 v[4:5], v[173:174], v[161:162]
	scratch_store_b64 off, v[4:5], off offset:276 ; 8-byte Folded Spill
	v_add_f64 v[4:5], v[177:178], v[161:162]
	;; [unrolled: 2-line block ×6, first 2 shown]
	scratch_store_b64 off, v[4:5], off offset:268 ; 8-byte Folded Spill
	ds_load_b128 v[159:162], v21 offset:19456
	ds_load_b128 v[187:190], v21 offset:19712
	s_waitcnt lgkmcnt(1)
	v_add_f64 v[153:154], v[2:3], v[161:162]
	v_add_f64 v[150:151], v[0:1], v[159:160]
	;; [unrolled: 1-line block ×16, first 2 shown]
	s_waitcnt lgkmcnt(0)
	v_add_f64 v[22:23], v[2:3], v[189:190]
	v_add_f64 v[24:25], v[0:1], v[187:188]
	;; [unrolled: 1-line block ×16, first 2 shown]
	ds_load_b128 v[159:162], v21 offset:19968
	ds_load_b128 v[187:190], v21 offset:20224
	v_cvt_f32_f64_e32 v21, v[144:145]
	v_cvt_f32_f64_e32 v4, v[4:5]
	;; [unrolled: 1-line block ×3, first 2 shown]
	s_waitcnt lgkmcnt(1)
	v_add_f64 v[102:103], v[2:3], v[161:162]
	v_add_f64 v[217:218], v[157:158], v[161:162]
	;; [unrolled: 1-line block ×8, first 2 shown]
	s_waitcnt lgkmcnt(0)
	v_add_f64 v[2:3], v[2:3], v[189:190]
	v_add_f64 v[157:158], v[157:158], v[189:190]
	;; [unrolled: 1-line block ×8, first 2 shown]
	v_mov_b32_e32 v190, v29
	v_cvt_f32_f64_e32 v29, v[66:67]
	scratch_load_b64 v[66:67], off, off offset:60 ; 8-byte Folded Reload
	v_add_f64 v[104:105], v[0:1], v[159:160]
	v_add_f64 v[0:1], v[0:1], v[187:188]
	;; [unrolled: 1-line block ×10, first 2 shown]
	v_min3_f32 v73, v4, v5, v73
	v_cvt_f32_f64_e32 v4, v[8:9]
	v_cvt_f32_f64_e32 v5, v[10:11]
	v_add_f64 v[197:198], v[175:176], v[159:160]
	v_add_f64 v[175:176], v[175:176], v[187:188]
	v_add_f64 v[193:194], v[179:180], v[159:160]
	v_add_f64 v[179:180], v[179:180], v[187:188]
	v_add_f64 v[159:160], v[183:184], v[159:160]
	v_add_f64 v[183:184], v[183:184], v[187:188]
	v_min3_f32 v143, v21, v29, v143
	v_cvt_f32_f64_e32 v0, v[0:1]
	v_cvt_f32_f64_e32 v1, v[2:3]
	v_min3_f32 v70, v4, v5, v70
	v_cvt_f32_f64_e32 v4, v[12:13]
	v_cvt_f32_f64_e32 v5, v[14:15]
	s_delay_alu instid0(VALU_DEP_4) | instskip(SKIP_2) | instid1(VALU_DEP_4)
	v_min3_f32 v137, v0, v1, v137
	v_cvt_f32_f64_e32 v0, v[155:156]
	v_cvt_f32_f64_e32 v1, v[157:158]
	v_min3_f32 v71, v4, v5, v71
	v_cvt_f32_f64_e32 v4, v[16:17]
	v_cvt_f32_f64_e32 v5, v[30:31]
	s_delay_alu instid0(VALU_DEP_4) | instskip(SKIP_2) | instid1(VALU_DEP_4)
	;; [unrolled: 7-line block ×6, first 2 shown]
	v_min3_f32 v122, v0, v1, v122
	v_cvt_f32_f64_e32 v0, v[179:180]
	v_cvt_f32_f64_e32 v1, v[181:182]
	v_min3_f32 v222, v4, v5, v222
	v_cvt_f32_f64_e32 v4, v[86:87]
	v_cvt_f32_f64_e32 v5, v[84:85]
	s_delay_alu instid0(VALU_DEP_4)
	v_min3_f32 v117, v0, v1, v117
	s_waitcnt vmcnt(0)
	v_cvt_f32_f64_e32 v21, v[66:67]
	scratch_load_b64 v[66:67], off, off offset:4 ; 8-byte Folded Reload
	v_cvt_f32_f64_e32 v0, v[183:184]
	v_cvt_f32_f64_e32 v1, v[185:186]
	v_min3_f32 v223, v4, v5, v223
	v_cvt_f32_f64_e32 v4, v[88:89]
	v_cvt_f32_f64_e32 v5, v[56:57]
	s_delay_alu instid0(VALU_DEP_4) | instskip(NEXT) | instid1(VALU_DEP_2)
	v_min3_f32 v116, v0, v1, v116
	v_min3_f32 v190, v4, v5, v190
	v_cvt_f32_f64_e32 v4, v[60:61]
	v_cvt_f32_f64_e32 v5, v[58:59]
	s_delay_alu instid0(VALU_DEP_1) | instskip(SKIP_2) | instid1(VALU_DEP_1)
	v_min3_f32 v152, v4, v5, v152
	v_cvt_f32_f64_e32 v4, v[90:91]
	v_cvt_f32_f64_e32 v5, v[6:7]
	v_min3_f32 v62, v4, v5, v62
	v_cvt_f32_f64_e32 v4, v[92:93]
	v_cvt_f32_f64_e32 v5, v[76:77]
	s_delay_alu instid0(VALU_DEP_1) | instskip(SKIP_2) | instid1(VALU_DEP_1)
	v_min3_f32 v63, v4, v5, v63
	v_cvt_f32_f64_e32 v4, v[96:97]
	v_cvt_f32_f64_e32 v5, v[94:95]
	v_min3_f32 v255, v4, v5, v255
	v_cvt_f32_f64_e32 v4, v[100:101]
	v_cvt_f32_f64_e32 v5, v[98:99]
	s_delay_alu instid0(VALU_DEP_1) | instskip(SKIP_2) | instid1(VALU_DEP_1)
	v_min3_f32 v244, v4, v5, v244
	v_cvt_f32_f64_e32 v4, v[104:105]
	v_cvt_f32_f64_e32 v5, v[102:103]
	v_min3_f32 v241, v4, v5, v241
	v_cvt_f32_f64_e32 v4, v[106:107]
	v_cvt_f32_f64_e32 v5, v[217:218]
	s_waitcnt vmcnt(0)
	v_cvt_f32_f64_e32 v29, v[66:67]
	scratch_load_b64 v[66:67], off, off offset:92 ; 8-byte Folded Reload
	v_min3_f32 v237, v4, v5, v237
	v_cvt_f32_f64_e32 v4, v[209:210]
	v_cvt_f32_f64_e32 v5, v[213:214]
	v_min3_f32 v142, v21, v29, v142
	s_delay_alu instid0(VALU_DEP_2) | instskip(SKIP_2) | instid1(VALU_DEP_1)
	v_min3_f32 v204, v4, v5, v204
	v_cvt_f32_f64_e32 v4, v[205:206]
	v_cvt_f32_f64_e32 v5, v[219:220]
	v_min3_f32 v203, v4, v5, v203
	v_cvt_f32_f64_e32 v4, v[201:202]
	v_cvt_f32_f64_e32 v5, v[215:216]
	s_delay_alu instid0(VALU_DEP_1) | instskip(SKIP_2) | instid1(VALU_DEP_1)
	v_min3_f32 v83, v4, v5, v83
	v_cvt_f32_f64_e32 v4, v[197:198]
	v_cvt_f32_f64_e32 v5, v[211:212]
	v_min3_f32 v199, v4, v5, v199
	v_cvt_f32_f64_e32 v4, v[193:194]
	v_cvt_f32_f64_e32 v5, v[207:208]
	s_delay_alu instid0(VALU_DEP_1) | instskip(SKIP_2) | instid1(VALU_DEP_1)
	v_min3_f32 v82, v4, v5, v82
	v_cvt_f32_f64_e32 v4, v[159:160]
	v_cvt_f32_f64_e32 v5, v[161:162]
	v_min3_f32 v130, v4, v5, v130
	s_waitcnt vmcnt(0)
	v_cvt_f32_f64_e32 v21, v[66:67]
	scratch_load_b64 v[66:67], off, off offset:36 ; 8-byte Folded Reload
	s_waitcnt vmcnt(0)
	v_cvt_f32_f64_e32 v29, v[66:67]
	scratch_load_b64 v[66:67], off, off offset:68 ; 8-byte Folded Reload
	v_min3_f32 v141, v21, v29, v141
	s_waitcnt vmcnt(0)
	v_cvt_f32_f64_e32 v21, v[66:67]
	scratch_load_b64 v[66:67], off, off offset:12 ; 8-byte Folded Reload
	s_waitcnt vmcnt(0)
	v_cvt_f32_f64_e32 v29, v[66:67]
	scratch_load_b64 v[66:67], off, off offset:100 ; 8-byte Folded Reload
	;; [unrolled: 7-line block ×13, first 2 shown]
	v_min3_f32 v20, v21, v27, v20
	s_waitcnt vmcnt(0)
	v_cvt_f32_f64_e32 v21, v[66:67]
	scratch_load_b64 v[66:67], off, off offset:228 ; 8-byte Folded Reload
	s_waitcnt vmcnt(0)
	v_cvt_f32_f64_e32 v27, v[66:67]
	s_delay_alu instid0(VALU_DEP_1) | instskip(SKIP_2) | instid1(VALU_DEP_1)
	v_min3_f32 v44, v21, v27, v44
	v_cvt_f32_f64_e32 v21, v[108:109]
	v_cvt_f32_f64_e32 v27, v[146:147]
	v_min3_f32 v43, v21, v27, v43
	v_cvt_f32_f64_e32 v21, v[110:111]
	v_cvt_f32_f64_e32 v27, v[191:192]
	scratch_load_b32 v111, off, off         ; 4-byte Folded Reload
	v_min3_f32 v42, v21, v27, v42
	v_cvt_f32_f64_e32 v27, v[38:39]
	scratch_load_b64 v[38:39], off, off offset:276 ; 8-byte Folded Reload
	v_cvt_f32_f64_e32 v21, v[112:113]
	s_delay_alu instid0(VALU_DEP_1) | instskip(SKIP_2) | instid1(VALU_DEP_1)
	v_min3_f32 v51, v21, v27, v51
	v_cvt_f32_f64_e32 v21, v[195:196]
	v_cvt_f32_f64_e32 v27, v[46:47]
	v_min3_f32 v50, v21, v27, v50
	v_cvt_f32_f64_e32 v21, v[40:41]
	s_waitcnt vmcnt(0)
	v_cvt_f32_f64_e32 v27, v[38:39]
	scratch_load_b64 v[38:39], off, off offset:260 ; 8-byte Folded Reload
	v_min3_f32 v53, v21, v27, v53
	v_cvt_f32_f64_e32 v21, v[48:49]
	s_waitcnt vmcnt(0)
	v_cvt_f32_f64_e32 v27, v[38:39]
	scratch_load_b64 v[38:39], off, off offset:284 ; 8-byte Folded Reload
	v_min3_f32 v52, v21, v27, v52
	s_waitcnt vmcnt(0)
	v_cvt_f32_f64_e32 v21, v[38:39]
	scratch_load_b64 v[38:39], off, off offset:252 ; 8-byte Folded Reload
	s_waitcnt vmcnt(0)
	v_cvt_f32_f64_e32 v27, v[38:39]
	scratch_load_b64 v[38:39], off, off offset:268 ; 8-byte Folded Reload
	v_min3_f32 v55, v21, v27, v55
	s_waitcnt vmcnt(0)
	v_cvt_f32_f64_e32 v21, v[38:39]
	scratch_load_b64 v[38:39], off, off offset:244 ; 8-byte Folded Reload
	s_waitcnt vmcnt(0)
	v_cvt_f32_f64_e32 v27, v[38:39]
	s_delay_alu instid0(VALU_DEP_1) | instskip(SKIP_2) | instid1(VALU_DEP_1)
	v_min3_f32 v54, v21, v27, v54
	v_cvt_f32_f64_e32 v21, v[225:226]
	v_cvt_f32_f64_e32 v27, v[36:37]
	v_min3_f32 v65, v21, v27, v65
	v_cvt_f32_f64_e32 v21, v[229:230]
	v_cvt_f32_f64_e32 v27, v[227:228]
	s_delay_alu instid0(VALU_DEP_1) | instskip(SKIP_2) | instid1(VALU_DEP_1)
	v_min3_f32 v64, v21, v27, v64
	v_cvt_f32_f64_e32 v21, v[233:234]
	v_cvt_f32_f64_e32 v27, v[231:232]
	v_min3_f32 v28, v21, v27, v28
	v_cvt_f32_f64_e32 v21, v[80:81]
	;; [unrolled: 7-line block ×4, first 2 shown]
	v_cvt_f32_f64_e32 v27, v[251:252]
	s_delay_alu instid0(VALU_DEP_1) | instskip(SKIP_2) | instid1(VALU_DEP_1)
	v_min3_f32 v75, v21, v27, v75
	v_cvt_f32_f64_e32 v21, v[150:151]
	v_cvt_f32_f64_e32 v27, v[153:154]
	v_min3_f32 v72, v21, v27, v72
	s_cbranch_vccz .LBB156_35
; %bb.36:                               ;   in Loop: Header=BB156_25 Depth=1
	scratch_load_b32 v0, off, off offset:368 ; 4-byte Folded Reload
	v_dual_mov_b32 v99, v53 :: v_dual_mov_b32 v90, v64
	s_waitcnt vmcnt(0)
	v_add_nc_u32_e32 v4, s14, v0
	s_delay_alu instid0(VALU_DEP_1) | instskip(NEXT) | instid1(VALU_DEP_1)
	v_mad_u64_u32 v[0:1], null, v4, s13, 0
	v_mad_u64_u32 v[2:3], null, v4, s15, v[1:2]
	v_mov_b32_e32 v106, v68
	v_mov_b32_e32 v68, v74
	s_delay_alu instid0(VALU_DEP_3)
	v_mov_b32_e32 v1, v2
	s_clause 0x2
	scratch_load_b32 v2, off, off offset:372
	scratch_load_b64 v[3:4], off, off offset:292
	scratch_load_b64 v[5:6], off, off offset:320
	v_lshlrev_b64 v[0:1], 3, v[0:1]
	s_delay_alu instid0(VALU_DEP_1) | instskip(NEXT) | instid1(VALU_DEP_2)
	v_add_co_u32 v0, vcc_lo, s18, v0
	v_add_co_ci_u32_e32 v1, vcc_lo, s19, v1, vcc_lo
	s_and_b32 vcc_lo, exec_lo, s3
	s_waitcnt vmcnt(0)
	ds_store_2addr_stride64_b64 v2, v[3:4], v[5:6] offset1:4
	s_clause 0x1
	scratch_load_b64 v[3:4], off, off offset:328
	scratch_load_b64 v[5:6], off, off offset:336
	s_waitcnt vmcnt(0)
	ds_store_2addr_stride64_b64 v2, v[3:4], v[5:6] offset0:8 offset1:12
	s_clause 0x1
	scratch_load_b32 v2, off, off offset:376
	scratch_load_b64 v[3:4], off, off offset:344
	s_waitcnt vmcnt(0)
	ds_store_b64 v2, v[3:4]
	s_waitcnt lgkmcnt(0)
	s_waitcnt_vscnt null, 0x0
	s_barrier
	buffer_gl0_inv
	s_cbranch_vccnz .LBB156_38
; %bb.37:                               ;   in Loop: Header=BB156_25 Depth=1
	scratch_load_b64 v[2:3], off, off offset:304 ; 8-byte Folded Reload
	s_waitcnt vmcnt(0)
	v_add_co_u32 v2, vcc_lo, v0, v2
	v_add_co_ci_u32_e32 v3, vcc_lo, v1, v3, vcc_lo
	s_clause 0x1
	flat_load_b64 v[8:9], v[2:3]
	flat_load_b64 v[2:3], v[2:3] offset:512
	s_waitcnt vmcnt(1) lgkmcnt(1)
	v_mul_f64 v[4:5], s[20:21], v[8:9]
	s_waitcnt vmcnt(0) lgkmcnt(0)
	v_mul_f64 v[2:3], s[20:21], v[2:3]
	scratch_store_b64 off, v[4:5], off offset:320 ; 8-byte Folded Spill
	s_branch .LBB156_39
.LBB156_38:                             ;   in Loop: Header=BB156_25 Depth=1
	v_mov_b32_e32 v2, 0
	v_mov_b32_e32 v3, 0
	scratch_store_b64 off, v[2:3], off offset:320 ; 8-byte Folded Spill
	v_mov_b32_e32 v2, 0
	v_mov_b32_e32 v3, 0
.LBB156_39:                             ;   in Loop: Header=BB156_25 Depth=1
	v_dual_mov_b32 v220, v224 :: v_dual_mov_b32 v107, v243
	v_dual_mov_b32 v91, v99 :: v_dual_mov_b32 v74, v72
	v_mov_b32_e32 v95, v42
	v_dual_mov_b32 v105, v44 :: v_dual_mov_b32 v72, v70
	s_and_b32 vcc_lo, exec_lo, s3
	scratch_store_b64 off, v[2:3], off offset:328 ; 8-byte Folded Spill
	s_cbranch_vccnz .LBB156_41
; %bb.40:                               ;   in Loop: Header=BB156_25 Depth=1
	scratch_load_b64 v[2:3], off, off offset:304 ; 8-byte Folded Reload
	s_waitcnt vmcnt(0)
	v_add_co_u32 v0, vcc_lo, v0, v2
	v_add_co_ci_u32_e32 v1, vcc_lo, v1, v3, vcc_lo
	s_clause 0x1
	flat_load_b64 v[2:3], v[0:1] offset:1024
	flat_load_b64 v[0:1], v[0:1] offset:1536
	s_waitcnt vmcnt(1) lgkmcnt(1)
	v_mul_f64 v[2:3], s[20:21], v[2:3]
	s_waitcnt vmcnt(0) lgkmcnt(0)
	v_mul_f64 v[0:1], s[20:21], v[0:1]
	scratch_store_b64 off, v[2:3], off offset:336 ; 8-byte Folded Spill
	s_branch .LBB156_42
.LBB156_41:                             ;   in Loop: Header=BB156_25 Depth=1
	v_mov_b32_e32 v0, 0
	v_mov_b32_e32 v1, 0
	scratch_store_b64 off, v[0:1], off offset:336 ; 8-byte Folded Spill
	v_mov_b32_e32 v0, 0
	v_mov_b32_e32 v1, 0
.LBB156_42:                             ;   in Loop: Header=BB156_25 Depth=1
	v_dual_mov_b32 v70, v254 :: v_dual_mov_b32 v103, v65
	v_mov_b32_e32 v38, v242
	v_mov_b32_e32 v104, v43
	;; [unrolled: 1-line block ×4, first 2 shown]
	s_and_b32 vcc_lo, exec_lo, s3
	scratch_store_b64 off, v[0:1], off offset:344 ; 8-byte Folded Spill
	s_cbranch_vccnz .LBB156_44
; %bb.43:                               ;   in Loop: Header=BB156_25 Depth=1
	s_clause 0x1
	scratch_load_b32 v0, off, off offset:360
	scratch_load_b64 v[1:2], off, off offset:312
	s_waitcnt vmcnt(0)
	v_mov_b32_e32 v3, v2
	v_or_b32_e32 v2, s14, v0
	s_delay_alu instid0(VALU_DEP_2)
	v_mov_b32_e32 v1, v3
	scratch_store_b64 off, v[0:1], off offset:312 ; 8-byte Folded Spill
	v_lshlrev_b64 v[0:1], 3, v[2:3]
	scratch_load_b32 v2, off, off offset:396 ; 4-byte Folded Reload
	s_waitcnt vmcnt(0)
	v_add_co_u32 v0, vcc_lo, v2, v0
	scratch_load_b32 v2, off, off offset:400 ; 4-byte Folded Reload
	s_waitcnt vmcnt(0)
	v_add_co_ci_u32_e32 v1, vcc_lo, v2, v1, vcc_lo
	flat_load_b64 v[0:1], v[0:1]
	s_waitcnt vmcnt(0) lgkmcnt(0)
	v_mul_f64 v[0:1], s[20:21], v[0:1]
	s_branch .LBB156_45
.LBB156_44:                             ;   in Loop: Header=BB156_25 Depth=1
	v_mov_b32_e32 v0, 0
	v_mov_b32_e32 v1, 0
.LBB156_45:                             ;   in Loop: Header=BB156_25 Depth=1
	v_dual_mov_b32 v254, v63 :: v_dual_mov_b32 v99, v50
	v_dual_mov_b32 v152, v62 :: v_dual_mov_b32 v61, v55
	v_mov_b32_e32 v102, v28
	v_mov_b32_e32 v60, v54
	;; [unrolled: 1-line block ×3, first 2 shown]
	s_mov_b32 s23, 0
	s_mov_b32 s22, -1
	scratch_store_b64 off, v[0:1], off offset:352 ; 8-byte Folded Spill
.LBB156_46:                             ;   Parent Loop BB156_25 Depth=1
                                        ; =>  This Inner Loop Header: Depth=2
	s_lshl_b32 s23, s23, 3
	v_dual_mov_b32 v33, v190 :: v_dual_mov_b32 v10, v237
	v_lshl_add_u32 v25, v111, 5, s23
	v_lshl_add_u32 v4, v45, 5, s23
	v_dual_mov_b32 v240, v244 :: v_dual_mov_b32 v239, v129
	ds_load_b128 v[46:49], v25 offset:16384
	ds_load_b128 v[0:3], v4
	ds_load_b128 v[155:158], v4 offset:1024
	ds_load_b128 v[159:162], v25 offset:16640
	v_mov_b32_e32 v205, v116
	v_mov_b32_e32 v116, v128
	s_mov_b32 s23, 2
	s_and_not1_b32 vcc_lo, exec_lo, s22
	s_mov_b32 s22, 0
	s_waitcnt lgkmcnt(2)
	v_add_f64 v[62:63], v[2:3], v[48:49]
	s_waitcnt lgkmcnt(1)
	v_add_f64 v[5:6], v[157:158], v[48:49]
	v_add_f64 v[76:77], v[0:1], v[46:47]
	s_delay_alu instid0(VALU_DEP_3)
	v_cvt_f32_f64_e32 v41, v[62:63]
	scratch_store_b64 off, v[5:6], off offset:4 ; 8-byte Folded Spill
	v_add_f64 v[5:6], v[155:156], v[46:47]
	scratch_store_b64 off, v[5:6], off offset:60 ; 8-byte Folded Spill
	ds_load_b128 v[163:166], v4 offset:2048
	ds_load_b128 v[167:170], v4 offset:3072
	s_waitcnt lgkmcnt(1)
	v_add_f64 v[5:6], v[165:166], v[48:49]
	scratch_store_b64 off, v[5:6], off offset:36 ; 8-byte Folded Spill
	v_add_f64 v[5:6], v[163:164], v[46:47]
	scratch_store_b64 off, v[5:6], off offset:92 ; 8-byte Folded Spill
	s_waitcnt lgkmcnt(0)
	v_add_f64 v[5:6], v[169:170], v[48:49]
	scratch_store_b64 off, v[5:6], off offset:12 ; 8-byte Folded Spill
	v_add_f64 v[5:6], v[167:168], v[46:47]
	scratch_store_b64 off, v[5:6], off offset:68 ; 8-byte Folded Spill
	ds_load_b128 v[171:174], v4 offset:4096
	ds_load_b128 v[175:178], v4 offset:5120
	s_waitcnt lgkmcnt(1)
	v_add_f64 v[5:6], v[173:174], v[48:49]
	scratch_store_b64 off, v[5:6], off offset:44 ; 8-byte Folded Spill
	v_add_f64 v[5:6], v[171:172], v[46:47]
	scratch_store_b64 off, v[5:6], off offset:100 ; 8-byte Folded Spill
	s_waitcnt lgkmcnt(0)
	v_add_f64 v[5:6], v[177:178], v[48:49]
	scratch_store_b64 off, v[5:6], off offset:20 ; 8-byte Folded Spill
	v_add_f64 v[5:6], v[175:176], v[46:47]
	scratch_store_b64 off, v[5:6], off offset:76 ; 8-byte Folded Spill
	ds_load_b128 v[179:182], v4 offset:6144
	ds_load_b128 v[183:186], v4 offset:7168
	;; [unrolled: 1-line block ×3, first 2 shown]
	s_waitcnt lgkmcnt(2)
	v_add_f64 v[4:5], v[181:182], v[48:49]
	s_waitcnt lgkmcnt(0)
	v_add_f64 v[144:145], v[2:3], v[189:190]
	v_add_f64 v[146:147], v[0:1], v[187:188]
	;; [unrolled: 1-line block ×16, first 2 shown]
	scratch_store_b64 off, v[4:5], off offset:52 ; 8-byte Folded Spill
	v_add_f64 v[4:5], v[179:180], v[46:47]
	v_cvt_f32_f64_e32 v23, v[23:24]
	v_cvt_f32_f64_e32 v24, v[193:194]
	;; [unrolled: 1-line block ×6, first 2 shown]
	scratch_store_b64 off, v[4:5], off offset:108 ; 8-byte Folded Spill
	v_add_f64 v[4:5], v[185:186], v[48:49]
	v_min3_f32 v107, v23, v24, v107
	v_min3_f32 v106, v21, v22, v106
	;; [unrolled: 1-line block ×3, first 2 shown]
	v_cvt_f32_f64_e32 v18, v[208:209]
	v_cvt_f32_f64_e32 v19, v[206:207]
	scratch_store_b64 off, v[4:5], off offset:28 ; 8-byte Folded Spill
	v_add_f64 v[4:5], v[183:184], v[46:47]
	v_min3_f32 v68, v18, v19, v68
	v_cvt_f32_f64_e32 v18, v[212:213]
	v_cvt_f32_f64_e32 v19, v[210:211]
	scratch_store_b64 off, v[4:5], off offset:84 ; 8-byte Folded Spill
	v_add_f64 v[4:5], v[2:3], v[161:162]
	v_min3_f32 v75, v18, v19, v75
	scratch_store_b64 off, v[4:5], off offset:116 ; 8-byte Folded Spill
	v_add_f64 v[4:5], v[0:1], v[159:160]
	scratch_store_b64 off, v[4:5], off offset:124 ; 8-byte Folded Spill
	v_add_f64 v[4:5], v[157:158], v[161:162]
	scratch_store_b64 off, v[4:5], off offset:132 ; 8-byte Folded Spill
	v_add_f64 v[4:5], v[155:156], v[159:160]
	scratch_store_b64 off, v[4:5], off offset:140 ; 8-byte Folded Spill
	v_add_f64 v[4:5], v[165:166], v[161:162]
	scratch_store_b64 off, v[4:5], off offset:148 ; 8-byte Folded Spill
	v_add_f64 v[4:5], v[163:164], v[159:160]
	scratch_store_b64 off, v[4:5], off offset:156 ; 8-byte Folded Spill
	v_add_f64 v[4:5], v[169:170], v[161:162]
	scratch_store_b64 off, v[4:5], off offset:164 ; 8-byte Folded Spill
	v_add_f64 v[4:5], v[167:168], v[159:160]
	scratch_store_b64 off, v[4:5], off offset:172 ; 8-byte Folded Spill
	v_add_f64 v[4:5], v[173:174], v[161:162]
	scratch_store_b64 off, v[4:5], off offset:180 ; 8-byte Folded Spill
	v_add_f64 v[4:5], v[171:172], v[159:160]
	scratch_store_b64 off, v[4:5], off offset:188 ; 8-byte Folded Spill
	v_add_f64 v[4:5], v[177:178], v[161:162]
	scratch_store_b64 off, v[4:5], off offset:196 ; 8-byte Folded Spill
	v_add_f64 v[4:5], v[175:176], v[159:160]
	scratch_store_b64 off, v[4:5], off offset:204 ; 8-byte Folded Spill
	v_add_f64 v[4:5], v[181:182], v[161:162]
	scratch_store_b64 off, v[4:5], off offset:212 ; 8-byte Folded Spill
	v_add_f64 v[4:5], v[179:180], v[159:160]
	scratch_store_b64 off, v[4:5], off offset:220 ; 8-byte Folded Spill
	v_add_f64 v[4:5], v[185:186], v[161:162]
	scratch_store_b64 off, v[4:5], off offset:228 ; 8-byte Folded Spill
	v_add_f64 v[4:5], v[183:184], v[159:160]
	ds_load_b128 v[159:162], v25 offset:16896
	s_waitcnt lgkmcnt(0)
	v_add_f64 v[78:79], v[2:3], v[161:162]
	v_add_f64 v[31:32], v[0:1], v[159:160]
	;; [unrolled: 1-line block ×9, first 2 shown]
	scratch_store_b64 off, v[4:5], off offset:236 ; 8-byte Folded Spill
	v_add_f64 v[4:5], v[169:170], v[161:162]
	scratch_store_b64 off, v[4:5], off offset:292 ; 8-byte Folded Spill
	v_add_f64 v[4:5], v[173:174], v[161:162]
	scratch_store_b64 off, v[4:5], off offset:276 ; 8-byte Folded Spill
	v_add_f64 v[4:5], v[177:178], v[161:162]
	scratch_store_b64 off, v[4:5], off offset:260 ; 8-byte Folded Spill
	v_add_f64 v[4:5], v[181:182], v[161:162]
	scratch_store_b64 off, v[4:5], off offset:252 ; 8-byte Folded Spill
	v_add_f64 v[4:5], v[179:180], v[159:160]
	scratch_store_b64 off, v[4:5], off offset:284 ; 8-byte Folded Spill
	v_add_f64 v[4:5], v[185:186], v[161:162]
	scratch_store_b64 off, v[4:5], off offset:244 ; 8-byte Folded Spill
	v_add_f64 v[4:5], v[183:184], v[159:160]
	scratch_store_b64 off, v[4:5], off offset:268 ; 8-byte Folded Spill
	ds_load_b128 v[159:162], v25 offset:17408
	ds_load_b128 v[187:190], v25 offset:17664
	s_waitcnt lgkmcnt(1)
	v_add_f64 v[214:215], v[2:3], v[161:162]
	v_add_f64 v[216:217], v[0:1], v[159:160]
	;; [unrolled: 1-line block ×16, first 2 shown]
	s_waitcnt lgkmcnt(0)
	v_add_f64 v[246:247], v[2:3], v[189:190]
	v_add_f64 v[248:249], v[0:1], v[187:188]
	;; [unrolled: 1-line block ×16, first 2 shown]
	ds_load_b128 v[159:162], v25 offset:17920
	ds_load_b128 v[187:190], v25 offset:18176
	scratch_load_b64 v[62:63], off, off offset:60 ; 8-byte Folded Reload
	v_cvt_f32_f64_e32 v25, v[76:77]
	v_cvt_f32_f64_e32 v19, v[214:215]
	;; [unrolled: 1-line block ×3, first 2 shown]
	s_waitcnt lgkmcnt(1)
	v_add_f64 v[112:113], v[2:3], v[161:162]
	v_add_f64 v[11:12], v[157:158], v[161:162]
	;; [unrolled: 1-line block ×8, first 2 shown]
	s_waitcnt lgkmcnt(0)
	v_add_f64 v[2:3], v[2:3], v[189:190]
	v_add_f64 v[157:158], v[157:158], v[189:190]
	;; [unrolled: 1-line block ×4, first 2 shown]
	v_cvt_f32_f64_e32 v4, v[4:5]
	v_cvt_f32_f64_e32 v5, v[42:43]
	v_add_f64 v[173:174], v[173:174], v[189:190]
	v_add_f64 v[177:178], v[177:178], v[189:190]
	;; [unrolled: 1-line block ×4, first 2 shown]
	v_mov_b32_e32 v190, v33
	v_add_f64 v[6:7], v[0:1], v[159:160]
	v_add_f64 v[27:28], v[155:156], v[159:160]
	v_min3_f32 v143, v25, v41, v143
	v_add_f64 v[0:1], v[0:1], v[187:188]
	v_add_f64 v[64:65], v[163:164], v[159:160]
	;; [unrolled: 1-line block ×4, first 2 shown]
	v_min3_f32 v74, v18, v19, v74
	v_cvt_f32_f64_e32 v18, v[46:47]
	v_cvt_f32_f64_e32 v19, v[218:219]
	v_add_f64 v[163:164], v[163:164], v[187:188]
	v_add_f64 v[167:168], v[167:168], v[187:188]
	;; [unrolled: 1-line block ×10, first 2 shown]
	v_min3_f32 v152, v4, v5, v152
	v_cvt_f32_f64_e32 v4, v[14:15]
	v_cvt_f32_f64_e32 v5, v[16:17]
	;; [unrolled: 1-line block ×4, first 2 shown]
	v_min3_f32 v73, v18, v19, v73
	v_cvt_f32_f64_e32 v18, v[224:225]
	v_cvt_f32_f64_e32 v19, v[48:49]
	v_min3_f32 v254, v4, v5, v254
	v_cvt_f32_f64_e32 v4, v[191:192]
	v_cvt_f32_f64_e32 v5, v[108:109]
	;; [unrolled: 3-line block ×5, first 2 shown]
	s_delay_alu instid0(VALU_DEP_4) | instskip(SKIP_2) | instid1(VALU_DEP_1)
	v_min3_f32 v71, v18, v19, v71
	v_cvt_f32_f64_e32 v18, v[232:233]
	v_cvt_f32_f64_e32 v19, v[230:231]
	v_min3_f32 v70, v18, v19, v70
	v_cvt_f32_f64_e32 v18, v[236:237]
	v_mov_b32_e32 v237, v10
	v_cvt_f32_f64_e32 v10, v[8:9]
	v_cvt_f32_f64_e32 v8, v[44:45]
	;; [unrolled: 1-line block ×4, first 2 shown]
	s_clause 0x1
	scratch_load_b32 v45, off, off offset:300
	scratch_load_b32 v111, off, off
	v_min3_f32 v190, v10, v8, v190
	v_min3_f32 v38, v18, v19, v38
	v_cvt_f32_f64_e32 v18, v[52:53]
	v_cvt_f32_f64_e32 v19, v[54:55]
	;; [unrolled: 1-line block ×3, first 2 shown]
	s_delay_alu instid0(VALU_DEP_2) | instskip(SKIP_4) | instid1(VALU_DEP_3)
	v_min3_f32 v220, v18, v19, v220
	v_cvt_f32_f64_e32 v18, v[244:245]
	v_mov_b32_e32 v244, v240
	v_cvt_f32_f64_e32 v19, v[56:57]
	v_min3_f32 v40, v8, v9, v40
	v_min3_f32 v244, v4, v5, v244
	v_cvt_f32_f64_e32 v4, v[6:7]
	v_cvt_f32_f64_e32 v5, v[112:113]
	s_waitcnt vmcnt(2)
	v_cvt_f32_f64_e32 v25, v[62:63]
	scratch_load_b64 v[62:63], off, off offset:4 ; 8-byte Folded Reload
	v_min3_f32 v221, v18, v19, v221
	v_cvt_f32_f64_e32 v18, v[248:249]
	v_cvt_f32_f64_e32 v19, v[246:247]
	v_min3_f32 v241, v4, v5, v241
	v_cvt_f32_f64_e32 v4, v[27:28]
	v_cvt_f32_f64_e32 v5, v[11:12]
	s_delay_alu instid0(VALU_DEP_4) | instskip(SKIP_2) | instid1(VALU_DEP_4)
	v_min3_f32 v222, v18, v19, v222
	v_cvt_f32_f64_e32 v18, v[252:253]
	v_cvt_f32_f64_e32 v19, v[250:251]
	v_min3_f32 v237, v4, v5, v237
	v_cvt_f32_f64_e32 v4, v[64:65]
	v_cvt_f32_f64_e32 v5, v[114:115]
	s_delay_alu instid0(VALU_DEP_4) | instskip(NEXT) | instid1(VALU_DEP_2)
	v_min3_f32 v223, v18, v19, v223
	v_min3_f32 v204, v4, v5, v204
	v_cvt_f32_f64_e32 v4, v[128:129]
	v_dual_mov_b32 v129, v239 :: v_dual_mov_b32 v128, v116
	v_cvt_f32_f64_e32 v5, v[66:67]
	v_mov_b32_e32 v116, v205
	s_delay_alu instid0(VALU_DEP_3)
	v_min3_f32 v129, v0, v1, v129
	v_cvt_f32_f64_e32 v0, v[163:164]
	v_cvt_f32_f64_e32 v1, v[165:166]
	v_min3_f32 v203, v4, v5, v203
	v_cvt_f32_f64_e32 v4, v[120:121]
	v_cvt_f32_f64_e32 v5, v[118:119]
	s_delay_alu instid0(VALU_DEP_4) | instskip(SKIP_2) | instid1(VALU_DEP_4)
	v_min3_f32 v128, v0, v1, v128
	v_cvt_f32_f64_e32 v0, v[167:168]
	v_cvt_f32_f64_e32 v1, v[169:170]
	v_min3_f32 v83, v4, v5, v83
	v_cvt_f32_f64_e32 v4, v[124:125]
	v_cvt_f32_f64_e32 v5, v[242:243]
	s_delay_alu instid0(VALU_DEP_4) | instskip(SKIP_2) | instid1(VALU_DEP_4)
	;; [unrolled: 7-line block ×4, first 2 shown]
	v_min3_f32 v122, v0, v1, v122
	v_cvt_f32_f64_e32 v0, v[179:180]
	v_cvt_f32_f64_e32 v1, v[181:182]
	v_min3_f32 v130, v4, v5, v130
	s_delay_alu instid0(VALU_DEP_2)
	v_min3_f32 v117, v0, v1, v117
	v_cvt_f32_f64_e32 v0, v[183:184]
	v_cvt_f32_f64_e32 v1, v[185:186]
	s_waitcnt vmcnt(0)
	v_cvt_f32_f64_e32 v41, v[62:63]
	scratch_load_b64 v[62:63], off, off offset:92 ; 8-byte Folded Reload
	v_min3_f32 v116, v0, v1, v116
	v_min3_f32 v142, v25, v41, v142
	s_waitcnt vmcnt(0)
	v_cvt_f32_f64_e32 v25, v[62:63]
	scratch_load_b64 v[62:63], off, off offset:36 ; 8-byte Folded Reload
	s_waitcnt vmcnt(0)
	v_cvt_f32_f64_e32 v41, v[62:63]
	scratch_load_b64 v[62:63], off, off offset:68 ; 8-byte Folded Reload
	v_min3_f32 v141, v25, v41, v141
	s_waitcnt vmcnt(0)
	v_cvt_f32_f64_e32 v25, v[62:63]
	scratch_load_b64 v[62:63], off, off offset:12 ; 8-byte Folded Reload
	s_waitcnt vmcnt(0)
	v_cvt_f32_f64_e32 v41, v[62:63]
	scratch_load_b64 v[62:63], off, off offset:100 ; 8-byte Folded Reload
	;; [unrolled: 7-line block ×13, first 2 shown]
	v_min3_f32 v20, v25, v33, v20
	s_waitcnt vmcnt(0)
	v_cvt_f32_f64_e32 v25, v[62:63]
	scratch_load_b64 v[62:63], off, off offset:228 ; 8-byte Folded Reload
	s_waitcnt vmcnt(0)
	v_cvt_f32_f64_e32 v33, v[62:63]
	s_delay_alu instid0(VALU_DEP_1) | instskip(SKIP_3) | instid1(VALU_DEP_1)
	v_min3_f32 v105, v25, v33, v105
	v_cvt_f32_f64_e32 v25, v[31:32]
	scratch_load_b64 v[31:32], off, off offset:292 ; 8-byte Folded Reload
	v_cvt_f32_f64_e32 v33, v[78:79]
	v_min3_f32 v104, v25, v33, v104
	v_cvt_f32_f64_e32 v25, v[84:85]
	v_cvt_f32_f64_e32 v33, v[58:59]
	s_delay_alu instid0(VALU_DEP_1) | instskip(SKIP_2) | instid1(VALU_DEP_1)
	v_min3_f32 v95, v25, v33, v95
	v_cvt_f32_f64_e32 v25, v[88:89]
	v_cvt_f32_f64_e32 v33, v[86:87]
	v_min3_f32 v94, v25, v33, v94
	v_cvt_f32_f64_e32 v25, v[92:93]
	s_waitcnt vmcnt(0)
	v_cvt_f32_f64_e32 v33, v[31:32]
	scratch_load_b64 v[31:32], off, off offset:276 ; 8-byte Folded Reload
	v_min3_f32 v99, v25, v33, v99
	v_cvt_f32_f64_e32 v25, v[96:97]
	s_waitcnt vmcnt(0)
	v_cvt_f32_f64_e32 v33, v[31:32]
	scratch_load_b64 v[31:32], off, off offset:260 ; 8-byte Folded Reload
	;; [unrolled: 5-line block ×3, first 2 shown]
	v_min3_f32 v98, v25, v33, v98
	s_waitcnt vmcnt(0)
	v_cvt_f32_f64_e32 v25, v[31:32]
	scratch_load_b64 v[31:32], off, off offset:252 ; 8-byte Folded Reload
	s_waitcnt vmcnt(0)
	v_cvt_f32_f64_e32 v33, v[31:32]
	scratch_load_b64 v[31:32], off, off offset:268 ; 8-byte Folded Reload
	v_min3_f32 v61, v25, v33, v61
	s_waitcnt vmcnt(0)
	v_cvt_f32_f64_e32 v25, v[31:32]
	scratch_load_b64 v[31:32], off, off offset:244 ; 8-byte Folded Reload
	s_waitcnt vmcnt(0)
	v_cvt_f32_f64_e32 v31, v[31:32]
	s_delay_alu instid0(VALU_DEP_1) | instskip(SKIP_2) | instid1(VALU_DEP_1)
	v_min3_f32 v60, v25, v31, v60
	v_cvt_f32_f64_e32 v25, v[146:147]
	v_cvt_f32_f64_e32 v31, v[144:145]
	v_min3_f32 v103, v25, v31, v103
	v_cvt_f32_f64_e32 v25, v[150:151]
	v_cvt_f32_f64_e32 v31, v[148:149]
	s_delay_alu instid0(VALU_DEP_1) | instskip(SKIP_2) | instid1(VALU_DEP_1)
	v_min3_f32 v90, v25, v31, v90
	v_cvt_f32_f64_e32 v25, v[29:30]
	v_cvt_f32_f64_e32 v29, v[153:154]
	v_min3_f32 v102, v25, v29, v102
	s_cbranch_vccz .LBB156_46
; %bb.47:                               ;   in Loop: Header=BB156_25 Depth=1
	s_clause 0x2
	scratch_load_b32 v0, off, off offset:380
	scratch_load_b64 v[1:2], off, off offset:320
	scratch_load_b64 v[3:4], off, off offset:328
	v_dual_mov_b32 v43, v104 :: v_dual_mov_b32 v242, v38
	v_dual_mov_b32 v63, v254 :: v_dual_mov_b32 v216, v152
	s_add_i32 s17, s17, 8
	s_add_i32 s14, s14, 8
	s_cmp_ge_i32 s17, s16
	s_waitcnt vmcnt(0)
	ds_store_2addr_stride64_b64 v0, v[1:2], v[3:4] offset1:4
	s_clause 0x1
	scratch_load_b64 v[1:2], off, off offset:336
	scratch_load_b64 v[3:4], off, off offset:344
	s_waitcnt vmcnt(0)
	ds_store_2addr_stride64_b64 v0, v[1:2], v[3:4] offset0:8 offset1:12
	s_clause 0x1
	scratch_load_b32 v0, off, off offset:384
	scratch_load_b64 v[1:2], off, off offset:352
	s_waitcnt vmcnt(0)
	ds_store_b64 v0, v[1:2]
	s_waitcnt lgkmcnt(0)
	s_waitcnt_vscnt null, 0x0
	s_barrier
	buffer_gl0_inv
	s_cbranch_scc1 .LBB156_49
; %bb.48:                               ;   in Loop: Header=BB156_25 Depth=1
	v_dual_mov_b32 v152, v40 :: v_dual_mov_b32 v243, v102
	v_dual_mov_b32 v254, v70 :: v_dual_mov_b32 v207, v60
	;; [unrolled: 1-line block ×3, first 2 shown]
	v_mov_b32_e32 v208, v98
	v_mov_b32_e32 v210, v99
	s_branch .LBB156_25
.LBB156_49:
	v_dual_mov_b32 v254, v70 :: v_dual_mov_b32 v207, v60
	v_dual_mov_b32 v243, v102 :: v_dual_mov_b32 v210, v99
	;; [unrolled: 1-line block ×3, first 2 shown]
.LBB156_50:
	s_delay_alu instid0(VALU_DEP_1) | instskip(SKIP_1) | instid1(VALU_DEP_4)
	v_dual_mov_b32 v110, v105 :: v_dual_mov_b32 v113, v55
	v_dual_mov_b32 v104, v95 :: v_dual_mov_b32 v225, v221
	;; [unrolled: 1-line block ×3, first 2 shown]
	s_delay_alu instid0(VALU_DEP_4)
	v_dual_mov_b32 v108, v208 :: v_dual_mov_b32 v57, v75
	v_dual_mov_b32 v112, v207 :: v_dual_mov_b32 v59, v69
	;; [unrolled: 1-line block ×4, first 2 shown]
	v_mov_b32_e32 v30, v71
	v_mov_b32_e32 v54, v72
	v_mov_b32_e32 v56, v74
	v_mov_b32_e32 v58, v68
	v_mov_b32_e32 v60, v106
	v_dual_mov_b32 v64, v103 :: v_dual_mov_b32 v103, v90
	s_mov_b32 s13, 0
	s_mov_b32 s3, -1
.LBB156_51:                             ; =>This Inner Loop Header: Depth=1
	s_lshl_b32 s13, s13, 3
	s_delay_alu instid0(VALU_DEP_1)
	v_dual_mov_b32 v102, v64 :: v_dual_mov_b32 v29, v243
	v_lshl_add_u32 v4, v111, 5, s13
	s_waitcnt vmcnt(0)
	v_lshl_add_u32 v5, v45, 5, s13
	v_dual_mov_b32 v109, v91 :: v_dual_mov_b32 v202, v204
	ds_load_b128 v[32:35], v4 offset:18432
	ds_load_b128 v[0:3], v5 offset:8192
	ds_load_b128 v[76:79], v5 offset:9216
	ds_load_b128 v[68:71], v4 offset:18688
	v_dual_mov_b32 v61, v107 :: v_dual_mov_b32 v236, v241
	v_dual_mov_b32 v243, v216 :: v_dual_mov_b32 v198, v82
	v_mov_b32_e32 v47, v190
	v_mov_b32_e32 v201, v83
	;; [unrolled: 1-line block ×4, first 2 shown]
	s_mov_b32 s13, 2
	s_and_not1_b32 vcc_lo, exec_lo, s3
	s_mov_b32 s3, 0
	s_waitcnt lgkmcnt(2)
	v_add_f64 v[64:65], v[2:3], v[34:35]
	s_waitcnt lgkmcnt(1)
	v_add_f64 v[6:7], v[78:79], v[34:35]
	v_add_f64 v[66:67], v[0:1], v[32:33]
	s_delay_alu instid0(VALU_DEP_3)
	v_cvt_f32_f64_e32 v31, v[64:65]
	scratch_store_b64 off, v[6:7], off offset:4 ; 8-byte Folded Spill
	v_add_f64 v[6:7], v[76:77], v[32:33]
	v_cvt_f32_f64_e32 v25, v[66:67]
	v_mov_b32_e32 v64, v102
	scratch_store_b64 off, v[6:7], off offset:60 ; 8-byte Folded Spill
	ds_load_b128 v[72:75], v5 offset:10240
	ds_load_b128 v[144:147], v5 offset:11264
	v_min3_f32 v143, v25, v31, v143
	s_waitcnt lgkmcnt(1)
	v_add_f64 v[6:7], v[74:75], v[34:35]
	scratch_store_b64 off, v[6:7], off offset:36 ; 8-byte Folded Spill
	v_add_f64 v[6:7], v[72:73], v[32:33]
	scratch_store_b64 off, v[6:7], off offset:92 ; 8-byte Folded Spill
	s_waitcnt lgkmcnt(0)
	v_add_f64 v[6:7], v[146:147], v[34:35]
	scratch_store_b64 off, v[6:7], off offset:12 ; 8-byte Folded Spill
	v_add_f64 v[6:7], v[144:145], v[32:33]
	scratch_store_b64 off, v[6:7], off offset:68 ; 8-byte Folded Spill
	ds_load_b128 v[148:151], v5 offset:12288
	ds_load_b128 v[152:155], v5 offset:13312
	s_waitcnt lgkmcnt(1)
	v_add_f64 v[6:7], v[150:151], v[34:35]
	scratch_store_b64 off, v[6:7], off offset:44 ; 8-byte Folded Spill
	v_add_f64 v[6:7], v[148:149], v[32:33]
	scratch_store_b64 off, v[6:7], off offset:100 ; 8-byte Folded Spill
	s_waitcnt lgkmcnt(0)
	v_add_f64 v[6:7], v[154:155], v[34:35]
	scratch_store_b64 off, v[6:7], off offset:20 ; 8-byte Folded Spill
	v_add_f64 v[6:7], v[152:153], v[32:33]
	scratch_store_b64 off, v[6:7], off offset:76 ; 8-byte Folded Spill
	ds_load_b128 v[156:159], v5 offset:14336
	ds_load_b128 v[160:163], v5 offset:15360
	s_waitcnt lgkmcnt(1)
	v_add_f64 v[5:6], v[158:159], v[34:35]
	scratch_store_b64 off, v[5:6], off offset:52 ; 8-byte Folded Spill
	v_add_f64 v[5:6], v[156:157], v[32:33]
	scratch_store_b64 off, v[5:6], off offset:108 ; 8-byte Folded Spill
	s_waitcnt lgkmcnt(0)
	v_add_f64 v[5:6], v[162:163], v[34:35]
	scratch_store_b64 off, v[5:6], off offset:28 ; 8-byte Folded Spill
	v_add_f64 v[5:6], v[160:161], v[32:33]
	scratch_store_b64 off, v[5:6], off offset:84 ; 8-byte Folded Spill
	;; [unrolled: 2-line block ×18, first 2 shown]
	ds_load_b128 v[68:71], v4 offset:18944
	ds_load_b128 v[164:167], v4 offset:19200
	s_waitcnt lgkmcnt(1)
	v_add_f64 v[6:7], v[146:147], v[70:71]
	v_add_f64 v[84:85], v[2:3], v[70:71]
	;; [unrolled: 1-line block ×10, first 2 shown]
	s_waitcnt lgkmcnt(0)
	v_add_f64 v[92:93], v[2:3], v[166:167]
	v_add_f64 v[118:119], v[0:1], v[164:165]
	;; [unrolled: 1-line block ×16, first 2 shown]
	scratch_store_b64 off, v[6:7], off offset:292 ; 8-byte Folded Spill
	v_add_f64 v[6:7], v[150:151], v[70:71]
	scratch_store_b64 off, v[6:7], off offset:276 ; 8-byte Folded Spill
	v_add_f64 v[6:7], v[154:155], v[70:71]
	;; [unrolled: 2-line block ×6, first 2 shown]
	scratch_store_b64 off, v[6:7], off offset:268 ; 8-byte Folded Spill
	ds_load_b128 v[68:71], v4 offset:19456
	ds_load_b128 v[164:167], v4 offset:19712
	s_waitcnt lgkmcnt(1)
	v_add_f64 v[186:187], v[2:3], v[70:71]
	v_add_f64 v[188:189], v[0:1], v[68:69]
	v_add_f64 v[190:191], v[78:79], v[70:71]
	v_add_f64 v[192:193], v[76:77], v[68:69]
	v_add_f64 v[194:195], v[74:75], v[70:71]
	v_add_f64 v[196:197], v[72:73], v[68:69]
	v_add_f64 v[82:83], v[146:147], v[70:71]
	v_add_f64 v[44:45], v[144:145], v[68:69]
	v_add_f64 v[48:49], v[150:151], v[70:71]
	v_add_f64 v[204:205], v[148:149], v[68:69]
	v_add_f64 v[206:207], v[154:155], v[70:71]
	v_add_f64 v[208:209], v[152:153], v[68:69]
	v_add_f64 v[210:211], v[158:159], v[70:71]
	v_add_f64 v[212:213], v[156:157], v[68:69]
	v_add_f64 v[214:215], v[162:163], v[70:71]
	v_add_f64 v[216:217], v[160:161], v[68:69]
	s_waitcnt lgkmcnt(0)
	v_add_f64 v[218:219], v[2:3], v[166:167]
	v_add_f64 v[220:221], v[0:1], v[164:165]
	;; [unrolled: 1-line block ×16, first 2 shown]
	ds_load_b128 v[68:71], v4 offset:19968
	ds_load_b128 v[164:167], v4 offset:20224
	v_mov_b32_e32 v4, v243
	scratch_load_b64 v[65:66], off, off offset:60 ; 8-byte Folded Reload
	v_mov_b32_e32 v243, v29
	s_waitcnt lgkmcnt(1)
	v_add_f64 v[250:251], v[2:3], v[70:71]
	v_add_f64 v[252:253], v[0:1], v[68:69]
	s_waitcnt lgkmcnt(0)
	v_add_f64 v[2:3], v[2:3], v[166:167]
	v_add_f64 v[0:1], v[0:1], v[164:165]
	;; [unrolled: 1-line block ×30, first 2 shown]
	v_cvt_f32_f64_e32 v0, v[0:1]
	v_cvt_f32_f64_e32 v1, v[2:3]
	;; [unrolled: 1-line block ×3, first 2 shown]
	s_delay_alu instid0(VALU_DEP_2) | instskip(SKIP_2) | instid1(VALU_DEP_1)
	v_min3_f32 v137, v0, v1, v137
	v_cvt_f32_f64_e32 v0, v[76:77]
	v_cvt_f32_f64_e32 v1, v[78:79]
	v_min3_f32 v129, v0, v1, v129
	v_cvt_f32_f64_e32 v0, v[72:73]
	v_cvt_f32_f64_e32 v1, v[74:75]
	s_waitcnt vmcnt(0)
	v_cvt_f32_f64_e32 v25, v[65:66]
	scratch_load_b64 v[65:66], off, off offset:4 ; 8-byte Folded Reload
	s_waitcnt vmcnt(0)
	v_cvt_f32_f64_e32 v31, v[65:66]
	scratch_load_b64 v[65:66], off, off offset:92 ; 8-byte Folded Reload
	v_min3_f32 v142, v25, v31, v142
	s_waitcnt vmcnt(0)
	v_cvt_f32_f64_e32 v25, v[65:66]
	scratch_load_b64 v[65:66], off, off offset:36 ; 8-byte Folded Reload
	s_waitcnt vmcnt(0)
	v_cvt_f32_f64_e32 v31, v[65:66]
	scratch_load_b64 v[65:66], off, off offset:68 ; 8-byte Folded Reload
	v_min3_f32 v141, v25, v31, v141
	;; [unrolled: 7-line block ×15, first 2 shown]
	v_cvt_f32_f64_e32 v25, v[86:87]
	v_cvt_f32_f64_e32 v29, v[84:85]
	s_delay_alu instid0(VALU_DEP_1) | instskip(SKIP_3) | instid1(VALU_DEP_2)
	v_min3_f32 v105, v25, v29, v105
	v_cvt_f32_f64_e32 v25, v[90:91]
	v_cvt_f32_f64_e32 v29, v[88:89]
	v_mov_b32_e32 v91, v109
	v_min3_f32 v104, v25, v29, v104
	v_cvt_f32_f64_e32 v25, v[94:95]
	v_cvt_f32_f64_e32 v29, v[100:101]
	s_delay_alu instid0(VALU_DEP_1)
	v_min3_f32 v115, v25, v29, v115
	v_cvt_f32_f64_e32 v25, v[98:99]
	s_waitcnt vmcnt(0)
	v_cvt_f32_f64_e32 v29, v[65:66]
	scratch_load_b64 v[65:66], off, off offset:276 ; 8-byte Folded Reload
	v_min3_f32 v114, v25, v29, v114
	v_cvt_f32_f64_e32 v25, v[96:97]
	s_waitcnt vmcnt(0)
	v_cvt_f32_f64_e32 v29, v[65:66]
	s_delay_alu instid0(VALU_DEP_1)
	v_min3_f32 v91, v25, v29, v91
	v_cvt_f32_f64_e32 v25, v[106:107]
	v_mov_b32_e32 v107, v61
	scratch_load_b64 v[61:62], off, off offset:260 ; 8-byte Folded Reload
	s_waitcnt vmcnt(0)
	v_cvt_f32_f64_e32 v29, v[61:62]
	scratch_load_b64 v[61:62], off, off offset:284 ; 8-byte Folded Reload
	v_min3_f32 v108, v25, v29, v108
	s_waitcnt vmcnt(0)
	v_cvt_f32_f64_e32 v25, v[61:62]
	scratch_load_b64 v[61:62], off, off offset:252 ; 8-byte Folded Reload
	s_waitcnt vmcnt(0)
	v_cvt_f32_f64_e32 v29, v[61:62]
	scratch_load_b64 v[61:62], off, off offset:268 ; 8-byte Folded Reload
	v_min3_f32 v113, v25, v29, v113
	s_waitcnt vmcnt(0)
	v_cvt_f32_f64_e32 v25, v[61:62]
	scratch_load_b64 v[61:62], off, off offset:244 ; 8-byte Folded Reload
	s_waitcnt vmcnt(0)
	v_cvt_f32_f64_e32 v29, v[61:62]
	s_delay_alu instid0(VALU_DEP_1) | instskip(SKIP_2) | instid1(VALU_DEP_1)
	v_min3_f32 v112, v25, v29, v112
	v_cvt_f32_f64_e32 v25, v[118:119]
	v_cvt_f32_f64_e32 v29, v[92:93]
	v_min3_f32 v64, v25, v29, v64
	v_cvt_f32_f64_e32 v25, v[52:53]
	v_cvt_f32_f64_e32 v29, v[120:121]
	s_delay_alu instid0(VALU_DEP_1) | instskip(SKIP_2) | instid1(VALU_DEP_1)
	v_min3_f32 v103, v25, v29, v103
	v_cvt_f32_f64_e32 v25, v[80:81]
	v_cvt_f32_f64_e32 v29, v[124:125]
	v_min3_f32 v243, v25, v29, v243
	v_cvt_f32_f64_e32 v25, v[168:169]
	;; [unrolled: 7-line block ×5, first 2 shown]
	v_cvt_f32_f64_e32 v29, v[190:191]
	v_mov_b32_e32 v190, v47
	s_delay_alu instid0(VALU_DEP_2) | instskip(SKIP_2) | instid1(VALU_DEP_1)
	v_min3_f32 v55, v25, v29, v55
	v_cvt_f32_f64_e32 v25, v[196:197]
	v_cvt_f32_f64_e32 v29, v[194:195]
	v_min3_f32 v54, v25, v29, v54
	v_cvt_f32_f64_e32 v25, v[44:45]
	v_cvt_f32_f64_e32 v29, v[82:83]
	scratch_load_b32 v45, off, off offset:300 ; 4-byte Folded Reload
	v_dual_mov_b32 v83, v201 :: v_dual_mov_b32 v82, v198
	v_min3_f32 v30, v25, v29, v30
	v_cvt_f32_f64_e32 v25, v[204:205]
	v_cvt_f32_f64_e32 v29, v[48:49]
	v_mov_b32_e32 v204, v202
	s_delay_alu instid0(VALU_DEP_2) | instskip(SKIP_2) | instid1(VALU_DEP_1)
	v_min3_f32 v254, v25, v29, v254
	v_cvt_f32_f64_e32 v25, v[208:209]
	v_cvt_f32_f64_e32 v29, v[206:207]
	v_min3_f32 v242, v25, v29, v242
	v_cvt_f32_f64_e32 v25, v[212:213]
	v_cvt_f32_f64_e32 v29, v[210:211]
	s_delay_alu instid0(VALU_DEP_1) | instskip(SKIP_4) | instid1(VALU_DEP_2)
	v_min3_f32 v224, v25, v29, v224
	v_cvt_f32_f64_e32 v25, v[216:217]
	v_mov_b32_e32 v216, v4
	v_cvt_f32_f64_e32 v29, v[214:215]
	v_cvt_f32_f64_e32 v4, v[6:7]
	v_min3_f32 v225, v25, v29, v225
	v_cvt_f32_f64_e32 v25, v[220:221]
	v_cvt_f32_f64_e32 v29, v[218:219]
	s_delay_alu instid0(VALU_DEP_4) | instskip(SKIP_2) | instid1(VALU_DEP_4)
	v_min3_f32 v237, v4, v5, v237
	v_cvt_f32_f64_e32 v4, v[8:9]
	v_cvt_f32_f64_e32 v5, v[14:15]
	v_min3_f32 v222, v25, v29, v222
	v_cvt_f32_f64_e32 v25, v[50:51]
	v_cvt_f32_f64_e32 v29, v[42:43]
	s_delay_alu instid0(VALU_DEP_4) | instskip(SKIP_2) | instid1(VALU_DEP_4)
	v_min3_f32 v204, v4, v5, v204
	;; [unrolled: 7-line block ×5, first 2 shown]
	v_cvt_f32_f64_e32 v4, v[27:28]
	v_cvt_f32_f64_e32 v5, v[34:35]
	v_min3_f32 v216, v25, v29, v216
	v_cvt_f32_f64_e32 v25, v[240:241]
	v_cvt_f32_f64_e32 v29, v[38:39]
	v_mov_b32_e32 v241, v236
	v_min3_f32 v82, v4, v5, v82
	v_cvt_f32_f64_e32 v4, v[68:69]
	v_cvt_f32_f64_e32 v5, v[70:71]
	v_min3_f32 v63, v25, v29, v63
	v_cvt_f32_f64_e32 v25, v[244:245]
	v_mov_b32_e32 v244, v128
	v_mov_b32_e32 v128, v239
	v_cvt_f32_f64_e32 v29, v[36:37]
	v_min3_f32 v130, v4, v5, v130
	s_delay_alu instid0(VALU_DEP_3)
	v_min3_f32 v128, v0, v1, v128
	v_cvt_f32_f64_e32 v0, v[144:145]
	v_cvt_f32_f64_e32 v1, v[146:147]
	v_min3_f32 v255, v25, v29, v255
	v_cvt_f32_f64_e32 v25, v[248:249]
	v_cvt_f32_f64_e32 v29, v[246:247]
	s_delay_alu instid0(VALU_DEP_4) | instskip(SKIP_2) | instid1(VALU_DEP_4)
	v_min3_f32 v126, v0, v1, v126
	v_cvt_f32_f64_e32 v0, v[148:149]
	v_cvt_f32_f64_e32 v1, v[150:151]
	v_min3_f32 v244, v25, v29, v244
	v_cvt_f32_f64_e32 v25, v[252:253]
	v_cvt_f32_f64_e32 v29, v[250:251]
	s_delay_alu instid0(VALU_DEP_4) | instskip(SKIP_2) | instid1(VALU_DEP_4)
	v_min3_f32 v123, v0, v1, v123
	v_cvt_f32_f64_e32 v0, v[152:153]
	v_cvt_f32_f64_e32 v1, v[154:155]
	v_min3_f32 v241, v25, v29, v241
	s_delay_alu instid0(VALU_DEP_2) | instskip(SKIP_2) | instid1(VALU_DEP_1)
	v_min3_f32 v122, v0, v1, v122
	v_cvt_f32_f64_e32 v0, v[156:157]
	v_cvt_f32_f64_e32 v1, v[158:159]
	v_min3_f32 v117, v0, v1, v117
	v_cvt_f32_f64_e32 v0, v[160:161]
	v_cvt_f32_f64_e32 v1, v[162:163]
	s_delay_alu instid0(VALU_DEP_1)
	v_min3_f32 v116, v0, v1, v116
	s_cbranch_vccz .LBB156_51
; %bb.52:
	s_clause 0x2
	s_load_b64 s[14:15], s[0:1], 0x78
	s_load_b32 s13, s[0:1], 0x70
	s_load_b32 s3, s[0:1], 0x58
	v_dual_mov_b32 v43, v59 :: v_dual_add_nc_u32 v18, s5, v111
	s_waitcnt vmcnt(0)
	v_dual_mov_b32 v49, v115 :: v_dual_add_nc_u32 v12, s4, v45
	v_mov_b32_e32 v41, v57
	v_mov_b32_e32 v39, v55
	v_mov_b32_e32 v35, v225
	s_delay_alu instid0(VALU_DEP_4) | instskip(SKIP_1) | instid1(VALU_DEP_1)
	v_ashrrev_i32_e32 v13, 31, v12
	v_add_nc_u32_e32 v2, 32, v12
	v_ashrrev_i32_e32 v3, 31, v2
	s_waitcnt lgkmcnt(0)
	s_mul_i32 s1, s12, s15
	v_mad_i64_i32 v[0:1], null, v18, s13, 0
	v_mad_i64_i32 v[4:5], null, v18, s3, 0
	s_mul_hi_u32 s4, s12, s14
	s_mul_i32 s0, s12, s14
	s_add_i32 s1, s4, s1
	s_delay_alu instid0(SALU_CYCLE_1) | instskip(NEXT) | instid1(VALU_DEP_2)
	s_lshl_b64 s[0:1], s[0:1], 3
	v_lshlrev_b64 v[6:7], 3, v[0:1]
	s_delay_alu instid0(VALU_DEP_2) | instskip(SKIP_3) | instid1(VALU_DEP_3)
	v_lshlrev_b64 v[4:5], 3, v[4:5]
	s_add_u32 s4, s6, s0
	s_addc_u32 s5, s7, s1
	v_lshlrev_b64 v[0:1], 3, v[12:13]
	v_add_co_u32 v19, vcc_lo, s4, v6
	v_add_co_ci_u32_e32 v22, vcc_lo, s5, v7, vcc_lo
	v_add_co_u32 v16, vcc_lo, s10, v4
	v_max_f32_e32 v4, v143, v143
	v_add_co_ci_u32_e32 v17, vcc_lo, s11, v5, vcc_lo
	s_mov_b32 vcc_lo, s2
	s_cbranch_vccz .LBB156_54
; %bb.53:
	s_delay_alu instid0(VALU_DEP_2) | instskip(SKIP_2) | instid1(VALU_DEP_3)
	v_min_f32_e32 v5, 0, v4
	v_add_co_u32 v7, vcc_lo, v19, v0
	v_add_co_ci_u32_e32 v8, vcc_lo, v22, v1, vcc_lo
	v_cvt_f64_f32_e32 v[5:6], v5
	s_mov_b32 s6, 0
	s_mov_b64 s[0:1], 0
	global_store_b64 v[7:8], v[5:6], off
	s_branch .LBB156_55
.LBB156_54:
	s_mov_b32 s6, -1
                                        ; implicit-def: $sgpr0_sgpr1
.LBB156_55:
	v_lshlrev_b64 v[2:3], 3, v[2:3]
	v_mov_b32_e32 v34, v46
	v_dual_mov_b32 v36, v224 :: v_dual_mov_b32 v37, v30
	v_mov_b32_e32 v46, v113
	s_and_not1_b32 vcc_lo, exec_lo, s6
	s_cbranch_vccnz .LBB156_57
; %bb.56:
	v_add_co_u32 v5, vcc_lo, v16, v0
	v_add_co_ci_u32_e32 v6, vcc_lo, v17, v1, vcc_lo
	flat_load_b64 v[5:6], v[5:6]
	s_waitcnt vmcnt(0) lgkmcnt(0)
	v_mul_f64 v[5:6], s[8:9], v[5:6]
	s_delay_alu instid0(VALU_DEP_1)
	v_cvt_f32_f64_e32 v5, v[5:6]
	v_add_co_u32 v6, vcc_lo, v19, v0
	v_add_co_ci_u32_e32 v7, vcc_lo, v22, v1, vcc_lo
	v_add_co_u32 v8, vcc_lo, v16, v2
	v_add_co_ci_u32_e32 v9, vcc_lo, v17, v3, vcc_lo
	v_min_f32_e32 v4, v5, v4
	s_delay_alu instid0(VALU_DEP_1)
	v_cvt_f64_f32_e32 v[4:5], v4
	global_store_b64 v[6:7], v[4:5], off
	flat_load_b64 v[4:5], v[8:9]
	s_waitcnt vmcnt(0) lgkmcnt(0)
	v_mul_f64 v[4:5], s[8:9], v[4:5]
	s_branch .LBB156_58
.LBB156_57:
	v_dual_mov_b32 v5, s1 :: v_dual_mov_b32 v4, s0
.LBB156_58:
	s_delay_alu instid0(VALU_DEP_1) | instskip(SKIP_4) | instid1(VALU_DEP_4)
	v_cvt_f32_f64_e32 v4, v[4:5]
	v_dual_max_f32 v5, v142, v142 :: v_dual_add_nc_u32 v6, 0x60, v12
	v_add_co_u32 v13, vcc_lo, v19, v2
	v_add_co_ci_u32_e32 v14, vcc_lo, v22, v3, vcc_lo
	v_max_f32_e32 v8, v141, v141
	v_ashrrev_i32_e32 v7, 31, v6
	s_mov_b32 vcc_lo, s2
	v_min_f32_e32 v4, v4, v5
	s_delay_alu instid0(VALU_DEP_1) | instskip(SKIP_1) | instid1(VALU_DEP_1)
	v_cvt_f64_f32_e32 v[9:10], v4
	v_add_nc_u32_e32 v4, 64, v12
	v_ashrrev_i32_e32 v5, 31, v4
	s_delay_alu instid0(VALU_DEP_1)
	v_lshlrev_b64 v[4:5], 3, v[4:5]
	global_store_b64 v[13:14], v[9:10], off
	s_cbranch_vccz .LBB156_61
; %bb.59:
	v_min_f32_e32 v9, 0, v8
	v_add_co_u32 v13, vcc_lo, v19, v4
	v_add_co_ci_u32_e32 v14, vcc_lo, v22, v5, vcc_lo
	s_delay_alu instid0(VALU_DEP_3)
	v_cvt_f64_f32_e32 v[9:10], v9
	s_mov_b64 s[0:1], 0
	global_store_b64 v[13:14], v[9:10], off
	v_lshlrev_b64 v[6:7], 3, v[6:7]
	s_cbranch_execz .LBB156_62
; %bb.60:
	v_dual_mov_b32 v9, s1 :: v_dual_mov_b32 v8, s0
	s_branch .LBB156_63
.LBB156_61:
                                        ; implicit-def: $sgpr0_sgpr1
	v_lshlrev_b64 v[6:7], 3, v[6:7]
.LBB156_62:
	v_add_co_u32 v9, vcc_lo, v16, v4
	v_add_co_ci_u32_e32 v10, vcc_lo, v17, v5, vcc_lo
	flat_load_b64 v[9:10], v[9:10]
	s_waitcnt vmcnt(0) lgkmcnt(0)
	v_mul_f64 v[9:10], s[8:9], v[9:10]
	s_delay_alu instid0(VALU_DEP_1)
	v_cvt_f32_f64_e32 v9, v[9:10]
	v_add_co_u32 v10, vcc_lo, v19, v4
	v_add_co_ci_u32_e32 v11, vcc_lo, v22, v5, vcc_lo
	v_add_co_u32 v13, vcc_lo, v16, v6
	v_add_co_ci_u32_e32 v14, vcc_lo, v17, v7, vcc_lo
	v_min_f32_e32 v8, v9, v8
	s_delay_alu instid0(VALU_DEP_1)
	v_cvt_f64_f32_e32 v[8:9], v8
	global_store_b64 v[10:11], v[8:9], off
	flat_load_b64 v[8:9], v[13:14]
	s_waitcnt vmcnt(0) lgkmcnt(0)
	v_mul_f64 v[8:9], s[8:9], v[8:9]
.LBB156_63:
	s_delay_alu instid0(VALU_DEP_1) | instskip(SKIP_4) | instid1(VALU_DEP_3)
	v_cvt_f32_f64_e32 v8, v[8:9]
	v_max_f32_e32 v9, v140, v140
	v_add_nc_u32_e32 v10, 0xa0, v12
	v_add_co_u32 v23, vcc_lo, v19, v6
	v_add_co_ci_u32_e32 v24, vcc_lo, v22, v7, vcc_lo
	v_ashrrev_i32_e32 v11, 31, v10
	s_mov_b32 vcc_lo, s2
	v_dual_max_f32 v13, v139, v139 :: v_dual_min_f32 v8, v8, v9
	s_delay_alu instid0(VALU_DEP_1) | instskip(SKIP_1) | instid1(VALU_DEP_1)
	v_cvt_f64_f32_e32 v[14:15], v8
	v_add_nc_u32_e32 v8, 0x80, v12
	v_ashrrev_i32_e32 v9, 31, v8
	s_delay_alu instid0(VALU_DEP_1)
	v_lshlrev_b64 v[8:9], 3, v[8:9]
	global_store_b64 v[23:24], v[14:15], off
	s_cbranch_vccz .LBB156_66
; %bb.64:
	v_min_f32_e32 v14, 0, v13
	v_add_co_u32 v23, vcc_lo, v19, v8
	v_add_co_ci_u32_e32 v24, vcc_lo, v22, v9, vcc_lo
	s_delay_alu instid0(VALU_DEP_3)
	v_cvt_f64_f32_e32 v[14:15], v14
	s_mov_b64 s[0:1], 0
	global_store_b64 v[23:24], v[14:15], off
	v_lshlrev_b64 v[10:11], 3, v[10:11]
	s_cbranch_execz .LBB156_67
; %bb.65:
	v_dual_mov_b32 v14, s1 :: v_dual_mov_b32 v13, s0
	s_branch .LBB156_68
.LBB156_66:
                                        ; implicit-def: $sgpr0_sgpr1
	v_lshlrev_b64 v[10:11], 3, v[10:11]
.LBB156_67:
	v_add_co_u32 v14, vcc_lo, v16, v8
	v_add_co_ci_u32_e32 v15, vcc_lo, v17, v9, vcc_lo
	v_add_co_u32 v23, vcc_lo, v19, v8
	v_add_co_ci_u32_e32 v24, vcc_lo, v22, v9, vcc_lo
	flat_load_b64 v[14:15], v[14:15]
	v_add_co_u32 v27, vcc_lo, v16, v10
	v_add_co_ci_u32_e32 v28, vcc_lo, v17, v11, vcc_lo
	s_waitcnt vmcnt(0) lgkmcnt(0)
	v_mul_f64 v[14:15], s[8:9], v[14:15]
	s_delay_alu instid0(VALU_DEP_1) | instskip(NEXT) | instid1(VALU_DEP_1)
	v_cvt_f32_f64_e32 v14, v[14:15]
	v_min_f32_e32 v13, v14, v13
	s_delay_alu instid0(VALU_DEP_1)
	v_cvt_f64_f32_e32 v[13:14], v13
	global_store_b64 v[23:24], v[13:14], off
	flat_load_b64 v[13:14], v[27:28]
	s_waitcnt vmcnt(0) lgkmcnt(0)
	v_mul_f64 v[13:14], s[8:9], v[13:14]
.LBB156_68:
	s_delay_alu instid0(VALU_DEP_1) | instskip(SKIP_4) | instid1(VALU_DEP_3)
	v_cvt_f32_f64_e32 v13, v[13:14]
	v_dual_max_f32 v14, v136, v136 :: v_dual_max_f32 v21, v135, v135
	v_add_nc_u32_e32 v27, 0xc0, v12
	v_add_co_u32 v29, vcc_lo, v19, v10
	v_add_co_ci_u32_e32 v30, vcc_lo, v22, v11, vcc_lo
	v_ashrrev_i32_e32 v28, 31, v27
	s_mov_b32 vcc_lo, s2
	v_dual_min_f32 v13, v13, v14 :: v_dual_add_nc_u32 v14, 0xe0, v12
	s_delay_alu instid0(VALU_DEP_1) | instskip(NEXT) | instid1(VALU_DEP_3)
	v_cvt_f64_f32_e32 v[23:24], v13
	v_lshlrev_b64 v[12:13], 3, v[27:28]
	s_delay_alu instid0(VALU_DEP_3)
	v_ashrrev_i32_e32 v15, 31, v14
	global_store_b64 v[29:30], v[23:24], off
	s_cbranch_vccz .LBB156_71
; %bb.69:
	v_min_f32_e32 v23, 0, v21
	v_add_co_u32 v27, vcc_lo, v19, v12
	v_add_co_ci_u32_e32 v28, vcc_lo, v22, v13, vcc_lo
	s_delay_alu instid0(VALU_DEP_3)
	v_cvt_f64_f32_e32 v[23:24], v23
	s_mov_b64 s[0:1], 0
	global_store_b64 v[27:28], v[23:24], off
	v_lshlrev_b64 v[14:15], 3, v[14:15]
	s_cbranch_execz .LBB156_72
; %bb.70:
	v_dual_mov_b32 v17, s1 :: v_dual_mov_b32 v16, s0
	s_branch .LBB156_73
.LBB156_71:
                                        ; implicit-def: $sgpr0_sgpr1
	v_lshlrev_b64 v[14:15], 3, v[14:15]
.LBB156_72:
	v_add_co_u32 v23, vcc_lo, v16, v12
	v_add_co_ci_u32_e32 v24, vcc_lo, v17, v13, vcc_lo
	v_add_co_u32 v27, vcc_lo, v19, v12
	v_add_co_ci_u32_e32 v28, vcc_lo, v22, v13, vcc_lo
	flat_load_b64 v[23:24], v[23:24]
	v_add_co_u32 v16, vcc_lo, v16, v14
	v_add_co_ci_u32_e32 v17, vcc_lo, v17, v15, vcc_lo
	s_waitcnt vmcnt(0) lgkmcnt(0)
	v_mul_f64 v[23:24], s[8:9], v[23:24]
	s_delay_alu instid0(VALU_DEP_1) | instskip(NEXT) | instid1(VALU_DEP_1)
	v_cvt_f32_f64_e32 v23, v[23:24]
	v_min_f32_e32 v21, v23, v21
	s_delay_alu instid0(VALU_DEP_1)
	v_cvt_f64_f32_e32 v[23:24], v21
	global_store_b64 v[27:28], v[23:24], off
	flat_load_b64 v[16:17], v[16:17]
	s_waitcnt vmcnt(0) lgkmcnt(0)
	v_mul_f64 v[16:17], s[8:9], v[16:17]
.LBB156_73:
	s_delay_alu instid0(VALU_DEP_1) | instskip(SKIP_4) | instid1(VALU_DEP_1)
	v_cvt_f32_f64_e32 v16, v[16:17]
	v_max_f32_e32 v17, v134, v134
	v_add_co_u32 v31, vcc_lo, v19, v14
	v_add_co_ci_u32_e32 v32, vcc_lo, v22, v15, vcc_lo
	v_add_nc_u32_e32 v21, 8, v18
	v_mad_i64_i32 v[27:28], null, v21, s3, 0
	s_delay_alu instid0(VALU_DEP_1) | instskip(SKIP_1) | instid1(VALU_DEP_1)
	v_lshlrev_b64 v[27:28], 3, v[27:28]
	v_min_f32_e32 v16, v16, v17
	v_cvt_f64_f32_e32 v[24:25], v16
	v_mad_i64_i32 v[16:17], null, v21, s13, 0
	s_delay_alu instid0(VALU_DEP_1) | instskip(SKIP_1) | instid1(VALU_DEP_2)
	v_lshlrev_b64 v[29:30], 3, v[16:17]
	v_max_f32_e32 v16, v133, v133
	v_add_co_u32 v19, vcc_lo, s4, v29
	s_delay_alu instid0(VALU_DEP_3)
	v_add_co_ci_u32_e32 v22, vcc_lo, s5, v30, vcc_lo
	v_add_co_u32 v21, vcc_lo, s10, v27
	v_add_co_ci_u32_e32 v23, vcc_lo, s11, v28, vcc_lo
	s_mov_b32 vcc_lo, s2
	global_store_b64 v[31:32], v[24:25], off
	s_cbranch_vccz .LBB156_76
; %bb.74:
	v_min_f32_e32 v17, 0, v16
	v_add_co_u32 v27, vcc_lo, v19, v0
	v_add_co_ci_u32_e32 v28, vcc_lo, v22, v1, vcc_lo
	s_delay_alu instid0(VALU_DEP_3)
	v_cvt_f64_f32_e32 v[24:25], v17
	s_mov_b64 s[0:1], 0
	global_store_b64 v[27:28], v[24:25], off
	s_cbranch_execz .LBB156_77
; %bb.75:
	v_dual_mov_b32 v17, s1 :: v_dual_mov_b32 v16, s0
	s_branch .LBB156_78
.LBB156_76:
                                        ; implicit-def: $sgpr0_sgpr1
.LBB156_77:
	v_add_co_u32 v24, vcc_lo, v21, v0
	v_add_co_ci_u32_e32 v25, vcc_lo, v23, v1, vcc_lo
	flat_load_b64 v[24:25], v[24:25]
	s_waitcnt vmcnt(0) lgkmcnt(0)
	v_mul_f64 v[24:25], s[8:9], v[24:25]
	s_delay_alu instid0(VALU_DEP_1)
	v_cvt_f32_f64_e32 v17, v[24:25]
	v_add_co_u32 v24, vcc_lo, v19, v0
	v_add_co_ci_u32_e32 v25, vcc_lo, v22, v1, vcc_lo
	v_add_co_u32 v27, vcc_lo, v21, v2
	v_add_co_ci_u32_e32 v28, vcc_lo, v23, v3, vcc_lo
	v_min_f32_e32 v16, v17, v16
	s_delay_alu instid0(VALU_DEP_1)
	v_cvt_f64_f32_e32 v[16:17], v16
	global_store_b64 v[24:25], v[16:17], off
	flat_load_b64 v[16:17], v[27:28]
	s_waitcnt vmcnt(0) lgkmcnt(0)
	v_mul_f64 v[16:17], s[8:9], v[16:17]
.LBB156_78:
	s_delay_alu instid0(VALU_DEP_1) | instskip(SKIP_4) | instid1(VALU_DEP_3)
	v_cvt_f32_f64_e32 v16, v[16:17]
	v_max_f32_e32 v17, v200, v200
	v_add_co_u32 v27, vcc_lo, v19, v2
	v_add_co_ci_u32_e32 v28, vcc_lo, v22, v3, vcc_lo
	s_mov_b32 vcc_lo, s2
	v_min_f32_e32 v16, v16, v17
	s_delay_alu instid0(VALU_DEP_1)
	v_cvt_f64_f32_e32 v[24:25], v16
	v_max_f32_e32 v16, v26, v26
	global_store_b64 v[27:28], v[24:25], off
	s_cbranch_vccz .LBB156_81
; %bb.79:
	v_min_f32_e32 v17, 0, v16
	v_add_co_u32 v27, vcc_lo, v19, v4
	v_add_co_ci_u32_e32 v28, vcc_lo, v22, v5, vcc_lo
	s_delay_alu instid0(VALU_DEP_3)
	v_cvt_f64_f32_e32 v[24:25], v17
	s_mov_b64 s[0:1], 0
	global_store_b64 v[27:28], v[24:25], off
	s_cbranch_execz .LBB156_82
; %bb.80:
	v_dual_mov_b32 v17, s1 :: v_dual_mov_b32 v16, s0
	s_branch .LBB156_83
.LBB156_81:
                                        ; implicit-def: $sgpr0_sgpr1
.LBB156_82:
	v_add_co_u32 v24, vcc_lo, v21, v4
	v_add_co_ci_u32_e32 v25, vcc_lo, v23, v5, vcc_lo
	flat_load_b64 v[24:25], v[24:25]
	s_waitcnt vmcnt(0) lgkmcnt(0)
	v_mul_f64 v[24:25], s[8:9], v[24:25]
	s_delay_alu instid0(VALU_DEP_1)
	v_cvt_f32_f64_e32 v17, v[24:25]
	v_add_co_u32 v24, vcc_lo, v19, v4
	v_add_co_ci_u32_e32 v25, vcc_lo, v22, v5, vcc_lo
	v_add_co_u32 v27, vcc_lo, v21, v6
	v_add_co_ci_u32_e32 v28, vcc_lo, v23, v7, vcc_lo
	v_min_f32_e32 v16, v17, v16
	s_delay_alu instid0(VALU_DEP_1)
	v_cvt_f64_f32_e32 v[16:17], v16
	global_store_b64 v[24:25], v[16:17], off
	flat_load_b64 v[16:17], v[27:28]
	s_waitcnt vmcnt(0) lgkmcnt(0)
	v_mul_f64 v[16:17], s[8:9], v[16:17]
.LBB156_83:
	s_delay_alu instid0(VALU_DEP_1) | instskip(SKIP_4) | instid1(VALU_DEP_3)
	v_cvt_f32_f64_e32 v16, v[16:17]
	v_max_f32_e32 v17, v138, v138
	v_add_co_u32 v27, vcc_lo, v19, v6
	v_add_co_ci_u32_e32 v28, vcc_lo, v22, v7, vcc_lo
	s_mov_b32 vcc_lo, s2
	v_min_f32_e32 v16, v16, v17
	s_delay_alu instid0(VALU_DEP_1)
	v_cvt_f64_f32_e32 v[24:25], v16
	v_max_f32_e32 v16, v238, v238
	global_store_b64 v[27:28], v[24:25], off
	s_cbranch_vccz .LBB156_86
; %bb.84:
	v_min_f32_e32 v17, 0, v16
	v_add_co_u32 v27, vcc_lo, v19, v8
	v_add_co_ci_u32_e32 v28, vcc_lo, v22, v9, vcc_lo
	s_delay_alu instid0(VALU_DEP_3)
	v_cvt_f64_f32_e32 v[24:25], v17
	s_mov_b64 s[0:1], 0
	global_store_b64 v[27:28], v[24:25], off
	s_cbranch_execz .LBB156_87
; %bb.85:
	v_dual_mov_b32 v17, s1 :: v_dual_mov_b32 v16, s0
	s_branch .LBB156_88
.LBB156_86:
                                        ; implicit-def: $sgpr0_sgpr1
.LBB156_87:
	v_add_co_u32 v24, vcc_lo, v21, v8
	v_add_co_ci_u32_e32 v25, vcc_lo, v23, v9, vcc_lo
	flat_load_b64 v[24:25], v[24:25]
	s_waitcnt vmcnt(0) lgkmcnt(0)
	v_mul_f64 v[24:25], s[8:9], v[24:25]
	s_delay_alu instid0(VALU_DEP_1)
	v_cvt_f32_f64_e32 v17, v[24:25]
	v_add_co_u32 v24, vcc_lo, v19, v8
	v_add_co_ci_u32_e32 v25, vcc_lo, v22, v9, vcc_lo
	v_add_co_u32 v27, vcc_lo, v21, v10
	v_add_co_ci_u32_e32 v28, vcc_lo, v23, v11, vcc_lo
	v_min_f32_e32 v16, v17, v16
	s_delay_alu instid0(VALU_DEP_1)
	v_cvt_f64_f32_e32 v[16:17], v16
	global_store_b64 v[24:25], v[16:17], off
	flat_load_b64 v[16:17], v[27:28]
	s_waitcnt vmcnt(0) lgkmcnt(0)
	v_mul_f64 v[16:17], s[8:9], v[16:17]
.LBB156_88:
	s_delay_alu instid0(VALU_DEP_1) | instskip(SKIP_4) | instid1(VALU_DEP_3)
	v_cvt_f32_f64_e32 v16, v[16:17]
	v_max_f32_e32 v17, v127, v127
	v_add_co_u32 v27, vcc_lo, v19, v10
	v_add_co_ci_u32_e32 v28, vcc_lo, v22, v11, vcc_lo
	s_mov_b32 vcc_lo, s2
	v_min_f32_e32 v16, v16, v17
	s_delay_alu instid0(VALU_DEP_1)
	v_cvt_f64_f32_e32 v[24:25], v16
	v_max_f32_e32 v16, v20, v20
	global_store_b64 v[27:28], v[24:25], off
	s_cbranch_vccz .LBB156_91
; %bb.89:
	v_min_f32_e32 v17, 0, v16
	v_add_co_u32 v27, vcc_lo, v19, v12
	v_add_co_ci_u32_e32 v28, vcc_lo, v22, v13, vcc_lo
	s_delay_alu instid0(VALU_DEP_3)
	v_cvt_f64_f32_e32 v[24:25], v17
	s_mov_b64 s[0:1], 0
	global_store_b64 v[27:28], v[24:25], off
	s_cbranch_execz .LBB156_92
; %bb.90:
	v_dual_mov_b32 v17, s1 :: v_dual_mov_b32 v16, s0
	s_branch .LBB156_93
.LBB156_91:
                                        ; implicit-def: $sgpr0_sgpr1
.LBB156_92:
	v_add_co_u32 v24, vcc_lo, v21, v12
	v_add_co_ci_u32_e32 v25, vcc_lo, v23, v13, vcc_lo
	flat_load_b64 v[24:25], v[24:25]
	s_waitcnt vmcnt(0) lgkmcnt(0)
	v_mul_f64 v[24:25], s[8:9], v[24:25]
	s_delay_alu instid0(VALU_DEP_1)
	v_cvt_f32_f64_e32 v17, v[24:25]
	v_add_co_u32 v24, vcc_lo, v19, v12
	v_add_co_ci_u32_e32 v25, vcc_lo, v22, v13, vcc_lo
	v_add_co_u32 v20, vcc_lo, v21, v14
	v_add_co_ci_u32_e32 v21, vcc_lo, v23, v15, vcc_lo
	v_min_f32_e32 v16, v17, v16
	s_delay_alu instid0(VALU_DEP_1)
	v_cvt_f64_f32_e32 v[16:17], v16
	global_store_b64 v[24:25], v[16:17], off
	flat_load_b64 v[16:17], v[20:21]
	s_waitcnt vmcnt(0) lgkmcnt(0)
	v_mul_f64 v[16:17], s[8:9], v[16:17]
.LBB156_93:
	s_delay_alu instid0(VALU_DEP_1) | instskip(SKIP_4) | instid1(VALU_DEP_1)
	v_cvt_f32_f64_e32 v16, v[16:17]
	v_max_f32_e32 v17, v110, v110
	v_add_co_u32 v28, vcc_lo, v19, v14
	v_add_co_ci_u32_e32 v29, vcc_lo, v22, v15, vcc_lo
	v_add_nc_u32_e32 v23, 16, v18
	v_mad_i64_i32 v[20:21], null, v23, s3, 0
	s_delay_alu instid0(VALU_DEP_1) | instskip(SKIP_1) | instid1(VALU_DEP_1)
	v_lshlrev_b64 v[21:22], 3, v[20:21]
	v_min_f32_e32 v16, v16, v17
	v_cvt_f64_f32_e32 v[24:25], v16
	v_mad_i64_i32 v[16:17], null, v23, s13, 0
	s_delay_alu instid0(VALU_DEP_1) | instskip(SKIP_1) | instid1(VALU_DEP_2)
	v_lshlrev_b64 v[26:27], 3, v[16:17]
	v_max_f32_e32 v16, v105, v105
	v_add_co_u32 v19, vcc_lo, s4, v26
	s_delay_alu instid0(VALU_DEP_3)
	v_add_co_ci_u32_e32 v20, vcc_lo, s5, v27, vcc_lo
	v_add_co_u32 v21, vcc_lo, s10, v21
	v_add_co_ci_u32_e32 v23, vcc_lo, s11, v22, vcc_lo
	s_mov_b32 vcc_lo, s2
	global_store_b64 v[28:29], v[24:25], off
	s_cbranch_vccz .LBB156_96
; %bb.94:
	v_min_f32_e32 v17, 0, v16
	v_add_co_u32 v26, vcc_lo, v19, v0
	v_add_co_ci_u32_e32 v27, vcc_lo, v20, v1, vcc_lo
	s_delay_alu instid0(VALU_DEP_3)
	v_cvt_f64_f32_e32 v[24:25], v17
	s_mov_b64 s[0:1], 0
	global_store_b64 v[26:27], v[24:25], off
	s_cbranch_execz .LBB156_97
; %bb.95:
	v_dual_mov_b32 v17, s1 :: v_dual_mov_b32 v16, s0
	s_branch .LBB156_98
.LBB156_96:
                                        ; implicit-def: $sgpr0_sgpr1
.LBB156_97:
	v_add_co_u32 v24, vcc_lo, v21, v0
	v_add_co_ci_u32_e32 v25, vcc_lo, v23, v1, vcc_lo
	flat_load_b64 v[24:25], v[24:25]
	s_waitcnt vmcnt(0) lgkmcnt(0)
	v_mul_f64 v[24:25], s[8:9], v[24:25]
	s_delay_alu instid0(VALU_DEP_1)
	v_cvt_f32_f64_e32 v17, v[24:25]
	v_add_co_u32 v24, vcc_lo, v19, v0
	v_add_co_ci_u32_e32 v25, vcc_lo, v20, v1, vcc_lo
	v_add_co_u32 v26, vcc_lo, v21, v2
	v_add_co_ci_u32_e32 v27, vcc_lo, v23, v3, vcc_lo
	v_min_f32_e32 v16, v17, v16
	s_delay_alu instid0(VALU_DEP_1)
	v_cvt_f64_f32_e32 v[16:17], v16
	global_store_b64 v[24:25], v[16:17], off
	flat_load_b64 v[16:17], v[26:27]
	s_waitcnt vmcnt(0) lgkmcnt(0)
	v_mul_f64 v[16:17], s[8:9], v[16:17]
.LBB156_98:
	s_delay_alu instid0(VALU_DEP_1) | instskip(SKIP_4) | instid1(VALU_DEP_3)
	v_cvt_f32_f64_e32 v16, v[16:17]
	v_max_f32_e32 v17, v104, v104
	v_add_co_u32 v26, vcc_lo, v19, v2
	v_add_co_ci_u32_e32 v27, vcc_lo, v20, v3, vcc_lo
	s_mov_b32 vcc_lo, s2
	v_min_f32_e32 v16, v16, v17
	s_delay_alu instid0(VALU_DEP_1)
	v_cvt_f64_f32_e32 v[24:25], v16
	v_max_f32_e32 v16, v49, v49
	global_store_b64 v[26:27], v[24:25], off
	s_cbranch_vccz .LBB156_101
; %bb.99:
	v_min_f32_e32 v17, 0, v16
	v_add_co_u32 v26, vcc_lo, v19, v4
	v_add_co_ci_u32_e32 v27, vcc_lo, v20, v5, vcc_lo
	s_delay_alu instid0(VALU_DEP_3)
	v_cvt_f64_f32_e32 v[24:25], v17
	s_mov_b64 s[0:1], 0
	global_store_b64 v[26:27], v[24:25], off
	s_cbranch_execz .LBB156_102
; %bb.100:
	v_dual_mov_b32 v17, s1 :: v_dual_mov_b32 v16, s0
	s_branch .LBB156_103
.LBB156_101:
                                        ; implicit-def: $sgpr0_sgpr1
.LBB156_102:
	v_add_co_u32 v24, vcc_lo, v21, v4
	v_add_co_ci_u32_e32 v25, vcc_lo, v23, v5, vcc_lo
	flat_load_b64 v[24:25], v[24:25]
	s_waitcnt vmcnt(0) lgkmcnt(0)
	v_mul_f64 v[24:25], s[8:9], v[24:25]
	s_delay_alu instid0(VALU_DEP_1)
	v_cvt_f32_f64_e32 v17, v[24:25]
	v_add_co_u32 v24, vcc_lo, v19, v4
	v_add_co_ci_u32_e32 v25, vcc_lo, v20, v5, vcc_lo
	v_add_co_u32 v26, vcc_lo, v21, v6
	v_add_co_ci_u32_e32 v27, vcc_lo, v23, v7, vcc_lo
	v_min_f32_e32 v16, v17, v16
	s_delay_alu instid0(VALU_DEP_1)
	v_cvt_f64_f32_e32 v[16:17], v16
	global_store_b64 v[24:25], v[16:17], off
	flat_load_b64 v[16:17], v[26:27]
	s_waitcnt vmcnt(0) lgkmcnt(0)
	v_mul_f64 v[16:17], s[8:9], v[16:17]
.LBB156_103:
	s_delay_alu instid0(VALU_DEP_1) | instskip(SKIP_4) | instid1(VALU_DEP_3)
	v_cvt_f32_f64_e32 v16, v[16:17]
	v_max_f32_e32 v17, v114, v114
	v_add_co_u32 v26, vcc_lo, v19, v6
	v_add_co_ci_u32_e32 v27, vcc_lo, v20, v7, vcc_lo
	s_mov_b32 vcc_lo, s2
	v_min_f32_e32 v16, v16, v17
	s_delay_alu instid0(VALU_DEP_1)
	v_cvt_f64_f32_e32 v[24:25], v16
	v_max_f32_e32 v16, v91, v91
	;; [unrolled: 46-line block ×3, first 2 shown]
	global_store_b64 v[26:27], v[24:25], off
	s_cbranch_vccz .LBB156_111
; %bb.109:
	v_min_f32_e32 v17, 0, v16
	v_add_co_u32 v26, vcc_lo, v19, v12
	v_add_co_ci_u32_e32 v27, vcc_lo, v20, v13, vcc_lo
	s_delay_alu instid0(VALU_DEP_3)
	v_cvt_f64_f32_e32 v[24:25], v17
	s_mov_b64 s[0:1], 0
	global_store_b64 v[26:27], v[24:25], off
	s_cbranch_execz .LBB156_112
; %bb.110:
	v_dual_mov_b32 v17, s1 :: v_dual_mov_b32 v16, s0
	s_branch .LBB156_113
.LBB156_111:
                                        ; implicit-def: $sgpr0_sgpr1
.LBB156_112:
	v_add_co_u32 v24, vcc_lo, v21, v12
	v_add_co_ci_u32_e32 v25, vcc_lo, v23, v13, vcc_lo
	flat_load_b64 v[24:25], v[24:25]
	s_waitcnt vmcnt(0) lgkmcnt(0)
	v_mul_f64 v[24:25], s[8:9], v[24:25]
	s_delay_alu instid0(VALU_DEP_1)
	v_cvt_f32_f64_e32 v17, v[24:25]
	v_add_co_u32 v24, vcc_lo, v19, v12
	v_add_co_ci_u32_e32 v25, vcc_lo, v20, v13, vcc_lo
	v_add_co_u32 v21, vcc_lo, v21, v14
	v_add_co_ci_u32_e32 v22, vcc_lo, v23, v15, vcc_lo
	v_min_f32_e32 v16, v17, v16
	s_delay_alu instid0(VALU_DEP_1)
	v_cvt_f64_f32_e32 v[16:17], v16
	global_store_b64 v[24:25], v[16:17], off
	flat_load_b64 v[16:17], v[21:22]
	s_waitcnt vmcnt(0) lgkmcnt(0)
	v_mul_f64 v[16:17], s[8:9], v[16:17]
.LBB156_113:
	s_delay_alu instid0(VALU_DEP_1) | instskip(SKIP_4) | instid1(VALU_DEP_1)
	v_cvt_f32_f64_e32 v16, v[16:17]
	v_max_f32_e32 v17, v112, v112
	v_add_co_u32 v28, vcc_lo, v19, v14
	v_add_co_ci_u32_e32 v29, vcc_lo, v20, v15, vcc_lo
	v_add_nc_u32_e32 v23, 24, v18
	v_mad_i64_i32 v[21:22], null, v23, s3, 0
	s_delay_alu instid0(VALU_DEP_1) | instskip(SKIP_1) | instid1(VALU_DEP_1)
	v_lshlrev_b64 v[21:22], 3, v[21:22]
	v_min_f32_e32 v16, v16, v17
	v_cvt_f64_f32_e32 v[24:25], v16
	v_mad_i64_i32 v[16:17], null, v23, s13, 0
	s_delay_alu instid0(VALU_DEP_1) | instskip(SKIP_1) | instid1(VALU_DEP_2)
	v_lshlrev_b64 v[26:27], 3, v[16:17]
	v_max_f32_e32 v16, v64, v64
	v_add_co_u32 v19, vcc_lo, s4, v26
	s_delay_alu instid0(VALU_DEP_3)
	v_add_co_ci_u32_e32 v20, vcc_lo, s5, v27, vcc_lo
	v_add_co_u32 v21, vcc_lo, s10, v21
	v_add_co_ci_u32_e32 v23, vcc_lo, s11, v22, vcc_lo
	s_mov_b32 vcc_lo, s2
	global_store_b64 v[28:29], v[24:25], off
	s_cbranch_vccz .LBB156_116
; %bb.114:
	v_min_f32_e32 v17, 0, v16
	v_add_co_u32 v26, vcc_lo, v19, v0
	v_add_co_ci_u32_e32 v27, vcc_lo, v20, v1, vcc_lo
	s_delay_alu instid0(VALU_DEP_3)
	v_cvt_f64_f32_e32 v[24:25], v17
	s_mov_b64 s[0:1], 0
	global_store_b64 v[26:27], v[24:25], off
	s_cbranch_execz .LBB156_117
; %bb.115:
	v_dual_mov_b32 v17, s1 :: v_dual_mov_b32 v16, s0
	s_branch .LBB156_118
.LBB156_116:
                                        ; implicit-def: $sgpr0_sgpr1
.LBB156_117:
	v_add_co_u32 v24, vcc_lo, v21, v0
	v_add_co_ci_u32_e32 v25, vcc_lo, v23, v1, vcc_lo
	flat_load_b64 v[24:25], v[24:25]
	s_waitcnt vmcnt(0) lgkmcnt(0)
	v_mul_f64 v[24:25], s[8:9], v[24:25]
	s_delay_alu instid0(VALU_DEP_1)
	v_cvt_f32_f64_e32 v17, v[24:25]
	v_add_co_u32 v24, vcc_lo, v19, v0
	v_add_co_ci_u32_e32 v25, vcc_lo, v20, v1, vcc_lo
	v_add_co_u32 v26, vcc_lo, v21, v2
	v_add_co_ci_u32_e32 v27, vcc_lo, v23, v3, vcc_lo
	v_min_f32_e32 v16, v17, v16
	s_delay_alu instid0(VALU_DEP_1)
	v_cvt_f64_f32_e32 v[16:17], v16
	global_store_b64 v[24:25], v[16:17], off
	flat_load_b64 v[16:17], v[26:27]
	s_waitcnt vmcnt(0) lgkmcnt(0)
	v_mul_f64 v[16:17], s[8:9], v[16:17]
.LBB156_118:
	s_delay_alu instid0(VALU_DEP_1) | instskip(SKIP_4) | instid1(VALU_DEP_3)
	v_cvt_f32_f64_e32 v16, v[16:17]
	v_max_f32_e32 v17, v103, v103
	v_add_co_u32 v26, vcc_lo, v19, v2
	v_add_co_ci_u32_e32 v27, vcc_lo, v20, v3, vcc_lo
	s_mov_b32 vcc_lo, s2
	v_min_f32_e32 v16, v16, v17
	s_delay_alu instid0(VALU_DEP_1)
	v_cvt_f64_f32_e32 v[24:25], v16
	v_max_f32_e32 v16, v243, v243
	global_store_b64 v[26:27], v[24:25], off
	s_cbranch_vccz .LBB156_121
; %bb.119:
	v_min_f32_e32 v17, 0, v16
	v_add_co_u32 v26, vcc_lo, v19, v4
	v_add_co_ci_u32_e32 v27, vcc_lo, v20, v5, vcc_lo
	s_delay_alu instid0(VALU_DEP_3)
	v_cvt_f64_f32_e32 v[24:25], v17
	s_mov_b64 s[0:1], 0
	global_store_b64 v[26:27], v[24:25], off
	s_cbranch_execz .LBB156_122
; %bb.120:
	v_dual_mov_b32 v17, s1 :: v_dual_mov_b32 v16, s0
	s_branch .LBB156_123
.LBB156_121:
                                        ; implicit-def: $sgpr0_sgpr1
.LBB156_122:
	v_add_co_u32 v24, vcc_lo, v21, v4
	v_add_co_ci_u32_e32 v25, vcc_lo, v23, v5, vcc_lo
	flat_load_b64 v[24:25], v[24:25]
	s_waitcnt vmcnt(0) lgkmcnt(0)
	v_mul_f64 v[24:25], s[8:9], v[24:25]
	s_delay_alu instid0(VALU_DEP_1)
	v_cvt_f32_f64_e32 v17, v[24:25]
	v_add_co_u32 v24, vcc_lo, v19, v4
	v_add_co_ci_u32_e32 v25, vcc_lo, v20, v5, vcc_lo
	v_add_co_u32 v26, vcc_lo, v21, v6
	v_add_co_ci_u32_e32 v27, vcc_lo, v23, v7, vcc_lo
	v_min_f32_e32 v16, v17, v16
	s_delay_alu instid0(VALU_DEP_1)
	v_cvt_f64_f32_e32 v[16:17], v16
	global_store_b64 v[24:25], v[16:17], off
	flat_load_b64 v[16:17], v[26:27]
	s_waitcnt vmcnt(0) lgkmcnt(0)
	v_mul_f64 v[16:17], s[8:9], v[16:17]
.LBB156_123:
	s_delay_alu instid0(VALU_DEP_1) | instskip(SKIP_4) | instid1(VALU_DEP_3)
	v_cvt_f32_f64_e32 v16, v[16:17]
	v_max_f32_e32 v17, v107, v107
	v_add_co_u32 v26, vcc_lo, v19, v6
	v_add_co_ci_u32_e32 v27, vcc_lo, v20, v7, vcc_lo
	s_mov_b32 vcc_lo, s2
	v_min_f32_e32 v16, v16, v17
	s_delay_alu instid0(VALU_DEP_1)
	v_cvt_f64_f32_e32 v[24:25], v16
	v_max_f32_e32 v16, v60, v60
	;; [unrolled: 46-line block ×3, first 2 shown]
	global_store_b64 v[26:27], v[24:25], off
	s_cbranch_vccz .LBB156_131
; %bb.129:
	v_min_f32_e32 v17, 0, v16
	v_add_co_u32 v26, vcc_lo, v19, v12
	v_add_co_ci_u32_e32 v27, vcc_lo, v20, v13, vcc_lo
	s_delay_alu instid0(VALU_DEP_3)
	v_cvt_f64_f32_e32 v[24:25], v17
	s_mov_b64 s[0:1], 0
	global_store_b64 v[26:27], v[24:25], off
	s_cbranch_execz .LBB156_132
; %bb.130:
	v_dual_mov_b32 v17, s1 :: v_dual_mov_b32 v16, s0
	s_branch .LBB156_133
.LBB156_131:
                                        ; implicit-def: $sgpr0_sgpr1
.LBB156_132:
	v_add_co_u32 v24, vcc_lo, v21, v12
	v_add_co_ci_u32_e32 v25, vcc_lo, v23, v13, vcc_lo
	flat_load_b64 v[24:25], v[24:25]
	s_waitcnt vmcnt(0) lgkmcnt(0)
	v_mul_f64 v[24:25], s[8:9], v[24:25]
	s_delay_alu instid0(VALU_DEP_1)
	v_cvt_f32_f64_e32 v17, v[24:25]
	v_add_co_u32 v24, vcc_lo, v19, v12
	v_add_co_ci_u32_e32 v25, vcc_lo, v20, v13, vcc_lo
	v_add_co_u32 v21, vcc_lo, v21, v14
	v_add_co_ci_u32_e32 v22, vcc_lo, v23, v15, vcc_lo
	v_min_f32_e32 v16, v17, v16
	s_delay_alu instid0(VALU_DEP_1)
	v_cvt_f64_f32_e32 v[16:17], v16
	global_store_b64 v[24:25], v[16:17], off
	flat_load_b64 v[16:17], v[21:22]
	s_waitcnt vmcnt(0) lgkmcnt(0)
	v_mul_f64 v[16:17], s[8:9], v[16:17]
.LBB156_133:
	s_delay_alu instid0(VALU_DEP_1) | instskip(SKIP_4) | instid1(VALU_DEP_1)
	v_cvt_f32_f64_e32 v16, v[16:17]
	v_max_f32_e32 v17, v41, v41
	v_add_co_u32 v28, vcc_lo, v19, v14
	v_add_co_ci_u32_e32 v29, vcc_lo, v20, v15, vcc_lo
	v_add_nc_u32_e32 v23, 32, v18
	v_mad_i64_i32 v[21:22], null, v23, s3, 0
	s_delay_alu instid0(VALU_DEP_1) | instskip(SKIP_1) | instid1(VALU_DEP_1)
	v_lshlrev_b64 v[21:22], 3, v[21:22]
	v_min_f32_e32 v16, v16, v17
	v_cvt_f64_f32_e32 v[24:25], v16
	v_mad_i64_i32 v[16:17], null, v23, s13, 0
	s_delay_alu instid0(VALU_DEP_1) | instskip(SKIP_1) | instid1(VALU_DEP_2)
	v_lshlrev_b64 v[26:27], 3, v[16:17]
	v_max_f32_e32 v16, v56, v56
	v_add_co_u32 v19, vcc_lo, s4, v26
	s_delay_alu instid0(VALU_DEP_3)
	v_add_co_ci_u32_e32 v20, vcc_lo, s5, v27, vcc_lo
	v_add_co_u32 v21, vcc_lo, s10, v21
	v_add_co_ci_u32_e32 v23, vcc_lo, s11, v22, vcc_lo
	s_mov_b32 vcc_lo, s2
	global_store_b64 v[28:29], v[24:25], off
	s_cbranch_vccz .LBB156_136
; %bb.134:
	v_min_f32_e32 v17, 0, v16
	v_add_co_u32 v26, vcc_lo, v19, v0
	v_add_co_ci_u32_e32 v27, vcc_lo, v20, v1, vcc_lo
	s_delay_alu instid0(VALU_DEP_3)
	v_cvt_f64_f32_e32 v[24:25], v17
	s_mov_b64 s[0:1], 0
	global_store_b64 v[26:27], v[24:25], off
	s_cbranch_execz .LBB156_137
; %bb.135:
	v_dual_mov_b32 v17, s1 :: v_dual_mov_b32 v16, s0
	s_branch .LBB156_138
.LBB156_136:
                                        ; implicit-def: $sgpr0_sgpr1
.LBB156_137:
	v_add_co_u32 v24, vcc_lo, v21, v0
	v_add_co_ci_u32_e32 v25, vcc_lo, v23, v1, vcc_lo
	flat_load_b64 v[24:25], v[24:25]
	s_waitcnt vmcnt(0) lgkmcnt(0)
	v_mul_f64 v[24:25], s[8:9], v[24:25]
	s_delay_alu instid0(VALU_DEP_1)
	v_cvt_f32_f64_e32 v17, v[24:25]
	v_add_co_u32 v24, vcc_lo, v19, v0
	v_add_co_ci_u32_e32 v25, vcc_lo, v20, v1, vcc_lo
	v_add_co_u32 v26, vcc_lo, v21, v2
	v_add_co_ci_u32_e32 v27, vcc_lo, v23, v3, vcc_lo
	v_min_f32_e32 v16, v17, v16
	s_delay_alu instid0(VALU_DEP_1)
	v_cvt_f64_f32_e32 v[16:17], v16
	global_store_b64 v[24:25], v[16:17], off
	flat_load_b64 v[16:17], v[26:27]
	s_waitcnt vmcnt(0) lgkmcnt(0)
	v_mul_f64 v[16:17], s[8:9], v[16:17]
.LBB156_138:
	s_delay_alu instid0(VALU_DEP_1) | instskip(SKIP_4) | instid1(VALU_DEP_3)
	v_cvt_f32_f64_e32 v16, v[16:17]
	v_max_f32_e32 v17, v39, v39
	v_add_co_u32 v26, vcc_lo, v19, v2
	v_add_co_ci_u32_e32 v27, vcc_lo, v20, v3, vcc_lo
	s_mov_b32 vcc_lo, s2
	v_min_f32_e32 v16, v16, v17
	s_delay_alu instid0(VALU_DEP_1)
	v_cvt_f64_f32_e32 v[24:25], v16
	v_max_f32_e32 v16, v54, v54
	global_store_b64 v[26:27], v[24:25], off
	s_cbranch_vccz .LBB156_141
; %bb.139:
	v_min_f32_e32 v17, 0, v16
	v_add_co_u32 v26, vcc_lo, v19, v4
	v_add_co_ci_u32_e32 v27, vcc_lo, v20, v5, vcc_lo
	s_delay_alu instid0(VALU_DEP_3)
	v_cvt_f64_f32_e32 v[24:25], v17
	s_mov_b64 s[0:1], 0
	global_store_b64 v[26:27], v[24:25], off
	s_cbranch_execz .LBB156_142
; %bb.140:
	v_dual_mov_b32 v17, s1 :: v_dual_mov_b32 v16, s0
	s_branch .LBB156_143
.LBB156_141:
                                        ; implicit-def: $sgpr0_sgpr1
.LBB156_142:
	v_add_co_u32 v24, vcc_lo, v21, v4
	v_add_co_ci_u32_e32 v25, vcc_lo, v23, v5, vcc_lo
	flat_load_b64 v[24:25], v[24:25]
	s_waitcnt vmcnt(0) lgkmcnt(0)
	v_mul_f64 v[24:25], s[8:9], v[24:25]
	s_delay_alu instid0(VALU_DEP_1)
	v_cvt_f32_f64_e32 v17, v[24:25]
	v_add_co_u32 v24, vcc_lo, v19, v4
	v_add_co_ci_u32_e32 v25, vcc_lo, v20, v5, vcc_lo
	v_add_co_u32 v26, vcc_lo, v21, v6
	v_add_co_ci_u32_e32 v27, vcc_lo, v23, v7, vcc_lo
	v_min_f32_e32 v16, v17, v16
	s_delay_alu instid0(VALU_DEP_1)
	v_cvt_f64_f32_e32 v[16:17], v16
	global_store_b64 v[24:25], v[16:17], off
	flat_load_b64 v[16:17], v[26:27]
	s_waitcnt vmcnt(0) lgkmcnt(0)
	v_mul_f64 v[16:17], s[8:9], v[16:17]
.LBB156_143:
	s_delay_alu instid0(VALU_DEP_1) | instskip(SKIP_4) | instid1(VALU_DEP_3)
	v_cvt_f32_f64_e32 v16, v[16:17]
	v_max_f32_e32 v17, v37, v37
	v_add_co_u32 v26, vcc_lo, v19, v6
	v_add_co_ci_u32_e32 v27, vcc_lo, v20, v7, vcc_lo
	s_mov_b32 vcc_lo, s2
	v_min_f32_e32 v16, v16, v17
	s_delay_alu instid0(VALU_DEP_1)
	v_cvt_f64_f32_e32 v[24:25], v16
	v_max_f32_e32 v16, v254, v254
	;; [unrolled: 46-line block ×3, first 2 shown]
	global_store_b64 v[26:27], v[24:25], off
	s_cbranch_vccz .LBB156_151
; %bb.149:
	v_min_f32_e32 v17, 0, v16
	v_add_co_u32 v26, vcc_lo, v19, v12
	v_add_co_ci_u32_e32 v27, vcc_lo, v20, v13, vcc_lo
	s_delay_alu instid0(VALU_DEP_3)
	v_cvt_f64_f32_e32 v[24:25], v17
	s_mov_b64 s[0:1], 0
	global_store_b64 v[26:27], v[24:25], off
	s_cbranch_execz .LBB156_152
; %bb.150:
	v_dual_mov_b32 v17, s1 :: v_dual_mov_b32 v16, s0
	s_branch .LBB156_153
.LBB156_151:
                                        ; implicit-def: $sgpr0_sgpr1
.LBB156_152:
	v_add_co_u32 v24, vcc_lo, v21, v12
	v_add_co_ci_u32_e32 v25, vcc_lo, v23, v13, vcc_lo
	flat_load_b64 v[24:25], v[24:25]
	s_waitcnt vmcnt(0) lgkmcnt(0)
	v_mul_f64 v[24:25], s[8:9], v[24:25]
	s_delay_alu instid0(VALU_DEP_1)
	v_cvt_f32_f64_e32 v17, v[24:25]
	v_add_co_u32 v24, vcc_lo, v19, v12
	v_add_co_ci_u32_e32 v25, vcc_lo, v20, v13, vcc_lo
	v_add_co_u32 v21, vcc_lo, v21, v14
	v_add_co_ci_u32_e32 v22, vcc_lo, v23, v15, vcc_lo
	v_min_f32_e32 v16, v17, v16
	s_delay_alu instid0(VALU_DEP_1)
	v_cvt_f64_f32_e32 v[16:17], v16
	global_store_b64 v[24:25], v[16:17], off
	flat_load_b64 v[16:17], v[21:22]
	s_waitcnt vmcnt(0) lgkmcnt(0)
	v_mul_f64 v[16:17], s[8:9], v[16:17]
.LBB156_153:
	s_delay_alu instid0(VALU_DEP_1) | instskip(SKIP_4) | instid1(VALU_DEP_1)
	v_cvt_f32_f64_e32 v16, v[16:17]
	v_max_f32_e32 v17, v35, v35
	v_add_co_u32 v28, vcc_lo, v19, v14
	v_add_co_ci_u32_e32 v29, vcc_lo, v20, v15, vcc_lo
	v_add_nc_u32_e32 v23, 40, v18
	v_mad_i64_i32 v[21:22], null, v23, s3, 0
	s_delay_alu instid0(VALU_DEP_1) | instskip(SKIP_1) | instid1(VALU_DEP_1)
	v_lshlrev_b64 v[21:22], 3, v[21:22]
	v_min_f32_e32 v16, v16, v17
	v_cvt_f64_f32_e32 v[24:25], v16
	v_mad_i64_i32 v[16:17], null, v23, s13, 0
	s_delay_alu instid0(VALU_DEP_1) | instskip(SKIP_1) | instid1(VALU_DEP_2)
	v_lshlrev_b64 v[26:27], 3, v[16:17]
	v_max_f32_e32 v16, v222, v222
	v_add_co_u32 v19, vcc_lo, s4, v26
	s_delay_alu instid0(VALU_DEP_3)
	v_add_co_ci_u32_e32 v20, vcc_lo, s5, v27, vcc_lo
	v_add_co_u32 v21, vcc_lo, s10, v21
	v_add_co_ci_u32_e32 v23, vcc_lo, s11, v22, vcc_lo
	s_mov_b32 vcc_lo, s2
	global_store_b64 v[28:29], v[24:25], off
	s_cbranch_vccz .LBB156_156
; %bb.154:
	v_min_f32_e32 v17, 0, v16
	v_add_co_u32 v26, vcc_lo, v19, v0
	v_add_co_ci_u32_e32 v27, vcc_lo, v20, v1, vcc_lo
	s_delay_alu instid0(VALU_DEP_3)
	v_cvt_f64_f32_e32 v[24:25], v17
	s_mov_b64 s[0:1], 0
	global_store_b64 v[26:27], v[24:25], off
	s_cbranch_execz .LBB156_157
; %bb.155:
	v_dual_mov_b32 v17, s1 :: v_dual_mov_b32 v16, s0
	s_branch .LBB156_158
.LBB156_156:
                                        ; implicit-def: $sgpr0_sgpr1
.LBB156_157:
	v_add_co_u32 v24, vcc_lo, v21, v0
	v_add_co_ci_u32_e32 v25, vcc_lo, v23, v1, vcc_lo
	flat_load_b64 v[24:25], v[24:25]
	s_waitcnt vmcnt(0) lgkmcnt(0)
	v_mul_f64 v[24:25], s[8:9], v[24:25]
	s_delay_alu instid0(VALU_DEP_1)
	v_cvt_f32_f64_e32 v17, v[24:25]
	v_add_co_u32 v24, vcc_lo, v19, v0
	v_add_co_ci_u32_e32 v25, vcc_lo, v20, v1, vcc_lo
	v_add_co_u32 v26, vcc_lo, v21, v2
	v_add_co_ci_u32_e32 v27, vcc_lo, v23, v3, vcc_lo
	v_min_f32_e32 v16, v17, v16
	s_delay_alu instid0(VALU_DEP_1)
	v_cvt_f64_f32_e32 v[16:17], v16
	global_store_b64 v[24:25], v[16:17], off
	flat_load_b64 v[16:17], v[26:27]
	s_waitcnt vmcnt(0) lgkmcnt(0)
	v_mul_f64 v[16:17], s[8:9], v[16:17]
.LBB156_158:
	s_delay_alu instid0(VALU_DEP_1) | instskip(SKIP_4) | instid1(VALU_DEP_3)
	v_cvt_f32_f64_e32 v16, v[16:17]
	v_max_f32_e32 v17, v223, v223
	v_add_co_u32 v26, vcc_lo, v19, v2
	v_add_co_ci_u32_e32 v27, vcc_lo, v20, v3, vcc_lo
	s_mov_b32 vcc_lo, s2
	v_min_f32_e32 v16, v16, v17
	s_delay_alu instid0(VALU_DEP_1)
	v_cvt_f64_f32_e32 v[24:25], v16
	v_max_f32_e32 v16, v190, v190
	global_store_b64 v[26:27], v[24:25], off
	s_cbranch_vccz .LBB156_161
; %bb.159:
	v_min_f32_e32 v17, 0, v16
	v_add_co_u32 v26, vcc_lo, v19, v4
	v_add_co_ci_u32_e32 v27, vcc_lo, v20, v5, vcc_lo
	s_delay_alu instid0(VALU_DEP_3)
	v_cvt_f64_f32_e32 v[24:25], v17
	s_mov_b32 s0, 0
	global_store_b64 v[26:27], v[24:25], off
	s_cbranch_execz .LBB156_162
; %bb.160:
	v_mov_b32_e32 v16, s0
	s_branch .LBB156_163
.LBB156_161:
	s_mov_b32 s0, -1
.LBB156_162:
	v_add_co_u32 v24, vcc_lo, v21, v4
	v_add_co_ci_u32_e32 v25, vcc_lo, v23, v5, vcc_lo
	flat_load_b64 v[24:25], v[24:25]
	s_waitcnt vmcnt(0) lgkmcnt(0)
	v_mul_f64 v[24:25], s[8:9], v[24:25]
	s_delay_alu instid0(VALU_DEP_1)
	v_cvt_f32_f64_e32 v17, v[24:25]
	v_add_co_u32 v24, vcc_lo, v19, v4
	v_add_co_ci_u32_e32 v25, vcc_lo, v20, v5, vcc_lo
	v_add_co_u32 v26, vcc_lo, v21, v6
	v_add_co_ci_u32_e32 v27, vcc_lo, v23, v7, vcc_lo
	v_min_f32_e32 v16, v17, v16
	s_delay_alu instid0(VALU_DEP_1) | instskip(SKIP_4) | instid1(VALU_DEP_1)
	v_cvt_f64_f32_e32 v[16:17], v16
	global_store_b64 v[24:25], v[16:17], off
	flat_load_b64 v[16:17], v[26:27]
	s_waitcnt vmcnt(0) lgkmcnt(0)
	v_mul_f64 v[16:17], s[8:9], v[16:17]
	v_cvt_f32_f64_e32 v16, v[16:17]
.LBB156_163:
	s_delay_alu instid0(VALU_DEP_1) | instskip(SKIP_2) | instid1(VALU_DEP_3)
	v_dual_max_f32 v17, v34, v34 :: v_dual_max_f32 v16, v16, v16
	v_add_co_u32 v26, vcc_lo, v19, v6
	v_add_co_ci_u32_e32 v27, vcc_lo, v20, v7, vcc_lo
	v_min_f32_e32 v16, v16, v17
	s_mov_b32 vcc_lo, s2
	s_delay_alu instid0(VALU_DEP_1)
	v_cvt_f64_f32_e32 v[24:25], v16
	v_max_f32_e32 v16, v216, v216
	global_store_b64 v[26:27], v[24:25], off
	s_cbranch_vccz .LBB156_166
; %bb.164:
	v_min_f32_e32 v17, 0, v16
	v_add_co_u32 v26, vcc_lo, v19, v8
	v_add_co_ci_u32_e32 v27, vcc_lo, v20, v9, vcc_lo
	s_delay_alu instid0(VALU_DEP_3)
	v_cvt_f64_f32_e32 v[24:25], v17
	s_mov_b32 s0, 0
	global_store_b64 v[26:27], v[24:25], off
	s_cbranch_execz .LBB156_167
; %bb.165:
	v_mov_b32_e32 v16, s0
	s_branch .LBB156_168
.LBB156_166:
	s_mov_b32 s0, -1
.LBB156_167:
	v_add_co_u32 v24, vcc_lo, v21, v8
	v_add_co_ci_u32_e32 v25, vcc_lo, v23, v9, vcc_lo
	flat_load_b64 v[24:25], v[24:25]
	s_waitcnt vmcnt(0) lgkmcnt(0)
	v_mul_f64 v[24:25], s[8:9], v[24:25]
	s_delay_alu instid0(VALU_DEP_1)
	v_cvt_f32_f64_e32 v17, v[24:25]
	v_add_co_u32 v24, vcc_lo, v19, v8
	v_add_co_ci_u32_e32 v25, vcc_lo, v20, v9, vcc_lo
	v_add_co_u32 v26, vcc_lo, v21, v10
	v_add_co_ci_u32_e32 v27, vcc_lo, v23, v11, vcc_lo
	v_min_f32_e32 v16, v17, v16
	s_delay_alu instid0(VALU_DEP_1) | instskip(SKIP_4) | instid1(VALU_DEP_1)
	v_cvt_f64_f32_e32 v[16:17], v16
	global_store_b64 v[24:25], v[16:17], off
	flat_load_b64 v[16:17], v[26:27]
	s_waitcnt vmcnt(0) lgkmcnt(0)
	v_mul_f64 v[16:17], s[8:9], v[16:17]
	v_cvt_f32_f64_e32 v16, v[16:17]
.LBB156_168:
	s_delay_alu instid0(VALU_DEP_1) | instskip(SKIP_2) | instid1(VALU_DEP_3)
	v_dual_max_f32 v17, v63, v63 :: v_dual_max_f32 v16, v16, v16
	v_add_co_u32 v26, vcc_lo, v19, v10
	v_add_co_ci_u32_e32 v27, vcc_lo, v20, v11, vcc_lo
	v_min_f32_e32 v16, v16, v17
	s_mov_b32 vcc_lo, s2
	s_delay_alu instid0(VALU_DEP_1)
	v_cvt_f64_f32_e32 v[24:25], v16
	v_max_f32_e32 v16, v255, v255
	global_store_b64 v[26:27], v[24:25], off
	s_cbranch_vccz .LBB156_171
; %bb.169:
	v_min_f32_e32 v17, 0, v16
	v_add_co_u32 v26, vcc_lo, v19, v12
	v_add_co_ci_u32_e32 v27, vcc_lo, v20, v13, vcc_lo
	s_delay_alu instid0(VALU_DEP_3)
	v_cvt_f64_f32_e32 v[24:25], v17
	s_mov_b32 s0, 0
	global_store_b64 v[26:27], v[24:25], off
	s_cbranch_execz .LBB156_172
; %bb.170:
	v_mov_b32_e32 v16, s0
	s_branch .LBB156_173
.LBB156_171:
	s_mov_b32 s0, -1
.LBB156_172:
	v_add_co_u32 v24, vcc_lo, v21, v12
	v_add_co_ci_u32_e32 v25, vcc_lo, v23, v13, vcc_lo
	flat_load_b64 v[24:25], v[24:25]
	s_waitcnt vmcnt(0) lgkmcnt(0)
	v_mul_f64 v[24:25], s[8:9], v[24:25]
	s_delay_alu instid0(VALU_DEP_1)
	v_cvt_f32_f64_e32 v17, v[24:25]
	v_add_co_u32 v24, vcc_lo, v19, v12
	v_add_co_ci_u32_e32 v25, vcc_lo, v20, v13, vcc_lo
	v_add_co_u32 v21, vcc_lo, v21, v14
	v_add_co_ci_u32_e32 v22, vcc_lo, v23, v15, vcc_lo
	v_min_f32_e32 v16, v17, v16
	s_delay_alu instid0(VALU_DEP_1) | instskip(SKIP_4) | instid1(VALU_DEP_1)
	v_cvt_f64_f32_e32 v[16:17], v16
	global_store_b64 v[24:25], v[16:17], off
	flat_load_b64 v[16:17], v[21:22]
	s_waitcnt vmcnt(0) lgkmcnt(0)
	v_mul_f64 v[16:17], s[8:9], v[16:17]
	v_cvt_f32_f64_e32 v16, v[16:17]
.LBB156_173:
	v_max_f32_e32 v17, v244, v244
	s_delay_alu instid0(VALU_DEP_2) | instskip(SKIP_2) | instid1(VALU_DEP_3)
	v_dual_max_f32 v16, v16, v16 :: v_dual_add_nc_u32 v21, 48, v18
	v_add_co_u32 v26, vcc_lo, v19, v14
	v_add_co_ci_u32_e32 v27, vcc_lo, v20, v15, vcc_lo
	v_min_f32_e32 v16, v16, v17
	s_delay_alu instid0(VALU_DEP_4) | instskip(NEXT) | instid1(VALU_DEP_2)
	v_mad_i64_i32 v[24:25], null, v21, s3, 0
	v_cvt_f64_f32_e32 v[22:23], v16
	v_mad_i64_i32 v[16:17], null, v21, s13, 0
	v_max_f32_e32 v21, v241, v241
	s_delay_alu instid0(VALU_DEP_4) | instskip(NEXT) | instid1(VALU_DEP_3)
	v_lshlrev_b64 v[19:20], 3, v[24:25]
	v_lshlrev_b64 v[16:17], 3, v[16:17]
	s_delay_alu instid0(VALU_DEP_1) | instskip(NEXT) | instid1(VALU_DEP_2)
	v_add_co_u32 v16, vcc_lo, s4, v16
	v_add_co_ci_u32_e32 v17, vcc_lo, s5, v17, vcc_lo
	s_delay_alu instid0(VALU_DEP_4)
	v_add_co_u32 v19, vcc_lo, s10, v19
	v_add_co_ci_u32_e32 v20, vcc_lo, s11, v20, vcc_lo
	s_mov_b32 vcc_lo, s2
	global_store_b64 v[26:27], v[22:23], off
	s_cbranch_vccz .LBB156_176
; %bb.174:
	v_min_f32_e32 v22, 0, v21
	v_add_co_u32 v24, vcc_lo, v16, v0
	v_add_co_ci_u32_e32 v25, vcc_lo, v17, v1, vcc_lo
	s_delay_alu instid0(VALU_DEP_3)
	v_cvt_f64_f32_e32 v[22:23], v22
	s_mov_b32 s0, 0
	global_store_b64 v[24:25], v[22:23], off
	s_cbranch_execz .LBB156_177
; %bb.175:
	v_mov_b32_e32 v21, s0
	s_branch .LBB156_178
.LBB156_176:
	s_mov_b32 s0, -1
.LBB156_177:
	v_add_co_u32 v22, vcc_lo, v19, v0
	v_add_co_ci_u32_e32 v23, vcc_lo, v20, v1, vcc_lo
	flat_load_b64 v[22:23], v[22:23]
	s_waitcnt vmcnt(0) lgkmcnt(0)
	v_mul_f64 v[22:23], s[8:9], v[22:23]
	s_delay_alu instid0(VALU_DEP_1)
	v_cvt_f32_f64_e32 v22, v[22:23]
	v_add_co_u32 v23, vcc_lo, v16, v0
	v_add_co_ci_u32_e32 v24, vcc_lo, v17, v1, vcc_lo
	v_add_co_u32 v25, vcc_lo, v19, v2
	v_add_co_ci_u32_e32 v26, vcc_lo, v20, v3, vcc_lo
	v_min_f32_e32 v21, v22, v21
	s_delay_alu instid0(VALU_DEP_1) | instskip(SKIP_4) | instid1(VALU_DEP_1)
	v_cvt_f64_f32_e32 v[21:22], v21
	global_store_b64 v[23:24], v[21:22], off
	flat_load_b64 v[21:22], v[25:26]
	s_waitcnt vmcnt(0) lgkmcnt(0)
	v_mul_f64 v[21:22], s[8:9], v[21:22]
	v_cvt_f32_f64_e32 v21, v[21:22]
.LBB156_178:
	v_max_f32_e32 v22, v237, v237
	s_delay_alu instid0(VALU_DEP_2) | instskip(SKIP_2) | instid1(VALU_DEP_3)
	v_max_f32_e32 v21, v21, v21
	v_add_co_u32 v24, vcc_lo, v16, v2
	v_add_co_ci_u32_e32 v25, vcc_lo, v17, v3, vcc_lo
	v_min_f32_e32 v21, v21, v22
	s_mov_b32 vcc_lo, s2
	s_delay_alu instid0(VALU_DEP_1)
	v_cvt_f64_f32_e32 v[22:23], v21
	v_max_f32_e32 v21, v204, v204
	global_store_b64 v[24:25], v[22:23], off
	s_cbranch_vccz .LBB156_181
; %bb.179:
	v_min_f32_e32 v22, 0, v21
	v_add_co_u32 v24, vcc_lo, v16, v4
	v_add_co_ci_u32_e32 v25, vcc_lo, v17, v5, vcc_lo
	s_delay_alu instid0(VALU_DEP_3)
	v_cvt_f64_f32_e32 v[22:23], v22
	s_mov_b32 s0, 0
	global_store_b64 v[24:25], v[22:23], off
	s_cbranch_execz .LBB156_182
; %bb.180:
	v_mov_b32_e32 v21, s0
	s_branch .LBB156_183
.LBB156_181:
	s_mov_b32 s0, -1
.LBB156_182:
	v_add_co_u32 v22, vcc_lo, v19, v4
	v_add_co_ci_u32_e32 v23, vcc_lo, v20, v5, vcc_lo
	flat_load_b64 v[22:23], v[22:23]
	s_waitcnt vmcnt(0) lgkmcnt(0)
	v_mul_f64 v[22:23], s[8:9], v[22:23]
	s_delay_alu instid0(VALU_DEP_1)
	v_cvt_f32_f64_e32 v22, v[22:23]
	v_add_co_u32 v23, vcc_lo, v16, v4
	v_add_co_ci_u32_e32 v24, vcc_lo, v17, v5, vcc_lo
	v_add_co_u32 v25, vcc_lo, v19, v6
	v_add_co_ci_u32_e32 v26, vcc_lo, v20, v7, vcc_lo
	v_min_f32_e32 v21, v22, v21
	s_delay_alu instid0(VALU_DEP_1) | instskip(SKIP_4) | instid1(VALU_DEP_1)
	v_cvt_f64_f32_e32 v[21:22], v21
	global_store_b64 v[23:24], v[21:22], off
	flat_load_b64 v[21:22], v[25:26]
	s_waitcnt vmcnt(0) lgkmcnt(0)
	v_mul_f64 v[21:22], s[8:9], v[21:22]
	v_cvt_f32_f64_e32 v21, v[21:22]
.LBB156_183:
	s_delay_alu instid0(VALU_DEP_1) | instskip(SKIP_2) | instid1(VALU_DEP_3)
	v_dual_max_f32 v22, v203, v203 :: v_dual_max_f32 v21, v21, v21
	v_add_co_u32 v24, vcc_lo, v16, v6
	v_add_co_ci_u32_e32 v25, vcc_lo, v17, v7, vcc_lo
	v_min_f32_e32 v21, v21, v22
	s_mov_b32 vcc_lo, s2
	s_delay_alu instid0(VALU_DEP_1)
	v_cvt_f64_f32_e32 v[22:23], v21
	v_max_f32_e32 v21, v83, v83
	global_store_b64 v[24:25], v[22:23], off
	s_cbranch_vccz .LBB156_186
; %bb.184:
	v_min_f32_e32 v22, 0, v21
	v_add_co_u32 v24, vcc_lo, v16, v8
	v_add_co_ci_u32_e32 v25, vcc_lo, v17, v9, vcc_lo
	s_delay_alu instid0(VALU_DEP_3)
	v_cvt_f64_f32_e32 v[22:23], v22
	s_mov_b32 s0, 0
	global_store_b64 v[24:25], v[22:23], off
	s_cbranch_execz .LBB156_187
; %bb.185:
	v_mov_b32_e32 v21, s0
	s_branch .LBB156_188
.LBB156_186:
	s_mov_b32 s0, -1
.LBB156_187:
	v_add_co_u32 v22, vcc_lo, v19, v8
	v_add_co_ci_u32_e32 v23, vcc_lo, v20, v9, vcc_lo
	flat_load_b64 v[22:23], v[22:23]
	s_waitcnt vmcnt(0) lgkmcnt(0)
	v_mul_f64 v[22:23], s[8:9], v[22:23]
	s_delay_alu instid0(VALU_DEP_1)
	v_cvt_f32_f64_e32 v22, v[22:23]
	v_add_co_u32 v23, vcc_lo, v16, v8
	v_add_co_ci_u32_e32 v24, vcc_lo, v17, v9, vcc_lo
	v_add_co_u32 v25, vcc_lo, v19, v10
	v_add_co_ci_u32_e32 v26, vcc_lo, v20, v11, vcc_lo
	v_min_f32_e32 v21, v22, v21
	s_delay_alu instid0(VALU_DEP_1) | instskip(SKIP_4) | instid1(VALU_DEP_1)
	v_cvt_f64_f32_e32 v[21:22], v21
	global_store_b64 v[23:24], v[21:22], off
	flat_load_b64 v[21:22], v[25:26]
	s_waitcnt vmcnt(0) lgkmcnt(0)
	v_mul_f64 v[21:22], s[8:9], v[21:22]
	v_cvt_f32_f64_e32 v21, v[21:22]
.LBB156_188:
	s_delay_alu instid0(VALU_DEP_1) | instskip(SKIP_2) | instid1(VALU_DEP_3)
	v_dual_max_f32 v22, v199, v199 :: v_dual_max_f32 v21, v21, v21
	;; [unrolled: 46-line block ×3, first 2 shown]
	v_add_co_u32 v25, vcc_lo, v16, v14
	v_add_co_ci_u32_e32 v26, vcc_lo, v17, v15, vcc_lo
	v_dual_min_f32 v19, v19, v20 :: v_dual_add_nc_u32 v20, 56, v18
	s_delay_alu instid0(VALU_DEP_1) | instskip(NEXT) | instid1(VALU_DEP_2)
	v_cvt_f64_f32_e32 v[21:22], v19
	v_mad_i64_i32 v[18:19], null, v20, s13, 0
	v_mad_i64_i32 v[23:24], null, v20, s3, 0
	v_max_f32_e32 v20, v137, v137
	s_delay_alu instid0(VALU_DEP_3) | instskip(NEXT) | instid1(VALU_DEP_3)
	v_lshlrev_b64 v[18:19], 3, v[18:19]
	v_lshlrev_b64 v[23:24], 3, v[23:24]
	s_delay_alu instid0(VALU_DEP_2) | instskip(NEXT) | instid1(VALU_DEP_3)
	v_add_co_u32 v16, vcc_lo, s4, v18
	v_add_co_ci_u32_e32 v17, vcc_lo, s5, v19, vcc_lo
	s_delay_alu instid0(VALU_DEP_3) | instskip(NEXT) | instid1(VALU_DEP_4)
	v_add_co_u32 v18, vcc_lo, s10, v23
	v_add_co_ci_u32_e32 v19, vcc_lo, s11, v24, vcc_lo
	s_mov_b32 vcc_lo, s2
	global_store_b64 v[25:26], v[21:22], off
	s_cbranch_vccz .LBB156_196
; %bb.194:
	v_min_f32_e32 v21, 0, v20
	v_add_co_u32 v23, vcc_lo, v16, v0
	v_add_co_ci_u32_e32 v24, vcc_lo, v17, v1, vcc_lo
	s_delay_alu instid0(VALU_DEP_3)
	v_cvt_f64_f32_e32 v[21:22], v21
	s_mov_b32 s0, 0
	global_store_b64 v[23:24], v[21:22], off
	s_cbranch_execz .LBB156_197
; %bb.195:
	v_mov_b32_e32 v0, s0
	s_branch .LBB156_198
.LBB156_196:
	s_mov_b32 s0, -1
.LBB156_197:
	v_add_co_u32 v21, vcc_lo, v18, v0
	v_add_co_ci_u32_e32 v22, vcc_lo, v19, v1, vcc_lo
	v_add_co_u32 v0, vcc_lo, v16, v0
	v_add_co_ci_u32_e32 v1, vcc_lo, v17, v1, vcc_lo
	flat_load_b64 v[21:22], v[21:22]
	s_waitcnt vmcnt(0) lgkmcnt(0)
	v_mul_f64 v[21:22], s[8:9], v[21:22]
	s_delay_alu instid0(VALU_DEP_1) | instskip(SKIP_2) | instid1(VALU_DEP_3)
	v_cvt_f32_f64_e32 v21, v[21:22]
	v_add_co_u32 v22, vcc_lo, v18, v2
	v_add_co_ci_u32_e32 v23, vcc_lo, v19, v3, vcc_lo
	v_min_f32_e32 v20, v21, v20
	s_delay_alu instid0(VALU_DEP_1) | instskip(SKIP_4) | instid1(VALU_DEP_1)
	v_cvt_f64_f32_e32 v[20:21], v20
	global_store_b64 v[0:1], v[20:21], off
	flat_load_b64 v[0:1], v[22:23]
	s_waitcnt vmcnt(0) lgkmcnt(0)
	v_mul_f64 v[0:1], s[8:9], v[0:1]
	v_cvt_f32_f64_e32 v0, v[0:1]
.LBB156_198:
	s_delay_alu instid0(VALU_DEP_1) | instskip(NEXT) | instid1(VALU_DEP_1)
	v_dual_max_f32 v1, v129, v129 :: v_dual_max_f32 v0, v0, v0
	v_min_f32_e32 v0, v0, v1
	v_add_co_u32 v1, vcc_lo, v16, v2
	v_add_co_ci_u32_e32 v2, vcc_lo, v17, v3, vcc_lo
	s_delay_alu instid0(VALU_DEP_3)
	v_cvt_f64_f32_e32 v[20:21], v0
	v_max_f32_e32 v0, v128, v128
	s_mov_b32 vcc_lo, s2
	global_store_b64 v[1:2], v[20:21], off
	s_cbranch_vccz .LBB156_201
; %bb.199:
	v_min_f32_e32 v1, 0, v0
	v_add_co_u32 v20, vcc_lo, v16, v4
	v_add_co_ci_u32_e32 v21, vcc_lo, v17, v5, vcc_lo
	s_delay_alu instid0(VALU_DEP_3)
	v_cvt_f64_f32_e32 v[1:2], v1
	s_mov_b32 s0, 0
	global_store_b64 v[20:21], v[1:2], off
	s_cbranch_execz .LBB156_202
; %bb.200:
	v_mov_b32_e32 v0, s0
	s_branch .LBB156_203
.LBB156_201:
	s_mov_b32 s0, -1
.LBB156_202:
	v_add_co_u32 v1, vcc_lo, v18, v4
	v_add_co_ci_u32_e32 v2, vcc_lo, v19, v5, vcc_lo
	flat_load_b64 v[1:2], v[1:2]
	s_waitcnt vmcnt(0) lgkmcnt(0)
	v_mul_f64 v[1:2], s[8:9], v[1:2]
	s_delay_alu instid0(VALU_DEP_1)
	v_cvt_f32_f64_e32 v1, v[1:2]
	v_add_co_u32 v2, vcc_lo, v16, v4
	v_add_co_ci_u32_e32 v3, vcc_lo, v17, v5, vcc_lo
	v_add_co_u32 v4, vcc_lo, v18, v6
	v_add_co_ci_u32_e32 v5, vcc_lo, v19, v7, vcc_lo
	v_min_f32_e32 v0, v1, v0
	s_delay_alu instid0(VALU_DEP_1) | instskip(SKIP_4) | instid1(VALU_DEP_1)
	v_cvt_f64_f32_e32 v[0:1], v0
	global_store_b64 v[2:3], v[0:1], off
	flat_load_b64 v[0:1], v[4:5]
	s_waitcnt vmcnt(0) lgkmcnt(0)
	v_mul_f64 v[0:1], s[8:9], v[0:1]
	v_cvt_f32_f64_e32 v0, v[0:1]
.LBB156_203:
	s_delay_alu instid0(VALU_DEP_1) | instskip(SKIP_2) | instid1(VALU_DEP_3)
	v_dual_max_f32 v1, v126, v126 :: v_dual_max_f32 v0, v0, v0
	v_add_co_u32 v3, vcc_lo, v16, v6
	v_add_co_ci_u32_e32 v4, vcc_lo, v17, v7, vcc_lo
	v_min_f32_e32 v0, v0, v1
	s_mov_b32 vcc_lo, s2
	s_delay_alu instid0(VALU_DEP_1)
	v_cvt_f64_f32_e32 v[1:2], v0
	v_max_f32_e32 v0, v123, v123
	global_store_b64 v[3:4], v[1:2], off
	s_cbranch_vccz .LBB156_206
; %bb.204:
	v_min_f32_e32 v1, 0, v0
	v_add_co_u32 v3, vcc_lo, v16, v8
	v_add_co_ci_u32_e32 v4, vcc_lo, v17, v9, vcc_lo
	s_delay_alu instid0(VALU_DEP_3)
	v_cvt_f64_f32_e32 v[1:2], v1
	s_mov_b32 s0, 0
	global_store_b64 v[3:4], v[1:2], off
	s_cbranch_execz .LBB156_207
; %bb.205:
	v_mov_b32_e32 v0, s0
	s_branch .LBB156_208
.LBB156_206:
	s_mov_b32 s0, -1
.LBB156_207:
	v_add_co_u32 v1, vcc_lo, v18, v8
	v_add_co_ci_u32_e32 v2, vcc_lo, v19, v9, vcc_lo
	flat_load_b64 v[1:2], v[1:2]
	s_waitcnt vmcnt(0) lgkmcnt(0)
	v_mul_f64 v[1:2], s[8:9], v[1:2]
	s_delay_alu instid0(VALU_DEP_1)
	v_cvt_f32_f64_e32 v1, v[1:2]
	v_add_co_u32 v2, vcc_lo, v16, v8
	v_add_co_ci_u32_e32 v3, vcc_lo, v17, v9, vcc_lo
	v_add_co_u32 v4, vcc_lo, v18, v10
	v_add_co_ci_u32_e32 v5, vcc_lo, v19, v11, vcc_lo
	v_min_f32_e32 v0, v1, v0
	s_delay_alu instid0(VALU_DEP_1) | instskip(SKIP_4) | instid1(VALU_DEP_1)
	v_cvt_f64_f32_e32 v[0:1], v0
	global_store_b64 v[2:3], v[0:1], off
	flat_load_b64 v[0:1], v[4:5]
	s_waitcnt vmcnt(0) lgkmcnt(0)
	v_mul_f64 v[0:1], s[8:9], v[0:1]
	v_cvt_f32_f64_e32 v0, v[0:1]
.LBB156_208:
	s_delay_alu instid0(VALU_DEP_1) | instskip(SKIP_2) | instid1(VALU_DEP_3)
	v_dual_max_f32 v1, v122, v122 :: v_dual_max_f32 v0, v0, v0
	v_add_co_u32 v3, vcc_lo, v16, v10
	v_add_co_ci_u32_e32 v4, vcc_lo, v17, v11, vcc_lo
	v_min_f32_e32 v0, v0, v1
	s_mov_b32 vcc_lo, s2
	s_delay_alu instid0(VALU_DEP_1)
	v_cvt_f64_f32_e32 v[1:2], v0
	v_max_f32_e32 v0, v117, v117
	global_store_b64 v[3:4], v[1:2], off
	s_cbranch_vccz .LBB156_211
; %bb.209:
	v_min_f32_e32 v1, 0, v0
	v_add_co_u32 v3, vcc_lo, v16, v12
	v_add_co_ci_u32_e32 v4, vcc_lo, v17, v13, vcc_lo
	s_delay_alu instid0(VALU_DEP_3)
	v_cvt_f64_f32_e32 v[1:2], v1
	s_mov_b32 s0, 0
	global_store_b64 v[3:4], v[1:2], off
	s_cbranch_execz .LBB156_212
; %bb.210:
	v_mov_b32_e32 v0, s0
	s_branch .LBB156_213
.LBB156_211:
	s_mov_b32 s0, -1
.LBB156_212:
	v_add_co_u32 v1, vcc_lo, v18, v12
	v_add_co_ci_u32_e32 v2, vcc_lo, v19, v13, vcc_lo
	flat_load_b64 v[1:2], v[1:2]
	s_waitcnt vmcnt(0) lgkmcnt(0)
	v_mul_f64 v[1:2], s[8:9], v[1:2]
	s_delay_alu instid0(VALU_DEP_1)
	v_cvt_f32_f64_e32 v1, v[1:2]
	v_add_co_u32 v2, vcc_lo, v16, v12
	v_add_co_ci_u32_e32 v3, vcc_lo, v17, v13, vcc_lo
	v_add_co_u32 v4, vcc_lo, v18, v14
	v_add_co_ci_u32_e32 v5, vcc_lo, v19, v15, vcc_lo
	v_min_f32_e32 v0, v1, v0
	s_delay_alu instid0(VALU_DEP_1) | instskip(SKIP_4) | instid1(VALU_DEP_1)
	v_cvt_f64_f32_e32 v[0:1], v0
	global_store_b64 v[2:3], v[0:1], off
	flat_load_b64 v[0:1], v[4:5]
	s_waitcnt vmcnt(0) lgkmcnt(0)
	v_mul_f64 v[0:1], s[8:9], v[0:1]
	v_cvt_f32_f64_e32 v0, v[0:1]
.LBB156_213:
	v_max_f32_e32 v1, v116, v116
	s_delay_alu instid0(VALU_DEP_2) | instskip(SKIP_2) | instid1(VALU_DEP_3)
	v_max_f32_e32 v0, v0, v0
	v_add_co_u32 v2, vcc_lo, v16, v14
	v_add_co_ci_u32_e32 v3, vcc_lo, v17, v15, vcc_lo
	v_min_f32_e32 v0, v0, v1
	s_delay_alu instid0(VALU_DEP_1)
	v_cvt_f64_f32_e32 v[0:1], v0
	global_store_b64 v[2:3], v[0:1], off
	s_endpgm
	.section	.rodata,"a",@progbits
	.p2align	6, 0x0
	.amdhsa_kernel _ZN12_GLOBAL__N_120geam_min_plus_kernelId15HIP_vector_typeIdLj2EEdLi32ELi8ELi256ELi64ELi4ELi64ELi4ELi4ELi64ELc78ELc78ELb0ELb0ELb1EPKdS3_dEEviiiT16_PT17_ilS7_ilS5_S7_ilPT18_ili26rocblas_geam_ex_operation_
		.amdhsa_group_segment_fixed_size 20480
		.amdhsa_private_segment_fixed_size 408
		.amdhsa_kernarg_size 136
		.amdhsa_user_sgpr_count 14
		.amdhsa_user_sgpr_dispatch_ptr 0
		.amdhsa_user_sgpr_queue_ptr 0
		.amdhsa_user_sgpr_kernarg_segment_ptr 1
		.amdhsa_user_sgpr_dispatch_id 0
		.amdhsa_user_sgpr_private_segment_size 0
		.amdhsa_wavefront_size32 1
		.amdhsa_uses_dynamic_stack 0
		.amdhsa_enable_private_segment 1
		.amdhsa_system_sgpr_workgroup_id_x 1
		.amdhsa_system_sgpr_workgroup_id_y 0
		.amdhsa_system_sgpr_workgroup_id_z 1
		.amdhsa_system_sgpr_workgroup_info 0
		.amdhsa_system_vgpr_workitem_id 1
		.amdhsa_next_free_vgpr 256
		.amdhsa_next_free_sgpr 26
		.amdhsa_reserve_vcc 1
		.amdhsa_float_round_mode_32 0
		.amdhsa_float_round_mode_16_64 0
		.amdhsa_float_denorm_mode_32 3
		.amdhsa_float_denorm_mode_16_64 3
		.amdhsa_dx10_clamp 1
		.amdhsa_ieee_mode 1
		.amdhsa_fp16_overflow 0
		.amdhsa_workgroup_processor_mode 1
		.amdhsa_memory_ordered 1
		.amdhsa_forward_progress 0
		.amdhsa_shared_vgpr_count 0
		.amdhsa_exception_fp_ieee_invalid_op 0
		.amdhsa_exception_fp_denorm_src 0
		.amdhsa_exception_fp_ieee_div_zero 0
		.amdhsa_exception_fp_ieee_overflow 0
		.amdhsa_exception_fp_ieee_underflow 0
		.amdhsa_exception_fp_ieee_inexact 0
		.amdhsa_exception_int_div_zero 0
	.end_amdhsa_kernel
	.section	.text._ZN12_GLOBAL__N_120geam_min_plus_kernelId15HIP_vector_typeIdLj2EEdLi32ELi8ELi256ELi64ELi4ELi64ELi4ELi4ELi64ELc78ELc78ELb0ELb0ELb1EPKdS3_dEEviiiT16_PT17_ilS7_ilS5_S7_ilPT18_ili26rocblas_geam_ex_operation_,"axG",@progbits,_ZN12_GLOBAL__N_120geam_min_plus_kernelId15HIP_vector_typeIdLj2EEdLi32ELi8ELi256ELi64ELi4ELi64ELi4ELi4ELi64ELc78ELc78ELb0ELb0ELb1EPKdS3_dEEviiiT16_PT17_ilS7_ilS5_S7_ilPT18_ili26rocblas_geam_ex_operation_,comdat
.Lfunc_end156:
	.size	_ZN12_GLOBAL__N_120geam_min_plus_kernelId15HIP_vector_typeIdLj2EEdLi32ELi8ELi256ELi64ELi4ELi64ELi4ELi4ELi64ELc78ELc78ELb0ELb0ELb1EPKdS3_dEEviiiT16_PT17_ilS7_ilS5_S7_ilPT18_ili26rocblas_geam_ex_operation_, .Lfunc_end156-_ZN12_GLOBAL__N_120geam_min_plus_kernelId15HIP_vector_typeIdLj2EEdLi32ELi8ELi256ELi64ELi4ELi64ELi4ELi4ELi64ELc78ELc78ELb0ELb0ELb1EPKdS3_dEEviiiT16_PT17_ilS7_ilS5_S7_ilPT18_ili26rocblas_geam_ex_operation_
                                        ; -- End function
	.section	.AMDGPU.csdata,"",@progbits
; Kernel info:
; codeLenInByte = 24040
; NumSgprs: 28
; NumVgprs: 256
; ScratchSize: 408
; MemoryBound: 1
; FloatMode: 240
; IeeeMode: 1
; LDSByteSize: 20480 bytes/workgroup (compile time only)
; SGPRBlocks: 3
; VGPRBlocks: 31
; NumSGPRsForWavesPerEU: 28
; NumVGPRsForWavesPerEU: 256
; Occupancy: 5
; WaveLimiterHint : 1
; COMPUTE_PGM_RSRC2:SCRATCH_EN: 1
; COMPUTE_PGM_RSRC2:USER_SGPR: 14
; COMPUTE_PGM_RSRC2:TRAP_HANDLER: 0
; COMPUTE_PGM_RSRC2:TGID_X_EN: 1
; COMPUTE_PGM_RSRC2:TGID_Y_EN: 0
; COMPUTE_PGM_RSRC2:TGID_Z_EN: 1
; COMPUTE_PGM_RSRC2:TIDIG_COMP_CNT: 1
	.section	.text._ZN12_GLOBAL__N_120geam_min_plus_kernelId15HIP_vector_typeIdLj2EEdLi32ELi8ELi256ELi64ELi4ELi64ELi4ELi4ELi64ELc78ELc78ELb1ELb0ELb1EdKddEEviiiT16_PT17_ilS6_ilS4_S6_ilPT18_ili26rocblas_geam_ex_operation_,"axG",@progbits,_ZN12_GLOBAL__N_120geam_min_plus_kernelId15HIP_vector_typeIdLj2EEdLi32ELi8ELi256ELi64ELi4ELi64ELi4ELi4ELi64ELc78ELc78ELb1ELb0ELb1EdKddEEviiiT16_PT17_ilS6_ilS4_S6_ilPT18_ili26rocblas_geam_ex_operation_,comdat
	.globl	_ZN12_GLOBAL__N_120geam_min_plus_kernelId15HIP_vector_typeIdLj2EEdLi32ELi8ELi256ELi64ELi4ELi64ELi4ELi4ELi64ELc78ELc78ELb1ELb0ELb1EdKddEEviiiT16_PT17_ilS6_ilS4_S6_ilPT18_ili26rocblas_geam_ex_operation_ ; -- Begin function _ZN12_GLOBAL__N_120geam_min_plus_kernelId15HIP_vector_typeIdLj2EEdLi32ELi8ELi256ELi64ELi4ELi64ELi4ELi4ELi64ELc78ELc78ELb1ELb0ELb1EdKddEEviiiT16_PT17_ilS6_ilS4_S6_ilPT18_ili26rocblas_geam_ex_operation_
	.p2align	8
	.type	_ZN12_GLOBAL__N_120geam_min_plus_kernelId15HIP_vector_typeIdLj2EEdLi32ELi8ELi256ELi64ELi4ELi64ELi4ELi4ELi64ELc78ELc78ELb1ELb0ELb1EdKddEEviiiT16_PT17_ilS6_ilS4_S6_ilPT18_ili26rocblas_geam_ex_operation_,@function
_ZN12_GLOBAL__N_120geam_min_plus_kernelId15HIP_vector_typeIdLj2EEdLi32ELi8ELi256ELi64ELi4ELi64ELi4ELi4ELi64ELc78ELc78ELb1ELb0ELb1EdKddEEviiiT16_PT17_ilS6_ilS4_S6_ilPT18_ili26rocblas_geam_ex_operation_: ; @_ZN12_GLOBAL__N_120geam_min_plus_kernelId15HIP_vector_typeIdLj2EEdLi32ELi8ELi256ELi64ELi4ELi64ELi4ELi4ELi64ELc78ELc78ELb1ELb0ELb1EdKddEEviiiT16_PT17_ilS6_ilS4_S6_ilPT18_ili26rocblas_geam_ex_operation_
; %bb.0:
	s_clause 0x1
	s_load_b128 s[4:7], s[0:1], 0x10
	s_load_b128 s[8:11], s[0:1], 0x28
	s_mov_b64 s[12:13], 0
	s_waitcnt lgkmcnt(0)
	v_cmp_eq_f64_e64 s2, s[4:5], 0
	s_delay_alu instid0(VALU_DEP_1)
	s_and_b32 vcc_lo, exec_lo, s2
	s_cbranch_vccnz .LBB157_2
; %bb.1:
	s_mul_i32 s3, s15, s9
	s_mul_hi_u32 s4, s15, s8
	s_delay_alu instid0(SALU_CYCLE_1) | instskip(SKIP_1) | instid1(SALU_CYCLE_1)
	s_add_i32 s5, s4, s3
	s_mul_i32 s4, s15, s8
	s_lshl_b64 s[4:5], s[4:5], 3
	s_delay_alu instid0(SALU_CYCLE_1)
	s_add_u32 s12, s6, s4
	s_addc_u32 s13, s7, s5
.LBB157_2:
	s_clause 0x1
	s_load_b128 s[4:7], s[0:1], 0x40
	s_load_b64 s[18:19], s[0:1], 0x50
	s_and_not1_b32 vcc_lo, exec_lo, s2
	s_cbranch_vccnz .LBB157_4
; %bb.3:
	s_mov_b32 s3, 0
	s_mov_b64 s[16:17], 0
	s_cbranch_execz .LBB157_5
	s_branch .LBB157_6
.LBB157_4:
	s_mov_b32 s3, -1
                                        ; implicit-def: $sgpr16_sgpr17
.LBB157_5:
	s_waitcnt lgkmcnt(0)
	s_mul_i32 s2, s15, s5
	s_mul_hi_u32 s3, s15, s4
	s_delay_alu instid0(SALU_CYCLE_1) | instskip(SKIP_1) | instid1(SALU_CYCLE_1)
	s_add_i32 s3, s3, s2
	s_mul_i32 s2, s15, s4
	s_lshl_b64 s[4:5], s[2:3], 3
	s_mov_b32 s3, 0
	s_add_u32 s16, s10, s4
	s_addc_u32 s17, s11, s5
.LBB157_6:
	s_waitcnt lgkmcnt(0)
	v_cmp_eq_f64_e64 s2, s[6:7], 0
	s_load_b128 s[8:11], s[0:1], 0x60
	s_mov_b64 s[4:5], 0
	s_delay_alu instid0(VALU_DEP_1) | instskip(NEXT) | instid1(SALU_CYCLE_1)
	s_and_b32 s2, exec_lo, s2
	s_mov_b32 vcc_lo, s2
	s_cbranch_vccnz .LBB157_8
; %bb.7:
	s_waitcnt lgkmcnt(0)
	s_mul_i32 s4, s15, s9
	s_mul_hi_u32 s5, s15, s8
	s_mul_i32 s9, s3, s8
	s_add_i32 s4, s5, s4
	s_delay_alu instid0(SALU_CYCLE_1) | instskip(SKIP_1) | instid1(SALU_CYCLE_1)
	s_add_i32 s5, s4, s9
	s_mul_i32 s4, s15, s8
	s_lshl_b64 s[4:5], s[4:5], 3
	s_delay_alu instid0(SALU_CYCLE_1)
	s_add_u32 s4, s18, s4
	s_addc_u32 s5, s19, s5
.LBB157_8:
	s_waitcnt lgkmcnt(0)
	s_clause 0x2
	s_load_b32 s8, s[0:1], 0x0
	s_load_b32 s18, s[0:1], 0x20
	;; [unrolled: 1-line block ×3, first 2 shown]
	v_and_b32_e32 v211, 0x3ff, v0
	v_bfe_u32 v212, v0, 10, 10
	v_dual_mov_b32 v248, 0x7f800000 :: v_dual_mov_b32 v123, 0x7f800000
	v_dual_mov_b32 v118, 0x7f800000 :: v_dual_mov_b32 v127, 0x7f800000
	s_delay_alu instid0(VALU_DEP_3) | instskip(SKIP_2) | instid1(VALU_DEP_3)
	v_lshl_add_u32 v0, v212, 5, v211
	v_dual_mov_b32 v126, 0x7f800000 :: v_dual_mov_b32 v79, 0x7f800000
	v_dual_mov_b32 v196, 0x7f800000 :: v_dual_mov_b32 v135, 0x7f800000
	v_lshrrev_b32_e32 v12, 6, v0
	v_lshrrev_b32_e32 v9, 2, v0
	v_dual_mov_b32 v238, 0x7f800000 :: v_dual_mov_b32 v201, 0x7f800000
	s_delay_alu instid0(VALU_DEP_3)
	v_dual_mov_b32 v119, 0x7f800000 :: v_dual_add_nc_u32 v4, 4, v12
	s_waitcnt lgkmcnt(0)
	s_add_i32 s8, s8, -1
	v_dual_mov_b32 v234, 0x7f800000 :: v_dual_mov_b32 v205, 0x7f800000
	s_ashr_i32 s9, s8, 31
	v_mad_i64_i32 v[2:3], null, s18, v4, 0
	s_lshr_b32 s9, s9, 24
	v_dual_mov_b32 v218, 0x7f800000 :: v_dual_mov_b32 v207, 0x7f800000
	s_add_i32 s8, s8, s9
	v_dual_mov_b32 v246, 0x7f800000 :: v_dual_mov_b32 v209, 0x7f800000
	s_ashr_i32 s8, s8, 8
	s_delay_alu instid0(VALU_DEP_3)
	v_lshlrev_b64 v[2:3], 3, v[2:3]
	s_add_i32 s9, s8, 1
	s_not_b32 s8, s8
	v_cvt_f32_u32_e32 v1, s9
	v_dual_mov_b32 v132, 0x7f800000 :: v_dual_mov_b32 v239, 0x7f800000
	v_dual_mov_b32 v220, 0x7f800000 :: v_dual_mov_b32 v249, 0x7f800000
	s_delay_alu instid0(VALU_DEP_3)
	v_rcp_iflag_f32_e32 v1, v1
	v_dual_mov_b32 v134, 0x7f800000 :: v_dual_mov_b32 v235, 0x7f800000
	v_dual_mov_b32 v200, 0x7f800000 :: v_dual_mov_b32 v197, 0x7f800000
	;; [unrolled: 1-line block ×3, first 2 shown]
	v_and_b32_e32 v76, 63, v0
	v_dual_mov_b32 v202, 0x7f800000 :: v_dual_mov_b32 v137, 0x7f800000
	s_waitcnt_depctr 0xfff
	v_mul_f32_e32 v1, 0x4f7ffffe, v1
	v_dual_mov_b32 v136, 0x7f800000 :: v_dual_mov_b32 v141, 0x7f800000
	v_mov_b32_e32 v204, 0x7f800000
	v_mov_b32_e32 v206, 0x7f800000
	s_delay_alu instid0(VALU_DEP_4)
	v_cvt_u32_f32_e32 v1, v1
	v_mov_b32_e32 v52, 0x7f800000
	v_mov_b32_e32 v208, 0x7f800000
	;; [unrolled: 1-line block ×4, first 2 shown]
	v_readfirstlane_b32 s19, v1
	v_and_b32_e32 v1, 3, v211
	scratch_store_b32 off, v4, off offset:368 ; 4-byte Folded Spill
	v_dual_mov_b32 v247, 0x7f800000 :: v_dual_mov_b32 v80, 0x7f800000
	s_mul_i32 s8, s8, s19
	scratch_store_b32 off, v1, off offset:364 ; 4-byte Folded Spill
	s_mul_hi_u32 s8, s19, s8
	v_lshlrev_b32_e32 v10, 3, v1
	s_add_i32 s19, s19, s8
	v_mad_i64_i32 v[0:1], null, s18, v12, 0
	s_mul_hi_u32 s8, s14, s19
	s_ashr_i32 s19, s18, 31
	s_mul_i32 s21, s8, s9
	s_add_i32 s22, s8, 1
	s_sub_i32 s21, s14, s21
	v_lshl_or_b32 v221, v9, 5, v10
	s_sub_i32 s23, s21, s9
	s_cmp_ge_u32 s21, s9
	v_lshlrev_b64 v[0:1], 3, v[0:1]
	s_cselect_b32 s8, s22, s8
	s_cselect_b32 s21, s23, s21
	s_add_i32 s22, s8, 1
	s_cmp_ge_u32 s21, s9
	v_mov_b32_e32 v121, 0x7f800000
	s_cselect_b32 s21, s22, s8
	v_add_co_u32 v8, vcc_lo, s12, v0
	s_lshl_b32 s8, s21, 6
	s_mul_i32 s21, s21, s9
	v_add_nc_u32_e32 v6, s8, v9
	s_sub_i32 s9, s14, s21
	v_add_co_ci_u32_e32 v11, vcc_lo, s13, v1, vcc_lo
	s_lshl_b32 s9, s9, 8
	s_delay_alu instid0(VALU_DEP_2) | instskip(SKIP_3) | instid1(VALU_DEP_3)
	v_mad_i64_i32 v[4:5], null, v6, s20, 0
	v_or_b32_e32 v6, s9, v76
	v_add_co_u32 v2, vcc_lo, s12, v2
	v_add_co_ci_u32_e32 v3, vcc_lo, s13, v3, vcc_lo
	v_ashrrev_i32_e32 v7, 31, v6
	v_lshlrev_b64 v[0:1], 3, v[4:5]
	v_mov_b32_e32 v122, 0x7f800000
	v_mov_b32_e32 v242, 0x7f800000
	;; [unrolled: 1-line block ×3, first 2 shown]
	v_lshlrev_b64 v[214:215], 3, v[6:7]
	v_mov_b32_e32 v6, 0x7f800000
	v_add_co_u32 v4, vcc_lo, s16, v0
	v_add_co_ci_u32_e32 v5, vcc_lo, s17, v1, vcc_lo
	s_delay_alu instid0(VALU_DEP_4)
	v_add_co_u32 v0, vcc_lo, v8, v214
	v_add_co_ci_u32_e32 v1, vcc_lo, v11, v215, vcc_lo
	v_add_co_u32 v2, vcc_lo, v2, v214
	v_add_co_ci_u32_e32 v3, vcc_lo, v3, v215, vcc_lo
	v_add_co_u32 v14, vcc_lo, v4, v10
	s_clause 0x1
	scratch_store_b32 off, v4, off offset:372
	scratch_store_b32 off, v5, off offset:376
	v_add_co_ci_u32_e32 v15, vcc_lo, 0, v5, vcc_lo
	s_clause 0x3
	flat_load_b64 v[18:19], v[0:1]
	flat_load_b64 v[20:21], v[0:1] offset:512
	flat_load_b64 v[4:5], v[0:1] offset:1024
	;; [unrolled: 1-line block ×3, first 2 shown]
	flat_load_b64 v[7:8], v[14:15]
	s_clause 0x1
	flat_load_b64 v[216:217], v[2:3]
	flat_load_b64 v[16:17], v[2:3] offset:512
	v_mov_b32_e32 v230, 0x7f800000
	v_mov_b32_e32 v140, 0x7f800000
	;; [unrolled: 1-line block ×3, first 2 shown]
	s_mov_b32 s14, -1
	s_mov_b32 s16, 0
	v_mov_b32_e32 v125, 0x7f800000
	v_mov_b32_e32 v219, 0x7f800000
	;; [unrolled: 1-line block ×8, first 2 shown]
	s_waitcnt vmcnt(0) lgkmcnt(0)
	scratch_store_b64 off, v[16:17], off offset:328 ; 8-byte Folded Spill
	s_clause 0x1
	flat_load_b64 v[16:17], v[2:3] offset:1024
	flat_load_b64 v[2:3], v[2:3] offset:1536
	s_waitcnt vmcnt(0) lgkmcnt(0)
	scratch_store_b64 off, v[2:3], off offset:344 ; 8-byte Folded Spill
	flat_load_b64 v[2:3], v[14:15] offset:32
	s_waitcnt vmcnt(0) lgkmcnt(0)
	scratch_store_b64 off, v[2:3], off offset:352 ; 8-byte Folded Spill
	v_mov_b32_e32 v2, 0x7f800000
	scratch_store_b64 off, v[16:17], off offset:336 ; 8-byte Folded Spill
	v_add_nc_u32_e32 v3, 0x4000, v221
	scratch_store_b32 off, v2, off          ; 4-byte Folded Spill
	v_mov_b32_e32 v2, 0x7f800000
	s_clause 0x1
	scratch_store_b32 off, v3, off offset:384
	scratch_store_b32 off, v2, off offset:4
	v_mov_b32_e32 v2, 0x7f800000
	scratch_store_b32 off, v2, off offset:8 ; 4-byte Folded Spill
	v_mov_b32_e32 v2, 0x7f800000
	scratch_store_b32 off, v2, off offset:16 ; 4-byte Folded Spill
	;; [unrolled: 2-line block ×7, first 2 shown]
	v_lshlrev_b32_e32 v2, 3, v12
	s_delay_alu instid0(VALU_DEP_1)
	v_lshl_add_u32 v2, v76, 5, v2
	s_clause 0x1
	scratch_store_b32 off, v12, off offset:360
	scratch_store_b32 off, v2, off offset:380
	ds_store_2addr_stride64_b64 v2, v[18:19], v[20:21] offset1:4
	ds_store_2addr_stride64_b64 v2, v[4:5], v[0:1] offset0:8 offset1:12
	ds_store_b64 v221, v[7:8] offset:16384
	s_waitcnt lgkmcnt(0)
	s_waitcnt_vscnt null, 0x0
	s_barrier
	buffer_gl0_inv
.LBB157_9:                              ; =>This Inner Loop Header: Depth=1
	s_lshl_b32 s16, s16, 3
	s_delay_alu instid0(SALU_CYCLE_1)
	v_lshl_add_u32 v4, v212, 5, s16
	v_lshl_add_u32 v5, v211, 5, s16
	s_mov_b32 s16, 2
	ds_load_b128 v[18:21], v4 offset:16384
	ds_load_b128 v[0:3], v5
	ds_load_b128 v[192:195], v5 offset:1024
	ds_load_b128 v[26:29], v4 offset:16640
	s_waitcnt lgkmcnt(2)
	v_add_f64 v[7:8], v[2:3], v[20:21]
	scratch_store_b64 off, v[7:8], off offset:68 ; 8-byte Folded Spill
	v_add_f64 v[7:8], v[0:1], v[18:19]
	scratch_store_b64 off, v[7:8], off offset:132 ; 8-byte Folded Spill
	s_waitcnt lgkmcnt(1)
	v_add_f64 v[7:8], v[194:195], v[20:21]
	scratch_store_b64 off, v[7:8], off offset:36 ; 8-byte Folded Spill
	v_add_f64 v[7:8], v[192:193], v[18:19]
	scratch_store_b64 off, v[7:8], off offset:100 ; 8-byte Folded Spill
	ds_load_b128 v[30:33], v5 offset:2048
	ds_load_b128 v[34:37], v5 offset:3072
	s_waitcnt lgkmcnt(1)
	v_add_f64 v[7:8], v[32:33], v[20:21]
	scratch_store_b64 off, v[7:8], off offset:76 ; 8-byte Folded Spill
	v_add_f64 v[7:8], v[30:31], v[18:19]
	scratch_store_b64 off, v[7:8], off offset:140 ; 8-byte Folded Spill
	s_waitcnt lgkmcnt(0)
	v_add_f64 v[7:8], v[36:37], v[20:21]
	scratch_store_b64 off, v[7:8], off offset:44 ; 8-byte Folded Spill
	v_add_f64 v[7:8], v[34:35], v[18:19]
	scratch_store_b64 off, v[7:8], off offset:108 ; 8-byte Folded Spill
	ds_load_b128 v[38:41], v5 offset:4096
	ds_load_b128 v[42:45], v5 offset:5120
	;; [unrolled: 1-line block ×3, first 2 shown]
	s_waitcnt lgkmcnt(2)
	v_add_f64 v[7:8], v[40:41], v[20:21]
	scratch_store_b64 off, v[7:8], off offset:84 ; 8-byte Folded Spill
	v_add_f64 v[7:8], v[38:39], v[18:19]
	scratch_store_b64 off, v[7:8], off offset:148 ; 8-byte Folded Spill
	s_waitcnt lgkmcnt(1)
	v_add_f64 v[7:8], v[44:45], v[20:21]
	scratch_store_b64 off, v[7:8], off offset:52 ; 8-byte Folded Spill
	v_add_f64 v[7:8], v[42:43], v[18:19]
	scratch_store_b64 off, v[7:8], off offset:116 ; 8-byte Folded Spill
	v_mov_b32_e32 v7, v52
	ds_load_b128 v[50:53], v5 offset:7168
	s_waitcnt lgkmcnt(1)
	v_add_f64 v[8:9], v[48:49], v[20:21]
	v_mov_b32_e32 v213, v233
	scratch_store_b64 off, v[8:9], off offset:92 ; 8-byte Folded Spill
	v_add_f64 v[8:9], v[46:47], v[18:19]
	scratch_store_b64 off, v[8:9], off offset:156 ; 8-byte Folded Spill
	s_waitcnt lgkmcnt(0)
	v_add_f64 v[8:9], v[52:53], v[20:21]
	scratch_store_b64 off, v[8:9], off offset:60 ; 8-byte Folded Spill
	v_add_f64 v[8:9], v[50:51], v[18:19]
	scratch_store_b64 off, v[8:9], off offset:124 ; 8-byte Folded Spill
	;; [unrolled: 2-line block ×18, first 2 shown]
	ds_load_b128 v[18:21], v4 offset:16896
	ds_load_b128 v[26:29], v4 offset:17152
	s_waitcnt lgkmcnt(1)
	v_add_f64 v[8:9], v[44:45], v[20:21]
	v_add_f64 v[105:106], v[2:3], v[20:21]
	;; [unrolled: 1-line block ×13, first 2 shown]
	s_waitcnt lgkmcnt(0)
	v_add_f64 v[224:225], v[2:3], v[28:29]
	v_add_f64 v[226:227], v[0:1], v[26:27]
	;; [unrolled: 1-line block ×16, first 2 shown]
	scratch_store_b64 off, v[8:9], off offset:312 ; 8-byte Folded Spill
	v_add_f64 v[8:9], v[48:49], v[20:21]
	scratch_store_b64 off, v[8:9], off offset:304 ; 8-byte Folded Spill
	v_add_f64 v[8:9], v[52:53], v[20:21]
	;; [unrolled: 2-line block ×3, first 2 shown]
	scratch_store_b64 off, v[8:9], off offset:320 ; 8-byte Folded Spill
	ds_load_b128 v[18:21], v4 offset:17408
	ds_load_b128 v[26:29], v4 offset:17664
	s_waitcnt lgkmcnt(1)
	v_add_f64 v[54:55], v[2:3], v[20:21]
	v_add_f64 v[138:139], v[0:1], v[18:19]
	;; [unrolled: 1-line block ×16, first 2 shown]
	s_waitcnt lgkmcnt(0)
	v_add_f64 v[184:185], v[2:3], v[28:29]
	v_add_f64 v[180:181], v[0:1], v[26:27]
	;; [unrolled: 1-line block ×16, first 2 shown]
	ds_load_b128 v[18:21], v4 offset:17920
	ds_load_b128 v[26:29], v4 offset:18176
	v_cvt_f32_f64_e32 v24, v[24:25]
	scratch_load_b32 v25, off, off offset:32 ; 4-byte Folded Reload
	s_waitcnt lgkmcnt(1)
	v_add_f64 v[66:67], v[0:1], v[18:19]
	v_add_f64 v[99:100], v[192:193], v[18:19]
	;; [unrolled: 1-line block ×8, first 2 shown]
	s_waitcnt lgkmcnt(0)
	v_add_f64 v[0:1], v[0:1], v[26:27]
	v_add_f64 v[107:108], v[192:193], v[26:27]
	;; [unrolled: 1-line block ×8, first 2 shown]
	scratch_load_b64 v[50:51], off, off offset:132 ; 8-byte Folded Reload
	v_add_f64 v[4:5], v[2:3], v[20:21]
	v_add_f64 v[130:131], v[194:195], v[20:21]
	;; [unrolled: 1-line block ×16, first 2 shown]
	v_mov_b32_e32 v52, v7
	v_cvt_f32_f64_e32 v0, v[0:1]
	v_cvt_f32_f64_e32 v4, v[4:5]
	;; [unrolled: 1-line block ×4, first 2 shown]
	scratch_load_b32 v2, off, off offset:8  ; 4-byte Folded Reload
	s_waitcnt vmcnt(1)
	v_cvt_f32_f64_e32 v7, v[50:51]
	scratch_load_b64 v[50:51], off, off offset:68 ; 8-byte Folded Reload
	s_waitcnt vmcnt(1)
	v_min3_f32 v2, v0, v1, v2
	v_cvt_f32_f64_e32 v0, v[107:108]
	v_cvt_f32_f64_e32 v1, v[22:23]
	scratch_store_b32 off, v2, off offset:8 ; 4-byte Folded Spill
	scratch_load_b32 v2, off, off offset:4  ; 4-byte Folded Reload
	v_min3_f32 v119, v0, v1, v119
	v_cvt_f32_f64_e32 v0, v[30:31]
	v_cvt_f32_f64_e32 v1, v[32:33]
	s_delay_alu instid0(VALU_DEP_1) | instskip(SKIP_2) | instid1(VALU_DEP_1)
	v_min3_f32 v126, v0, v1, v126
	v_cvt_f32_f64_e32 v0, v[34:35]
	v_cvt_f32_f64_e32 v1, v[36:37]
	v_min3_f32 v118, v0, v1, v118
	v_cvt_f32_f64_e32 v0, v[38:39]
	v_cvt_f32_f64_e32 v1, v[40:41]
	s_waitcnt vmcnt(1)
	v_cvt_f32_f64_e32 v50, v[50:51]
	s_delay_alu instid0(VALU_DEP_1)
	v_min3_f32 v142, v7, v50, v142
	scratch_load_b64 v[50:51], off, off offset:100 ; 8-byte Folded Reload
	s_waitcnt vmcnt(1)
	v_min3_f32 v2, v0, v1, v2
	v_cvt_f32_f64_e32 v0, v[42:43]
	v_cvt_f32_f64_e32 v1, v[44:45]
	scratch_store_b32 off, v2, off offset:4 ; 4-byte Folded Spill
	scratch_load_b32 v2, off, off           ; 4-byte Folded Reload
	v_min3_f32 v248, v0, v1, v248
	v_cvt_f32_f64_e32 v0, v[46:47]
	v_cvt_f32_f64_e32 v1, v[48:49]
	s_delay_alu instid0(VALU_DEP_1)
	v_min3_f32 v247, v0, v1, v247
	v_cvt_f32_f64_e32 v0, v[26:27]
	v_cvt_f32_f64_e32 v1, v[28:29]
	s_waitcnt vmcnt(1)
	v_cvt_f32_f64_e32 v7, v[50:51]
	scratch_load_b64 v[50:51], off, off offset:36 ; 8-byte Folded Reload
	s_waitcnt vmcnt(1)
	v_min3_f32 v2, v0, v1, v2
	v_cndmask_b32_e64 v0, 0, 1, s14
	s_mov_b32 s14, 0
	scratch_store_b32 off, v2, off          ; 4-byte Folded Spill
	v_cmp_ne_u32_e32 vcc_lo, 1, v0
	s_and_b32 vcc_lo, exec_lo, vcc_lo
	s_waitcnt vmcnt(0)
	v_cvt_f32_f64_e32 v50, v[50:51]
	s_delay_alu instid0(VALU_DEP_1)
	v_min3_f32 v141, v7, v50, v141
	scratch_load_b64 v[50:51], off, off offset:140 ; 8-byte Folded Reload
	s_waitcnt vmcnt(0)
	v_cvt_f32_f64_e32 v7, v[50:51]
	scratch_load_b64 v[50:51], off, off offset:76 ; 8-byte Folded Reload
	s_waitcnt vmcnt(0)
	v_cvt_f32_f64_e32 v50, v[50:51]
	s_delay_alu instid0(VALU_DEP_1)
	v_min3_f32 v140, v7, v50, v140
	scratch_load_b64 v[50:51], off, off offset:108 ; 8-byte Folded Reload
	s_waitcnt vmcnt(0)
	v_cvt_f32_f64_e32 v7, v[50:51]
	scratch_load_b64 v[50:51], off, off offset:44 ; 8-byte Folded Reload
	s_waitcnt vmcnt(0)
	v_cvt_f32_f64_e32 v50, v[50:51]
	s_delay_alu instid0(VALU_DEP_1)
	v_min3_f32 v137, v7, v50, v137
	scratch_load_b64 v[50:51], off, off offset:148 ; 8-byte Folded Reload
	s_waitcnt vmcnt(0)
	v_cvt_f32_f64_e32 v7, v[50:51]
	scratch_load_b64 v[50:51], off, off offset:84 ; 8-byte Folded Reload
	s_waitcnt vmcnt(0)
	v_cvt_f32_f64_e32 v50, v[50:51]
	s_delay_alu instid0(VALU_DEP_1)
	v_min3_f32 v230, v7, v50, v230
	scratch_load_b64 v[50:51], off, off offset:116 ; 8-byte Folded Reload
	s_waitcnt vmcnt(0)
	v_cvt_f32_f64_e32 v7, v[50:51]
	scratch_load_b64 v[50:51], off, off offset:52 ; 8-byte Folded Reload
	s_waitcnt vmcnt(0)
	v_cvt_f32_f64_e32 v50, v[50:51]
	s_delay_alu instid0(VALU_DEP_1)
	v_min3_f32 v133, v7, v50, v133
	scratch_load_b64 v[50:51], off, off offset:156 ; 8-byte Folded Reload
	s_waitcnt vmcnt(0)
	v_cvt_f32_f64_e32 v7, v[50:51]
	scratch_load_b64 v[50:51], off, off offset:92 ; 8-byte Folded Reload
	s_waitcnt vmcnt(0)
	v_cvt_f32_f64_e32 v50, v[50:51]
	s_delay_alu instid0(VALU_DEP_1)
	v_min3_f32 v197, v7, v50, v197
	scratch_load_b64 v[50:51], off, off offset:124 ; 8-byte Folded Reload
	s_waitcnt vmcnt(0)
	v_cvt_f32_f64_e32 v7, v[50:51]
	scratch_load_b64 v[50:51], off, off offset:60 ; 8-byte Folded Reload
	s_waitcnt vmcnt(0)
	v_cvt_f32_f64_e32 v50, v[50:51]
	s_delay_alu instid0(VALU_DEP_1)
	v_min3_f32 v235, v7, v50, v235
	scratch_load_b64 v[50:51], off, off offset:172 ; 8-byte Folded Reload
	s_waitcnt vmcnt(0)
	v_cvt_f32_f64_e32 v7, v[50:51]
	scratch_load_b64 v[50:51], off, off offset:164 ; 8-byte Folded Reload
	s_waitcnt vmcnt(0)
	v_cvt_f32_f64_e32 v50, v[50:51]
	s_delay_alu instid0(VALU_DEP_1)
	v_min3_f32 v245, v7, v50, v245
	scratch_load_b64 v[50:51], off, off offset:188 ; 8-byte Folded Reload
	s_waitcnt vmcnt(0)
	v_cvt_f32_f64_e32 v7, v[50:51]
	scratch_load_b64 v[50:51], off, off offset:180 ; 8-byte Folded Reload
	s_waitcnt vmcnt(0)
	v_cvt_f32_f64_e32 v50, v[50:51]
	s_delay_alu instid0(VALU_DEP_1)
	v_min3_f32 v124, v7, v50, v124
	scratch_load_b64 v[50:51], off, off offset:204 ; 8-byte Folded Reload
	s_waitcnt vmcnt(0)
	v_cvt_f32_f64_e32 v7, v[50:51]
	scratch_load_b64 v[50:51], off, off offset:196 ; 8-byte Folded Reload
	s_waitcnt vmcnt(0)
	v_cvt_f32_f64_e32 v50, v[50:51]
	s_delay_alu instid0(VALU_DEP_1)
	v_min3_f32 v242, v7, v50, v242
	scratch_load_b64 v[50:51], off, off offset:220 ; 8-byte Folded Reload
	s_waitcnt vmcnt(0)
	v_cvt_f32_f64_e32 v7, v[50:51]
	scratch_load_b64 v[50:51], off, off offset:212 ; 8-byte Folded Reload
	s_waitcnt vmcnt(0)
	v_cvt_f32_f64_e32 v50, v[50:51]
	s_delay_alu instid0(VALU_DEP_1)
	v_min3_f32 v122, v7, v50, v122
	scratch_load_b64 v[50:51], off, off offset:236 ; 8-byte Folded Reload
	s_waitcnt vmcnt(0)
	v_cvt_f32_f64_e32 v7, v[50:51]
	scratch_load_b64 v[50:51], off, off offset:228 ; 8-byte Folded Reload
	s_waitcnt vmcnt(0)
	v_cvt_f32_f64_e32 v50, v[50:51]
	s_delay_alu instid0(VALU_DEP_1)
	v_min3_f32 v80, v7, v50, v80
	scratch_load_b64 v[50:51], off, off offset:252 ; 8-byte Folded Reload
	s_waitcnt vmcnt(0)
	v_cvt_f32_f64_e32 v7, v[50:51]
	scratch_load_b64 v[50:51], off, off offset:244 ; 8-byte Folded Reload
	s_waitcnt vmcnt(0)
	v_cvt_f32_f64_e32 v50, v[50:51]
	s_delay_alu instid0(VALU_DEP_1)
	v_min3_f32 v120, v7, v50, v120
	scratch_load_b64 v[50:51], off, off offset:268 ; 8-byte Folded Reload
	s_waitcnt vmcnt(0)
	v_cvt_f32_f64_e32 v7, v[50:51]
	scratch_load_b64 v[50:51], off, off offset:260 ; 8-byte Folded Reload
	s_waitcnt vmcnt(0)
	v_cvt_f32_f64_e32 v50, v[50:51]
	s_delay_alu instid0(VALU_DEP_1)
	v_min3_f32 v249, v7, v50, v249
	scratch_load_b64 v[50:51], off, off offset:284 ; 8-byte Folded Reload
	s_waitcnt vmcnt(0)
	v_cvt_f32_f64_e32 v7, v[50:51]
	scratch_load_b64 v[50:51], off, off offset:276 ; 8-byte Folded Reload
	s_waitcnt vmcnt(0)
	v_cvt_f32_f64_e32 v50, v[50:51]
	s_delay_alu instid0(VALU_DEP_1) | instskip(SKIP_2) | instid1(VALU_DEP_1)
	v_min3_f32 v239, v7, v50, v239
	v_cvt_f32_f64_e32 v7, v[95:96]
	v_cvt_f32_f64_e32 v50, v[105:106]
	v_min3_f32 v6, v7, v50, v6
	v_cvt_f32_f64_e32 v7, v[91:92]
	v_cvt_f32_f64_e32 v50, v[190:191]
	s_delay_alu instid0(VALU_DEP_1) | instskip(SKIP_2) | instid1(VALU_DEP_1)
	v_min3_f32 v210, v7, v50, v210
	v_cvt_f32_f64_e32 v7, v[87:88]
	v_cvt_f32_f64_e32 v50, v[101:102]
	v_min3_f32 v209, v7, v50, v209
	v_cvt_f32_f64_e32 v7, v[83:84]
	v_cvt_f32_f64_e32 v50, v[97:98]
	s_delay_alu instid0(VALU_DEP_1) | instskip(SKIP_2) | instid1(VALU_DEP_1)
	v_min3_f32 v208, v7, v50, v208
	v_cvt_f32_f64_e32 v7, v[62:63]
	v_cvt_f32_f64_e32 v50, v[186:187]
	v_min3_f32 v207, v7, v50, v207
	scratch_load_b64 v[50:51], off, off offset:312 ; 8-byte Folded Reload
	v_cvt_f32_f64_e32 v7, v[60:61]
	s_waitcnt vmcnt(0)
	v_cvt_f32_f64_e32 v50, v[50:51]
	s_delay_alu instid0(VALU_DEP_1) | instskip(SKIP_4) | instid1(VALU_DEP_1)
	v_min3_f32 v52, v7, v50, v52
	scratch_load_b64 v[50:51], off, off offset:304 ; 8-byte Folded Reload
	v_cvt_f32_f64_e32 v7, v[188:189]
	s_waitcnt vmcnt(0)
	v_cvt_f32_f64_e32 v50, v[50:51]
	v_min3_f32 v206, v7, v50, v206
	scratch_load_b64 v[50:51], off, off offset:320 ; 8-byte Folded Reload
	s_waitcnt vmcnt(0)
	v_cvt_f32_f64_e32 v7, v[50:51]
	scratch_load_b64 v[50:51], off, off offset:296 ; 8-byte Folded Reload
	s_waitcnt vmcnt(0)
	v_cvt_f32_f64_e32 v50, v[50:51]
	s_delay_alu instid0(VALU_DEP_1) | instskip(SKIP_2) | instid1(VALU_DEP_1)
	v_min3_f32 v205, v7, v50, v205
	v_cvt_f32_f64_e32 v7, v[226:227]
	v_cvt_f32_f64_e32 v50, v[224:225]
	v_min3_f32 v204, v7, v50, v204
	v_cvt_f32_f64_e32 v7, v[77:78]
	v_cvt_f32_f64_e32 v50, v[228:229]
	s_delay_alu instid0(VALU_DEP_1) | instskip(SKIP_3) | instid1(VALU_DEP_2)
	v_min3_f32 v136, v7, v50, v136
	v_cvt_f32_f64_e32 v7, v[128:129]
	v_cvt_f32_f64_e32 v50, v[232:233]
	v_mov_b32_e32 v233, v213
	v_min3_f32 v203, v7, v50, v203
	v_cvt_f32_f64_e32 v7, v[81:82]
	v_cvt_f32_f64_e32 v50, v[236:237]
	s_delay_alu instid0(VALU_DEP_1) | instskip(SKIP_2) | instid1(VALU_DEP_1)
	v_min3_f32 v202, v7, v50, v202
	v_cvt_f32_f64_e32 v7, v[111:112]
	v_cvt_f32_f64_e32 v50, v[240:241]
	v_min3_f32 v201, v7, v50, v201
	v_cvt_f32_f64_e32 v7, v[109:110]
	v_cvt_f32_f64_e32 v50, v[198:199]
	s_delay_alu instid0(VALU_DEP_1) | instskip(SKIP_2) | instid1(VALU_DEP_1)
	v_min3_f32 v244, v7, v50, v244
	v_cvt_f32_f64_e32 v7, v[250:251]
	v_cvt_f32_f64_e32 v50, v[115:116]
	;; [unrolled: 7-line block ×3, first 2 shown]
	v_min3_f32 v135, v7, v50, v135
	v_cvt_f32_f64_e32 v7, v[113:114]
	v_cvt_f32_f64_e32 v50, v[58:59]
	s_delay_alu instid0(VALU_DEP_1) | instskip(SKIP_1) | instid1(VALU_DEP_1)
	v_min3_f32 v134, v7, v50, v134
	v_cvt_f32_f64_e32 v7, v[56:57]
	v_min3_f32 v117, v7, v24, v117
	v_cvt_f32_f64_e32 v7, v[143:144]
	v_cvt_f32_f64_e32 v24, v[68:69]
	s_delay_alu instid0(VALU_DEP_1) | instskip(SKIP_2) | instid1(VALU_DEP_1)
	v_min3_f32 v231, v7, v24, v231
	v_cvt_f32_f64_e32 v7, v[145:146]
	v_cvt_f32_f64_e32 v24, v[148:149]
	v_min3_f32 v233, v7, v24, v233
	v_cvt_f32_f64_e32 v7, v[64:65]
	v_cvt_f32_f64_e32 v24, v[74:75]
	s_delay_alu instid0(VALU_DEP_1)
	v_min3_f32 v25, v7, v24, v25
	v_cvt_f32_f64_e32 v7, v[70:71]
	v_cvt_f32_f64_e32 v24, v[150:151]
	scratch_store_b32 off, v25, off offset:32 ; 4-byte Folded Spill
	scratch_load_b32 v25, off, off offset:28 ; 4-byte Folded Reload
	v_min3_f32 v220, v7, v24, v220
	v_cvt_f32_f64_e32 v7, v[72:73]
	v_cvt_f32_f64_e32 v24, v[152:153]
	s_delay_alu instid0(VALU_DEP_1) | instskip(SKIP_2) | instid1(VALU_DEP_1)
	v_min3_f32 v132, v7, v24, v132
	v_cvt_f32_f64_e32 v7, v[180:181]
	v_cvt_f32_f64_e32 v24, v[184:185]
	v_min3_f32 v219, v7, v24, v219
	v_cvt_f32_f64_e32 v7, v[176:177]
	v_cvt_f32_f64_e32 v24, v[182:183]
	s_delay_alu instid0(VALU_DEP_1) | instskip(SKIP_2) | instid1(VALU_DEP_1)
	v_min3_f32 v246, v7, v24, v246
	v_cvt_f32_f64_e32 v7, v[172:173]
	v_cvt_f32_f64_e32 v24, v[178:179]
	v_min3_f32 v218, v7, v24, v218
	v_cvt_f32_f64_e32 v7, v[168:169]
	v_cvt_f32_f64_e32 v24, v[174:175]
	s_delay_alu instid0(VALU_DEP_1) | instskip(SKIP_3) | instid1(VALU_DEP_1)
	v_min3_f32 v234, v7, v24, v234
	v_cvt_f32_f64_e32 v7, v[164:165]
	v_cvt_f32_f64_e32 v24, v[170:171]
	s_waitcnt vmcnt(0)
	v_min3_f32 v25, v7, v24, v25
	v_cvt_f32_f64_e32 v7, v[160:161]
	v_cvt_f32_f64_e32 v24, v[166:167]
	scratch_store_b32 off, v25, off offset:28 ; 4-byte Folded Spill
	scratch_load_b32 v25, off, off offset:24 ; 4-byte Folded Reload
	v_min3_f32 v238, v7, v24, v238
	v_cvt_f32_f64_e32 v7, v[156:157]
	v_cvt_f32_f64_e32 v24, v[162:163]
	s_waitcnt vmcnt(0)
	s_delay_alu instid0(VALU_DEP_1)
	v_min3_f32 v25, v7, v24, v25
	v_cvt_f32_f64_e32 v7, v[154:155]
	v_cvt_f32_f64_e32 v24, v[158:159]
	scratch_store_b32 off, v25, off offset:24 ; 4-byte Folded Spill
	v_min3_f32 v196, v7, v24, v196
	v_cvt_f32_f64_e32 v7, v[66:67]
	s_delay_alu instid0(VALU_DEP_1) | instskip(SKIP_3) | instid1(VALU_DEP_1)
	v_min3_f32 v79, v7, v4, v79
	scratch_load_b32 v7, off, off offset:20 ; 4-byte Folded Reload
	v_cvt_f32_f64_e32 v4, v[99:100]
	s_waitcnt vmcnt(0)
	v_min3_f32 v7, v4, v5, v7
	v_cvt_f32_f64_e32 v4, v[103:104]
	v_cvt_f32_f64_e32 v5, v[8:9]
	scratch_store_b32 off, v7, off offset:20 ; 4-byte Folded Spill
	scratch_load_b32 v7, off, off offset:12 ; 4-byte Folded Reload
	v_min3_f32 v127, v4, v5, v127
	v_cvt_f32_f64_e32 v4, v[85:86]
	v_cvt_f32_f64_e32 v5, v[10:11]
	s_delay_alu instid0(VALU_DEP_1) | instskip(SKIP_3) | instid1(VALU_DEP_1)
	v_min3_f32 v125, v4, v5, v125
	v_cvt_f32_f64_e32 v4, v[89:90]
	v_cvt_f32_f64_e32 v5, v[12:13]
	s_waitcnt vmcnt(0)
	v_min3_f32 v7, v4, v5, v7
	v_cvt_f32_f64_e32 v4, v[222:223]
	v_cvt_f32_f64_e32 v5, v[14:15]
	scratch_store_b32 off, v7, off offset:12 ; 4-byte Folded Spill
	scratch_load_b32 v7, off, off offset:16 ; 4-byte Folded Reload
	v_min3_f32 v123, v4, v5, v123
	v_cvt_f32_f64_e32 v4, v[93:94]
	v_cvt_f32_f64_e32 v5, v[16:17]
	s_waitcnt vmcnt(0)
	s_delay_alu instid0(VALU_DEP_1)
	v_min3_f32 v7, v4, v5, v7
	v_cvt_f32_f64_e32 v4, v[18:19]
	v_cvt_f32_f64_e32 v5, v[20:21]
	scratch_store_b32 off, v7, off offset:16 ; 4-byte Folded Spill
	v_min3_f32 v121, v4, v5, v121
	s_cbranch_vccz .LBB157_9
; %bb.10:
	scratch_load_b32 v1, off, off offset:360 ; 4-byte Folded Reload
	v_dual_mov_b32 v71, v147 :: v_dual_lshlrev_b32 v0, 5, v76
	scratch_store_b32 off, v211, off offset:292 ; 4-byte Folded Spill
	s_load_b32 s14, s[0:1], 0x8
	v_dual_mov_b32 v241, v210 :: v_dual_mov_b32 v240, v209
	v_dual_mov_b32 v42, v208 :: v_dual_mov_b32 v41, v207
	;; [unrolled: 1-line block ×6, first 2 shown]
	s_waitcnt lgkmcnt(0)
	s_cmp_lt_i32 s14, 9
	s_waitcnt vmcnt(0)
	v_lshl_add_u32 v0, v1, 3, v0
	scratch_load_b64 v[1:2], off, off offset:328 ; 8-byte Folded Reload
	s_waitcnt vmcnt(0)
	ds_store_2addr_stride64_b64 v0, v[216:217], v[1:2] offset0:16 offset1:20
	s_clause 0x1
	scratch_load_b64 v[1:2], off, off offset:336
	scratch_load_b64 v[3:4], off, off offset:344
	s_waitcnt vmcnt(0)
	ds_store_2addr_stride64_b64 v0, v[1:2], v[3:4] offset0:24 offset1:28
	scratch_load_b64 v[1:2], off, off offset:352 ; 8-byte Folded Reload
	s_waitcnt vmcnt(0)
	ds_store_b64 v221, v[1:2] offset:18432
	s_waitcnt lgkmcnt(0)
	s_waitcnt_vscnt null, 0x0
	s_barrier
	buffer_gl0_inv
	scratch_store_b32 off, v212, off offset:36 ; 4-byte Folded Spill
	s_cbranch_scc1 .LBB157_18
; %bb.11:
	scratch_load_b32 v135, off, off offset:292 ; 4-byte Folded Reload
	v_dual_mov_b32 v5, 0 :: v_dual_add_nc_u32 v0, 0x2000, v0
	v_add_co_u32 v232, vcc_lo, s12, v214
	v_dual_mov_b32 v134, v220 :: v_dual_mov_b32 v147, v117
	scratch_store_b32 off, v0, off offset:388 ; 4-byte Folded Spill
	v_add_nc_u32_e32 v0, 0x4800, v221
	v_dual_mov_b32 v148, v202 :: v_dual_mov_b32 v145, v244
	s_add_i32 s12, s14, -8
	s_mov_b32 s14, 0
	scratch_store_b32 off, v0, off offset:392 ; 4-byte Folded Spill
	v_add_co_ci_u32_e32 v0, vcc_lo, s13, v215, vcc_lo
	s_mov_b32 s13, 8
	s_clause 0x1
	scratch_store_b32 off, v232, off offset:396
	scratch_store_b32 off, v0, off offset:296
.LBB157_12:                             ; =>This Loop Header: Depth=1
                                        ;     Child Loop BB157_13 Depth 2
                                        ;     Child Loop BB157_15 Depth 2
	scratch_load_b32 v0, off, off offset:360 ; 4-byte Folded Reload
	s_mov_b32 s16, -1
	s_mov_b32 s17, 0
	s_waitcnt vmcnt(0)
	v_add_nc_u32_e32 v4, s13, v0
	s_delay_alu instid0(VALU_DEP_1) | instskip(NEXT) | instid1(VALU_DEP_1)
	v_mad_u64_u32 v[0:1], null, v4, s18, 0
	v_mad_u64_u32 v[2:3], null, v4, s19, v[1:2]
	s_delay_alu instid0(VALU_DEP_1) | instskip(SKIP_2) | instid1(VALU_DEP_1)
	v_mov_b32_e32 v1, v2
	scratch_load_b32 v2, off, off offset:364 ; 4-byte Folded Reload
	v_lshlrev_b64 v[0:1], 3, v[0:1]
	v_add_co_u32 v0, vcc_lo, v232, v0
	s_waitcnt vmcnt(0)
	v_or_b32_e32 v4, s13, v2
	v_mov_b32_e32 v2, v5
	scratch_store_b64 off, v[1:2], off offset:352 ; 8-byte Folded Spill
	v_lshlrev_b64 v[2:3], 3, v[4:5]
	scratch_load_b32 v4, off, off offset:296 ; 4-byte Folded Reload
	s_waitcnt vmcnt(0)
	v_add_co_ci_u32_e32 v1, vcc_lo, v4, v1, vcc_lo
	scratch_load_b32 v4, off, off offset:372 ; 4-byte Folded Reload
	s_waitcnt vmcnt(0)
	v_add_co_u32 v4, vcc_lo, v4, v2
	scratch_load_b32 v2, off, off offset:376 ; 4-byte Folded Reload
	s_waitcnt vmcnt(0)
	v_add_co_ci_u32_e32 v5, vcc_lo, v2, v3, vcc_lo
	flat_load_b64 v[2:3], v[0:1]
	s_waitcnt vmcnt(0) lgkmcnt(0)
	scratch_store_b64 off, v[2:3], off offset:312 ; 8-byte Folded Spill
	flat_load_b64 v[2:3], v[0:1] offset:512
	s_waitcnt vmcnt(0) lgkmcnt(0)
	scratch_store_b64 off, v[2:3], off offset:320 ; 8-byte Folded Spill
	s_clause 0x1
	flat_load_b64 v[2:3], v[0:1] offset:1024
	flat_load_b64 v[0:1], v[0:1] offset:1536
	s_waitcnt vmcnt(1) lgkmcnt(1)
	scratch_store_b64 off, v[2:3], off offset:328 ; 8-byte Folded Spill
	s_waitcnt vmcnt(0) lgkmcnt(0)
	s_clause 0x1
	scratch_store_b64 off, v[0:1], off offset:336
	scratch_store_b64 off, v[4:5], off offset:304
	flat_load_b64 v[0:1], v[4:5]
	s_waitcnt vmcnt(0) lgkmcnt(0)
	scratch_store_b64 off, v[0:1], off offset:344 ; 8-byte Folded Spill
.LBB157_13:                             ;   Parent Loop BB157_12 Depth=1
                                        ; =>  This Inner Loop Header: Depth=2
	s_lshl_b32 s17, s17, 3
	v_mov_b32_e32 v44, v42
	v_lshl_add_u32 v101, v212, 5, s17
	v_lshl_add_u32 v4, v135, 5, s17
	s_mov_b32 s17, 2
	s_and_not1_b32 vcc_lo, exec_lo, s16
	s_mov_b32 s16, 0
	ds_load_b128 v[45:48], v101 offset:18432
	ds_load_b128 v[0:3], v4 offset:8192
	;; [unrolled: 1-line block ×4, first 2 shown]
	s_waitcnt lgkmcnt(2)
	v_add_f64 v[67:68], v[2:3], v[47:48]
	s_waitcnt lgkmcnt(1)
	v_add_f64 v[7:8], v[156:157], v[47:48]
	v_add_f64 v[21:22], v[0:1], v[45:46]
	s_delay_alu instid0(VALU_DEP_3)
	v_cvt_f32_f64_e32 v67, v[67:68]
	scratch_store_b64 off, v[7:8], off offset:44 ; 8-byte Folded Spill
	v_add_f64 v[7:8], v[154:155], v[45:46]
	v_cvt_f32_f64_e32 v117, v[21:22]
	scratch_store_b64 off, v[7:8], off offset:100 ; 8-byte Folded Spill
	ds_load_b128 v[162:165], v4 offset:10240
	ds_load_b128 v[166:169], v4 offset:11264
	v_min3_f32 v142, v117, v67, v142
	s_waitcnt lgkmcnt(1)
	v_add_f64 v[7:8], v[164:165], v[47:48]
	scratch_store_b64 off, v[7:8], off offset:76 ; 8-byte Folded Spill
	v_add_f64 v[7:8], v[162:163], v[45:46]
	scratch_store_b64 off, v[7:8], off offset:132 ; 8-byte Folded Spill
	s_waitcnt lgkmcnt(0)
	v_add_f64 v[7:8], v[168:169], v[47:48]
	scratch_store_b64 off, v[7:8], off offset:52 ; 8-byte Folded Spill
	v_add_f64 v[7:8], v[166:167], v[45:46]
	scratch_store_b64 off, v[7:8], off offset:108 ; 8-byte Folded Spill
	ds_load_b128 v[170:173], v4 offset:12288
	ds_load_b128 v[174:177], v4 offset:13312
	s_waitcnt lgkmcnt(1)
	v_add_f64 v[7:8], v[172:173], v[47:48]
	v_add_f64 v[49:50], v[170:171], v[158:159]
	s_waitcnt lgkmcnt(0)
	v_add_f64 v[25:26], v[174:175], v[158:159]
	scratch_store_b64 off, v[7:8], off offset:84 ; 8-byte Folded Spill
	v_add_f64 v[7:8], v[170:171], v[45:46]
	v_cvt_f32_f64_e32 v49, v[49:50]
	scratch_store_b64 off, v[7:8], off offset:140 ; 8-byte Folded Spill
	v_add_f64 v[7:8], v[176:177], v[47:48]
	scratch_store_b64 off, v[7:8], off offset:60 ; 8-byte Folded Spill
	v_add_f64 v[7:8], v[174:175], v[45:46]
	scratch_store_b64 off, v[7:8], off offset:116 ; 8-byte Folded Spill
	ds_load_b128 v[178:181], v4 offset:14336
	ds_load_b128 v[182:185], v4 offset:15360
	s_waitcnt lgkmcnt(1)
	v_add_f64 v[4:5], v[180:181], v[47:48]
	scratch_store_b64 off, v[4:5], off offset:92 ; 8-byte Folded Spill
	v_add_f64 v[4:5], v[178:179], v[45:46]
	scratch_store_b64 off, v[4:5], off offset:148 ; 8-byte Folded Spill
	s_waitcnt lgkmcnt(0)
	v_add_f64 v[4:5], v[184:185], v[47:48]
	scratch_store_b64 off, v[4:5], off offset:68 ; 8-byte Folded Spill
	v_add_f64 v[4:5], v[182:183], v[45:46]
	scratch_store_b64 off, v[4:5], off offset:124 ; 8-byte Folded Spill
	;; [unrolled: 2-line block ×16, first 2 shown]
	ds_load_b128 v[158:161], v101 offset:18944
	ds_load_b128 v[186:189], v101 offset:19200
	s_waitcnt lgkmcnt(1)
	v_add_f64 v[4:5], v[176:177], v[160:161]
	v_add_f64 v[33:34], v[2:3], v[160:161]
	;; [unrolled: 1-line block ×14, first 2 shown]
	s_waitcnt lgkmcnt(0)
	v_add_f64 v[37:38], v[2:3], v[188:189]
	v_add_f64 v[222:223], v[0:1], v[186:187]
	;; [unrolled: 1-line block ×16, first 2 shown]
	scratch_store_b64 off, v[4:5], off offset:284 ; 8-byte Folded Spill
	v_add_f64 v[4:5], v[180:181], v[160:161]
	scratch_store_b64 off, v[4:5], off offset:276 ; 8-byte Folded Spill
	v_add_f64 v[4:5], v[184:185], v[160:161]
	scratch_store_b64 off, v[4:5], off offset:268 ; 8-byte Folded Spill
	ds_load_b128 v[158:161], v101 offset:19456
	ds_load_b128 v[186:189], v101 offset:19712
	s_waitcnt lgkmcnt(1)
	v_add_f64 v[7:8], v[164:165], v[160:161]
	v_add_f64 v[9:10], v[162:163], v[158:159]
	;; [unrolled: 1-line block ×16, first 2 shown]
	s_waitcnt lgkmcnt(0)
	v_add_f64 v[83:84], v[2:3], v[188:189]
	v_add_f64 v[53:54], v[0:1], v[186:187]
	;; [unrolled: 1-line block ×16, first 2 shown]
	ds_load_b128 v[158:161], v101 offset:19968
	ds_load_b128 v[186:189], v101 offset:20224
	scratch_load_b64 v[21:22], off, off offset:100 ; 8-byte Folded Reload
	v_cvt_f32_f64_e32 v7, v[7:8]
	v_cvt_f32_f64_e32 v9, v[9:10]
	;; [unrolled: 1-line block ×5, first 2 shown]
	s_waitcnt lgkmcnt(1)
	v_add_f64 v[101:102], v[2:3], v[160:161]
	v_add_f64 v[210:211], v[0:1], v[158:159]
	s_waitcnt lgkmcnt(0)
	v_add_f64 v[2:3], v[2:3], v[188:189]
	v_add_f64 v[0:1], v[0:1], v[186:187]
	;; [unrolled: 1-line block ×24, first 2 shown]
	v_min3_f32 v147, v9, v7, v147
	v_cvt_f32_f64_e32 v7, v[13:14]
	v_add_f64 v[180:181], v[180:181], v[188:189]
	v_add_f64 v[178:179], v[178:179], v[186:187]
	;; [unrolled: 1-line block ×6, first 2 shown]
	v_min3_f32 v233, v4, v5, v233
	v_cvt_f32_f64_e32 v4, v[130:131]
	v_cvt_f32_f64_e32 v5, v[17:18]
	;; [unrolled: 1-line block ×4, first 2 shown]
	scratch_load_b32 v2, off, off offset:8  ; 4-byte Folded Reload
	v_min3_f32 v231, v7, v8, v231
	scratch_load_b32 v7, off, off offset:32 ; 4-byte Folded Reload
	s_waitcnt vmcnt(1)
	v_min3_f32 v2, v0, v1, v2
	v_cvt_f32_f64_e32 v0, v[154:155]
	v_cvt_f32_f64_e32 v1, v[156:157]
	scratch_store_b32 off, v2, off offset:8 ; 4-byte Folded Spill
	scratch_load_b32 v2, off, off offset:4  ; 4-byte Folded Reload
	s_waitcnt vmcnt(1)
	v_min3_f32 v7, v4, v5, v7
	v_cvt_f32_f64_e32 v4, v[138:139]
	v_cvt_f32_f64_e32 v5, v[19:20]
	scratch_store_b32 off, v7, off offset:32 ; 4-byte Folded Spill
	scratch_load_b32 v7, off, off offset:28 ; 4-byte Folded Reload
	v_min3_f32 v119, v0, v1, v119
	v_cvt_f32_f64_e32 v0, v[162:163]
	v_cvt_f32_f64_e32 v1, v[164:165]
	v_min3_f32 v134, v4, v5, v134
	v_cvt_f32_f64_e32 v4, v[113:114]
	v_cvt_f32_f64_e32 v5, v[23:24]
	s_delay_alu instid0(VALU_DEP_4) | instskip(SKIP_2) | instid1(VALU_DEP_4)
	v_min3_f32 v126, v0, v1, v126
	v_cvt_f32_f64_e32 v0, v[166:167]
	v_cvt_f32_f64_e32 v1, v[168:169]
	v_min3_f32 v132, v4, v5, v132
	v_cvt_f32_f64_e32 v4, v[53:54]
	v_cvt_f32_f64_e32 v5, v[83:84]
	s_delay_alu instid0(VALU_DEP_4) | instskip(SKIP_2) | instid1(VALU_DEP_4)
	v_min3_f32 v118, v0, v1, v118
	v_cvt_f32_f64_e32 v0, v[170:171]
	v_cvt_f32_f64_e32 v1, v[172:173]
	v_min3_f32 v219, v4, v5, v219
	v_cvt_f32_f64_e32 v4, v[55:56]
	v_cvt_f32_f64_e32 v5, v[85:86]
	s_delay_alu instid0(VALU_DEP_1) | instskip(SKIP_2) | instid1(VALU_DEP_1)
	v_min3_f32 v246, v4, v5, v246
	v_cvt_f32_f64_e32 v4, v[59:60]
	v_cvt_f32_f64_e32 v5, v[57:58]
	v_min3_f32 v218, v4, v5, v218
	v_cvt_f32_f64_e32 v4, v[63:64]
	v_cvt_f32_f64_e32 v5, v[61:62]
	s_delay_alu instid0(VALU_DEP_1)
	v_min3_f32 v234, v4, v5, v234
	v_cvt_f32_f64_e32 v4, v[89:90]
	v_cvt_f32_f64_e32 v5, v[87:88]
	s_waitcnt vmcnt(1)
	v_min3_f32 v2, v0, v1, v2
	v_cvt_f32_f64_e32 v0, v[174:175]
	v_cvt_f32_f64_e32 v1, v[176:177]
	scratch_store_b32 off, v2, off offset:4 ; 4-byte Folded Spill
	scratch_load_b32 v2, off, off           ; 4-byte Folded Reload
	s_waitcnt vmcnt(1)
	v_min3_f32 v7, v4, v5, v7
	v_cvt_f32_f64_e32 v4, v[93:94]
	v_cvt_f32_f64_e32 v5, v[91:92]
	scratch_store_b32 off, v7, off offset:28 ; 4-byte Folded Spill
	scratch_load_b32 v7, off, off offset:24 ; 4-byte Folded Reload
	v_min3_f32 v248, v0, v1, v248
	v_cvt_f32_f64_e32 v0, v[178:179]
	v_cvt_f32_f64_e32 v1, v[180:181]
	v_min3_f32 v238, v4, v5, v238
	v_cvt_f32_f64_e32 v4, v[97:98]
	v_cvt_f32_f64_e32 v5, v[95:96]
	s_delay_alu instid0(VALU_DEP_4) | instskip(SKIP_3) | instid1(VALU_DEP_1)
	v_min3_f32 v247, v0, v1, v247
	v_cvt_f32_f64_e32 v0, v[182:183]
	v_cvt_f32_f64_e32 v1, v[184:185]
	s_waitcnt vmcnt(1)
	v_min3_f32 v2, v0, v1, v2
	scratch_store_b32 off, v2, off          ; 4-byte Folded Spill
	s_waitcnt vmcnt(0)
	v_min3_f32 v7, v4, v5, v7
	v_cvt_f32_f64_e32 v4, v[214:215]
	v_cvt_f32_f64_e32 v5, v[99:100]
	scratch_store_b32 off, v7, off offset:24 ; 4-byte Folded Spill
	scratch_load_b32 v7, off, off offset:20 ; 4-byte Folded Reload
	v_cvt_f32_f64_e32 v67, v[21:22]
	scratch_load_b64 v[21:22], off, off offset:44 ; 8-byte Folded Reload
	v_min3_f32 v196, v4, v5, v196
	v_cvt_f32_f64_e32 v4, v[210:211]
	v_cvt_f32_f64_e32 v5, v[101:102]
	s_delay_alu instid0(VALU_DEP_1) | instskip(SKIP_3) | instid1(VALU_DEP_1)
	v_min3_f32 v79, v4, v5, v79
	v_cvt_f32_f64_e32 v4, v[216:217]
	v_cvt_f32_f64_e32 v5, v[206:207]
	s_waitcnt vmcnt(1)
	v_min3_f32 v7, v4, v5, v7
	v_cvt_f32_f64_e32 v4, v[202:203]
	v_cvt_f32_f64_e32 v5, v[103:104]
	scratch_store_b32 off, v7, off offset:20 ; 4-byte Folded Spill
	scratch_load_b32 v7, off, off offset:12 ; 4-byte Folded Reload
	v_min3_f32 v127, v4, v5, v127
	v_cvt_f32_f64_e32 v5, v[212:213]
	scratch_load_b32 v212, off, off offset:36 ; 4-byte Folded Reload
	v_cvt_f32_f64_e32 v4, v[198:199]
	s_delay_alu instid0(VALU_DEP_1) | instskip(SKIP_3) | instid1(VALU_DEP_1)
	v_min3_f32 v125, v4, v5, v125
	v_cvt_f32_f64_e32 v4, v[194:195]
	v_cvt_f32_f64_e32 v5, v[208:209]
	s_waitcnt vmcnt(1)
	v_min3_f32 v7, v4, v5, v7
	v_cvt_f32_f64_e32 v4, v[190:191]
	v_cvt_f32_f64_e32 v5, v[204:205]
	scratch_store_b32 off, v7, off offset:12 ; 4-byte Folded Spill
	scratch_load_b32 v7, off, off offset:16 ; 4-byte Folded Reload
	v_cvt_f32_f64_e32 v68, v[21:22]
	scratch_load_b64 v[21:22], off, off offset:132 ; 8-byte Folded Reload
	v_min3_f32 v123, v4, v5, v123
	v_cvt_f32_f64_e32 v4, v[220:221]
	v_cvt_f32_f64_e32 v5, v[200:201]
	v_min3_f32 v141, v67, v68, v141
	s_waitcnt vmcnt(1)
	s_delay_alu instid0(VALU_DEP_2)
	v_min3_f32 v7, v4, v5, v7
	v_cvt_f32_f64_e32 v4, v[158:159]
	s_waitcnt vmcnt(0)
	v_cvt_f32_f64_e32 v67, v[21:22]
	scratch_load_b64 v[21:22], off, off offset:76 ; 8-byte Folded Reload
	v_cvt_f32_f64_e32 v5, v[160:161]
	scratch_store_b32 off, v7, off offset:16 ; 4-byte Folded Spill
	v_min3_f32 v121, v4, v5, v121
	s_waitcnt vmcnt(0)
	v_cvt_f32_f64_e32 v68, v[21:22]
	scratch_load_b64 v[21:22], off, off offset:108 ; 8-byte Folded Reload
	v_min3_f32 v140, v67, v68, v140
	s_waitcnt vmcnt(0)
	v_cvt_f32_f64_e32 v67, v[21:22]
	scratch_load_b64 v[21:22], off, off offset:52 ; 8-byte Folded Reload
	s_waitcnt vmcnt(0)
	v_cvt_f32_f64_e32 v68, v[21:22]
	scratch_load_b64 v[21:22], off, off offset:140 ; 8-byte Folded Reload
	v_min3_f32 v137, v67, v68, v137
	s_waitcnt vmcnt(0)
	v_cvt_f32_f64_e32 v67, v[21:22]
	scratch_load_b64 v[21:22], off, off offset:84 ; 8-byte Folded Reload
	;; [unrolled: 7-line block ×10, first 2 shown]
	v_min3_f32 v80, v49, v50, v80
	v_cvt_f32_f64_e32 v49, v[25:26]
	s_waitcnt vmcnt(0)
	v_cvt_f32_f64_e32 v25, v[21:22]
	scratch_load_b64 v[21:22], off, off offset:244 ; 8-byte Folded Reload
	v_min3_f32 v120, v49, v25, v120
	s_waitcnt vmcnt(0)
	v_cvt_f32_f64_e32 v25, v[21:22]
	scratch_load_b64 v[21:22], off, off offset:236 ; 8-byte Folded Reload
	s_waitcnt vmcnt(0)
	v_cvt_f32_f64_e32 v26, v[21:22]
	scratch_load_b64 v[21:22], off, off offset:260 ; 8-byte Folded Reload
	v_min3_f32 v249, v25, v26, v249
	s_waitcnt vmcnt(0)
	v_cvt_f32_f64_e32 v25, v[21:22]
	scratch_load_b64 v[21:22], off, off offset:252 ; 8-byte Folded Reload
	s_waitcnt vmcnt(0)
	v_cvt_f32_f64_e32 v26, v[21:22]
	v_cvt_f32_f64_e32 v21, v[35:36]
	;; [unrolled: 1-line block ×3, first 2 shown]
	v_mov_b32_e32 v42, v44
	s_delay_alu instid0(VALU_DEP_4) | instskip(SKIP_2) | instid1(VALU_DEP_4)
	v_min3_f32 v239, v25, v26, v239
	v_cvt_f32_f64_e32 v25, v[31:32]
	v_cvt_f32_f64_e32 v26, v[33:34]
	v_min3_f32 v42, v21, v22, v42
	v_cvt_f32_f64_e32 v21, v[47:48]
	v_cvt_f32_f64_e32 v22, v[75:76]
	s_delay_alu instid0(VALU_DEP_4) | instskip(SKIP_2) | instid1(VALU_DEP_4)
	v_min3_f32 v6, v25, v26, v6
	v_cvt_f32_f64_e32 v25, v[105:106]
	v_cvt_f32_f64_e32 v26, v[39:40]
	v_min3_f32 v41, v21, v22, v41
	v_cvt_f32_f64_e32 v21, v[65:66]
	s_delay_alu instid0(VALU_DEP_3) | instskip(SKIP_2) | instid1(VALU_DEP_1)
	v_min3_f32 v241, v25, v26, v241
	v_cvt_f32_f64_e32 v25, v[107:108]
	v_cvt_f32_f64_e32 v26, v[45:46]
	v_min3_f32 v240, v25, v26, v240
	scratch_load_b64 v[25:26], off, off offset:284 ; 8-byte Folded Reload
	s_waitcnt vmcnt(0)
	v_cvt_f32_f64_e32 v22, v[25:26]
	scratch_load_b64 v[25:26], off, off offset:276 ; 8-byte Folded Reload
	v_min3_f32 v52, v21, v22, v52
	v_cvt_f32_f64_e32 v21, v[73:74]
	s_waitcnt vmcnt(0)
	v_cvt_f32_f64_e32 v22, v[25:26]
	scratch_load_b64 v[25:26], off, off offset:268 ; 8-byte Folded Reload
	v_min3_f32 v51, v21, v22, v51
	v_cvt_f32_f64_e32 v21, v[243:244]
	s_waitcnt vmcnt(0)
	v_cvt_f32_f64_e32 v22, v[25:26]
	s_delay_alu instid0(VALU_DEP_1) | instskip(SKIP_2) | instid1(VALU_DEP_1)
	v_min3_f32 v144, v21, v22, v144
	v_cvt_f32_f64_e32 v21, v[222:223]
	v_cvt_f32_f64_e32 v22, v[37:38]
	v_min3_f32 v143, v21, v22, v143
	v_cvt_f32_f64_e32 v21, v[226:227]
	v_cvt_f32_f64_e32 v22, v[224:225]
	s_delay_alu instid0(VALU_DEP_1) | instskip(SKIP_2) | instid1(VALU_DEP_1)
	v_min3_f32 v136, v21, v22, v136
	v_cvt_f32_f64_e32 v21, v[77:78]
	v_cvt_f32_f64_e32 v22, v[228:229]
	v_min3_f32 v149, v21, v22, v149
	v_cvt_f32_f64_e32 v21, v[128:129]
	;; [unrolled: 7-line block ×5, first 2 shown]
	v_cvt_f32_f64_e32 v22, v[150:151]
	s_delay_alu instid0(VALU_DEP_1)
	v_min3_f32 v69, v21, v22, v69
	s_cbranch_vccz .LBB157_13
; %bb.14:                               ;   in Loop: Header=BB157_12 Depth=1
	scratch_load_b32 v0, off, off offset:368 ; 4-byte Folded Reload
	v_dual_mov_b32 v243, v218 :: v_dual_mov_b32 v244, v219
	v_dual_mov_b32 v135, v233 :: v_dual_mov_b32 v62, v52
	s_mov_b32 s17, 0
	s_mov_b32 s16, -1
	s_waitcnt vmcnt(0)
	v_add_nc_u32_e32 v4, s13, v0
	s_delay_alu instid0(VALU_DEP_1) | instskip(NEXT) | instid1(VALU_DEP_1)
	v_mad_u64_u32 v[0:1], null, v4, s18, 0
	v_mad_u64_u32 v[2:3], null, v4, s19, v[1:2]
	s_delay_alu instid0(VALU_DEP_1)
	v_mov_b32_e32 v1, v2
	s_clause 0x2
	scratch_load_b32 v2, off, off offset:380
	scratch_load_b64 v[3:4], off, off offset:312
	scratch_load_b64 v[7:8], off, off offset:320
	v_lshlrev_b64 v[0:1], 3, v[0:1]
	s_delay_alu instid0(VALU_DEP_1)
	v_add_co_u32 v0, vcc_lo, v232, v0
	s_waitcnt vmcnt(0)
	ds_store_2addr_stride64_b64 v2, v[3:4], v[7:8] offset1:4
	s_clause 0x1
	scratch_load_b64 v[3:4], off, off offset:328
	scratch_load_b64 v[7:8], off, off offset:336
	s_waitcnt vmcnt(0)
	ds_store_2addr_stride64_b64 v2, v[3:4], v[7:8] offset0:8 offset1:12
	scratch_load_b32 v2, off, off offset:296 ; 4-byte Folded Reload
	s_waitcnt vmcnt(0)
	v_add_co_ci_u32_e32 v1, vcc_lo, v2, v1, vcc_lo
	s_clause 0x1
	scratch_load_b32 v2, off, off offset:384
	scratch_load_b64 v[3:4], off, off offset:344
	s_waitcnt vmcnt(0)
	ds_store_b64 v2, v[3:4]
	s_waitcnt lgkmcnt(0)
	s_waitcnt_vscnt null, 0x0
	s_barrier
	buffer_gl0_inv
	flat_load_b64 v[2:3], v[0:1]
	s_waitcnt vmcnt(0) lgkmcnt(0)
	scratch_store_b64 off, v[2:3], off offset:284 ; 8-byte Folded Spill
	flat_load_b64 v[2:3], v[0:1] offset:512
	s_waitcnt vmcnt(0) lgkmcnt(0)
	scratch_store_b64 off, v[2:3], off offset:312 ; 8-byte Folded Spill
	s_clause 0x1
	flat_load_b64 v[2:3], v[0:1] offset:1024
	flat_load_b64 v[0:1], v[0:1] offset:1536
	s_waitcnt vmcnt(0) lgkmcnt(0)
	scratch_store_b64 off, v[0:1], off offset:328 ; 8-byte Folded Spill
	scratch_load_b64 v[0:1], off, off offset:304 ; 8-byte Folded Reload
	s_waitcnt vmcnt(0)
	flat_load_b64 v[0:1], v[0:1] offset:32
	scratch_store_b64 off, v[2:3], off offset:320 ; 8-byte Folded Spill
	s_waitcnt vmcnt(0) lgkmcnt(0)
	scratch_store_b64 off, v[0:1], off offset:304 ; 8-byte Folded Spill
.LBB157_15:                             ;   Parent Loop BB157_12 Depth=1
                                        ; =>  This Inner Loop Header: Depth=2
	scratch_load_b32 v0, off, off offset:292 ; 4-byte Folded Reload
	s_lshl_b32 s17, s17, 3
	v_dual_mov_b32 v117, v126 :: v_dual_mov_b32 v126, v79
	v_lshl_add_u32 v65, v212, 5, s17
	s_and_not1_b32 vcc_lo, exec_lo, s16
	s_mov_b32 s16, 0
	s_waitcnt vmcnt(0)
	v_lshl_add_u32 v4, v0, 5, s17
	s_mov_b32 s17, 2
	ds_load_b128 v[43:46], v65 offset:16384
	ds_load_b128 v[0:3], v4
	ds_load_b128 v[154:157], v4 offset:1024
	ds_load_b128 v[73:76], v65 offset:16640
	s_waitcnt lgkmcnt(2)
	v_add_f64 v[29:30], v[0:1], v[43:44]
	s_waitcnt lgkmcnt(1)
	v_add_f64 v[7:8], v[156:157], v[45:46]
	v_add_f64 v[63:64], v[2:3], v[45:46]
	s_delay_alu instid0(VALU_DEP_3)
	v_cvt_f32_f64_e32 v79, v[29:30]
	scratch_store_b64 off, v[7:8], off offset:44 ; 8-byte Folded Spill
	v_add_f64 v[7:8], v[154:155], v[43:44]
	v_cvt_f32_f64_e32 v63, v[63:64]
	scratch_store_b64 off, v[7:8], off offset:100 ; 8-byte Folded Spill
	ds_load_b128 v[158:161], v4 offset:2048
	ds_load_b128 v[162:165], v4 offset:3072
	v_min3_f32 v142, v79, v63, v142
	v_dual_mov_b32 v79, v126 :: v_dual_mov_b32 v126, v117
	s_waitcnt lgkmcnt(1)
	v_add_f64 v[7:8], v[160:161], v[45:46]
	scratch_store_b64 off, v[7:8], off offset:76 ; 8-byte Folded Spill
	v_add_f64 v[7:8], v[158:159], v[43:44]
	scratch_store_b64 off, v[7:8], off offset:132 ; 8-byte Folded Spill
	s_waitcnt lgkmcnt(0)
	v_add_f64 v[7:8], v[164:165], v[45:46]
	scratch_store_b64 off, v[7:8], off offset:52 ; 8-byte Folded Spill
	v_add_f64 v[7:8], v[162:163], v[43:44]
	scratch_store_b64 off, v[7:8], off offset:108 ; 8-byte Folded Spill
	ds_load_b128 v[166:169], v4 offset:4096
	ds_load_b128 v[170:173], v4 offset:5120
	s_waitcnt lgkmcnt(1)
	v_add_f64 v[7:8], v[168:169], v[45:46]
	s_waitcnt lgkmcnt(0)
	v_add_f64 v[35:36], v[170:171], v[73:74]
	v_add_f64 v[39:40], v[166:167], v[43:44]
	scratch_store_b64 off, v[7:8], off offset:84 ; 8-byte Folded Spill
	v_add_f64 v[7:8], v[172:173], v[45:46]
	v_cvt_f32_f64_e32 v39, v[39:40]
	v_cvt_f32_f64_e32 v35, v[35:36]
	scratch_store_b64 off, v[7:8], off offset:60 ; 8-byte Folded Spill
	v_add_f64 v[7:8], v[170:171], v[43:44]
	scratch_store_b64 off, v[7:8], off offset:116 ; 8-byte Folded Spill
	ds_load_b128 v[174:177], v4 offset:6144
	ds_load_b128 v[178:181], v4 offset:7168
	s_waitcnt lgkmcnt(1)
	v_add_f64 v[4:5], v[176:177], v[45:46]
	scratch_store_b64 off, v[4:5], off offset:92 ; 8-byte Folded Spill
	v_add_f64 v[4:5], v[174:175], v[43:44]
	scratch_store_b64 off, v[4:5], off offset:140 ; 8-byte Folded Spill
	s_waitcnt lgkmcnt(0)
	v_add_f64 v[4:5], v[180:181], v[45:46]
	scratch_store_b64 off, v[4:5], off offset:68 ; 8-byte Folded Spill
	v_add_f64 v[4:5], v[178:179], v[43:44]
	scratch_store_b64 off, v[4:5], off offset:124 ; 8-byte Folded Spill
	;; [unrolled: 2-line block ×17, first 2 shown]
	ds_load_b128 v[182:185], v65 offset:16896
	ds_load_b128 v[186:189], v65 offset:17152
	s_waitcnt lgkmcnt(1)
	v_add_f64 v[4:5], v[176:177], v[184:185]
	v_add_f64 v[75:76], v[2:3], v[184:185]
	;; [unrolled: 1-line block ×15, first 2 shown]
	s_waitcnt lgkmcnt(0)
	v_add_f64 v[60:61], v[2:3], v[188:189]
	v_add_f64 v[150:151], v[0:1], v[186:187]
	;; [unrolled: 1-line block ×16, first 2 shown]
	scratch_store_b64 off, v[4:5], off offset:276 ; 8-byte Folded Spill
	v_add_f64 v[4:5], v[180:181], v[184:185]
	v_cvt_f32_f64_e32 v31, v[31:32]
	v_cvt_f32_f64_e32 v32, v[75:76]
	scratch_store_b64 off, v[4:5], off offset:268 ; 8-byte Folded Spill
	ds_load_b128 v[182:185], v65 offset:17408
	ds_load_b128 v[186:189], v65 offset:17664
	v_min3_f32 v6, v31, v32, v6
	v_cvt_f32_f64_e32 v31, v[85:86]
	v_cvt_f32_f64_e32 v32, v[83:84]
	s_waitcnt lgkmcnt(1)
	v_add_f64 v[218:219], v[2:3], v[184:185]
	s_waitcnt lgkmcnt(0)
	v_add_f64 v[254:255], v[156:157], v[188:189]
	v_add_f64 v[7:8], v[154:155], v[186:187]
	;; [unrolled: 1-line block ×31, first 2 shown]
	ds_load_b128 v[182:185], v65 offset:17920
	ds_load_b128 v[186:189], v65 offset:18176
	scratch_load_b64 v[29:30], off, off offset:100 ; 8-byte Folded Reload
	v_min3_f32 v241, v31, v32, v241
	v_cvt_f32_f64_e32 v31, v[89:90]
	v_cvt_f32_f64_e32 v32, v[87:88]
	;; [unrolled: 1-line block ×4, first 2 shown]
	s_waitcnt lgkmcnt(1)
	v_add_f64 v[65:66], v[2:3], v[184:185]
	v_add_f64 v[67:68], v[0:1], v[182:183]
	s_waitcnt lgkmcnt(0)
	v_add_f64 v[2:3], v[2:3], v[188:189]
	v_add_f64 v[0:1], v[0:1], v[186:187]
	;; [unrolled: 1-line block ×21, first 2 shown]
	v_min3_f32 v240, v31, v32, v240
	v_cvt_f32_f64_e32 v31, v[93:94]
	v_cvt_f32_f64_e32 v32, v[91:92]
	v_add_f64 v[170:171], v[170:171], v[186:187]
	v_add_f64 v[81:82], v[176:177], v[184:185]
	v_min3_f32 v246, v7, v8, v246
	v_cvt_f32_f64_e32 v7, v[27:28]
	v_cvt_f32_f64_e32 v8, v[37:38]
	v_add_f64 v[77:78], v[174:175], v[182:183]
	v_add_f64 v[176:177], v[176:177], v[188:189]
	v_add_f64 v[174:175], v[174:175], v[186:187]
	v_add_f64 v[184:185], v[180:181], v[184:185]
	v_add_f64 v[182:183], v[178:179], v[182:183]
	v_add_f64 v[180:181], v[180:181], v[188:189]
	v_add_f64 v[178:179], v[178:179], v[186:187]
	v_cvt_f32_f64_e32 v0, v[0:1]
	v_cvt_f32_f64_e32 v1, v[2:3]
	scratch_load_b32 v2, off, off offset:8  ; 4-byte Folded Reload
	v_min3_f32 v42, v31, v32, v42
	v_cvt_f32_f64_e32 v31, v[97:98]
	v_cvt_f32_f64_e32 v32, v[95:96]
	v_min3_f32 v243, v7, v8, v243
	v_cvt_f32_f64_e32 v7, v[4:5]
	v_cvt_f32_f64_e32 v4, v[33:34]
	;; [unrolled: 1-line block ×3, first 2 shown]
	v_min3_f32 v41, v31, v32, v41
	v_cvt_f32_f64_e32 v31, v[101:102]
	v_cvt_f32_f64_e32 v32, v[99:100]
	v_min3_f32 v234, v7, v4, v234
	scratch_load_b32 v7, off, off offset:28 ; 4-byte Folded Reload
	v_cvt_f32_f64_e32 v4, v[105:106]
	v_min3_f32 v62, v31, v32, v62
	v_cvt_f32_f64_e32 v31, v[73:74]
	s_waitcnt vmcnt(1)
	v_min3_f32 v2, v0, v1, v2
	v_cvt_f32_f64_e32 v0, v[154:155]
	v_cvt_f32_f64_e32 v1, v[156:157]
	scratch_store_b32 off, v2, off offset:8 ; 4-byte Folded Spill
	scratch_load_b32 v2, off, off offset:4  ; 4-byte Folded Reload
	v_min3_f32 v119, v0, v1, v119
	v_cvt_f32_f64_e32 v0, v[158:159]
	v_cvt_f32_f64_e32 v1, v[160:161]
	s_waitcnt vmcnt(1)
	v_min3_f32 v7, v4, v5, v7
	v_cvt_f32_f64_e32 v4, v[107:108]
	v_cvt_f32_f64_e32 v5, v[192:193]
	scratch_store_b32 off, v7, off offset:28 ; 4-byte Folded Spill
	scratch_load_b32 v7, off, off offset:24 ; 4-byte Folded Reload
	v_cvt_f32_f64_e32 v63, v[29:30]
	scratch_load_b64 v[29:30], off, off offset:44 ; 8-byte Folded Reload
	v_min3_f32 v126, v0, v1, v126
	v_cvt_f32_f64_e32 v0, v[162:163]
	v_cvt_f32_f64_e32 v1, v[164:165]
	v_min3_f32 v238, v4, v5, v238
	v_cvt_f32_f64_e32 v4, v[23:24]
	v_cvt_f32_f64_e32 v5, v[21:22]
	s_delay_alu instid0(VALU_DEP_4) | instskip(SKIP_3) | instid1(VALU_DEP_1)
	v_min3_f32 v118, v0, v1, v118
	v_cvt_f32_f64_e32 v0, v[166:167]
	v_cvt_f32_f64_e32 v1, v[168:169]
	s_waitcnt vmcnt(2)
	v_min3_f32 v2, v0, v1, v2
	v_cvt_f32_f64_e32 v0, v[170:171]
	v_cvt_f32_f64_e32 v1, v[172:173]
	scratch_store_b32 off, v2, off offset:4 ; 4-byte Folded Spill
	scratch_load_b32 v2, off, off           ; 4-byte Folded Reload
	v_min3_f32 v248, v0, v1, v248
	v_cvt_f32_f64_e32 v0, v[174:175]
	v_cvt_f32_f64_e32 v1, v[176:177]
	s_waitcnt vmcnt(2)
	v_min3_f32 v7, v4, v5, v7
	v_cvt_f32_f64_e32 v4, v[109:110]
	v_cvt_f32_f64_e32 v5, v[25:26]
	scratch_store_b32 off, v7, off offset:24 ; 4-byte Folded Spill
	scratch_load_b32 v7, off, off offset:20 ; 4-byte Folded Reload
	s_waitcnt vmcnt(2)
	v_cvt_f32_f64_e32 v64, v[29:30]
	scratch_load_b64 v[29:30], off, off offset:132 ; 8-byte Folded Reload
	v_min3_f32 v247, v0, v1, v247
	v_cvt_f32_f64_e32 v0, v[178:179]
	v_cvt_f32_f64_e32 v1, v[180:181]
	v_min3_f32 v196, v4, v5, v196
	v_cvt_f32_f64_e32 v4, v[67:68]
	v_cvt_f32_f64_e32 v5, v[65:66]
	v_min3_f32 v141, v63, v64, v141
	s_delay_alu instid0(VALU_DEP_2)
	v_min3_f32 v79, v4, v5, v79
	v_cvt_f32_f64_e32 v4, v[113:114]
	v_cvt_f32_f64_e32 v5, v[111:112]
	s_waitcnt vmcnt(2)
	v_min3_f32 v2, v0, v1, v2
	scratch_store_b32 off, v2, off          ; 4-byte Folded Spill
	s_waitcnt vmcnt(1)
	v_min3_f32 v7, v4, v5, v7
	v_cvt_f32_f64_e32 v4, v[128:129]
	s_waitcnt vmcnt(0)
	v_cvt_f32_f64_e32 v63, v[29:30]
	scratch_load_b64 v[29:30], off, off offset:76 ; 8-byte Folded Reload
	v_cvt_f32_f64_e32 v5, v[115:116]
	scratch_store_b32 off, v7, off offset:20 ; 4-byte Folded Spill
	scratch_load_b32 v7, off, off offset:12 ; 4-byte Folded Reload
	v_min3_f32 v127, v4, v5, v127
	v_cvt_f32_f64_e32 v4, v[138:139]
	v_cvt_f32_f64_e32 v5, v[11:12]
	s_delay_alu instid0(VALU_DEP_1)
	v_min3_f32 v125, v4, v5, v125
	v_cvt_f32_f64_e32 v4, v[9:10]
	v_cvt_f32_f64_e32 v5, v[13:14]
	s_waitcnt vmcnt(1)
	v_cvt_f32_f64_e32 v64, v[29:30]
	scratch_load_b64 v[29:30], off, off offset:108 ; 8-byte Folded Reload
	s_waitcnt vmcnt(1)
	v_min3_f32 v7, v4, v5, v7
	v_cvt_f32_f64_e32 v4, v[130:131]
	v_cvt_f32_f64_e32 v5, v[17:18]
	scratch_store_b32 off, v7, off offset:12 ; 4-byte Folded Spill
	scratch_load_b32 v7, off, off offset:16 ; 4-byte Folded Reload
	v_min3_f32 v140, v63, v64, v140
	v_min3_f32 v123, v4, v5, v123
	v_cvt_f32_f64_e32 v4, v[77:78]
	v_cvt_f32_f64_e32 v5, v[81:82]
	s_waitcnt vmcnt(1)
	v_cvt_f32_f64_e32 v63, v[29:30]
	scratch_load_b64 v[29:30], off, off offset:52 ; 8-byte Folded Reload
	s_waitcnt vmcnt(1)
	v_min3_f32 v7, v4, v5, v7
	v_cvt_f32_f64_e32 v4, v[182:183]
	v_cvt_f32_f64_e32 v5, v[184:185]
	scratch_store_b32 off, v7, off offset:16 ; 4-byte Folded Spill
	v_min3_f32 v121, v4, v5, v121
	s_waitcnt vmcnt(0)
	v_cvt_f32_f64_e32 v64, v[29:30]
	scratch_load_b64 v[29:30], off, off offset:84 ; 8-byte Folded Reload
	v_min3_f32 v137, v63, v64, v137
	s_waitcnt vmcnt(0)
	v_cvt_f32_f64_e32 v40, v[29:30]
	scratch_load_b64 v[29:30], off, off offset:116 ; 8-byte Folded Reload
	;; [unrolled: 4-line block ×3, first 2 shown]
	s_waitcnt vmcnt(0)
	v_cvt_f32_f64_e32 v40, v[29:30]
	scratch_load_b64 v[29:30], off, off offset:140 ; 8-byte Folded Reload
	v_min3_f32 v133, v39, v40, v133
	s_waitcnt vmcnt(0)
	v_cvt_f32_f64_e32 v39, v[29:30]
	scratch_load_b64 v[29:30], off, off offset:92 ; 8-byte Folded Reload
	s_waitcnt vmcnt(0)
	v_cvt_f32_f64_e32 v40, v[29:30]
	scratch_load_b64 v[29:30], off, off offset:124 ; 8-byte Folded Reload
	v_min3_f32 v197, v39, v40, v197
	s_waitcnt vmcnt(0)
	v_cvt_f32_f64_e32 v39, v[29:30]
	scratch_load_b64 v[29:30], off, off offset:68 ; 8-byte Folded Reload
	;; [unrolled: 7-line block ×8, first 2 shown]
	v_min3_f32 v120, v35, v36, v120
	s_waitcnt vmcnt(0)
	v_cvt_f32_f64_e32 v35, v[29:30]
	scratch_load_b64 v[29:30], off, off offset:236 ; 8-byte Folded Reload
	s_waitcnt vmcnt(0)
	v_cvt_f32_f64_e32 v36, v[29:30]
	scratch_load_b64 v[29:30], off, off offset:260 ; 8-byte Folded Reload
	v_min3_f32 v249, v35, v36, v249
	s_waitcnt vmcnt(0)
	v_cvt_f32_f64_e32 v35, v[29:30]
	scratch_load_b64 v[29:30], off, off offset:252 ; 8-byte Folded Reload
	s_waitcnt vmcnt(0)
	v_cvt_f32_f64_e32 v36, v[29:30]
	scratch_load_b64 v[29:30], off, off offset:276 ; 8-byte Folded Reload
	v_min3_f32 v239, v35, v36, v239
	s_waitcnt vmcnt(0)
	v_cvt_f32_f64_e32 v32, v[29:30]
	scratch_load_b64 v[29:30], off, off offset:268 ; 8-byte Folded Reload
	v_min3_f32 v51, v31, v32, v51
	v_cvt_f32_f64_e32 v31, v[103:104]
	s_waitcnt vmcnt(0)
	v_cvt_f32_f64_e32 v32, v[29:30]
	v_cvt_f32_f64_e32 v29, v[58:59]
	;; [unrolled: 1-line block ×3, first 2 shown]
	s_delay_alu instid0(VALU_DEP_3) | instskip(SKIP_2) | instid1(VALU_DEP_1)
	v_min3_f32 v144, v31, v32, v144
	v_cvt_f32_f64_e32 v31, v[150:151]
	v_cvt_f32_f64_e32 v32, v[60:61]
	v_min3_f32 v143, v31, v32, v143
	v_cvt_f32_f64_e32 v31, v[190:191]
	v_cvt_f32_f64_e32 v32, v[152:153]
	s_delay_alu instid0(VALU_DEP_1) | instskip(SKIP_1) | instid1(VALU_DEP_1)
	v_min3_f32 v136, v31, v32, v136
	v_cvt_f32_f64_e32 v31, v[194:195]
	v_min3_f32 v149, v31, v29, v149
	v_cvt_f32_f64_e32 v29, v[200:201]
	s_delay_alu instid0(VALU_DEP_1) | instskip(SKIP_2) | instid1(VALU_DEP_1)
	v_min3_f32 v148, v29, v30, v148
	v_cvt_f32_f64_e32 v29, v[204:205]
	v_cvt_f32_f64_e32 v30, v[202:203]
	v_min3_f32 v146, v29, v30, v146
	v_cvt_f32_f64_e32 v29, v[208:209]
	v_cvt_f32_f64_e32 v30, v[206:207]
	s_delay_alu instid0(VALU_DEP_1)
	v_min3_f32 v145, v29, v30, v145
	v_cvt_f32_f64_e32 v29, v[212:213]
	v_cvt_f32_f64_e32 v30, v[210:211]
	scratch_load_b32 v212, off, off offset:36 ; 4-byte Folded Reload
	v_min3_f32 v72, v29, v30, v72
	v_cvt_f32_f64_e32 v29, v[216:217]
	v_cvt_f32_f64_e32 v30, v[214:215]
	s_delay_alu instid0(VALU_DEP_1) | instskip(SKIP_2) | instid1(VALU_DEP_1)
	v_min3_f32 v71, v29, v30, v71
	v_cvt_f32_f64_e32 v29, v[220:221]
	v_cvt_f32_f64_e32 v30, v[218:219]
	v_min3_f32 v70, v29, v30, v70
	v_cvt_f32_f64_e32 v29, v[224:225]
	v_cvt_f32_f64_e32 v30, v[222:223]
	s_delay_alu instid0(VALU_DEP_1) | instskip(SKIP_2) | instid1(VALU_DEP_1)
	v_min3_f32 v69, v29, v30, v69
	v_cvt_f32_f64_e32 v29, v[228:229]
	v_cvt_f32_f64_e32 v30, v[226:227]
	v_min3_f32 v147, v29, v30, v147
	v_cvt_f32_f64_e32 v30, v[15:16]
	scratch_load_b32 v16, off, off offset:32 ; 4-byte Folded Reload
	v_cvt_f32_f64_e32 v29, v[232:233]
	v_cvt_f32_f64_e32 v15, v[49:50]
	s_delay_alu instid0(VALU_DEP_2) | instskip(SKIP_2) | instid1(VALU_DEP_1)
	v_min3_f32 v231, v29, v30, v231
	v_cvt_f32_f64_e32 v29, v[236:237]
	v_cvt_f32_f64_e32 v30, v[47:48]
	v_min3_f32 v135, v29, v30, v135
	v_cvt_f32_f64_e32 v29, v[43:44]
	s_waitcnt vmcnt(0)
	s_delay_alu instid0(VALU_DEP_1) | instskip(SKIP_3) | instid1(VALU_DEP_1)
	v_min3_f32 v16, v29, v15, v16
	v_cvt_f32_f64_e32 v15, v[45:46]
	scratch_store_b32 off, v16, off offset:32 ; 4-byte Folded Spill
	v_cvt_f32_f64_e32 v16, v[54:55]
	v_min3_f32 v134, v15, v16, v134
	v_cvt_f32_f64_e32 v15, v[52:53]
	v_cvt_f32_f64_e32 v16, v[56:57]
	s_delay_alu instid0(VALU_DEP_1) | instskip(SKIP_2) | instid1(VALU_DEP_1)
	v_min3_f32 v132, v15, v16, v132
	v_cvt_f32_f64_e32 v15, v[252:253]
	v_cvt_f32_f64_e32 v16, v[250:251]
	v_min3_f32 v244, v15, v16, v244
	s_cbranch_vccz .LBB157_15
; %bb.16:                               ;   in Loop: Header=BB157_12 Depth=1
	s_clause 0x2
	scratch_load_b32 v0, off, off offset:388
	scratch_load_b64 v[1:2], off, off offset:284
	scratch_load_b64 v[3:4], off, off offset:312
	v_mov_b32_e32 v233, v135
	v_dual_mov_b32 v219, v244 :: v_dual_mov_b32 v218, v243
	s_add_i32 s14, s14, 8
	s_add_i32 s13, s13, 8
	s_cmp_ge_i32 s14, s12
	s_waitcnt vmcnt(0)
	ds_store_2addr_stride64_b64 v0, v[1:2], v[3:4] offset1:4
	s_clause 0x1
	scratch_load_b64 v[1:2], off, off offset:320
	scratch_load_b64 v[3:4], off, off offset:328
	s_waitcnt vmcnt(0)
	ds_store_2addr_stride64_b64 v0, v[1:2], v[3:4] offset0:8 offset1:12
	s_clause 0x1
	scratch_load_b32 v0, off, off offset:392
	scratch_load_b64 v[1:2], off, off offset:304
	s_waitcnt vmcnt(0)
	ds_store_b64 v0, v[1:2]
	s_waitcnt lgkmcnt(0)
	s_waitcnt_vscnt null, 0x0
	s_barrier
	buffer_gl0_inv
	s_cbranch_scc1 .LBB157_19
; %bb.17:                               ;   in Loop: Header=BB157_12 Depth=1
	s_clause 0x2
	scratch_load_b32 v135, off, off offset:292
	scratch_load_b32 v232, off, off offset:396
	scratch_load_b64 v[4:5], off, off offset:352
	v_mov_b32_e32 v52, v62
	s_branch .LBB157_12
.LBB157_18:
	v_dual_mov_b32 v148, v202 :: v_dual_mov_b32 v147, v117
	s_branch .LBB157_20
.LBB157_19:
	v_mov_b32_e32 v220, v134
	v_mov_b32_e32 v244, v145
	;; [unrolled: 1-line block ×3, first 2 shown]
.LBB157_20:
	v_dual_mov_b32 v106, v241 :: v_dual_mov_b32 v135, v146
	v_dual_mov_b32 v110, v42 :: v_dual_mov_b32 v57, v51
	s_delay_alu instid0(VALU_DEP_3)
	v_dual_mov_b32 v58, v52 :: v_dual_mov_b32 v59, v41
	v_dual_mov_b32 v56, v144 :: v_dual_mov_b32 v229, v231
	;; [unrolled: 1-line block ×6, first 2 shown]
	v_mov_b32_e32 v76, v136
	v_mov_b32_e32 v136, v143
	s_mov_b32 s13, 0
	s_mov_b32 s12, -1
.LBB157_21:                             ; =>This Inner Loop Header: Depth=1
	scratch_load_b32 v0, off, off offset:292 ; 4-byte Folded Reload
	s_lshl_b32 s13, s13, 3
	v_dual_mov_b32 v81, v118 :: v_dual_mov_b32 v250, v196
	v_lshl_add_u32 v4, v212, 5, s13
	v_mov_b32_e32 v37, v119
	v_mov_b32_e32 v49, v238
	;; [unrolled: 1-line block ×3, first 2 shown]
	s_and_not1_b32 vcc_lo, exec_lo, s12
	s_mov_b32 s12, 0
	s_waitcnt vmcnt(0)
	v_lshl_add_u32 v5, v0, 5, s13
	s_mov_b32 s13, 2
	ds_load_b128 v[32:35], v4 offset:18432
	ds_load_b128 v[0:3], v5 offset:8192
	;; [unrolled: 1-line block ×4, first 2 shown]
	s_waitcnt lgkmcnt(2)
	v_add_f64 v[64:65], v[0:1], v[32:33]
	s_waitcnt lgkmcnt(1)
	v_add_f64 v[7:8], v[84:85], v[34:35]
	v_add_f64 v[62:63], v[2:3], v[34:35]
	scratch_store_b64 off, v[7:8], off offset:44 ; 8-byte Folded Spill
	v_add_f64 v[7:8], v[82:83], v[32:33]
	v_cvt_f32_f64_e32 v62, v[62:63]
	scratch_store_b64 off, v[7:8], off offset:100 ; 8-byte Folded Spill
	ds_load_b128 v[72:75], v5 offset:10240
	ds_load_b128 v[143:146], v5 offset:11264
	s_waitcnt lgkmcnt(1)
	v_add_f64 v[7:8], v[74:75], v[34:35]
	scratch_store_b64 off, v[7:8], off offset:76 ; 8-byte Folded Spill
	v_add_f64 v[7:8], v[72:73], v[32:33]
	scratch_store_b64 off, v[7:8], off offset:132 ; 8-byte Folded Spill
	s_waitcnt lgkmcnt(0)
	v_add_f64 v[7:8], v[145:146], v[34:35]
	scratch_store_b64 off, v[7:8], off offset:52 ; 8-byte Folded Spill
	v_add_f64 v[7:8], v[143:144], v[32:33]
	scratch_store_b64 off, v[7:8], off offset:108 ; 8-byte Folded Spill
	ds_load_b128 v[147:150], v5 offset:12288
	ds_load_b128 v[151:154], v5 offset:13312
	s_waitcnt lgkmcnt(1)
	v_add_f64 v[7:8], v[149:150], v[34:35]
	scratch_store_b64 off, v[7:8], off offset:84 ; 8-byte Folded Spill
	v_add_f64 v[7:8], v[147:148], v[32:33]
	scratch_store_b64 off, v[7:8], off offset:140 ; 8-byte Folded Spill
	s_waitcnt lgkmcnt(0)
	v_add_f64 v[7:8], v[153:154], v[34:35]
	scratch_store_b64 off, v[7:8], off offset:60 ; 8-byte Folded Spill
	v_add_f64 v[7:8], v[151:152], v[32:33]
	;; [unrolled: 12-line block ×3, first 2 shown]
	v_add_f64 v[31:32], v[155:156], v[68:69]
	v_cvt_f32_f64_e32 v33, v[64:65]
	scratch_store_b64 off, v[7:8], off offset:124 ; 8-byte Folded Spill
	v_add_f64 v[7:8], v[2:3], v[70:71]
	v_min3_f32 v142, v33, v62, v142
	scratch_store_b64 off, v[7:8], off offset:156 ; 8-byte Folded Spill
	v_add_f64 v[7:8], v[0:1], v[68:69]
	scratch_store_b64 off, v[7:8], off offset:164 ; 8-byte Folded Spill
	v_add_f64 v[7:8], v[84:85], v[70:71]
	;; [unrolled: 2-line block ×14, first 2 shown]
	scratch_store_b64 off, v[7:8], off offset:268 ; 8-byte Folded Spill
	ds_load_b128 v[68:71], v4 offset:18944
	ds_load_b128 v[163:166], v4 offset:19200
	s_waitcnt lgkmcnt(1)
	v_add_f64 v[7:8], v[153:154], v[70:71]
	v_add_f64 v[86:87], v[2:3], v[70:71]
	;; [unrolled: 1-line block ×14, first 2 shown]
	s_waitcnt lgkmcnt(0)
	v_add_f64 v[114:115], v[2:3], v[165:166]
	v_add_f64 v[116:117], v[0:1], v[163:164]
	;; [unrolled: 1-line block ×16, first 2 shown]
	scratch_store_b64 off, v[7:8], off offset:296 ; 8-byte Folded Spill
	v_add_f64 v[7:8], v[157:158], v[70:71]
	scratch_store_b64 off, v[7:8], off offset:284 ; 8-byte Folded Spill
	v_add_f64 v[7:8], v[161:162], v[70:71]
	scratch_store_b64 off, v[7:8], off offset:276 ; 8-byte Folded Spill
	ds_load_b128 v[68:71], v4 offset:19456
	ds_load_b128 v[163:166], v4 offset:19712
	s_waitcnt lgkmcnt(1)
	v_add_f64 v[187:188], v[2:3], v[70:71]
	v_add_f64 v[189:190], v[0:1], v[68:69]
	;; [unrolled: 1-line block ×16, first 2 shown]
	s_waitcnt lgkmcnt(0)
	v_add_f64 v[52:53], v[2:3], v[165:166]
	v_add_f64 v[221:222], v[0:1], v[163:164]
	;; [unrolled: 1-line block ×16, first 2 shown]
	ds_load_b128 v[68:71], v4 offset:19968
	ds_load_b128 v[163:166], v4 offset:20224
	s_clause 0x1
	scratch_load_b64 v[33:34], off, off offset:100
	scratch_load_b64 v[62:63], off, off offset:44
	s_waitcnt lgkmcnt(1)
	v_add_f64 v[253:254], v[2:3], v[70:71]
	v_add_f64 v[4:5], v[0:1], v[68:69]
	s_waitcnt lgkmcnt(0)
	v_add_f64 v[2:3], v[2:3], v[165:166]
	v_add_f64 v[0:1], v[0:1], v[163:164]
	;; [unrolled: 1-line block ×30, first 2 shown]
	v_cvt_f32_f64_e32 v4, v[4:5]
	v_cvt_f32_f64_e32 v5, v[253:254]
	;; [unrolled: 1-line block ×4, first 2 shown]
	s_delay_alu instid0(VALU_DEP_3)
	v_min3_f32 v79, v4, v5, v79
	v_cvt_f32_f64_e32 v4, v[7:8]
	v_cvt_f32_f64_e32 v5, v[11:12]
	s_waitcnt vmcnt(1)
	v_cvt_f32_f64_e32 v33, v[33:34]
	s_waitcnt vmcnt(0)
	v_cvt_f32_f64_e32 v62, v[62:63]
	s_delay_alu instid0(VALU_DEP_1)
	v_min3_f32 v141, v33, v62, v141
	s_clause 0x1
	scratch_load_b64 v[33:34], off, off offset:132
	scratch_load_b64 v[62:63], off, off offset:76
	s_waitcnt vmcnt(1)
	v_cvt_f32_f64_e32 v33, v[33:34]
	s_waitcnt vmcnt(0)
	v_cvt_f32_f64_e32 v62, v[62:63]
	s_delay_alu instid0(VALU_DEP_1)
	v_min3_f32 v140, v33, v62, v140
	s_clause 0x1
	scratch_load_b64 v[33:34], off, off offset:108
	scratch_load_b64 v[62:63], off, off offset:52
	;; [unrolled: 9-line block ×7, first 2 shown]
	s_waitcnt vmcnt(1)
	v_cvt_f32_f64_e32 v33, v[33:34]
	s_waitcnt vmcnt(0)
	v_cvt_f32_f64_e32 v34, v[62:63]
	scratch_load_b64 v[62:63], off, off offset:172 ; 8-byte Folded Reload
	v_min3_f32 v245, v33, v34, v245
	scratch_load_b64 v[33:34], off, off offset:180 ; 8-byte Folded Reload
	s_waitcnt vmcnt(0)
	v_cvt_f32_f64_e32 v33, v[33:34]
	v_cvt_f32_f64_e32 v34, v[62:63]
	scratch_load_b64 v[62:63], off, off offset:188 ; 8-byte Folded Reload
	v_min3_f32 v124, v33, v34, v124
	scratch_load_b64 v[33:34], off, off offset:196 ; 8-byte Folded Reload
	s_waitcnt vmcnt(0)
	v_cvt_f32_f64_e32 v33, v[33:34]
	;; [unrolled: 6-line block ×4, first 2 shown]
	v_cvt_f32_f64_e32 v34, v[62:63]
	s_delay_alu instid0(VALU_DEP_1)
	v_min3_f32 v80, v33, v34, v80
	s_clause 0x3
	scratch_load_b64 v[33:34], off, off offset:244
	scratch_load_b32 v62, off, off offset:32
	scratch_load_b64 v[63:64], off, off offset:236
	scratch_load_b32 v42, off, off offset:8
	s_waitcnt vmcnt(3)
	v_cvt_f32_f64_e32 v33, v[33:34]
	s_waitcnt vmcnt(1)
	v_cvt_f32_f64_e32 v34, v[63:64]
	s_delay_alu instid0(VALU_DEP_1)
	v_min3_f32 v120, v33, v34, v120
	v_cvt_f32_f64_e32 v33, v[31:32]
	s_clause 0x1
	scratch_load_b64 v[31:32], off, off offset:252
	scratch_load_b32 v34, off, off offset:28
	s_waitcnt vmcnt(1)
	v_cvt_f32_f64_e32 v31, v[31:32]
	s_delay_alu instid0(VALU_DEP_1)
	v_min3_f32 v249, v33, v31, v249
	scratch_load_b64 v[31:32], off, off offset:268 ; 8-byte Folded Reload
	s_waitcnt vmcnt(0)
	v_cvt_f32_f64_e32 v31, v[31:32]
	scratch_load_b64 v[32:33], off, off offset:260 ; 8-byte Folded Reload
	s_waitcnt vmcnt(0)
	v_cvt_f32_f64_e32 v32, v[32:33]
	s_delay_alu instid0(VALU_DEP_1) | instskip(SKIP_2) | instid1(VALU_DEP_1)
	v_min3_f32 v239, v31, v32, v239
	v_cvt_f32_f64_e32 v31, v[128:129]
	v_cvt_f32_f64_e32 v32, v[86:87]
	v_min3_f32 v6, v31, v32, v6
	v_cvt_f32_f64_e32 v31, v[88:89]
	v_cvt_f32_f64_e32 v32, v[90:91]
	s_delay_alu instid0(VALU_DEP_1) | instskip(SKIP_2) | instid1(VALU_DEP_1)
	v_min3_f32 v106, v31, v32, v106
	v_cvt_f32_f64_e32 v31, v[92:93]
	v_cvt_f32_f64_e32 v32, v[94:95]
	v_min3_f32 v111, v31, v32, v111
	v_cvt_f32_f64_e32 v31, v[96:97]
	v_cvt_f32_f64_e32 v32, v[98:99]
	s_delay_alu instid0(VALU_DEP_1) | instskip(SKIP_2) | instid1(VALU_DEP_1)
	v_min3_f32 v110, v31, v32, v110
	v_cvt_f32_f64_e32 v31, v[100:101]
	v_cvt_f32_f64_e32 v32, v[102:103]
	v_min3_f32 v59, v31, v32, v59
	scratch_load_b64 v[32:33], off, off offset:296 ; 8-byte Folded Reload
	v_cvt_f32_f64_e32 v31, v[104:105]
	s_waitcnt vmcnt(0)
	v_cvt_f32_f64_e32 v32, v[32:33]
	s_delay_alu instid0(VALU_DEP_1) | instskip(SKIP_4) | instid1(VALU_DEP_1)
	v_min3_f32 v58, v31, v32, v58
	scratch_load_b64 v[32:33], off, off offset:284 ; 8-byte Folded Reload
	v_cvt_f32_f64_e32 v31, v[108:109]
	s_waitcnt vmcnt(0)
	v_cvt_f32_f64_e32 v32, v[32:33]
	v_min3_f32 v57, v31, v32, v57
	scratch_load_b64 v[32:33], off, off offset:276 ; 8-byte Folded Reload
	v_cvt_f32_f64_e32 v31, v[112:113]
	s_waitcnt vmcnt(0)
	v_cvt_f32_f64_e32 v32, v[32:33]
	s_delay_alu instid0(VALU_DEP_1) | instskip(SKIP_2) | instid1(VALU_DEP_1)
	v_min3_f32 v56, v31, v32, v56
	v_cvt_f32_f64_e32 v31, v[116:117]
	v_cvt_f32_f64_e32 v32, v[114:115]
	v_min3_f32 v136, v31, v32, v136
	v_cvt_f32_f64_e32 v31, v[240:241]
	v_cvt_f32_f64_e32 v32, v[118:119]
	v_mov_b32_e32 v118, v81
	v_mov_b32_e32 v119, v37
	scratch_load_b32 v37, off, off offset:16 ; 4-byte Folded Reload
	v_min3_f32 v76, v31, v32, v76
	v_cvt_f32_f64_e32 v31, v[138:139]
	v_cvt_f32_f64_e32 v32, v[66:67]
	s_delay_alu instid0(VALU_DEP_1) | instskip(SKIP_2) | instid1(VALU_DEP_1)
	v_min3_f32 v55, v31, v32, v55
	v_cvt_f32_f64_e32 v31, v[169:170]
	v_cvt_f32_f64_e32 v32, v[167:168]
	v_min3_f32 v54, v31, v32, v54
	v_cvt_f32_f64_e32 v31, v[173:174]
	v_cvt_f32_f64_e32 v32, v[171:172]
	s_delay_alu instid0(VALU_DEP_1) | instskip(SKIP_2) | instid1(VALU_DEP_1)
	v_min3_f32 v135, v31, v32, v135
	v_cvt_f32_f64_e32 v31, v[177:178]
	v_cvt_f32_f64_e32 v32, v[175:176]
	v_min3_f32 v244, v31, v32, v244
	v_cvt_f32_f64_e32 v31, v[181:182]
	v_cvt_f32_f64_e32 v32, v[179:180]
	s_delay_alu instid0(VALU_DEP_1) | instskip(SKIP_2) | instid1(VALU_DEP_1)
	v_min3_f32 v243, v31, v32, v243
	v_cvt_f32_f64_e32 v31, v[185:186]
	v_cvt_f32_f64_e32 v32, v[183:184]
	v_min3_f32 v61, v31, v32, v61
	v_cvt_f32_f64_e32 v31, v[189:190]
	v_cvt_f32_f64_e32 v32, v[187:188]
	s_delay_alu instid0(VALU_DEP_1) | instskip(SKIP_2) | instid1(VALU_DEP_1)
	v_min3_f32 v60, v31, v32, v60
	v_cvt_f32_f64_e32 v31, v[193:194]
	v_cvt_f32_f64_e32 v32, v[191:192]
	v_min3_f32 v134, v31, v32, v134
	v_cvt_f32_f64_e32 v31, v[45:46]
	v_cvt_f32_f64_e32 v32, v[195:196]
	v_mov_b32_e32 v196, v250
	s_delay_alu instid0(VALU_DEP_2) | instskip(SKIP_2) | instid1(VALU_DEP_1)
	v_min3_f32 v236, v31, v32, v236
	v_cvt_f32_f64_e32 v31, v[201:202]
	v_cvt_f32_f64_e32 v32, v[199:200]
	v_min3_f32 v229, v31, v32, v229
	v_cvt_f32_f64_e32 v31, v[205:206]
	v_cvt_f32_f64_e32 v32, v[203:204]
	s_delay_alu instid0(VALU_DEP_1) | instskip(SKIP_2) | instid1(VALU_DEP_1)
	v_min3_f32 v233, v31, v32, v233
	v_cvt_f32_f64_e32 v31, v[209:210]
	v_cvt_f32_f64_e32 v32, v[207:208]
	v_min3_f32 v62, v31, v32, v62
	v_cvt_f32_f64_e32 v31, v[213:214]
	v_cvt_f32_f64_e32 v32, v[211:212]
	s_clause 0x1
	scratch_load_b32 v212, off, off offset:36
	scratch_load_b32 v33, off, off offset:24
	v_min3_f32 v220, v31, v32, v220
	v_cvt_f32_f64_e32 v31, v[217:218]
	v_cvt_f32_f64_e32 v32, v[215:216]
	v_mov_b32_e32 v218, v107
	s_delay_alu instid0(VALU_DEP_2) | instskip(SKIP_2) | instid1(VALU_DEP_1)
	v_min3_f32 v132, v31, v32, v132
	v_cvt_f32_f64_e32 v31, v[221:222]
	v_cvt_f32_f64_e32 v32, v[52:53]
	v_min3_f32 v219, v31, v32, v219
	v_cvt_f32_f64_e32 v31, v[225:226]
	v_cvt_f32_f64_e32 v32, v[223:224]
	s_delay_alu instid0(VALU_DEP_1) | instskip(SKIP_2) | instid1(VALU_DEP_1)
	v_min3_f32 v246, v31, v32, v246
	v_cvt_f32_f64_e32 v31, v[77:78]
	v_cvt_f32_f64_e32 v32, v[227:228]
	v_min3_f32 v218, v31, v32, v218
	v_cvt_f32_f64_e32 v31, v[43:44]
	scratch_load_b32 v43, off, off offset:20 ; 4-byte Folded Reload
	v_cvt_f32_f64_e32 v32, v[231:232]
	v_min3_f32 v42, v0, v1, v42
	v_cvt_f32_f64_e32 v0, v[82:83]
	v_cvt_f32_f64_e32 v1, v[84:85]
	s_delay_alu instid0(VALU_DEP_4)
	v_min3_f32 v234, v31, v32, v234
	v_cvt_f32_f64_e32 v31, v[237:238]
	v_cvt_f32_f64_e32 v32, v[50:51]
	v_mov_b32_e32 v238, v49
	v_min3_f32 v119, v0, v1, v119
	v_cvt_f32_f64_e32 v0, v[72:73]
	v_cvt_f32_f64_e32 v1, v[74:75]
	v_min3_f32 v34, v31, v32, v34
	v_cvt_f32_f64_e32 v31, v[130:131]
	v_cvt_f32_f64_e32 v32, v[40:41]
	s_delay_alu instid0(VALU_DEP_4) | instskip(SKIP_2) | instid1(VALU_DEP_4)
	v_min3_f32 v126, v0, v1, v126
	v_cvt_f32_f64_e32 v0, v[143:144]
	v_cvt_f32_f64_e32 v1, v[145:146]
	v_min3_f32 v238, v31, v32, v238
	v_cvt_f32_f64_e32 v31, v[35:36]
	v_cvt_f32_f64_e32 v32, v[47:48]
	s_delay_alu instid0(VALU_DEP_4) | instskip(SKIP_3) | instid1(VALU_DEP_4)
	v_min3_f32 v118, v0, v1, v118
	v_cvt_f32_f64_e32 v0, v[147:148]
	v_cvt_f32_f64_e32 v1, v[149:150]
	s_waitcnt vmcnt(1)
	v_min3_f32 v33, v31, v32, v33
	s_clause 0x1
	scratch_store_b32 off, v62, off offset:32
	scratch_store_b32 off, v34, off offset:28
	v_cvt_f32_f64_e32 v31, v[251:252]
	v_cvt_f32_f64_e32 v32, v[38:39]
	scratch_store_b32 off, v33, off offset:24 ; 4-byte Folded Spill
	s_clause 0x2
	scratch_load_b32 v35, off, off offset:12
	scratch_load_b32 v34, off, off offset:4
	scratch_load_b32 v33, off, off
	v_min3_f32 v196, v31, v32, v196
	s_waitcnt vmcnt(3)
	v_min3_f32 v43, v4, v5, v43
	v_cvt_f32_f64_e32 v4, v[9:10]
	v_cvt_f32_f64_e32 v5, v[15:16]
	s_delay_alu instid0(VALU_DEP_1) | instskip(SKIP_2) | instid1(VALU_DEP_1)
	v_min3_f32 v127, v4, v5, v127
	v_cvt_f32_f64_e32 v4, v[13:14]
	v_cvt_f32_f64_e32 v5, v[19:20]
	v_min3_f32 v125, v4, v5, v125
	v_cvt_f32_f64_e32 v4, v[17:18]
	v_cvt_f32_f64_e32 v5, v[23:24]
	s_waitcnt vmcnt(2)
	s_delay_alu instid0(VALU_DEP_1)
	v_min3_f32 v35, v4, v5, v35
	v_cvt_f32_f64_e32 v4, v[21:22]
	v_cvt_f32_f64_e32 v5, v[27:28]
	s_waitcnt vmcnt(1)
	v_min3_f32 v34, v0, v1, v34
	v_cvt_f32_f64_e32 v0, v[151:152]
	v_cvt_f32_f64_e32 v1, v[153:154]
	s_delay_alu instid0(VALU_DEP_4) | instskip(SKIP_2) | instid1(VALU_DEP_4)
	v_min3_f32 v123, v4, v5, v123
	v_cvt_f32_f64_e32 v4, v[25:26]
	v_cvt_f32_f64_e32 v5, v[29:30]
	v_min3_f32 v248, v0, v1, v248
	v_cvt_f32_f64_e32 v0, v[155:156]
	v_cvt_f32_f64_e32 v1, v[157:158]
	s_delay_alu instid0(VALU_DEP_4) | instskip(SKIP_2) | instid1(VALU_DEP_4)
	v_min3_f32 v37, v4, v5, v37
	v_cvt_f32_f64_e32 v4, v[68:69]
	v_cvt_f32_f64_e32 v5, v[70:71]
	v_min3_f32 v247, v0, v1, v247
	v_cvt_f32_f64_e32 v0, v[159:160]
	v_cvt_f32_f64_e32 v1, v[161:162]
	scratch_store_b32 off, v37, off offset:16 ; 4-byte Folded Spill
	v_min3_f32 v121, v4, v5, v121
	s_waitcnt vmcnt(0)
	v_min3_f32 v33, v0, v1, v33
	s_clause 0x4
	scratch_store_b32 off, v35, off offset:12
	scratch_store_b32 off, v43, off offset:20
	;; [unrolled: 1-line block ×4, first 2 shown]
	scratch_store_b32 off, v33, off
	s_cbranch_vccz .LBB157_21
; %bb.22:
	s_clause 0x2
	s_load_b64 s[16:17], s[0:1], 0x78
	s_load_b32 s13, s[0:1], 0x70
	s_load_b32 s12, s[0:1], 0x58
	scratch_load_b32 v0, off, off offset:292 ; 4-byte Folded Reload
	v_dual_mov_b32 v39, v55 :: v_dual_add_nc_u32 v18, s8, v212
	v_mov_b32_e32 v36, v243
	s_waitcnt lgkmcnt(0)
	s_mul_i32 s0, s15, s17
	s_mul_hi_u32 s1, s15, s16
	v_mad_i64_i32 v[4:5], null, v18, s12, 0
	s_mul_i32 s3, s3, s16
	s_add_i32 s1, s1, s0
	s_mul_i32 s0, s15, s16
	s_add_i32 s1, s1, s3
	s_delay_alu instid0(SALU_CYCLE_1) | instskip(NEXT) | instid1(VALU_DEP_1)
	s_lshl_b64 s[0:1], s[0:1], 3
	v_lshlrev_b64 v[4:5], 3, v[4:5]
	s_add_u32 s3, s10, s0
	s_addc_u32 s8, s11, s1
	s_waitcnt vmcnt(0)
	v_add_nc_u32_e32 v12, s9, v0
	v_mad_i64_i32 v[0:1], null, v18, s13, 0
	s_delay_alu instid0(VALU_DEP_2) | instskip(SKIP_1) | instid1(VALU_DEP_3)
	v_ashrrev_i32_e32 v13, 31, v12
	v_add_nc_u32_e32 v2, 32, v12
	v_lshlrev_b64 v[7:8], 3, v[0:1]
	s_delay_alu instid0(VALU_DEP_3) | instskip(NEXT) | instid1(VALU_DEP_3)
	v_lshlrev_b64 v[0:1], 3, v[12:13]
	v_ashrrev_i32_e32 v3, 31, v2
	s_delay_alu instid0(VALU_DEP_3) | instskip(NEXT) | instid1(VALU_DEP_4)
	v_add_co_u32 v19, vcc_lo, s3, v7
	v_add_co_ci_u32_e32 v20, vcc_lo, s8, v8, vcc_lo
	v_add_co_u32 v16, vcc_lo, s4, v4
	v_add_co_ci_u32_e32 v17, vcc_lo, s5, v5, vcc_lo
	v_max_f32_e32 v4, v142, v142
	s_mov_b32 vcc_lo, s2
	s_cbranch_vccz .LBB157_24
; %bb.23:
	s_delay_alu instid0(VALU_DEP_1) | instskip(SKIP_2) | instid1(VALU_DEP_3)
	v_min_f32_e32 v5, 0, v4
	v_add_co_u32 v9, vcc_lo, v19, v0
	v_add_co_ci_u32_e32 v10, vcc_lo, v20, v1, vcc_lo
	v_cvt_f64_f32_e32 v[7:8], v5
	s_mov_b32 s9, 0
	s_mov_b64 s[0:1], 0
	global_store_b64 v[9:10], v[7:8], off
	s_branch .LBB157_25
.LBB157_24:
	s_mov_b32 s9, -1
                                        ; implicit-def: $sgpr0_sgpr1
.LBB157_25:
	v_lshlrev_b64 v[2:3], 3, v[2:3]
	v_dual_mov_b32 v31, v229 :: v_dual_mov_b32 v32, v236
	v_dual_mov_b32 v33, v134 :: v_dual_mov_b32 v40, v76
	v_mov_b32_e32 v35, v61
	s_and_not1_b32 vcc_lo, exec_lo, s9
	s_cbranch_vccnz .LBB157_27
; %bb.26:
	v_add_co_u32 v7, vcc_lo, v16, v0
	v_add_co_ci_u32_e32 v8, vcc_lo, v17, v1, vcc_lo
	flat_load_b64 v[7:8], v[7:8]
	s_waitcnt vmcnt(0) lgkmcnt(0)
	v_mul_f64 v[7:8], v[7:8], s[6:7]
	s_delay_alu instid0(VALU_DEP_1)
	v_cvt_f32_f64_e32 v5, v[7:8]
	v_add_co_u32 v7, vcc_lo, v19, v0
	v_add_co_ci_u32_e32 v8, vcc_lo, v20, v1, vcc_lo
	v_add_co_u32 v9, vcc_lo, v16, v2
	v_add_co_ci_u32_e32 v10, vcc_lo, v17, v3, vcc_lo
	v_min_f32_e32 v4, v5, v4
	s_delay_alu instid0(VALU_DEP_1)
	v_cvt_f64_f32_e32 v[4:5], v4
	global_store_b64 v[7:8], v[4:5], off
	flat_load_b64 v[4:5], v[9:10]
	s_waitcnt vmcnt(0) lgkmcnt(0)
	v_mul_f64 v[4:5], v[4:5], s[6:7]
	s_branch .LBB157_28
.LBB157_27:
	v_dual_mov_b32 v5, s1 :: v_dual_mov_b32 v4, s0
.LBB157_28:
	s_delay_alu instid0(VALU_DEP_1)
	v_cvt_f32_f64_e32 v4, v[4:5]
	v_max_f32_e32 v5, v141, v141
	v_add_co_u32 v21, vcc_lo, v19, v2
	v_add_co_ci_u32_e32 v22, vcc_lo, v20, v3, vcc_lo
	v_max_f32_e32 v8, v140, v140
	s_mov_b32 vcc_lo, s2
	v_add_nc_u32_e32 v9, 0x60, v12
	s_delay_alu instid0(VALU_DEP_1) | instskip(SKIP_1) | instid1(VALU_DEP_1)
	v_ashrrev_i32_e32 v10, 31, v9
	v_min_f32_e32 v4, v4, v5
	v_cvt_f64_f32_e32 v[13:14], v4
	v_add_nc_u32_e32 v4, 64, v12
	s_delay_alu instid0(VALU_DEP_1) | instskip(NEXT) | instid1(VALU_DEP_1)
	v_ashrrev_i32_e32 v5, 31, v4
	v_lshlrev_b64 v[4:5], 3, v[4:5]
	global_store_b64 v[21:22], v[13:14], off
	s_cbranch_vccz .LBB157_31
; %bb.29:
	v_min_f32_e32 v7, 0, v8
	v_add_co_u32 v21, vcc_lo, v19, v4
	v_add_co_ci_u32_e32 v22, vcc_lo, v20, v5, vcc_lo
	s_delay_alu instid0(VALU_DEP_3)
	v_cvt_f64_f32_e32 v[13:14], v7
	s_mov_b64 s[0:1], 0
	global_store_b64 v[21:22], v[13:14], off
	v_lshlrev_b64 v[23:24], 3, v[9:10]
	s_cbranch_execz .LBB157_32
; %bb.30:
	v_dual_mov_b32 v9, s1 :: v_dual_mov_b32 v8, s0
	s_branch .LBB157_33
.LBB157_31:
                                        ; implicit-def: $sgpr0_sgpr1
	v_lshlrev_b64 v[23:24], 3, v[9:10]
.LBB157_32:
	v_add_co_u32 v9, vcc_lo, v16, v4
	v_add_co_ci_u32_e32 v10, vcc_lo, v17, v5, vcc_lo
	flat_load_b64 v[9:10], v[9:10]
	s_waitcnt vmcnt(0) lgkmcnt(0)
	v_mul_f64 v[9:10], v[9:10], s[6:7]
	s_delay_alu instid0(VALU_DEP_1)
	v_cvt_f32_f64_e32 v7, v[9:10]
	v_add_co_u32 v9, vcc_lo, v19, v4
	v_add_co_ci_u32_e32 v10, vcc_lo, v20, v5, vcc_lo
	v_add_co_u32 v13, vcc_lo, v16, v23
	v_add_co_ci_u32_e32 v14, vcc_lo, v17, v24, vcc_lo
	v_min_f32_e32 v7, v7, v8
	s_delay_alu instid0(VALU_DEP_1)
	v_cvt_f64_f32_e32 v[7:8], v7
	global_store_b64 v[9:10], v[7:8], off
	flat_load_b64 v[7:8], v[13:14]
	s_waitcnt vmcnt(0) lgkmcnt(0)
	v_mul_f64 v[8:9], v[7:8], s[6:7]
.LBB157_33:
	s_delay_alu instid0(VALU_DEP_1) | instskip(SKIP_4) | instid1(VALU_DEP_3)
	v_cvt_f32_f64_e32 v7, v[8:9]
	v_max_f32_e32 v8, v137, v137
	v_dual_max_f32 v13, v230, v230 :: v_dual_add_nc_u32 v10, 0xa0, v12
	v_add_co_u32 v21, vcc_lo, v19, v23
	v_add_co_ci_u32_e32 v22, vcc_lo, v20, v24, vcc_lo
	v_ashrrev_i32_e32 v11, 31, v10
	s_mov_b32 vcc_lo, s2
	v_min_f32_e32 v7, v7, v8
	s_delay_alu instid0(VALU_DEP_1) | instskip(SKIP_1) | instid1(VALU_DEP_1)
	v_cvt_f64_f32_e32 v[14:15], v7
	v_add_nc_u32_e32 v7, 0x80, v12
	v_ashrrev_i32_e32 v8, 31, v7
	s_delay_alu instid0(VALU_DEP_1)
	v_lshlrev_b64 v[8:9], 3, v[7:8]
	global_store_b64 v[21:22], v[14:15], off
	s_cbranch_vccz .LBB157_36
; %bb.34:
	v_min_f32_e32 v7, 0, v13
	v_add_co_u32 v21, vcc_lo, v19, v8
	v_add_co_ci_u32_e32 v22, vcc_lo, v20, v9, vcc_lo
	s_delay_alu instid0(VALU_DEP_3)
	v_cvt_f64_f32_e32 v[14:15], v7
	s_mov_b64 s[0:1], 0
	global_store_b64 v[21:22], v[14:15], off
	v_lshlrev_b64 v[10:11], 3, v[10:11]
	s_cbranch_execz .LBB157_37
; %bb.35:
	v_dual_mov_b32 v14, s1 :: v_dual_mov_b32 v13, s0
	s_branch .LBB157_38
.LBB157_36:
                                        ; implicit-def: $sgpr0_sgpr1
	v_lshlrev_b64 v[10:11], 3, v[10:11]
.LBB157_37:
	v_add_co_u32 v14, vcc_lo, v16, v8
	v_add_co_ci_u32_e32 v15, vcc_lo, v17, v9, vcc_lo
	v_add_co_u32 v21, vcc_lo, v19, v8
	v_add_co_ci_u32_e32 v22, vcc_lo, v20, v9, vcc_lo
	flat_load_b64 v[14:15], v[14:15]
	v_add_co_u32 v25, vcc_lo, v16, v10
	v_add_co_ci_u32_e32 v26, vcc_lo, v17, v11, vcc_lo
	s_waitcnt vmcnt(0) lgkmcnt(0)
	v_mul_f64 v[14:15], v[14:15], s[6:7]
	s_delay_alu instid0(VALU_DEP_1) | instskip(NEXT) | instid1(VALU_DEP_1)
	v_cvt_f32_f64_e32 v7, v[14:15]
	v_min_f32_e32 v7, v7, v13
	s_delay_alu instid0(VALU_DEP_1)
	v_cvt_f64_f32_e32 v[13:14], v7
	global_store_b64 v[21:22], v[13:14], off
	flat_load_b64 v[13:14], v[25:26]
	s_waitcnt vmcnt(0) lgkmcnt(0)
	v_mul_f64 v[13:14], v[13:14], s[6:7]
.LBB157_38:
	s_delay_alu instid0(VALU_DEP_1) | instskip(SKIP_4) | instid1(VALU_DEP_3)
	v_cvt_f32_f64_e32 v7, v[13:14]
	v_dual_max_f32 v13, v133, v133 :: v_dual_add_nc_u32 v14, 0xe0, v12
	v_add_nc_u32_e32 v27, 0xc0, v12
	v_add_co_u32 v29, vcc_lo, v19, v10
	v_add_co_ci_u32_e32 v30, vcc_lo, v20, v11, vcc_lo
	v_ashrrev_i32_e32 v28, 31, v27
	v_max_f32_e32 v21, v197, v197
	v_ashrrev_i32_e32 v15, 31, v14
	s_mov_b32 vcc_lo, s2
	v_min_f32_e32 v7, v7, v13
	v_lshlrev_b64 v[12:13], 3, v[27:28]
	s_delay_alu instid0(VALU_DEP_2)
	v_cvt_f64_f32_e32 v[25:26], v7
	global_store_b64 v[29:30], v[25:26], off
	s_cbranch_vccz .LBB157_41
; %bb.39:
	v_min_f32_e32 v7, 0, v21
	v_add_co_u32 v27, vcc_lo, v19, v12
	v_add_co_ci_u32_e32 v28, vcc_lo, v20, v13, vcc_lo
	s_delay_alu instid0(VALU_DEP_3)
	v_cvt_f64_f32_e32 v[25:26], v7
	s_mov_b64 s[0:1], 0
	global_store_b64 v[27:28], v[25:26], off
	v_lshlrev_b64 v[14:15], 3, v[14:15]
	s_cbranch_execz .LBB157_42
; %bb.40:
	v_dual_mov_b32 v17, s1 :: v_dual_mov_b32 v16, s0
	s_branch .LBB157_43
.LBB157_41:
                                        ; implicit-def: $sgpr0_sgpr1
	v_lshlrev_b64 v[14:15], 3, v[14:15]
.LBB157_42:
	v_add_co_u32 v25, vcc_lo, v16, v12
	v_add_co_ci_u32_e32 v26, vcc_lo, v17, v13, vcc_lo
	flat_load_b64 v[25:26], v[25:26]
	s_waitcnt vmcnt(0) lgkmcnt(0)
	v_mul_f64 v[25:26], v[25:26], s[6:7]
	s_delay_alu instid0(VALU_DEP_1)
	v_cvt_f32_f64_e32 v7, v[25:26]
	v_add_co_u32 v25, vcc_lo, v19, v12
	v_add_co_ci_u32_e32 v26, vcc_lo, v20, v13, vcc_lo
	v_add_co_u32 v16, vcc_lo, v16, v14
	v_add_co_ci_u32_e32 v17, vcc_lo, v17, v15, vcc_lo
	v_min_f32_e32 v7, v7, v21
	s_delay_alu instid0(VALU_DEP_1)
	v_cvt_f64_f32_e32 v[21:22], v7
	global_store_b64 v[25:26], v[21:22], off
	flat_load_b64 v[16:17], v[16:17]
	s_waitcnt vmcnt(0) lgkmcnt(0)
	v_mul_f64 v[16:17], v[16:17], s[6:7]
.LBB157_43:
	s_delay_alu instid0(VALU_DEP_1) | instskip(SKIP_3) | instid1(VALU_DEP_3)
	v_cvt_f32_f64_e32 v7, v[16:17]
	v_max_f32_e32 v16, v235, v235
	v_add_co_u32 v29, vcc_lo, v19, v14
	v_add_co_ci_u32_e32 v30, vcc_lo, v20, v15, vcc_lo
	v_min_f32_e32 v7, v7, v16
	s_delay_alu instid0(VALU_DEP_1) | instskip(SKIP_1) | instid1(VALU_DEP_1)
	v_cvt_f64_f32_e32 v[25:26], v7
	v_add_nc_u32_e32 v7, 8, v18
	v_mad_i64_i32 v[16:17], null, v7, s13, 0
	v_mad_i64_i32 v[21:22], null, v7, s12, 0
	s_delay_alu instid0(VALU_DEP_2) | instskip(SKIP_1) | instid1(VALU_DEP_3)
	v_lshlrev_b64 v[27:28], 3, v[16:17]
	v_max_f32_e32 v16, v245, v245
	v_lshlrev_b64 v[21:22], 3, v[21:22]
	s_delay_alu instid0(VALU_DEP_3) | instskip(NEXT) | instid1(VALU_DEP_4)
	v_add_co_u32 v19, vcc_lo, s3, v27
	v_add_co_ci_u32_e32 v20, vcc_lo, s8, v28, vcc_lo
	s_delay_alu instid0(VALU_DEP_3) | instskip(NEXT) | instid1(VALU_DEP_4)
	v_add_co_u32 v21, vcc_lo, s4, v21
	v_add_co_ci_u32_e32 v7, vcc_lo, s5, v22, vcc_lo
	s_mov_b32 vcc_lo, s2
	global_store_b64 v[29:30], v[25:26], off
	s_cbranch_vccz .LBB157_46
; %bb.44:
	v_min_f32_e32 v17, 0, v16
	v_add_co_u32 v27, vcc_lo, v19, v0
	v_add_co_ci_u32_e32 v28, vcc_lo, v20, v1, vcc_lo
	s_delay_alu instid0(VALU_DEP_3)
	v_cvt_f64_f32_e32 v[25:26], v17
	s_mov_b64 s[0:1], 0
	global_store_b64 v[27:28], v[25:26], off
	s_cbranch_execz .LBB157_47
; %bb.45:
	v_dual_mov_b32 v17, s1 :: v_dual_mov_b32 v16, s0
	s_branch .LBB157_48
.LBB157_46:
                                        ; implicit-def: $sgpr0_sgpr1
.LBB157_47:
	v_add_co_u32 v25, vcc_lo, v21, v0
	v_add_co_ci_u32_e32 v26, vcc_lo, v7, v1, vcc_lo
	flat_load_b64 v[25:26], v[25:26]
	s_waitcnt vmcnt(0) lgkmcnt(0)
	v_mul_f64 v[25:26], v[25:26], s[6:7]
	s_delay_alu instid0(VALU_DEP_1)
	v_cvt_f32_f64_e32 v17, v[25:26]
	v_add_co_u32 v25, vcc_lo, v19, v0
	v_add_co_ci_u32_e32 v26, vcc_lo, v20, v1, vcc_lo
	v_add_co_u32 v27, vcc_lo, v21, v2
	v_add_co_ci_u32_e32 v28, vcc_lo, v7, v3, vcc_lo
	v_min_f32_e32 v16, v17, v16
	s_delay_alu instid0(VALU_DEP_1)
	v_cvt_f64_f32_e32 v[16:17], v16
	global_store_b64 v[25:26], v[16:17], off
	flat_load_b64 v[16:17], v[27:28]
	s_waitcnt vmcnt(0) lgkmcnt(0)
	v_mul_f64 v[16:17], v[16:17], s[6:7]
.LBB157_48:
	s_delay_alu instid0(VALU_DEP_1) | instskip(SKIP_4) | instid1(VALU_DEP_3)
	v_cvt_f32_f64_e32 v16, v[16:17]
	v_max_f32_e32 v17, v124, v124
	v_add_co_u32 v27, vcc_lo, v19, v2
	v_add_co_ci_u32_e32 v28, vcc_lo, v20, v3, vcc_lo
	s_mov_b32 vcc_lo, s2
	v_min_f32_e32 v16, v16, v17
	s_delay_alu instid0(VALU_DEP_1)
	v_cvt_f64_f32_e32 v[25:26], v16
	v_max_f32_e32 v16, v242, v242
	global_store_b64 v[27:28], v[25:26], off
	s_cbranch_vccz .LBB157_51
; %bb.49:
	v_min_f32_e32 v17, 0, v16
	v_add_co_u32 v27, vcc_lo, v19, v4
	v_add_co_ci_u32_e32 v28, vcc_lo, v20, v5, vcc_lo
	s_delay_alu instid0(VALU_DEP_3)
	v_cvt_f64_f32_e32 v[25:26], v17
	s_mov_b64 s[0:1], 0
	global_store_b64 v[27:28], v[25:26], off
	s_cbranch_execz .LBB157_52
; %bb.50:
	v_dual_mov_b32 v17, s1 :: v_dual_mov_b32 v16, s0
	s_branch .LBB157_53
.LBB157_51:
                                        ; implicit-def: $sgpr0_sgpr1
.LBB157_52:
	v_add_co_u32 v25, vcc_lo, v21, v4
	v_add_co_ci_u32_e32 v26, vcc_lo, v7, v5, vcc_lo
	flat_load_b64 v[25:26], v[25:26]
	s_waitcnt vmcnt(0) lgkmcnt(0)
	v_mul_f64 v[25:26], v[25:26], s[6:7]
	s_delay_alu instid0(VALU_DEP_1)
	v_cvt_f32_f64_e32 v17, v[25:26]
	v_add_co_u32 v25, vcc_lo, v19, v4
	v_add_co_ci_u32_e32 v26, vcc_lo, v20, v5, vcc_lo
	v_add_co_u32 v27, vcc_lo, v21, v23
	v_add_co_ci_u32_e32 v28, vcc_lo, v7, v24, vcc_lo
	v_min_f32_e32 v16, v17, v16
	s_delay_alu instid0(VALU_DEP_1)
	v_cvt_f64_f32_e32 v[16:17], v16
	global_store_b64 v[25:26], v[16:17], off
	flat_load_b64 v[16:17], v[27:28]
	s_waitcnt vmcnt(0) lgkmcnt(0)
	v_mul_f64 v[16:17], v[16:17], s[6:7]
.LBB157_53:
	s_delay_alu instid0(VALU_DEP_1) | instskip(SKIP_4) | instid1(VALU_DEP_3)
	v_cvt_f32_f64_e32 v16, v[16:17]
	v_max_f32_e32 v17, v122, v122
	v_add_co_u32 v27, vcc_lo, v19, v23
	v_add_co_ci_u32_e32 v28, vcc_lo, v20, v24, vcc_lo
	s_mov_b32 vcc_lo, s2
	v_min_f32_e32 v16, v16, v17
	s_delay_alu instid0(VALU_DEP_1)
	v_cvt_f64_f32_e32 v[25:26], v16
	v_max_f32_e32 v16, v80, v80
	;; [unrolled: 46-line block ×3, first 2 shown]
	global_store_b64 v[27:28], v[25:26], off
	s_cbranch_vccz .LBB157_61
; %bb.59:
	v_min_f32_e32 v17, 0, v16
	v_add_co_u32 v27, vcc_lo, v19, v12
	v_add_co_ci_u32_e32 v28, vcc_lo, v20, v13, vcc_lo
	s_delay_alu instid0(VALU_DEP_3)
	v_cvt_f64_f32_e32 v[25:26], v17
	s_mov_b64 s[0:1], 0
	global_store_b64 v[27:28], v[25:26], off
	s_cbranch_execz .LBB157_62
; %bb.60:
	v_dual_mov_b32 v17, s1 :: v_dual_mov_b32 v16, s0
	s_branch .LBB157_63
.LBB157_61:
                                        ; implicit-def: $sgpr0_sgpr1
.LBB157_62:
	v_add_co_u32 v25, vcc_lo, v21, v12
	v_add_co_ci_u32_e32 v26, vcc_lo, v7, v13, vcc_lo
	flat_load_b64 v[25:26], v[25:26]
	s_waitcnt vmcnt(0) lgkmcnt(0)
	v_mul_f64 v[25:26], v[25:26], s[6:7]
	s_delay_alu instid0(VALU_DEP_1)
	v_cvt_f32_f64_e32 v17, v[25:26]
	v_add_co_u32 v25, vcc_lo, v19, v12
	v_add_co_ci_u32_e32 v26, vcc_lo, v20, v13, vcc_lo
	v_add_co_u32 v21, vcc_lo, v21, v14
	v_add_co_ci_u32_e32 v22, vcc_lo, v7, v15, vcc_lo
	v_min_f32_e32 v16, v17, v16
	s_delay_alu instid0(VALU_DEP_1)
	v_cvt_f64_f32_e32 v[16:17], v16
	global_store_b64 v[25:26], v[16:17], off
	flat_load_b64 v[16:17], v[21:22]
	s_waitcnt vmcnt(0) lgkmcnt(0)
	v_mul_f64 v[16:17], v[16:17], s[6:7]
.LBB157_63:
	s_delay_alu instid0(VALU_DEP_1) | instskip(SKIP_3) | instid1(VALU_DEP_3)
	v_cvt_f32_f64_e32 v7, v[16:17]
	v_max_f32_e32 v16, v239, v239
	v_add_co_u32 v29, vcc_lo, v19, v14
	v_add_co_ci_u32_e32 v30, vcc_lo, v20, v15, vcc_lo
	v_min_f32_e32 v7, v7, v16
	s_delay_alu instid0(VALU_DEP_1) | instskip(SKIP_1) | instid1(VALU_DEP_1)
	v_cvt_f64_f32_e32 v[25:26], v7
	v_add_nc_u32_e32 v7, 16, v18
	v_mad_i64_i32 v[16:17], null, v7, s13, 0
	v_mad_i64_i32 v[21:22], null, v7, s12, 0
	s_delay_alu instid0(VALU_DEP_2) | instskip(SKIP_1) | instid1(VALU_DEP_3)
	v_lshlrev_b64 v[27:28], 3, v[16:17]
	v_max_f32_e32 v16, v6, v6
	v_lshlrev_b64 v[21:22], 3, v[21:22]
	s_delay_alu instid0(VALU_DEP_3) | instskip(NEXT) | instid1(VALU_DEP_4)
	v_add_co_u32 v19, vcc_lo, s3, v27
	v_add_co_ci_u32_e32 v20, vcc_lo, s8, v28, vcc_lo
	s_delay_alu instid0(VALU_DEP_3) | instskip(NEXT) | instid1(VALU_DEP_4)
	v_add_co_u32 v21, vcc_lo, s4, v21
	v_add_co_ci_u32_e32 v7, vcc_lo, s5, v22, vcc_lo
	s_mov_b32 vcc_lo, s2
	global_store_b64 v[29:30], v[25:26], off
	s_cbranch_vccz .LBB157_66
; %bb.64:
	v_min_f32_e32 v17, 0, v16
	v_add_co_u32 v27, vcc_lo, v19, v0
	v_add_co_ci_u32_e32 v28, vcc_lo, v20, v1, vcc_lo
	s_delay_alu instid0(VALU_DEP_3)
	v_cvt_f64_f32_e32 v[25:26], v17
	s_mov_b64 s[0:1], 0
	global_store_b64 v[27:28], v[25:26], off
	s_cbranch_execz .LBB157_67
; %bb.65:
	v_dual_mov_b32 v17, s1 :: v_dual_mov_b32 v16, s0
	s_branch .LBB157_68
.LBB157_66:
                                        ; implicit-def: $sgpr0_sgpr1
.LBB157_67:
	v_add_co_u32 v25, vcc_lo, v21, v0
	v_add_co_ci_u32_e32 v26, vcc_lo, v7, v1, vcc_lo
	flat_load_b64 v[25:26], v[25:26]
	s_waitcnt vmcnt(0) lgkmcnt(0)
	v_mul_f64 v[25:26], v[25:26], s[6:7]
	s_delay_alu instid0(VALU_DEP_1)
	v_cvt_f32_f64_e32 v17, v[25:26]
	v_add_co_u32 v25, vcc_lo, v19, v0
	v_add_co_ci_u32_e32 v26, vcc_lo, v20, v1, vcc_lo
	v_add_co_u32 v27, vcc_lo, v21, v2
	v_add_co_ci_u32_e32 v28, vcc_lo, v7, v3, vcc_lo
	v_min_f32_e32 v16, v17, v16
	s_delay_alu instid0(VALU_DEP_1)
	v_cvt_f64_f32_e32 v[16:17], v16
	global_store_b64 v[25:26], v[16:17], off
	flat_load_b64 v[16:17], v[27:28]
	s_waitcnt vmcnt(0) lgkmcnt(0)
	v_mul_f64 v[16:17], v[16:17], s[6:7]
.LBB157_68:
	s_delay_alu instid0(VALU_DEP_1) | instskip(SKIP_4) | instid1(VALU_DEP_3)
	v_cvt_f32_f64_e32 v16, v[16:17]
	v_max_f32_e32 v6, v106, v106
	v_add_co_u32 v27, vcc_lo, v19, v2
	v_add_co_ci_u32_e32 v28, vcc_lo, v20, v3, vcc_lo
	s_mov_b32 vcc_lo, s2
	v_min_f32_e32 v6, v16, v6
	v_max_f32_e32 v16, v111, v111
	s_delay_alu instid0(VALU_DEP_2)
	v_cvt_f64_f32_e32 v[25:26], v6
	global_store_b64 v[27:28], v[25:26], off
	s_cbranch_vccz .LBB157_71
; %bb.69:
	v_min_f32_e32 v6, 0, v16
	v_add_co_u32 v27, vcc_lo, v19, v4
	v_add_co_ci_u32_e32 v28, vcc_lo, v20, v5, vcc_lo
	s_delay_alu instid0(VALU_DEP_3)
	v_cvt_f64_f32_e32 v[25:26], v6
	s_mov_b64 s[0:1], 0
	global_store_b64 v[27:28], v[25:26], off
	s_cbranch_execz .LBB157_72
; %bb.70:
	v_dual_mov_b32 v17, s1 :: v_dual_mov_b32 v16, s0
	s_branch .LBB157_73
.LBB157_71:
                                        ; implicit-def: $sgpr0_sgpr1
.LBB157_72:
	v_add_co_u32 v25, vcc_lo, v21, v4
	v_add_co_ci_u32_e32 v26, vcc_lo, v7, v5, vcc_lo
	flat_load_b64 v[25:26], v[25:26]
	s_waitcnt vmcnt(0) lgkmcnt(0)
	v_mul_f64 v[25:26], v[25:26], s[6:7]
	s_delay_alu instid0(VALU_DEP_1)
	v_cvt_f32_f64_e32 v6, v[25:26]
	v_add_co_u32 v25, vcc_lo, v19, v4
	v_add_co_ci_u32_e32 v26, vcc_lo, v20, v5, vcc_lo
	v_add_co_u32 v27, vcc_lo, v21, v23
	v_add_co_ci_u32_e32 v28, vcc_lo, v7, v24, vcc_lo
	v_min_f32_e32 v6, v6, v16
	s_delay_alu instid0(VALU_DEP_1)
	v_cvt_f64_f32_e32 v[16:17], v6
	global_store_b64 v[25:26], v[16:17], off
	flat_load_b64 v[16:17], v[27:28]
	s_waitcnt vmcnt(0) lgkmcnt(0)
	v_mul_f64 v[16:17], v[16:17], s[6:7]
.LBB157_73:
	s_delay_alu instid0(VALU_DEP_1) | instskip(SKIP_4) | instid1(VALU_DEP_3)
	v_cvt_f32_f64_e32 v6, v[16:17]
	v_max_f32_e32 v16, v110, v110
	v_add_co_u32 v27, vcc_lo, v19, v23
	v_add_co_ci_u32_e32 v28, vcc_lo, v20, v24, vcc_lo
	s_mov_b32 vcc_lo, s2
	v_min_f32_e32 v6, v6, v16
	v_max_f32_e32 v16, v59, v59
	s_delay_alu instid0(VALU_DEP_2)
	v_cvt_f64_f32_e32 v[25:26], v6
	global_store_b64 v[27:28], v[25:26], off
	s_cbranch_vccz .LBB157_76
; %bb.74:
	v_min_f32_e32 v6, 0, v16
	v_add_co_u32 v27, vcc_lo, v19, v8
	v_add_co_ci_u32_e32 v28, vcc_lo, v20, v9, vcc_lo
	s_delay_alu instid0(VALU_DEP_3)
	v_cvt_f64_f32_e32 v[25:26], v6
	s_mov_b64 s[0:1], 0
	global_store_b64 v[27:28], v[25:26], off
	s_cbranch_execz .LBB157_77
; %bb.75:
	v_dual_mov_b32 v17, s1 :: v_dual_mov_b32 v16, s0
	s_branch .LBB157_78
.LBB157_76:
                                        ; implicit-def: $sgpr0_sgpr1
.LBB157_77:
	v_add_co_u32 v25, vcc_lo, v21, v8
	v_add_co_ci_u32_e32 v26, vcc_lo, v7, v9, vcc_lo
	flat_load_b64 v[25:26], v[25:26]
	s_waitcnt vmcnt(0) lgkmcnt(0)
	v_mul_f64 v[25:26], v[25:26], s[6:7]
	s_delay_alu instid0(VALU_DEP_1)
	v_cvt_f32_f64_e32 v6, v[25:26]
	v_add_co_u32 v25, vcc_lo, v19, v8
	v_add_co_ci_u32_e32 v26, vcc_lo, v20, v9, vcc_lo
	v_add_co_u32 v27, vcc_lo, v21, v10
	v_add_co_ci_u32_e32 v28, vcc_lo, v7, v11, vcc_lo
	v_min_f32_e32 v6, v6, v16
	s_delay_alu instid0(VALU_DEP_1)
	v_cvt_f64_f32_e32 v[16:17], v6
	global_store_b64 v[25:26], v[16:17], off
	flat_load_b64 v[16:17], v[27:28]
	s_waitcnt vmcnt(0) lgkmcnt(0)
	v_mul_f64 v[16:17], v[16:17], s[6:7]
.LBB157_78:
	s_delay_alu instid0(VALU_DEP_1) | instskip(SKIP_4) | instid1(VALU_DEP_3)
	v_cvt_f32_f64_e32 v6, v[16:17]
	v_max_f32_e32 v16, v58, v58
	v_add_co_u32 v27, vcc_lo, v19, v10
	v_add_co_ci_u32_e32 v28, vcc_lo, v20, v11, vcc_lo
	s_mov_b32 vcc_lo, s2
	v_min_f32_e32 v6, v6, v16
	v_max_f32_e32 v16, v57, v57
	s_delay_alu instid0(VALU_DEP_2)
	v_cvt_f64_f32_e32 v[25:26], v6
	global_store_b64 v[27:28], v[25:26], off
	s_cbranch_vccz .LBB157_81
; %bb.79:
	v_min_f32_e32 v6, 0, v16
	v_add_co_u32 v27, vcc_lo, v19, v12
	v_add_co_ci_u32_e32 v28, vcc_lo, v20, v13, vcc_lo
	s_delay_alu instid0(VALU_DEP_3)
	v_cvt_f64_f32_e32 v[25:26], v6
	s_mov_b64 s[0:1], 0
	global_store_b64 v[27:28], v[25:26], off
	s_cbranch_execz .LBB157_82
; %bb.80:
	v_dual_mov_b32 v17, s1 :: v_dual_mov_b32 v16, s0
	s_branch .LBB157_83
.LBB157_81:
                                        ; implicit-def: $sgpr0_sgpr1
.LBB157_82:
	v_add_co_u32 v25, vcc_lo, v21, v12
	v_add_co_ci_u32_e32 v26, vcc_lo, v7, v13, vcc_lo
	flat_load_b64 v[25:26], v[25:26]
	s_waitcnt vmcnt(0) lgkmcnt(0)
	v_mul_f64 v[25:26], v[25:26], s[6:7]
	s_delay_alu instid0(VALU_DEP_1) | instskip(SKIP_2) | instid1(VALU_DEP_3)
	v_cvt_f32_f64_e32 v6, v[25:26]
	v_add_co_u32 v25, vcc_lo, v19, v12
	v_add_co_ci_u32_e32 v26, vcc_lo, v20, v13, vcc_lo
	v_min_f32_e32 v6, v6, v16
	s_delay_alu instid0(VALU_DEP_1)
	v_cvt_f64_f32_e32 v[16:17], v6
	v_add_co_u32 v6, vcc_lo, v21, v14
	v_add_co_ci_u32_e32 v7, vcc_lo, v7, v15, vcc_lo
	global_store_b64 v[25:26], v[16:17], off
	flat_load_b64 v[6:7], v[6:7]
	s_waitcnt vmcnt(0) lgkmcnt(0)
	v_mul_f64 v[16:17], v[6:7], s[6:7]
.LBB157_83:
	s_delay_alu instid0(VALU_DEP_1) | instskip(SKIP_3) | instid1(VALU_DEP_3)
	v_cvt_f32_f64_e32 v6, v[16:17]
	v_dual_max_f32 v7, v56, v56 :: v_dual_add_nc_u32 v16, 24, v18
	v_add_co_u32 v27, vcc_lo, v19, v14
	v_add_co_ci_u32_e32 v28, vcc_lo, v20, v15, vcc_lo
	v_mad_i64_i32 v[21:22], null, v16, s12, 0
	s_delay_alu instid0(VALU_DEP_1) | instskip(SKIP_1) | instid1(VALU_DEP_1)
	v_lshlrev_b64 v[21:22], 3, v[21:22]
	v_min_f32_e32 v6, v6, v7
	v_cvt_f64_f32_e32 v[25:26], v6
	v_mad_i64_i32 v[6:7], null, v16, s13, 0
	v_max_f32_e32 v16, v136, v136
	s_delay_alu instid0(VALU_DEP_2) | instskip(NEXT) | instid1(VALU_DEP_1)
	v_lshlrev_b64 v[6:7], 3, v[6:7]
	v_add_co_u32 v19, vcc_lo, s3, v6
	s_delay_alu instid0(VALU_DEP_2)
	v_add_co_ci_u32_e32 v20, vcc_lo, s8, v7, vcc_lo
	v_add_co_u32 v21, vcc_lo, s4, v21
	v_add_co_ci_u32_e32 v7, vcc_lo, s5, v22, vcc_lo
	s_mov_b32 vcc_lo, s2
	global_store_b64 v[27:28], v[25:26], off
	s_cbranch_vccz .LBB157_86
; %bb.84:
	v_min_f32_e32 v6, 0, v16
	v_add_co_u32 v27, vcc_lo, v19, v0
	v_add_co_ci_u32_e32 v28, vcc_lo, v20, v1, vcc_lo
	s_delay_alu instid0(VALU_DEP_3)
	v_cvt_f64_f32_e32 v[25:26], v6
	s_mov_b64 s[0:1], 0
	global_store_b64 v[27:28], v[25:26], off
	s_cbranch_execz .LBB157_87
; %bb.85:
	v_dual_mov_b32 v17, s1 :: v_dual_mov_b32 v16, s0
	s_branch .LBB157_88
.LBB157_86:
                                        ; implicit-def: $sgpr0_sgpr1
.LBB157_87:
	v_add_co_u32 v25, vcc_lo, v21, v0
	v_add_co_ci_u32_e32 v26, vcc_lo, v7, v1, vcc_lo
	flat_load_b64 v[25:26], v[25:26]
	s_waitcnt vmcnt(0) lgkmcnt(0)
	v_mul_f64 v[25:26], v[25:26], s[6:7]
	s_delay_alu instid0(VALU_DEP_1)
	v_cvt_f32_f64_e32 v6, v[25:26]
	v_add_co_u32 v25, vcc_lo, v19, v0
	v_add_co_ci_u32_e32 v26, vcc_lo, v20, v1, vcc_lo
	v_add_co_u32 v27, vcc_lo, v21, v2
	v_add_co_ci_u32_e32 v28, vcc_lo, v7, v3, vcc_lo
	v_min_f32_e32 v6, v6, v16
	s_delay_alu instid0(VALU_DEP_1)
	v_cvt_f64_f32_e32 v[16:17], v6
	global_store_b64 v[25:26], v[16:17], off
	flat_load_b64 v[16:17], v[27:28]
	s_waitcnt vmcnt(0) lgkmcnt(0)
	v_mul_f64 v[16:17], v[16:17], s[6:7]
.LBB157_88:
	s_delay_alu instid0(VALU_DEP_1) | instskip(SKIP_4) | instid1(VALU_DEP_3)
	v_cvt_f32_f64_e32 v6, v[16:17]
	v_max_f32_e32 v16, v40, v40
	v_add_co_u32 v27, vcc_lo, v19, v2
	v_add_co_ci_u32_e32 v28, vcc_lo, v20, v3, vcc_lo
	s_mov_b32 vcc_lo, s2
	v_min_f32_e32 v6, v6, v16
	v_max_f32_e32 v16, v39, v39
	s_delay_alu instid0(VALU_DEP_2)
	v_cvt_f64_f32_e32 v[25:26], v6
	global_store_b64 v[27:28], v[25:26], off
	s_cbranch_vccz .LBB157_91
; %bb.89:
	v_min_f32_e32 v6, 0, v16
	v_add_co_u32 v27, vcc_lo, v19, v4
	v_add_co_ci_u32_e32 v28, vcc_lo, v20, v5, vcc_lo
	s_delay_alu instid0(VALU_DEP_3)
	v_cvt_f64_f32_e32 v[25:26], v6
	s_mov_b64 s[0:1], 0
	global_store_b64 v[27:28], v[25:26], off
	s_cbranch_execz .LBB157_92
; %bb.90:
	v_dual_mov_b32 v17, s1 :: v_dual_mov_b32 v16, s0
	s_branch .LBB157_93
.LBB157_91:
                                        ; implicit-def: $sgpr0_sgpr1
.LBB157_92:
	v_add_co_u32 v25, vcc_lo, v21, v4
	v_add_co_ci_u32_e32 v26, vcc_lo, v7, v5, vcc_lo
	flat_load_b64 v[25:26], v[25:26]
	s_waitcnt vmcnt(0) lgkmcnt(0)
	v_mul_f64 v[25:26], v[25:26], s[6:7]
	s_delay_alu instid0(VALU_DEP_1)
	v_cvt_f32_f64_e32 v6, v[25:26]
	v_add_co_u32 v25, vcc_lo, v19, v4
	v_add_co_ci_u32_e32 v26, vcc_lo, v20, v5, vcc_lo
	v_add_co_u32 v27, vcc_lo, v21, v23
	v_add_co_ci_u32_e32 v28, vcc_lo, v7, v24, vcc_lo
	v_min_f32_e32 v6, v6, v16
	s_delay_alu instid0(VALU_DEP_1)
	v_cvt_f64_f32_e32 v[16:17], v6
	global_store_b64 v[25:26], v[16:17], off
	flat_load_b64 v[16:17], v[27:28]
	s_waitcnt vmcnt(0) lgkmcnt(0)
	v_mul_f64 v[16:17], v[16:17], s[6:7]
.LBB157_93:
	s_delay_alu instid0(VALU_DEP_1) | instskip(SKIP_4) | instid1(VALU_DEP_3)
	v_cvt_f32_f64_e32 v6, v[16:17]
	v_max_f32_e32 v16, v54, v54
	v_add_co_u32 v27, vcc_lo, v19, v23
	v_add_co_ci_u32_e32 v28, vcc_lo, v20, v24, vcc_lo
	s_mov_b32 vcc_lo, s2
	v_min_f32_e32 v6, v6, v16
	v_max_f32_e32 v16, v135, v135
	s_delay_alu instid0(VALU_DEP_2)
	v_cvt_f64_f32_e32 v[25:26], v6
	global_store_b64 v[27:28], v[25:26], off
	s_cbranch_vccz .LBB157_96
; %bb.94:
	v_min_f32_e32 v6, 0, v16
	v_add_co_u32 v27, vcc_lo, v19, v8
	v_add_co_ci_u32_e32 v28, vcc_lo, v20, v9, vcc_lo
	s_delay_alu instid0(VALU_DEP_3)
	v_cvt_f64_f32_e32 v[25:26], v6
	s_mov_b64 s[0:1], 0
	global_store_b64 v[27:28], v[25:26], off
	s_cbranch_execz .LBB157_97
; %bb.95:
	v_dual_mov_b32 v17, s1 :: v_dual_mov_b32 v16, s0
	s_branch .LBB157_98
.LBB157_96:
                                        ; implicit-def: $sgpr0_sgpr1
.LBB157_97:
	v_add_co_u32 v25, vcc_lo, v21, v8
	v_add_co_ci_u32_e32 v26, vcc_lo, v7, v9, vcc_lo
	flat_load_b64 v[25:26], v[25:26]
	s_waitcnt vmcnt(0) lgkmcnt(0)
	v_mul_f64 v[25:26], v[25:26], s[6:7]
	s_delay_alu instid0(VALU_DEP_1)
	v_cvt_f32_f64_e32 v6, v[25:26]
	v_add_co_u32 v25, vcc_lo, v19, v8
	v_add_co_ci_u32_e32 v26, vcc_lo, v20, v9, vcc_lo
	v_add_co_u32 v27, vcc_lo, v21, v10
	v_add_co_ci_u32_e32 v28, vcc_lo, v7, v11, vcc_lo
	v_min_f32_e32 v6, v6, v16
	s_delay_alu instid0(VALU_DEP_1)
	v_cvt_f64_f32_e32 v[16:17], v6
	global_store_b64 v[25:26], v[16:17], off
	flat_load_b64 v[16:17], v[27:28]
	s_waitcnt vmcnt(0) lgkmcnt(0)
	v_mul_f64 v[16:17], v[16:17], s[6:7]
.LBB157_98:
	s_delay_alu instid0(VALU_DEP_1) | instskip(SKIP_4) | instid1(VALU_DEP_3)
	v_cvt_f32_f64_e32 v6, v[16:17]
	v_max_f32_e32 v16, v244, v244
	v_add_co_u32 v27, vcc_lo, v19, v10
	v_add_co_ci_u32_e32 v28, vcc_lo, v20, v11, vcc_lo
	s_mov_b32 vcc_lo, s2
	v_min_f32_e32 v6, v6, v16
	v_max_f32_e32 v16, v36, v36
	s_delay_alu instid0(VALU_DEP_2)
	v_cvt_f64_f32_e32 v[25:26], v6
	global_store_b64 v[27:28], v[25:26], off
	s_cbranch_vccz .LBB157_101
; %bb.99:
	v_min_f32_e32 v6, 0, v16
	v_add_co_u32 v27, vcc_lo, v19, v12
	v_add_co_ci_u32_e32 v28, vcc_lo, v20, v13, vcc_lo
	s_delay_alu instid0(VALU_DEP_3)
	v_cvt_f64_f32_e32 v[25:26], v6
	s_mov_b64 s[0:1], 0
	global_store_b64 v[27:28], v[25:26], off
	s_cbranch_execz .LBB157_102
; %bb.100:
	v_dual_mov_b32 v17, s1 :: v_dual_mov_b32 v16, s0
	s_branch .LBB157_103
.LBB157_101:
                                        ; implicit-def: $sgpr0_sgpr1
.LBB157_102:
	v_add_co_u32 v25, vcc_lo, v21, v12
	v_add_co_ci_u32_e32 v26, vcc_lo, v7, v13, vcc_lo
	flat_load_b64 v[25:26], v[25:26]
	s_waitcnt vmcnt(0) lgkmcnt(0)
	v_mul_f64 v[25:26], v[25:26], s[6:7]
	s_delay_alu instid0(VALU_DEP_1) | instskip(SKIP_2) | instid1(VALU_DEP_3)
	v_cvt_f32_f64_e32 v6, v[25:26]
	v_add_co_u32 v25, vcc_lo, v19, v12
	v_add_co_ci_u32_e32 v26, vcc_lo, v20, v13, vcc_lo
	v_min_f32_e32 v6, v6, v16
	s_delay_alu instid0(VALU_DEP_1)
	v_cvt_f64_f32_e32 v[16:17], v6
	v_add_co_u32 v6, vcc_lo, v21, v14
	v_add_co_ci_u32_e32 v7, vcc_lo, v7, v15, vcc_lo
	global_store_b64 v[25:26], v[16:17], off
	flat_load_b64 v[6:7], v[6:7]
	s_waitcnt vmcnt(0) lgkmcnt(0)
	v_mul_f64 v[16:17], v[6:7], s[6:7]
.LBB157_103:
	s_delay_alu instid0(VALU_DEP_1) | instskip(SKIP_4) | instid1(VALU_DEP_4)
	v_cvt_f32_f64_e32 v6, v[16:17]
	v_add_nc_u32_e32 v25, 32, v18
	v_max_f32_e32 v7, v35, v35
	v_add_co_u32 v27, vcc_lo, v19, v14
	v_add_co_ci_u32_e32 v28, vcc_lo, v20, v15, vcc_lo
	v_mad_i64_i32 v[16:17], null, v25, s13, 0
	v_mad_i64_i32 v[21:22], null, v25, s12, 0
	s_delay_alu instid0(VALU_DEP_2) | instskip(SKIP_1) | instid1(VALU_DEP_3)
	v_lshlrev_b64 v[25:26], 3, v[16:17]
	v_max_f32_e32 v16, v60, v60
	v_lshlrev_b64 v[21:22], 3, v[21:22]
	s_delay_alu instid0(VALU_DEP_3) | instskip(NEXT) | instid1(VALU_DEP_4)
	v_add_co_u32 v19, vcc_lo, s3, v25
	v_add_co_ci_u32_e32 v20, vcc_lo, s8, v26, vcc_lo
	s_delay_alu instid0(VALU_DEP_3) | instskip(NEXT) | instid1(VALU_DEP_4)
	v_add_co_u32 v21, vcc_lo, s4, v21
	v_add_co_ci_u32_e32 v22, vcc_lo, s5, v22, vcc_lo
	s_mov_b32 vcc_lo, s2
	v_min_f32_e32 v6, v6, v7
	s_delay_alu instid0(VALU_DEP_1)
	v_cvt_f64_f32_e32 v[6:7], v6
	global_store_b64 v[27:28], v[6:7], off
	s_cbranch_vccz .LBB157_106
; %bb.104:
	v_min_f32_e32 v6, 0, v16
	v_add_co_u32 v25, vcc_lo, v19, v0
	v_add_co_ci_u32_e32 v26, vcc_lo, v20, v1, vcc_lo
	s_delay_alu instid0(VALU_DEP_3)
	v_cvt_f64_f32_e32 v[6:7], v6
	s_mov_b64 s[0:1], 0
	global_store_b64 v[25:26], v[6:7], off
	s_cbranch_execz .LBB157_107
; %bb.105:
	v_dual_mov_b32 v17, s1 :: v_dual_mov_b32 v16, s0
	s_branch .LBB157_108
.LBB157_106:
                                        ; implicit-def: $sgpr0_sgpr1
.LBB157_107:
	v_add_co_u32 v6, vcc_lo, v21, v0
	v_add_co_ci_u32_e32 v7, vcc_lo, v22, v1, vcc_lo
	flat_load_b64 v[6:7], v[6:7]
	s_waitcnt vmcnt(0) lgkmcnt(0)
	v_mul_f64 v[6:7], v[6:7], s[6:7]
	s_delay_alu instid0(VALU_DEP_1) | instskip(NEXT) | instid1(VALU_DEP_1)
	v_cvt_f32_f64_e32 v6, v[6:7]
	v_min_f32_e32 v6, v6, v16
	v_add_co_u32 v16, vcc_lo, v19, v0
	v_add_co_ci_u32_e32 v17, vcc_lo, v20, v1, vcc_lo
	s_delay_alu instid0(VALU_DEP_3)
	v_cvt_f64_f32_e32 v[6:7], v6
	v_add_co_u32 v25, vcc_lo, v21, v2
	v_add_co_ci_u32_e32 v26, vcc_lo, v22, v3, vcc_lo
	global_store_b64 v[16:17], v[6:7], off
	flat_load_b64 v[6:7], v[25:26]
	s_waitcnt vmcnt(0) lgkmcnt(0)
	v_mul_f64 v[16:17], v[6:7], s[6:7]
.LBB157_108:
	s_delay_alu instid0(VALU_DEP_1) | instskip(SKIP_4) | instid1(VALU_DEP_3)
	v_cvt_f32_f64_e32 v6, v[16:17]
	v_dual_max_f32 v7, v33, v33 :: v_dual_max_f32 v16, v32, v32
	v_add_co_u32 v25, vcc_lo, v19, v2
	v_add_co_ci_u32_e32 v26, vcc_lo, v20, v3, vcc_lo
	s_mov_b32 vcc_lo, s2
	v_min_f32_e32 v6, v6, v7
	s_delay_alu instid0(VALU_DEP_1)
	v_cvt_f64_f32_e32 v[6:7], v6
	global_store_b64 v[25:26], v[6:7], off
	s_cbranch_vccz .LBB157_111
; %bb.109:
	v_min_f32_e32 v6, 0, v16
	v_add_co_u32 v25, vcc_lo, v19, v4
	v_add_co_ci_u32_e32 v26, vcc_lo, v20, v5, vcc_lo
	s_delay_alu instid0(VALU_DEP_3)
	v_cvt_f64_f32_e32 v[6:7], v6
	s_mov_b64 s[0:1], 0
	global_store_b64 v[25:26], v[6:7], off
	s_cbranch_execz .LBB157_112
; %bb.110:
	v_dual_mov_b32 v17, s1 :: v_dual_mov_b32 v16, s0
	s_branch .LBB157_113
.LBB157_111:
                                        ; implicit-def: $sgpr0_sgpr1
.LBB157_112:
	v_add_co_u32 v6, vcc_lo, v21, v4
	v_add_co_ci_u32_e32 v7, vcc_lo, v22, v5, vcc_lo
	flat_load_b64 v[6:7], v[6:7]
	s_waitcnt vmcnt(0) lgkmcnt(0)
	v_mul_f64 v[6:7], v[6:7], s[6:7]
	s_delay_alu instid0(VALU_DEP_1) | instskip(NEXT) | instid1(VALU_DEP_1)
	v_cvt_f32_f64_e32 v6, v[6:7]
	v_min_f32_e32 v6, v6, v16
	v_add_co_u32 v16, vcc_lo, v19, v4
	v_add_co_ci_u32_e32 v17, vcc_lo, v20, v5, vcc_lo
	s_delay_alu instid0(VALU_DEP_3)
	v_cvt_f64_f32_e32 v[6:7], v6
	v_add_co_u32 v25, vcc_lo, v21, v23
	v_add_co_ci_u32_e32 v26, vcc_lo, v22, v24, vcc_lo
	global_store_b64 v[16:17], v[6:7], off
	flat_load_b64 v[6:7], v[25:26]
	s_waitcnt vmcnt(0) lgkmcnt(0)
	v_mul_f64 v[16:17], v[6:7], s[6:7]
.LBB157_113:
	s_delay_alu instid0(VALU_DEP_1) | instskip(SKIP_4) | instid1(VALU_DEP_3)
	v_cvt_f32_f64_e32 v6, v[16:17]
	v_dual_max_f32 v7, v31, v31 :: v_dual_max_f32 v16, v233, v233
	v_add_co_u32 v25, vcc_lo, v19, v23
	v_add_co_ci_u32_e32 v26, vcc_lo, v20, v24, vcc_lo
	s_mov_b32 vcc_lo, s2
	v_min_f32_e32 v6, v6, v7
	s_delay_alu instid0(VALU_DEP_1)
	v_cvt_f64_f32_e32 v[6:7], v6
	global_store_b64 v[25:26], v[6:7], off
	s_cbranch_vccz .LBB157_116
; %bb.114:
	v_min_f32_e32 v6, 0, v16
	v_add_co_u32 v25, vcc_lo, v19, v8
	v_add_co_ci_u32_e32 v26, vcc_lo, v20, v9, vcc_lo
	s_delay_alu instid0(VALU_DEP_3)
	v_cvt_f64_f32_e32 v[6:7], v6
	s_mov_b64 s[0:1], 0
	global_store_b64 v[25:26], v[6:7], off
	s_cbranch_execz .LBB157_117
; %bb.115:
	v_dual_mov_b32 v17, s1 :: v_dual_mov_b32 v16, s0
	s_branch .LBB157_118
.LBB157_116:
                                        ; implicit-def: $sgpr0_sgpr1
.LBB157_117:
	v_add_co_u32 v6, vcc_lo, v21, v8
	v_add_co_ci_u32_e32 v7, vcc_lo, v22, v9, vcc_lo
	flat_load_b64 v[6:7], v[6:7]
	s_waitcnt vmcnt(0) lgkmcnt(0)
	v_mul_f64 v[6:7], v[6:7], s[6:7]
	s_delay_alu instid0(VALU_DEP_1) | instskip(NEXT) | instid1(VALU_DEP_1)
	v_cvt_f32_f64_e32 v6, v[6:7]
	v_min_f32_e32 v6, v6, v16
	v_add_co_u32 v16, vcc_lo, v19, v8
	v_add_co_ci_u32_e32 v17, vcc_lo, v20, v9, vcc_lo
	s_delay_alu instid0(VALU_DEP_3)
	v_cvt_f64_f32_e32 v[6:7], v6
	v_add_co_u32 v25, vcc_lo, v21, v10
	v_add_co_ci_u32_e32 v26, vcc_lo, v22, v11, vcc_lo
	global_store_b64 v[16:17], v[6:7], off
	flat_load_b64 v[6:7], v[25:26]
	s_waitcnt vmcnt(0) lgkmcnt(0)
	v_mul_f64 v[16:17], v[6:7], s[6:7]
.LBB157_118:
	scratch_load_b32 v7, off, off offset:32 ; 4-byte Folded Reload
	v_cvt_f32_f64_e32 v6, v[16:17]
	v_add_co_u32 v25, vcc_lo, v19, v10
	v_add_co_ci_u32_e32 v26, vcc_lo, v20, v11, vcc_lo
	s_mov_b32 vcc_lo, s2
	s_waitcnt vmcnt(0)
	v_dual_max_f32 v16, v220, v220 :: v_dual_max_f32 v7, v7, v7
	s_delay_alu instid0(VALU_DEP_1) | instskip(NEXT) | instid1(VALU_DEP_1)
	v_min_f32_e32 v6, v6, v7
	v_cvt_f64_f32_e32 v[6:7], v6
	global_store_b64 v[25:26], v[6:7], off
	s_cbranch_vccz .LBB157_121
; %bb.119:
	v_min_f32_e32 v6, 0, v16
	v_add_co_u32 v25, vcc_lo, v19, v12
	v_add_co_ci_u32_e32 v26, vcc_lo, v20, v13, vcc_lo
	s_delay_alu instid0(VALU_DEP_3)
	v_cvt_f64_f32_e32 v[6:7], v6
	s_mov_b64 s[0:1], 0
	global_store_b64 v[25:26], v[6:7], off
	s_cbranch_execz .LBB157_122
; %bb.120:
	v_dual_mov_b32 v17, s1 :: v_dual_mov_b32 v16, s0
	s_branch .LBB157_123
.LBB157_121:
                                        ; implicit-def: $sgpr0_sgpr1
.LBB157_122:
	v_add_co_u32 v6, vcc_lo, v21, v12
	v_add_co_ci_u32_e32 v7, vcc_lo, v22, v13, vcc_lo
	flat_load_b64 v[6:7], v[6:7]
	s_waitcnt vmcnt(0) lgkmcnt(0)
	v_mul_f64 v[6:7], v[6:7], s[6:7]
	s_delay_alu instid0(VALU_DEP_1) | instskip(NEXT) | instid1(VALU_DEP_1)
	v_cvt_f32_f64_e32 v6, v[6:7]
	v_min_f32_e32 v6, v6, v16
	v_add_co_u32 v16, vcc_lo, v19, v12
	v_add_co_ci_u32_e32 v17, vcc_lo, v20, v13, vcc_lo
	s_delay_alu instid0(VALU_DEP_3)
	v_cvt_f64_f32_e32 v[6:7], v6
	v_add_co_u32 v21, vcc_lo, v21, v14
	v_add_co_ci_u32_e32 v22, vcc_lo, v22, v15, vcc_lo
	global_store_b64 v[16:17], v[6:7], off
	flat_load_b64 v[6:7], v[21:22]
	s_waitcnt vmcnt(0) lgkmcnt(0)
	v_mul_f64 v[16:17], v[6:7], s[6:7]
.LBB157_123:
	s_delay_alu instid0(VALU_DEP_1) | instskip(SKIP_4) | instid1(VALU_DEP_4)
	v_cvt_f32_f64_e32 v6, v[16:17]
	v_add_nc_u32_e32 v25, 40, v18
	v_max_f32_e32 v7, v132, v132
	v_add_co_u32 v27, vcc_lo, v19, v14
	v_add_co_ci_u32_e32 v28, vcc_lo, v20, v15, vcc_lo
	v_mad_i64_i32 v[16:17], null, v25, s13, 0
	v_mad_i64_i32 v[21:22], null, v25, s12, 0
	s_delay_alu instid0(VALU_DEP_2) | instskip(SKIP_1) | instid1(VALU_DEP_3)
	v_lshlrev_b64 v[25:26], 3, v[16:17]
	v_max_f32_e32 v16, v219, v219
	v_lshlrev_b64 v[21:22], 3, v[21:22]
	s_delay_alu instid0(VALU_DEP_3) | instskip(NEXT) | instid1(VALU_DEP_4)
	v_add_co_u32 v19, vcc_lo, s3, v25
	v_add_co_ci_u32_e32 v20, vcc_lo, s8, v26, vcc_lo
	s_delay_alu instid0(VALU_DEP_3) | instskip(NEXT) | instid1(VALU_DEP_4)
	v_add_co_u32 v21, vcc_lo, s4, v21
	v_add_co_ci_u32_e32 v22, vcc_lo, s5, v22, vcc_lo
	s_mov_b32 vcc_lo, s2
	v_min_f32_e32 v6, v6, v7
	s_delay_alu instid0(VALU_DEP_1)
	v_cvt_f64_f32_e32 v[6:7], v6
	global_store_b64 v[27:28], v[6:7], off
	s_cbranch_vccz .LBB157_126
; %bb.124:
	v_min_f32_e32 v6, 0, v16
	v_add_co_u32 v25, vcc_lo, v19, v0
	v_add_co_ci_u32_e32 v26, vcc_lo, v20, v1, vcc_lo
	s_delay_alu instid0(VALU_DEP_3)
	v_cvt_f64_f32_e32 v[6:7], v6
	s_mov_b64 s[0:1], 0
	global_store_b64 v[25:26], v[6:7], off
	s_cbranch_execz .LBB157_127
; %bb.125:
	v_dual_mov_b32 v17, s1 :: v_dual_mov_b32 v16, s0
	s_branch .LBB157_128
.LBB157_126:
                                        ; implicit-def: $sgpr0_sgpr1
.LBB157_127:
	v_add_co_u32 v6, vcc_lo, v21, v0
	v_add_co_ci_u32_e32 v7, vcc_lo, v22, v1, vcc_lo
	flat_load_b64 v[6:7], v[6:7]
	s_waitcnt vmcnt(0) lgkmcnt(0)
	v_mul_f64 v[6:7], v[6:7], s[6:7]
	s_delay_alu instid0(VALU_DEP_1) | instskip(NEXT) | instid1(VALU_DEP_1)
	v_cvt_f32_f64_e32 v6, v[6:7]
	v_min_f32_e32 v6, v6, v16
	v_add_co_u32 v16, vcc_lo, v19, v0
	v_add_co_ci_u32_e32 v17, vcc_lo, v20, v1, vcc_lo
	s_delay_alu instid0(VALU_DEP_3)
	v_cvt_f64_f32_e32 v[6:7], v6
	v_add_co_u32 v25, vcc_lo, v21, v2
	v_add_co_ci_u32_e32 v26, vcc_lo, v22, v3, vcc_lo
	global_store_b64 v[16:17], v[6:7], off
	flat_load_b64 v[6:7], v[25:26]
	s_waitcnt vmcnt(0) lgkmcnt(0)
	v_mul_f64 v[16:17], v[6:7], s[6:7]
.LBB157_128:
	s_delay_alu instid0(VALU_DEP_1)
	v_cvt_f32_f64_e32 v6, v[16:17]
	v_max_f32_e32 v7, v246, v246
	v_add_co_u32 v25, vcc_lo, v19, v2
	v_add_co_ci_u32_e32 v26, vcc_lo, v20, v3, vcc_lo
	v_max_f32_e32 v16, v218, v218
	s_mov_b32 vcc_lo, s2
	v_min_f32_e32 v6, v6, v7
	s_delay_alu instid0(VALU_DEP_1)
	v_cvt_f64_f32_e32 v[6:7], v6
	global_store_b64 v[25:26], v[6:7], off
	s_cbranch_vccz .LBB157_131
; %bb.129:
	v_min_f32_e32 v6, 0, v16
	v_add_co_u32 v25, vcc_lo, v19, v4
	v_add_co_ci_u32_e32 v26, vcc_lo, v20, v5, vcc_lo
	s_delay_alu instid0(VALU_DEP_3)
	v_cvt_f64_f32_e32 v[6:7], v6
	s_mov_b32 s0, 0
	global_store_b64 v[25:26], v[6:7], off
	s_cbranch_execz .LBB157_132
; %bb.130:
	v_mov_b32_e32 v16, s0
	s_branch .LBB157_133
.LBB157_131:
	s_mov_b32 s0, -1
.LBB157_132:
	v_add_co_u32 v6, vcc_lo, v21, v4
	v_add_co_ci_u32_e32 v7, vcc_lo, v22, v5, vcc_lo
	flat_load_b64 v[6:7], v[6:7]
	s_waitcnt vmcnt(0) lgkmcnt(0)
	v_mul_f64 v[6:7], v[6:7], s[6:7]
	s_delay_alu instid0(VALU_DEP_1) | instskip(NEXT) | instid1(VALU_DEP_1)
	v_cvt_f32_f64_e32 v6, v[6:7]
	v_min_f32_e32 v6, v6, v16
	v_add_co_u32 v16, vcc_lo, v19, v4
	v_add_co_ci_u32_e32 v17, vcc_lo, v20, v5, vcc_lo
	s_delay_alu instid0(VALU_DEP_3)
	v_cvt_f64_f32_e32 v[6:7], v6
	v_add_co_u32 v25, vcc_lo, v21, v23
	v_add_co_ci_u32_e32 v26, vcc_lo, v22, v24, vcc_lo
	global_store_b64 v[16:17], v[6:7], off
	flat_load_b64 v[6:7], v[25:26]
	s_waitcnt vmcnt(0) lgkmcnt(0)
	v_mul_f64 v[6:7], v[6:7], s[6:7]
	s_delay_alu instid0(VALU_DEP_1)
	v_cvt_f32_f64_e32 v16, v[6:7]
.LBB157_133:
	s_delay_alu instid0(VALU_DEP_1)
	v_dual_max_f32 v6, v234, v234 :: v_dual_max_f32 v7, v16, v16
	scratch_load_b32 v16, off, off offset:28 ; 4-byte Folded Reload
	v_add_co_u32 v25, vcc_lo, v19, v23
	v_add_co_ci_u32_e32 v26, vcc_lo, v20, v24, vcc_lo
	v_min_f32_e32 v6, v7, v6
	s_mov_b32 vcc_lo, s2
	s_delay_alu instid0(VALU_DEP_1)
	v_cvt_f64_f32_e32 v[6:7], v6
	global_store_b64 v[25:26], v[6:7], off
	s_waitcnt vmcnt(0)
	v_max_f32_e32 v16, v16, v16
	s_cbranch_vccz .LBB157_136
; %bb.134:
	s_delay_alu instid0(VALU_DEP_1) | instskip(SKIP_2) | instid1(VALU_DEP_3)
	v_min_f32_e32 v6, 0, v16
	v_add_co_u32 v25, vcc_lo, v19, v8
	v_add_co_ci_u32_e32 v26, vcc_lo, v20, v9, vcc_lo
	v_cvt_f64_f32_e32 v[6:7], v6
	s_mov_b32 s0, 0
	global_store_b64 v[25:26], v[6:7], off
	s_cbranch_execz .LBB157_137
; %bb.135:
	v_mov_b32_e32 v16, s0
	s_branch .LBB157_138
.LBB157_136:
	s_mov_b32 s0, -1
.LBB157_137:
	v_add_co_u32 v6, vcc_lo, v21, v8
	v_add_co_ci_u32_e32 v7, vcc_lo, v22, v9, vcc_lo
	flat_load_b64 v[6:7], v[6:7]
	s_waitcnt vmcnt(0) lgkmcnt(0)
	v_mul_f64 v[6:7], v[6:7], s[6:7]
	s_delay_alu instid0(VALU_DEP_1) | instskip(NEXT) | instid1(VALU_DEP_1)
	v_cvt_f32_f64_e32 v6, v[6:7]
	v_min_f32_e32 v6, v6, v16
	v_add_co_u32 v16, vcc_lo, v19, v8
	v_add_co_ci_u32_e32 v17, vcc_lo, v20, v9, vcc_lo
	s_delay_alu instid0(VALU_DEP_3)
	v_cvt_f64_f32_e32 v[6:7], v6
	v_add_co_u32 v25, vcc_lo, v21, v10
	v_add_co_ci_u32_e32 v26, vcc_lo, v22, v11, vcc_lo
	global_store_b64 v[16:17], v[6:7], off
	flat_load_b64 v[6:7], v[25:26]
	s_waitcnt vmcnt(0) lgkmcnt(0)
	v_mul_f64 v[6:7], v[6:7], s[6:7]
	s_delay_alu instid0(VALU_DEP_1)
	v_cvt_f32_f64_e32 v16, v[6:7]
.LBB157_138:
	s_delay_alu instid0(VALU_DEP_1)
	v_dual_max_f32 v6, v238, v238 :: v_dual_max_f32 v7, v16, v16
	scratch_load_b32 v16, off, off offset:24 ; 4-byte Folded Reload
	v_add_co_u32 v25, vcc_lo, v19, v10
	v_add_co_ci_u32_e32 v26, vcc_lo, v20, v11, vcc_lo
	v_min_f32_e32 v6, v7, v6
	s_mov_b32 vcc_lo, s2
	s_delay_alu instid0(VALU_DEP_1)
	v_cvt_f64_f32_e32 v[6:7], v6
	global_store_b64 v[25:26], v[6:7], off
	s_waitcnt vmcnt(0)
	v_max_f32_e32 v16, v16, v16
	s_cbranch_vccz .LBB157_141
; %bb.139:
	s_delay_alu instid0(VALU_DEP_1) | instskip(SKIP_2) | instid1(VALU_DEP_3)
	v_min_f32_e32 v6, 0, v16
	v_add_co_u32 v25, vcc_lo, v19, v12
	v_add_co_ci_u32_e32 v26, vcc_lo, v20, v13, vcc_lo
	v_cvt_f64_f32_e32 v[6:7], v6
	s_mov_b32 s0, 0
	global_store_b64 v[25:26], v[6:7], off
	s_cbranch_execz .LBB157_142
; %bb.140:
	v_mov_b32_e32 v16, s0
	s_branch .LBB157_143
.LBB157_141:
	s_mov_b32 s0, -1
.LBB157_142:
	v_add_co_u32 v6, vcc_lo, v21, v12
	v_add_co_ci_u32_e32 v7, vcc_lo, v22, v13, vcc_lo
	flat_load_b64 v[6:7], v[6:7]
	s_waitcnt vmcnt(0) lgkmcnt(0)
	v_mul_f64 v[6:7], v[6:7], s[6:7]
	s_delay_alu instid0(VALU_DEP_1) | instskip(NEXT) | instid1(VALU_DEP_1)
	v_cvt_f32_f64_e32 v6, v[6:7]
	v_min_f32_e32 v6, v6, v16
	v_add_co_u32 v16, vcc_lo, v19, v12
	v_add_co_ci_u32_e32 v17, vcc_lo, v20, v13, vcc_lo
	s_delay_alu instid0(VALU_DEP_3)
	v_cvt_f64_f32_e32 v[6:7], v6
	v_add_co_u32 v21, vcc_lo, v21, v14
	v_add_co_ci_u32_e32 v22, vcc_lo, v22, v15, vcc_lo
	global_store_b64 v[16:17], v[6:7], off
	flat_load_b64 v[6:7], v[21:22]
	s_waitcnt vmcnt(0) lgkmcnt(0)
	v_mul_f64 v[6:7], v[6:7], s[6:7]
	s_delay_alu instid0(VALU_DEP_1)
	v_cvt_f32_f64_e32 v16, v[6:7]
.LBB157_143:
	v_dual_max_f32 v6, v196, v196 :: v_dual_add_nc_u32 v21, 48, v18
	s_delay_alu instid0(VALU_DEP_2) | instskip(SKIP_2) | instid1(VALU_DEP_3)
	v_max_f32_e32 v7, v16, v16
	v_add_co_u32 v27, vcc_lo, v19, v14
	v_add_co_ci_u32_e32 v28, vcc_lo, v20, v15, vcc_lo
	v_min_f32_e32 v6, v7, v6
	v_mad_i64_i32 v[16:17], null, v21, s13, 0
	v_mad_i64_i32 v[25:26], null, v21, s12, 0
	s_delay_alu instid0(VALU_DEP_3) | instskip(SKIP_1) | instid1(VALU_DEP_4)
	v_cvt_f64_f32_e32 v[6:7], v6
	v_max_f32_e32 v21, v79, v79
	v_lshlrev_b64 v[16:17], 3, v[16:17]
	s_delay_alu instid0(VALU_DEP_4) | instskip(NEXT) | instid1(VALU_DEP_2)
	v_lshlrev_b64 v[19:20], 3, v[25:26]
	v_add_co_u32 v16, vcc_lo, s3, v16
	s_delay_alu instid0(VALU_DEP_3) | instskip(NEXT) | instid1(VALU_DEP_3)
	v_add_co_ci_u32_e32 v17, vcc_lo, s8, v17, vcc_lo
	v_add_co_u32 v19, vcc_lo, s4, v19
	s_delay_alu instid0(VALU_DEP_4)
	v_add_co_ci_u32_e32 v20, vcc_lo, s5, v20, vcc_lo
	s_mov_b32 vcc_lo, s2
	global_store_b64 v[27:28], v[6:7], off
	s_cbranch_vccz .LBB157_146
; %bb.144:
	v_min_f32_e32 v6, 0, v21
	v_add_co_u32 v25, vcc_lo, v16, v0
	v_add_co_ci_u32_e32 v26, vcc_lo, v17, v1, vcc_lo
	s_delay_alu instid0(VALU_DEP_3)
	v_cvt_f64_f32_e32 v[6:7], v6
	s_mov_b32 s0, 0
	global_store_b64 v[25:26], v[6:7], off
	s_cbranch_execz .LBB157_147
; %bb.145:
	v_mov_b32_e32 v21, s0
	s_branch .LBB157_148
.LBB157_146:
	s_mov_b32 s0, -1
.LBB157_147:
	v_add_co_u32 v6, vcc_lo, v19, v0
	v_add_co_ci_u32_e32 v7, vcc_lo, v20, v1, vcc_lo
	flat_load_b64 v[6:7], v[6:7]
	s_waitcnt vmcnt(0) lgkmcnt(0)
	v_mul_f64 v[6:7], v[6:7], s[6:7]
	s_delay_alu instid0(VALU_DEP_1) | instskip(NEXT) | instid1(VALU_DEP_1)
	v_cvt_f32_f64_e32 v6, v[6:7]
	v_min_f32_e32 v6, v6, v21
	v_add_co_u32 v21, vcc_lo, v16, v0
	v_add_co_ci_u32_e32 v22, vcc_lo, v17, v1, vcc_lo
	s_delay_alu instid0(VALU_DEP_3)
	v_cvt_f64_f32_e32 v[6:7], v6
	v_add_co_u32 v25, vcc_lo, v19, v2
	v_add_co_ci_u32_e32 v26, vcc_lo, v20, v3, vcc_lo
	global_store_b64 v[21:22], v[6:7], off
	flat_load_b64 v[6:7], v[25:26]
	s_waitcnt vmcnt(0) lgkmcnt(0)
	v_mul_f64 v[6:7], v[6:7], s[6:7]
	s_delay_alu instid0(VALU_DEP_1)
	v_cvt_f32_f64_e32 v21, v[6:7]
.LBB157_148:
	scratch_load_b32 v6, off, off offset:20 ; 4-byte Folded Reload
	v_add_co_u32 v25, vcc_lo, v16, v2
	v_add_co_ci_u32_e32 v26, vcc_lo, v17, v3, vcc_lo
	s_mov_b32 vcc_lo, s2
	v_max_f32_e32 v7, v21, v21
	s_waitcnt vmcnt(0)
	v_dual_max_f32 v21, v127, v127 :: v_dual_max_f32 v6, v6, v6
	s_delay_alu instid0(VALU_DEP_1) | instskip(NEXT) | instid1(VALU_DEP_1)
	v_min_f32_e32 v6, v7, v6
	v_cvt_f64_f32_e32 v[6:7], v6
	global_store_b64 v[25:26], v[6:7], off
	s_cbranch_vccz .LBB157_151
; %bb.149:
	v_min_f32_e32 v6, 0, v21
	v_add_co_u32 v25, vcc_lo, v16, v4
	v_add_co_ci_u32_e32 v26, vcc_lo, v17, v5, vcc_lo
	s_delay_alu instid0(VALU_DEP_3)
	v_cvt_f64_f32_e32 v[6:7], v6
	s_mov_b32 s0, 0
	global_store_b64 v[25:26], v[6:7], off
	s_cbranch_execz .LBB157_152
; %bb.150:
	v_mov_b32_e32 v21, s0
	s_branch .LBB157_153
.LBB157_151:
	s_mov_b32 s0, -1
.LBB157_152:
	v_add_co_u32 v6, vcc_lo, v19, v4
	v_add_co_ci_u32_e32 v7, vcc_lo, v20, v5, vcc_lo
	flat_load_b64 v[6:7], v[6:7]
	s_waitcnt vmcnt(0) lgkmcnt(0)
	v_mul_f64 v[6:7], v[6:7], s[6:7]
	s_delay_alu instid0(VALU_DEP_1) | instskip(NEXT) | instid1(VALU_DEP_1)
	v_cvt_f32_f64_e32 v6, v[6:7]
	v_min_f32_e32 v6, v6, v21
	v_add_co_u32 v21, vcc_lo, v16, v4
	v_add_co_ci_u32_e32 v22, vcc_lo, v17, v5, vcc_lo
	s_delay_alu instid0(VALU_DEP_3)
	v_cvt_f64_f32_e32 v[6:7], v6
	v_add_co_u32 v25, vcc_lo, v19, v23
	v_add_co_ci_u32_e32 v26, vcc_lo, v20, v24, vcc_lo
	global_store_b64 v[21:22], v[6:7], off
	flat_load_b64 v[6:7], v[25:26]
	s_waitcnt vmcnt(0) lgkmcnt(0)
	v_mul_f64 v[6:7], v[6:7], s[6:7]
	s_delay_alu instid0(VALU_DEP_1)
	v_cvt_f32_f64_e32 v21, v[6:7]
.LBB157_153:
	s_delay_alu instid0(VALU_DEP_1) | instskip(SKIP_4) | instid1(VALU_DEP_3)
	v_max_f32_e32 v7, v21, v21
	scratch_load_b32 v21, off, off offset:12 ; 4-byte Folded Reload
	v_max_f32_e32 v6, v125, v125
	v_add_co_u32 v25, vcc_lo, v16, v23
	v_add_co_ci_u32_e32 v26, vcc_lo, v17, v24, vcc_lo
	v_min_f32_e32 v6, v7, v6
	s_mov_b32 vcc_lo, s2
	s_waitcnt vmcnt(0)
	v_max_f32_e32 v21, v21, v21
	s_delay_alu instid0(VALU_DEP_2)
	v_cvt_f64_f32_e32 v[6:7], v6
	global_store_b64 v[25:26], v[6:7], off
	s_cbranch_vccz .LBB157_156
; %bb.154:
	v_min_f32_e32 v6, 0, v21
	v_add_co_u32 v25, vcc_lo, v16, v8
	v_add_co_ci_u32_e32 v26, vcc_lo, v17, v9, vcc_lo
	s_delay_alu instid0(VALU_DEP_3)
	v_cvt_f64_f32_e32 v[6:7], v6
	s_mov_b32 s0, 0
	global_store_b64 v[25:26], v[6:7], off
	s_cbranch_execz .LBB157_157
; %bb.155:
	v_mov_b32_e32 v21, s0
	s_branch .LBB157_158
.LBB157_156:
	s_mov_b32 s0, -1
.LBB157_157:
	v_add_co_u32 v6, vcc_lo, v19, v8
	v_add_co_ci_u32_e32 v7, vcc_lo, v20, v9, vcc_lo
	flat_load_b64 v[6:7], v[6:7]
	s_waitcnt vmcnt(0) lgkmcnt(0)
	v_mul_f64 v[6:7], v[6:7], s[6:7]
	s_delay_alu instid0(VALU_DEP_1) | instskip(NEXT) | instid1(VALU_DEP_1)
	v_cvt_f32_f64_e32 v6, v[6:7]
	v_min_f32_e32 v6, v6, v21
	v_add_co_u32 v21, vcc_lo, v16, v8
	v_add_co_ci_u32_e32 v22, vcc_lo, v17, v9, vcc_lo
	s_delay_alu instid0(VALU_DEP_3)
	v_cvt_f64_f32_e32 v[6:7], v6
	v_add_co_u32 v25, vcc_lo, v19, v10
	v_add_co_ci_u32_e32 v26, vcc_lo, v20, v11, vcc_lo
	global_store_b64 v[21:22], v[6:7], off
	flat_load_b64 v[6:7], v[25:26]
	s_waitcnt vmcnt(0) lgkmcnt(0)
	v_mul_f64 v[6:7], v[6:7], s[6:7]
	s_delay_alu instid0(VALU_DEP_1)
	v_cvt_f32_f64_e32 v21, v[6:7]
.LBB157_158:
	s_delay_alu instid0(VALU_DEP_1)
	v_dual_max_f32 v6, v123, v123 :: v_dual_max_f32 v7, v21, v21
	scratch_load_b32 v21, off, off offset:16 ; 4-byte Folded Reload
	v_add_co_u32 v25, vcc_lo, v16, v10
	v_add_co_ci_u32_e32 v26, vcc_lo, v17, v11, vcc_lo
	v_min_f32_e32 v6, v7, v6
	s_mov_b32 vcc_lo, s2
	s_waitcnt vmcnt(0)
	v_max_f32_e32 v21, v21, v21
	s_delay_alu instid0(VALU_DEP_2)
	v_cvt_f64_f32_e32 v[6:7], v6
	global_store_b64 v[25:26], v[6:7], off
	s_cbranch_vccz .LBB157_161
; %bb.159:
	v_min_f32_e32 v6, 0, v21
	v_add_co_u32 v25, vcc_lo, v16, v12
	v_add_co_ci_u32_e32 v26, vcc_lo, v17, v13, vcc_lo
	s_delay_alu instid0(VALU_DEP_3)
	v_cvt_f64_f32_e32 v[6:7], v6
	s_mov_b32 s0, 0
	global_store_b64 v[25:26], v[6:7], off
	s_cbranch_execz .LBB157_162
; %bb.160:
	v_mov_b32_e32 v19, s0
	s_branch .LBB157_163
.LBB157_161:
	s_mov_b32 s0, -1
.LBB157_162:
	v_add_co_u32 v6, vcc_lo, v19, v12
	v_add_co_ci_u32_e32 v7, vcc_lo, v20, v13, vcc_lo
	flat_load_b64 v[6:7], v[6:7]
	s_waitcnt vmcnt(0) lgkmcnt(0)
	v_mul_f64 v[6:7], v[6:7], s[6:7]
	s_delay_alu instid0(VALU_DEP_1) | instskip(NEXT) | instid1(VALU_DEP_1)
	v_cvt_f32_f64_e32 v6, v[6:7]
	v_min_f32_e32 v6, v6, v21
	v_add_co_u32 v21, vcc_lo, v16, v12
	v_add_co_ci_u32_e32 v22, vcc_lo, v17, v13, vcc_lo
	s_delay_alu instid0(VALU_DEP_3)
	v_cvt_f64_f32_e32 v[6:7], v6
	v_add_co_u32 v19, vcc_lo, v19, v14
	v_add_co_ci_u32_e32 v20, vcc_lo, v20, v15, vcc_lo
	global_store_b64 v[21:22], v[6:7], off
	flat_load_b64 v[6:7], v[19:20]
	s_waitcnt vmcnt(0) lgkmcnt(0)
	v_mul_f64 v[6:7], v[6:7], s[6:7]
	s_delay_alu instid0(VALU_DEP_1)
	v_cvt_f32_f64_e32 v19, v[6:7]
.LBB157_163:
	v_add_co_u32 v25, vcc_lo, v16, v14
	scratch_load_b32 v16, off, off offset:8 ; 4-byte Folded Reload
	v_dual_max_f32 v6, v121, v121 :: v_dual_max_f32 v7, v19, v19
	v_add_nc_u32_e32 v20, 56, v18
	v_add_co_ci_u32_e32 v26, vcc_lo, v17, v15, vcc_lo
	s_delay_alu instid0(VALU_DEP_3) | instskip(NEXT) | instid1(VALU_DEP_3)
	v_min_f32_e32 v6, v7, v6
	v_mad_i64_i32 v[18:19], null, v20, s13, 0
	v_mad_i64_i32 v[21:22], null, v20, s12, 0
	s_delay_alu instid0(VALU_DEP_3) | instskip(NEXT) | instid1(VALU_DEP_3)
	v_cvt_f64_f32_e32 v[6:7], v6
	v_lshlrev_b64 v[18:19], 3, v[18:19]
	s_delay_alu instid0(VALU_DEP_3)
	v_lshlrev_b64 v[21:22], 3, v[21:22]
	global_store_b64 v[25:26], v[6:7], off
	s_waitcnt vmcnt(0)
	v_max_f32_e32 v20, v16, v16
	v_add_co_u32 v16, vcc_lo, s3, v18
	v_add_co_ci_u32_e32 v17, vcc_lo, s8, v19, vcc_lo
	v_add_co_u32 v18, vcc_lo, s4, v21
	v_add_co_ci_u32_e32 v19, vcc_lo, s5, v22, vcc_lo
	s_mov_b32 vcc_lo, s2
	s_cbranch_vccz .LBB157_166
; %bb.164:
	v_min_f32_e32 v6, 0, v20
	v_add_co_u32 v21, vcc_lo, v16, v0
	v_add_co_ci_u32_e32 v22, vcc_lo, v17, v1, vcc_lo
	s_delay_alu instid0(VALU_DEP_3)
	v_cvt_f64_f32_e32 v[6:7], v6
	s_mov_b32 s0, 0
	global_store_b64 v[21:22], v[6:7], off
	s_cbranch_execz .LBB157_167
; %bb.165:
	v_mov_b32_e32 v0, s0
	s_branch .LBB157_168
.LBB157_166:
	s_mov_b32 s0, -1
.LBB157_167:
	v_add_co_u32 v6, vcc_lo, v18, v0
	v_add_co_ci_u32_e32 v7, vcc_lo, v19, v1, vcc_lo
	v_add_co_u32 v0, vcc_lo, v16, v0
	v_add_co_ci_u32_e32 v1, vcc_lo, v17, v1, vcc_lo
	flat_load_b64 v[6:7], v[6:7]
	s_waitcnt vmcnt(0) lgkmcnt(0)
	v_mul_f64 v[6:7], v[6:7], s[6:7]
	s_delay_alu instid0(VALU_DEP_1) | instskip(NEXT) | instid1(VALU_DEP_1)
	v_cvt_f32_f64_e32 v6, v[6:7]
	v_min_f32_e32 v6, v6, v20
	v_add_co_u32 v20, vcc_lo, v18, v2
	v_add_co_ci_u32_e32 v21, vcc_lo, v19, v3, vcc_lo
	s_delay_alu instid0(VALU_DEP_3) | instskip(SKIP_4) | instid1(VALU_DEP_1)
	v_cvt_f64_f32_e32 v[6:7], v6
	global_store_b64 v[0:1], v[6:7], off
	flat_load_b64 v[0:1], v[20:21]
	s_waitcnt vmcnt(0) lgkmcnt(0)
	v_mul_f64 v[0:1], v[0:1], s[6:7]
	v_cvt_f32_f64_e32 v0, v[0:1]
.LBB157_168:
	s_delay_alu instid0(VALU_DEP_1) | instskip(NEXT) | instid1(VALU_DEP_1)
	v_dual_max_f32 v1, v119, v119 :: v_dual_max_f32 v0, v0, v0
	v_min_f32_e32 v0, v0, v1
	v_add_co_u32 v1, vcc_lo, v16, v2
	v_add_co_ci_u32_e32 v2, vcc_lo, v17, v3, vcc_lo
	s_delay_alu instid0(VALU_DEP_3)
	v_cvt_f64_f32_e32 v[6:7], v0
	v_max_f32_e32 v0, v126, v126
	s_mov_b32 vcc_lo, s2
	global_store_b64 v[1:2], v[6:7], off
	s_cbranch_vccz .LBB157_171
; %bb.169:
	v_min_f32_e32 v1, 0, v0
	v_add_co_u32 v6, vcc_lo, v16, v4
	v_add_co_ci_u32_e32 v7, vcc_lo, v17, v5, vcc_lo
	s_delay_alu instid0(VALU_DEP_3)
	v_cvt_f64_f32_e32 v[1:2], v1
	s_mov_b32 s0, 0
	global_store_b64 v[6:7], v[1:2], off
	s_cbranch_execz .LBB157_172
; %bb.170:
	v_mov_b32_e32 v0, s0
	s_branch .LBB157_173
.LBB157_171:
	s_mov_b32 s0, -1
.LBB157_172:
	v_add_co_u32 v1, vcc_lo, v18, v4
	v_add_co_ci_u32_e32 v2, vcc_lo, v19, v5, vcc_lo
	flat_load_b64 v[1:2], v[1:2]
	s_waitcnt vmcnt(0) lgkmcnt(0)
	v_mul_f64 v[1:2], v[1:2], s[6:7]
	s_delay_alu instid0(VALU_DEP_1)
	v_cvt_f32_f64_e32 v1, v[1:2]
	v_add_co_u32 v2, vcc_lo, v16, v4
	v_add_co_ci_u32_e32 v3, vcc_lo, v17, v5, vcc_lo
	v_add_co_u32 v4, vcc_lo, v18, v23
	v_add_co_ci_u32_e32 v5, vcc_lo, v19, v24, vcc_lo
	v_min_f32_e32 v0, v1, v0
	s_delay_alu instid0(VALU_DEP_1) | instskip(SKIP_4) | instid1(VALU_DEP_1)
	v_cvt_f64_f32_e32 v[0:1], v0
	global_store_b64 v[2:3], v[0:1], off
	flat_load_b64 v[0:1], v[4:5]
	s_waitcnt vmcnt(0) lgkmcnt(0)
	v_mul_f64 v[0:1], v[0:1], s[6:7]
	v_cvt_f32_f64_e32 v0, v[0:1]
.LBB157_173:
	s_delay_alu instid0(VALU_DEP_1) | instskip(SKIP_2) | instid1(VALU_DEP_3)
	v_dual_max_f32 v1, v118, v118 :: v_dual_max_f32 v0, v0, v0
	v_add_co_u32 v3, vcc_lo, v16, v23
	v_add_co_ci_u32_e32 v4, vcc_lo, v17, v24, vcc_lo
	v_min_f32_e32 v0, v0, v1
	s_mov_b32 vcc_lo, s2
	s_delay_alu instid0(VALU_DEP_1)
	v_cvt_f64_f32_e32 v[1:2], v0
	scratch_load_b32 v0, off, off offset:4  ; 4-byte Folded Reload
	global_store_b64 v[3:4], v[1:2], off
	s_waitcnt vmcnt(0)
	v_max_f32_e32 v0, v0, v0
	s_cbranch_vccz .LBB157_176
; %bb.174:
	s_delay_alu instid0(VALU_DEP_1) | instskip(SKIP_2) | instid1(VALU_DEP_3)
	v_min_f32_e32 v1, 0, v0
	v_add_co_u32 v3, vcc_lo, v16, v8
	v_add_co_ci_u32_e32 v4, vcc_lo, v17, v9, vcc_lo
	v_cvt_f64_f32_e32 v[1:2], v1
	s_mov_b32 s0, 0
	global_store_b64 v[3:4], v[1:2], off
	s_cbranch_execz .LBB157_177
; %bb.175:
	v_mov_b32_e32 v0, s0
	s_branch .LBB157_178
.LBB157_176:
	s_mov_b32 s0, -1
.LBB157_177:
	v_add_co_u32 v1, vcc_lo, v18, v8
	v_add_co_ci_u32_e32 v2, vcc_lo, v19, v9, vcc_lo
	flat_load_b64 v[1:2], v[1:2]
	s_waitcnt vmcnt(0) lgkmcnt(0)
	v_mul_f64 v[1:2], v[1:2], s[6:7]
	s_delay_alu instid0(VALU_DEP_1)
	v_cvt_f32_f64_e32 v1, v[1:2]
	v_add_co_u32 v2, vcc_lo, v16, v8
	v_add_co_ci_u32_e32 v3, vcc_lo, v17, v9, vcc_lo
	v_add_co_u32 v4, vcc_lo, v18, v10
	v_add_co_ci_u32_e32 v5, vcc_lo, v19, v11, vcc_lo
	v_min_f32_e32 v0, v1, v0
	s_delay_alu instid0(VALU_DEP_1) | instskip(SKIP_4) | instid1(VALU_DEP_1)
	v_cvt_f64_f32_e32 v[0:1], v0
	global_store_b64 v[2:3], v[0:1], off
	flat_load_b64 v[0:1], v[4:5]
	s_waitcnt vmcnt(0) lgkmcnt(0)
	v_mul_f64 v[0:1], v[0:1], s[6:7]
	v_cvt_f32_f64_e32 v0, v[0:1]
.LBB157_178:
	v_max_f32_e32 v1, v248, v248
	s_delay_alu instid0(VALU_DEP_2) | instskip(SKIP_2) | instid1(VALU_DEP_3)
	v_max_f32_e32 v0, v0, v0
	v_add_co_u32 v3, vcc_lo, v16, v10
	v_add_co_ci_u32_e32 v4, vcc_lo, v17, v11, vcc_lo
	v_min_f32_e32 v0, v0, v1
	s_mov_b32 vcc_lo, s2
	s_delay_alu instid0(VALU_DEP_1)
	v_cvt_f64_f32_e32 v[1:2], v0
	v_max_f32_e32 v0, v247, v247
	global_store_b64 v[3:4], v[1:2], off
	s_cbranch_vccz .LBB157_181
; %bb.179:
	v_min_f32_e32 v1, 0, v0
	v_add_co_u32 v3, vcc_lo, v16, v12
	v_add_co_ci_u32_e32 v4, vcc_lo, v17, v13, vcc_lo
	s_delay_alu instid0(VALU_DEP_3)
	v_cvt_f64_f32_e32 v[1:2], v1
	s_mov_b32 s0, 0
	global_store_b64 v[3:4], v[1:2], off
	s_cbranch_execz .LBB157_182
; %bb.180:
	v_mov_b32_e32 v0, s0
	s_branch .LBB157_183
.LBB157_181:
	s_mov_b32 s0, -1
.LBB157_182:
	v_add_co_u32 v1, vcc_lo, v18, v12
	v_add_co_ci_u32_e32 v2, vcc_lo, v19, v13, vcc_lo
	flat_load_b64 v[1:2], v[1:2]
	s_waitcnt vmcnt(0) lgkmcnt(0)
	v_mul_f64 v[1:2], v[1:2], s[6:7]
	s_delay_alu instid0(VALU_DEP_1)
	v_cvt_f32_f64_e32 v1, v[1:2]
	v_add_co_u32 v2, vcc_lo, v16, v12
	v_add_co_ci_u32_e32 v3, vcc_lo, v17, v13, vcc_lo
	v_add_co_u32 v4, vcc_lo, v18, v14
	v_add_co_ci_u32_e32 v5, vcc_lo, v19, v15, vcc_lo
	v_min_f32_e32 v0, v1, v0
	s_delay_alu instid0(VALU_DEP_1) | instskip(SKIP_4) | instid1(VALU_DEP_1)
	v_cvt_f64_f32_e32 v[0:1], v0
	global_store_b64 v[2:3], v[0:1], off
	flat_load_b64 v[0:1], v[4:5]
	s_waitcnt vmcnt(0) lgkmcnt(0)
	v_mul_f64 v[0:1], v[0:1], s[6:7]
	v_cvt_f32_f64_e32 v0, v[0:1]
.LBB157_183:
	scratch_load_b32 v1, off, off           ; 4-byte Folded Reload
	v_add_co_u32 v2, vcc_lo, v16, v14
	v_add_co_ci_u32_e32 v3, vcc_lo, v17, v15, vcc_lo
	s_waitcnt vmcnt(0)
	v_dual_max_f32 v0, v0, v0 :: v_dual_max_f32 v1, v1, v1
	s_delay_alu instid0(VALU_DEP_1) | instskip(NEXT) | instid1(VALU_DEP_1)
	v_min_f32_e32 v0, v0, v1
	v_cvt_f64_f32_e32 v[0:1], v0
	global_store_b64 v[2:3], v[0:1], off
	s_endpgm
	.section	.rodata,"a",@progbits
	.p2align	6, 0x0
	.amdhsa_kernel _ZN12_GLOBAL__N_120geam_min_plus_kernelId15HIP_vector_typeIdLj2EEdLi32ELi8ELi256ELi64ELi4ELi64ELi4ELi4ELi64ELc78ELc78ELb1ELb0ELb1EdKddEEviiiT16_PT17_ilS6_ilS4_S6_ilPT18_ili26rocblas_geam_ex_operation_
		.amdhsa_group_segment_fixed_size 20480
		.amdhsa_private_segment_fixed_size 404
		.amdhsa_kernarg_size 136
		.amdhsa_user_sgpr_count 14
		.amdhsa_user_sgpr_dispatch_ptr 0
		.amdhsa_user_sgpr_queue_ptr 0
		.amdhsa_user_sgpr_kernarg_segment_ptr 1
		.amdhsa_user_sgpr_dispatch_id 0
		.amdhsa_user_sgpr_private_segment_size 0
		.amdhsa_wavefront_size32 1
		.amdhsa_uses_dynamic_stack 0
		.amdhsa_enable_private_segment 1
		.amdhsa_system_sgpr_workgroup_id_x 1
		.amdhsa_system_sgpr_workgroup_id_y 0
		.amdhsa_system_sgpr_workgroup_id_z 1
		.amdhsa_system_sgpr_workgroup_info 0
		.amdhsa_system_vgpr_workitem_id 1
		.amdhsa_next_free_vgpr 256
		.amdhsa_next_free_sgpr 24
		.amdhsa_reserve_vcc 1
		.amdhsa_float_round_mode_32 0
		.amdhsa_float_round_mode_16_64 0
		.amdhsa_float_denorm_mode_32 3
		.amdhsa_float_denorm_mode_16_64 3
		.amdhsa_dx10_clamp 1
		.amdhsa_ieee_mode 1
		.amdhsa_fp16_overflow 0
		.amdhsa_workgroup_processor_mode 1
		.amdhsa_memory_ordered 1
		.amdhsa_forward_progress 0
		.amdhsa_shared_vgpr_count 0
		.amdhsa_exception_fp_ieee_invalid_op 0
		.amdhsa_exception_fp_denorm_src 0
		.amdhsa_exception_fp_ieee_div_zero 0
		.amdhsa_exception_fp_ieee_overflow 0
		.amdhsa_exception_fp_ieee_underflow 0
		.amdhsa_exception_fp_ieee_inexact 0
		.amdhsa_exception_int_div_zero 0
	.end_amdhsa_kernel
	.section	.text._ZN12_GLOBAL__N_120geam_min_plus_kernelId15HIP_vector_typeIdLj2EEdLi32ELi8ELi256ELi64ELi4ELi64ELi4ELi4ELi64ELc78ELc78ELb1ELb0ELb1EdKddEEviiiT16_PT17_ilS6_ilS4_S6_ilPT18_ili26rocblas_geam_ex_operation_,"axG",@progbits,_ZN12_GLOBAL__N_120geam_min_plus_kernelId15HIP_vector_typeIdLj2EEdLi32ELi8ELi256ELi64ELi4ELi64ELi4ELi4ELi64ELc78ELc78ELb1ELb0ELb1EdKddEEviiiT16_PT17_ilS6_ilS4_S6_ilPT18_ili26rocblas_geam_ex_operation_,comdat
.Lfunc_end157:
	.size	_ZN12_GLOBAL__N_120geam_min_plus_kernelId15HIP_vector_typeIdLj2EEdLi32ELi8ELi256ELi64ELi4ELi64ELi4ELi4ELi64ELc78ELc78ELb1ELb0ELb1EdKddEEviiiT16_PT17_ilS6_ilS4_S6_ilPT18_ili26rocblas_geam_ex_operation_, .Lfunc_end157-_ZN12_GLOBAL__N_120geam_min_plus_kernelId15HIP_vector_typeIdLj2EEdLi32ELi8ELi256ELi64ELi4ELi64ELi4ELi4ELi64ELc78ELc78ELb1ELb0ELb1EdKddEEviiiT16_PT17_ilS6_ilS4_S6_ilPT18_ili26rocblas_geam_ex_operation_
                                        ; -- End function
	.section	.AMDGPU.csdata,"",@progbits
; Kernel info:
; codeLenInByte = 23412
; NumSgprs: 26
; NumVgprs: 256
; ScratchSize: 404
; MemoryBound: 0
; FloatMode: 240
; IeeeMode: 1
; LDSByteSize: 20480 bytes/workgroup (compile time only)
; SGPRBlocks: 3
; VGPRBlocks: 31
; NumSGPRsForWavesPerEU: 26
; NumVGPRsForWavesPerEU: 256
; Occupancy: 5
; WaveLimiterHint : 1
; COMPUTE_PGM_RSRC2:SCRATCH_EN: 1
; COMPUTE_PGM_RSRC2:USER_SGPR: 14
; COMPUTE_PGM_RSRC2:TRAP_HANDLER: 0
; COMPUTE_PGM_RSRC2:TGID_X_EN: 1
; COMPUTE_PGM_RSRC2:TGID_Y_EN: 0
; COMPUTE_PGM_RSRC2:TGID_Z_EN: 1
; COMPUTE_PGM_RSRC2:TIDIG_COMP_CNT: 1
	.section	.text._ZN12_GLOBAL__N_120geam_min_plus_kernelId15HIP_vector_typeIdLj2EEdLi32ELi8ELi256ELi64ELi4ELi64ELi4ELi4ELi64ELc78ELc78ELb0ELb0ELb1EdKddEEviiiT16_PT17_ilS6_ilS4_S6_ilPT18_ili26rocblas_geam_ex_operation_,"axG",@progbits,_ZN12_GLOBAL__N_120geam_min_plus_kernelId15HIP_vector_typeIdLj2EEdLi32ELi8ELi256ELi64ELi4ELi64ELi4ELi4ELi64ELc78ELc78ELb0ELb0ELb1EdKddEEviiiT16_PT17_ilS6_ilS4_S6_ilPT18_ili26rocblas_geam_ex_operation_,comdat
	.globl	_ZN12_GLOBAL__N_120geam_min_plus_kernelId15HIP_vector_typeIdLj2EEdLi32ELi8ELi256ELi64ELi4ELi64ELi4ELi4ELi64ELc78ELc78ELb0ELb0ELb1EdKddEEviiiT16_PT17_ilS6_ilS4_S6_ilPT18_ili26rocblas_geam_ex_operation_ ; -- Begin function _ZN12_GLOBAL__N_120geam_min_plus_kernelId15HIP_vector_typeIdLj2EEdLi32ELi8ELi256ELi64ELi4ELi64ELi4ELi4ELi64ELc78ELc78ELb0ELb0ELb1EdKddEEviiiT16_PT17_ilS6_ilS4_S6_ilPT18_ili26rocblas_geam_ex_operation_
	.p2align	8
	.type	_ZN12_GLOBAL__N_120geam_min_plus_kernelId15HIP_vector_typeIdLj2EEdLi32ELi8ELi256ELi64ELi4ELi64ELi4ELi4ELi64ELc78ELc78ELb0ELb0ELb1EdKddEEviiiT16_PT17_ilS6_ilS4_S6_ilPT18_ili26rocblas_geam_ex_operation_,@function
_ZN12_GLOBAL__N_120geam_min_plus_kernelId15HIP_vector_typeIdLj2EEdLi32ELi8ELi256ELi64ELi4ELi64ELi4ELi4ELi64ELc78ELc78ELb0ELb0ELb1EdKddEEviiiT16_PT17_ilS6_ilS4_S6_ilPT18_ili26rocblas_geam_ex_operation_: ; @_ZN12_GLOBAL__N_120geam_min_plus_kernelId15HIP_vector_typeIdLj2EEdLi32ELi8ELi256ELi64ELi4ELi64ELi4ELi4ELi64ELc78ELc78ELb0ELb0ELb1EdKddEEviiiT16_PT17_ilS6_ilS4_S6_ilPT18_ili26rocblas_geam_ex_operation_
; %bb.0:
	s_clause 0x1
	s_load_b128 s[16:19], s[0:1], 0x10
	s_load_b128 s[8:11], s[0:1], 0x28
	s_mov_b64 s[12:13], 0
	s_waitcnt lgkmcnt(0)
	v_cmp_eq_f64_e64 s2, s[16:17], 0
	s_delay_alu instid0(VALU_DEP_1)
	s_and_b32 vcc_lo, exec_lo, s2
	s_cbranch_vccnz .LBB158_2
; %bb.1:
	s_mul_i32 s3, s15, s9
	s_mul_hi_u32 s4, s15, s8
	s_delay_alu instid0(SALU_CYCLE_1) | instskip(SKIP_1) | instid1(SALU_CYCLE_1)
	s_add_i32 s5, s4, s3
	s_mul_i32 s4, s15, s8
	s_lshl_b64 s[4:5], s[4:5], 3
	s_delay_alu instid0(SALU_CYCLE_1)
	s_add_u32 s12, s18, s4
	s_addc_u32 s13, s19, s5
.LBB158_2:
	s_clause 0x1
	s_load_b128 s[4:7], s[0:1], 0x40
	s_load_b64 s[20:21], s[0:1], 0x50
	s_and_not1_b32 vcc_lo, exec_lo, s2
	s_cbranch_vccnz .LBB158_4
; %bb.3:
	s_mov_b32 s22, 0
	s_mov_b64 s[18:19], 0
	s_cbranch_execz .LBB158_5
	s_branch .LBB158_6
.LBB158_4:
	s_mov_b32 s22, -1
                                        ; implicit-def: $sgpr18_sgpr19
.LBB158_5:
	s_waitcnt lgkmcnt(0)
	s_mul_i32 s2, s15, s5
	s_mul_hi_u32 s3, s15, s4
	s_mov_b32 s22, 0
	s_add_i32 s3, s3, s2
	s_mul_i32 s2, s15, s4
	s_delay_alu instid0(SALU_CYCLE_1) | instskip(NEXT) | instid1(SALU_CYCLE_1)
	s_lshl_b64 s[2:3], s[2:3], 3
	s_add_u32 s18, s10, s2
	s_addc_u32 s19, s11, s3
.LBB158_6:
	s_waitcnt lgkmcnt(0)
	v_cmp_eq_f64_e64 s2, s[6:7], 0
	v_cmp_neq_f64_e64 s23, s[16:17], 0
	s_load_b128 s[8:11], s[0:1], 0x60
	s_mov_b64 s[4:5], 0
	s_delay_alu instid0(VALU_DEP_2) | instskip(NEXT) | instid1(SALU_CYCLE_1)
	s_and_b32 s2, exec_lo, s2
	s_mov_b32 vcc_lo, s2
	s_cbranch_vccnz .LBB158_8
; %bb.7:
	s_waitcnt lgkmcnt(0)
	s_mul_i32 s3, s15, s9
	s_mul_hi_u32 s4, s15, s8
	s_mul_i32 s5, s22, s8
	s_add_i32 s3, s4, s3
	s_mul_i32 s4, s15, s8
	s_add_i32 s5, s3, s5
	s_delay_alu instid0(SALU_CYCLE_1) | instskip(NEXT) | instid1(SALU_CYCLE_1)
	s_lshl_b64 s[4:5], s[4:5], 3
	s_add_u32 s4, s20, s4
	s_addc_u32 s5, s21, s5
.LBB158_8:
	s_clause 0x1
	s_load_b32 s3, s[0:1], 0x0
	s_load_b32 s20, s[0:1], 0x20
	v_and_b32_e32 v2, 0x3ff, v0
	v_bfe_u32 v0, v0, 10, 10
	scratch_store_b32 off, v2, off offset:8 ; 4-byte Folded Spill
	v_lshl_add_u32 v6, v0, 5, v2
	v_mov_b32_e32 v94, v0
	s_delay_alu instid0(VALU_DEP_2)
	v_lshrrev_b32_e32 v2, 6, v6
	v_and_b32_e32 v77, 63, v6
	scratch_store_b32 off, v2, off offset:356 ; 4-byte Folded Spill
	s_waitcnt lgkmcnt(0)
	s_add_i32 s3, s3, -1
	s_ashr_i32 s21, s20, 31
	s_ashr_i32 s8, s3, 31
	s_delay_alu instid0(SALU_CYCLE_1) | instskip(NEXT) | instid1(SALU_CYCLE_1)
	s_lshr_b32 s8, s8, 24
	s_add_i32 s3, s3, s8
	s_delay_alu instid0(SALU_CYCLE_1) | instskip(NEXT) | instid1(SALU_CYCLE_1)
	s_ashr_i32 s3, s3, 8
	s_add_i32 s8, s3, 1
	s_not_b32 s3, s3
	v_cvt_f32_u32_e32 v1, s8
	s_delay_alu instid0(VALU_DEP_1) | instskip(SKIP_2) | instid1(VALU_DEP_1)
	v_rcp_iflag_f32_e32 v1, v1
	s_waitcnt_depctr 0xfff
	v_mul_f32_e32 v1, 0x4f7ffffe, v1
	v_cvt_u32_f32_e32 v1, v1
	s_delay_alu instid0(VALU_DEP_1) | instskip(SKIP_2) | instid1(VALU_DEP_3)
	v_readfirstlane_b32 s9, v1
	v_mad_i64_i32 v[0:1], null, s20, v2, 0
	v_cndmask_b32_e64 v2, 0, 1, s23
	s_mul_i32 s3, s3, s9
	s_delay_alu instid0(SALU_CYCLE_1) | instskip(NEXT) | instid1(VALU_DEP_2)
	s_mul_hi_u32 s3, s9, s3
	v_lshlrev_b64 v[0:1], 3, v[0:1]
	s_add_i32 s9, s9, s3
	s_delay_alu instid0(SALU_CYCLE_1) | instskip(NEXT) | instid1(SALU_CYCLE_1)
	s_mul_hi_u32 s3, s14, s9
	s_mul_i32 s9, s3, s8
	s_add_i32 s24, s3, 1
	s_sub_i32 s9, s14, s9
	v_add_co_u32 v7, vcc_lo, s12, v0
	s_sub_i32 s25, s9, s8
	s_cmp_ge_u32 s9, s8
	v_add_co_ci_u32_e32 v8, vcc_lo, s13, v1, vcc_lo
	s_cselect_b32 s3, s24, s3
	s_cselect_b32 s9, s25, s9
	s_add_i32 s24, s3, 1
	s_cmp_ge_u32 s9, s8
	s_cselect_b32 s9, s24, s3
	s_and_not1_b32 vcc_lo, exec_lo, s23
	s_mul_i32 s3, s9, s8
	s_delay_alu instid0(SALU_CYCLE_1) | instskip(NEXT) | instid1(SALU_CYCLE_1)
	s_sub_i32 s3, s14, s3
	s_lshl_b32 s8, s3, 8
	v_cmp_ne_u32_e64 s3, 1, v2
	v_or_b32_e32 v218, s8, v77
	s_delay_alu instid0(VALU_DEP_1)
	v_ashrrev_i32_e32 v219, 31, v218
	s_cbranch_vccnz .LBB158_11
; %bb.9:
	s_delay_alu instid0(VALU_DEP_1) | instskip(NEXT) | instid1(VALU_DEP_1)
	v_lshlrev_b64 v[0:1], 3, v[218:219]
	v_add_co_u32 v0, vcc_lo, v7, v0
	s_delay_alu instid0(VALU_DEP_2)
	v_add_co_ci_u32_e32 v1, vcc_lo, v8, v1, vcc_lo
	s_clause 0x1
	flat_load_b64 v[2:3], v[0:1]
	flat_load_b64 v[9:10], v[0:1] offset:512
	s_waitcnt vmcnt(1) lgkmcnt(1)
	v_mul_f64 v[0:1], v[2:3], s[16:17]
	s_waitcnt vmcnt(0) lgkmcnt(0)
	v_mul_f64 v[2:3], v[9:10], s[16:17]
	s_and_b32 vcc_lo, exec_lo, s3
	s_cbranch_vccnz .LBB158_12
.LBB158_10:
	v_lshlrev_b64 v[9:10], 3, v[218:219]
	s_delay_alu instid0(VALU_DEP_1) | instskip(NEXT) | instid1(VALU_DEP_2)
	v_add_co_u32 v7, vcc_lo, v7, v9
	v_add_co_ci_u32_e32 v8, vcc_lo, v8, v10, vcc_lo
	s_clause 0x1
	flat_load_b64 v[9:10], v[7:8] offset:1024
	flat_load_b64 v[7:8], v[7:8] offset:1536
	s_waitcnt vmcnt(1) lgkmcnt(1)
	v_mul_f64 v[16:17], v[9:10], s[16:17]
	s_waitcnt vmcnt(0) lgkmcnt(0)
	v_mul_f64 v[18:19], v[7:8], s[16:17]
	s_branch .LBB158_13
.LBB158_11:
	v_mov_b32_e32 v0, 0
	v_dual_mov_b32 v1, 0 :: v_dual_mov_b32 v2, 0
	v_mov_b32_e32 v3, 0
	s_and_b32 vcc_lo, exec_lo, s3
	s_cbranch_vccz .LBB158_10
.LBB158_12:
	v_mov_b32_e32 v16, 0
	v_dual_mov_b32 v17, 0 :: v_dual_mov_b32 v18, 0
	v_mov_b32_e32 v19, 0
.LBB158_13:
	scratch_load_b32 v4, off, off offset:8  ; 4-byte Folded Reload
	s_load_b32 s23, s[0:1], 0x38
	v_lshrrev_b32_e32 v24, 2, v6
	s_lshl_b32 s9, s9, 6
	s_and_b32 vcc_lo, exec_lo, s3
	s_delay_alu instid0(VALU_DEP_1) | instskip(SKIP_2) | instid1(VALU_DEP_1)
	v_add_nc_u32_e32 v220, s9, v24
	s_waitcnt vmcnt(0)
	v_and_b32_e32 v4, 3, v4
	v_lshlrev_b32_e32 v25, 3, v4
	scratch_store_b32 off, v4, off offset:352 ; 4-byte Folded Spill
	s_cbranch_vccnz .LBB158_15
; %bb.14:
	s_waitcnt lgkmcnt(0)
	v_mad_i64_i32 v[6:7], null, v220, s23, 0
	s_delay_alu instid0(VALU_DEP_1) | instskip(NEXT) | instid1(VALU_DEP_1)
	v_lshlrev_b64 v[6:7], 3, v[6:7]
	v_add_co_u32 v4, vcc_lo, s18, v6
	s_delay_alu instid0(VALU_DEP_2) | instskip(NEXT) | instid1(VALU_DEP_2)
	v_add_co_ci_u32_e32 v5, vcc_lo, s19, v7, vcc_lo
	v_add_co_u32 v6, vcc_lo, v4, v25
	s_delay_alu instid0(VALU_DEP_2)
	v_add_co_ci_u32_e32 v7, vcc_lo, 0, v5, vcc_lo
	flat_load_b64 v[6:7], v[6:7]
	s_waitcnt vmcnt(0) lgkmcnt(0)
	v_mul_f64 v[20:21], v[6:7], s[16:17]
	s_branch .LBB158_16
.LBB158_15:
	v_mov_b32_e32 v20, 0
	v_mov_b32_e32 v21, 0
.LBB158_16:
	scratch_load_b32 v4, off, off offset:356 ; 4-byte Folded Reload
	s_waitcnt vmcnt(0)
	v_add_nc_u32_e32 v4, 4, v4
	s_delay_alu instid0(VALU_DEP_1) | instskip(SKIP_2) | instid1(VALU_DEP_1)
	v_mad_i64_i32 v[6:7], null, s20, v4, 0
	scratch_store_b32 off, v4, off offset:360 ; 4-byte Folded Spill
	v_lshlrev_b64 v[6:7], 3, v[6:7]
	v_add_co_u32 v10, vcc_lo, s12, v6
	s_delay_alu instid0(VALU_DEP_2)
	v_add_co_ci_u32_e32 v11, vcc_lo, s13, v7, vcc_lo
	s_and_b32 vcc_lo, exec_lo, s3
	s_cbranch_vccnz .LBB158_20
; %bb.17:
	v_lshlrev_b64 v[6:7], 3, v[218:219]
	s_delay_alu instid0(VALU_DEP_1) | instskip(NEXT) | instid1(VALU_DEP_2)
	v_add_co_u32 v6, vcc_lo, v10, v6
	v_add_co_ci_u32_e32 v7, vcc_lo, v11, v7, vcc_lo
	s_clause 0x1
	flat_load_b64 v[8:9], v[6:7]
	flat_load_b64 v[12:13], v[6:7] offset:512
	s_waitcnt vmcnt(1) lgkmcnt(0)
	v_mul_f64 v[221:222], v[8:9], s[16:17]
	s_waitcnt vmcnt(0)
	v_mul_f64 v[4:5], v[12:13], s[16:17]
	s_and_b32 vcc_lo, exec_lo, s3
	scratch_store_b64 off, v[4:5], off offset:312 ; 8-byte Folded Spill
	s_cbranch_vccnz .LBB158_21
.LBB158_18:
	v_lshlrev_b64 v[12:13], 3, v[218:219]
	s_delay_alu instid0(VALU_DEP_1) | instskip(NEXT) | instid1(VALU_DEP_2)
	v_add_co_u32 v10, vcc_lo, v10, v12
	v_add_co_ci_u32_e32 v11, vcc_lo, v11, v13, vcc_lo
	s_clause 0x1
	flat_load_b64 v[12:13], v[10:11] offset:1024
	flat_load_b64 v[14:15], v[10:11] offset:1536
	s_waitcnt vmcnt(1) lgkmcnt(0)
	v_mul_f64 v[4:5], v[12:13], s[16:17]
	scratch_store_b64 off, v[4:5], off offset:320 ; 8-byte Folded Spill
	s_waitcnt vmcnt(0)
	v_mul_f64 v[4:5], v[14:15], s[16:17]
	s_and_b32 vcc_lo, exec_lo, s3
	scratch_store_b64 off, v[4:5], off offset:328 ; 8-byte Folded Spill
	s_cbranch_vccnz .LBB158_22
.LBB158_19:
	s_waitcnt lgkmcnt(0)
	v_mad_i64_i32 v[14:15], null, v220, s23, 0
	s_delay_alu instid0(VALU_DEP_1) | instskip(NEXT) | instid1(VALU_DEP_1)
	v_lshlrev_b64 v[14:15], 3, v[14:15]
	v_add_co_u32 v4, vcc_lo, s18, v14
	s_delay_alu instid0(VALU_DEP_2) | instskip(NEXT) | instid1(VALU_DEP_2)
	v_add_co_ci_u32_e32 v5, vcc_lo, s19, v15, vcc_lo
	v_add_co_u32 v14, vcc_lo, v4, v25
	s_delay_alu instid0(VALU_DEP_2)
	v_add_co_ci_u32_e32 v15, vcc_lo, 0, v5, vcc_lo
	flat_load_b64 v[14:15], v[14:15] offset:32
	s_waitcnt vmcnt(0) lgkmcnt(0)
	v_mul_f64 v[4:5], v[14:15], s[16:17]
	s_branch .LBB158_23
.LBB158_20:
	v_dual_mov_b32 v221, 0 :: v_dual_mov_b32 v4, 0
	v_dual_mov_b32 v222, 0 :: v_dual_mov_b32 v5, 0
	s_and_b32 vcc_lo, exec_lo, s3
	scratch_store_b64 off, v[4:5], off offset:312 ; 8-byte Folded Spill
	s_cbranch_vccz .LBB158_18
.LBB158_21:
	v_mov_b32_e32 v4, 0
	v_mov_b32_e32 v5, 0
	scratch_store_b64 off, v[4:5], off offset:320 ; 8-byte Folded Spill
	v_mov_b32_e32 v4, 0
	v_mov_b32_e32 v5, 0
	s_and_b32 vcc_lo, exec_lo, s3
	scratch_store_b64 off, v[4:5], off offset:328 ; 8-byte Folded Spill
	s_cbranch_vccz .LBB158_19
.LBB158_22:
	v_mov_b32_e32 v4, 0
	v_mov_b32_e32 v5, 0
.LBB158_23:
	scratch_store_b64 off, v[4:5], off offset:336 ; 8-byte Folded Spill
	scratch_load_b32 v4, off, off offset:356 ; 4-byte Folded Reload
	v_lshl_or_b32 v22, v24, 5, v25
	v_dual_mov_b32 v118, 0x7f800000 :: v_dual_mov_b32 v123, 0x7f800000
	v_dual_mov_b32 v120, 0x7f800000 :: v_dual_mov_b32 v201, 0x7f800000
	;; [unrolled: 1-line block ×29, first 2 shown]
	v_mov_b32_e32 v143, 0x7f800000
	s_mov_b32 s24, 0
	s_mov_b32 s14, -1
	v_mov_b32_e32 v121, 0x7f800000
	v_mov_b32_e32 v241, 0x7f800000
	s_waitcnt vmcnt(0)
	v_dual_mov_b32 v235, 0x7f800000 :: v_dual_lshlrev_b32 v4, 3, v4
	s_delay_alu instid0(VALU_DEP_1)
	v_lshl_add_u32 v5, v77, 5, v4
	v_mov_b32_e32 v4, 0x7f800000
	scratch_store_b32 off, v4, off          ; 4-byte Folded Spill
	v_add_nc_u32_e32 v4, 0x4000, v22
	scratch_store_b32 off, v4, off offset:368 ; 4-byte Folded Spill
	ds_store_b64 v22, v[20:21] offset:16384
	ds_store_2addr_stride64_b64 v5, v[0:1], v[2:3] offset1:4
	v_mov_b32_e32 v0, 0x7f800000
	scratch_store_b32 off, v5, off offset:364 ; 4-byte Folded Spill
	ds_store_2addr_stride64_b64 v5, v[16:17], v[18:19] offset0:8 offset1:12
	s_waitcnt lgkmcnt(0)
	s_waitcnt_vscnt null, 0x0
	scratch_store_b32 off, v0, off offset:4 ; 4-byte Folded Spill
	s_waitcnt_vscnt null, 0x0
	s_barrier
	buffer_gl0_inv
	scratch_store_b32 off, v94, off offset:292 ; 4-byte Folded Spill
.LBB158_24:                             ; =>This Inner Loop Header: Depth=1
	scratch_load_b32 v0, off, off offset:8  ; 4-byte Folded Reload
	s_lshl_b32 s24, s24, 3
	v_dual_mov_b32 v192, v53 :: v_dual_mov_b32 v215, v236
	s_waitcnt vmcnt(1)
	v_lshl_add_u32 v27, v94, 5, s24
	v_mov_b32_e32 v216, v235
	v_mov_b32_e32 v208, v103
	;; [unrolled: 1-line block ×3, first 2 shown]
	s_and_not1_b32 vcc_lo, exec_lo, s14
	s_mov_b32 s14, 0
	s_waitcnt vmcnt(0)
	v_lshl_add_u32 v4, v0, 5, s24
	s_mov_b32 s24, 2
	ds_load_b128 v[16:19], v27 offset:16384
	ds_load_b128 v[0:3], v4
	ds_load_b128 v[108:111], v4 offset:1024
	ds_load_b128 v[29:32], v27 offset:16640
	s_waitcnt lgkmcnt(2)
	v_add_f64 v[5:6], v[2:3], v[18:19]
	scratch_store_b64 off, v[5:6], off offset:44 ; 8-byte Folded Spill
	v_add_f64 v[5:6], v[0:1], v[16:17]
	scratch_store_b64 off, v[5:6], off offset:108 ; 8-byte Folded Spill
	s_waitcnt lgkmcnt(1)
	v_add_f64 v[5:6], v[110:111], v[18:19]
	scratch_store_b64 off, v[5:6], off offset:12 ; 8-byte Folded Spill
	v_add_f64 v[5:6], v[108:109], v[16:17]
	scratch_store_b64 off, v[5:6], off offset:76 ; 8-byte Folded Spill
	ds_load_b128 v[33:36], v4 offset:2048
	ds_load_b128 v[37:40], v4 offset:3072
	s_waitcnt lgkmcnt(1)
	v_add_f64 v[5:6], v[35:36], v[18:19]
	scratch_store_b64 off, v[5:6], off offset:52 ; 8-byte Folded Spill
	v_add_f64 v[5:6], v[33:34], v[16:17]
	scratch_store_b64 off, v[5:6], off offset:116 ; 8-byte Folded Spill
	s_waitcnt lgkmcnt(0)
	v_add_f64 v[5:6], v[39:40], v[18:19]
	scratch_store_b64 off, v[5:6], off offset:20 ; 8-byte Folded Spill
	v_add_f64 v[5:6], v[37:38], v[16:17]
	scratch_store_b64 off, v[5:6], off offset:84 ; 8-byte Folded Spill
	ds_load_b128 v[41:44], v4 offset:4096
	ds_load_b128 v[45:48], v4 offset:5120
	;; [unrolled: 1-line block ×4, first 2 shown]
	s_waitcnt lgkmcnt(3)
	v_add_f64 v[5:6], v[43:44], v[18:19]
	scratch_store_b64 off, v[5:6], off offset:60 ; 8-byte Folded Spill
	v_add_f64 v[5:6], v[41:42], v[16:17]
	scratch_store_b64 off, v[5:6], off offset:124 ; 8-byte Folded Spill
	s_waitcnt lgkmcnt(2)
	v_add_f64 v[5:6], v[47:48], v[18:19]
	scratch_store_b64 off, v[5:6], off offset:28 ; 8-byte Folded Spill
	v_add_f64 v[5:6], v[45:46], v[16:17]
	scratch_store_b64 off, v[5:6], off offset:92 ; 8-byte Folded Spill
	;; [unrolled: 5-line block ×4, first 2 shown]
	v_add_f64 v[4:5], v[2:3], v[31:32]
	scratch_store_b64 off, v[4:5], off offset:140 ; 8-byte Folded Spill
	v_add_f64 v[4:5], v[0:1], v[29:30]
	scratch_store_b64 off, v[4:5], off offset:148 ; 8-byte Folded Spill
	v_add_f64 v[4:5], v[110:111], v[31:32]
	scratch_store_b64 off, v[4:5], off offset:156 ; 8-byte Folded Spill
	v_add_f64 v[4:5], v[108:109], v[29:30]
	scratch_store_b64 off, v[4:5], off offset:164 ; 8-byte Folded Spill
	v_add_f64 v[4:5], v[35:36], v[31:32]
	scratch_store_b64 off, v[4:5], off offset:172 ; 8-byte Folded Spill
	v_add_f64 v[4:5], v[33:34], v[29:30]
	scratch_store_b64 off, v[4:5], off offset:180 ; 8-byte Folded Spill
	v_add_f64 v[4:5], v[39:40], v[31:32]
	scratch_store_b64 off, v[4:5], off offset:188 ; 8-byte Folded Spill
	v_add_f64 v[4:5], v[37:38], v[29:30]
	scratch_store_b64 off, v[4:5], off offset:196 ; 8-byte Folded Spill
	v_add_f64 v[4:5], v[43:44], v[31:32]
	scratch_store_b64 off, v[4:5], off offset:204 ; 8-byte Folded Spill
	v_add_f64 v[4:5], v[41:42], v[29:30]
	scratch_store_b64 off, v[4:5], off offset:212 ; 8-byte Folded Spill
	v_add_f64 v[4:5], v[47:48], v[31:32]
	scratch_store_b64 off, v[4:5], off offset:220 ; 8-byte Folded Spill
	v_add_f64 v[4:5], v[45:46], v[29:30]
	scratch_store_b64 off, v[4:5], off offset:228 ; 8-byte Folded Spill
	v_add_f64 v[4:5], v[51:52], v[31:32]
	scratch_store_b64 off, v[4:5], off offset:236 ; 8-byte Folded Spill
	v_add_f64 v[4:5], v[49:50], v[29:30]
	scratch_store_b64 off, v[4:5], off offset:244 ; 8-byte Folded Spill
	v_add_f64 v[4:5], v[55:56], v[31:32]
	scratch_store_b64 off, v[4:5], off offset:252 ; 8-byte Folded Spill
	v_add_f64 v[4:5], v[53:54], v[29:30]
	scratch_store_b64 off, v[4:5], off offset:260 ; 8-byte Folded Spill
	ds_load_b128 v[16:19], v27 offset:16896
	ds_load_b128 v[29:32], v27 offset:17152
	s_waitcnt lgkmcnt(1)
	v_add_f64 v[4:5], v[47:48], v[18:19]
	v_add_f64 v[172:173], v[2:3], v[18:19]
	v_add_f64 v[100:101], v[0:1], v[16:17]
	v_add_f64 v[178:179], v[110:111], v[18:19]
	v_add_f64 v[102:103], v[108:109], v[16:17]
	v_add_f64 v[180:181], v[35:36], v[18:19]
	v_add_f64 v[104:105], v[33:34], v[16:17]
	v_add_f64 v[184:185], v[39:40], v[18:19]
	v_add_f64 v[174:175], v[37:38], v[16:17]
	v_add_f64 v[188:189], v[43:44], v[18:19]
	v_add_f64 v[182:183], v[41:42], v[16:17]
	v_add_f64 v[186:187], v[45:46], v[16:17]
	s_waitcnt lgkmcnt(0)
	v_add_f64 v[176:177], v[2:3], v[31:32]
	v_add_f64 v[225:226], v[0:1], v[29:30]
	;; [unrolled: 1-line block ×16, first 2 shown]
	scratch_store_b64 off, v[4:5], off offset:284 ; 8-byte Folded Spill
	v_add_f64 v[4:5], v[51:52], v[18:19]
	scratch_store_b64 off, v[4:5], off offset:276 ; 8-byte Folded Spill
	v_add_f64 v[4:5], v[49:50], v[16:17]
	;; [unrolled: 2-line block ×4, first 2 shown]
	scratch_store_b64 off, v[4:5], off offset:296 ; 8-byte Folded Spill
	ds_load_b128 v[16:19], v27 offset:17408
	ds_load_b128 v[29:32], v27 offset:17664
	s_waitcnt lgkmcnt(1)
	v_add_f64 v[78:79], v[2:3], v[18:19]
	v_add_f64 v[6:7], v[0:1], v[16:17]
	;; [unrolled: 1-line block ×16, first 2 shown]
	s_waitcnt lgkmcnt(0)
	v_add_f64 v[170:171], v[2:3], v[31:32]
	v_add_f64 v[168:169], v[0:1], v[29:30]
	;; [unrolled: 1-line block ×16, first 2 shown]
	ds_load_b128 v[16:19], v27 offset:17920
	ds_load_b128 v[29:32], v27 offset:18176
	v_cvt_f32_f64_e32 v6, v[6:7]
	v_cvt_f32_f64_e32 v7, v[78:79]
	;; [unrolled: 1-line block ×4, first 2 shown]
	s_waitcnt lgkmcnt(1)
	v_add_f64 v[61:62], v[0:1], v[16:17]
	v_add_f64 v[124:125], v[108:109], v[16:17]
	;; [unrolled: 1-line block ×8, first 2 shown]
	s_waitcnt lgkmcnt(0)
	v_add_f64 v[0:1], v[0:1], v[29:30]
	v_add_f64 v[108:109], v[108:109], v[29:30]
	;; [unrolled: 1-line block ×8, first 2 shown]
	scratch_load_b64 v[53:54], off, off offset:108 ; 8-byte Folded Reload
	v_add_f64 v[65:66], v[2:3], v[18:19]
	v_add_f64 v[75:76], v[110:111], v[18:19]
	;; [unrolled: 1-line block ×10, first 2 shown]
	v_min3_f32 v194, v6, v7, v194
	v_cvt_f32_f64_e32 v6, v[10:11]
	v_cvt_f32_f64_e32 v7, v[8:9]
	v_add_f64 v[96:97], v[47:48], v[18:19]
	v_add_f64 v[47:48], v[47:48], v[31:32]
	;; [unrolled: 1-line block ×3, first 2 shown]
	v_min3_f32 v136, v4, v5, v136
	v_cvt_f32_f64_e32 v4, v[112:113]
	v_cvt_f32_f64_e32 v5, v[146:147]
	v_add_f64 v[51:52], v[51:52], v[31:32]
	v_add_f64 v[18:19], v[55:56], v[18:19]
	;; [unrolled: 1-line block ×3, first 2 shown]
	v_cvt_f32_f64_e32 v0, v[0:1]
	v_cvt_f32_f64_e32 v1, v[2:3]
	scratch_load_b32 v2, off, off           ; 4-byte Folded Reload
	v_min3_f32 v193, v6, v7, v193
	v_cvt_f32_f64_e32 v6, v[14:15]
	v_cvt_f32_f64_e32 v7, v[12:13]
	v_min3_f32 v137, v4, v5, v137
	v_cvt_f32_f64_e32 v4, v[23:24]
	v_cvt_f32_f64_e32 v5, v[210:211]
	;; [unrolled: 3-line block ×3, first 2 shown]
	s_delay_alu instid0(VALU_DEP_4) | instskip(SKIP_2) | instid1(VALU_DEP_4)
	v_min3_f32 v134, v4, v5, v134
	v_cvt_f32_f64_e32 v4, v[114:115]
	v_cvt_f32_f64_e32 v5, v[63:64]
	v_min3_f32 v80, v0, v1, v80
	v_cvt_f32_f64_e32 v0, v[33:34]
	v_cvt_f32_f64_e32 v1, v[35:36]
	s_delay_alu instid0(VALU_DEP_4) | instskip(SKIP_2) | instid1(VALU_DEP_4)
	v_min3_f32 v133, v4, v5, v133
	v_cvt_f32_f64_e32 v4, v[25:26]
	v_cvt_f32_f64_e32 v5, v[67:68]
	v_min3_f32 v123, v0, v1, v123
	v_cvt_f32_f64_e32 v0, v[37:38]
	v_cvt_f32_f64_e32 v1, v[39:40]
	;; [unrolled: 7-line block ×5, first 2 shown]
	s_delay_alu instid0(VALU_DEP_4)
	v_min3_f32 v128, v4, v5, v128
	v_cvt_f32_f64_e32 v4, v[156:157]
	v_cvt_f32_f64_e32 v5, v[158:159]
	s_waitcnt vmcnt(1)
	v_cvt_f32_f64_e32 v27, v[53:54]
	scratch_load_b64 v[53:54], off, off offset:44 ; 8-byte Folded Reload
	v_min3_f32 v242, v4, v5, v242
	v_cvt_f32_f64_e32 v4, v[152:153]
	v_cvt_f32_f64_e32 v5, v[154:155]
	s_waitcnt vmcnt(1)
	v_min3_f32 v2, v0, v1, v2
	v_cvt_f32_f64_e32 v0, v[29:30]
	v_cvt_f32_f64_e32 v1, v[31:32]
	scratch_store_b32 off, v2, off          ; 4-byte Folded Spill
	v_min3_f32 v118, v0, v1, v118
	s_waitcnt vmcnt(0)
	v_cvt_f32_f64_e32 v53, v[53:54]
	s_delay_alu instid0(VALU_DEP_1)
	v_min3_f32 v143, v27, v53, v143
	scratch_load_b64 v[53:54], off, off offset:76 ; 8-byte Folded Reload
	s_waitcnt vmcnt(0)
	v_cvt_f32_f64_e32 v27, v[53:54]
	scratch_load_b64 v[53:54], off, off offset:12 ; 8-byte Folded Reload
	s_waitcnt vmcnt(0)
	v_cvt_f32_f64_e32 v53, v[53:54]
	s_delay_alu instid0(VALU_DEP_1)
	v_min3_f32 v142, v27, v53, v142
	scratch_load_b64 v[53:54], off, off offset:116 ; 8-byte Folded Reload
	s_waitcnt vmcnt(0)
	v_cvt_f32_f64_e32 v27, v[53:54]
	scratch_load_b64 v[53:54], off, off offset:52 ; 8-byte Folded Reload
	;; [unrolled: 8-line block ×15, first 2 shown]
	s_waitcnt vmcnt(0)
	v_cvt_f32_f64_e32 v53, v[53:54]
	s_delay_alu instid0(VALU_DEP_1) | instskip(SKIP_2) | instid1(VALU_DEP_1)
	v_min3_f32 v213, v27, v53, v213
	v_cvt_f32_f64_e32 v27, v[100:101]
	v_cvt_f32_f64_e32 v53, v[172:173]
	v_min3_f32 v212, v27, v53, v212
	v_cvt_f32_f64_e32 v27, v[102:103]
	v_cvt_f32_f64_e32 v53, v[178:179]
	v_mov_b32_e32 v103, v208
	s_delay_alu instid0(VALU_DEP_2) | instskip(SKIP_2) | instid1(VALU_DEP_1)
	v_min3_f32 v58, v27, v53, v58
	v_cvt_f32_f64_e32 v27, v[104:105]
	v_cvt_f32_f64_e32 v53, v[180:181]
	v_min3_f32 v57, v27, v53, v57
	v_cvt_f32_f64_e32 v27, v[174:175]
	v_cvt_f32_f64_e32 v53, v[184:185]
	s_delay_alu instid0(VALU_DEP_1) | instskip(SKIP_2) | instid1(VALU_DEP_1)
	v_min3_f32 v209, v27, v53, v209
	v_cvt_f32_f64_e32 v27, v[182:183]
	v_cvt_f32_f64_e32 v53, v[188:189]
	v_min3_f32 v103, v27, v53, v103
	scratch_load_b64 v[53:54], off, off offset:284 ; 8-byte Folded Reload
	v_cvt_f32_f64_e32 v27, v[186:187]
	s_waitcnt vmcnt(0)
	v_cvt_f32_f64_e32 v53, v[53:54]
	s_delay_alu instid0(VALU_DEP_1)
	v_min3_f32 v207, v27, v53, v207
	scratch_load_b64 v[53:54], off, off offset:304 ; 8-byte Folded Reload
	s_waitcnt vmcnt(0)
	v_cvt_f32_f64_e32 v27, v[53:54]
	scratch_load_b64 v[53:54], off, off offset:276 ; 8-byte Folded Reload
	s_waitcnt vmcnt(0)
	v_cvt_f32_f64_e32 v53, v[53:54]
	s_delay_alu instid0(VALU_DEP_1)
	v_min3_f32 v206, v27, v53, v206
	scratch_load_b64 v[53:54], off, off offset:296 ; 8-byte Folded Reload
	s_waitcnt vmcnt(0)
	v_cvt_f32_f64_e32 v27, v[53:54]
	scratch_load_b64 v[53:54], off, off offset:268 ; 8-byte Folded Reload
	s_waitcnt vmcnt(0)
	v_cvt_f32_f64_e32 v53, v[53:54]
	s_delay_alu instid0(VALU_DEP_1) | instskip(SKIP_2) | instid1(VALU_DEP_1)
	v_min3_f32 v205, v27, v53, v205
	v_cvt_f32_f64_e32 v27, v[225:226]
	v_cvt_f32_f64_e32 v53, v[176:177]
	v_min3_f32 v204, v27, v53, v204
	v_cvt_f32_f64_e32 v27, v[229:230]
	v_cvt_f32_f64_e32 v53, v[227:228]
	s_delay_alu instid0(VALU_DEP_1) | instskip(SKIP_2) | instid1(VALU_DEP_1)
	v_min3_f32 v203, v27, v53, v203
	v_cvt_f32_f64_e32 v27, v[233:234]
	v_cvt_f32_f64_e32 v53, v[231:232]
	v_min3_f32 v200, v27, v53, v200
	v_cvt_f32_f64_e32 v27, v[116:117]
	v_cvt_f32_f64_e32 v53, v[235:236]
	v_dual_mov_b32 v236, v215 :: v_dual_mov_b32 v235, v216
	s_delay_alu instid0(VALU_DEP_2) | instskip(SKIP_3) | instid1(VALU_DEP_2)
	v_min3_f32 v199, v27, v53, v199
	v_cvt_f32_f64_e32 v53, v[239:240]
	v_mov_b32_e32 v239, v217
	v_cvt_f32_f64_e32 v27, v[20:21]
	v_min3_f32 v239, v4, v5, v239
	v_cvt_f32_f64_e32 v4, v[148:149]
	v_cvt_f32_f64_e32 v5, v[150:151]
	s_delay_alu instid0(VALU_DEP_4) | instskip(SKIP_2) | instid1(VALU_DEP_4)
	v_min3_f32 v198, v27, v53, v198
	v_cvt_f32_f64_e32 v27, v[245:246]
	v_cvt_f32_f64_e32 v53, v[243:244]
	v_min3_f32 v236, v4, v5, v236
	v_cvt_f32_f64_e32 v4, v[73:74]
	v_cvt_f32_f64_e32 v5, v[59:60]
	s_delay_alu instid0(VALU_DEP_4) | instskip(SKIP_2) | instid1(VALU_DEP_4)
	v_min3_f32 v197, v27, v53, v197
	v_cvt_f32_f64_e32 v27, v[249:250]
	;; [unrolled: 7-line block ×3, first 2 shown]
	v_cvt_f32_f64_e32 v53, v[251:252]
	v_min3_f32 v214, v4, v5, v214
	v_cvt_f32_f64_e32 v4, v[61:62]
	v_cvt_f32_f64_e32 v5, v[65:66]
	s_delay_alu instid0(VALU_DEP_4) | instskip(SKIP_1) | instid1(VALU_DEP_3)
	v_min3_f32 v195, v27, v53, v195
	v_mov_b32_e32 v53, v192
	v_min3_f32 v83, v4, v5, v83
	v_cvt_f32_f64_e32 v4, v[124:125]
	v_cvt_f32_f64_e32 v5, v[75:76]
	s_delay_alu instid0(VALU_DEP_4) | instskip(SKIP_4) | instid1(VALU_DEP_1)
	v_min3_f32 v53, v6, v7, v53
	scratch_load_b32 v6, off, off offset:4  ; 4-byte Folded Reload
	v_min3_f32 v237, v4, v5, v237
	v_cvt_f32_f64_e32 v4, v[86:87]
	v_cvt_f32_f64_e32 v5, v[84:85]
	v_min3_f32 v131, v4, v5, v131
	v_cvt_f32_f64_e32 v4, v[90:91]
	v_cvt_f32_f64_e32 v5, v[88:89]
	s_delay_alu instid0(VALU_DEP_1) | instskip(SKIP_3) | instid1(VALU_DEP_1)
	v_min3_f32 v132, v4, v5, v132
	v_cvt_f32_f64_e32 v4, v[94:95]
	scratch_load_b32 v94, off, off offset:292 ; 4-byte Folded Reload
	v_cvt_f32_f64_e32 v5, v[92:93]
	v_min3_f32 v130, v4, v5, v130
	v_cvt_f32_f64_e32 v4, v[98:99]
	v_cvt_f32_f64_e32 v5, v[96:97]
	s_delay_alu instid0(VALU_DEP_1) | instskip(SKIP_3) | instid1(VALU_DEP_1)
	v_min3_f32 v201, v4, v5, v201
	v_cvt_f32_f64_e32 v4, v[223:224]
	v_cvt_f32_f64_e32 v5, v[106:107]
	s_waitcnt vmcnt(1)
	v_min3_f32 v6, v4, v5, v6
	v_cvt_f32_f64_e32 v4, v[16:17]
	v_cvt_f32_f64_e32 v5, v[18:19]
	scratch_store_b32 off, v6, off offset:4 ; 4-byte Folded Spill
	v_min3_f32 v126, v4, v5, v126
	s_cbranch_vccz .LBB158_24
; %bb.25:
	scratch_load_b32 v1, off, off offset:356 ; 4-byte Folded Reload
	v_dual_mov_b32 v59, v134 :: v_dual_lshlrev_b32 v0, 5, v77
	s_load_b32 s24, s[0:1], 0x8
	v_dual_mov_b32 v38, v213 :: v_dual_mov_b32 v37, v212
	v_dual_mov_b32 v50, v58 :: v_dual_mov_b32 v65, v204
	;; [unrolled: 1-line block ×9, first 2 shown]
	s_mov_b32 s14, 8
	s_waitcnt lgkmcnt(0)
	s_cmp_gt_i32 s24, 8
	s_waitcnt vmcnt(0)
	v_lshl_add_u32 v0, v1, 3, v0
	scratch_load_b64 v[1:2], off, off offset:312 ; 8-byte Folded Reload
	s_waitcnt vmcnt(0)
	ds_store_2addr_stride64_b64 v0, v[221:222], v[1:2] offset0:16 offset1:20
	s_clause 0x1
	scratch_load_b64 v[1:2], off, off offset:320
	scratch_load_b64 v[3:4], off, off offset:328
	s_waitcnt vmcnt(0)
	ds_store_2addr_stride64_b64 v0, v[1:2], v[3:4] offset0:24 offset1:28
	scratch_load_b64 v[1:2], off, off offset:336 ; 8-byte Folded Reload
	s_waitcnt vmcnt(0)
	ds_store_b64 v22, v[1:2] offset:18432
	s_waitcnt lgkmcnt(0)
	s_waitcnt_vscnt null, 0x0
	s_barrier
	buffer_gl0_inv
	s_cbranch_scc0 .LBB158_51
; %bb.26:
	v_mad_i64_i32 v[1:2], null, v220, s23, 0
	v_add_nc_u32_e32 v0, 0x2000, v0
	v_dual_mov_b32 v152, v36 :: v_dual_mov_b32 v95, v59
	scratch_store_b32 off, v0, off offset:372 ; 4-byte Folded Spill
	v_lshlrev_b64 v[1:2], 3, v[1:2]
	v_add_nc_u32_e32 v0, 0x4800, v22
	scratch_store_b32 off, v0, off offset:376 ; 4-byte Folded Spill
	v_add_co_u32 v0, vcc_lo, s18, v1
	v_add_co_ci_u32_e32 v1, vcc_lo, s19, v2, vcc_lo
	v_lshlrev_b64 v[2:3], 3, v[218:219]
	s_add_i32 s18, s24, -8
	s_mov_b32 s19, 0
	s_clause 0x1
	scratch_store_b64 off, v[2:3], off offset:296
	scratch_store_b32 off, v0, off offset:380
	v_add_co_u32 v0, vcc_lo, v0, 32
	s_clause 0x1
	scratch_store_b32 off, v0, off offset:388
	scratch_store_b32 off, v1, off offset:384
	v_add_co_ci_u32_e32 v0, vcc_lo, 0, v1, vcc_lo
	v_mov_b32_e32 v1, 0
	s_clause 0x1
	scratch_store_b32 off, v0, off offset:392
	scratch_store_b64 off, v[0:1], off offset:304
.LBB158_27:                             ; =>This Loop Header: Depth=1
                                        ;     Child Loop BB158_37 Depth 2
                                        ;     Child Loop BB158_48 Depth 2
	scratch_load_b32 v0, off, off offset:356 ; 4-byte Folded Reload
	v_dual_mov_b32 v68, v70 :: v_dual_mov_b32 v43, v57
	s_waitcnt vmcnt(0)
	v_add_nc_u32_e32 v4, s14, v0
	s_delay_alu instid0(VALU_DEP_1) | instskip(NEXT) | instid1(VALU_DEP_1)
	v_mad_u64_u32 v[0:1], null, v4, s20, 0
	v_mad_u64_u32 v[2:3], null, v4, s21, v[1:2]
	s_delay_alu instid0(VALU_DEP_1) | instskip(NEXT) | instid1(VALU_DEP_1)
	v_mov_b32_e32 v1, v2
	v_lshlrev_b64 v[0:1], 3, v[0:1]
	s_delay_alu instid0(VALU_DEP_1) | instskip(NEXT) | instid1(VALU_DEP_2)
	v_add_co_u32 v0, vcc_lo, s12, v0
	v_add_co_ci_u32_e32 v1, vcc_lo, s13, v1, vcc_lo
	s_and_b32 vcc_lo, exec_lo, s3
	s_cbranch_vccnz .LBB158_29
; %bb.28:                               ;   in Loop: Header=BB158_27 Depth=1
	scratch_load_b64 v[2:3], off, off offset:296 ; 8-byte Folded Reload
	s_waitcnt vmcnt(0)
	v_add_co_u32 v2, vcc_lo, v0, v2
	v_add_co_ci_u32_e32 v3, vcc_lo, v1, v3, vcc_lo
	s_clause 0x1
	flat_load_b64 v[8:9], v[2:3]
	flat_load_b64 v[2:3], v[2:3] offset:512
	s_waitcnt vmcnt(1) lgkmcnt(1)
	v_mul_f64 v[4:5], v[8:9], s[16:17]
	s_waitcnt vmcnt(0) lgkmcnt(0)
	v_mul_f64 v[2:3], v[2:3], s[16:17]
	scratch_store_b64 off, v[4:5], off offset:312 ; 8-byte Folded Spill
	s_branch .LBB158_30
.LBB158_29:                             ;   in Loop: Header=BB158_27 Depth=1
	v_mov_b32_e32 v2, 0
	v_mov_b32_e32 v3, 0
	scratch_store_b64 off, v[2:3], off offset:312 ; 8-byte Folded Spill
	v_mov_b32_e32 v2, 0
	v_mov_b32_e32 v3, 0
.LBB158_30:                             ;   in Loop: Header=BB158_27 Depth=1
	v_mov_b32_e32 v70, v72
	v_mov_b32_e32 v72, v74
	s_and_b32 vcc_lo, exec_lo, s3
	scratch_store_b64 off, v[2:3], off offset:320 ; 8-byte Folded Spill
	s_cbranch_vccnz .LBB158_32
; %bb.31:                               ;   in Loop: Header=BB158_27 Depth=1
	scratch_load_b64 v[2:3], off, off offset:296 ; 8-byte Folded Reload
	s_waitcnt vmcnt(0)
	v_add_co_u32 v0, vcc_lo, v0, v2
	v_add_co_ci_u32_e32 v1, vcc_lo, v1, v3, vcc_lo
	s_clause 0x1
	flat_load_b64 v[2:3], v[0:1] offset:1024
	flat_load_b64 v[0:1], v[0:1] offset:1536
	s_waitcnt vmcnt(1) lgkmcnt(1)
	v_mul_f64 v[2:3], v[2:3], s[16:17]
	s_waitcnt vmcnt(0) lgkmcnt(0)
	v_mul_f64 v[0:1], v[0:1], s[16:17]
	scratch_store_b64 off, v[2:3], off offset:328 ; 8-byte Folded Spill
	s_branch .LBB158_33
.LBB158_32:                             ;   in Loop: Header=BB158_27 Depth=1
	v_mov_b32_e32 v0, 0
	v_mov_b32_e32 v1, 0
	scratch_store_b64 off, v[0:1], off offset:328 ; 8-byte Folded Spill
	v_mov_b32_e32 v0, 0
	v_mov_b32_e32 v1, 0
.LBB158_33:                             ;   in Loop: Header=BB158_27 Depth=1
	v_dual_mov_b32 v74, v60 :: v_dual_mov_b32 v39, v214
	v_dual_mov_b32 v42, v209 :: v_dual_mov_b32 v45, v107
	v_mov_b32_e32 v40, v207
	v_dual_mov_b32 v44, v83 :: v_dual_mov_b32 v51, v137
	v_mov_b32_e32 v83, v205
	v_mov_b32_e32 v55, v95
	s_and_b32 vcc_lo, exec_lo, s3
	scratch_store_b64 off, v[0:1], off offset:336 ; 8-byte Folded Spill
	s_cbranch_vccnz .LBB158_35
; %bb.34:                               ;   in Loop: Header=BB158_27 Depth=1
	s_clause 0x1
	scratch_load_b32 v0, off, off offset:352
	scratch_load_b64 v[1:2], off, off offset:304
	s_waitcnt vmcnt(0)
	v_mov_b32_e32 v3, v2
	v_or_b32_e32 v2, s14, v0
	s_delay_alu instid0(VALU_DEP_2)
	v_mov_b32_e32 v1, v3
	scratch_store_b64 off, v[0:1], off offset:304 ; 8-byte Folded Spill
	v_lshlrev_b64 v[0:1], 3, v[2:3]
	scratch_load_b32 v2, off, off offset:380 ; 4-byte Folded Reload
	s_waitcnt vmcnt(0)
	v_add_co_u32 v0, vcc_lo, v2, v0
	scratch_load_b32 v2, off, off offset:384 ; 4-byte Folded Reload
	s_waitcnt vmcnt(0)
	v_add_co_ci_u32_e32 v1, vcc_lo, v2, v1, vcc_lo
	flat_load_b64 v[0:1], v[0:1]
	s_waitcnt vmcnt(0) lgkmcnt(0)
	v_mul_f64 v[0:1], v[0:1], s[16:17]
	s_branch .LBB158_36
.LBB158_35:                             ;   in Loop: Header=BB158_27 Depth=1
	v_mov_b32_e32 v0, 0
	v_mov_b32_e32 v1, 0
.LBB158_36:                             ;   in Loop: Header=BB158_27 Depth=1
	v_dual_mov_b32 v137, v58 :: v_dual_mov_b32 v52, v101
	v_dual_mov_b32 v64, v61 :: v_dual_mov_b32 v41, v103
	v_mov_b32_e32 v36, v50
	s_mov_b32 s24, 0
	s_mov_b32 s23, -1
	scratch_store_b64 off, v[0:1], off offset:344 ; 8-byte Folded Spill
.LBB158_37:                             ;   Parent Loop BB158_27 Depth=1
                                        ; =>  This Inner Loop Header: Depth=2
	scratch_load_b32 v0, off, off offset:8  ; 4-byte Folded Reload
	s_lshl_b32 s24, s24, 3
	v_mov_b32_e32 v136, v190
	v_lshl_add_u32 v29, v94, 5, s24
	s_and_not1_b32 vcc_lo, exec_lo, s23
	s_mov_b32 s23, 0
	s_waitcnt vmcnt(0)
	v_lshl_add_u32 v4, v0, 5, s24
	s_mov_b32 s24, 2
	ds_load_b128 v[46:49], v29 offset:18432
	ds_load_b128 v[0:3], v4 offset:8192
	;; [unrolled: 1-line block ×4, first 2 shown]
	s_waitcnt lgkmcnt(2)
	v_add_f64 v[66:67], v[2:3], v[48:49]
	s_waitcnt lgkmcnt(1)
	v_add_f64 v[5:6], v[157:158], v[48:49]
	v_add_f64 v[144:145], v[0:1], v[46:47]
	s_delay_alu instid0(VALU_DEP_3)
	v_cvt_f32_f64_e32 v66, v[66:67]
	scratch_store_b64 off, v[5:6], off offset:12 ; 8-byte Folded Spill
	v_add_f64 v[5:6], v[155:156], v[46:47]
	scratch_store_b64 off, v[5:6], off offset:68 ; 8-byte Folded Spill
	ds_load_b128 v[163:166], v4 offset:10240
	ds_load_b128 v[167:170], v4 offset:11264
	s_waitcnt lgkmcnt(1)
	v_add_f64 v[5:6], v[165:166], v[48:49]
	scratch_store_b64 off, v[5:6], off offset:44 ; 8-byte Folded Spill
	v_add_f64 v[5:6], v[163:164], v[46:47]
	scratch_store_b64 off, v[5:6], off offset:100 ; 8-byte Folded Spill
	s_waitcnt lgkmcnt(0)
	v_add_f64 v[5:6], v[169:170], v[48:49]
	scratch_store_b64 off, v[5:6], off offset:20 ; 8-byte Folded Spill
	v_add_f64 v[5:6], v[167:168], v[46:47]
	scratch_store_b64 off, v[5:6], off offset:76 ; 8-byte Folded Spill
	ds_load_b128 v[171:174], v4 offset:12288
	ds_load_b128 v[175:178], v4 offset:13312
	s_waitcnt lgkmcnt(1)
	v_add_f64 v[5:6], v[173:174], v[48:49]
	v_add_f64 v[26:27], v[171:172], v[159:160]
	scratch_store_b64 off, v[5:6], off offset:52 ; 8-byte Folded Spill
	v_add_f64 v[5:6], v[171:172], v[46:47]
	v_cvt_f32_f64_e32 v26, v[26:27]
	scratch_store_b64 off, v[5:6], off offset:108 ; 8-byte Folded Spill
	s_waitcnt lgkmcnt(0)
	v_add_f64 v[5:6], v[177:178], v[48:49]
	scratch_store_b64 off, v[5:6], off offset:28 ; 8-byte Folded Spill
	v_add_f64 v[5:6], v[175:176], v[46:47]
	scratch_store_b64 off, v[5:6], off offset:84 ; 8-byte Folded Spill
	ds_load_b128 v[179:182], v4 offset:14336
	ds_load_b128 v[183:186], v4 offset:15360
	;; [unrolled: 1-line block ×3, first 2 shown]
	s_waitcnt lgkmcnt(2)
	v_add_f64 v[4:5], v[181:182], v[48:49]
	s_waitcnt lgkmcnt(0)
	v_add_f64 v[223:224], v[2:3], v[189:190]
	v_add_f64 v[225:226], v[0:1], v[187:188]
	;; [unrolled: 1-line block ×16, first 2 shown]
	scratch_store_b64 off, v[4:5], off offset:60 ; 8-byte Folded Spill
	v_add_f64 v[4:5], v[179:180], v[46:47]
	scratch_store_b64 off, v[4:5], off offset:116 ; 8-byte Folded Spill
	v_add_f64 v[4:5], v[185:186], v[48:49]
	scratch_store_b64 off, v[4:5], off offset:36 ; 8-byte Folded Spill
	v_add_f64 v[4:5], v[183:184], v[46:47]
	scratch_store_b64 off, v[4:5], off offset:92 ; 8-byte Folded Spill
	v_add_f64 v[4:5], v[2:3], v[161:162]
	scratch_store_b64 off, v[4:5], off offset:124 ; 8-byte Folded Spill
	v_add_f64 v[4:5], v[0:1], v[159:160]
	scratch_store_b64 off, v[4:5], off offset:132 ; 8-byte Folded Spill
	v_add_f64 v[4:5], v[157:158], v[161:162]
	scratch_store_b64 off, v[4:5], off offset:140 ; 8-byte Folded Spill
	v_add_f64 v[4:5], v[155:156], v[159:160]
	scratch_store_b64 off, v[4:5], off offset:148 ; 8-byte Folded Spill
	v_add_f64 v[4:5], v[165:166], v[161:162]
	scratch_store_b64 off, v[4:5], off offset:156 ; 8-byte Folded Spill
	v_add_f64 v[4:5], v[163:164], v[159:160]
	scratch_store_b64 off, v[4:5], off offset:164 ; 8-byte Folded Spill
	v_add_f64 v[4:5], v[169:170], v[161:162]
	scratch_store_b64 off, v[4:5], off offset:172 ; 8-byte Folded Spill
	v_add_f64 v[4:5], v[167:168], v[159:160]
	scratch_store_b64 off, v[4:5], off offset:180 ; 8-byte Folded Spill
	v_add_f64 v[4:5], v[173:174], v[161:162]
	scratch_store_b64 off, v[4:5], off offset:188 ; 8-byte Folded Spill
	v_add_f64 v[4:5], v[177:178], v[161:162]
	scratch_store_b64 off, v[4:5], off offset:196 ; 8-byte Folded Spill
	v_add_f64 v[4:5], v[175:176], v[159:160]
	scratch_store_b64 off, v[4:5], off offset:204 ; 8-byte Folded Spill
	v_add_f64 v[4:5], v[181:182], v[161:162]
	scratch_store_b64 off, v[4:5], off offset:212 ; 8-byte Folded Spill
	v_add_f64 v[4:5], v[179:180], v[159:160]
	scratch_store_b64 off, v[4:5], off offset:220 ; 8-byte Folded Spill
	v_add_f64 v[4:5], v[185:186], v[161:162]
	scratch_store_b64 off, v[4:5], off offset:228 ; 8-byte Folded Spill
	v_add_f64 v[4:5], v[183:184], v[159:160]
	ds_load_b128 v[159:162], v29 offset:18944
	s_waitcnt lgkmcnt(0)
	v_add_f64 v[146:147], v[2:3], v[161:162]
	v_add_f64 v[108:109], v[0:1], v[159:160]
	;; [unrolled: 1-line block ×10, first 2 shown]
	scratch_store_b64 off, v[4:5], off offset:236 ; 8-byte Folded Spill
	v_add_f64 v[4:5], v[173:174], v[161:162]
	scratch_store_b64 off, v[4:5], off offset:276 ; 8-byte Folded Spill
	v_add_f64 v[4:5], v[177:178], v[161:162]
	;; [unrolled: 2-line block ×6, first 2 shown]
	scratch_store_b64 off, v[4:5], off offset:268 ; 8-byte Folded Spill
	ds_load_b128 v[159:162], v29 offset:19456
	ds_load_b128 v[187:190], v29 offset:19712
	s_waitcnt lgkmcnt(1)
	v_add_f64 v[153:154], v[2:3], v[161:162]
	v_add_f64 v[150:151], v[0:1], v[159:160]
	;; [unrolled: 1-line block ×16, first 2 shown]
	s_waitcnt lgkmcnt(0)
	v_add_f64 v[22:23], v[2:3], v[189:190]
	v_add_f64 v[24:25], v[0:1], v[187:188]
	;; [unrolled: 1-line block ×16, first 2 shown]
	ds_load_b128 v[159:162], v29 offset:19968
	ds_load_b128 v[187:190], v29 offset:20224
	v_cvt_f32_f64_e32 v29, v[144:145]
	v_cvt_f32_f64_e32 v4, v[4:5]
	;; [unrolled: 1-line block ×3, first 2 shown]
	s_waitcnt lgkmcnt(1)
	v_add_f64 v[102:103], v[2:3], v[161:162]
	v_add_f64 v[219:220], v[157:158], v[161:162]
	;; [unrolled: 1-line block ×8, first 2 shown]
	s_waitcnt lgkmcnt(0)
	v_add_f64 v[2:3], v[2:3], v[189:190]
	v_add_f64 v[157:158], v[157:158], v[189:190]
	;; [unrolled: 1-line block ×8, first 2 shown]
	v_mov_b32_e32 v190, v136
	v_add_f64 v[104:105], v[0:1], v[159:160]
	v_add_f64 v[0:1], v[0:1], v[187:188]
	;; [unrolled: 1-line block ×3, first 2 shown]
	v_min3_f32 v143, v29, v66, v143
	scratch_load_b64 v[66:67], off, off offset:68 ; 8-byte Folded Reload
	v_add_f64 v[155:156], v[155:156], v[187:188]
	v_add_f64 v[211:212], v[163:164], v[159:160]
	;; [unrolled: 1-line block ×7, first 2 shown]
	v_min3_f32 v69, v4, v5, v69
	v_cvt_f32_f64_e32 v4, v[8:9]
	v_cvt_f32_f64_e32 v5, v[6:7]
	v_add_f64 v[199:200], v[175:176], v[159:160]
	v_add_f64 v[175:176], v[175:176], v[187:188]
	;; [unrolled: 1-line block ×6, first 2 shown]
	v_cvt_f32_f64_e32 v0, v[0:1]
	v_cvt_f32_f64_e32 v1, v[2:3]
	scratch_load_b32 v2, off, off           ; 4-byte Folded Reload
	v_min3_f32 v53, v4, v5, v53
	v_cvt_f32_f64_e32 v4, v[12:13]
	v_cvt_f32_f64_e32 v5, v[10:11]
	v_min3_f32 v241, v0, v1, v241
	v_cvt_f32_f64_e32 v0, v[155:156]
	v_cvt_f32_f64_e32 v1, v[157:158]
	s_delay_alu instid0(VALU_DEP_4) | instskip(SKIP_2) | instid1(VALU_DEP_4)
	v_min3_f32 v52, v4, v5, v52
	v_cvt_f32_f64_e32 v4, v[16:17]
	v_cvt_f32_f64_e32 v5, v[14:15]
	v_min3_f32 v80, v0, v1, v80
	v_cvt_f32_f64_e32 v0, v[163:164]
	v_cvt_f32_f64_e32 v1, v[165:166]
	s_delay_alu instid0(VALU_DEP_4) | instskip(SKIP_2) | instid1(VALU_DEP_4)
	v_min3_f32 v51, v4, v5, v51
	v_cvt_f32_f64_e32 v4, v[78:79]
	v_cvt_f32_f64_e32 v5, v[205:206]
	v_min3_f32 v123, v0, v1, v123
	v_cvt_f32_f64_e32 v0, v[167:168]
	v_cvt_f32_f64_e32 v1, v[169:170]
	s_delay_alu instid0(VALU_DEP_4) | instskip(SKIP_2) | instid1(VALU_DEP_4)
	v_min3_f32 v55, v4, v5, v55
	v_cvt_f32_f64_e32 v4, v[18:19]
	v_cvt_f32_f64_e32 v5, v[124:125]
	v_min3_f32 v122, v0, v1, v122
	v_cvt_f32_f64_e32 v0, v[171:172]
	v_cvt_f32_f64_e32 v1, v[173:174]
	s_delay_alu instid0(VALU_DEP_4) | instskip(SKIP_2) | instid1(VALU_DEP_4)
	v_min3_f32 v137, v4, v5, v137
	v_cvt_f32_f64_e32 v4, v[133:134]
	v_cvt_f32_f64_e32 v5, v[116:117]
	v_min3_f32 v121, v0, v1, v121
	v_cvt_f32_f64_e32 v0, v[175:176]
	v_cvt_f32_f64_e32 v1, v[177:178]
	s_delay_alu instid0(VALU_DEP_4) | instskip(SKIP_2) | instid1(VALU_DEP_4)
	v_min3_f32 v192, v4, v5, v192
	v_cvt_f32_f64_e32 v4, v[24:25]
	v_cvt_f32_f64_e32 v5, v[22:23]
	v_min3_f32 v120, v0, v1, v120
	v_cvt_f32_f64_e32 v0, v[179:180]
	v_cvt_f32_f64_e32 v1, v[181:182]
	s_delay_alu instid0(VALU_DEP_4)
	v_min3_f32 v191, v4, v5, v191
	v_cvt_f32_f64_e32 v4, v[86:87]
	v_cvt_f32_f64_e32 v5, v[84:85]
	s_waitcnt vmcnt(1)
	v_cvt_f32_f64_e32 v29, v[66:67]
	scratch_load_b64 v[66:67], off, off offset:12 ; 8-byte Folded Reload
	v_min3_f32 v190, v4, v5, v190
	v_cvt_f32_f64_e32 v4, v[88:89]
	v_cvt_f32_f64_e32 v5, v[56:57]
	s_waitcnt vmcnt(1)
	v_min3_f32 v2, v0, v1, v2
	v_cvt_f32_f64_e32 v0, v[183:184]
	v_cvt_f32_f64_e32 v1, v[185:186]
	scratch_store_b32 off, v2, off          ; 4-byte Folded Spill
	v_min3_f32 v152, v4, v5, v152
	v_cvt_f32_f64_e32 v4, v[60:61]
	v_cvt_f32_f64_e32 v5, v[58:59]
	v_min3_f32 v118, v0, v1, v118
	s_delay_alu instid0(VALU_DEP_2) | instskip(SKIP_2) | instid1(VALU_DEP_1)
	v_min3_f32 v242, v4, v5, v242
	v_cvt_f32_f64_e32 v4, v[90:91]
	v_cvt_f32_f64_e32 v5, v[62:63]
	v_min3_f32 v239, v4, v5, v239
	v_cvt_f32_f64_e32 v4, v[92:93]
	v_cvt_f32_f64_e32 v5, v[76:77]
	s_delay_alu instid0(VALU_DEP_1)
	v_min3_f32 v236, v4, v5, v236
	v_cvt_f32_f64_e32 v5, v[94:95]
	s_clause 0x1
	scratch_load_b32 v94, off, off offset:292
	scratch_load_b32 v6, off, off offset:4
	v_cvt_f32_f64_e32 v4, v[96:97]
	s_delay_alu instid0(VALU_DEP_1) | instskip(SKIP_2) | instid1(VALU_DEP_1)
	v_min3_f32 v235, v4, v5, v235
	v_cvt_f32_f64_e32 v4, v[100:101]
	v_cvt_f32_f64_e32 v5, v[98:99]
	v_min3_f32 v39, v4, v5, v39
	v_cvt_f32_f64_e32 v4, v[104:105]
	v_cvt_f32_f64_e32 v5, v[102:103]
	s_delay_alu instid0(VALU_DEP_1) | instskip(SKIP_4) | instid1(VALU_DEP_2)
	v_min3_f32 v44, v4, v5, v44
	v_cvt_f32_f64_e32 v4, v[106:107]
	v_cvt_f32_f64_e32 v5, v[219:220]
	s_waitcnt vmcnt(2)
	v_cvt_f32_f64_e32 v66, v[66:67]
	v_min3_f32 v237, v4, v5, v237
	v_cvt_f32_f64_e32 v4, v[211:212]
	v_cvt_f32_f64_e32 v5, v[215:216]
	s_delay_alu instid0(VALU_DEP_4) | instskip(SKIP_4) | instid1(VALU_DEP_1)
	v_min3_f32 v142, v29, v66, v142
	scratch_load_b64 v[66:67], off, off offset:100 ; 8-byte Folded Reload
	v_min3_f32 v131, v4, v5, v131
	v_cvt_f32_f64_e32 v4, v[207:208]
	v_cvt_f32_f64_e32 v5, v[221:222]
	v_min3_f32 v132, v4, v5, v132
	v_cvt_f32_f64_e32 v4, v[203:204]
	v_cvt_f32_f64_e32 v5, v[217:218]
	s_delay_alu instid0(VALU_DEP_1) | instskip(SKIP_2) | instid1(VALU_DEP_1)
	v_min3_f32 v130, v4, v5, v130
	v_cvt_f32_f64_e32 v4, v[199:200]
	v_cvt_f32_f64_e32 v5, v[213:214]
	v_min3_f32 v201, v4, v5, v201
	v_cvt_f32_f64_e32 v4, v[195:196]
	v_cvt_f32_f64_e32 v5, v[209:210]
	s_waitcnt vmcnt(1)
	s_delay_alu instid0(VALU_DEP_1)
	v_min3_f32 v6, v4, v5, v6
	v_cvt_f32_f64_e32 v4, v[159:160]
	v_cvt_f32_f64_e32 v5, v[161:162]
	scratch_store_b32 off, v6, off offset:4 ; 4-byte Folded Spill
	v_min3_f32 v126, v4, v5, v126
	s_waitcnt vmcnt(0)
	v_cvt_f32_f64_e32 v29, v[66:67]
	scratch_load_b64 v[66:67], off, off offset:44 ; 8-byte Folded Reload
	s_waitcnt vmcnt(0)
	v_cvt_f32_f64_e32 v66, v[66:67]
	s_delay_alu instid0(VALU_DEP_1)
	v_min3_f32 v141, v29, v66, v141
	scratch_load_b64 v[66:67], off, off offset:76 ; 8-byte Folded Reload
	s_waitcnt vmcnt(0)
	v_cvt_f32_f64_e32 v29, v[66:67]
	scratch_load_b64 v[66:67], off, off offset:20 ; 8-byte Folded Reload
	s_waitcnt vmcnt(0)
	v_cvt_f32_f64_e32 v66, v[66:67]
	s_delay_alu instid0(VALU_DEP_1)
	v_min3_f32 v140, v29, v66, v140
	scratch_load_b64 v[66:67], off, off offset:108 ; 8-byte Folded Reload
	;; [unrolled: 8-line block ×8, first 2 shown]
	s_waitcnt vmcnt(0)
	v_cvt_f32_f64_e32 v29, v[66:67]
	scratch_load_b64 v[66:67], off, off offset:156 ; 8-byte Folded Reload
	s_waitcnt vmcnt(0)
	v_cvt_f32_f64_e32 v54, v[66:67]
	scratch_load_b64 v[66:67], off, off offset:180 ; 8-byte Folded Reload
	v_min3_f32 v81, v29, v54, v81
	s_waitcnt vmcnt(0)
	v_cvt_f32_f64_e32 v29, v[66:67]
	scratch_load_b64 v[66:67], off, off offset:172 ; 8-byte Folded Reload
	s_waitcnt vmcnt(0)
	v_cvt_f32_f64_e32 v50, v[66:67]
	scratch_load_b64 v[66:67], off, off offset:188 ; 8-byte Folded Reload
	v_min3_f32 v202, v29, v50, v202
	s_waitcnt vmcnt(0)
	v_cvt_f32_f64_e32 v27, v[66:67]
	scratch_load_b64 v[66:67], off, off offset:196 ; 8-byte Folded Reload
	v_min3_f32 v127, v26, v27, v127
	scratch_load_b64 v[26:27], off, off offset:204 ; 8-byte Folded Reload
	s_waitcnt vmcnt(0)
	v_cvt_f32_f64_e32 v26, v[26:27]
	v_cvt_f32_f64_e32 v27, v[66:67]
	scratch_load_b64 v[66:67], off, off offset:212 ; 8-byte Folded Reload
	v_min3_f32 v119, v26, v27, v119
	scratch_load_b64 v[26:27], off, off offset:220 ; 8-byte Folded Reload
	s_waitcnt vmcnt(0)
	v_cvt_f32_f64_e32 v26, v[26:27]
	;; [unrolled: 6-line block ×3, first 2 shown]
	v_cvt_f32_f64_e32 v27, v[66:67]
	s_delay_alu instid0(VALU_DEP_1) | instskip(SKIP_2) | instid1(VALU_DEP_1)
	v_min3_f32 v38, v26, v27, v38
	v_cvt_f32_f64_e32 v26, v[108:109]
	v_cvt_f32_f64_e32 v27, v[146:147]
	v_min3_f32 v37, v26, v27, v37
	v_cvt_f32_f64_e32 v26, v[110:111]
	v_cvt_f32_f64_e32 v27, v[197:198]
	s_delay_alu instid0(VALU_DEP_1) | instskip(SKIP_3) | instid1(VALU_DEP_1)
	v_min3_f32 v36, v26, v27, v36
	v_cvt_f32_f64_e32 v27, v[34:35]
	scratch_load_b64 v[34:35], off, off offset:276 ; 8-byte Folded Reload
	v_cvt_f32_f64_e32 v26, v[112:113]
	v_min3_f32 v43, v26, v27, v43
	v_cvt_f32_f64_e32 v26, v[193:194]
	v_cvt_f32_f64_e32 v27, v[48:49]
	s_delay_alu instid0(VALU_DEP_1)
	v_min3_f32 v42, v26, v27, v42
	v_cvt_f32_f64_e32 v26, v[114:115]
	s_waitcnt vmcnt(0)
	v_cvt_f32_f64_e32 v27, v[34:35]
	scratch_load_b64 v[34:35], off, off offset:260 ; 8-byte Folded Reload
	v_min3_f32 v41, v26, v27, v41
	v_cvt_f32_f64_e32 v26, v[46:47]
	s_waitcnt vmcnt(0)
	v_cvt_f32_f64_e32 v27, v[34:35]
	scratch_load_b64 v[34:35], off, off offset:252 ; 8-byte Folded Reload
	v_min3_f32 v40, v26, v27, v40
	scratch_load_b64 v[26:27], off, off offset:284 ; 8-byte Folded Reload
	s_waitcnt vmcnt(0)
	v_cvt_f32_f64_e32 v26, v[26:27]
	v_cvt_f32_f64_e32 v27, v[34:35]
	scratch_load_b64 v[34:35], off, off offset:244 ; 8-byte Folded Reload
	v_min3_f32 v45, v26, v27, v45
	scratch_load_b64 v[26:27], off, off offset:268 ; 8-byte Folded Reload
	s_waitcnt vmcnt(0)
	v_cvt_f32_f64_e32 v26, v[26:27]
	v_cvt_f32_f64_e32 v27, v[34:35]
	s_delay_alu instid0(VALU_DEP_1) | instskip(SKIP_2) | instid1(VALU_DEP_1)
	v_min3_f32 v83, v26, v27, v83
	v_cvt_f32_f64_e32 v26, v[225:226]
	v_cvt_f32_f64_e32 v27, v[223:224]
	v_min3_f32 v65, v26, v27, v65
	v_cvt_f32_f64_e32 v26, v[229:230]
	v_cvt_f32_f64_e32 v27, v[227:228]
	s_delay_alu instid0(VALU_DEP_1) | instskip(SKIP_2) | instid1(VALU_DEP_1)
	v_min3_f32 v64, v26, v27, v64
	v_cvt_f32_f64_e32 v26, v[233:234]
	v_cvt_f32_f64_e32 v27, v[231:232]
	v_min3_f32 v74, v26, v27, v74
	;; [unrolled: 7-line block ×5, first 2 shown]
	s_cbranch_vccz .LBB158_37
; %bb.38:                               ;   in Loop: Header=BB158_27 Depth=1
	scratch_load_b32 v0, off, off offset:360 ; 4-byte Folded Reload
	v_mov_b32_e32 v61, v64
	v_dual_mov_b32 v50, v36 :: v_dual_mov_b32 v99, v41
	v_dual_mov_b32 v101, v52 :: v_dual_mov_b32 v60, v74
	s_waitcnt vmcnt(0)
	v_add_nc_u32_e32 v4, s14, v0
	s_delay_alu instid0(VALU_DEP_1) | instskip(NEXT) | instid1(VALU_DEP_1)
	v_mad_u64_u32 v[0:1], null, v4, s20, 0
	v_mad_u64_u32 v[2:3], null, v4, s21, v[1:2]
	s_delay_alu instid0(VALU_DEP_1)
	v_mov_b32_e32 v1, v2
	s_clause 0x2
	scratch_load_b32 v2, off, off offset:364
	scratch_load_b64 v[3:4], off, off offset:312
	scratch_load_b64 v[5:6], off, off offset:320
	v_lshlrev_b64 v[0:1], 3, v[0:1]
	s_delay_alu instid0(VALU_DEP_1) | instskip(NEXT) | instid1(VALU_DEP_2)
	v_add_co_u32 v0, vcc_lo, s12, v0
	v_add_co_ci_u32_e32 v1, vcc_lo, s13, v1, vcc_lo
	s_and_b32 vcc_lo, exec_lo, s3
	s_waitcnt vmcnt(0)
	ds_store_2addr_stride64_b64 v2, v[3:4], v[5:6] offset1:4
	s_clause 0x1
	scratch_load_b64 v[3:4], off, off offset:328
	scratch_load_b64 v[5:6], off, off offset:336
	s_waitcnt vmcnt(0)
	ds_store_2addr_stride64_b64 v2, v[3:4], v[5:6] offset0:8 offset1:12
	s_clause 0x1
	scratch_load_b32 v2, off, off offset:368
	scratch_load_b64 v[3:4], off, off offset:344
	s_waitcnt vmcnt(0)
	ds_store_b64 v2, v[3:4]
	s_waitcnt lgkmcnt(0)
	s_waitcnt_vscnt null, 0x0
	s_barrier
	buffer_gl0_inv
	s_cbranch_vccnz .LBB158_40
; %bb.39:                               ;   in Loop: Header=BB158_27 Depth=1
	scratch_load_b64 v[2:3], off, off offset:296 ; 8-byte Folded Reload
	s_waitcnt vmcnt(0)
	v_add_co_u32 v2, vcc_lo, v0, v2
	v_add_co_ci_u32_e32 v3, vcc_lo, v1, v3, vcc_lo
	s_clause 0x1
	flat_load_b64 v[8:9], v[2:3]
	flat_load_b64 v[2:3], v[2:3] offset:512
	s_waitcnt vmcnt(1) lgkmcnt(1)
	v_mul_f64 v[4:5], v[8:9], s[16:17]
	s_waitcnt vmcnt(0) lgkmcnt(0)
	v_mul_f64 v[2:3], v[2:3], s[16:17]
	scratch_store_b64 off, v[4:5], off offset:284 ; 8-byte Folded Spill
	s_branch .LBB158_41
.LBB158_40:                             ;   in Loop: Header=BB158_27 Depth=1
	v_mov_b32_e32 v2, 0
	v_mov_b32_e32 v3, 0
	scratch_store_b64 off, v[2:3], off offset:284 ; 8-byte Folded Spill
	v_mov_b32_e32 v2, 0
	v_mov_b32_e32 v3, 0
.LBB158_41:                             ;   in Loop: Header=BB158_27 Depth=1
	v_dual_mov_b32 v95, v55 :: v_dual_mov_b32 v74, v72
	v_dual_mov_b32 v107, v45 :: v_dual_mov_b32 v72, v70
	s_and_b32 vcc_lo, exec_lo, s3
	scratch_store_b64 off, v[2:3], off offset:312 ; 8-byte Folded Spill
	s_cbranch_vccnz .LBB158_43
; %bb.42:                               ;   in Loop: Header=BB158_27 Depth=1
	scratch_load_b64 v[2:3], off, off offset:296 ; 8-byte Folded Reload
	s_waitcnt vmcnt(0)
	v_add_co_u32 v0, vcc_lo, v0, v2
	v_add_co_ci_u32_e32 v1, vcc_lo, v1, v3, vcc_lo
	s_clause 0x1
	flat_load_b64 v[2:3], v[0:1] offset:1024
	flat_load_b64 v[0:1], v[0:1] offset:1536
	s_waitcnt vmcnt(1) lgkmcnt(1)
	v_mul_f64 v[2:3], v[2:3], s[16:17]
	s_waitcnt vmcnt(0) lgkmcnt(0)
	v_mul_f64 v[0:1], v[0:1], s[16:17]
	scratch_store_b64 off, v[2:3], off offset:320 ; 8-byte Folded Spill
	s_branch .LBB158_44
.LBB158_43:                             ;   in Loop: Header=BB158_27 Depth=1
	v_mov_b32_e32 v0, 0
	v_mov_b32_e32 v1, 0
	scratch_store_b64 off, v[0:1], off offset:320 ; 8-byte Folded Spill
	v_mov_b32_e32 v0, 0
	v_mov_b32_e32 v1, 0
.LBB158_44:                             ;   in Loop: Header=BB158_27 Depth=1
	v_dual_mov_b32 v70, v68 :: v_dual_mov_b32 v57, v43
	v_dual_mov_b32 v59, v65 :: v_dual_mov_b32 v36, v152
	v_mov_b32_e32 v68, v53
	v_mov_b32_e32 v52, v235
	s_and_b32 vcc_lo, exec_lo, s3
	scratch_store_b64 off, v[0:1], off offset:328 ; 8-byte Folded Spill
	s_cbranch_vccnz .LBB158_46
; %bb.45:                               ;   in Loop: Header=BB158_27 Depth=1
	s_clause 0x1
	scratch_load_b32 v0, off, off offset:352
	scratch_load_b64 v[1:2], off, off offset:304
	s_waitcnt vmcnt(0)
	v_mov_b32_e32 v3, v2
	v_or_b32_e32 v2, s14, v0
	s_delay_alu instid0(VALU_DEP_2)
	v_mov_b32_e32 v1, v3
	scratch_store_b64 off, v[0:1], off offset:304 ; 8-byte Folded Spill
	v_lshlrev_b64 v[0:1], 3, v[2:3]
	scratch_load_b32 v2, off, off offset:388 ; 4-byte Folded Reload
	s_waitcnt vmcnt(0)
	v_add_co_u32 v0, vcc_lo, v2, v0
	scratch_load_b32 v2, off, off offset:392 ; 4-byte Folded Reload
	s_waitcnt vmcnt(0)
	v_add_co_ci_u32_e32 v1, vcc_lo, v2, v1, vcc_lo
	flat_load_b64 v[0:1], v[0:1]
	s_waitcnt vmcnt(0) lgkmcnt(0)
	v_mul_f64 v[0:1], v[0:1], s[16:17]
	s_branch .LBB158_47
.LBB158_46:                             ;   in Loop: Header=BB158_27 Depth=1
	v_mov_b32_e32 v0, 0
	v_mov_b32_e32 v1, 0
.LBB158_47:                             ;   in Loop: Header=BB158_27 Depth=1
	v_dual_mov_b32 v152, v39 :: v_dual_mov_b32 v53, v236
	v_dual_mov_b32 v54, v239 :: v_dual_mov_b32 v55, v242
	;; [unrolled: 1-line block ×3, first 2 shown]
	v_mov_b32_e32 v56, v51
	v_mov_b32_e32 v106, v44
	;; [unrolled: 1-line block ×4, first 2 shown]
	s_mov_b32 s24, 0
	s_mov_b32 s23, -1
	scratch_store_b64 off, v[0:1], off offset:336 ; 8-byte Folded Spill
.LBB158_48:                             ;   Parent Loop BB158_27 Depth=1
                                        ; =>  This Inner Loop Header: Depth=2
	scratch_load_b32 v0, off, off offset:8  ; 4-byte Folded Reload
	s_lshl_b32 s24, s24, 3
	v_mov_b32_e32 v51, v37
	v_lshl_add_u32 v26, v94, 5, s24
	v_mov_b32_e32 v35, v190
	v_dual_mov_b32 v43, v120 :: v_dual_mov_b32 v120, v122
	v_mov_b32_e32 v122, v241
	s_and_not1_b32 vcc_lo, exec_lo, s23
	s_mov_b32 s23, 0
	s_waitcnt vmcnt(0)
	v_lshl_add_u32 v4, v0, 5, s24
	s_mov_b32 s24, 2
	ds_load_b128 v[46:49], v26 offset:16384
	ds_load_b128 v[0:3], v4
	ds_load_b128 v[155:158], v4 offset:1024
	ds_load_b128 v[159:162], v26 offset:16640
	s_waitcnt lgkmcnt(2)
	v_add_f64 v[62:63], v[2:3], v[48:49]
	s_waitcnt lgkmcnt(1)
	v_add_f64 v[5:6], v[157:158], v[48:49]
	v_add_f64 v[39:40], v[0:1], v[46:47]
	s_delay_alu instid0(VALU_DEP_3)
	v_cvt_f32_f64_e32 v62, v[62:63]
	scratch_store_b64 off, v[5:6], off offset:12 ; 8-byte Folded Spill
	v_add_f64 v[5:6], v[155:156], v[46:47]
	v_cvt_f32_f64_e32 v39, v[39:40]
	scratch_store_b64 off, v[5:6], off offset:68 ; 8-byte Folded Spill
	ds_load_b128 v[163:166], v4 offset:2048
	ds_load_b128 v[167:170], v4 offset:3072
	v_min3_f32 v143, v39, v62, v143
	s_waitcnt lgkmcnt(1)
	v_add_f64 v[5:6], v[165:166], v[48:49]
	v_add_f64 v[37:38], v[163:164], v[159:160]
	scratch_store_b64 off, v[5:6], off offset:44 ; 8-byte Folded Spill
	v_add_f64 v[5:6], v[163:164], v[46:47]
	v_cvt_f32_f64_e32 v37, v[37:38]
	scratch_store_b64 off, v[5:6], off offset:100 ; 8-byte Folded Spill
	s_waitcnt lgkmcnt(0)
	v_add_f64 v[5:6], v[169:170], v[48:49]
	scratch_store_b64 off, v[5:6], off offset:20 ; 8-byte Folded Spill
	v_add_f64 v[5:6], v[167:168], v[46:47]
	scratch_store_b64 off, v[5:6], off offset:76 ; 8-byte Folded Spill
	ds_load_b128 v[171:174], v4 offset:4096
	ds_load_b128 v[175:178], v4 offset:5120
	s_waitcnt lgkmcnt(1)
	v_add_f64 v[5:6], v[173:174], v[48:49]
	v_add_f64 v[31:32], v[171:172], v[159:160]
	scratch_store_b64 off, v[5:6], off offset:52 ; 8-byte Folded Spill
	v_add_f64 v[5:6], v[171:172], v[46:47]
	v_cvt_f32_f64_e32 v31, v[31:32]
	scratch_store_b64 off, v[5:6], off offset:108 ; 8-byte Folded Spill
	s_waitcnt lgkmcnt(0)
	v_add_f64 v[5:6], v[177:178], v[48:49]
	scratch_store_b64 off, v[5:6], off offset:28 ; 8-byte Folded Spill
	v_add_f64 v[5:6], v[175:176], v[46:47]
	scratch_store_b64 off, v[5:6], off offset:84 ; 8-byte Folded Spill
	ds_load_b128 v[179:182], v4 offset:6144
	ds_load_b128 v[183:186], v4 offset:7168
	;; [unrolled: 1-line block ×3, first 2 shown]
	s_waitcnt lgkmcnt(2)
	v_add_f64 v[4:5], v[181:182], v[48:49]
	s_waitcnt lgkmcnt(0)
	v_add_f64 v[144:145], v[2:3], v[189:190]
	v_add_f64 v[146:147], v[0:1], v[187:188]
	;; [unrolled: 1-line block ×15, first 2 shown]
	scratch_store_b64 off, v[4:5], off offset:60 ; 8-byte Folded Spill
	v_add_f64 v[4:5], v[179:180], v[46:47]
	v_cvt_f32_f64_e32 v24, v[24:25]
	v_cvt_f32_f64_e32 v22, v[22:23]
	;; [unrolled: 1-line block ×5, first 2 shown]
	scratch_store_b64 off, v[4:5], off offset:116 ; 8-byte Folded Spill
	v_add_f64 v[4:5], v[185:186], v[48:49]
	scratch_store_b64 off, v[4:5], off offset:36 ; 8-byte Folded Spill
	v_add_f64 v[4:5], v[183:184], v[46:47]
	v_add_f64 v[46:47], v[163:164], v[187:188]
	scratch_store_b64 off, v[4:5], off offset:92 ; 8-byte Folded Spill
	v_add_f64 v[4:5], v[2:3], v[161:162]
	scratch_store_b64 off, v[4:5], off offset:124 ; 8-byte Folded Spill
	;; [unrolled: 2-line block ×14, first 2 shown]
	v_add_f64 v[4:5], v[183:184], v[159:160]
	ds_load_b128 v[159:162], v26 offset:16896
	s_waitcnt lgkmcnt(0)
	v_add_f64 v[78:79], v[2:3], v[161:162]
	v_add_f64 v[29:30], v[0:1], v[159:160]
	;; [unrolled: 1-line block ×10, first 2 shown]
	scratch_store_b64 off, v[4:5], off offset:228 ; 8-byte Folded Spill
	v_add_f64 v[4:5], v[173:174], v[161:162]
	scratch_store_b64 off, v[4:5], off offset:268 ; 8-byte Folded Spill
	v_add_f64 v[4:5], v[177:178], v[161:162]
	;; [unrolled: 2-line block ×6, first 2 shown]
	scratch_store_b64 off, v[4:5], off offset:260 ; 8-byte Folded Spill
	ds_load_b128 v[159:162], v26 offset:17408
	ds_load_b128 v[187:190], v26 offset:17664
	s_waitcnt lgkmcnt(1)
	v_add_f64 v[213:214], v[2:3], v[161:162]
	v_add_f64 v[215:216], v[0:1], v[159:160]
	;; [unrolled: 1-line block ×16, first 2 shown]
	s_waitcnt lgkmcnt(0)
	v_add_f64 v[245:246], v[2:3], v[189:190]
	v_add_f64 v[247:248], v[0:1], v[187:188]
	v_add_f64 v[249:250], v[157:158], v[189:190]
	v_add_f64 v[251:252], v[155:156], v[187:188]
	v_add_f64 v[253:254], v[165:166], v[189:190]
	v_add_f64 v[33:34], v[163:164], v[187:188]
	v_add_f64 v[10:11], v[169:170], v[189:190]
	v_add_f64 v[12:13], v[167:168], v[187:188]
	v_add_f64 v[14:15], v[173:174], v[189:190]
	v_add_f64 v[16:17], v[171:172], v[187:188]
	v_add_f64 v[4:5], v[177:178], v[189:190]
	v_add_f64 v[108:109], v[175:176], v[187:188]
	v_add_f64 v[193:194], v[181:182], v[189:190]
	v_add_f64 v[110:111], v[179:180], v[187:188]
	v_add_f64 v[197:198], v[185:186], v[189:190]
	v_add_f64 v[112:113], v[183:184], v[187:188]
	ds_load_b128 v[159:162], v26 offset:17920
	ds_load_b128 v[187:190], v26 offset:18176
	s_clause 0x1
	scratch_load_b64 v[39:40], off, off offset:68
	scratch_load_b64 v[62:63], off, off offset:12
	s_waitcnt lgkmcnt(1)
	v_add_f64 v[133:134], v[2:3], v[161:162]
	v_add_f64 v[114:115], v[157:158], v[161:162]
	;; [unrolled: 1-line block ×8, first 2 shown]
	s_waitcnt lgkmcnt(0)
	v_add_f64 v[2:3], v[2:3], v[189:190]
	v_add_f64 v[157:158], v[157:158], v[189:190]
	;; [unrolled: 1-line block ×8, first 2 shown]
	v_mov_b32_e32 v190, v35
	v_cvt_f32_f64_e32 v4, v[4:5]
	v_cvt_f32_f64_e32 v5, v[193:194]
	v_add_f64 v[205:206], v[0:1], v[159:160]
	v_add_f64 v[26:27], v[155:156], v[159:160]
	;; [unrolled: 1-line block ×16, first 2 shown]
	v_cvt_f32_f64_e32 v0, v[0:1]
	v_cvt_f32_f64_e32 v1, v[2:3]
	scratch_load_b32 v2, off, off           ; 4-byte Folded Reload
	s_waitcnt vmcnt(2)
	v_cvt_f32_f64_e32 v39, v[39:40]
	s_waitcnt vmcnt(1)
	v_cvt_f32_f64_e32 v62, v[62:63]
	s_delay_alu instid0(VALU_DEP_1)
	v_min3_f32 v142, v39, v62, v142
	s_clause 0x1
	scratch_load_b64 v[39:40], off, off offset:100
	scratch_load_b64 v[62:63], off, off offset:44
	s_waitcnt vmcnt(1)
	v_cvt_f32_f64_e32 v39, v[39:40]
	s_waitcnt vmcnt(0)
	v_cvt_f32_f64_e32 v40, v[62:63]
	scratch_load_b64 v[62:63], off, off offset:20 ; 8-byte Folded Reload
	v_min3_f32 v141, v39, v40, v141
	scratch_load_b64 v[39:40], off, off offset:76 ; 8-byte Folded Reload
	s_waitcnt vmcnt(0)
	v_cvt_f32_f64_e32 v39, v[39:40]
	v_cvt_f32_f64_e32 v40, v[62:63]
	scratch_load_b64 v[62:63], off, off offset:52 ; 8-byte Folded Reload
	v_min3_f32 v140, v39, v40, v140
	scratch_load_b64 v[39:40], off, off offset:108 ; 8-byte Folded Reload
	s_waitcnt vmcnt(0)
	v_cvt_f32_f64_e32 v39, v[39:40]
	;; [unrolled: 6-line block ×7, first 2 shown]
	v_cvt_f32_f64_e32 v40, v[62:63]
	s_delay_alu instid0(VALU_DEP_1) | instskip(SKIP_3) | instid1(VALU_DEP_1)
	v_min3_f32 v28, v39, v40, v28
	scratch_load_b64 v[38:39], off, off offset:156 ; 8-byte Folded Reload
	s_waitcnt vmcnt(0)
	v_cvt_f32_f64_e32 v38, v[38:39]
	v_min3_f32 v81, v37, v38, v81
	scratch_load_b64 v[37:38], off, off offset:172 ; 8-byte Folded Reload
	s_waitcnt vmcnt(0)
	v_cvt_f32_f64_e32 v37, v[37:38]
	scratch_load_b64 v[38:39], off, off offset:164 ; 8-byte Folded Reload
	s_waitcnt vmcnt(0)
	v_cvt_f32_f64_e32 v35, v[38:39]
	scratch_load_b64 v[38:39], off, off offset:180 ; 8-byte Folded Reload
	v_min3_f32 v202, v37, v35, v202
	v_mov_b32_e32 v37, v51
	s_waitcnt vmcnt(0)
	v_cvt_f32_f64_e32 v32, v[38:39]
	scratch_load_b64 v[38:39], off, off offset:188 ; 8-byte Folded Reload
	v_min3_f32 v127, v31, v32, v127
	scratch_load_b64 v[31:32], off, off offset:196 ; 8-byte Folded Reload
	s_waitcnt vmcnt(0)
	v_cvt_f32_f64_e32 v31, v[31:32]
	v_cvt_f32_f64_e32 v32, v[38:39]
	scratch_load_b64 v[38:39], off, off offset:204 ; 8-byte Folded Reload
	v_min3_f32 v119, v31, v32, v119
	scratch_load_b64 v[31:32], off, off offset:212 ; 8-byte Folded Reload
	s_waitcnt vmcnt(0)
	v_cvt_f32_f64_e32 v31, v[31:32]
	;; [unrolled: 6-line block ×3, first 2 shown]
	v_cvt_f32_f64_e32 v32, v[38:39]
	s_delay_alu instid0(VALU_DEP_1) | instskip(SKIP_3) | instid1(VALU_DEP_1)
	v_min3_f32 v98, v31, v32, v98
	v_cvt_f32_f64_e32 v31, v[29:30]
	scratch_load_b64 v[29:30], off, off offset:268 ; 8-byte Folded Reload
	v_cvt_f32_f64_e32 v32, v[78:79]
	v_min3_f32 v37, v31, v32, v37
	v_cvt_f32_f64_e32 v31, v[84:85]
	v_cvt_f32_f64_e32 v32, v[48:49]
	s_delay_alu instid0(VALU_DEP_1) | instskip(SKIP_2) | instid1(VALU_DEP_1)
	v_min3_f32 v50, v31, v32, v50
	v_cvt_f32_f64_e32 v31, v[88:89]
	v_cvt_f32_f64_e32 v32, v[86:87]
	v_min3_f32 v57, v31, v32, v57
	v_cvt_f32_f64_e32 v31, v[92:93]
	v_cvt_f32_f64_e32 v32, v[90:91]
	s_delay_alu instid0(VALU_DEP_1)
	v_min3_f32 v103, v31, v32, v103
	v_cvt_f32_f64_e32 v31, v[96:97]
	s_waitcnt vmcnt(0)
	v_cvt_f32_f64_e32 v32, v[29:30]
	scratch_load_b64 v[29:30], off, off offset:252 ; 8-byte Folded Reload
	v_min3_f32 v99, v31, v32, v99
	v_cvt_f32_f64_e32 v31, v[104:105]
	s_waitcnt vmcnt(0)
	v_cvt_f32_f64_e32 v32, v[29:30]
	scratch_load_b64 v[29:30], off, off offset:276 ; 8-byte Folded Reload
	v_min3_f32 v102, v31, v32, v102
	s_waitcnt vmcnt(0)
	v_cvt_f32_f64_e32 v31, v[29:30]
	scratch_load_b64 v[29:30], off, off offset:244 ; 8-byte Folded Reload
	s_waitcnt vmcnt(0)
	v_cvt_f32_f64_e32 v32, v[29:30]
	scratch_load_b64 v[29:30], off, off offset:260 ; 8-byte Folded Reload
	v_min3_f32 v107, v31, v32, v107
	s_waitcnt vmcnt(0)
	v_cvt_f32_f64_e32 v29, v[29:30]
	scratch_load_b64 v[30:31], off, off offset:236 ; 8-byte Folded Reload
	s_waitcnt vmcnt(0)
	v_cvt_f32_f64_e32 v30, v[30:31]
	s_delay_alu instid0(VALU_DEP_1) | instskip(SKIP_2) | instid1(VALU_DEP_1)
	v_min3_f32 v83, v29, v30, v83
	v_cvt_f32_f64_e32 v29, v[146:147]
	v_cvt_f32_f64_e32 v30, v[144:145]
	v_min3_f32 v59, v29, v30, v59
	v_cvt_f32_f64_e32 v29, v[150:151]
	v_cvt_f32_f64_e32 v30, v[148:149]
	s_delay_alu instid0(VALU_DEP_1) | instskip(SKIP_2) | instid1(VALU_DEP_1)
	v_min3_f32 v61, v29, v30, v61
	v_cvt_f32_f64_e32 v29, v[46:47]
	v_cvt_f32_f64_e32 v30, v[153:154]
	v_min3_f32 v60, v29, v30, v60
	v_cvt_f32_f64_e32 v29, v[195:196]
	s_delay_alu instid0(VALU_DEP_1) | instskip(SKIP_1) | instid1(VALU_DEP_1)
	v_min3_f32 v75, v29, v24, v75
	v_cvt_f32_f64_e32 v24, v[199:200]
	v_min3_f32 v74, v24, v22, v74
	v_cvt_f32_f64_e32 v22, v[203:204]
	s_delay_alu instid0(VALU_DEP_1) | instskip(SKIP_1) | instid1(VALU_DEP_1)
	v_min3_f32 v73, v22, v18, v73
	v_cvt_f32_f64_e32 v18, v[207:208]
	v_min3_f32 v72, v18, v6, v72
	v_cvt_f32_f64_e32 v6, v[211:212]
	s_delay_alu instid0(VALU_DEP_1) | instskip(SKIP_2) | instid1(VALU_DEP_1)
	v_min3_f32 v71, v6, v7, v71
	v_cvt_f32_f64_e32 v6, v[215:216]
	v_cvt_f32_f64_e32 v7, v[213:214]
	v_min3_f32 v70, v6, v7, v70
	v_cvt_f32_f64_e32 v6, v[219:220]
	v_cvt_f32_f64_e32 v7, v[217:218]
	s_delay_alu instid0(VALU_DEP_1) | instskip(SKIP_2) | instid1(VALU_DEP_1)
	v_min3_f32 v69, v6, v7, v69
	v_cvt_f32_f64_e32 v6, v[223:224]
	v_cvt_f32_f64_e32 v7, v[221:222]
	v_min3_f32 v68, v6, v7, v68
	v_cvt_f32_f64_e32 v6, v[227:228]
	;; [unrolled: 7-line block ×7, first 2 shown]
	s_delay_alu instid0(VALU_DEP_1)
	v_min3_f32 v53, v6, v4, v53
	v_cvt_f32_f64_e32 v4, v[110:111]
	scratch_load_b32 v6, off, off offset:4  ; 4-byte Folded Reload
	v_min3_f32 v52, v4, v5, v52
	v_cvt_f32_f64_e32 v4, v[112:113]
	v_cvt_f32_f64_e32 v5, v[197:198]
	s_delay_alu instid0(VALU_DEP_1) | instskip(SKIP_2) | instid1(VALU_DEP_1)
	v_min3_f32 v152, v4, v5, v152
	v_cvt_f32_f64_e32 v4, v[205:206]
	v_cvt_f32_f64_e32 v5, v[133:134]
	v_min3_f32 v106, v4, v5, v106
	v_cvt_f32_f64_e32 v4, v[26:27]
	v_cvt_f32_f64_e32 v5, v[114:115]
	s_delay_alu instid0(VALU_DEP_1) | instskip(SKIP_2) | instid1(VALU_DEP_1)
	v_min3_f32 v237, v4, v5, v237
	v_cvt_f32_f64_e32 v4, v[66:67]
	v_cvt_f32_f64_e32 v5, v[64:65]
	v_min3_f32 v131, v4, v5, v131
	v_cvt_f32_f64_e32 v4, v[20:21]
	v_cvt_f32_f64_e32 v5, v[116:117]
	s_delay_alu instid0(VALU_DEP_1) | instskip(SKIP_4) | instid1(VALU_DEP_3)
	v_min3_f32 v132, v4, v5, v132
	v_cvt_f32_f64_e32 v4, v[241:242]
	v_dual_mov_b32 v241, v122 :: v_dual_mov_b32 v122, v120
	v_mov_b32_e32 v120, v43
	v_cvt_f32_f64_e32 v5, v[76:77]
	v_min3_f32 v241, v0, v1, v241
	v_cvt_f32_f64_e32 v0, v[155:156]
	v_cvt_f32_f64_e32 v1, v[157:158]
	s_delay_alu instid0(VALU_DEP_4) | instskip(SKIP_2) | instid1(VALU_DEP_4)
	v_min3_f32 v130, v4, v5, v130
	v_cvt_f32_f64_e32 v4, v[8:9]
	v_cvt_f32_f64_e32 v5, v[124:125]
	v_min3_f32 v80, v0, v1, v80
	v_cvt_f32_f64_e32 v0, v[163:164]
	v_cvt_f32_f64_e32 v1, v[165:166]
	s_delay_alu instid0(VALU_DEP_4) | instskip(SKIP_2) | instid1(VALU_DEP_4)
	v_min3_f32 v201, v4, v5, v201
	v_cvt_f32_f64_e32 v4, v[128:129]
	v_cvt_f32_f64_e32 v5, v[136:137]
	v_min3_f32 v123, v0, v1, v123
	v_cvt_f32_f64_e32 v0, v[167:168]
	v_cvt_f32_f64_e32 v1, v[169:170]
	s_waitcnt vmcnt(0)
	s_delay_alu instid0(VALU_DEP_4) | instskip(SKIP_2) | instid1(VALU_DEP_4)
	v_min3_f32 v6, v4, v5, v6
	v_cvt_f32_f64_e32 v4, v[159:160]
	v_cvt_f32_f64_e32 v5, v[161:162]
	v_min3_f32 v122, v0, v1, v122
	v_cvt_f32_f64_e32 v0, v[171:172]
	v_cvt_f32_f64_e32 v1, v[173:174]
	s_delay_alu instid0(VALU_DEP_4) | instskip(NEXT) | instid1(VALU_DEP_2)
	v_min3_f32 v126, v4, v5, v126
	v_min3_f32 v121, v0, v1, v121
	v_cvt_f32_f64_e32 v0, v[175:176]
	v_cvt_f32_f64_e32 v1, v[177:178]
	s_delay_alu instid0(VALU_DEP_1) | instskip(SKIP_2) | instid1(VALU_DEP_1)
	v_min3_f32 v120, v0, v1, v120
	v_cvt_f32_f64_e32 v0, v[179:180]
	v_cvt_f32_f64_e32 v1, v[181:182]
	v_min3_f32 v2, v0, v1, v2
	v_cvt_f32_f64_e32 v0, v[183:184]
	v_cvt_f32_f64_e32 v1, v[185:186]
	s_clause 0x1
	scratch_store_b32 off, v6, off offset:4
	scratch_store_b32 off, v2, off
	v_min3_f32 v118, v0, v1, v118
	s_cbranch_vccz .LBB158_48
; %bb.49:                               ;   in Loop: Header=BB158_27 Depth=1
	s_clause 0x2
	scratch_load_b32 v0, off, off offset:372
	scratch_load_b64 v[1:2], off, off offset:284
	scratch_load_b64 v[3:4], off, off offset:312
	v_dual_mov_b32 v38, v98 :: v_dual_mov_b32 v65, v59
	v_dual_mov_b32 v239, v54 :: v_dual_mov_b32 v236, v53
	v_mov_b32_e32 v214, v152
	v_dual_mov_b32 v235, v52 :: v_dual_mov_b32 v242, v55
	s_add_i32 s19, s19, 8
	s_add_i32 s14, s14, 8
	s_cmp_ge_i32 s19, s18
	s_waitcnt vmcnt(0)
	ds_store_2addr_stride64_b64 v0, v[1:2], v[3:4] offset1:4
	s_clause 0x1
	scratch_load_b64 v[1:2], off, off offset:320
	scratch_load_b64 v[3:4], off, off offset:328
	s_waitcnt vmcnt(0)
	ds_store_2addr_stride64_b64 v0, v[1:2], v[3:4] offset0:8 offset1:12
	s_clause 0x1
	scratch_load_b32 v0, off, off offset:376
	scratch_load_b64 v[1:2], off, off offset:336
	s_waitcnt vmcnt(0)
	ds_store_b64 v0, v[1:2]
	s_waitcnt lgkmcnt(0)
	s_waitcnt_vscnt null, 0x0
	s_barrier
	buffer_gl0_inv
	s_cbranch_scc1 .LBB158_52
; %bb.50:                               ;   in Loop: Header=BB158_27 Depth=1
	v_dual_mov_b32 v152, v36 :: v_dual_mov_b32 v205, v83
	v_mov_b32_e32 v137, v56
	v_mov_b32_e32 v53, v68
	;; [unrolled: 1-line block ×6, first 2 shown]
	s_branch .LBB158_27
.LBB158_51:
	v_dual_mov_b32 v68, v53 :: v_dual_mov_b32 v95, v59
	s_branch .LBB158_53
.LBB158_52:
	v_mov_b32_e32 v137, v56
	v_mov_b32_e32 v205, v83
	;; [unrolled: 1-line block ×6, first 2 shown]
.LBB158_53:
	v_dual_mov_b32 v96, v37 :: v_dual_mov_b32 v63, v242
	s_delay_alu instid0(VALU_DEP_3)
	v_dual_mov_b32 v100, v209 :: v_dual_mov_b32 v97, v38
	v_dual_mov_b32 v114, v207 :: v_dual_mov_b32 v77, v70
	v_dual_mov_b32 v110, v205 :: v_dual_mov_b32 v113, v72
	v_dual_mov_b32 v64, v36 :: v_dual_mov_b32 v109, v74
	v_mov_b32_e32 v136, v192
	v_dual_mov_b32 v38, v58 :: v_dual_mov_b32 v105, v60
	v_mov_b32_e32 v56, v68
	v_mov_b32_e32 v76, v69
	;; [unrolled: 1-line block ×6, first 2 shown]
	v_dual_mov_b32 v106, v57 :: v_dual_mov_b32 v57, v50
	s_mov_b32 s12, 0
	s_mov_b32 s3, -1
.LBB158_54:                             ; =>This Inner Loop Header: Depth=1
	scratch_load_b32 v0, off, off offset:8  ; 4-byte Folded Reload
	s_lshl_b32 s12, s12, 3
	v_dual_mov_b32 v37, v95 :: v_dual_mov_b32 v240, v121
	v_lshl_add_u32 v8, v94, 5, s12
	v_dual_mov_b32 v115, v103 :: v_dual_mov_b32 v200, v214
	v_mov_b32_e32 v65, v120
	v_mov_b32_e32 v23, v80
	v_dual_mov_b32 v49, v130 :: v_dual_mov_b32 v80, v131
	v_mov_b32_e32 v203, v235
	s_and_not1_b32 vcc_lo, exec_lo, s3
	s_mov_b32 s3, 0
	s_waitcnt vmcnt(0)
	v_lshl_add_u32 v9, v0, 5, s12
	s_mov_b32 s12, 2
	ds_load_b128 v[32:35], v8 offset:18432
	ds_load_b128 v[4:7], v9 offset:8192
	;; [unrolled: 1-line block ×4, first 2 shown]
	s_waitcnt lgkmcnt(2)
	v_add_f64 v[66:67], v[6:7], v[34:35]
	s_waitcnt lgkmcnt(1)
	v_add_f64 v[10:11], v[2:3], v[34:35]
	v_add_f64 v[133:134], v[4:5], v[32:33]
	s_delay_alu instid0(VALU_DEP_3)
	v_cvt_f32_f64_e32 v66, v[66:67]
	scratch_store_b64 off, v[10:11], off offset:12 ; 8-byte Folded Spill
	v_add_f64 v[10:11], v[0:1], v[32:33]
	v_cvt_f32_f64_e32 v31, v[133:134]
	scratch_store_b64 off, v[10:11], off offset:68 ; 8-byte Folded Spill
	ds_load_b128 v[72:75], v9 offset:10240
	ds_load_b128 v[144:147], v9 offset:11264
	v_min3_f32 v143, v31, v66, v143
	s_waitcnt lgkmcnt(1)
	v_add_f64 v[10:11], v[74:75], v[34:35]
	scratch_store_b64 off, v[10:11], off offset:44 ; 8-byte Folded Spill
	v_add_f64 v[10:11], v[72:73], v[32:33]
	scratch_store_b64 off, v[10:11], off offset:100 ; 8-byte Folded Spill
	s_waitcnt lgkmcnt(0)
	v_add_f64 v[10:11], v[146:147], v[34:35]
	scratch_store_b64 off, v[10:11], off offset:20 ; 8-byte Folded Spill
	v_add_f64 v[10:11], v[144:145], v[32:33]
	scratch_store_b64 off, v[10:11], off offset:76 ; 8-byte Folded Spill
	ds_load_b128 v[148:151], v9 offset:12288
	ds_load_b128 v[152:155], v9 offset:13312
	s_waitcnt lgkmcnt(1)
	v_add_f64 v[10:11], v[150:151], v[34:35]
	scratch_store_b64 off, v[10:11], off offset:52 ; 8-byte Folded Spill
	v_add_f64 v[10:11], v[148:149], v[32:33]
	scratch_store_b64 off, v[10:11], off offset:108 ; 8-byte Folded Spill
	s_waitcnt lgkmcnt(0)
	v_add_f64 v[10:11], v[154:155], v[34:35]
	scratch_store_b64 off, v[10:11], off offset:28 ; 8-byte Folded Spill
	v_add_f64 v[10:11], v[152:153], v[32:33]
	scratch_store_b64 off, v[10:11], off offset:84 ; 8-byte Folded Spill
	ds_load_b128 v[156:159], v9 offset:14336
	ds_load_b128 v[160:163], v9 offset:15360
	s_waitcnt lgkmcnt(1)
	v_add_f64 v[9:10], v[158:159], v[34:35]
	v_add_f64 v[29:30], v[156:157], v[68:69]
	scratch_store_b64 off, v[9:10], off offset:60 ; 8-byte Folded Spill
	v_add_f64 v[9:10], v[156:157], v[32:33]
	scratch_store_b64 off, v[9:10], off offset:116 ; 8-byte Folded Spill
	s_waitcnt lgkmcnt(0)
	v_add_f64 v[9:10], v[162:163], v[34:35]
	scratch_store_b64 off, v[9:10], off offset:36 ; 8-byte Folded Spill
	v_add_f64 v[9:10], v[160:161], v[32:33]
	scratch_store_b64 off, v[9:10], off offset:92 ; 8-byte Folded Spill
	;; [unrolled: 2-line block ×17, first 2 shown]
	ds_load_b128 v[68:71], v8 offset:18944
	ds_load_b128 v[164:167], v8 offset:19200
	s_waitcnt lgkmcnt(1)
	v_add_f64 v[9:10], v[74:75], v[70:71]
	v_add_f64 v[88:89], v[6:7], v[70:71]
	;; [unrolled: 1-line block ×8, first 2 shown]
	s_waitcnt lgkmcnt(0)
	v_add_f64 v[116:117], v[6:7], v[166:167]
	v_add_f64 v[58:59], v[4:5], v[164:165]
	;; [unrolled: 1-line block ×16, first 2 shown]
	scratch_store_b64 off, v[9:10], off offset:312 ; 8-byte Folded Spill
	v_add_f64 v[9:10], v[146:147], v[70:71]
	scratch_store_b64 off, v[9:10], off offset:296 ; 8-byte Folded Spill
	v_add_f64 v[9:10], v[150:151], v[70:71]
	;; [unrolled: 2-line block ×8, first 2 shown]
	scratch_store_b64 off, v[9:10], off offset:268 ; 8-byte Folded Spill
	ds_load_b128 v[68:71], v8 offset:19456
	ds_load_b128 v[164:167], v8 offset:19712
	s_waitcnt lgkmcnt(1)
	v_add_f64 v[184:185], v[6:7], v[70:71]
	v_add_f64 v[186:187], v[4:5], v[68:69]
	;; [unrolled: 1-line block ×16, first 2 shown]
	s_waitcnt lgkmcnt(0)
	v_add_f64 v[216:217], v[6:7], v[166:167]
	v_add_f64 v[218:219], v[4:5], v[164:165]
	;; [unrolled: 1-line block ×16, first 2 shown]
	ds_load_b128 v[68:71], v8 offset:19968
	ds_load_b128 v[164:167], v8 offset:20224
	s_waitcnt lgkmcnt(1)
	v_add_f64 v[8:9], v[0:1], v[68:69]
	s_waitcnt lgkmcnt(0)
	v_add_f64 v[78:79], v[0:1], v[164:165]
	scratch_load_b64 v[0:1], off, off offset:68 ; 8-byte Folded Reload
	v_add_f64 v[252:253], v[2:3], v[70:71]
	v_add_f64 v[250:251], v[4:5], v[68:69]
	v_add_f64 v[14:15], v[74:75], v[70:71]
	v_add_f64 v[10:11], v[72:73], v[68:69]
	v_add_f64 v[43:44], v[4:5], v[164:165]
	v_add_f64 v[18:19], v[146:147], v[70:71]
	v_add_f64 v[12:13], v[144:145], v[68:69]
	v_add_f64 v[24:25], v[150:151], v[70:71]
	v_add_f64 v[16:17], v[148:149], v[68:69]
	v_add_f64 v[26:27], v[154:155], v[70:71]
	v_add_f64 v[21:22], v[152:153], v[68:69]
	v_add_f64 v[33:34], v[158:159], v[70:71]
	v_add_f64 v[41:42], v[156:157], v[68:69]
	v_add_f64 v[248:249], v[6:7], v[70:71]
	v_add_f64 v[6:7], v[6:7], v[166:167]
	v_add_f64 v[2:3], v[2:3], v[166:167]
	v_add_f64 v[74:75], v[74:75], v[166:167]
	v_add_f64 v[72:73], v[72:73], v[164:165]
	v_add_f64 v[146:147], v[146:147], v[166:167]
	v_add_f64 v[144:145], v[144:145], v[164:165]
	v_add_f64 v[150:151], v[150:151], v[166:167]
	v_add_f64 v[148:149], v[148:149], v[164:165]
	v_add_f64 v[154:155], v[154:155], v[166:167]
	v_add_f64 v[152:153], v[152:153], v[164:165]
	v_add_f64 v[158:159], v[158:159], v[166:167]
	v_add_f64 v[156:157], v[156:157], v[164:165]
	v_add_f64 v[70:71], v[162:163], v[70:71]
	v_add_f64 v[68:69], v[160:161], v[68:69]
	v_add_f64 v[162:163], v[162:163], v[166:167]
	v_add_f64 v[160:161], v[160:161], v[164:165]
	v_cvt_f32_f64_e32 v4, v[8:9]
	v_cvt_f32_f64_e32 v5, v[252:253]
	s_delay_alu instid0(VALU_DEP_1)
	v_min3_f32 v237, v4, v5, v237
	v_cvt_f32_f64_e32 v4, v[10:11]
	v_cvt_f32_f64_e32 v5, v[14:15]
	s_waitcnt vmcnt(0)
	v_cvt_f32_f64_e32 v31, v[0:1]
	scratch_load_b64 v[0:1], off, off offset:12 ; 8-byte Folded Reload
	s_waitcnt vmcnt(0)
	v_cvt_f32_f64_e32 v66, v[0:1]
	scratch_load_b64 v[0:1], off, off offset:100 ; 8-byte Folded Reload
	v_min3_f32 v142, v31, v66, v142
	s_waitcnt vmcnt(0)
	v_cvt_f32_f64_e32 v31, v[0:1]
	scratch_load_b64 v[0:1], off, off offset:44 ; 8-byte Folded Reload
	s_waitcnt vmcnt(0)
	v_cvt_f32_f64_e32 v66, v[0:1]
	scratch_load_b64 v[0:1], off, off offset:76 ; 8-byte Folded Reload
	v_min3_f32 v141, v31, v66, v141
	s_waitcnt vmcnt(0)
	v_cvt_f32_f64_e32 v31, v[0:1]
	scratch_load_b64 v[0:1], off, off offset:20 ; 8-byte Folded Reload
	s_waitcnt vmcnt(0)
	v_cvt_f32_f64_e32 v66, v[0:1]
	scratch_load_b64 v[0:1], off, off offset:108 ; 8-byte Folded Reload
	v_min3_f32 v140, v31, v66, v140
	s_waitcnt vmcnt(0)
	v_cvt_f32_f64_e32 v31, v[0:1]
	scratch_load_b64 v[0:1], off, off offset:52 ; 8-byte Folded Reload
	s_waitcnt vmcnt(0)
	v_cvt_f32_f64_e32 v62, v[0:1]
	scratch_load_b64 v[0:1], off, off offset:84 ; 8-byte Folded Reload
	v_min3_f32 v139, v31, v62, v139
	s_waitcnt vmcnt(0)
	v_cvt_f32_f64_e32 v31, v[0:1]
	scratch_load_b64 v[0:1], off, off offset:28 ; 8-byte Folded Reload
	s_waitcnt vmcnt(0)
	v_cvt_f32_f64_e32 v62, v[0:1]
	scratch_load_b64 v[0:1], off, off offset:116 ; 8-byte Folded Reload
	v_min3_f32 v138, v31, v62, v138
	s_waitcnt vmcnt(0)
	v_cvt_f32_f64_e32 v31, v[0:1]
	scratch_load_b64 v[0:1], off, off offset:60 ; 8-byte Folded Reload
	s_waitcnt vmcnt(0)
	v_cvt_f32_f64_e32 v62, v[0:1]
	scratch_load_b64 v[0:1], off, off offset:92 ; 8-byte Folded Reload
	v_min3_f32 v135, v31, v62, v135
	s_waitcnt vmcnt(0)
	v_cvt_f32_f64_e32 v31, v[0:1]
	scratch_load_b64 v[0:1], off, off offset:36 ; 8-byte Folded Reload
	s_waitcnt vmcnt(0)
	v_cvt_f32_f64_e32 v62, v[0:1]
	scratch_load_b64 v[0:1], off, off offset:132 ; 8-byte Folded Reload
	v_min3_f32 v82, v31, v62, v82
	s_waitcnt vmcnt(0)
	v_cvt_f32_f64_e32 v31, v[0:1]
	scratch_load_b64 v[0:1], off, off offset:124 ; 8-byte Folded Reload
	s_waitcnt vmcnt(0)
	v_cvt_f32_f64_e32 v32, v[0:1]
	scratch_load_b64 v[0:1], off, off offset:148 ; 8-byte Folded Reload
	v_min3_f32 v238, v31, v32, v238
	s_waitcnt vmcnt(0)
	v_cvt_f32_f64_e32 v31, v[0:1]
	scratch_load_b64 v[0:1], off, off offset:140 ; 8-byte Folded Reload
	s_waitcnt vmcnt(0)
	v_cvt_f32_f64_e32 v32, v[0:1]
	scratch_load_b64 v[0:1], off, off offset:164 ; 8-byte Folded Reload
	v_min3_f32 v28, v31, v32, v28
	s_waitcnt vmcnt(0)
	v_cvt_f32_f64_e32 v31, v[0:1]
	scratch_load_b64 v[0:1], off, off offset:156 ; 8-byte Folded Reload
	s_waitcnt vmcnt(0)
	v_cvt_f32_f64_e32 v32, v[0:1]
	scratch_load_b64 v[0:1], off, off offset:180 ; 8-byte Folded Reload
	v_min3_f32 v81, v31, v32, v81
	s_waitcnt vmcnt(0)
	v_cvt_f32_f64_e32 v31, v[0:1]
	scratch_load_b64 v[0:1], off, off offset:172 ; 8-byte Folded Reload
	s_waitcnt vmcnt(0)
	v_cvt_f32_f64_e32 v32, v[0:1]
	scratch_load_b64 v[0:1], off, off offset:196 ; 8-byte Folded Reload
	v_min3_f32 v202, v31, v32, v202
	s_waitcnt vmcnt(0)
	v_cvt_f32_f64_e32 v31, v[0:1]
	scratch_load_b64 v[0:1], off, off offset:188 ; 8-byte Folded Reload
	s_waitcnt vmcnt(0)
	v_cvt_f32_f64_e32 v32, v[0:1]
	scratch_load_b64 v[0:1], off, off offset:212 ; 8-byte Folded Reload
	v_min3_f32 v127, v31, v32, v127
	s_waitcnt vmcnt(0)
	v_cvt_f32_f64_e32 v31, v[0:1]
	scratch_load_b64 v[0:1], off, off offset:204 ; 8-byte Folded Reload
	s_waitcnt vmcnt(0)
	v_cvt_f32_f64_e32 v32, v[0:1]
	scratch_load_b64 v[0:1], off, off offset:220 ; 8-byte Folded Reload
	v_min3_f32 v119, v31, v32, v119
	v_cvt_f32_f64_e32 v31, v[29:30]
	s_waitcnt vmcnt(0)
	v_cvt_f32_f64_e32 v29, v[0:1]
	scratch_load_b64 v[0:1], off, off offset:236 ; 8-byte Folded Reload
	v_min3_f32 v255, v31, v29, v255
	s_waitcnt vmcnt(0)
	v_cvt_f32_f64_e32 v29, v[0:1]
	scratch_load_b64 v[0:1], off, off offset:228 ; 8-byte Folded Reload
	s_waitcnt vmcnt(0)
	v_cvt_f32_f64_e32 v30, v[0:1]
	scratch_load_b64 v[0:1], off, off offset:312 ; 8-byte Folded Reload
	v_min3_f32 v97, v29, v30, v97
	v_cvt_f32_f64_e32 v29, v[86:87]
	v_cvt_f32_f64_e32 v30, v[88:89]
	s_delay_alu instid0(VALU_DEP_1) | instskip(SKIP_2) | instid1(VALU_DEP_1)
	v_min3_f32 v96, v29, v30, v96
	v_cvt_f32_f64_e32 v29, v[90:91]
	v_cvt_f32_f64_e32 v30, v[92:93]
	v_min3_f32 v57, v29, v30, v57
	v_cvt_f32_f64_e32 v29, v[94:95]
	v_mov_b32_e32 v95, v37
	s_waitcnt vmcnt(0)
	v_cvt_f32_f64_e32 v30, v[0:1]
	s_clause 0x2
	scratch_load_b32 v94, off, off offset:292
	scratch_load_b64 v[0:1], off, off offset:296
	scratch_load_b32 v20, off, off
	v_min3_f32 v106, v29, v30, v106
	v_cvt_f32_f64_e32 v29, v[98:99]
	s_waitcnt vmcnt(1)
	v_cvt_f32_f64_e32 v30, v[0:1]
	scratch_load_b64 v[0:1], off, off offset:276 ; 8-byte Folded Reload
	v_min3_f32 v100, v29, v30, v100
	v_cvt_f32_f64_e32 v29, v[102:103]
	v_mov_b32_e32 v103, v115
	s_waitcnt vmcnt(0)
	v_cvt_f32_f64_e32 v30, v[0:1]
	scratch_load_b64 v[0:1], off, off offset:304 ; 8-byte Folded Reload
	v_min3_f32 v103, v29, v30, v103
	s_waitcnt vmcnt(0)
	v_cvt_f32_f64_e32 v29, v[0:1]
	scratch_load_b64 v[0:1], off, off offset:260 ; 8-byte Folded Reload
	s_waitcnt vmcnt(0)
	v_cvt_f32_f64_e32 v30, v[0:1]
	scratch_load_b64 v[0:1], off, off offset:284 ; 8-byte Folded Reload
	v_min3_f32 v114, v29, v30, v114
	s_waitcnt vmcnt(0)
	v_cvt_f32_f64_e32 v29, v[0:1]
	scratch_load_b64 v[0:1], off, off offset:252 ; 8-byte Folded Reload
	;; [unrolled: 7-line block ×3, first 2 shown]
	s_waitcnt vmcnt(0)
	v_cvt_f32_f64_e32 v30, v[0:1]
	scratch_load_b32 v0, off, off offset:4  ; 4-byte Folded Reload
	v_cvt_f32_f64_e32 v1, v[6:7]
	v_min3_f32 v110, v29, v30, v110
	v_cvt_f32_f64_e32 v29, v[58:59]
	v_cvt_f32_f64_e32 v30, v[116:117]
	s_delay_alu instid0(VALU_DEP_1) | instskip(SKIP_3) | instid1(VALU_DEP_2)
	v_min3_f32 v60, v29, v30, v60
	v_cvt_f32_f64_e32 v29, v[84:85]
	v_cvt_f32_f64_e32 v30, v[120:121]
	v_dual_mov_b32 v120, v65 :: v_dual_mov_b32 v121, v240
	v_min3_f32 v61, v29, v30, v61
	v_cvt_f32_f64_e32 v29, v[130:131]
	v_cvt_f32_f64_e32 v30, v[124:125]
	v_dual_mov_b32 v131, v80 :: v_dual_mov_b32 v80, v23
	v_mov_b32_e32 v130, v49
	s_delay_alu instid0(VALU_DEP_2)
	v_min3_f32 v131, v4, v5, v131
	v_cvt_f32_f64_e32 v4, v[12:13]
	v_cvt_f32_f64_e32 v5, v[18:19]
	v_min3_f32 v105, v29, v30, v105
	v_cvt_f32_f64_e32 v29, v[54:55]
	v_cvt_f32_f64_e32 v30, v[128:129]
	s_delay_alu instid0(VALU_DEP_4) | instskip(SKIP_2) | instid1(VALU_DEP_4)
	v_min3_f32 v132, v4, v5, v132
	v_cvt_f32_f64_e32 v4, v[16:17]
	v_cvt_f32_f64_e32 v5, v[24:25]
	v_min3_f32 v104, v29, v30, v104
	v_cvt_f32_f64_e32 v29, v[170:171]
	v_cvt_f32_f64_e32 v30, v[168:169]
	s_delay_alu instid0(VALU_DEP_4) | instskip(SKIP_2) | instid1(VALU_DEP_4)
	;; [unrolled: 7-line block ×3, first 2 shown]
	v_min3_f32 v201, v4, v5, v201
	v_cvt_f32_f64_e32 v4, v[41:42]
	v_cvt_f32_f64_e32 v5, v[33:34]
	v_min3_f32 v108, v29, v30, v108
	v_cvt_f32_f64_e32 v29, v[178:179]
	v_cvt_f32_f64_e32 v30, v[176:177]
	s_delay_alu instid0(VALU_DEP_1)
	v_min3_f32 v113, v29, v30, v113
	v_cvt_f32_f64_e32 v29, v[182:183]
	v_cvt_f32_f64_e32 v30, v[180:181]
	s_waitcnt vmcnt(0)
	v_min3_f32 v0, v4, v5, v0
	v_cvt_f32_f64_e32 v4, v[68:69]
	v_cvt_f32_f64_e32 v5, v[70:71]
	scratch_store_b32 off, v0, off offset:4 ; 4-byte Folded Spill
	v_cvt_f32_f64_e32 v0, v[43:44]
	v_min3_f32 v112, v29, v30, v112
	v_cvt_f32_f64_e32 v29, v[186:187]
	v_cvt_f32_f64_e32 v30, v[184:185]
	v_min3_f32 v126, v4, v5, v126
	v_min3_f32 v241, v0, v1, v241
	v_cvt_f32_f64_e32 v0, v[78:79]
	v_cvt_f32_f64_e32 v1, v[2:3]
	v_min3_f32 v77, v29, v30, v77
	v_cvt_f32_f64_e32 v29, v[47:48]
	v_cvt_f32_f64_e32 v30, v[188:189]
	s_delay_alu instid0(VALU_DEP_4) | instskip(SKIP_2) | instid1(VALU_DEP_4)
	v_min3_f32 v80, v0, v1, v80
	v_cvt_f32_f64_e32 v0, v[72:73]
	v_cvt_f32_f64_e32 v1, v[74:75]
	v_min3_f32 v76, v29, v30, v76
	v_cvt_f32_f64_e32 v29, v[194:195]
	v_cvt_f32_f64_e32 v30, v[204:205]
	s_delay_alu instid0(VALU_DEP_4) | instskip(SKIP_2) | instid1(VALU_DEP_4)
	;; [unrolled: 7-line block ×5, first 2 shown]
	v_min3_f32 v120, v0, v1, v120
	v_cvt_f32_f64_e32 v0, v[156:157]
	v_cvt_f32_f64_e32 v1, v[158:159]
	v_min3_f32 v95, v29, v30, v95
	v_cvt_f32_f64_e32 v29, v[210:211]
	v_cvt_f32_f64_e32 v30, v[208:209]
	s_delay_alu instid0(VALU_DEP_4)
	v_min3_f32 v20, v0, v1, v20
	v_cvt_f32_f64_e32 v0, v[160:161]
	v_cvt_f32_f64_e32 v1, v[162:163]
	scratch_store_b32 off, v20, off         ; 4-byte Folded Spill
	v_min3_f32 v38, v29, v30, v38
	v_cvt_f32_f64_e32 v29, v[214:215]
	v_cvt_f32_f64_e32 v30, v[212:213]
	v_mov_b32_e32 v214, v200
	v_min3_f32 v118, v0, v1, v118
	s_delay_alu instid0(VALU_DEP_3) | instskip(SKIP_2) | instid1(VALU_DEP_1)
	v_min3_f32 v136, v29, v30, v136
	v_cvt_f32_f64_e32 v29, v[218:219]
	v_cvt_f32_f64_e32 v30, v[216:217]
	v_min3_f32 v191, v29, v30, v191
	v_cvt_f32_f64_e32 v29, v[222:223]
	v_cvt_f32_f64_e32 v30, v[220:221]
	s_delay_alu instid0(VALU_DEP_1) | instskip(SKIP_2) | instid1(VALU_DEP_1)
	v_min3_f32 v190, v29, v30, v190
	v_cvt_f32_f64_e32 v29, v[226:227]
	v_cvt_f32_f64_e32 v30, v[224:225]
	v_min3_f32 v64, v29, v30, v64
	v_cvt_f32_f64_e32 v29, v[230:231]
	v_cvt_f32_f64_e32 v30, v[228:229]
	s_delay_alu instid0(VALU_DEP_1) | instskip(SKIP_3) | instid1(VALU_DEP_2)
	v_min3_f32 v63, v29, v30, v63
	v_cvt_f32_f64_e32 v29, v[234:235]
	v_cvt_f32_f64_e32 v30, v[232:233]
	v_mov_b32_e32 v235, v203
	v_min3_f32 v239, v29, v30, v239
	v_cvt_f32_f64_e32 v29, v[35:36]
	v_cvt_f32_f64_e32 v30, v[45:46]
	s_delay_alu instid0(VALU_DEP_1) | instskip(SKIP_2) | instid1(VALU_DEP_1)
	v_min3_f32 v236, v29, v30, v236
	v_cvt_f32_f64_e32 v29, v[242:243]
	v_cvt_f32_f64_e32 v30, v[39:40]
	v_min3_f32 v235, v29, v30, v235
	v_cvt_f32_f64_e32 v29, v[246:247]
	v_cvt_f32_f64_e32 v30, v[244:245]
	s_delay_alu instid0(VALU_DEP_1) | instskip(SKIP_2) | instid1(VALU_DEP_1)
	v_min3_f32 v214, v29, v30, v214
	v_cvt_f32_f64_e32 v29, v[250:251]
	v_cvt_f32_f64_e32 v30, v[248:249]
	v_min3_f32 v83, v29, v30, v83
	s_cbranch_vccz .LBB158_54
; %bb.55:
	s_clause 0x2
	s_load_b64 s[16:17], s[0:1], 0x78
	s_load_b32 s12, s[0:1], 0x70
	s_load_b32 s3, s[0:1], 0x58
	scratch_load_b32 v0, off, off offset:8  ; 4-byte Folded Reload
	v_dual_mov_b32 v41, v77 :: v_dual_add_nc_u32 v18, s9, v94
	v_dual_mov_b32 v43, v113 :: v_dual_mov_b32 v48, v60
	v_mov_b32_e32 v47, v105
	v_dual_mov_b32 v45, v109 :: v_dual_mov_b32 v36, v64
	s_waitcnt lgkmcnt(0)
	s_mul_i32 s0, s15, s17
	s_mul_hi_u32 s1, s15, s16
	v_mad_i64_i32 v[4:5], null, v18, s3, 0
	s_add_i32 s1, s1, s0
	s_mul_i32 s0, s15, s16
	s_delay_alu instid0(VALU_DEP_1) | instskip(SKIP_4) | instid1(VALU_DEP_2)
	v_lshlrev_b64 v[4:5], 3, v[4:5]
	s_waitcnt vmcnt(0)
	v_add_nc_u32_e32 v12, s8, v0
	v_mad_i64_i32 v[0:1], null, v18, s12, 0
	s_mul_i32 s8, s22, s16
	v_dual_mov_b32 v37, v136 :: v_dual_add_nc_u32 v2, 32, v12
	s_add_i32 s1, s1, s8
	v_ashrrev_i32_e32 v13, 31, v12
	s_lshl_b64 s[0:1], s[0:1], 3
	s_delay_alu instid0(VALU_DEP_3) | instskip(SKIP_4) | instid1(VALU_DEP_3)
	v_lshlrev_b64 v[6:7], 3, v[0:1]
	s_add_u32 s8, s10, s0
	s_addc_u32 s9, s11, s1
	v_lshlrev_b64 v[0:1], 3, v[12:13]
	v_ashrrev_i32_e32 v3, 31, v2
	v_add_co_u32 v19, vcc_lo, s8, v6
	v_add_co_ci_u32_e32 v22, vcc_lo, s9, v7, vcc_lo
	v_add_co_u32 v16, vcc_lo, s4, v4
	v_add_co_ci_u32_e32 v17, vcc_lo, s5, v5, vcc_lo
	v_max_f32_e32 v4, v143, v143
	s_mov_b32 vcc_lo, s2
	s_cbranch_vccz .LBB158_58
; %bb.56:
	s_delay_alu instid0(VALU_DEP_1) | instskip(SKIP_2) | instid1(VALU_DEP_3)
	v_min_f32_e32 v5, 0, v4
	v_add_co_u32 v7, vcc_lo, v19, v0
	v_add_co_ci_u32_e32 v8, vcc_lo, v22, v1, vcc_lo
	v_cvt_f64_f32_e32 v[5:6], v5
	s_mov_b64 s[0:1], 0
	global_store_b64 v[7:8], v[5:6], off
	v_lshlrev_b64 v[2:3], 3, v[2:3]
	v_mov_b32_e32 v39, v56
	s_cbranch_execz .LBB158_59
; %bb.57:
	v_dual_mov_b32 v5, s1 :: v_dual_mov_b32 v4, s0
	s_branch .LBB158_60
.LBB158_58:
                                        ; implicit-def: $sgpr0_sgpr1
	v_lshlrev_b64 v[2:3], 3, v[2:3]
	v_mov_b32_e32 v39, v56
.LBB158_59:
	v_add_co_u32 v5, vcc_lo, v16, v0
	v_add_co_ci_u32_e32 v6, vcc_lo, v17, v1, vcc_lo
	flat_load_b64 v[5:6], v[5:6]
	s_waitcnt vmcnt(0) lgkmcnt(0)
	v_mul_f64 v[5:6], v[5:6], s[6:7]
	s_delay_alu instid0(VALU_DEP_1)
	v_cvt_f32_f64_e32 v5, v[5:6]
	v_add_co_u32 v6, vcc_lo, v19, v0
	v_add_co_ci_u32_e32 v7, vcc_lo, v22, v1, vcc_lo
	v_add_co_u32 v8, vcc_lo, v16, v2
	v_add_co_ci_u32_e32 v9, vcc_lo, v17, v3, vcc_lo
	v_min_f32_e32 v4, v5, v4
	s_delay_alu instid0(VALU_DEP_1)
	v_cvt_f64_f32_e32 v[4:5], v4
	global_store_b64 v[6:7], v[4:5], off
	flat_load_b64 v[4:5], v[8:9]
	s_waitcnt vmcnt(0) lgkmcnt(0)
	v_mul_f64 v[4:5], v[4:5], s[6:7]
.LBB158_60:
	s_delay_alu instid0(VALU_DEP_1) | instskip(SKIP_4) | instid1(VALU_DEP_4)
	v_cvt_f32_f64_e32 v4, v[4:5]
	v_dual_max_f32 v5, v142, v142 :: v_dual_add_nc_u32 v6, 0x60, v12
	v_add_co_u32 v13, vcc_lo, v19, v2
	v_add_co_ci_u32_e32 v14, vcc_lo, v22, v3, vcc_lo
	v_max_f32_e32 v8, v141, v141
	v_ashrrev_i32_e32 v7, 31, v6
	s_mov_b32 vcc_lo, s2
	v_min_f32_e32 v4, v4, v5
	s_delay_alu instid0(VALU_DEP_1) | instskip(SKIP_1) | instid1(VALU_DEP_1)
	v_cvt_f64_f32_e32 v[9:10], v4
	v_add_nc_u32_e32 v4, 64, v12
	v_ashrrev_i32_e32 v5, 31, v4
	s_delay_alu instid0(VALU_DEP_1)
	v_lshlrev_b64 v[4:5], 3, v[4:5]
	global_store_b64 v[13:14], v[9:10], off
	s_cbranch_vccz .LBB158_63
; %bb.61:
	v_min_f32_e32 v9, 0, v8
	v_add_co_u32 v13, vcc_lo, v19, v4
	v_add_co_ci_u32_e32 v14, vcc_lo, v22, v5, vcc_lo
	s_delay_alu instid0(VALU_DEP_3)
	v_cvt_f64_f32_e32 v[9:10], v9
	s_mov_b64 s[0:1], 0
	global_store_b64 v[13:14], v[9:10], off
	v_lshlrev_b64 v[6:7], 3, v[6:7]
	s_cbranch_execz .LBB158_64
; %bb.62:
	v_dual_mov_b32 v9, s1 :: v_dual_mov_b32 v8, s0
	s_branch .LBB158_65
.LBB158_63:
                                        ; implicit-def: $sgpr0_sgpr1
	v_lshlrev_b64 v[6:7], 3, v[6:7]
.LBB158_64:
	v_add_co_u32 v9, vcc_lo, v16, v4
	v_add_co_ci_u32_e32 v10, vcc_lo, v17, v5, vcc_lo
	flat_load_b64 v[9:10], v[9:10]
	s_waitcnt vmcnt(0) lgkmcnt(0)
	v_mul_f64 v[9:10], v[9:10], s[6:7]
	s_delay_alu instid0(VALU_DEP_1)
	v_cvt_f32_f64_e32 v9, v[9:10]
	v_add_co_u32 v10, vcc_lo, v19, v4
	v_add_co_ci_u32_e32 v11, vcc_lo, v22, v5, vcc_lo
	v_add_co_u32 v13, vcc_lo, v16, v6
	v_add_co_ci_u32_e32 v14, vcc_lo, v17, v7, vcc_lo
	v_min_f32_e32 v8, v9, v8
	s_delay_alu instid0(VALU_DEP_1)
	v_cvt_f64_f32_e32 v[8:9], v8
	global_store_b64 v[10:11], v[8:9], off
	flat_load_b64 v[8:9], v[13:14]
	s_waitcnt vmcnt(0) lgkmcnt(0)
	v_mul_f64 v[8:9], v[8:9], s[6:7]
.LBB158_65:
	s_delay_alu instid0(VALU_DEP_1) | instskip(SKIP_4) | instid1(VALU_DEP_3)
	v_cvt_f32_f64_e32 v8, v[8:9]
	v_max_f32_e32 v9, v140, v140
	v_add_nc_u32_e32 v10, 0xa0, v12
	v_add_co_u32 v23, vcc_lo, v19, v6
	v_add_co_ci_u32_e32 v24, vcc_lo, v22, v7, vcc_lo
	v_ashrrev_i32_e32 v11, 31, v10
	s_mov_b32 vcc_lo, s2
	v_dual_max_f32 v13, v139, v139 :: v_dual_min_f32 v8, v8, v9
	s_delay_alu instid0(VALU_DEP_1) | instskip(SKIP_1) | instid1(VALU_DEP_1)
	v_cvt_f64_f32_e32 v[14:15], v8
	v_add_nc_u32_e32 v8, 0x80, v12
	v_ashrrev_i32_e32 v9, 31, v8
	s_delay_alu instid0(VALU_DEP_1)
	v_lshlrev_b64 v[8:9], 3, v[8:9]
	global_store_b64 v[23:24], v[14:15], off
	s_cbranch_vccz .LBB158_68
; %bb.66:
	v_min_f32_e32 v14, 0, v13
	v_add_co_u32 v23, vcc_lo, v19, v8
	v_add_co_ci_u32_e32 v24, vcc_lo, v22, v9, vcc_lo
	s_delay_alu instid0(VALU_DEP_3)
	v_cvt_f64_f32_e32 v[14:15], v14
	s_mov_b64 s[0:1], 0
	global_store_b64 v[23:24], v[14:15], off
	v_lshlrev_b64 v[10:11], 3, v[10:11]
	s_cbranch_execz .LBB158_69
; %bb.67:
	v_dual_mov_b32 v14, s1 :: v_dual_mov_b32 v13, s0
	s_branch .LBB158_70
.LBB158_68:
                                        ; implicit-def: $sgpr0_sgpr1
	v_lshlrev_b64 v[10:11], 3, v[10:11]
.LBB158_69:
	v_add_co_u32 v14, vcc_lo, v16, v8
	v_add_co_ci_u32_e32 v15, vcc_lo, v17, v9, vcc_lo
	v_add_co_u32 v23, vcc_lo, v19, v8
	v_add_co_ci_u32_e32 v24, vcc_lo, v22, v9, vcc_lo
	flat_load_b64 v[14:15], v[14:15]
	v_add_co_u32 v25, vcc_lo, v16, v10
	v_add_co_ci_u32_e32 v26, vcc_lo, v17, v11, vcc_lo
	s_waitcnt vmcnt(0) lgkmcnt(0)
	v_mul_f64 v[14:15], v[14:15], s[6:7]
	s_delay_alu instid0(VALU_DEP_1) | instskip(NEXT) | instid1(VALU_DEP_1)
	v_cvt_f32_f64_e32 v14, v[14:15]
	v_min_f32_e32 v13, v14, v13
	s_delay_alu instid0(VALU_DEP_1)
	v_cvt_f64_f32_e32 v[13:14], v13
	global_store_b64 v[23:24], v[13:14], off
	flat_load_b64 v[13:14], v[25:26]
	s_waitcnt vmcnt(0) lgkmcnt(0)
	v_mul_f64 v[13:14], v[13:14], s[6:7]
.LBB158_70:
	s_delay_alu instid0(VALU_DEP_1)
	v_cvt_f32_f64_e32 v13, v[13:14]
	v_dual_max_f32 v14, v138, v138 :: v_dual_max_f32 v23, v135, v135
	v_add_co_u32 v29, vcc_lo, v19, v10
	v_add_co_ci_u32_e32 v30, vcc_lo, v22, v11, vcc_lo
	s_mov_b32 vcc_lo, s2
	v_add_nc_u32_e32 v26, 0xc0, v12
	s_delay_alu instid0(VALU_DEP_1) | instskip(SKIP_1) | instid1(VALU_DEP_1)
	v_ashrrev_i32_e32 v27, 31, v26
	v_dual_min_f32 v13, v13, v14 :: v_dual_add_nc_u32 v14, 0xe0, v12
	v_cvt_f64_f32_e32 v[24:25], v13
	s_delay_alu instid0(VALU_DEP_2) | instskip(NEXT) | instid1(VALU_DEP_4)
	v_ashrrev_i32_e32 v15, 31, v14
	v_lshlrev_b64 v[12:13], 3, v[26:27]
	global_store_b64 v[29:30], v[24:25], off
	s_cbranch_vccz .LBB158_73
; %bb.71:
	v_min_f32_e32 v24, 0, v23
	v_add_co_u32 v26, vcc_lo, v19, v12
	v_add_co_ci_u32_e32 v27, vcc_lo, v22, v13, vcc_lo
	s_delay_alu instid0(VALU_DEP_3)
	v_cvt_f64_f32_e32 v[24:25], v24
	s_mov_b64 s[0:1], 0
	global_store_b64 v[26:27], v[24:25], off
	v_lshlrev_b64 v[14:15], 3, v[14:15]
	s_cbranch_execz .LBB158_74
; %bb.72:
	v_dual_mov_b32 v17, s1 :: v_dual_mov_b32 v16, s0
	s_branch .LBB158_75
.LBB158_73:
                                        ; implicit-def: $sgpr0_sgpr1
	v_lshlrev_b64 v[14:15], 3, v[14:15]
.LBB158_74:
	v_add_co_u32 v24, vcc_lo, v16, v12
	v_add_co_ci_u32_e32 v25, vcc_lo, v17, v13, vcc_lo
	flat_load_b64 v[24:25], v[24:25]
	s_waitcnt vmcnt(0) lgkmcnt(0)
	v_mul_f64 v[24:25], v[24:25], s[6:7]
	s_delay_alu instid0(VALU_DEP_1)
	v_cvt_f32_f64_e32 v24, v[24:25]
	v_add_co_u32 v25, vcc_lo, v19, v12
	v_add_co_ci_u32_e32 v26, vcc_lo, v22, v13, vcc_lo
	v_add_co_u32 v16, vcc_lo, v16, v14
	v_add_co_ci_u32_e32 v17, vcc_lo, v17, v15, vcc_lo
	v_min_f32_e32 v23, v24, v23
	s_delay_alu instid0(VALU_DEP_1)
	v_cvt_f64_f32_e32 v[23:24], v23
	global_store_b64 v[25:26], v[23:24], off
	flat_load_b64 v[16:17], v[16:17]
	s_waitcnt vmcnt(0) lgkmcnt(0)
	v_mul_f64 v[16:17], v[16:17], s[6:7]
.LBB158_75:
	s_delay_alu instid0(VALU_DEP_1) | instskip(SKIP_4) | instid1(VALU_DEP_1)
	v_cvt_f32_f64_e32 v16, v[16:17]
	v_max_f32_e32 v17, v82, v82
	v_add_co_u32 v31, vcc_lo, v19, v14
	v_add_co_ci_u32_e32 v32, vcc_lo, v22, v15, vcc_lo
	v_add_nc_u32_e32 v27, 8, v18
	v_mad_i64_i32 v[23:24], null, v27, s3, 0
	s_delay_alu instid0(VALU_DEP_1) | instskip(SKIP_1) | instid1(VALU_DEP_1)
	v_lshlrev_b64 v[33:34], 3, v[23:24]
	v_min_f32_e32 v16, v16, v17
	v_cvt_f64_f32_e32 v[25:26], v16
	v_mad_i64_i32 v[16:17], null, v27, s12, 0
	s_delay_alu instid0(VALU_DEP_1) | instskip(SKIP_1) | instid1(VALU_DEP_2)
	v_lshlrev_b64 v[29:30], 3, v[16:17]
	v_max_f32_e32 v16, v238, v238
	v_add_co_u32 v19, vcc_lo, s8, v29
	s_delay_alu instid0(VALU_DEP_3)
	v_add_co_ci_u32_e32 v22, vcc_lo, s9, v30, vcc_lo
	v_add_co_u32 v24, vcc_lo, s4, v33
	v_add_co_ci_u32_e32 v23, vcc_lo, s5, v34, vcc_lo
	s_mov_b32 vcc_lo, s2
	global_store_b64 v[31:32], v[25:26], off
	s_cbranch_vccz .LBB158_78
; %bb.76:
	v_min_f32_e32 v17, 0, v16
	v_add_co_u32 v29, vcc_lo, v19, v0
	v_add_co_ci_u32_e32 v30, vcc_lo, v22, v1, vcc_lo
	s_delay_alu instid0(VALU_DEP_3)
	v_cvt_f64_f32_e32 v[25:26], v17
	s_mov_b64 s[0:1], 0
	global_store_b64 v[29:30], v[25:26], off
	s_cbranch_execz .LBB158_79
; %bb.77:
	v_dual_mov_b32 v17, s1 :: v_dual_mov_b32 v16, s0
	s_branch .LBB158_80
.LBB158_78:
                                        ; implicit-def: $sgpr0_sgpr1
.LBB158_79:
	v_add_co_u32 v25, vcc_lo, v24, v0
	v_add_co_ci_u32_e32 v26, vcc_lo, v23, v1, vcc_lo
	flat_load_b64 v[25:26], v[25:26]
	s_waitcnt vmcnt(0) lgkmcnt(0)
	v_mul_f64 v[25:26], v[25:26], s[6:7]
	s_delay_alu instid0(VALU_DEP_1)
	v_cvt_f32_f64_e32 v17, v[25:26]
	v_add_co_u32 v25, vcc_lo, v19, v0
	v_add_co_ci_u32_e32 v26, vcc_lo, v22, v1, vcc_lo
	v_add_co_u32 v29, vcc_lo, v24, v2
	v_add_co_ci_u32_e32 v30, vcc_lo, v23, v3, vcc_lo
	v_min_f32_e32 v16, v17, v16
	s_delay_alu instid0(VALU_DEP_1)
	v_cvt_f64_f32_e32 v[16:17], v16
	global_store_b64 v[25:26], v[16:17], off
	flat_load_b64 v[16:17], v[29:30]
	s_waitcnt vmcnt(0) lgkmcnt(0)
	v_mul_f64 v[16:17], v[16:17], s[6:7]
.LBB158_80:
	s_delay_alu instid0(VALU_DEP_1) | instskip(SKIP_4) | instid1(VALU_DEP_3)
	v_cvt_f32_f64_e32 v16, v[16:17]
	v_max_f32_e32 v17, v28, v28
	v_add_co_u32 v29, vcc_lo, v19, v2
	v_add_co_ci_u32_e32 v30, vcc_lo, v22, v3, vcc_lo
	s_mov_b32 vcc_lo, s2
	v_min_f32_e32 v16, v16, v17
	s_delay_alu instid0(VALU_DEP_1)
	v_cvt_f64_f32_e32 v[25:26], v16
	v_max_f32_e32 v16, v81, v81
	global_store_b64 v[29:30], v[25:26], off
	s_cbranch_vccz .LBB158_83
; %bb.81:
	v_min_f32_e32 v17, 0, v16
	v_add_co_u32 v29, vcc_lo, v19, v4
	v_add_co_ci_u32_e32 v30, vcc_lo, v22, v5, vcc_lo
	s_delay_alu instid0(VALU_DEP_3)
	v_cvt_f64_f32_e32 v[25:26], v17
	s_mov_b64 s[0:1], 0
	global_store_b64 v[29:30], v[25:26], off
	s_cbranch_execz .LBB158_84
; %bb.82:
	v_dual_mov_b32 v17, s1 :: v_dual_mov_b32 v16, s0
	s_branch .LBB158_85
.LBB158_83:
                                        ; implicit-def: $sgpr0_sgpr1
.LBB158_84:
	v_add_co_u32 v25, vcc_lo, v24, v4
	v_add_co_ci_u32_e32 v26, vcc_lo, v23, v5, vcc_lo
	flat_load_b64 v[25:26], v[25:26]
	s_waitcnt vmcnt(0) lgkmcnt(0)
	v_mul_f64 v[25:26], v[25:26], s[6:7]
	s_delay_alu instid0(VALU_DEP_1)
	v_cvt_f32_f64_e32 v17, v[25:26]
	v_add_co_u32 v25, vcc_lo, v19, v4
	v_add_co_ci_u32_e32 v26, vcc_lo, v22, v5, vcc_lo
	v_add_co_u32 v29, vcc_lo, v24, v6
	v_add_co_ci_u32_e32 v30, vcc_lo, v23, v7, vcc_lo
	v_min_f32_e32 v16, v17, v16
	s_delay_alu instid0(VALU_DEP_1)
	v_cvt_f64_f32_e32 v[16:17], v16
	global_store_b64 v[25:26], v[16:17], off
	flat_load_b64 v[16:17], v[29:30]
	s_waitcnt vmcnt(0) lgkmcnt(0)
	v_mul_f64 v[16:17], v[16:17], s[6:7]
.LBB158_85:
	s_delay_alu instid0(VALU_DEP_1) | instskip(SKIP_4) | instid1(VALU_DEP_3)
	v_cvt_f32_f64_e32 v16, v[16:17]
	v_max_f32_e32 v17, v202, v202
	v_add_co_u32 v29, vcc_lo, v19, v6
	v_add_co_ci_u32_e32 v30, vcc_lo, v22, v7, vcc_lo
	s_mov_b32 vcc_lo, s2
	v_min_f32_e32 v16, v16, v17
	s_delay_alu instid0(VALU_DEP_1)
	v_cvt_f64_f32_e32 v[25:26], v16
	v_max_f32_e32 v16, v127, v127
	;; [unrolled: 46-line block ×3, first 2 shown]
	global_store_b64 v[25:26], v[20:21], off
	s_cbranch_vccz .LBB158_93
; %bb.91:
	v_min_f32_e32 v17, 0, v16
	v_add_co_u32 v25, vcc_lo, v19, v12
	v_add_co_ci_u32_e32 v26, vcc_lo, v22, v13, vcc_lo
	s_delay_alu instid0(VALU_DEP_3)
	v_cvt_f64_f32_e32 v[20:21], v17
	s_mov_b64 s[0:1], 0
	global_store_b64 v[25:26], v[20:21], off
	s_cbranch_execz .LBB158_94
; %bb.92:
	v_dual_mov_b32 v17, s1 :: v_dual_mov_b32 v16, s0
	s_branch .LBB158_95
.LBB158_93:
                                        ; implicit-def: $sgpr0_sgpr1
.LBB158_94:
	v_add_co_u32 v20, vcc_lo, v24, v12
	v_add_co_ci_u32_e32 v21, vcc_lo, v23, v13, vcc_lo
	flat_load_b64 v[20:21], v[20:21]
	s_waitcnt vmcnt(0) lgkmcnt(0)
	v_mul_f64 v[20:21], v[20:21], s[6:7]
	s_delay_alu instid0(VALU_DEP_1)
	v_cvt_f32_f64_e32 v17, v[20:21]
	v_add_co_u32 v20, vcc_lo, v19, v12
	v_add_co_ci_u32_e32 v21, vcc_lo, v22, v13, vcc_lo
	v_add_co_u32 v24, vcc_lo, v24, v14
	v_add_co_ci_u32_e32 v25, vcc_lo, v23, v15, vcc_lo
	v_min_f32_e32 v16, v17, v16
	s_delay_alu instid0(VALU_DEP_1)
	v_cvt_f64_f32_e32 v[16:17], v16
	global_store_b64 v[20:21], v[16:17], off
	flat_load_b64 v[16:17], v[24:25]
	s_waitcnt vmcnt(0) lgkmcnt(0)
	v_mul_f64 v[16:17], v[16:17], s[6:7]
.LBB158_95:
	s_delay_alu instid0(VALU_DEP_1) | instskip(SKIP_4) | instid1(VALU_DEP_1)
	v_cvt_f32_f64_e32 v16, v[16:17]
	v_max_f32_e32 v17, v97, v97
	v_add_co_u32 v28, vcc_lo, v19, v14
	v_add_co_ci_u32_e32 v29, vcc_lo, v22, v15, vcc_lo
	v_add_nc_u32_e32 v23, 16, v18
	v_mad_i64_i32 v[20:21], null, v23, s3, 0
	s_delay_alu instid0(VALU_DEP_1) | instskip(SKIP_1) | instid1(VALU_DEP_1)
	v_lshlrev_b64 v[21:22], 3, v[20:21]
	v_min_f32_e32 v16, v16, v17
	v_cvt_f64_f32_e32 v[24:25], v16
	v_mad_i64_i32 v[16:17], null, v23, s12, 0
	s_delay_alu instid0(VALU_DEP_1) | instskip(SKIP_1) | instid1(VALU_DEP_2)
	v_lshlrev_b64 v[26:27], 3, v[16:17]
	v_max_f32_e32 v16, v96, v96
	v_add_co_u32 v19, vcc_lo, s8, v26
	s_delay_alu instid0(VALU_DEP_3)
	v_add_co_ci_u32_e32 v20, vcc_lo, s9, v27, vcc_lo
	v_add_co_u32 v21, vcc_lo, s4, v21
	v_add_co_ci_u32_e32 v23, vcc_lo, s5, v22, vcc_lo
	s_mov_b32 vcc_lo, s2
	global_store_b64 v[28:29], v[24:25], off
	s_cbranch_vccz .LBB158_98
; %bb.96:
	v_min_f32_e32 v17, 0, v16
	v_add_co_u32 v26, vcc_lo, v19, v0
	v_add_co_ci_u32_e32 v27, vcc_lo, v20, v1, vcc_lo
	s_delay_alu instid0(VALU_DEP_3)
	v_cvt_f64_f32_e32 v[24:25], v17
	s_mov_b64 s[0:1], 0
	global_store_b64 v[26:27], v[24:25], off
	s_cbranch_execz .LBB158_99
; %bb.97:
	v_dual_mov_b32 v17, s1 :: v_dual_mov_b32 v16, s0
	s_branch .LBB158_100
.LBB158_98:
                                        ; implicit-def: $sgpr0_sgpr1
.LBB158_99:
	v_add_co_u32 v24, vcc_lo, v21, v0
	v_add_co_ci_u32_e32 v25, vcc_lo, v23, v1, vcc_lo
	flat_load_b64 v[24:25], v[24:25]
	s_waitcnt vmcnt(0) lgkmcnt(0)
	v_mul_f64 v[24:25], v[24:25], s[6:7]
	s_delay_alu instid0(VALU_DEP_1)
	v_cvt_f32_f64_e32 v17, v[24:25]
	v_add_co_u32 v24, vcc_lo, v19, v0
	v_add_co_ci_u32_e32 v25, vcc_lo, v20, v1, vcc_lo
	v_add_co_u32 v26, vcc_lo, v21, v2
	v_add_co_ci_u32_e32 v27, vcc_lo, v23, v3, vcc_lo
	v_min_f32_e32 v16, v17, v16
	s_delay_alu instid0(VALU_DEP_1)
	v_cvt_f64_f32_e32 v[16:17], v16
	global_store_b64 v[24:25], v[16:17], off
	flat_load_b64 v[16:17], v[26:27]
	s_waitcnt vmcnt(0) lgkmcnt(0)
	v_mul_f64 v[16:17], v[16:17], s[6:7]
.LBB158_100:
	s_delay_alu instid0(VALU_DEP_1) | instskip(SKIP_4) | instid1(VALU_DEP_3)
	v_cvt_f32_f64_e32 v16, v[16:17]
	v_max_f32_e32 v17, v57, v57
	v_add_co_u32 v26, vcc_lo, v19, v2
	v_add_co_ci_u32_e32 v27, vcc_lo, v20, v3, vcc_lo
	s_mov_b32 vcc_lo, s2
	v_min_f32_e32 v16, v16, v17
	s_delay_alu instid0(VALU_DEP_1)
	v_cvt_f64_f32_e32 v[24:25], v16
	v_max_f32_e32 v16, v106, v106
	global_store_b64 v[26:27], v[24:25], off
	s_cbranch_vccz .LBB158_103
; %bb.101:
	v_min_f32_e32 v17, 0, v16
	v_add_co_u32 v26, vcc_lo, v19, v4
	v_add_co_ci_u32_e32 v27, vcc_lo, v20, v5, vcc_lo
	s_delay_alu instid0(VALU_DEP_3)
	v_cvt_f64_f32_e32 v[24:25], v17
	s_mov_b64 s[0:1], 0
	global_store_b64 v[26:27], v[24:25], off
	s_cbranch_execz .LBB158_104
; %bb.102:
	v_dual_mov_b32 v17, s1 :: v_dual_mov_b32 v16, s0
	s_branch .LBB158_105
.LBB158_103:
                                        ; implicit-def: $sgpr0_sgpr1
.LBB158_104:
	v_add_co_u32 v24, vcc_lo, v21, v4
	v_add_co_ci_u32_e32 v25, vcc_lo, v23, v5, vcc_lo
	flat_load_b64 v[24:25], v[24:25]
	s_waitcnt vmcnt(0) lgkmcnt(0)
	v_mul_f64 v[24:25], v[24:25], s[6:7]
	s_delay_alu instid0(VALU_DEP_1)
	v_cvt_f32_f64_e32 v17, v[24:25]
	v_add_co_u32 v24, vcc_lo, v19, v4
	v_add_co_ci_u32_e32 v25, vcc_lo, v20, v5, vcc_lo
	v_add_co_u32 v26, vcc_lo, v21, v6
	v_add_co_ci_u32_e32 v27, vcc_lo, v23, v7, vcc_lo
	v_min_f32_e32 v16, v17, v16
	s_delay_alu instid0(VALU_DEP_1)
	v_cvt_f64_f32_e32 v[16:17], v16
	global_store_b64 v[24:25], v[16:17], off
	flat_load_b64 v[16:17], v[26:27]
	s_waitcnt vmcnt(0) lgkmcnt(0)
	v_mul_f64 v[16:17], v[16:17], s[6:7]
.LBB158_105:
	s_delay_alu instid0(VALU_DEP_1) | instskip(SKIP_4) | instid1(VALU_DEP_3)
	v_cvt_f32_f64_e32 v16, v[16:17]
	v_max_f32_e32 v17, v100, v100
	v_add_co_u32 v26, vcc_lo, v19, v6
	v_add_co_ci_u32_e32 v27, vcc_lo, v20, v7, vcc_lo
	s_mov_b32 vcc_lo, s2
	v_min_f32_e32 v16, v16, v17
	s_delay_alu instid0(VALU_DEP_1)
	v_cvt_f64_f32_e32 v[24:25], v16
	v_max_f32_e32 v16, v103, v103
	;; [unrolled: 46-line block ×3, first 2 shown]
	global_store_b64 v[26:27], v[24:25], off
	s_cbranch_vccz .LBB158_113
; %bb.111:
	v_min_f32_e32 v17, 0, v16
	v_add_co_u32 v26, vcc_lo, v19, v12
	v_add_co_ci_u32_e32 v27, vcc_lo, v20, v13, vcc_lo
	s_delay_alu instid0(VALU_DEP_3)
	v_cvt_f64_f32_e32 v[24:25], v17
	s_mov_b64 s[0:1], 0
	global_store_b64 v[26:27], v[24:25], off
	s_cbranch_execz .LBB158_114
; %bb.112:
	v_dual_mov_b32 v17, s1 :: v_dual_mov_b32 v16, s0
	s_branch .LBB158_115
.LBB158_113:
                                        ; implicit-def: $sgpr0_sgpr1
.LBB158_114:
	v_add_co_u32 v24, vcc_lo, v21, v12
	v_add_co_ci_u32_e32 v25, vcc_lo, v23, v13, vcc_lo
	flat_load_b64 v[24:25], v[24:25]
	s_waitcnt vmcnt(0) lgkmcnt(0)
	v_mul_f64 v[24:25], v[24:25], s[6:7]
	s_delay_alu instid0(VALU_DEP_1)
	v_cvt_f32_f64_e32 v17, v[24:25]
	v_add_co_u32 v24, vcc_lo, v19, v12
	v_add_co_ci_u32_e32 v25, vcc_lo, v20, v13, vcc_lo
	v_add_co_u32 v21, vcc_lo, v21, v14
	v_add_co_ci_u32_e32 v22, vcc_lo, v23, v15, vcc_lo
	v_min_f32_e32 v16, v17, v16
	s_delay_alu instid0(VALU_DEP_1)
	v_cvt_f64_f32_e32 v[16:17], v16
	global_store_b64 v[24:25], v[16:17], off
	flat_load_b64 v[16:17], v[21:22]
	s_waitcnt vmcnt(0) lgkmcnt(0)
	v_mul_f64 v[16:17], v[16:17], s[6:7]
.LBB158_115:
	s_delay_alu instid0(VALU_DEP_1) | instskip(SKIP_4) | instid1(VALU_DEP_1)
	v_cvt_f32_f64_e32 v16, v[16:17]
	v_max_f32_e32 v17, v110, v110
	v_add_co_u32 v28, vcc_lo, v19, v14
	v_add_co_ci_u32_e32 v29, vcc_lo, v20, v15, vcc_lo
	v_add_nc_u32_e32 v23, 24, v18
	v_mad_i64_i32 v[21:22], null, v23, s3, 0
	s_delay_alu instid0(VALU_DEP_1) | instskip(SKIP_1) | instid1(VALU_DEP_1)
	v_lshlrev_b64 v[21:22], 3, v[21:22]
	v_min_f32_e32 v16, v16, v17
	v_cvt_f64_f32_e32 v[24:25], v16
	v_mad_i64_i32 v[16:17], null, v23, s12, 0
	s_delay_alu instid0(VALU_DEP_1) | instskip(SKIP_1) | instid1(VALU_DEP_2)
	v_lshlrev_b64 v[26:27], 3, v[16:17]
	v_max_f32_e32 v16, v48, v48
	v_add_co_u32 v19, vcc_lo, s8, v26
	s_delay_alu instid0(VALU_DEP_3)
	v_add_co_ci_u32_e32 v20, vcc_lo, s9, v27, vcc_lo
	v_add_co_u32 v21, vcc_lo, s4, v21
	v_add_co_ci_u32_e32 v23, vcc_lo, s5, v22, vcc_lo
	s_mov_b32 vcc_lo, s2
	global_store_b64 v[28:29], v[24:25], off
	s_cbranch_vccz .LBB158_118
; %bb.116:
	v_min_f32_e32 v17, 0, v16
	v_add_co_u32 v26, vcc_lo, v19, v0
	v_add_co_ci_u32_e32 v27, vcc_lo, v20, v1, vcc_lo
	s_delay_alu instid0(VALU_DEP_3)
	v_cvt_f64_f32_e32 v[24:25], v17
	s_mov_b64 s[0:1], 0
	global_store_b64 v[26:27], v[24:25], off
	s_cbranch_execz .LBB158_119
; %bb.117:
	v_dual_mov_b32 v17, s1 :: v_dual_mov_b32 v16, s0
	s_branch .LBB158_120
.LBB158_118:
                                        ; implicit-def: $sgpr0_sgpr1
.LBB158_119:
	v_add_co_u32 v24, vcc_lo, v21, v0
	v_add_co_ci_u32_e32 v25, vcc_lo, v23, v1, vcc_lo
	flat_load_b64 v[24:25], v[24:25]
	s_waitcnt vmcnt(0) lgkmcnt(0)
	v_mul_f64 v[24:25], v[24:25], s[6:7]
	s_delay_alu instid0(VALU_DEP_1)
	v_cvt_f32_f64_e32 v17, v[24:25]
	v_add_co_u32 v24, vcc_lo, v19, v0
	v_add_co_ci_u32_e32 v25, vcc_lo, v20, v1, vcc_lo
	v_add_co_u32 v26, vcc_lo, v21, v2
	v_add_co_ci_u32_e32 v27, vcc_lo, v23, v3, vcc_lo
	v_min_f32_e32 v16, v17, v16
	s_delay_alu instid0(VALU_DEP_1)
	v_cvt_f64_f32_e32 v[16:17], v16
	global_store_b64 v[24:25], v[16:17], off
	flat_load_b64 v[16:17], v[26:27]
	s_waitcnt vmcnt(0) lgkmcnt(0)
	v_mul_f64 v[16:17], v[16:17], s[6:7]
.LBB158_120:
	s_delay_alu instid0(VALU_DEP_1) | instskip(SKIP_4) | instid1(VALU_DEP_3)
	v_cvt_f32_f64_e32 v16, v[16:17]
	v_max_f32_e32 v17, v61, v61
	v_add_co_u32 v26, vcc_lo, v19, v2
	v_add_co_ci_u32_e32 v27, vcc_lo, v20, v3, vcc_lo
	s_mov_b32 vcc_lo, s2
	v_min_f32_e32 v16, v16, v17
	s_delay_alu instid0(VALU_DEP_1)
	v_cvt_f64_f32_e32 v[24:25], v16
	v_max_f32_e32 v16, v47, v47
	global_store_b64 v[26:27], v[24:25], off
	s_cbranch_vccz .LBB158_123
; %bb.121:
	v_min_f32_e32 v17, 0, v16
	v_add_co_u32 v26, vcc_lo, v19, v4
	v_add_co_ci_u32_e32 v27, vcc_lo, v20, v5, vcc_lo
	s_delay_alu instid0(VALU_DEP_3)
	v_cvt_f64_f32_e32 v[24:25], v17
	s_mov_b64 s[0:1], 0
	global_store_b64 v[26:27], v[24:25], off
	s_cbranch_execz .LBB158_124
; %bb.122:
	v_dual_mov_b32 v17, s1 :: v_dual_mov_b32 v16, s0
	s_branch .LBB158_125
.LBB158_123:
                                        ; implicit-def: $sgpr0_sgpr1
.LBB158_124:
	v_add_co_u32 v24, vcc_lo, v21, v4
	v_add_co_ci_u32_e32 v25, vcc_lo, v23, v5, vcc_lo
	flat_load_b64 v[24:25], v[24:25]
	s_waitcnt vmcnt(0) lgkmcnt(0)
	v_mul_f64 v[24:25], v[24:25], s[6:7]
	s_delay_alu instid0(VALU_DEP_1)
	v_cvt_f32_f64_e32 v17, v[24:25]
	v_add_co_u32 v24, vcc_lo, v19, v4
	v_add_co_ci_u32_e32 v25, vcc_lo, v20, v5, vcc_lo
	v_add_co_u32 v26, vcc_lo, v21, v6
	v_add_co_ci_u32_e32 v27, vcc_lo, v23, v7, vcc_lo
	v_min_f32_e32 v16, v17, v16
	s_delay_alu instid0(VALU_DEP_1)
	v_cvt_f64_f32_e32 v[16:17], v16
	global_store_b64 v[24:25], v[16:17], off
	flat_load_b64 v[16:17], v[26:27]
	s_waitcnt vmcnt(0) lgkmcnt(0)
	v_mul_f64 v[16:17], v[16:17], s[6:7]
.LBB158_125:
	s_delay_alu instid0(VALU_DEP_1) | instskip(SKIP_4) | instid1(VALU_DEP_3)
	v_cvt_f32_f64_e32 v16, v[16:17]
	v_max_f32_e32 v17, v104, v104
	v_add_co_u32 v26, vcc_lo, v19, v6
	v_add_co_ci_u32_e32 v27, vcc_lo, v20, v7, vcc_lo
	s_mov_b32 vcc_lo, s2
	v_min_f32_e32 v16, v16, v17
	s_delay_alu instid0(VALU_DEP_1)
	v_cvt_f64_f32_e32 v[24:25], v16
	v_max_f32_e32 v16, v45, v45
	global_store_b64 v[26:27], v[24:25], off
	s_cbranch_vccz .LBB158_128
; %bb.126:
	v_min_f32_e32 v17, 0, v16
	v_add_co_u32 v26, vcc_lo, v19, v8
	v_add_co_ci_u32_e32 v27, vcc_lo, v20, v9, vcc_lo
	s_delay_alu instid0(VALU_DEP_3)
	v_cvt_f64_f32_e32 v[24:25], v17
	s_mov_b64 s[0:1], 0
	global_store_b64 v[26:27], v[24:25], off
	s_cbranch_execz .LBB158_129
; %bb.127:
	v_dual_mov_b32 v17, s1 :: v_dual_mov_b32 v16, s0
	s_branch .LBB158_130
.LBB158_128:
                                        ; implicit-def: $sgpr0_sgpr1
.LBB158_129:
	v_add_co_u32 v24, vcc_lo, v21, v8
	v_add_co_ci_u32_e32 v25, vcc_lo, v23, v9, vcc_lo
	flat_load_b64 v[24:25], v[24:25]
	s_waitcnt vmcnt(0) lgkmcnt(0)
	v_mul_f64 v[24:25], v[24:25], s[6:7]
	s_delay_alu instid0(VALU_DEP_1)
	v_cvt_f32_f64_e32 v17, v[24:25]
	v_add_co_u32 v24, vcc_lo, v19, v8
	v_add_co_ci_u32_e32 v25, vcc_lo, v20, v9, vcc_lo
	v_add_co_u32 v26, vcc_lo, v21, v10
	v_add_co_ci_u32_e32 v27, vcc_lo, v23, v11, vcc_lo
	v_min_f32_e32 v16, v17, v16
	s_delay_alu instid0(VALU_DEP_1)
	v_cvt_f64_f32_e32 v[16:17], v16
	global_store_b64 v[24:25], v[16:17], off
	flat_load_b64 v[16:17], v[26:27]
	s_waitcnt vmcnt(0) lgkmcnt(0)
	v_mul_f64 v[16:17], v[16:17], s[6:7]
.LBB158_130:
	s_delay_alu instid0(VALU_DEP_1) | instskip(SKIP_4) | instid1(VALU_DEP_3)
	v_cvt_f32_f64_e32 v16, v[16:17]
	v_max_f32_e32 v17, v108, v108
	v_add_co_u32 v26, vcc_lo, v19, v10
	v_add_co_ci_u32_e32 v27, vcc_lo, v20, v11, vcc_lo
	s_mov_b32 vcc_lo, s2
	v_min_f32_e32 v16, v16, v17
	s_delay_alu instid0(VALU_DEP_1)
	v_cvt_f64_f32_e32 v[24:25], v16
	v_max_f32_e32 v16, v43, v43
	global_store_b64 v[26:27], v[24:25], off
	s_cbranch_vccz .LBB158_133
; %bb.131:
	v_min_f32_e32 v17, 0, v16
	v_add_co_u32 v26, vcc_lo, v19, v12
	v_add_co_ci_u32_e32 v27, vcc_lo, v20, v13, vcc_lo
	s_delay_alu instid0(VALU_DEP_3)
	v_cvt_f64_f32_e32 v[24:25], v17
	s_mov_b64 s[0:1], 0
	global_store_b64 v[26:27], v[24:25], off
	s_cbranch_execz .LBB158_134
; %bb.132:
	v_dual_mov_b32 v17, s1 :: v_dual_mov_b32 v16, s0
	s_branch .LBB158_135
.LBB158_133:
                                        ; implicit-def: $sgpr0_sgpr1
.LBB158_134:
	v_add_co_u32 v24, vcc_lo, v21, v12
	v_add_co_ci_u32_e32 v25, vcc_lo, v23, v13, vcc_lo
	flat_load_b64 v[24:25], v[24:25]
	s_waitcnt vmcnt(0) lgkmcnt(0)
	v_mul_f64 v[24:25], v[24:25], s[6:7]
	s_delay_alu instid0(VALU_DEP_1)
	v_cvt_f32_f64_e32 v17, v[24:25]
	v_add_co_u32 v24, vcc_lo, v19, v12
	v_add_co_ci_u32_e32 v25, vcc_lo, v20, v13, vcc_lo
	v_add_co_u32 v21, vcc_lo, v21, v14
	v_add_co_ci_u32_e32 v22, vcc_lo, v23, v15, vcc_lo
	v_min_f32_e32 v16, v17, v16
	s_delay_alu instid0(VALU_DEP_1)
	v_cvt_f64_f32_e32 v[16:17], v16
	global_store_b64 v[24:25], v[16:17], off
	flat_load_b64 v[16:17], v[21:22]
	s_waitcnt vmcnt(0) lgkmcnt(0)
	v_mul_f64 v[16:17], v[16:17], s[6:7]
.LBB158_135:
	s_delay_alu instid0(VALU_DEP_1) | instskip(SKIP_4) | instid1(VALU_DEP_1)
	v_cvt_f32_f64_e32 v16, v[16:17]
	v_max_f32_e32 v17, v112, v112
	v_add_co_u32 v28, vcc_lo, v19, v14
	v_add_co_ci_u32_e32 v29, vcc_lo, v20, v15, vcc_lo
	v_add_nc_u32_e32 v23, 32, v18
	v_mad_i64_i32 v[21:22], null, v23, s3, 0
	s_delay_alu instid0(VALU_DEP_1) | instskip(SKIP_1) | instid1(VALU_DEP_1)
	v_lshlrev_b64 v[21:22], 3, v[21:22]
	v_min_f32_e32 v16, v16, v17
	v_cvt_f64_f32_e32 v[24:25], v16
	v_mad_i64_i32 v[16:17], null, v23, s12, 0
	s_delay_alu instid0(VALU_DEP_1) | instskip(SKIP_1) | instid1(VALU_DEP_2)
	v_lshlrev_b64 v[26:27], 3, v[16:17]
	v_max_f32_e32 v16, v41, v41
	v_add_co_u32 v19, vcc_lo, s8, v26
	s_delay_alu instid0(VALU_DEP_3)
	v_add_co_ci_u32_e32 v20, vcc_lo, s9, v27, vcc_lo
	v_add_co_u32 v21, vcc_lo, s4, v21
	v_add_co_ci_u32_e32 v23, vcc_lo, s5, v22, vcc_lo
	s_mov_b32 vcc_lo, s2
	global_store_b64 v[28:29], v[24:25], off
	s_cbranch_vccz .LBB158_138
; %bb.136:
	v_min_f32_e32 v17, 0, v16
	v_add_co_u32 v26, vcc_lo, v19, v0
	v_add_co_ci_u32_e32 v27, vcc_lo, v20, v1, vcc_lo
	s_delay_alu instid0(VALU_DEP_3)
	v_cvt_f64_f32_e32 v[24:25], v17
	s_mov_b64 s[0:1], 0
	global_store_b64 v[26:27], v[24:25], off
	s_cbranch_execz .LBB158_139
; %bb.137:
	v_dual_mov_b32 v17, s1 :: v_dual_mov_b32 v16, s0
	s_branch .LBB158_140
.LBB158_138:
                                        ; implicit-def: $sgpr0_sgpr1
.LBB158_139:
	v_add_co_u32 v24, vcc_lo, v21, v0
	v_add_co_ci_u32_e32 v25, vcc_lo, v23, v1, vcc_lo
	flat_load_b64 v[24:25], v[24:25]
	s_waitcnt vmcnt(0) lgkmcnt(0)
	v_mul_f64 v[24:25], v[24:25], s[6:7]
	s_delay_alu instid0(VALU_DEP_1)
	v_cvt_f32_f64_e32 v17, v[24:25]
	v_add_co_u32 v24, vcc_lo, v19, v0
	v_add_co_ci_u32_e32 v25, vcc_lo, v20, v1, vcc_lo
	v_add_co_u32 v26, vcc_lo, v21, v2
	v_add_co_ci_u32_e32 v27, vcc_lo, v23, v3, vcc_lo
	v_min_f32_e32 v16, v17, v16
	s_delay_alu instid0(VALU_DEP_1)
	v_cvt_f64_f32_e32 v[16:17], v16
	global_store_b64 v[24:25], v[16:17], off
	flat_load_b64 v[16:17], v[26:27]
	s_waitcnt vmcnt(0) lgkmcnt(0)
	v_mul_f64 v[16:17], v[16:17], s[6:7]
.LBB158_140:
	s_delay_alu instid0(VALU_DEP_1) | instskip(SKIP_4) | instid1(VALU_DEP_3)
	v_cvt_f32_f64_e32 v16, v[16:17]
	v_max_f32_e32 v17, v76, v76
	v_add_co_u32 v26, vcc_lo, v19, v2
	v_add_co_ci_u32_e32 v27, vcc_lo, v20, v3, vcc_lo
	s_mov_b32 vcc_lo, s2
	v_min_f32_e32 v16, v16, v17
	s_delay_alu instid0(VALU_DEP_1)
	v_cvt_f64_f32_e32 v[24:25], v16
	v_max_f32_e32 v16, v39, v39
	global_store_b64 v[26:27], v[24:25], off
	s_cbranch_vccz .LBB158_143
; %bb.141:
	v_min_f32_e32 v17, 0, v16
	v_add_co_u32 v26, vcc_lo, v19, v4
	v_add_co_ci_u32_e32 v27, vcc_lo, v20, v5, vcc_lo
	s_delay_alu instid0(VALU_DEP_3)
	v_cvt_f64_f32_e32 v[24:25], v17
	s_mov_b64 s[0:1], 0
	global_store_b64 v[26:27], v[24:25], off
	s_cbranch_execz .LBB158_144
; %bb.142:
	v_dual_mov_b32 v17, s1 :: v_dual_mov_b32 v16, s0
	s_branch .LBB158_145
.LBB158_143:
                                        ; implicit-def: $sgpr0_sgpr1
.LBB158_144:
	v_add_co_u32 v24, vcc_lo, v21, v4
	v_add_co_ci_u32_e32 v25, vcc_lo, v23, v5, vcc_lo
	flat_load_b64 v[24:25], v[24:25]
	s_waitcnt vmcnt(0) lgkmcnt(0)
	v_mul_f64 v[24:25], v[24:25], s[6:7]
	s_delay_alu instid0(VALU_DEP_1)
	v_cvt_f32_f64_e32 v17, v[24:25]
	v_add_co_u32 v24, vcc_lo, v19, v4
	v_add_co_ci_u32_e32 v25, vcc_lo, v20, v5, vcc_lo
	v_add_co_u32 v26, vcc_lo, v21, v6
	v_add_co_ci_u32_e32 v27, vcc_lo, v23, v7, vcc_lo
	v_min_f32_e32 v16, v17, v16
	s_delay_alu instid0(VALU_DEP_1)
	v_cvt_f64_f32_e32 v[16:17], v16
	global_store_b64 v[24:25], v[16:17], off
	flat_load_b64 v[16:17], v[26:27]
	s_waitcnt vmcnt(0) lgkmcnt(0)
	v_mul_f64 v[16:17], v[16:17], s[6:7]
.LBB158_145:
	s_delay_alu instid0(VALU_DEP_1) | instskip(SKIP_4) | instid1(VALU_DEP_3)
	v_cvt_f32_f64_e32 v16, v[16:17]
	v_max_f32_e32 v17, v101, v101
	v_add_co_u32 v26, vcc_lo, v19, v6
	v_add_co_ci_u32_e32 v27, vcc_lo, v20, v7, vcc_lo
	s_mov_b32 vcc_lo, s2
	v_min_f32_e32 v16, v16, v17
	s_delay_alu instid0(VALU_DEP_1)
	v_cvt_f64_f32_e32 v[24:25], v16
	v_max_f32_e32 v16, v137, v137
	;; [unrolled: 46-line block ×3, first 2 shown]
	global_store_b64 v[26:27], v[24:25], off
	s_cbranch_vccz .LBB158_153
; %bb.151:
	v_min_f32_e32 v17, 0, v16
	v_add_co_u32 v26, vcc_lo, v19, v12
	v_add_co_ci_u32_e32 v27, vcc_lo, v20, v13, vcc_lo
	s_delay_alu instid0(VALU_DEP_3)
	v_cvt_f64_f32_e32 v[24:25], v17
	s_mov_b64 s[0:1], 0
	global_store_b64 v[26:27], v[24:25], off
	s_cbranch_execz .LBB158_154
; %bb.152:
	v_dual_mov_b32 v17, s1 :: v_dual_mov_b32 v16, s0
	s_branch .LBB158_155
.LBB158_153:
                                        ; implicit-def: $sgpr0_sgpr1
.LBB158_154:
	v_add_co_u32 v24, vcc_lo, v21, v12
	v_add_co_ci_u32_e32 v25, vcc_lo, v23, v13, vcc_lo
	flat_load_b64 v[24:25], v[24:25]
	s_waitcnt vmcnt(0) lgkmcnt(0)
	v_mul_f64 v[24:25], v[24:25], s[6:7]
	s_delay_alu instid0(VALU_DEP_1)
	v_cvt_f32_f64_e32 v17, v[24:25]
	v_add_co_u32 v24, vcc_lo, v19, v12
	v_add_co_ci_u32_e32 v25, vcc_lo, v20, v13, vcc_lo
	v_add_co_u32 v21, vcc_lo, v21, v14
	v_add_co_ci_u32_e32 v22, vcc_lo, v23, v15, vcc_lo
	v_min_f32_e32 v16, v17, v16
	s_delay_alu instid0(VALU_DEP_1)
	v_cvt_f64_f32_e32 v[16:17], v16
	global_store_b64 v[24:25], v[16:17], off
	flat_load_b64 v[16:17], v[21:22]
	s_waitcnt vmcnt(0) lgkmcnt(0)
	v_mul_f64 v[16:17], v[16:17], s[6:7]
.LBB158_155:
	s_delay_alu instid0(VALU_DEP_1) | instskip(SKIP_4) | instid1(VALU_DEP_1)
	v_cvt_f32_f64_e32 v16, v[16:17]
	v_max_f32_e32 v17, v37, v37
	v_add_co_u32 v28, vcc_lo, v19, v14
	v_add_co_ci_u32_e32 v29, vcc_lo, v20, v15, vcc_lo
	v_add_nc_u32_e32 v23, 40, v18
	v_mad_i64_i32 v[21:22], null, v23, s3, 0
	s_delay_alu instid0(VALU_DEP_1) | instskip(SKIP_1) | instid1(VALU_DEP_1)
	v_lshlrev_b64 v[21:22], 3, v[21:22]
	v_min_f32_e32 v16, v16, v17
	v_cvt_f64_f32_e32 v[24:25], v16
	v_mad_i64_i32 v[16:17], null, v23, s12, 0
	s_delay_alu instid0(VALU_DEP_1) | instskip(SKIP_1) | instid1(VALU_DEP_2)
	v_lshlrev_b64 v[26:27], 3, v[16:17]
	v_max_f32_e32 v16, v191, v191
	v_add_co_u32 v19, vcc_lo, s8, v26
	s_delay_alu instid0(VALU_DEP_3)
	v_add_co_ci_u32_e32 v20, vcc_lo, s9, v27, vcc_lo
	v_add_co_u32 v21, vcc_lo, s4, v21
	v_add_co_ci_u32_e32 v23, vcc_lo, s5, v22, vcc_lo
	s_mov_b32 vcc_lo, s2
	global_store_b64 v[28:29], v[24:25], off
	s_cbranch_vccz .LBB158_158
; %bb.156:
	v_min_f32_e32 v17, 0, v16
	v_add_co_u32 v26, vcc_lo, v19, v0
	v_add_co_ci_u32_e32 v27, vcc_lo, v20, v1, vcc_lo
	s_delay_alu instid0(VALU_DEP_3)
	v_cvt_f64_f32_e32 v[24:25], v17
	s_mov_b64 s[0:1], 0
	global_store_b64 v[26:27], v[24:25], off
	s_cbranch_execz .LBB158_159
; %bb.157:
	v_dual_mov_b32 v17, s1 :: v_dual_mov_b32 v16, s0
	s_branch .LBB158_160
.LBB158_158:
                                        ; implicit-def: $sgpr0_sgpr1
.LBB158_159:
	v_add_co_u32 v24, vcc_lo, v21, v0
	v_add_co_ci_u32_e32 v25, vcc_lo, v23, v1, vcc_lo
	flat_load_b64 v[24:25], v[24:25]
	s_waitcnt vmcnt(0) lgkmcnt(0)
	v_mul_f64 v[24:25], v[24:25], s[6:7]
	s_delay_alu instid0(VALU_DEP_1)
	v_cvt_f32_f64_e32 v17, v[24:25]
	v_add_co_u32 v24, vcc_lo, v19, v0
	v_add_co_ci_u32_e32 v25, vcc_lo, v20, v1, vcc_lo
	v_add_co_u32 v26, vcc_lo, v21, v2
	v_add_co_ci_u32_e32 v27, vcc_lo, v23, v3, vcc_lo
	v_min_f32_e32 v16, v17, v16
	s_delay_alu instid0(VALU_DEP_1)
	v_cvt_f64_f32_e32 v[16:17], v16
	global_store_b64 v[24:25], v[16:17], off
	flat_load_b64 v[16:17], v[26:27]
	s_waitcnt vmcnt(0) lgkmcnt(0)
	v_mul_f64 v[16:17], v[16:17], s[6:7]
.LBB158_160:
	s_delay_alu instid0(VALU_DEP_1) | instskip(SKIP_4) | instid1(VALU_DEP_3)
	v_cvt_f32_f64_e32 v16, v[16:17]
	v_max_f32_e32 v17, v190, v190
	v_add_co_u32 v26, vcc_lo, v19, v2
	v_add_co_ci_u32_e32 v27, vcc_lo, v20, v3, vcc_lo
	s_mov_b32 vcc_lo, s2
	v_min_f32_e32 v16, v16, v17
	s_delay_alu instid0(VALU_DEP_1)
	v_cvt_f64_f32_e32 v[24:25], v16
	v_max_f32_e32 v16, v36, v36
	global_store_b64 v[26:27], v[24:25], off
	s_cbranch_vccz .LBB158_163
; %bb.161:
	v_min_f32_e32 v17, 0, v16
	v_add_co_u32 v26, vcc_lo, v19, v4
	v_add_co_ci_u32_e32 v27, vcc_lo, v20, v5, vcc_lo
	s_delay_alu instid0(VALU_DEP_3)
	v_cvt_f64_f32_e32 v[24:25], v17
	s_mov_b32 s0, 0
	global_store_b64 v[26:27], v[24:25], off
	s_cbranch_execz .LBB158_164
; %bb.162:
	v_mov_b32_e32 v16, s0
	s_branch .LBB158_165
.LBB158_163:
	s_mov_b32 s0, -1
.LBB158_164:
	v_add_co_u32 v24, vcc_lo, v21, v4
	v_add_co_ci_u32_e32 v25, vcc_lo, v23, v5, vcc_lo
	flat_load_b64 v[24:25], v[24:25]
	s_waitcnt vmcnt(0) lgkmcnt(0)
	v_mul_f64 v[24:25], v[24:25], s[6:7]
	s_delay_alu instid0(VALU_DEP_1)
	v_cvt_f32_f64_e32 v17, v[24:25]
	v_add_co_u32 v24, vcc_lo, v19, v4
	v_add_co_ci_u32_e32 v25, vcc_lo, v20, v5, vcc_lo
	v_add_co_u32 v26, vcc_lo, v21, v6
	v_add_co_ci_u32_e32 v27, vcc_lo, v23, v7, vcc_lo
	v_min_f32_e32 v16, v17, v16
	s_delay_alu instid0(VALU_DEP_1) | instskip(SKIP_4) | instid1(VALU_DEP_1)
	v_cvt_f64_f32_e32 v[16:17], v16
	global_store_b64 v[24:25], v[16:17], off
	flat_load_b64 v[16:17], v[26:27]
	s_waitcnt vmcnt(0) lgkmcnt(0)
	v_mul_f64 v[16:17], v[16:17], s[6:7]
	v_cvt_f32_f64_e32 v16, v[16:17]
.LBB158_165:
	s_delay_alu instid0(VALU_DEP_1) | instskip(SKIP_2) | instid1(VALU_DEP_3)
	v_dual_max_f32 v17, v63, v63 :: v_dual_max_f32 v16, v16, v16
	v_add_co_u32 v26, vcc_lo, v19, v6
	v_add_co_ci_u32_e32 v27, vcc_lo, v20, v7, vcc_lo
	v_min_f32_e32 v16, v16, v17
	s_mov_b32 vcc_lo, s2
	s_delay_alu instid0(VALU_DEP_1)
	v_cvt_f64_f32_e32 v[24:25], v16
	v_max_f32_e32 v16, v239, v239
	global_store_b64 v[26:27], v[24:25], off
	s_cbranch_vccz .LBB158_168
; %bb.166:
	v_min_f32_e32 v17, 0, v16
	v_add_co_u32 v26, vcc_lo, v19, v8
	v_add_co_ci_u32_e32 v27, vcc_lo, v20, v9, vcc_lo
	s_delay_alu instid0(VALU_DEP_3)
	v_cvt_f64_f32_e32 v[24:25], v17
	s_mov_b32 s0, 0
	global_store_b64 v[26:27], v[24:25], off
	s_cbranch_execz .LBB158_169
; %bb.167:
	v_mov_b32_e32 v16, s0
	s_branch .LBB158_170
.LBB158_168:
	s_mov_b32 s0, -1
.LBB158_169:
	v_add_co_u32 v24, vcc_lo, v21, v8
	v_add_co_ci_u32_e32 v25, vcc_lo, v23, v9, vcc_lo
	flat_load_b64 v[24:25], v[24:25]
	s_waitcnt vmcnt(0) lgkmcnt(0)
	v_mul_f64 v[24:25], v[24:25], s[6:7]
	s_delay_alu instid0(VALU_DEP_1)
	v_cvt_f32_f64_e32 v17, v[24:25]
	v_add_co_u32 v24, vcc_lo, v19, v8
	v_add_co_ci_u32_e32 v25, vcc_lo, v20, v9, vcc_lo
	v_add_co_u32 v26, vcc_lo, v21, v10
	v_add_co_ci_u32_e32 v27, vcc_lo, v23, v11, vcc_lo
	v_min_f32_e32 v16, v17, v16
	s_delay_alu instid0(VALU_DEP_1) | instskip(SKIP_4) | instid1(VALU_DEP_1)
	v_cvt_f64_f32_e32 v[16:17], v16
	global_store_b64 v[24:25], v[16:17], off
	flat_load_b64 v[16:17], v[26:27]
	s_waitcnt vmcnt(0) lgkmcnt(0)
	v_mul_f64 v[16:17], v[16:17], s[6:7]
	v_cvt_f32_f64_e32 v16, v[16:17]
.LBB158_170:
	v_max_f32_e32 v17, v236, v236
	s_delay_alu instid0(VALU_DEP_2) | instskip(SKIP_2) | instid1(VALU_DEP_3)
	v_max_f32_e32 v16, v16, v16
	v_add_co_u32 v26, vcc_lo, v19, v10
	v_add_co_ci_u32_e32 v27, vcc_lo, v20, v11, vcc_lo
	v_min_f32_e32 v16, v16, v17
	s_mov_b32 vcc_lo, s2
	s_delay_alu instid0(VALU_DEP_1)
	v_cvt_f64_f32_e32 v[24:25], v16
	v_max_f32_e32 v16, v235, v235
	global_store_b64 v[26:27], v[24:25], off
	s_cbranch_vccz .LBB158_173
; %bb.171:
	v_min_f32_e32 v17, 0, v16
	v_add_co_u32 v26, vcc_lo, v19, v12
	v_add_co_ci_u32_e32 v27, vcc_lo, v20, v13, vcc_lo
	s_delay_alu instid0(VALU_DEP_3)
	v_cvt_f64_f32_e32 v[24:25], v17
	s_mov_b32 s0, 0
	global_store_b64 v[26:27], v[24:25], off
	s_cbranch_execz .LBB158_174
; %bb.172:
	v_mov_b32_e32 v16, s0
	s_branch .LBB158_175
.LBB158_173:
	s_mov_b32 s0, -1
.LBB158_174:
	v_add_co_u32 v24, vcc_lo, v21, v12
	v_add_co_ci_u32_e32 v25, vcc_lo, v23, v13, vcc_lo
	flat_load_b64 v[24:25], v[24:25]
	s_waitcnt vmcnt(0) lgkmcnt(0)
	v_mul_f64 v[24:25], v[24:25], s[6:7]
	s_delay_alu instid0(VALU_DEP_1)
	v_cvt_f32_f64_e32 v17, v[24:25]
	v_add_co_u32 v24, vcc_lo, v19, v12
	v_add_co_ci_u32_e32 v25, vcc_lo, v20, v13, vcc_lo
	v_add_co_u32 v21, vcc_lo, v21, v14
	v_add_co_ci_u32_e32 v22, vcc_lo, v23, v15, vcc_lo
	v_min_f32_e32 v16, v17, v16
	s_delay_alu instid0(VALU_DEP_1) | instskip(SKIP_4) | instid1(VALU_DEP_1)
	v_cvt_f64_f32_e32 v[16:17], v16
	global_store_b64 v[24:25], v[16:17], off
	flat_load_b64 v[16:17], v[21:22]
	s_waitcnt vmcnt(0) lgkmcnt(0)
	v_mul_f64 v[16:17], v[16:17], s[6:7]
	v_cvt_f32_f64_e32 v16, v[16:17]
.LBB158_175:
	s_delay_alu instid0(VALU_DEP_1) | instskip(SKIP_2) | instid1(VALU_DEP_3)
	v_dual_max_f32 v17, v214, v214 :: v_dual_max_f32 v16, v16, v16
	v_add_co_u32 v26, vcc_lo, v19, v14
	v_add_co_ci_u32_e32 v27, vcc_lo, v20, v15, vcc_lo
	v_dual_min_f32 v16, v16, v17 :: v_dual_add_nc_u32 v21, 48, v18
	s_delay_alu instid0(VALU_DEP_1) | instskip(NEXT) | instid1(VALU_DEP_2)
	v_cvt_f64_f32_e32 v[22:23], v16
	v_mad_i64_i32 v[16:17], null, v21, s12, 0
	v_mad_i64_i32 v[24:25], null, v21, s3, 0
	v_max_f32_e32 v21, v83, v83
	s_delay_alu instid0(VALU_DEP_3) | instskip(NEXT) | instid1(VALU_DEP_3)
	v_lshlrev_b64 v[16:17], 3, v[16:17]
	v_lshlrev_b64 v[19:20], 3, v[24:25]
	s_delay_alu instid0(VALU_DEP_2) | instskip(NEXT) | instid1(VALU_DEP_3)
	v_add_co_u32 v16, vcc_lo, s8, v16
	v_add_co_ci_u32_e32 v17, vcc_lo, s9, v17, vcc_lo
	s_delay_alu instid0(VALU_DEP_3) | instskip(NEXT) | instid1(VALU_DEP_4)
	v_add_co_u32 v19, vcc_lo, s4, v19
	v_add_co_ci_u32_e32 v20, vcc_lo, s5, v20, vcc_lo
	s_mov_b32 vcc_lo, s2
	global_store_b64 v[26:27], v[22:23], off
	s_cbranch_vccz .LBB158_178
; %bb.176:
	v_min_f32_e32 v22, 0, v21
	v_add_co_u32 v24, vcc_lo, v16, v0
	v_add_co_ci_u32_e32 v25, vcc_lo, v17, v1, vcc_lo
	s_delay_alu instid0(VALU_DEP_3)
	v_cvt_f64_f32_e32 v[22:23], v22
	s_mov_b32 s0, 0
	global_store_b64 v[24:25], v[22:23], off
	s_cbranch_execz .LBB158_179
; %bb.177:
	v_mov_b32_e32 v21, s0
	s_branch .LBB158_180
.LBB158_178:
	s_mov_b32 s0, -1
.LBB158_179:
	v_add_co_u32 v22, vcc_lo, v19, v0
	v_add_co_ci_u32_e32 v23, vcc_lo, v20, v1, vcc_lo
	flat_load_b64 v[22:23], v[22:23]
	s_waitcnt vmcnt(0) lgkmcnt(0)
	v_mul_f64 v[22:23], v[22:23], s[6:7]
	s_delay_alu instid0(VALU_DEP_1)
	v_cvt_f32_f64_e32 v22, v[22:23]
	v_add_co_u32 v23, vcc_lo, v16, v0
	v_add_co_ci_u32_e32 v24, vcc_lo, v17, v1, vcc_lo
	v_add_co_u32 v25, vcc_lo, v19, v2
	v_add_co_ci_u32_e32 v26, vcc_lo, v20, v3, vcc_lo
	v_min_f32_e32 v21, v22, v21
	s_delay_alu instid0(VALU_DEP_1) | instskip(SKIP_4) | instid1(VALU_DEP_1)
	v_cvt_f64_f32_e32 v[21:22], v21
	global_store_b64 v[23:24], v[21:22], off
	flat_load_b64 v[21:22], v[25:26]
	s_waitcnt vmcnt(0) lgkmcnt(0)
	v_mul_f64 v[21:22], v[21:22], s[6:7]
	v_cvt_f32_f64_e32 v21, v[21:22]
.LBB158_180:
	v_max_f32_e32 v22, v237, v237
	s_delay_alu instid0(VALU_DEP_2) | instskip(SKIP_2) | instid1(VALU_DEP_3)
	v_max_f32_e32 v21, v21, v21
	v_add_co_u32 v24, vcc_lo, v16, v2
	v_add_co_ci_u32_e32 v25, vcc_lo, v17, v3, vcc_lo
	v_min_f32_e32 v21, v21, v22
	s_mov_b32 vcc_lo, s2
	s_delay_alu instid0(VALU_DEP_1)
	v_cvt_f64_f32_e32 v[22:23], v21
	v_max_f32_e32 v21, v131, v131
	global_store_b64 v[24:25], v[22:23], off
	s_cbranch_vccz .LBB158_183
; %bb.181:
	v_min_f32_e32 v22, 0, v21
	v_add_co_u32 v24, vcc_lo, v16, v4
	v_add_co_ci_u32_e32 v25, vcc_lo, v17, v5, vcc_lo
	s_delay_alu instid0(VALU_DEP_3)
	v_cvt_f64_f32_e32 v[22:23], v22
	s_mov_b32 s0, 0
	global_store_b64 v[24:25], v[22:23], off
	s_cbranch_execz .LBB158_184
; %bb.182:
	v_mov_b32_e32 v21, s0
	s_branch .LBB158_185
.LBB158_183:
	s_mov_b32 s0, -1
.LBB158_184:
	v_add_co_u32 v22, vcc_lo, v19, v4
	v_add_co_ci_u32_e32 v23, vcc_lo, v20, v5, vcc_lo
	flat_load_b64 v[22:23], v[22:23]
	s_waitcnt vmcnt(0) lgkmcnt(0)
	v_mul_f64 v[22:23], v[22:23], s[6:7]
	s_delay_alu instid0(VALU_DEP_1)
	v_cvt_f32_f64_e32 v22, v[22:23]
	v_add_co_u32 v23, vcc_lo, v16, v4
	v_add_co_ci_u32_e32 v24, vcc_lo, v17, v5, vcc_lo
	v_add_co_u32 v25, vcc_lo, v19, v6
	v_add_co_ci_u32_e32 v26, vcc_lo, v20, v7, vcc_lo
	v_min_f32_e32 v21, v22, v21
	s_delay_alu instid0(VALU_DEP_1) | instskip(SKIP_4) | instid1(VALU_DEP_1)
	v_cvt_f64_f32_e32 v[21:22], v21
	global_store_b64 v[23:24], v[21:22], off
	flat_load_b64 v[21:22], v[25:26]
	s_waitcnt vmcnt(0) lgkmcnt(0)
	v_mul_f64 v[21:22], v[21:22], s[6:7]
	v_cvt_f32_f64_e32 v21, v[21:22]
.LBB158_185:
	s_delay_alu instid0(VALU_DEP_1) | instskip(SKIP_2) | instid1(VALU_DEP_3)
	v_dual_max_f32 v22, v132, v132 :: v_dual_max_f32 v21, v21, v21
	v_add_co_u32 v24, vcc_lo, v16, v6
	v_add_co_ci_u32_e32 v25, vcc_lo, v17, v7, vcc_lo
	v_min_f32_e32 v21, v21, v22
	s_mov_b32 vcc_lo, s2
	s_delay_alu instid0(VALU_DEP_1)
	v_cvt_f64_f32_e32 v[22:23], v21
	v_max_f32_e32 v21, v130, v130
	global_store_b64 v[24:25], v[22:23], off
	s_cbranch_vccz .LBB158_188
; %bb.186:
	v_min_f32_e32 v22, 0, v21
	v_add_co_u32 v24, vcc_lo, v16, v8
	v_add_co_ci_u32_e32 v25, vcc_lo, v17, v9, vcc_lo
	s_delay_alu instid0(VALU_DEP_3)
	v_cvt_f64_f32_e32 v[22:23], v22
	s_mov_b32 s0, 0
	global_store_b64 v[24:25], v[22:23], off
	s_cbranch_execz .LBB158_189
; %bb.187:
	v_mov_b32_e32 v21, s0
	s_branch .LBB158_190
.LBB158_188:
	s_mov_b32 s0, -1
.LBB158_189:
	v_add_co_u32 v22, vcc_lo, v19, v8
	v_add_co_ci_u32_e32 v23, vcc_lo, v20, v9, vcc_lo
	flat_load_b64 v[22:23], v[22:23]
	s_waitcnt vmcnt(0) lgkmcnt(0)
	v_mul_f64 v[22:23], v[22:23], s[6:7]
	s_delay_alu instid0(VALU_DEP_1)
	v_cvt_f32_f64_e32 v22, v[22:23]
	v_add_co_u32 v23, vcc_lo, v16, v8
	v_add_co_ci_u32_e32 v24, vcc_lo, v17, v9, vcc_lo
	v_add_co_u32 v25, vcc_lo, v19, v10
	v_add_co_ci_u32_e32 v26, vcc_lo, v20, v11, vcc_lo
	v_min_f32_e32 v21, v22, v21
	s_delay_alu instid0(VALU_DEP_1) | instskip(SKIP_4) | instid1(VALU_DEP_1)
	v_cvt_f64_f32_e32 v[21:22], v21
	global_store_b64 v[23:24], v[21:22], off
	flat_load_b64 v[21:22], v[25:26]
	s_waitcnt vmcnt(0) lgkmcnt(0)
	v_mul_f64 v[21:22], v[21:22], s[6:7]
	v_cvt_f32_f64_e32 v21, v[21:22]
.LBB158_190:
	v_max_f32_e32 v22, v201, v201
	s_delay_alu instid0(VALU_DEP_2) | instskip(SKIP_2) | instid1(VALU_DEP_3)
	v_max_f32_e32 v21, v21, v21
	v_add_co_u32 v24, vcc_lo, v16, v10
	v_add_co_ci_u32_e32 v25, vcc_lo, v17, v11, vcc_lo
	v_min_f32_e32 v21, v21, v22
	s_mov_b32 vcc_lo, s2
	s_delay_alu instid0(VALU_DEP_1)
	v_cvt_f64_f32_e32 v[22:23], v21
	scratch_load_b32 v21, off, off offset:4 ; 4-byte Folded Reload
	global_store_b64 v[24:25], v[22:23], off
	s_waitcnt vmcnt(0)
	v_max_f32_e32 v21, v21, v21
	s_cbranch_vccz .LBB158_193
; %bb.191:
	s_delay_alu instid0(VALU_DEP_1) | instskip(SKIP_2) | instid1(VALU_DEP_3)
	v_min_f32_e32 v22, 0, v21
	v_add_co_u32 v24, vcc_lo, v16, v12
	v_add_co_ci_u32_e32 v25, vcc_lo, v17, v13, vcc_lo
	v_cvt_f64_f32_e32 v[22:23], v22
	s_mov_b32 s0, 0
	global_store_b64 v[24:25], v[22:23], off
	s_cbranch_execz .LBB158_194
; %bb.192:
	v_mov_b32_e32 v19, s0
	s_branch .LBB158_195
.LBB158_193:
	s_mov_b32 s0, -1
.LBB158_194:
	v_add_co_u32 v22, vcc_lo, v19, v12
	v_add_co_ci_u32_e32 v23, vcc_lo, v20, v13, vcc_lo
	flat_load_b64 v[22:23], v[22:23]
	s_waitcnt vmcnt(0) lgkmcnt(0)
	v_mul_f64 v[22:23], v[22:23], s[6:7]
	s_delay_alu instid0(VALU_DEP_1)
	v_cvt_f32_f64_e32 v22, v[22:23]
	v_add_co_u32 v23, vcc_lo, v16, v12
	v_add_co_ci_u32_e32 v24, vcc_lo, v17, v13, vcc_lo
	v_add_co_u32 v19, vcc_lo, v19, v14
	v_add_co_ci_u32_e32 v20, vcc_lo, v20, v15, vcc_lo
	v_min_f32_e32 v21, v22, v21
	s_delay_alu instid0(VALU_DEP_1) | instskip(SKIP_4) | instid1(VALU_DEP_1)
	v_cvt_f64_f32_e32 v[21:22], v21
	global_store_b64 v[23:24], v[21:22], off
	flat_load_b64 v[19:20], v[19:20]
	s_waitcnt vmcnt(0) lgkmcnt(0)
	v_mul_f64 v[19:20], v[19:20], s[6:7]
	v_cvt_f32_f64_e32 v19, v[19:20]
.LBB158_195:
	s_delay_alu instid0(VALU_DEP_1) | instskip(SKIP_2) | instid1(VALU_DEP_3)
	v_dual_max_f32 v20, v126, v126 :: v_dual_max_f32 v19, v19, v19
	v_add_co_u32 v25, vcc_lo, v16, v14
	v_add_co_ci_u32_e32 v26, vcc_lo, v17, v15, vcc_lo
	v_dual_min_f32 v19, v19, v20 :: v_dual_add_nc_u32 v20, 56, v18
	s_delay_alu instid0(VALU_DEP_1) | instskip(NEXT) | instid1(VALU_DEP_2)
	v_cvt_f64_f32_e32 v[21:22], v19
	v_mad_i64_i32 v[18:19], null, v20, s12, 0
	v_mad_i64_i32 v[23:24], null, v20, s3, 0
	v_max_f32_e32 v20, v241, v241
	s_delay_alu instid0(VALU_DEP_3) | instskip(NEXT) | instid1(VALU_DEP_3)
	v_lshlrev_b64 v[18:19], 3, v[18:19]
	v_lshlrev_b64 v[23:24], 3, v[23:24]
	s_delay_alu instid0(VALU_DEP_2) | instskip(NEXT) | instid1(VALU_DEP_3)
	v_add_co_u32 v16, vcc_lo, s8, v18
	v_add_co_ci_u32_e32 v17, vcc_lo, s9, v19, vcc_lo
	s_delay_alu instid0(VALU_DEP_3) | instskip(NEXT) | instid1(VALU_DEP_4)
	v_add_co_u32 v18, vcc_lo, s4, v23
	v_add_co_ci_u32_e32 v19, vcc_lo, s5, v24, vcc_lo
	s_mov_b32 vcc_lo, s2
	global_store_b64 v[25:26], v[21:22], off
	s_cbranch_vccz .LBB158_198
; %bb.196:
	v_min_f32_e32 v21, 0, v20
	v_add_co_u32 v23, vcc_lo, v16, v0
	v_add_co_ci_u32_e32 v24, vcc_lo, v17, v1, vcc_lo
	s_delay_alu instid0(VALU_DEP_3)
	v_cvt_f64_f32_e32 v[21:22], v21
	s_mov_b32 s0, 0
	global_store_b64 v[23:24], v[21:22], off
	s_cbranch_execz .LBB158_199
; %bb.197:
	v_mov_b32_e32 v0, s0
	s_branch .LBB158_200
.LBB158_198:
	s_mov_b32 s0, -1
.LBB158_199:
	v_add_co_u32 v21, vcc_lo, v18, v0
	v_add_co_ci_u32_e32 v22, vcc_lo, v19, v1, vcc_lo
	v_add_co_u32 v0, vcc_lo, v16, v0
	v_add_co_ci_u32_e32 v1, vcc_lo, v17, v1, vcc_lo
	flat_load_b64 v[21:22], v[21:22]
	s_waitcnt vmcnt(0) lgkmcnt(0)
	v_mul_f64 v[21:22], v[21:22], s[6:7]
	s_delay_alu instid0(VALU_DEP_1) | instskip(SKIP_2) | instid1(VALU_DEP_3)
	v_cvt_f32_f64_e32 v21, v[21:22]
	v_add_co_u32 v22, vcc_lo, v18, v2
	v_add_co_ci_u32_e32 v23, vcc_lo, v19, v3, vcc_lo
	v_min_f32_e32 v20, v21, v20
	s_delay_alu instid0(VALU_DEP_1) | instskip(SKIP_4) | instid1(VALU_DEP_1)
	v_cvt_f64_f32_e32 v[20:21], v20
	global_store_b64 v[0:1], v[20:21], off
	flat_load_b64 v[0:1], v[22:23]
	s_waitcnt vmcnt(0) lgkmcnt(0)
	v_mul_f64 v[0:1], v[0:1], s[6:7]
	v_cvt_f32_f64_e32 v0, v[0:1]
.LBB158_200:
	v_max_f32_e32 v1, v80, v80
	s_delay_alu instid0(VALU_DEP_2) | instskip(NEXT) | instid1(VALU_DEP_1)
	v_max_f32_e32 v0, v0, v0
	v_min_f32_e32 v0, v0, v1
	v_add_co_u32 v1, vcc_lo, v16, v2
	v_add_co_ci_u32_e32 v2, vcc_lo, v17, v3, vcc_lo
	s_delay_alu instid0(VALU_DEP_3)
	v_cvt_f64_f32_e32 v[20:21], v0
	v_max_f32_e32 v0, v123, v123
	s_mov_b32 vcc_lo, s2
	global_store_b64 v[1:2], v[20:21], off
	s_cbranch_vccz .LBB158_203
; %bb.201:
	v_min_f32_e32 v1, 0, v0
	v_add_co_u32 v20, vcc_lo, v16, v4
	v_add_co_ci_u32_e32 v21, vcc_lo, v17, v5, vcc_lo
	s_delay_alu instid0(VALU_DEP_3)
	v_cvt_f64_f32_e32 v[1:2], v1
	s_mov_b32 s0, 0
	global_store_b64 v[20:21], v[1:2], off
	s_cbranch_execz .LBB158_204
; %bb.202:
	v_mov_b32_e32 v0, s0
	s_branch .LBB158_205
.LBB158_203:
	s_mov_b32 s0, -1
.LBB158_204:
	v_add_co_u32 v1, vcc_lo, v18, v4
	v_add_co_ci_u32_e32 v2, vcc_lo, v19, v5, vcc_lo
	flat_load_b64 v[1:2], v[1:2]
	s_waitcnt vmcnt(0) lgkmcnt(0)
	v_mul_f64 v[1:2], v[1:2], s[6:7]
	s_delay_alu instid0(VALU_DEP_1)
	v_cvt_f32_f64_e32 v1, v[1:2]
	v_add_co_u32 v2, vcc_lo, v16, v4
	v_add_co_ci_u32_e32 v3, vcc_lo, v17, v5, vcc_lo
	v_add_co_u32 v4, vcc_lo, v18, v6
	v_add_co_ci_u32_e32 v5, vcc_lo, v19, v7, vcc_lo
	v_min_f32_e32 v0, v1, v0
	s_delay_alu instid0(VALU_DEP_1) | instskip(SKIP_4) | instid1(VALU_DEP_1)
	v_cvt_f64_f32_e32 v[0:1], v0
	global_store_b64 v[2:3], v[0:1], off
	flat_load_b64 v[0:1], v[4:5]
	s_waitcnt vmcnt(0) lgkmcnt(0)
	v_mul_f64 v[0:1], v[0:1], s[6:7]
	v_cvt_f32_f64_e32 v0, v[0:1]
.LBB158_205:
	s_delay_alu instid0(VALU_DEP_1) | instskip(SKIP_2) | instid1(VALU_DEP_3)
	v_dual_max_f32 v1, v122, v122 :: v_dual_max_f32 v0, v0, v0
	v_add_co_u32 v3, vcc_lo, v16, v6
	v_add_co_ci_u32_e32 v4, vcc_lo, v17, v7, vcc_lo
	v_min_f32_e32 v0, v0, v1
	s_mov_b32 vcc_lo, s2
	s_delay_alu instid0(VALU_DEP_1)
	v_cvt_f64_f32_e32 v[1:2], v0
	v_max_f32_e32 v0, v121, v121
	global_store_b64 v[3:4], v[1:2], off
	s_cbranch_vccz .LBB158_208
; %bb.206:
	v_min_f32_e32 v1, 0, v0
	v_add_co_u32 v3, vcc_lo, v16, v8
	v_add_co_ci_u32_e32 v4, vcc_lo, v17, v9, vcc_lo
	s_delay_alu instid0(VALU_DEP_3)
	v_cvt_f64_f32_e32 v[1:2], v1
	s_mov_b32 s0, 0
	global_store_b64 v[3:4], v[1:2], off
	s_cbranch_execz .LBB158_209
; %bb.207:
	v_mov_b32_e32 v0, s0
	s_branch .LBB158_210
.LBB158_208:
	s_mov_b32 s0, -1
.LBB158_209:
	v_add_co_u32 v1, vcc_lo, v18, v8
	v_add_co_ci_u32_e32 v2, vcc_lo, v19, v9, vcc_lo
	flat_load_b64 v[1:2], v[1:2]
	s_waitcnt vmcnt(0) lgkmcnt(0)
	v_mul_f64 v[1:2], v[1:2], s[6:7]
	s_delay_alu instid0(VALU_DEP_1)
	v_cvt_f32_f64_e32 v1, v[1:2]
	v_add_co_u32 v2, vcc_lo, v16, v8
	v_add_co_ci_u32_e32 v3, vcc_lo, v17, v9, vcc_lo
	v_add_co_u32 v4, vcc_lo, v18, v10
	v_add_co_ci_u32_e32 v5, vcc_lo, v19, v11, vcc_lo
	v_min_f32_e32 v0, v1, v0
	s_delay_alu instid0(VALU_DEP_1) | instskip(SKIP_4) | instid1(VALU_DEP_1)
	v_cvt_f64_f32_e32 v[0:1], v0
	global_store_b64 v[2:3], v[0:1], off
	flat_load_b64 v[0:1], v[4:5]
	s_waitcnt vmcnt(0) lgkmcnt(0)
	v_mul_f64 v[0:1], v[0:1], s[6:7]
	v_cvt_f32_f64_e32 v0, v[0:1]
.LBB158_210:
	v_max_f32_e32 v1, v120, v120
	s_delay_alu instid0(VALU_DEP_2) | instskip(SKIP_2) | instid1(VALU_DEP_3)
	v_max_f32_e32 v0, v0, v0
	v_add_co_u32 v3, vcc_lo, v16, v10
	v_add_co_ci_u32_e32 v4, vcc_lo, v17, v11, vcc_lo
	v_min_f32_e32 v0, v0, v1
	s_mov_b32 vcc_lo, s2
	s_delay_alu instid0(VALU_DEP_1)
	v_cvt_f64_f32_e32 v[1:2], v0
	scratch_load_b32 v0, off, off           ; 4-byte Folded Reload
	global_store_b64 v[3:4], v[1:2], off
	s_waitcnt vmcnt(0)
	v_max_f32_e32 v0, v0, v0
	s_cbranch_vccz .LBB158_213
; %bb.211:
	s_delay_alu instid0(VALU_DEP_1) | instskip(SKIP_2) | instid1(VALU_DEP_3)
	v_min_f32_e32 v1, 0, v0
	v_add_co_u32 v3, vcc_lo, v16, v12
	v_add_co_ci_u32_e32 v4, vcc_lo, v17, v13, vcc_lo
	v_cvt_f64_f32_e32 v[1:2], v1
	s_mov_b32 s0, 0
	global_store_b64 v[3:4], v[1:2], off
	s_cbranch_execz .LBB158_214
; %bb.212:
	v_mov_b32_e32 v0, s0
	s_branch .LBB158_215
.LBB158_213:
	s_mov_b32 s0, -1
.LBB158_214:
	v_add_co_u32 v1, vcc_lo, v18, v12
	v_add_co_ci_u32_e32 v2, vcc_lo, v19, v13, vcc_lo
	flat_load_b64 v[1:2], v[1:2]
	s_waitcnt vmcnt(0) lgkmcnt(0)
	v_mul_f64 v[1:2], v[1:2], s[6:7]
	s_delay_alu instid0(VALU_DEP_1)
	v_cvt_f32_f64_e32 v1, v[1:2]
	v_add_co_u32 v2, vcc_lo, v16, v12
	v_add_co_ci_u32_e32 v3, vcc_lo, v17, v13, vcc_lo
	v_add_co_u32 v4, vcc_lo, v18, v14
	v_add_co_ci_u32_e32 v5, vcc_lo, v19, v15, vcc_lo
	v_min_f32_e32 v0, v1, v0
	s_delay_alu instid0(VALU_DEP_1) | instskip(SKIP_4) | instid1(VALU_DEP_1)
	v_cvt_f64_f32_e32 v[0:1], v0
	global_store_b64 v[2:3], v[0:1], off
	flat_load_b64 v[0:1], v[4:5]
	s_waitcnt vmcnt(0) lgkmcnt(0)
	v_mul_f64 v[0:1], v[0:1], s[6:7]
	v_cvt_f32_f64_e32 v0, v[0:1]
.LBB158_215:
	s_delay_alu instid0(VALU_DEP_1) | instskip(SKIP_2) | instid1(VALU_DEP_3)
	v_dual_max_f32 v1, v118, v118 :: v_dual_max_f32 v0, v0, v0
	v_add_co_u32 v2, vcc_lo, v16, v14
	v_add_co_ci_u32_e32 v3, vcc_lo, v17, v15, vcc_lo
	v_min_f32_e32 v0, v0, v1
	s_delay_alu instid0(VALU_DEP_1)
	v_cvt_f64_f32_e32 v[0:1], v0
	global_store_b64 v[2:3], v[0:1], off
	s_endpgm
	.section	.rodata,"a",@progbits
	.p2align	6, 0x0
	.amdhsa_kernel _ZN12_GLOBAL__N_120geam_min_plus_kernelId15HIP_vector_typeIdLj2EEdLi32ELi8ELi256ELi64ELi4ELi64ELi4ELi4ELi64ELc78ELc78ELb0ELb0ELb1EdKddEEviiiT16_PT17_ilS6_ilS4_S6_ilPT18_ili26rocblas_geam_ex_operation_
		.amdhsa_group_segment_fixed_size 20480
		.amdhsa_private_segment_fixed_size 400
		.amdhsa_kernarg_size 136
		.amdhsa_user_sgpr_count 14
		.amdhsa_user_sgpr_dispatch_ptr 0
		.amdhsa_user_sgpr_queue_ptr 0
		.amdhsa_user_sgpr_kernarg_segment_ptr 1
		.amdhsa_user_sgpr_dispatch_id 0
		.amdhsa_user_sgpr_private_segment_size 0
		.amdhsa_wavefront_size32 1
		.amdhsa_uses_dynamic_stack 0
		.amdhsa_enable_private_segment 1
		.amdhsa_system_sgpr_workgroup_id_x 1
		.amdhsa_system_sgpr_workgroup_id_y 0
		.amdhsa_system_sgpr_workgroup_id_z 1
		.amdhsa_system_sgpr_workgroup_info 0
		.amdhsa_system_vgpr_workitem_id 1
		.amdhsa_next_free_vgpr 256
		.amdhsa_next_free_sgpr 26
		.amdhsa_reserve_vcc 1
		.amdhsa_float_round_mode_32 0
		.amdhsa_float_round_mode_16_64 0
		.amdhsa_float_denorm_mode_32 3
		.amdhsa_float_denorm_mode_16_64 3
		.amdhsa_dx10_clamp 1
		.amdhsa_ieee_mode 1
		.amdhsa_fp16_overflow 0
		.amdhsa_workgroup_processor_mode 1
		.amdhsa_memory_ordered 1
		.amdhsa_forward_progress 0
		.amdhsa_shared_vgpr_count 0
		.amdhsa_exception_fp_ieee_invalid_op 0
		.amdhsa_exception_fp_denorm_src 0
		.amdhsa_exception_fp_ieee_div_zero 0
		.amdhsa_exception_fp_ieee_overflow 0
		.amdhsa_exception_fp_ieee_underflow 0
		.amdhsa_exception_fp_ieee_inexact 0
		.amdhsa_exception_int_div_zero 0
	.end_amdhsa_kernel
	.section	.text._ZN12_GLOBAL__N_120geam_min_plus_kernelId15HIP_vector_typeIdLj2EEdLi32ELi8ELi256ELi64ELi4ELi64ELi4ELi4ELi64ELc78ELc78ELb0ELb0ELb1EdKddEEviiiT16_PT17_ilS6_ilS4_S6_ilPT18_ili26rocblas_geam_ex_operation_,"axG",@progbits,_ZN12_GLOBAL__N_120geam_min_plus_kernelId15HIP_vector_typeIdLj2EEdLi32ELi8ELi256ELi64ELi4ELi64ELi4ELi4ELi64ELc78ELc78ELb0ELb0ELb1EdKddEEviiiT16_PT17_ilS6_ilS4_S6_ilPT18_ili26rocblas_geam_ex_operation_,comdat
.Lfunc_end158:
	.size	_ZN12_GLOBAL__N_120geam_min_plus_kernelId15HIP_vector_typeIdLj2EEdLi32ELi8ELi256ELi64ELi4ELi64ELi4ELi4ELi64ELc78ELc78ELb0ELb0ELb1EdKddEEviiiT16_PT17_ilS6_ilS4_S6_ilPT18_ili26rocblas_geam_ex_operation_, .Lfunc_end158-_ZN12_GLOBAL__N_120geam_min_plus_kernelId15HIP_vector_typeIdLj2EEdLi32ELi8ELi256ELi64ELi4ELi64ELi4ELi4ELi64ELc78ELc78ELb0ELb0ELb1EdKddEEviiiT16_PT17_ilS6_ilS4_S6_ilPT18_ili26rocblas_geam_ex_operation_
                                        ; -- End function
	.section	.AMDGPU.csdata,"",@progbits
; Kernel info:
; codeLenInByte = 24228
; NumSgprs: 28
; NumVgprs: 256
; ScratchSize: 400
; MemoryBound: 1
; FloatMode: 240
; IeeeMode: 1
; LDSByteSize: 20480 bytes/workgroup (compile time only)
; SGPRBlocks: 3
; VGPRBlocks: 31
; NumSGPRsForWavesPerEU: 28
; NumVGPRsForWavesPerEU: 256
; Occupancy: 5
; WaveLimiterHint : 1
; COMPUTE_PGM_RSRC2:SCRATCH_EN: 1
; COMPUTE_PGM_RSRC2:USER_SGPR: 14
; COMPUTE_PGM_RSRC2:TRAP_HANDLER: 0
; COMPUTE_PGM_RSRC2:TGID_X_EN: 1
; COMPUTE_PGM_RSRC2:TGID_Y_EN: 0
; COMPUTE_PGM_RSRC2:TGID_Z_EN: 1
; COMPUTE_PGM_RSRC2:TIDIG_COMP_CNT: 1
	.section	.text._ZN12_GLOBAL__N_120geam_min_plus_kernelId15HIP_vector_typeIdLj2EEdLi32ELi8ELi256ELi64ELi4ELi64ELi4ELi4ELi64ELc78ELc78ELb0ELb1ELb1EPKdS3_dEEviiiT16_PT17_ilS7_ilS5_S7_ilPT18_ili26rocblas_geam_ex_operation_,"axG",@progbits,_ZN12_GLOBAL__N_120geam_min_plus_kernelId15HIP_vector_typeIdLj2EEdLi32ELi8ELi256ELi64ELi4ELi64ELi4ELi4ELi64ELc78ELc78ELb0ELb1ELb1EPKdS3_dEEviiiT16_PT17_ilS7_ilS5_S7_ilPT18_ili26rocblas_geam_ex_operation_,comdat
	.globl	_ZN12_GLOBAL__N_120geam_min_plus_kernelId15HIP_vector_typeIdLj2EEdLi32ELi8ELi256ELi64ELi4ELi64ELi4ELi4ELi64ELc78ELc78ELb0ELb1ELb1EPKdS3_dEEviiiT16_PT17_ilS7_ilS5_S7_ilPT18_ili26rocblas_geam_ex_operation_ ; -- Begin function _ZN12_GLOBAL__N_120geam_min_plus_kernelId15HIP_vector_typeIdLj2EEdLi32ELi8ELi256ELi64ELi4ELi64ELi4ELi4ELi64ELc78ELc78ELb0ELb1ELb1EPKdS3_dEEviiiT16_PT17_ilS7_ilS5_S7_ilPT18_ili26rocblas_geam_ex_operation_
	.p2align	8
	.type	_ZN12_GLOBAL__N_120geam_min_plus_kernelId15HIP_vector_typeIdLj2EEdLi32ELi8ELi256ELi64ELi4ELi64ELi4ELi4ELi64ELc78ELc78ELb0ELb1ELb1EPKdS3_dEEviiiT16_PT17_ilS7_ilS5_S7_ilPT18_ili26rocblas_geam_ex_operation_,@function
_ZN12_GLOBAL__N_120geam_min_plus_kernelId15HIP_vector_typeIdLj2EEdLi32ELi8ELi256ELi64ELi4ELi64ELi4ELi4ELi64ELc78ELc78ELb0ELb1ELb1EPKdS3_dEEviiiT16_PT17_ilS7_ilS5_S7_ilPT18_ili26rocblas_geam_ex_operation_: ; @_ZN12_GLOBAL__N_120geam_min_plus_kernelId15HIP_vector_typeIdLj2EEdLi32ELi8ELi256ELi64ELi4ELi64ELi4ELi4ELi64ELc78ELc78ELb0ELb1ELb1EPKdS3_dEEviiiT16_PT17_ilS7_ilS5_S7_ilPT18_ili26rocblas_geam_ex_operation_
; %bb.0:
	s_clause 0x1
	s_load_b128 s[8:11], s[0:1], 0x10
	s_load_b128 s[4:7], s[0:1], 0x28
	s_mov_b32 s22, s15
	s_mov_b32 s23, 0
	s_mov_b64 s[28:29], 0
	s_lshl_b64 s[12:13], s[22:23], 3
	s_mov_b64 s[26:27], 0
	s_waitcnt lgkmcnt(0)
	s_add_u32 s2, s8, s12
	s_addc_u32 s3, s9, s13
	s_load_b64 s[24:25], s[2:3], 0x0
	s_clause 0x1
	s_load_b128 s[16:19], s[0:1], 0x40
	s_load_b64 s[2:3], s[0:1], 0x50
	s_waitcnt lgkmcnt(0)
	s_add_u32 s8, s18, s12
	v_cmp_eq_f64_e64 s20, s[24:25], 0
	v_cmp_neq_f64_e64 s15, s[24:25], 0
	s_addc_u32 s9, s19, s13
	s_delay_alu instid0(VALU_DEP_2)
	s_and_b32 vcc_lo, exec_lo, s20
	s_cbranch_vccnz .LBB159_2
; %bb.1:
	s_mul_i32 s5, s22, s5
	s_mul_hi_u32 s12, s22, s4
	s_mul_i32 s4, s22, s4
	s_add_i32 s5, s12, s5
	s_delay_alu instid0(SALU_CYCLE_1) | instskip(NEXT) | instid1(SALU_CYCLE_1)
	s_lshl_b64 s[4:5], s[4:5], 3
	s_add_u32 s26, s10, s4
	s_addc_u32 s27, s11, s5
.LBB159_2:
	s_load_b64 s[12:13], s[8:9], 0x0
	s_delay_alu instid0(VALU_DEP_1)
	s_and_not1_b32 vcc_lo, exec_lo, s15
	s_cbranch_vccnz .LBB159_4
; %bb.3:
	s_mul_i32 s4, s22, s17
	s_mul_hi_u32 s5, s22, s16
	s_delay_alu instid0(SALU_CYCLE_1) | instskip(SKIP_1) | instid1(SALU_CYCLE_1)
	s_add_i32 s5, s5, s4
	s_mul_i32 s4, s22, s16
	s_lshl_b64 s[4:5], s[4:5], 3
	s_delay_alu instid0(SALU_CYCLE_1)
	s_add_u32 s28, s6, s4
	s_addc_u32 s29, s7, s5
.LBB159_4:
	s_waitcnt lgkmcnt(0)
	v_cmp_eq_f64_e64 s4, s[12:13], 0
	v_cmp_neq_f64_e64 s15, s[12:13], 0
	s_load_b128 s[8:11], s[0:1], 0x60
	s_mov_b64 s[20:21], 0
	s_delay_alu instid0(VALU_DEP_2)
	s_and_b32 vcc_lo, exec_lo, s4
	s_cbranch_vccnz .LBB159_6
; %bb.5:
	s_waitcnt lgkmcnt(0)
	s_mul_i32 s4, s22, s9
	s_mul_hi_u32 s5, s22, s8
	s_delay_alu instid0(SALU_CYCLE_1) | instskip(SKIP_1) | instid1(SALU_CYCLE_1)
	s_add_i32 s5, s5, s4
	s_mul_i32 s4, s22, s8
	s_lshl_b64 s[4:5], s[4:5], 3
	s_delay_alu instid0(SALU_CYCLE_1)
	s_add_u32 s20, s2, s4
	s_addc_u32 s21, s3, s5
.LBB159_6:
	s_load_b128 s[16:19], s[0:1], 0x0
	v_and_b32_e32 v121, 0x3ff, v0
	v_bfe_u32 v122, v0, 10, 10
	v_cmp_eq_f64_e64 s23, s[24:25], 0
	s_waitcnt lgkmcnt(0)
	s_load_b32 s19, s[0:1], 0x20
	s_delay_alu instid0(VALU_DEP_2) | instskip(NEXT) | instid1(VALU_DEP_1)
	v_lshl_add_u32 v8, v122, 5, v121
	v_lshrrev_b32_e32 v132, 6, v8
	v_and_b32_e32 v64, 63, v8
	s_add_i32 s2, s16, -1
	s_delay_alu instid0(VALU_DEP_2) | instskip(SKIP_1) | instid1(SALU_CYCLE_1)
	v_cmp_le_i32_e32 vcc_lo, s18, v132
	s_ashr_i32 s3, s2, 31
	s_lshr_b32 s3, s3, 24
	s_delay_alu instid0(SALU_CYCLE_1) | instskip(NEXT) | instid1(SALU_CYCLE_1)
	s_add_i32 s2, s2, s3
	s_ashr_i32 s2, s2, 8
	s_delay_alu instid0(SALU_CYCLE_1) | instskip(SKIP_2) | instid1(VALU_DEP_1)
	s_add_i32 s3, s2, 1
	s_not_b32 s2, s2
	v_cvt_f32_u32_e32 v1, s3
	v_rcp_iflag_f32_e32 v1, v1
	s_waitcnt_depctr 0xfff
	v_mul_f32_e32 v1, 0x4f7ffffe, v1
	s_delay_alu instid0(VALU_DEP_1) | instskip(NEXT) | instid1(VALU_DEP_1)
	v_cvt_u32_f32_e32 v1, v1
	v_readfirstlane_b32 s4, v1
	s_delay_alu instid0(VALU_DEP_1) | instskip(NEXT) | instid1(SALU_CYCLE_1)
	s_mul_i32 s2, s2, s4
	s_mul_hi_u32 s2, s4, s2
	s_delay_alu instid0(SALU_CYCLE_1) | instskip(NEXT) | instid1(SALU_CYCLE_1)
	s_add_i32 s4, s4, s2
	s_mul_hi_u32 s2, s14, s4
	s_delay_alu instid0(SALU_CYCLE_1) | instskip(SKIP_2) | instid1(SALU_CYCLE_1)
	s_mul_i32 s4, s2, s3
	s_add_i32 s5, s2, 1
	s_sub_i32 s4, s14, s4
	s_sub_i32 s6, s4, s3
	s_cmp_ge_u32 s4, s3
	s_cselect_b32 s2, s5, s2
	s_cselect_b32 s4, s6, s4
	s_add_i32 s5, s2, 1
	s_cmp_ge_u32 s4, s3
	s_cselect_b32 s6, s5, s2
	s_add_i32 s30, s18, -1
	s_mul_i32 s2, s6, s3
	v_min_i32_e32 v2, s30, v132
	s_sub_i32 s2, s14, s2
	s_delay_alu instid0(SALU_CYCLE_1) | instskip(SKIP_1) | instid1(VALU_DEP_1)
	s_lshl_b32 s8, s2, 8
	s_waitcnt lgkmcnt(0)
	v_mad_i64_i32 v[0:1], null, s19, v2, 0
	v_or_b32_e32 v52, s8, v64
	s_delay_alu instid0(VALU_DEP_1) | instskip(NEXT) | instid1(VALU_DEP_3)
	v_cmp_le_i32_e64 s2, s16, v52
	v_lshlrev_b64 v[2:3], 3, v[0:1]
	v_ashrrev_i32_e32 v53, 31, v52
	s_delay_alu instid0(VALU_DEP_3) | instskip(NEXT) | instid1(VALU_DEP_2)
	s_or_b32 s4, s2, vcc_lo
	v_add_co_u32 v9, s3, s26, v2
	v_cndmask_b32_e64 v1, 0, 0x7fefffff, s4
	v_cndmask_b32_e64 v0, 0, -1, s4
	v_add_co_ci_u32_e64 v10, s3, s27, v3, s3
	s_or_b32 s3, s23, s4
	s_delay_alu instid0(SALU_CYCLE_1) | instskip(NEXT) | instid1(SALU_CYCLE_1)
	s_xor_b32 s3, s3, -1
	s_and_saveexec_b32 s4, s3
	s_cbranch_execz .LBB159_8
; %bb.7:
	v_lshlrev_b64 v[0:1], 3, v[52:53]
	s_delay_alu instid0(VALU_DEP_1) | instskip(NEXT) | instid1(VALU_DEP_1)
	v_add_co_u32 v0, s3, v9, v0
	v_add_co_ci_u32_e64 v1, s3, v10, v1, s3
	flat_load_b64 v[0:1], v[0:1]
	s_waitcnt vmcnt(0) lgkmcnt(0)
	v_mul_f64 v[0:1], s[24:25], v[0:1]
.LBB159_8:
	s_or_b32 exec_lo, exec_lo, s4
	v_or_b32_e32 v2, 64, v52
	s_delay_alu instid0(VALU_DEP_1) | instskip(NEXT) | instid1(VALU_DEP_1)
	v_cmp_le_i32_e64 s3, s16, v2
	s_or_b32 s4, s3, vcc_lo
	s_delay_alu instid0(SALU_CYCLE_1) | instskip(SKIP_2) | instid1(SALU_CYCLE_1)
	v_cndmask_b32_e64 v3, 0, 0x7fefffff, s4
	v_cndmask_b32_e64 v2, 0, -1, s4
	s_or_b32 s4, s23, s4
	s_xor_b32 s4, s4, -1
	s_delay_alu instid0(SALU_CYCLE_1)
	s_and_saveexec_b32 s5, s4
	s_cbranch_execz .LBB159_10
; %bb.9:
	v_lshlrev_b64 v[2:3], 3, v[52:53]
	s_delay_alu instid0(VALU_DEP_1) | instskip(NEXT) | instid1(VALU_DEP_1)
	v_add_co_u32 v2, s4, v9, v2
	v_add_co_ci_u32_e64 v3, s4, v10, v3, s4
	flat_load_b64 v[2:3], v[2:3] offset:512
	s_waitcnt vmcnt(0) lgkmcnt(0)
	v_mul_f64 v[2:3], s[24:25], v[2:3]
.LBB159_10:
	s_or_b32 exec_lo, exec_lo, s5
	v_or_b32_e32 v4, 0x80, v52
	s_delay_alu instid0(VALU_DEP_1) | instskip(NEXT) | instid1(VALU_DEP_1)
	v_cmp_le_i32_e64 s4, s16, v4
	s_or_b32 s5, s4, vcc_lo
	s_delay_alu instid0(SALU_CYCLE_1) | instskip(SKIP_2) | instid1(SALU_CYCLE_1)
	v_cndmask_b32_e64 v5, 0, 0x7fefffff, s5
	v_cndmask_b32_e64 v4, 0, -1, s5
	s_or_b32 s5, s23, s5
	s_xor_b32 s5, s5, -1
	s_delay_alu instid0(SALU_CYCLE_1)
	s_and_saveexec_b32 s7, s5
	s_cbranch_execz .LBB159_12
; %bb.11:
	v_lshlrev_b64 v[4:5], 3, v[52:53]
	s_delay_alu instid0(VALU_DEP_1) | instskip(NEXT) | instid1(VALU_DEP_1)
	v_add_co_u32 v4, s5, v9, v4
	v_add_co_ci_u32_e64 v5, s5, v10, v5, s5
	flat_load_b64 v[4:5], v[4:5] offset:1024
	s_waitcnt vmcnt(0) lgkmcnt(0)
	v_mul_f64 v[4:5], s[24:25], v[4:5]
.LBB159_12:
	s_or_b32 exec_lo, exec_lo, s7
	v_or_b32_e32 v6, 0xc0, v52
	s_delay_alu instid0(VALU_DEP_1) | instskip(NEXT) | instid1(VALU_DEP_1)
	v_cmp_le_i32_e64 s5, s16, v6
	s_or_b32 s7, s5, vcc_lo
	s_delay_alu instid0(SALU_CYCLE_1) | instskip(SKIP_2) | instid1(SALU_CYCLE_1)
	v_cndmask_b32_e64 v7, 0, 0x7fefffff, s7
	v_cndmask_b32_e64 v6, 0, -1, s7
	s_or_b32 s7, s23, s7
	s_xor_b32 s9, s7, -1
	s_delay_alu instid0(SALU_CYCLE_1)
	s_and_saveexec_b32 s7, s9
	s_cbranch_execz .LBB159_14
; %bb.13:
	v_lshlrev_b64 v[6:7], 3, v[52:53]
	s_delay_alu instid0(VALU_DEP_1) | instskip(NEXT) | instid1(VALU_DEP_2)
	v_add_co_u32 v6, vcc_lo, v9, v6
	v_add_co_ci_u32_e32 v7, vcc_lo, v10, v7, vcc_lo
	flat_load_b64 v[6:7], v[6:7] offset:1536
	s_waitcnt vmcnt(0) lgkmcnt(0)
	v_mul_f64 v[6:7], s[24:25], v[6:7]
.LBB159_14:
	s_or_b32 exec_lo, exec_lo, s7
	v_lshrrev_b32_e32 v10, 2, v8
	s_load_b32 s31, s[0:1], 0x38
	s_lshl_b32 s9, s6, 6
	v_and_b32_e32 v133, 3, v121
	s_delay_alu instid0(VALU_DEP_2) | instskip(NEXT) | instid1(VALU_DEP_2)
	v_add_nc_u32_e32 v65, s9, v10
	v_cmp_le_i32_e32 vcc_lo, s18, v133
	s_delay_alu instid0(VALU_DEP_2) | instskip(NEXT) | instid1(VALU_DEP_1)
	v_cmp_le_i32_e64 s6, s17, v65
	s_or_b32 s7, vcc_lo, s6
	s_delay_alu instid0(SALU_CYCLE_1) | instskip(SKIP_2) | instid1(SALU_CYCLE_1)
	v_cndmask_b32_e64 v9, 0, 0x7fefffff, s7
	v_cndmask_b32_e64 v8, 0, -1, s7
	s_or_b32 s7, s23, s7
	s_xor_b32 s14, s7, -1
	s_delay_alu instid0(SALU_CYCLE_1)
	s_and_saveexec_b32 s7, s14
	s_cbranch_execz .LBB159_16
; %bb.15:
	s_waitcnt lgkmcnt(0)
	v_mad_i64_i32 v[8:9], null, v65, s31, 0
	v_min_u32_e32 v11, s30, v133
	s_delay_alu instid0(VALU_DEP_1) | instskip(NEXT) | instid1(VALU_DEP_3)
	v_lshlrev_b32_e32 v11, 3, v11
	v_lshlrev_b64 v[8:9], 3, v[8:9]
	s_delay_alu instid0(VALU_DEP_1) | instskip(NEXT) | instid1(VALU_DEP_2)
	v_add_co_u32 v8, vcc_lo, s28, v8
	v_add_co_ci_u32_e32 v9, vcc_lo, s29, v9, vcc_lo
	s_delay_alu instid0(VALU_DEP_2) | instskip(NEXT) | instid1(VALU_DEP_2)
	v_add_co_u32 v8, vcc_lo, v8, v11
	v_add_co_ci_u32_e32 v9, vcc_lo, 0, v9, vcc_lo
	flat_load_b64 v[8:9], v[8:9]
	s_waitcnt vmcnt(0) lgkmcnt(0)
	v_mul_f64 v[8:9], s[24:25], v[8:9]
.LBB159_16:
	s_or_b32 exec_lo, exec_lo, s7
	v_add_nc_u32_e32 v13, 4, v132
	s_delay_alu instid0(VALU_DEP_1) | instskip(SKIP_1) | instid1(VALU_DEP_2)
	v_min_i32_e32 v14, s30, v13
	v_cmp_le_i32_e32 vcc_lo, s18, v13
	v_mad_i64_i32 v[11:12], null, s19, v14, 0
	s_or_b32 s14, s2, vcc_lo
	s_delay_alu instid0(SALU_CYCLE_1) | instskip(SKIP_1) | instid1(VALU_DEP_3)
	v_cndmask_b32_e64 v55, 0, 0x7fefffff, s14
	v_cndmask_b32_e64 v54, 0, -1, s14
	v_lshlrev_b64 v[11:12], 3, v[11:12]
	s_delay_alu instid0(VALU_DEP_1) | instskip(NEXT) | instid1(VALU_DEP_1)
	v_add_co_u32 v11, s7, s26, v11
	v_add_co_ci_u32_e64 v12, s7, s27, v12, s7
	s_or_b32 s7, s23, s14
	s_delay_alu instid0(SALU_CYCLE_1) | instskip(NEXT) | instid1(SALU_CYCLE_1)
	s_xor_b32 s7, s7, -1
	s_and_saveexec_b32 s14, s7
	s_cbranch_execz .LBB159_18
; %bb.17:
	v_lshlrev_b64 v[13:14], 3, v[52:53]
	s_delay_alu instid0(VALU_DEP_1) | instskip(NEXT) | instid1(VALU_DEP_1)
	v_add_co_u32 v13, s7, v11, v13
	v_add_co_ci_u32_e64 v14, s7, v12, v14, s7
	flat_load_b64 v[13:14], v[13:14]
	s_waitcnt vmcnt(0) lgkmcnt(0)
	v_mul_f64 v[54:55], s[24:25], v[13:14]
.LBB159_18:
	s_or_b32 exec_lo, exec_lo, s14
	s_or_b32 s7, s3, vcc_lo
	s_delay_alu instid0(SALU_CYCLE_1) | instskip(SKIP_2) | instid1(SALU_CYCLE_1)
	v_cndmask_b32_e64 v57, 0, 0x7fefffff, s7
	v_cndmask_b32_e64 v56, 0, -1, s7
	s_or_b32 s7, s23, s7
	s_xor_b32 s7, s7, -1
	s_delay_alu instid0(SALU_CYCLE_1)
	s_and_saveexec_b32 s14, s7
	s_cbranch_execz .LBB159_20
; %bb.19:
	v_lshlrev_b64 v[13:14], 3, v[52:53]
	s_delay_alu instid0(VALU_DEP_1) | instskip(NEXT) | instid1(VALU_DEP_1)
	v_add_co_u32 v13, s7, v11, v13
	v_add_co_ci_u32_e64 v14, s7, v12, v14, s7
	flat_load_b64 v[13:14], v[13:14] offset:512
	s_waitcnt vmcnt(0) lgkmcnt(0)
	v_mul_f64 v[56:57], s[24:25], v[13:14]
.LBB159_20:
	s_or_b32 exec_lo, exec_lo, s14
	s_or_b32 s7, s4, vcc_lo
	s_delay_alu instid0(SALU_CYCLE_1) | instskip(SKIP_2) | instid1(SALU_CYCLE_1)
	v_cndmask_b32_e64 v59, 0, 0x7fefffff, s7
	v_cndmask_b32_e64 v58, 0, -1, s7
	s_or_b32 s7, s23, s7
	s_xor_b32 s7, s7, -1
	s_delay_alu instid0(SALU_CYCLE_1)
	s_and_saveexec_b32 s14, s7
	s_cbranch_execz .LBB159_22
; %bb.21:
	v_lshlrev_b64 v[13:14], 3, v[52:53]
	s_delay_alu instid0(VALU_DEP_1) | instskip(NEXT) | instid1(VALU_DEP_1)
	v_add_co_u32 v13, s7, v11, v13
	v_add_co_ci_u32_e64 v14, s7, v12, v14, s7
	flat_load_b64 v[13:14], v[13:14] offset:1024
	s_waitcnt vmcnt(0) lgkmcnt(0)
	v_mul_f64 v[58:59], s[24:25], v[13:14]
.LBB159_22:
	s_or_b32 exec_lo, exec_lo, s14
	s_or_b32 s7, s5, vcc_lo
	s_delay_alu instid0(SALU_CYCLE_1) | instskip(SKIP_2) | instid1(SALU_CYCLE_1)
	v_cndmask_b32_e64 v61, 0, 0x7fefffff, s7
	v_cndmask_b32_e64 v60, 0, -1, s7
	s_or_b32 s7, s23, s7
	s_xor_b32 s14, s7, -1
	s_delay_alu instid0(SALU_CYCLE_1)
	s_and_saveexec_b32 s7, s14
	s_cbranch_execz .LBB159_24
; %bb.23:
	v_lshlrev_b64 v[13:14], 3, v[52:53]
	s_delay_alu instid0(VALU_DEP_1) | instskip(NEXT) | instid1(VALU_DEP_2)
	v_add_co_u32 v11, vcc_lo, v11, v13
	v_add_co_ci_u32_e32 v12, vcc_lo, v12, v14, vcc_lo
	flat_load_b64 v[11:12], v[11:12] offset:1536
	s_waitcnt vmcnt(0) lgkmcnt(0)
	v_mul_f64 v[60:61], s[24:25], v[11:12]
.LBB159_24:
	s_or_b32 exec_lo, exec_lo, s7
	v_or_b32_e32 v11, 4, v133
	s_delay_alu instid0(VALU_DEP_1) | instskip(SKIP_1) | instid1(SALU_CYCLE_1)
	v_cmp_le_i32_e32 vcc_lo, s18, v11
	s_or_b32 s7, vcc_lo, s6
	v_cndmask_b32_e64 v63, 0, 0x7fefffff, s7
	v_cndmask_b32_e64 v62, 0, -1, s7
	s_or_b32 s14, s23, s7
	s_mov_b32 s7, -1
	s_xor_b32 s33, s14, -1
	s_delay_alu instid0(SALU_CYCLE_1)
	s_and_saveexec_b32 s14, s33
	s_cbranch_execz .LBB159_26
; %bb.25:
	s_waitcnt lgkmcnt(0)
	v_mad_i64_i32 v[12:13], null, v65, s31, 0
	v_min_u32_e32 v14, s30, v11
	s_delay_alu instid0(VALU_DEP_2) | instskip(NEXT) | instid1(VALU_DEP_2)
	v_lshlrev_b64 v[11:12], 3, v[12:13]
	v_lshlrev_b32_e32 v13, 3, v14
	s_delay_alu instid0(VALU_DEP_2) | instskip(NEXT) | instid1(VALU_DEP_3)
	v_add_co_u32 v11, vcc_lo, s28, v11
	v_add_co_ci_u32_e32 v12, vcc_lo, s29, v12, vcc_lo
	s_delay_alu instid0(VALU_DEP_2) | instskip(NEXT) | instid1(VALU_DEP_2)
	v_add_co_u32 v11, vcc_lo, v11, v13
	v_add_co_ci_u32_e32 v12, vcc_lo, 0, v12, vcc_lo
	flat_load_b64 v[11:12], v[11:12]
	s_waitcnt vmcnt(0) lgkmcnt(0)
	v_mul_f64 v[62:63], s[24:25], v[11:12]
.LBB159_26:
	s_or_b32 exec_lo, exec_lo, s14
	v_dual_mov_b32 v67, 0x7f800000 :: v_dual_lshlrev_b32 v12, 3, v133
	v_dual_mov_b32 v66, 0x7f800000 :: v_dual_lshlrev_b32 v11, 3, v132
	v_dual_mov_b32 v68, 0x7f800000 :: v_dual_mov_b32 v69, 0x7f800000
	s_delay_alu instid0(VALU_DEP_3) | instskip(NEXT) | instid1(VALU_DEP_3)
	v_lshl_or_b32 v137, v10, 5, v12
	v_lshl_add_u32 v134, v64, 5, v11
	v_dual_mov_b32 v70, 0x7f800000 :: v_dual_mov_b32 v71, 0x7f800000
	v_dual_mov_b32 v72, 0x7f800000 :: v_dual_mov_b32 v73, 0x7f800000
	s_delay_alu instid0(VALU_DEP_4)
	v_add_nc_u32_e32 v135, 0x4000, v137
	v_dual_mov_b32 v74, 0x7f800000 :: v_dual_mov_b32 v75, 0x7f800000
	v_dual_mov_b32 v76, 0x7f800000 :: v_dual_mov_b32 v77, 0x7f800000
	;; [unrolled: 1-line block ×28, first 2 shown]
	s_mov_b32 s14, 0
	ds_store_2addr_stride64_b64 v134, v[0:1], v[2:3] offset1:4
	ds_store_2addr_stride64_b64 v134, v[4:5], v[6:7] offset0:8 offset1:12
	ds_store_b64 v137, v[8:9] offset:16384
	s_waitcnt lgkmcnt(0)
	s_barrier
	buffer_gl0_inv
.LBB159_27:                             ; =>This Inner Loop Header: Depth=1
	s_lshl_b32 s14, s14, 3
	s_and_not1_b32 vcc_lo, exec_lo, s7
	v_lshl_add_u32 v0, v121, 5, s14
	v_lshl_add_u32 v16, v122, 5, s14
	s_mov_b32 s14, 2
	s_mov_b32 s7, 0
	ds_load_b128 v[32:35], v0
	ds_load_b128 v[28:31], v0 offset:1024
	ds_load_b128 v[24:27], v0 offset:2048
	;; [unrolled: 1-line block ×15, first 2 shown]
	s_waitcnt lgkmcnt(7)
	v_add_f64 v[150:151], v[34:35], v[140:141]
	v_add_f64 v[152:153], v[32:33], v[138:139]
	s_delay_alu instid0(VALU_DEP_2) | instskip(NEXT) | instid1(VALU_DEP_2)
	v_cvt_f32_f64_e32 v150, v[150:151]
	v_cvt_f32_f64_e32 v136, v[152:153]
	v_add_f64 v[152:153], v[28:29], v[138:139]
	s_delay_alu instid0(VALU_DEP_2) | instskip(SKIP_1) | instid1(VALU_DEP_3)
	v_min3_f32 v131, v136, v150, v131
	v_add_f64 v[150:151], v[30:31], v[140:141]
	v_cvt_f32_f64_e32 v136, v[152:153]
	v_add_f64 v[152:153], v[24:25], v[138:139]
	s_delay_alu instid0(VALU_DEP_3) | instskip(NEXT) | instid1(VALU_DEP_1)
	v_cvt_f32_f64_e32 v150, v[150:151]
	v_min3_f32 v130, v136, v150, v130
	v_add_f64 v[150:151], v[26:27], v[140:141]
	s_delay_alu instid0(VALU_DEP_4) | instskip(SKIP_1) | instid1(VALU_DEP_3)
	v_cvt_f32_f64_e32 v136, v[152:153]
	v_add_f64 v[152:153], v[20:21], v[138:139]
	v_cvt_f32_f64_e32 v150, v[150:151]
	s_delay_alu instid0(VALU_DEP_1) | instskip(SKIP_1) | instid1(VALU_DEP_4)
	v_min3_f32 v129, v136, v150, v129
	v_add_f64 v[150:151], v[22:23], v[140:141]
	v_cvt_f32_f64_e32 v136, v[152:153]
	v_add_f64 v[152:153], v[12:13], v[138:139]
	s_delay_alu instid0(VALU_DEP_3) | instskip(NEXT) | instid1(VALU_DEP_1)
	v_cvt_f32_f64_e32 v150, v[150:151]
	v_min3_f32 v128, v136, v150, v128
	v_add_f64 v[150:151], v[14:15], v[140:141]
	s_delay_alu instid0(VALU_DEP_4) | instskip(SKIP_1) | instid1(VALU_DEP_3)
	v_cvt_f32_f64_e32 v136, v[152:153]
	v_add_f64 v[152:153], v[8:9], v[138:139]
	v_cvt_f32_f64_e32 v150, v[150:151]
	s_delay_alu instid0(VALU_DEP_1) | instskip(SKIP_1) | instid1(VALU_DEP_4)
	v_min3_f32 v127, v136, v150, v127
	v_add_f64 v[150:151], v[10:11], v[140:141]
	v_cvt_f32_f64_e32 v136, v[152:153]
	v_add_f64 v[152:153], v[4:5], v[138:139]
	v_add_f64 v[138:139], v[0:1], v[138:139]
	s_delay_alu instid0(VALU_DEP_4) | instskip(NEXT) | instid1(VALU_DEP_1)
	v_cvt_f32_f64_e32 v150, v[150:151]
	v_min3_f32 v126, v136, v150, v126
	v_add_f64 v[150:151], v[6:7], v[140:141]
	v_cvt_f32_f64_e32 v136, v[152:153]
	v_add_f64 v[140:141], v[2:3], v[140:141]
	s_delay_alu instid0(VALU_DEP_3) | instskip(NEXT) | instid1(VALU_DEP_1)
	v_cvt_f32_f64_e32 v150, v[150:151]
	v_min3_f32 v125, v136, v150, v125
	v_cvt_f32_f64_e32 v136, v[138:139]
	s_delay_alu instid0(VALU_DEP_4) | instskip(SKIP_2) | instid1(VALU_DEP_2)
	v_cvt_f32_f64_e32 v138, v[140:141]
	s_waitcnt lgkmcnt(6)
	v_add_f64 v[140:141], v[32:33], v[142:143]
	v_min3_f32 v124, v136, v138, v124
	v_add_f64 v[138:139], v[34:35], v[144:145]
	s_delay_alu instid0(VALU_DEP_3) | instskip(SKIP_1) | instid1(VALU_DEP_3)
	v_cvt_f32_f64_e32 v136, v[140:141]
	v_add_f64 v[140:141], v[28:29], v[142:143]
	v_cvt_f32_f64_e32 v138, v[138:139]
	s_delay_alu instid0(VALU_DEP_1) | instskip(SKIP_1) | instid1(VALU_DEP_4)
	v_min3_f32 v123, v136, v138, v123
	v_add_f64 v[138:139], v[30:31], v[144:145]
	v_cvt_f32_f64_e32 v136, v[140:141]
	v_add_f64 v[140:141], v[24:25], v[142:143]
	s_delay_alu instid0(VALU_DEP_3) | instskip(NEXT) | instid1(VALU_DEP_1)
	v_cvt_f32_f64_e32 v138, v[138:139]
	v_min3_f32 v120, v136, v138, v120
	v_add_f64 v[138:139], v[26:27], v[144:145]
	s_delay_alu instid0(VALU_DEP_4) | instskip(SKIP_1) | instid1(VALU_DEP_3)
	v_cvt_f32_f64_e32 v136, v[140:141]
	v_add_f64 v[140:141], v[20:21], v[142:143]
	v_cvt_f32_f64_e32 v138, v[138:139]
	s_delay_alu instid0(VALU_DEP_1) | instskip(SKIP_1) | instid1(VALU_DEP_4)
	v_min3_f32 v119, v136, v138, v119
	v_add_f64 v[138:139], v[22:23], v[144:145]
	v_cvt_f32_f64_e32 v136, v[140:141]
	v_add_f64 v[140:141], v[12:13], v[142:143]
	s_delay_alu instid0(VALU_DEP_3) | instskip(NEXT) | instid1(VALU_DEP_1)
	v_cvt_f32_f64_e32 v138, v[138:139]
	v_min3_f32 v118, v136, v138, v118
	v_add_f64 v[138:139], v[14:15], v[144:145]
	s_delay_alu instid0(VALU_DEP_4) | instskip(SKIP_1) | instid1(VALU_DEP_3)
	;; [unrolled: 13-line block ×3, first 2 shown]
	v_cvt_f32_f64_e32 v136, v[140:141]
	v_add_f64 v[140:141], v[0:1], v[142:143]
	v_cvt_f32_f64_e32 v138, v[138:139]
	s_delay_alu instid0(VALU_DEP_1) | instskip(SKIP_1) | instid1(VALU_DEP_4)
	v_min3_f32 v115, v136, v138, v115
	v_add_f64 v[138:139], v[2:3], v[144:145]
	v_cvt_f32_f64_e32 v136, v[140:141]
	s_waitcnt lgkmcnt(5)
	v_add_f64 v[140:141], v[32:33], v[146:147]
	s_delay_alu instid0(VALU_DEP_3) | instskip(NEXT) | instid1(VALU_DEP_1)
	v_cvt_f32_f64_e32 v138, v[138:139]
	v_min3_f32 v114, v136, v138, v114
	v_add_f64 v[138:139], v[34:35], v[148:149]
	s_delay_alu instid0(VALU_DEP_4) | instskip(SKIP_1) | instid1(VALU_DEP_3)
	v_cvt_f32_f64_e32 v136, v[140:141]
	v_add_f64 v[140:141], v[28:29], v[146:147]
	v_cvt_f32_f64_e32 v138, v[138:139]
	s_delay_alu instid0(VALU_DEP_1) | instskip(SKIP_1) | instid1(VALU_DEP_4)
	v_min3_f32 v113, v136, v138, v113
	v_add_f64 v[138:139], v[30:31], v[148:149]
	v_cvt_f32_f64_e32 v136, v[140:141]
	v_add_f64 v[140:141], v[24:25], v[146:147]
	s_delay_alu instid0(VALU_DEP_3) | instskip(NEXT) | instid1(VALU_DEP_1)
	v_cvt_f32_f64_e32 v138, v[138:139]
	v_min3_f32 v112, v136, v138, v112
	v_add_f64 v[138:139], v[26:27], v[148:149]
	s_delay_alu instid0(VALU_DEP_4) | instskip(SKIP_1) | instid1(VALU_DEP_3)
	v_cvt_f32_f64_e32 v136, v[140:141]
	v_add_f64 v[140:141], v[20:21], v[146:147]
	v_cvt_f32_f64_e32 v138, v[138:139]
	s_delay_alu instid0(VALU_DEP_1) | instskip(SKIP_1) | instid1(VALU_DEP_4)
	v_min3_f32 v111, v136, v138, v111
	v_add_f64 v[138:139], v[22:23], v[148:149]
	v_cvt_f32_f64_e32 v136, v[140:141]
	;; [unrolled: 13-line block ×4, first 2 shown]
	s_waitcnt lgkmcnt(4)
	v_add_f64 v[140:141], v[32:33], v[48:49]
	s_delay_alu instid0(VALU_DEP_3) | instskip(NEXT) | instid1(VALU_DEP_1)
	v_cvt_f32_f64_e32 v138, v[138:139]
	v_min3_f32 v106, v136, v138, v106
	v_add_f64 v[138:139], v[34:35], v[50:51]
	s_delay_alu instid0(VALU_DEP_4) | instskip(SKIP_1) | instid1(VALU_DEP_3)
	v_cvt_f32_f64_e32 v136, v[140:141]
	v_add_f64 v[140:141], v[28:29], v[48:49]
	v_cvt_f32_f64_e32 v138, v[138:139]
	s_delay_alu instid0(VALU_DEP_1) | instskip(SKIP_1) | instid1(VALU_DEP_4)
	v_min3_f32 v105, v136, v138, v105
	v_add_f64 v[138:139], v[30:31], v[50:51]
	v_cvt_f32_f64_e32 v136, v[140:141]
	v_add_f64 v[140:141], v[24:25], v[48:49]
	s_delay_alu instid0(VALU_DEP_3) | instskip(NEXT) | instid1(VALU_DEP_1)
	v_cvt_f32_f64_e32 v138, v[138:139]
	v_min3_f32 v104, v136, v138, v104
	v_add_f64 v[138:139], v[26:27], v[50:51]
	s_delay_alu instid0(VALU_DEP_4) | instskip(SKIP_1) | instid1(VALU_DEP_3)
	v_cvt_f32_f64_e32 v136, v[140:141]
	v_add_f64 v[140:141], v[20:21], v[48:49]
	v_cvt_f32_f64_e32 v138, v[138:139]
	s_delay_alu instid0(VALU_DEP_1) | instskip(SKIP_1) | instid1(VALU_DEP_4)
	v_min3_f32 v103, v136, v138, v103
	v_add_f64 v[138:139], v[22:23], v[50:51]
	v_cvt_f32_f64_e32 v136, v[140:141]
	;; [unrolled: 13-line block ×3, first 2 shown]
	v_add_f64 v[140:141], v[4:5], v[48:49]
	v_add_f64 v[48:49], v[0:1], v[48:49]
	s_delay_alu instid0(VALU_DEP_4) | instskip(NEXT) | instid1(VALU_DEP_2)
	v_cvt_f32_f64_e32 v138, v[138:139]
	v_cvt_f32_f64_e32 v48, v[48:49]
	s_delay_alu instid0(VALU_DEP_2) | instskip(SKIP_3) | instid1(VALU_DEP_3)
	v_min3_f32 v100, v136, v138, v100
	v_add_f64 v[138:139], v[6:7], v[50:51]
	v_add_f64 v[50:51], v[2:3], v[50:51]
	v_cvt_f32_f64_e32 v136, v[140:141]
	v_cvt_f32_f64_e32 v138, v[138:139]
	s_delay_alu instid0(VALU_DEP_3) | instskip(SKIP_2) | instid1(VALU_DEP_3)
	v_cvt_f32_f64_e32 v49, v[50:51]
	s_waitcnt lgkmcnt(3)
	v_add_f64 v[50:51], v[32:33], v[44:45]
	v_min3_f32 v99, v136, v138, v99
	s_delay_alu instid0(VALU_DEP_3) | instskip(SKIP_1) | instid1(VALU_DEP_4)
	v_min3_f32 v98, v48, v49, v98
	v_add_f64 v[48:49], v[34:35], v[46:47]
	v_cvt_f32_f64_e32 v50, v[50:51]
	s_delay_alu instid0(VALU_DEP_2) | instskip(NEXT) | instid1(VALU_DEP_1)
	v_cvt_f32_f64_e32 v48, v[48:49]
	v_min3_f32 v97, v50, v48, v97
	v_add_f64 v[48:49], v[30:31], v[46:47]
	v_add_f64 v[50:51], v[28:29], v[44:45]
	s_delay_alu instid0(VALU_DEP_2) | instskip(NEXT) | instid1(VALU_DEP_2)
	v_cvt_f32_f64_e32 v48, v[48:49]
	v_cvt_f32_f64_e32 v50, v[50:51]
	s_delay_alu instid0(VALU_DEP_1) | instskip(SKIP_2) | instid1(VALU_DEP_2)
	v_min3_f32 v96, v50, v48, v96
	v_add_f64 v[48:49], v[26:27], v[46:47]
	v_add_f64 v[50:51], v[24:25], v[44:45]
	v_cvt_f32_f64_e32 v48, v[48:49]
	s_delay_alu instid0(VALU_DEP_2) | instskip(NEXT) | instid1(VALU_DEP_1)
	v_cvt_f32_f64_e32 v50, v[50:51]
	v_min3_f32 v95, v50, v48, v95
	v_add_f64 v[48:49], v[22:23], v[46:47]
	v_add_f64 v[50:51], v[20:21], v[44:45]
	s_delay_alu instid0(VALU_DEP_2) | instskip(NEXT) | instid1(VALU_DEP_2)
	v_cvt_f32_f64_e32 v48, v[48:49]
	v_cvt_f32_f64_e32 v50, v[50:51]
	s_delay_alu instid0(VALU_DEP_1) | instskip(SKIP_2) | instid1(VALU_DEP_2)
	v_min3_f32 v94, v50, v48, v94
	v_add_f64 v[48:49], v[14:15], v[46:47]
	v_add_f64 v[50:51], v[12:13], v[44:45]
	v_cvt_f32_f64_e32 v48, v[48:49]
	s_delay_alu instid0(VALU_DEP_2) | instskip(NEXT) | instid1(VALU_DEP_1)
	v_cvt_f32_f64_e32 v50, v[50:51]
	v_min3_f32 v93, v50, v48, v93
	v_add_f64 v[48:49], v[10:11], v[46:47]
	v_add_f64 v[50:51], v[8:9], v[44:45]
	s_delay_alu instid0(VALU_DEP_2) | instskip(NEXT) | instid1(VALU_DEP_2)
	v_cvt_f32_f64_e32 v48, v[48:49]
	v_cvt_f32_f64_e32 v50, v[50:51]
	s_delay_alu instid0(VALU_DEP_1) | instskip(SKIP_4) | instid1(VALU_DEP_4)
	v_min3_f32 v92, v50, v48, v92
	v_add_f64 v[48:49], v[6:7], v[46:47]
	v_add_f64 v[50:51], v[4:5], v[44:45]
	;; [unrolled: 1-line block ×4, first 2 shown]
	v_cvt_f32_f64_e32 v48, v[48:49]
	s_delay_alu instid0(VALU_DEP_4) | instskip(NEXT) | instid1(VALU_DEP_3)
	v_cvt_f32_f64_e32 v50, v[50:51]
	v_cvt_f32_f64_e32 v44, v[44:45]
	;; [unrolled: 1-line block ×3, first 2 shown]
	s_waitcnt lgkmcnt(2)
	v_add_f64 v[46:47], v[32:33], v[40:41]
	s_delay_alu instid0(VALU_DEP_4) | instskip(NEXT) | instid1(VALU_DEP_3)
	v_min3_f32 v91, v50, v48, v91
	v_min3_f32 v90, v44, v45, v90
	v_add_f64 v[44:45], v[34:35], v[42:43]
	s_delay_alu instid0(VALU_DEP_4) | instskip(NEXT) | instid1(VALU_DEP_2)
	v_cvt_f32_f64_e32 v46, v[46:47]
	v_cvt_f32_f64_e32 v44, v[44:45]
	s_delay_alu instid0(VALU_DEP_1) | instskip(SKIP_2) | instid1(VALU_DEP_2)
	v_min3_f32 v89, v46, v44, v89
	v_add_f64 v[44:45], v[30:31], v[42:43]
	v_add_f64 v[46:47], v[28:29], v[40:41]
	v_cvt_f32_f64_e32 v44, v[44:45]
	s_delay_alu instid0(VALU_DEP_2) | instskip(NEXT) | instid1(VALU_DEP_1)
	v_cvt_f32_f64_e32 v46, v[46:47]
	v_min3_f32 v88, v46, v44, v88
	v_add_f64 v[44:45], v[26:27], v[42:43]
	v_add_f64 v[46:47], v[24:25], v[40:41]
	s_delay_alu instid0(VALU_DEP_2) | instskip(NEXT) | instid1(VALU_DEP_2)
	v_cvt_f32_f64_e32 v44, v[44:45]
	v_cvt_f32_f64_e32 v46, v[46:47]
	s_delay_alu instid0(VALU_DEP_1) | instskip(SKIP_2) | instid1(VALU_DEP_2)
	v_min3_f32 v87, v46, v44, v87
	v_add_f64 v[44:45], v[22:23], v[42:43]
	v_add_f64 v[46:47], v[20:21], v[40:41]
	v_cvt_f32_f64_e32 v44, v[44:45]
	s_delay_alu instid0(VALU_DEP_2) | instskip(NEXT) | instid1(VALU_DEP_1)
	v_cvt_f32_f64_e32 v46, v[46:47]
	v_min3_f32 v86, v46, v44, v86
	v_add_f64 v[44:45], v[14:15], v[42:43]
	v_add_f64 v[46:47], v[12:13], v[40:41]
	s_delay_alu instid0(VALU_DEP_2) | instskip(NEXT) | instid1(VALU_DEP_2)
	v_cvt_f32_f64_e32 v44, v[44:45]
	v_cvt_f32_f64_e32 v46, v[46:47]
	s_delay_alu instid0(VALU_DEP_1) | instskip(SKIP_2) | instid1(VALU_DEP_2)
	v_min3_f32 v85, v46, v44, v85
	v_add_f64 v[44:45], v[10:11], v[42:43]
	v_add_f64 v[46:47], v[8:9], v[40:41]
	v_cvt_f32_f64_e32 v44, v[44:45]
	s_delay_alu instid0(VALU_DEP_2) | instskip(NEXT) | instid1(VALU_DEP_1)
	v_cvt_f32_f64_e32 v46, v[46:47]
	v_min3_f32 v84, v46, v44, v84
	v_add_f64 v[44:45], v[6:7], v[42:43]
	v_add_f64 v[46:47], v[4:5], v[40:41]
	;; [unrolled: 1-line block ×4, first 2 shown]
	s_delay_alu instid0(VALU_DEP_4) | instskip(NEXT) | instid1(VALU_DEP_4)
	v_cvt_f32_f64_e32 v44, v[44:45]
	v_cvt_f32_f64_e32 v46, v[46:47]
	s_delay_alu instid0(VALU_DEP_3)
	v_cvt_f32_f64_e32 v40, v[40:41]
	v_cvt_f32_f64_e32 v41, v[42:43]
	s_waitcnt lgkmcnt(1)
	v_add_f64 v[42:43], v[32:33], v[36:37]
	s_waitcnt lgkmcnt(0)
	v_add_f64 v[32:33], v[32:33], v[16:17]
	v_min3_f32 v83, v46, v44, v83
	s_delay_alu instid0(VALU_DEP_4) | instskip(SKIP_4) | instid1(VALU_DEP_4)
	v_min3_f32 v82, v40, v41, v82
	v_add_f64 v[40:41], v[34:35], v[38:39]
	v_cvt_f32_f64_e32 v42, v[42:43]
	v_add_f64 v[34:35], v[34:35], v[18:19]
	v_cvt_f32_f64_e32 v32, v[32:33]
	v_cvt_f32_f64_e32 v40, v[40:41]
	s_delay_alu instid0(VALU_DEP_3) | instskip(NEXT) | instid1(VALU_DEP_2)
	v_cvt_f32_f64_e32 v33, v[34:35]
	v_min3_f32 v81, v42, v40, v81
	v_add_f64 v[40:41], v[30:31], v[38:39]
	v_add_f64 v[42:43], v[28:29], v[36:37]
	v_add_f64 v[30:31], v[30:31], v[18:19]
	v_add_f64 v[28:29], v[28:29], v[16:17]
	v_min3_f32 v73, v32, v33, v73
	v_cvt_f32_f64_e32 v40, v[40:41]
	v_cvt_f32_f64_e32 v42, v[42:43]
	s_delay_alu instid0(VALU_DEP_4) | instskip(SKIP_1) | instid1(VALU_DEP_3)
	v_cvt_f32_f64_e32 v28, v[28:29]
	v_cvt_f32_f64_e32 v29, v[30:31]
	v_min3_f32 v80, v42, v40, v80
	v_add_f64 v[40:41], v[26:27], v[38:39]
	v_add_f64 v[42:43], v[24:25], v[36:37]
	v_add_f64 v[26:27], v[26:27], v[18:19]
	v_add_f64 v[24:25], v[24:25], v[16:17]
	v_min3_f32 v72, v28, v29, v72
	v_cvt_f32_f64_e32 v40, v[40:41]
	v_cvt_f32_f64_e32 v42, v[42:43]
	s_delay_alu instid0(VALU_DEP_4) | instskip(SKIP_1) | instid1(VALU_DEP_3)
	v_cvt_f32_f64_e32 v24, v[24:25]
	;; [unrolled: 11-line block ×5, first 2 shown]
	v_cvt_f32_f64_e32 v9, v[10:11]
	v_min3_f32 v76, v42, v40, v76
	v_add_f64 v[40:41], v[6:7], v[38:39]
	v_add_f64 v[42:43], v[4:5], v[36:37]
	;; [unrolled: 1-line block ×8, first 2 shown]
	v_min3_f32 v68, v8, v9, v68
	v_cvt_f32_f64_e32 v40, v[40:41]
	v_cvt_f32_f64_e32 v42, v[42:43]
	;; [unrolled: 1-line block ×8, first 2 shown]
	v_min3_f32 v75, v42, v40, v75
	v_min3_f32 v74, v36, v37, v74
	;; [unrolled: 1-line block ×3, first 2 shown]
	s_delay_alu instid0(VALU_DEP_4)
	v_min3_f32 v66, v0, v1, v66
	s_cbranch_vccz .LBB159_27
; %bb.28:
	v_lshlrev_b32_e32 v0, 5, v64
	s_mov_b32 s14, 8
	s_cmp_gt_i32 s18, 8
	ds_store_b64 v137, v[62:63] offset:18432
	v_lshl_add_u32 v0, v132, 3, v0
	ds_store_2addr_stride64_b64 v0, v[54:55], v[56:57] offset0:16 offset1:20
	ds_store_2addr_stride64_b64 v0, v[58:59], v[60:61] offset0:24 offset1:28
	s_waitcnt lgkmcnt(0)
	s_barrier
	buffer_gl0_inv
	s_cbranch_scc0 .LBB159_55
; %bb.29:
	v_mad_i64_i32 v[1:2], null, v65, s31, 0
	v_lshlrev_b64 v[52:53], 3, v[52:53]
	v_dual_mov_b32 v55, 0 :: v_dual_add_nc_u32 v136, 0x2000, v0
	v_add_nc_u32_e32 v137, 0x4800, v137
	s_delay_alu instid0(VALU_DEP_4) | instskip(NEXT) | instid1(VALU_DEP_1)
	v_lshlrev_b64 v[1:2], 3, v[1:2]
	v_add_co_u32 v138, vcc_lo, s28, v1
	s_delay_alu instid0(VALU_DEP_2) | instskip(SKIP_1) | instid1(VALU_DEP_2)
	v_add_co_ci_u32_e32 v139, vcc_lo, s29, v2, vcc_lo
	s_add_i32 s28, s18, -8
	v_add_co_u32 v140, vcc_lo, v138, 32
	s_delay_alu instid0(VALU_DEP_2)
	v_add_co_ci_u32_e32 v141, vcc_lo, 0, v139, vcc_lo
	s_mov_b32 s29, 0
.LBB159_30:                             ; =>This Loop Header: Depth=1
                                        ;     Child Loop BB159_41 Depth 2
                                        ;     Child Loop BB159_53 Depth 2
	v_add_nc_u32_e32 v2, s14, v132
	s_delay_alu instid0(VALU_DEP_1) | instskip(SKIP_1) | instid1(VALU_DEP_2)
	v_min_i32_e32 v3, s30, v2
	v_cmp_le_i32_e32 vcc_lo, s18, v2
	v_mad_i64_i32 v[0:1], null, v3, s19, 0
	s_or_b32 s31, s2, vcc_lo
	s_delay_alu instid0(SALU_CYCLE_1) | instskip(SKIP_1) | instid1(VALU_DEP_3)
	v_cndmask_b32_e64 v57, 0, 0x7fefffff, s31
	v_cndmask_b32_e64 v56, 0, -1, s31
	v_lshlrev_b64 v[0:1], 3, v[0:1]
	s_delay_alu instid0(VALU_DEP_1) | instskip(NEXT) | instid1(VALU_DEP_1)
	v_add_co_u32 v0, s7, s26, v0
	v_add_co_ci_u32_e64 v1, s7, s27, v1, s7
	s_or_b32 s7, s23, s31
	s_delay_alu instid0(SALU_CYCLE_1) | instskip(NEXT) | instid1(SALU_CYCLE_1)
	s_xor_b32 s7, s7, -1
	s_and_saveexec_b32 s31, s7
	s_cbranch_execz .LBB159_32
; %bb.31:                               ;   in Loop: Header=BB159_30 Depth=1
	v_add_co_u32 v2, s7, v0, v52
	s_delay_alu instid0(VALU_DEP_1)
	v_add_co_ci_u32_e64 v3, s7, v1, v53, s7
	flat_load_b64 v[2:3], v[2:3]
	s_waitcnt vmcnt(0) lgkmcnt(0)
	v_mul_f64 v[56:57], s[24:25], v[2:3]
.LBB159_32:                             ;   in Loop: Header=BB159_30 Depth=1
	s_or_b32 exec_lo, exec_lo, s31
	s_or_b32 s7, s3, vcc_lo
	s_delay_alu instid0(SALU_CYCLE_1) | instskip(SKIP_2) | instid1(SALU_CYCLE_1)
	v_cndmask_b32_e64 v59, 0, 0x7fefffff, s7
	v_cndmask_b32_e64 v58, 0, -1, s7
	s_or_b32 s7, s23, s7
	s_xor_b32 s7, s7, -1
	s_delay_alu instid0(SALU_CYCLE_1)
	s_and_saveexec_b32 s31, s7
	s_cbranch_execz .LBB159_34
; %bb.33:                               ;   in Loop: Header=BB159_30 Depth=1
	v_add_co_u32 v2, s7, v0, v52
	s_delay_alu instid0(VALU_DEP_1)
	v_add_co_ci_u32_e64 v3, s7, v1, v53, s7
	flat_load_b64 v[2:3], v[2:3] offset:512
	s_waitcnt vmcnt(0) lgkmcnt(0)
	v_mul_f64 v[58:59], s[24:25], v[2:3]
.LBB159_34:                             ;   in Loop: Header=BB159_30 Depth=1
	s_or_b32 exec_lo, exec_lo, s31
	s_or_b32 s7, s4, vcc_lo
	s_delay_alu instid0(SALU_CYCLE_1) | instskip(SKIP_2) | instid1(SALU_CYCLE_1)
	v_cndmask_b32_e64 v61, 0, 0x7fefffff, s7
	v_cndmask_b32_e64 v60, 0, -1, s7
	s_or_b32 s7, s23, s7
	s_xor_b32 s7, s7, -1
	s_delay_alu instid0(SALU_CYCLE_1)
	s_and_saveexec_b32 s31, s7
	s_cbranch_execz .LBB159_36
; %bb.35:                               ;   in Loop: Header=BB159_30 Depth=1
	v_add_co_u32 v2, s7, v0, v52
	s_delay_alu instid0(VALU_DEP_1)
	v_add_co_ci_u32_e64 v3, s7, v1, v53, s7
	flat_load_b64 v[2:3], v[2:3] offset:1024
	s_waitcnt vmcnt(0) lgkmcnt(0)
	v_mul_f64 v[60:61], s[24:25], v[2:3]
.LBB159_36:                             ;   in Loop: Header=BB159_30 Depth=1
	s_or_b32 exec_lo, exec_lo, s31
	s_or_b32 s7, s5, vcc_lo
	s_delay_alu instid0(SALU_CYCLE_1) | instskip(SKIP_2) | instid1(SALU_CYCLE_1)
	v_cndmask_b32_e64 v63, 0, 0x7fefffff, s7
	v_cndmask_b32_e64 v62, 0, -1, s7
	s_or_b32 s7, s23, s7
	s_xor_b32 s31, s7, -1
	s_delay_alu instid0(SALU_CYCLE_1)
	s_and_saveexec_b32 s7, s31
	s_cbranch_execz .LBB159_38
; %bb.37:                               ;   in Loop: Header=BB159_30 Depth=1
	v_add_co_u32 v0, vcc_lo, v0, v52
	v_add_co_ci_u32_e32 v1, vcc_lo, v1, v53, vcc_lo
	flat_load_b64 v[0:1], v[0:1] offset:1536
	s_waitcnt vmcnt(0) lgkmcnt(0)
	v_mul_f64 v[62:63], s[24:25], v[0:1]
.LBB159_38:                             ;   in Loop: Header=BB159_30 Depth=1
	s_or_b32 exec_lo, exec_lo, s7
	v_or_b32_e32 v54, s14, v133
	s_delay_alu instid0(VALU_DEP_1) | instskip(SKIP_1) | instid1(SALU_CYCLE_1)
	v_cmp_le_i32_e32 vcc_lo, s18, v54
	s_or_b32 s7, vcc_lo, s6
	v_cndmask_b32_e64 v65, 0, 0x7fefffff, s7
	v_cndmask_b32_e64 v64, 0, -1, s7
	s_or_b32 s7, s23, s7
	s_delay_alu instid0(SALU_CYCLE_1) | instskip(NEXT) | instid1(SALU_CYCLE_1)
	s_xor_b32 s31, s7, -1
	s_and_saveexec_b32 s7, s31
	s_cbranch_execz .LBB159_40
; %bb.39:                               ;   in Loop: Header=BB159_30 Depth=1
	v_lshlrev_b64 v[0:1], 3, v[54:55]
	s_delay_alu instid0(VALU_DEP_1) | instskip(NEXT) | instid1(VALU_DEP_2)
	v_add_co_u32 v0, vcc_lo, v138, v0
	v_add_co_ci_u32_e32 v1, vcc_lo, v139, v1, vcc_lo
	flat_load_b64 v[0:1], v[0:1]
	s_waitcnt vmcnt(0) lgkmcnt(0)
	v_mul_f64 v[64:65], s[24:25], v[0:1]
.LBB159_40:                             ;   in Loop: Header=BB159_30 Depth=1
	s_or_b32 exec_lo, exec_lo, s7
	s_mov_b32 s31, 0
	s_mov_b32 s7, -1
.LBB159_41:                             ;   Parent Loop BB159_30 Depth=1
                                        ; =>  This Inner Loop Header: Depth=2
	s_lshl_b32 s31, s31, 3
	s_and_not1_b32 vcc_lo, exec_lo, s7
	v_lshl_add_u32 v0, v121, 5, s31
	v_lshl_add_u32 v16, v122, 5, s31
	s_mov_b32 s31, 2
	s_mov_b32 s7, 0
	ds_load_b128 v[32:35], v0 offset:8192
	ds_load_b128 v[28:31], v0 offset:9216
	;; [unrolled: 1-line block ×16, first 2 shown]
	s_waitcnt lgkmcnt(7)
	v_add_f64 v[154:155], v[34:35], v[144:145]
	v_add_f64 v[156:157], v[32:33], v[142:143]
	s_delay_alu instid0(VALU_DEP_2) | instskip(NEXT) | instid1(VALU_DEP_2)
	v_cvt_f32_f64_e32 v154, v[154:155]
	v_cvt_f32_f64_e32 v156, v[156:157]
	s_delay_alu instid0(VALU_DEP_1) | instskip(SKIP_2) | instid1(VALU_DEP_2)
	v_min3_f32 v131, v156, v154, v131
	v_add_f64 v[154:155], v[30:31], v[144:145]
	v_add_f64 v[156:157], v[28:29], v[142:143]
	v_cvt_f32_f64_e32 v154, v[154:155]
	s_delay_alu instid0(VALU_DEP_2) | instskip(NEXT) | instid1(VALU_DEP_1)
	v_cvt_f32_f64_e32 v156, v[156:157]
	v_min3_f32 v130, v156, v154, v130
	v_add_f64 v[154:155], v[26:27], v[144:145]
	v_add_f64 v[156:157], v[24:25], v[142:143]
	s_delay_alu instid0(VALU_DEP_2) | instskip(NEXT) | instid1(VALU_DEP_2)
	v_cvt_f32_f64_e32 v154, v[154:155]
	v_cvt_f32_f64_e32 v156, v[156:157]
	s_delay_alu instid0(VALU_DEP_1) | instskip(SKIP_2) | instid1(VALU_DEP_2)
	v_min3_f32 v129, v156, v154, v129
	v_add_f64 v[154:155], v[22:23], v[144:145]
	v_add_f64 v[156:157], v[20:21], v[142:143]
	v_cvt_f32_f64_e32 v154, v[154:155]
	s_delay_alu instid0(VALU_DEP_2) | instskip(NEXT) | instid1(VALU_DEP_1)
	v_cvt_f32_f64_e32 v156, v[156:157]
	v_min3_f32 v128, v156, v154, v128
	;; [unrolled: 13-line block ×3, first 2 shown]
	v_add_f64 v[154:155], v[6:7], v[144:145]
	v_add_f64 v[156:157], v[4:5], v[142:143]
	;; [unrolled: 1-line block ×4, first 2 shown]
	s_delay_alu instid0(VALU_DEP_4) | instskip(NEXT) | instid1(VALU_DEP_4)
	v_cvt_f32_f64_e32 v154, v[154:155]
	v_cvt_f32_f64_e32 v156, v[156:157]
	s_delay_alu instid0(VALU_DEP_3) | instskip(SKIP_3) | instid1(VALU_DEP_4)
	v_cvt_f32_f64_e32 v142, v[142:143]
	v_cvt_f32_f64_e32 v143, v[144:145]
	s_waitcnt lgkmcnt(6)
	v_add_f64 v[144:145], v[32:33], v[146:147]
	v_min3_f32 v125, v156, v154, v125
	s_delay_alu instid0(VALU_DEP_3) | instskip(SKIP_1) | instid1(VALU_DEP_4)
	v_min3_f32 v124, v142, v143, v124
	v_add_f64 v[142:143], v[34:35], v[148:149]
	v_cvt_f32_f64_e32 v144, v[144:145]
	s_delay_alu instid0(VALU_DEP_2) | instskip(NEXT) | instid1(VALU_DEP_1)
	v_cvt_f32_f64_e32 v142, v[142:143]
	v_min3_f32 v123, v144, v142, v123
	v_add_f64 v[142:143], v[30:31], v[148:149]
	v_add_f64 v[144:145], v[28:29], v[146:147]
	s_delay_alu instid0(VALU_DEP_2) | instskip(NEXT) | instid1(VALU_DEP_2)
	v_cvt_f32_f64_e32 v142, v[142:143]
	v_cvt_f32_f64_e32 v144, v[144:145]
	s_delay_alu instid0(VALU_DEP_1) | instskip(SKIP_2) | instid1(VALU_DEP_2)
	v_min3_f32 v120, v144, v142, v120
	v_add_f64 v[142:143], v[26:27], v[148:149]
	v_add_f64 v[144:145], v[24:25], v[146:147]
	v_cvt_f32_f64_e32 v142, v[142:143]
	s_delay_alu instid0(VALU_DEP_2) | instskip(NEXT) | instid1(VALU_DEP_1)
	v_cvt_f32_f64_e32 v144, v[144:145]
	v_min3_f32 v119, v144, v142, v119
	v_add_f64 v[142:143], v[22:23], v[148:149]
	v_add_f64 v[144:145], v[20:21], v[146:147]
	s_delay_alu instid0(VALU_DEP_2) | instskip(NEXT) | instid1(VALU_DEP_2)
	v_cvt_f32_f64_e32 v142, v[142:143]
	v_cvt_f32_f64_e32 v144, v[144:145]
	s_delay_alu instid0(VALU_DEP_1) | instskip(SKIP_2) | instid1(VALU_DEP_2)
	v_min3_f32 v118, v144, v142, v118
	v_add_f64 v[142:143], v[14:15], v[148:149]
	;; [unrolled: 13-line block ×3, first 2 shown]
	v_add_f64 v[144:145], v[4:5], v[146:147]
	v_cvt_f32_f64_e32 v142, v[142:143]
	s_delay_alu instid0(VALU_DEP_2) | instskip(NEXT) | instid1(VALU_DEP_1)
	v_cvt_f32_f64_e32 v144, v[144:145]
	v_min3_f32 v115, v144, v142, v115
	v_add_f64 v[142:143], v[2:3], v[148:149]
	v_add_f64 v[144:145], v[0:1], v[146:147]
	s_delay_alu instid0(VALU_DEP_2) | instskip(NEXT) | instid1(VALU_DEP_2)
	v_cvt_f32_f64_e32 v142, v[142:143]
	v_cvt_f32_f64_e32 v144, v[144:145]
	s_delay_alu instid0(VALU_DEP_1) | instskip(SKIP_3) | instid1(VALU_DEP_2)
	v_min3_f32 v114, v144, v142, v114
	s_waitcnt lgkmcnt(5)
	v_add_f64 v[142:143], v[34:35], v[152:153]
	v_add_f64 v[144:145], v[32:33], v[150:151]
	v_cvt_f32_f64_e32 v142, v[142:143]
	s_delay_alu instid0(VALU_DEP_2) | instskip(NEXT) | instid1(VALU_DEP_1)
	v_cvt_f32_f64_e32 v144, v[144:145]
	v_min3_f32 v113, v144, v142, v113
	v_add_f64 v[142:143], v[30:31], v[152:153]
	v_add_f64 v[144:145], v[28:29], v[150:151]
	s_delay_alu instid0(VALU_DEP_2) | instskip(NEXT) | instid1(VALU_DEP_2)
	v_cvt_f32_f64_e32 v142, v[142:143]
	v_cvt_f32_f64_e32 v144, v[144:145]
	s_delay_alu instid0(VALU_DEP_1) | instskip(SKIP_2) | instid1(VALU_DEP_2)
	v_min3_f32 v112, v144, v142, v112
	v_add_f64 v[142:143], v[26:27], v[152:153]
	v_add_f64 v[144:145], v[24:25], v[150:151]
	v_cvt_f32_f64_e32 v142, v[142:143]
	s_delay_alu instid0(VALU_DEP_2) | instskip(NEXT) | instid1(VALU_DEP_1)
	v_cvt_f32_f64_e32 v144, v[144:145]
	v_min3_f32 v111, v144, v142, v111
	v_add_f64 v[142:143], v[22:23], v[152:153]
	v_add_f64 v[144:145], v[20:21], v[150:151]
	s_delay_alu instid0(VALU_DEP_2) | instskip(NEXT) | instid1(VALU_DEP_2)
	v_cvt_f32_f64_e32 v142, v[142:143]
	v_cvt_f32_f64_e32 v144, v[144:145]
	s_delay_alu instid0(VALU_DEP_1) | instskip(SKIP_2) | instid1(VALU_DEP_2)
	v_min3_f32 v110, v144, v142, v110
	;; [unrolled: 13-line block ×3, first 2 shown]
	v_add_f64 v[142:143], v[6:7], v[152:153]
	v_add_f64 v[144:145], v[4:5], v[150:151]
	v_cvt_f32_f64_e32 v142, v[142:143]
	s_delay_alu instid0(VALU_DEP_2) | instskip(NEXT) | instid1(VALU_DEP_1)
	v_cvt_f32_f64_e32 v144, v[144:145]
	v_min3_f32 v107, v144, v142, v107
	v_add_f64 v[142:143], v[2:3], v[152:153]
	v_add_f64 v[144:145], v[0:1], v[150:151]
	s_delay_alu instid0(VALU_DEP_2) | instskip(NEXT) | instid1(VALU_DEP_2)
	v_cvt_f32_f64_e32 v142, v[142:143]
	v_cvt_f32_f64_e32 v144, v[144:145]
	s_delay_alu instid0(VALU_DEP_1) | instskip(SKIP_3) | instid1(VALU_DEP_2)
	v_min3_f32 v106, v144, v142, v106
	s_waitcnt lgkmcnt(4)
	v_add_f64 v[142:143], v[34:35], v[50:51]
	v_add_f64 v[144:145], v[32:33], v[48:49]
	v_cvt_f32_f64_e32 v142, v[142:143]
	s_delay_alu instid0(VALU_DEP_2) | instskip(NEXT) | instid1(VALU_DEP_1)
	v_cvt_f32_f64_e32 v144, v[144:145]
	v_min3_f32 v105, v144, v142, v105
	v_add_f64 v[142:143], v[30:31], v[50:51]
	v_add_f64 v[144:145], v[28:29], v[48:49]
	s_delay_alu instid0(VALU_DEP_2) | instskip(NEXT) | instid1(VALU_DEP_2)
	v_cvt_f32_f64_e32 v142, v[142:143]
	v_cvt_f32_f64_e32 v144, v[144:145]
	s_delay_alu instid0(VALU_DEP_1) | instskip(SKIP_2) | instid1(VALU_DEP_2)
	v_min3_f32 v104, v144, v142, v104
	v_add_f64 v[142:143], v[26:27], v[50:51]
	v_add_f64 v[144:145], v[24:25], v[48:49]
	v_cvt_f32_f64_e32 v142, v[142:143]
	s_delay_alu instid0(VALU_DEP_2) | instskip(NEXT) | instid1(VALU_DEP_1)
	v_cvt_f32_f64_e32 v144, v[144:145]
	v_min3_f32 v103, v144, v142, v103
	v_add_f64 v[142:143], v[22:23], v[50:51]
	v_add_f64 v[144:145], v[20:21], v[48:49]
	s_delay_alu instid0(VALU_DEP_2) | instskip(NEXT) | instid1(VALU_DEP_2)
	v_cvt_f32_f64_e32 v142, v[142:143]
	v_cvt_f32_f64_e32 v144, v[144:145]
	s_delay_alu instid0(VALU_DEP_1) | instskip(SKIP_2) | instid1(VALU_DEP_2)
	v_min3_f32 v102, v144, v142, v102
	v_add_f64 v[142:143], v[14:15], v[50:51]
	v_add_f64 v[144:145], v[12:13], v[48:49]
	v_cvt_f32_f64_e32 v142, v[142:143]
	s_delay_alu instid0(VALU_DEP_2) | instskip(NEXT) | instid1(VALU_DEP_1)
	v_cvt_f32_f64_e32 v144, v[144:145]
	v_min3_f32 v101, v144, v142, v101
	v_add_f64 v[142:143], v[10:11], v[50:51]
	v_add_f64 v[144:145], v[8:9], v[48:49]
	s_delay_alu instid0(VALU_DEP_2) | instskip(NEXT) | instid1(VALU_DEP_2)
	v_cvt_f32_f64_e32 v142, v[142:143]
	v_cvt_f32_f64_e32 v144, v[144:145]
	s_delay_alu instid0(VALU_DEP_1) | instskip(SKIP_4) | instid1(VALU_DEP_4)
	v_min3_f32 v100, v144, v142, v100
	v_add_f64 v[142:143], v[6:7], v[50:51]
	v_add_f64 v[144:145], v[4:5], v[48:49]
	v_add_f64 v[50:51], v[2:3], v[50:51]
	v_add_f64 v[48:49], v[0:1], v[48:49]
	v_cvt_f32_f64_e32 v142, v[142:143]
	s_delay_alu instid0(VALU_DEP_4) | instskip(NEXT) | instid1(VALU_DEP_3)
	v_cvt_f32_f64_e32 v144, v[144:145]
	v_cvt_f32_f64_e32 v48, v[48:49]
	;; [unrolled: 1-line block ×3, first 2 shown]
	s_waitcnt lgkmcnt(3)
	v_add_f64 v[50:51], v[32:33], v[44:45]
	s_delay_alu instid0(VALU_DEP_4) | instskip(NEXT) | instid1(VALU_DEP_3)
	v_min3_f32 v99, v144, v142, v99
	v_min3_f32 v98, v48, v49, v98
	v_add_f64 v[48:49], v[34:35], v[46:47]
	s_delay_alu instid0(VALU_DEP_4) | instskip(NEXT) | instid1(VALU_DEP_2)
	v_cvt_f32_f64_e32 v50, v[50:51]
	v_cvt_f32_f64_e32 v48, v[48:49]
	s_delay_alu instid0(VALU_DEP_1) | instskip(SKIP_2) | instid1(VALU_DEP_2)
	v_min3_f32 v97, v50, v48, v97
	v_add_f64 v[48:49], v[30:31], v[46:47]
	v_add_f64 v[50:51], v[28:29], v[44:45]
	v_cvt_f32_f64_e32 v48, v[48:49]
	s_delay_alu instid0(VALU_DEP_2) | instskip(NEXT) | instid1(VALU_DEP_1)
	v_cvt_f32_f64_e32 v50, v[50:51]
	v_min3_f32 v96, v50, v48, v96
	v_add_f64 v[48:49], v[26:27], v[46:47]
	v_add_f64 v[50:51], v[24:25], v[44:45]
	s_delay_alu instid0(VALU_DEP_2) | instskip(NEXT) | instid1(VALU_DEP_2)
	v_cvt_f32_f64_e32 v48, v[48:49]
	v_cvt_f32_f64_e32 v50, v[50:51]
	s_delay_alu instid0(VALU_DEP_1) | instskip(SKIP_2) | instid1(VALU_DEP_2)
	v_min3_f32 v95, v50, v48, v95
	v_add_f64 v[48:49], v[22:23], v[46:47]
	v_add_f64 v[50:51], v[20:21], v[44:45]
	v_cvt_f32_f64_e32 v48, v[48:49]
	s_delay_alu instid0(VALU_DEP_2) | instskip(NEXT) | instid1(VALU_DEP_1)
	v_cvt_f32_f64_e32 v50, v[50:51]
	v_min3_f32 v94, v50, v48, v94
	v_add_f64 v[48:49], v[14:15], v[46:47]
	v_add_f64 v[50:51], v[12:13], v[44:45]
	s_delay_alu instid0(VALU_DEP_2) | instskip(NEXT) | instid1(VALU_DEP_2)
	v_cvt_f32_f64_e32 v48, v[48:49]
	v_cvt_f32_f64_e32 v50, v[50:51]
	s_delay_alu instid0(VALU_DEP_1) | instskip(SKIP_2) | instid1(VALU_DEP_2)
	v_min3_f32 v93, v50, v48, v93
	v_add_f64 v[48:49], v[10:11], v[46:47]
	v_add_f64 v[50:51], v[8:9], v[44:45]
	v_cvt_f32_f64_e32 v48, v[48:49]
	s_delay_alu instid0(VALU_DEP_2) | instskip(NEXT) | instid1(VALU_DEP_1)
	v_cvt_f32_f64_e32 v50, v[50:51]
	v_min3_f32 v92, v50, v48, v92
	v_add_f64 v[48:49], v[6:7], v[46:47]
	v_add_f64 v[50:51], v[4:5], v[44:45]
	;; [unrolled: 1-line block ×4, first 2 shown]
	s_delay_alu instid0(VALU_DEP_4) | instskip(NEXT) | instid1(VALU_DEP_4)
	v_cvt_f32_f64_e32 v48, v[48:49]
	v_cvt_f32_f64_e32 v50, v[50:51]
	s_delay_alu instid0(VALU_DEP_3) | instskip(SKIP_3) | instid1(VALU_DEP_4)
	v_cvt_f32_f64_e32 v44, v[44:45]
	v_cvt_f32_f64_e32 v45, v[46:47]
	s_waitcnt lgkmcnt(2)
	v_add_f64 v[46:47], v[32:33], v[40:41]
	v_min3_f32 v91, v50, v48, v91
	s_delay_alu instid0(VALU_DEP_3) | instskip(SKIP_1) | instid1(VALU_DEP_4)
	v_min3_f32 v90, v44, v45, v90
	v_add_f64 v[44:45], v[34:35], v[42:43]
	v_cvt_f32_f64_e32 v46, v[46:47]
	s_delay_alu instid0(VALU_DEP_2) | instskip(NEXT) | instid1(VALU_DEP_1)
	v_cvt_f32_f64_e32 v44, v[44:45]
	v_min3_f32 v89, v46, v44, v89
	v_add_f64 v[44:45], v[30:31], v[42:43]
	v_add_f64 v[46:47], v[28:29], v[40:41]
	s_delay_alu instid0(VALU_DEP_2) | instskip(NEXT) | instid1(VALU_DEP_2)
	v_cvt_f32_f64_e32 v44, v[44:45]
	v_cvt_f32_f64_e32 v46, v[46:47]
	s_delay_alu instid0(VALU_DEP_1) | instskip(SKIP_2) | instid1(VALU_DEP_2)
	v_min3_f32 v88, v46, v44, v88
	v_add_f64 v[44:45], v[26:27], v[42:43]
	v_add_f64 v[46:47], v[24:25], v[40:41]
	v_cvt_f32_f64_e32 v44, v[44:45]
	s_delay_alu instid0(VALU_DEP_2) | instskip(NEXT) | instid1(VALU_DEP_1)
	v_cvt_f32_f64_e32 v46, v[46:47]
	v_min3_f32 v87, v46, v44, v87
	v_add_f64 v[44:45], v[22:23], v[42:43]
	v_add_f64 v[46:47], v[20:21], v[40:41]
	s_delay_alu instid0(VALU_DEP_2) | instskip(NEXT) | instid1(VALU_DEP_2)
	v_cvt_f32_f64_e32 v44, v[44:45]
	v_cvt_f32_f64_e32 v46, v[46:47]
	s_delay_alu instid0(VALU_DEP_1) | instskip(SKIP_2) | instid1(VALU_DEP_2)
	v_min3_f32 v86, v46, v44, v86
	v_add_f64 v[44:45], v[14:15], v[42:43]
	v_add_f64 v[46:47], v[12:13], v[40:41]
	v_cvt_f32_f64_e32 v44, v[44:45]
	s_delay_alu instid0(VALU_DEP_2) | instskip(NEXT) | instid1(VALU_DEP_1)
	v_cvt_f32_f64_e32 v46, v[46:47]
	v_min3_f32 v85, v46, v44, v85
	v_add_f64 v[44:45], v[10:11], v[42:43]
	v_add_f64 v[46:47], v[8:9], v[40:41]
	s_delay_alu instid0(VALU_DEP_2) | instskip(NEXT) | instid1(VALU_DEP_2)
	v_cvt_f32_f64_e32 v44, v[44:45]
	v_cvt_f32_f64_e32 v46, v[46:47]
	s_delay_alu instid0(VALU_DEP_1) | instskip(SKIP_4) | instid1(VALU_DEP_4)
	v_min3_f32 v84, v46, v44, v84
	v_add_f64 v[44:45], v[6:7], v[42:43]
	v_add_f64 v[46:47], v[4:5], v[40:41]
	;; [unrolled: 1-line block ×4, first 2 shown]
	v_cvt_f32_f64_e32 v44, v[44:45]
	s_delay_alu instid0(VALU_DEP_4) | instskip(NEXT) | instid1(VALU_DEP_3)
	v_cvt_f32_f64_e32 v46, v[46:47]
	v_cvt_f32_f64_e32 v40, v[40:41]
	;; [unrolled: 1-line block ×3, first 2 shown]
	s_waitcnt lgkmcnt(1)
	v_add_f64 v[42:43], v[32:33], v[36:37]
	s_waitcnt lgkmcnt(0)
	v_add_f64 v[32:33], v[32:33], v[16:17]
	v_min3_f32 v83, v46, v44, v83
	s_delay_alu instid0(VALU_DEP_4) | instskip(SKIP_4) | instid1(VALU_DEP_4)
	v_min3_f32 v82, v40, v41, v82
	v_add_f64 v[40:41], v[34:35], v[38:39]
	v_cvt_f32_f64_e32 v42, v[42:43]
	v_add_f64 v[34:35], v[34:35], v[18:19]
	v_cvt_f32_f64_e32 v32, v[32:33]
	v_cvt_f32_f64_e32 v40, v[40:41]
	s_delay_alu instid0(VALU_DEP_3) | instskip(NEXT) | instid1(VALU_DEP_2)
	v_cvt_f32_f64_e32 v33, v[34:35]
	v_min3_f32 v81, v42, v40, v81
	v_add_f64 v[40:41], v[30:31], v[38:39]
	v_add_f64 v[42:43], v[28:29], v[36:37]
	v_add_f64 v[30:31], v[30:31], v[18:19]
	v_add_f64 v[28:29], v[28:29], v[16:17]
	v_min3_f32 v73, v32, v33, v73
	v_cvt_f32_f64_e32 v40, v[40:41]
	v_cvt_f32_f64_e32 v42, v[42:43]
	s_delay_alu instid0(VALU_DEP_4) | instskip(SKIP_1) | instid1(VALU_DEP_3)
	v_cvt_f32_f64_e32 v28, v[28:29]
	v_cvt_f32_f64_e32 v29, v[30:31]
	v_min3_f32 v80, v42, v40, v80
	v_add_f64 v[40:41], v[26:27], v[38:39]
	v_add_f64 v[42:43], v[24:25], v[36:37]
	v_add_f64 v[26:27], v[26:27], v[18:19]
	v_add_f64 v[24:25], v[24:25], v[16:17]
	v_min3_f32 v72, v28, v29, v72
	v_cvt_f32_f64_e32 v40, v[40:41]
	v_cvt_f32_f64_e32 v42, v[42:43]
	s_delay_alu instid0(VALU_DEP_4) | instskip(SKIP_1) | instid1(VALU_DEP_3)
	v_cvt_f32_f64_e32 v24, v[24:25]
	;; [unrolled: 11-line block ×5, first 2 shown]
	v_cvt_f32_f64_e32 v9, v[10:11]
	v_min3_f32 v76, v42, v40, v76
	v_add_f64 v[40:41], v[6:7], v[38:39]
	v_add_f64 v[42:43], v[4:5], v[36:37]
	;; [unrolled: 1-line block ×8, first 2 shown]
	v_min3_f32 v68, v8, v9, v68
	v_cvt_f32_f64_e32 v40, v[40:41]
	v_cvt_f32_f64_e32 v42, v[42:43]
	;; [unrolled: 1-line block ×8, first 2 shown]
	v_min3_f32 v75, v42, v40, v75
	v_min3_f32 v74, v36, v37, v74
	;; [unrolled: 1-line block ×3, first 2 shown]
	s_delay_alu instid0(VALU_DEP_4)
	v_min3_f32 v66, v0, v1, v66
	s_cbranch_vccz .LBB159_41
; %bb.42:                               ;   in Loop: Header=BB159_30 Depth=1
	v_add3_u32 v2, v132, s14, 4
	ds_store_2addr_stride64_b64 v134, v[56:57], v[58:59] offset1:4
	ds_store_2addr_stride64_b64 v134, v[60:61], v[62:63] offset0:8 offset1:12
	ds_store_b64 v135, v[64:65]
	s_waitcnt lgkmcnt(0)
	v_min_i32_e32 v3, s30, v2
	v_cmp_le_i32_e32 vcc_lo, s18, v2
	s_barrier
	buffer_gl0_inv
	v_mad_i64_i32 v[0:1], null, v3, s19, 0
	s_or_b32 s31, s2, vcc_lo
	s_delay_alu instid0(SALU_CYCLE_1) | instskip(SKIP_1) | instid1(VALU_DEP_3)
	v_cndmask_b32_e64 v57, 0, 0x7fefffff, s31
	v_cndmask_b32_e64 v56, 0, -1, s31
	v_lshlrev_b64 v[0:1], 3, v[0:1]
	s_delay_alu instid0(VALU_DEP_1) | instskip(NEXT) | instid1(VALU_DEP_1)
	v_add_co_u32 v0, s7, s26, v0
	v_add_co_ci_u32_e64 v1, s7, s27, v1, s7
	s_or_b32 s7, s23, s31
	s_delay_alu instid0(SALU_CYCLE_1) | instskip(NEXT) | instid1(SALU_CYCLE_1)
	s_xor_b32 s7, s7, -1
	s_and_saveexec_b32 s31, s7
	s_cbranch_execz .LBB159_44
; %bb.43:                               ;   in Loop: Header=BB159_30 Depth=1
	v_add_co_u32 v2, s7, v0, v52
	s_delay_alu instid0(VALU_DEP_1)
	v_add_co_ci_u32_e64 v3, s7, v1, v53, s7
	flat_load_b64 v[2:3], v[2:3]
	s_waitcnt vmcnt(0) lgkmcnt(0)
	v_mul_f64 v[56:57], s[24:25], v[2:3]
.LBB159_44:                             ;   in Loop: Header=BB159_30 Depth=1
	s_or_b32 exec_lo, exec_lo, s31
	s_or_b32 s7, s3, vcc_lo
	s_delay_alu instid0(SALU_CYCLE_1) | instskip(SKIP_2) | instid1(SALU_CYCLE_1)
	v_cndmask_b32_e64 v59, 0, 0x7fefffff, s7
	v_cndmask_b32_e64 v58, 0, -1, s7
	s_or_b32 s7, s23, s7
	s_xor_b32 s7, s7, -1
	s_delay_alu instid0(SALU_CYCLE_1)
	s_and_saveexec_b32 s31, s7
	s_cbranch_execz .LBB159_46
; %bb.45:                               ;   in Loop: Header=BB159_30 Depth=1
	v_add_co_u32 v2, s7, v0, v52
	s_delay_alu instid0(VALU_DEP_1)
	v_add_co_ci_u32_e64 v3, s7, v1, v53, s7
	flat_load_b64 v[2:3], v[2:3] offset:512
	s_waitcnt vmcnt(0) lgkmcnt(0)
	v_mul_f64 v[58:59], s[24:25], v[2:3]
.LBB159_46:                             ;   in Loop: Header=BB159_30 Depth=1
	s_or_b32 exec_lo, exec_lo, s31
	s_or_b32 s7, s4, vcc_lo
	s_delay_alu instid0(SALU_CYCLE_1) | instskip(SKIP_2) | instid1(SALU_CYCLE_1)
	v_cndmask_b32_e64 v61, 0, 0x7fefffff, s7
	v_cndmask_b32_e64 v60, 0, -1, s7
	s_or_b32 s7, s23, s7
	s_xor_b32 s7, s7, -1
	s_delay_alu instid0(SALU_CYCLE_1)
	s_and_saveexec_b32 s31, s7
	s_cbranch_execz .LBB159_48
; %bb.47:                               ;   in Loop: Header=BB159_30 Depth=1
	v_add_co_u32 v2, s7, v0, v52
	s_delay_alu instid0(VALU_DEP_1)
	v_add_co_ci_u32_e64 v3, s7, v1, v53, s7
	flat_load_b64 v[2:3], v[2:3] offset:1024
	s_waitcnt vmcnt(0) lgkmcnt(0)
	v_mul_f64 v[60:61], s[24:25], v[2:3]
.LBB159_48:                             ;   in Loop: Header=BB159_30 Depth=1
	s_or_b32 exec_lo, exec_lo, s31
	s_or_b32 s7, s5, vcc_lo
	s_delay_alu instid0(SALU_CYCLE_1) | instskip(SKIP_2) | instid1(SALU_CYCLE_1)
	v_cndmask_b32_e64 v63, 0, 0x7fefffff, s7
	v_cndmask_b32_e64 v62, 0, -1, s7
	s_or_b32 s7, s23, s7
	s_xor_b32 s31, s7, -1
	s_delay_alu instid0(SALU_CYCLE_1)
	s_and_saveexec_b32 s7, s31
	s_cbranch_execz .LBB159_50
; %bb.49:                               ;   in Loop: Header=BB159_30 Depth=1
	v_add_co_u32 v0, vcc_lo, v0, v52
	v_add_co_ci_u32_e32 v1, vcc_lo, v1, v53, vcc_lo
	flat_load_b64 v[0:1], v[0:1] offset:1536
	s_waitcnt vmcnt(0) lgkmcnt(0)
	v_mul_f64 v[62:63], s[24:25], v[0:1]
.LBB159_50:                             ;   in Loop: Header=BB159_30 Depth=1
	s_or_b32 exec_lo, exec_lo, s7
	v_or_b32_e32 v0, 4, v54
	s_delay_alu instid0(VALU_DEP_1) | instskip(SKIP_1) | instid1(SALU_CYCLE_1)
	v_cmp_le_i32_e32 vcc_lo, s18, v0
	s_or_b32 s7, vcc_lo, s6
	v_cndmask_b32_e64 v65, 0, 0x7fefffff, s7
	v_cndmask_b32_e64 v64, 0, -1, s7
	s_or_b32 s7, s23, s7
	s_delay_alu instid0(SALU_CYCLE_1) | instskip(NEXT) | instid1(SALU_CYCLE_1)
	s_xor_b32 s31, s7, -1
	s_and_saveexec_b32 s7, s31
	s_cbranch_execz .LBB159_52
; %bb.51:                               ;   in Loop: Header=BB159_30 Depth=1
	v_lshlrev_b64 v[0:1], 3, v[54:55]
	s_delay_alu instid0(VALU_DEP_1) | instskip(NEXT) | instid1(VALU_DEP_2)
	v_add_co_u32 v0, vcc_lo, v140, v0
	v_add_co_ci_u32_e32 v1, vcc_lo, v141, v1, vcc_lo
	flat_load_b64 v[0:1], v[0:1]
	s_waitcnt vmcnt(0) lgkmcnt(0)
	v_mul_f64 v[64:65], s[24:25], v[0:1]
.LBB159_52:                             ;   in Loop: Header=BB159_30 Depth=1
	s_or_b32 exec_lo, exec_lo, s7
	s_mov_b32 s31, 0
	s_mov_b32 s7, -1
.LBB159_53:                             ;   Parent Loop BB159_30 Depth=1
                                        ; =>  This Inner Loop Header: Depth=2
	s_lshl_b32 s31, s31, 3
	s_and_not1_b32 vcc_lo, exec_lo, s7
	v_lshl_add_u32 v0, v121, 5, s31
	v_lshl_add_u32 v16, v122, 5, s31
	s_mov_b32 s31, 2
	s_mov_b32 s7, 0
	ds_load_b128 v[32:35], v0
	ds_load_b128 v[28:31], v0 offset:1024
	ds_load_b128 v[24:27], v0 offset:2048
	;; [unrolled: 1-line block ×15, first 2 shown]
	s_waitcnt lgkmcnt(7)
	v_add_f64 v[154:155], v[34:35], v[144:145]
	v_add_f64 v[156:157], v[32:33], v[142:143]
	s_delay_alu instid0(VALU_DEP_2) | instskip(NEXT) | instid1(VALU_DEP_2)
	v_cvt_f32_f64_e32 v154, v[154:155]
	v_cvt_f32_f64_e32 v54, v[156:157]
	v_add_f64 v[156:157], v[28:29], v[142:143]
	s_delay_alu instid0(VALU_DEP_2) | instskip(SKIP_1) | instid1(VALU_DEP_3)
	v_min3_f32 v131, v54, v154, v131
	v_add_f64 v[154:155], v[30:31], v[144:145]
	v_cvt_f32_f64_e32 v54, v[156:157]
	v_add_f64 v[156:157], v[24:25], v[142:143]
	s_delay_alu instid0(VALU_DEP_3) | instskip(NEXT) | instid1(VALU_DEP_1)
	v_cvt_f32_f64_e32 v154, v[154:155]
	v_min3_f32 v130, v54, v154, v130
	v_add_f64 v[154:155], v[26:27], v[144:145]
	s_delay_alu instid0(VALU_DEP_4) | instskip(SKIP_1) | instid1(VALU_DEP_3)
	v_cvt_f32_f64_e32 v54, v[156:157]
	v_add_f64 v[156:157], v[20:21], v[142:143]
	v_cvt_f32_f64_e32 v154, v[154:155]
	s_delay_alu instid0(VALU_DEP_1) | instskip(SKIP_1) | instid1(VALU_DEP_4)
	v_min3_f32 v129, v54, v154, v129
	v_add_f64 v[154:155], v[22:23], v[144:145]
	v_cvt_f32_f64_e32 v54, v[156:157]
	v_add_f64 v[156:157], v[12:13], v[142:143]
	s_delay_alu instid0(VALU_DEP_3) | instskip(NEXT) | instid1(VALU_DEP_1)
	v_cvt_f32_f64_e32 v154, v[154:155]
	v_min3_f32 v128, v54, v154, v128
	v_add_f64 v[154:155], v[14:15], v[144:145]
	s_delay_alu instid0(VALU_DEP_4) | instskip(SKIP_1) | instid1(VALU_DEP_3)
	v_cvt_f32_f64_e32 v54, v[156:157]
	v_add_f64 v[156:157], v[8:9], v[142:143]
	v_cvt_f32_f64_e32 v154, v[154:155]
	s_delay_alu instid0(VALU_DEP_1) | instskip(SKIP_1) | instid1(VALU_DEP_4)
	v_min3_f32 v127, v54, v154, v127
	v_add_f64 v[154:155], v[10:11], v[144:145]
	v_cvt_f32_f64_e32 v54, v[156:157]
	v_add_f64 v[156:157], v[4:5], v[142:143]
	v_add_f64 v[142:143], v[0:1], v[142:143]
	s_delay_alu instid0(VALU_DEP_4) | instskip(NEXT) | instid1(VALU_DEP_1)
	v_cvt_f32_f64_e32 v154, v[154:155]
	v_min3_f32 v126, v54, v154, v126
	v_add_f64 v[154:155], v[6:7], v[144:145]
	v_cvt_f32_f64_e32 v54, v[156:157]
	v_add_f64 v[144:145], v[2:3], v[144:145]
	s_delay_alu instid0(VALU_DEP_3) | instskip(NEXT) | instid1(VALU_DEP_1)
	v_cvt_f32_f64_e32 v154, v[154:155]
	v_min3_f32 v125, v54, v154, v125
	v_cvt_f32_f64_e32 v54, v[142:143]
	s_delay_alu instid0(VALU_DEP_4) | instskip(SKIP_2) | instid1(VALU_DEP_2)
	v_cvt_f32_f64_e32 v142, v[144:145]
	s_waitcnt lgkmcnt(6)
	v_add_f64 v[144:145], v[32:33], v[146:147]
	v_min3_f32 v124, v54, v142, v124
	v_add_f64 v[142:143], v[34:35], v[148:149]
	s_delay_alu instid0(VALU_DEP_3) | instskip(SKIP_1) | instid1(VALU_DEP_3)
	v_cvt_f32_f64_e32 v54, v[144:145]
	v_add_f64 v[144:145], v[28:29], v[146:147]
	v_cvt_f32_f64_e32 v142, v[142:143]
	s_delay_alu instid0(VALU_DEP_1) | instskip(SKIP_1) | instid1(VALU_DEP_4)
	v_min3_f32 v123, v54, v142, v123
	v_add_f64 v[142:143], v[30:31], v[148:149]
	v_cvt_f32_f64_e32 v54, v[144:145]
	v_add_f64 v[144:145], v[24:25], v[146:147]
	s_delay_alu instid0(VALU_DEP_3) | instskip(NEXT) | instid1(VALU_DEP_1)
	v_cvt_f32_f64_e32 v142, v[142:143]
	v_min3_f32 v120, v54, v142, v120
	v_add_f64 v[142:143], v[26:27], v[148:149]
	s_delay_alu instid0(VALU_DEP_4) | instskip(SKIP_1) | instid1(VALU_DEP_3)
	v_cvt_f32_f64_e32 v54, v[144:145]
	v_add_f64 v[144:145], v[20:21], v[146:147]
	v_cvt_f32_f64_e32 v142, v[142:143]
	s_delay_alu instid0(VALU_DEP_1) | instskip(SKIP_1) | instid1(VALU_DEP_4)
	v_min3_f32 v119, v54, v142, v119
	v_add_f64 v[142:143], v[22:23], v[148:149]
	v_cvt_f32_f64_e32 v54, v[144:145]
	v_add_f64 v[144:145], v[12:13], v[146:147]
	s_delay_alu instid0(VALU_DEP_3) | instskip(NEXT) | instid1(VALU_DEP_1)
	v_cvt_f32_f64_e32 v142, v[142:143]
	v_min3_f32 v118, v54, v142, v118
	v_add_f64 v[142:143], v[14:15], v[148:149]
	s_delay_alu instid0(VALU_DEP_4) | instskip(SKIP_1) | instid1(VALU_DEP_3)
	;; [unrolled: 13-line block ×3, first 2 shown]
	v_cvt_f32_f64_e32 v54, v[144:145]
	v_add_f64 v[144:145], v[0:1], v[146:147]
	v_cvt_f32_f64_e32 v142, v[142:143]
	s_delay_alu instid0(VALU_DEP_1) | instskip(SKIP_1) | instid1(VALU_DEP_4)
	v_min3_f32 v115, v54, v142, v115
	v_add_f64 v[142:143], v[2:3], v[148:149]
	v_cvt_f32_f64_e32 v54, v[144:145]
	s_waitcnt lgkmcnt(5)
	v_add_f64 v[144:145], v[32:33], v[150:151]
	s_delay_alu instid0(VALU_DEP_3) | instskip(NEXT) | instid1(VALU_DEP_1)
	v_cvt_f32_f64_e32 v142, v[142:143]
	v_min3_f32 v114, v54, v142, v114
	v_add_f64 v[142:143], v[34:35], v[152:153]
	s_delay_alu instid0(VALU_DEP_4) | instskip(SKIP_1) | instid1(VALU_DEP_3)
	v_cvt_f32_f64_e32 v54, v[144:145]
	v_add_f64 v[144:145], v[28:29], v[150:151]
	v_cvt_f32_f64_e32 v142, v[142:143]
	s_delay_alu instid0(VALU_DEP_1) | instskip(SKIP_1) | instid1(VALU_DEP_4)
	v_min3_f32 v113, v54, v142, v113
	v_add_f64 v[142:143], v[30:31], v[152:153]
	v_cvt_f32_f64_e32 v54, v[144:145]
	v_add_f64 v[144:145], v[24:25], v[150:151]
	s_delay_alu instid0(VALU_DEP_3) | instskip(NEXT) | instid1(VALU_DEP_1)
	v_cvt_f32_f64_e32 v142, v[142:143]
	v_min3_f32 v112, v54, v142, v112
	v_add_f64 v[142:143], v[26:27], v[152:153]
	s_delay_alu instid0(VALU_DEP_4) | instskip(SKIP_1) | instid1(VALU_DEP_3)
	v_cvt_f32_f64_e32 v54, v[144:145]
	v_add_f64 v[144:145], v[20:21], v[150:151]
	v_cvt_f32_f64_e32 v142, v[142:143]
	s_delay_alu instid0(VALU_DEP_1) | instskip(SKIP_1) | instid1(VALU_DEP_4)
	v_min3_f32 v111, v54, v142, v111
	v_add_f64 v[142:143], v[22:23], v[152:153]
	v_cvt_f32_f64_e32 v54, v[144:145]
	;; [unrolled: 13-line block ×4, first 2 shown]
	s_waitcnt lgkmcnt(4)
	v_add_f64 v[144:145], v[32:33], v[48:49]
	s_delay_alu instid0(VALU_DEP_3) | instskip(NEXT) | instid1(VALU_DEP_1)
	v_cvt_f32_f64_e32 v142, v[142:143]
	v_min3_f32 v106, v54, v142, v106
	v_add_f64 v[142:143], v[34:35], v[50:51]
	s_delay_alu instid0(VALU_DEP_4) | instskip(SKIP_1) | instid1(VALU_DEP_3)
	v_cvt_f32_f64_e32 v54, v[144:145]
	v_add_f64 v[144:145], v[28:29], v[48:49]
	v_cvt_f32_f64_e32 v142, v[142:143]
	s_delay_alu instid0(VALU_DEP_1) | instskip(SKIP_1) | instid1(VALU_DEP_4)
	v_min3_f32 v105, v54, v142, v105
	v_add_f64 v[142:143], v[30:31], v[50:51]
	v_cvt_f32_f64_e32 v54, v[144:145]
	v_add_f64 v[144:145], v[24:25], v[48:49]
	s_delay_alu instid0(VALU_DEP_3) | instskip(NEXT) | instid1(VALU_DEP_1)
	v_cvt_f32_f64_e32 v142, v[142:143]
	v_min3_f32 v104, v54, v142, v104
	v_add_f64 v[142:143], v[26:27], v[50:51]
	s_delay_alu instid0(VALU_DEP_4) | instskip(SKIP_1) | instid1(VALU_DEP_3)
	v_cvt_f32_f64_e32 v54, v[144:145]
	v_add_f64 v[144:145], v[20:21], v[48:49]
	v_cvt_f32_f64_e32 v142, v[142:143]
	s_delay_alu instid0(VALU_DEP_1) | instskip(SKIP_1) | instid1(VALU_DEP_4)
	v_min3_f32 v103, v54, v142, v103
	v_add_f64 v[142:143], v[22:23], v[50:51]
	v_cvt_f32_f64_e32 v54, v[144:145]
	;; [unrolled: 13-line block ×3, first 2 shown]
	v_add_f64 v[144:145], v[4:5], v[48:49]
	v_add_f64 v[48:49], v[0:1], v[48:49]
	s_delay_alu instid0(VALU_DEP_4) | instskip(NEXT) | instid1(VALU_DEP_2)
	v_cvt_f32_f64_e32 v142, v[142:143]
	v_cvt_f32_f64_e32 v48, v[48:49]
	s_delay_alu instid0(VALU_DEP_2) | instskip(SKIP_3) | instid1(VALU_DEP_3)
	v_min3_f32 v100, v54, v142, v100
	v_add_f64 v[142:143], v[6:7], v[50:51]
	v_add_f64 v[50:51], v[2:3], v[50:51]
	v_cvt_f32_f64_e32 v54, v[144:145]
	v_cvt_f32_f64_e32 v142, v[142:143]
	s_delay_alu instid0(VALU_DEP_3) | instskip(SKIP_2) | instid1(VALU_DEP_3)
	v_cvt_f32_f64_e32 v49, v[50:51]
	s_waitcnt lgkmcnt(3)
	v_add_f64 v[50:51], v[32:33], v[44:45]
	v_min3_f32 v99, v54, v142, v99
	s_delay_alu instid0(VALU_DEP_3) | instskip(SKIP_1) | instid1(VALU_DEP_4)
	v_min3_f32 v98, v48, v49, v98
	v_add_f64 v[48:49], v[34:35], v[46:47]
	v_cvt_f32_f64_e32 v50, v[50:51]
	s_delay_alu instid0(VALU_DEP_2) | instskip(NEXT) | instid1(VALU_DEP_1)
	v_cvt_f32_f64_e32 v48, v[48:49]
	v_min3_f32 v97, v50, v48, v97
	v_add_f64 v[48:49], v[30:31], v[46:47]
	v_add_f64 v[50:51], v[28:29], v[44:45]
	s_delay_alu instid0(VALU_DEP_2) | instskip(NEXT) | instid1(VALU_DEP_2)
	v_cvt_f32_f64_e32 v48, v[48:49]
	v_cvt_f32_f64_e32 v50, v[50:51]
	s_delay_alu instid0(VALU_DEP_1) | instskip(SKIP_2) | instid1(VALU_DEP_2)
	v_min3_f32 v96, v50, v48, v96
	v_add_f64 v[48:49], v[26:27], v[46:47]
	v_add_f64 v[50:51], v[24:25], v[44:45]
	v_cvt_f32_f64_e32 v48, v[48:49]
	s_delay_alu instid0(VALU_DEP_2) | instskip(NEXT) | instid1(VALU_DEP_1)
	v_cvt_f32_f64_e32 v50, v[50:51]
	v_min3_f32 v95, v50, v48, v95
	v_add_f64 v[48:49], v[22:23], v[46:47]
	v_add_f64 v[50:51], v[20:21], v[44:45]
	s_delay_alu instid0(VALU_DEP_2) | instskip(NEXT) | instid1(VALU_DEP_2)
	v_cvt_f32_f64_e32 v48, v[48:49]
	v_cvt_f32_f64_e32 v50, v[50:51]
	s_delay_alu instid0(VALU_DEP_1) | instskip(SKIP_2) | instid1(VALU_DEP_2)
	v_min3_f32 v94, v50, v48, v94
	v_add_f64 v[48:49], v[14:15], v[46:47]
	v_add_f64 v[50:51], v[12:13], v[44:45]
	v_cvt_f32_f64_e32 v48, v[48:49]
	s_delay_alu instid0(VALU_DEP_2) | instskip(NEXT) | instid1(VALU_DEP_1)
	v_cvt_f32_f64_e32 v50, v[50:51]
	v_min3_f32 v93, v50, v48, v93
	v_add_f64 v[48:49], v[10:11], v[46:47]
	v_add_f64 v[50:51], v[8:9], v[44:45]
	s_delay_alu instid0(VALU_DEP_2) | instskip(NEXT) | instid1(VALU_DEP_2)
	v_cvt_f32_f64_e32 v48, v[48:49]
	v_cvt_f32_f64_e32 v50, v[50:51]
	s_delay_alu instid0(VALU_DEP_1) | instskip(SKIP_4) | instid1(VALU_DEP_4)
	v_min3_f32 v92, v50, v48, v92
	v_add_f64 v[48:49], v[6:7], v[46:47]
	v_add_f64 v[50:51], v[4:5], v[44:45]
	;; [unrolled: 1-line block ×4, first 2 shown]
	v_cvt_f32_f64_e32 v48, v[48:49]
	s_delay_alu instid0(VALU_DEP_4) | instskip(NEXT) | instid1(VALU_DEP_3)
	v_cvt_f32_f64_e32 v50, v[50:51]
	v_cvt_f32_f64_e32 v44, v[44:45]
	;; [unrolled: 1-line block ×3, first 2 shown]
	s_waitcnt lgkmcnt(2)
	v_add_f64 v[46:47], v[32:33], v[40:41]
	s_delay_alu instid0(VALU_DEP_4) | instskip(NEXT) | instid1(VALU_DEP_3)
	v_min3_f32 v91, v50, v48, v91
	v_min3_f32 v90, v44, v45, v90
	v_add_f64 v[44:45], v[34:35], v[42:43]
	s_delay_alu instid0(VALU_DEP_4) | instskip(NEXT) | instid1(VALU_DEP_2)
	v_cvt_f32_f64_e32 v46, v[46:47]
	v_cvt_f32_f64_e32 v44, v[44:45]
	s_delay_alu instid0(VALU_DEP_1) | instskip(SKIP_2) | instid1(VALU_DEP_2)
	v_min3_f32 v89, v46, v44, v89
	v_add_f64 v[44:45], v[30:31], v[42:43]
	v_add_f64 v[46:47], v[28:29], v[40:41]
	v_cvt_f32_f64_e32 v44, v[44:45]
	s_delay_alu instid0(VALU_DEP_2) | instskip(NEXT) | instid1(VALU_DEP_1)
	v_cvt_f32_f64_e32 v46, v[46:47]
	v_min3_f32 v88, v46, v44, v88
	v_add_f64 v[44:45], v[26:27], v[42:43]
	v_add_f64 v[46:47], v[24:25], v[40:41]
	s_delay_alu instid0(VALU_DEP_2) | instskip(NEXT) | instid1(VALU_DEP_2)
	v_cvt_f32_f64_e32 v44, v[44:45]
	v_cvt_f32_f64_e32 v46, v[46:47]
	s_delay_alu instid0(VALU_DEP_1) | instskip(SKIP_2) | instid1(VALU_DEP_2)
	v_min3_f32 v87, v46, v44, v87
	v_add_f64 v[44:45], v[22:23], v[42:43]
	v_add_f64 v[46:47], v[20:21], v[40:41]
	v_cvt_f32_f64_e32 v44, v[44:45]
	s_delay_alu instid0(VALU_DEP_2) | instskip(NEXT) | instid1(VALU_DEP_1)
	v_cvt_f32_f64_e32 v46, v[46:47]
	v_min3_f32 v86, v46, v44, v86
	v_add_f64 v[44:45], v[14:15], v[42:43]
	v_add_f64 v[46:47], v[12:13], v[40:41]
	s_delay_alu instid0(VALU_DEP_2) | instskip(NEXT) | instid1(VALU_DEP_2)
	v_cvt_f32_f64_e32 v44, v[44:45]
	v_cvt_f32_f64_e32 v46, v[46:47]
	s_delay_alu instid0(VALU_DEP_1) | instskip(SKIP_2) | instid1(VALU_DEP_2)
	v_min3_f32 v85, v46, v44, v85
	v_add_f64 v[44:45], v[10:11], v[42:43]
	v_add_f64 v[46:47], v[8:9], v[40:41]
	v_cvt_f32_f64_e32 v44, v[44:45]
	s_delay_alu instid0(VALU_DEP_2) | instskip(NEXT) | instid1(VALU_DEP_1)
	v_cvt_f32_f64_e32 v46, v[46:47]
	v_min3_f32 v84, v46, v44, v84
	v_add_f64 v[44:45], v[6:7], v[42:43]
	v_add_f64 v[46:47], v[4:5], v[40:41]
	;; [unrolled: 1-line block ×4, first 2 shown]
	s_delay_alu instid0(VALU_DEP_4) | instskip(NEXT) | instid1(VALU_DEP_4)
	v_cvt_f32_f64_e32 v44, v[44:45]
	v_cvt_f32_f64_e32 v46, v[46:47]
	s_delay_alu instid0(VALU_DEP_3)
	v_cvt_f32_f64_e32 v40, v[40:41]
	v_cvt_f32_f64_e32 v41, v[42:43]
	s_waitcnt lgkmcnt(1)
	v_add_f64 v[42:43], v[32:33], v[36:37]
	s_waitcnt lgkmcnt(0)
	v_add_f64 v[32:33], v[32:33], v[16:17]
	v_min3_f32 v83, v46, v44, v83
	s_delay_alu instid0(VALU_DEP_4) | instskip(SKIP_4) | instid1(VALU_DEP_4)
	v_min3_f32 v82, v40, v41, v82
	v_add_f64 v[40:41], v[34:35], v[38:39]
	v_cvt_f32_f64_e32 v42, v[42:43]
	v_add_f64 v[34:35], v[34:35], v[18:19]
	v_cvt_f32_f64_e32 v32, v[32:33]
	v_cvt_f32_f64_e32 v40, v[40:41]
	s_delay_alu instid0(VALU_DEP_3) | instskip(NEXT) | instid1(VALU_DEP_2)
	v_cvt_f32_f64_e32 v33, v[34:35]
	v_min3_f32 v81, v42, v40, v81
	v_add_f64 v[40:41], v[30:31], v[38:39]
	v_add_f64 v[42:43], v[28:29], v[36:37]
	v_add_f64 v[30:31], v[30:31], v[18:19]
	v_add_f64 v[28:29], v[28:29], v[16:17]
	v_min3_f32 v73, v32, v33, v73
	v_cvt_f32_f64_e32 v40, v[40:41]
	v_cvt_f32_f64_e32 v42, v[42:43]
	s_delay_alu instid0(VALU_DEP_4) | instskip(SKIP_1) | instid1(VALU_DEP_3)
	v_cvt_f32_f64_e32 v28, v[28:29]
	v_cvt_f32_f64_e32 v29, v[30:31]
	v_min3_f32 v80, v42, v40, v80
	v_add_f64 v[40:41], v[26:27], v[38:39]
	v_add_f64 v[42:43], v[24:25], v[36:37]
	v_add_f64 v[26:27], v[26:27], v[18:19]
	v_add_f64 v[24:25], v[24:25], v[16:17]
	v_min3_f32 v72, v28, v29, v72
	v_cvt_f32_f64_e32 v40, v[40:41]
	v_cvt_f32_f64_e32 v42, v[42:43]
	s_delay_alu instid0(VALU_DEP_4) | instskip(SKIP_1) | instid1(VALU_DEP_3)
	v_cvt_f32_f64_e32 v24, v[24:25]
	;; [unrolled: 11-line block ×5, first 2 shown]
	v_cvt_f32_f64_e32 v9, v[10:11]
	v_min3_f32 v76, v42, v40, v76
	v_add_f64 v[40:41], v[6:7], v[38:39]
	v_add_f64 v[42:43], v[4:5], v[36:37]
	;; [unrolled: 1-line block ×8, first 2 shown]
	v_min3_f32 v68, v8, v9, v68
	v_cvt_f32_f64_e32 v40, v[40:41]
	v_cvt_f32_f64_e32 v42, v[42:43]
	;; [unrolled: 1-line block ×8, first 2 shown]
	v_min3_f32 v75, v42, v40, v75
	v_min3_f32 v74, v36, v37, v74
	;; [unrolled: 1-line block ×3, first 2 shown]
	s_delay_alu instid0(VALU_DEP_4)
	v_min3_f32 v66, v0, v1, v66
	s_cbranch_vccz .LBB159_53
; %bb.54:                               ;   in Loop: Header=BB159_30 Depth=1
	s_add_i32 s29, s29, 8
	s_add_i32 s14, s14, 8
	s_cmp_ge_i32 s29, s28
	ds_store_2addr_stride64_b64 v136, v[56:57], v[58:59] offset1:4
	ds_store_2addr_stride64_b64 v136, v[60:61], v[62:63] offset0:8 offset1:12
	ds_store_b64 v137, v[64:65]
	s_waitcnt lgkmcnt(0)
	s_barrier
	buffer_gl0_inv
	s_cbranch_scc0 .LBB159_30
.LBB159_55:
	s_mov_b32 s3, 0
	s_mov_b32 s2, -1
.LBB159_56:                             ; =>This Inner Loop Header: Depth=1
	s_lshl_b32 s3, s3, 3
	s_and_not1_b32 vcc_lo, exec_lo, s2
	v_lshl_add_u32 v0, v121, 5, s3
	v_lshl_add_u32 v16, v122, 5, s3
	s_mov_b32 s3, 2
	s_mov_b32 s2, 0
	ds_load_b128 v[32:35], v0 offset:8192
	ds_load_b128 v[28:31], v0 offset:9216
	ds_load_b128 v[24:27], v0 offset:10240
	ds_load_b128 v[20:23], v0 offset:11264
	ds_load_b128 v[12:15], v0 offset:12288
	ds_load_b128 v[8:11], v0 offset:13312
	ds_load_b128 v[4:7], v0 offset:14336
	ds_load_b128 v[0:3], v0 offset:15360
	ds_load_b128 v[52:55], v16 offset:18432
	ds_load_b128 v[56:59], v16 offset:18688
	ds_load_b128 v[60:63], v16 offset:18944
	ds_load_b128 v[48:51], v16 offset:19200
	ds_load_b128 v[44:47], v16 offset:19456
	ds_load_b128 v[40:43], v16 offset:19712
	ds_load_b128 v[36:39], v16 offset:19968
	ds_load_b128 v[16:19], v16 offset:20224
	s_waitcnt lgkmcnt(7)
	v_add_f64 v[64:65], v[34:35], v[54:55]
	v_add_f64 v[132:133], v[32:33], v[52:53]
	s_delay_alu instid0(VALU_DEP_2) | instskip(NEXT) | instid1(VALU_DEP_2)
	v_cvt_f32_f64_e32 v64, v[64:65]
	v_cvt_f32_f64_e32 v132, v[132:133]
	s_delay_alu instid0(VALU_DEP_1) | instskip(SKIP_2) | instid1(VALU_DEP_2)
	v_min3_f32 v131, v132, v64, v131
	v_add_f64 v[64:65], v[30:31], v[54:55]
	v_add_f64 v[132:133], v[28:29], v[52:53]
	v_cvt_f32_f64_e32 v64, v[64:65]
	s_delay_alu instid0(VALU_DEP_2) | instskip(NEXT) | instid1(VALU_DEP_1)
	v_cvt_f32_f64_e32 v132, v[132:133]
	v_min3_f32 v130, v132, v64, v130
	v_add_f64 v[64:65], v[26:27], v[54:55]
	v_add_f64 v[132:133], v[24:25], v[52:53]
	s_delay_alu instid0(VALU_DEP_2) | instskip(NEXT) | instid1(VALU_DEP_2)
	v_cvt_f32_f64_e32 v64, v[64:65]
	v_cvt_f32_f64_e32 v132, v[132:133]
	s_delay_alu instid0(VALU_DEP_1) | instskip(SKIP_2) | instid1(VALU_DEP_2)
	v_min3_f32 v129, v132, v64, v129
	v_add_f64 v[64:65], v[22:23], v[54:55]
	v_add_f64 v[132:133], v[20:21], v[52:53]
	v_cvt_f32_f64_e32 v64, v[64:65]
	s_delay_alu instid0(VALU_DEP_2) | instskip(NEXT) | instid1(VALU_DEP_1)
	v_cvt_f32_f64_e32 v132, v[132:133]
	v_min3_f32 v128, v132, v64, v128
	;; [unrolled: 13-line block ×3, first 2 shown]
	v_add_f64 v[64:65], v[6:7], v[54:55]
	v_add_f64 v[132:133], v[4:5], v[52:53]
	;; [unrolled: 1-line block ×4, first 2 shown]
	s_delay_alu instid0(VALU_DEP_4) | instskip(NEXT) | instid1(VALU_DEP_4)
	v_cvt_f32_f64_e32 v64, v[64:65]
	v_cvt_f32_f64_e32 v132, v[132:133]
	s_delay_alu instid0(VALU_DEP_3) | instskip(SKIP_3) | instid1(VALU_DEP_4)
	v_cvt_f32_f64_e32 v52, v[52:53]
	v_cvt_f32_f64_e32 v53, v[54:55]
	s_waitcnt lgkmcnt(6)
	v_add_f64 v[54:55], v[32:33], v[56:57]
	v_min3_f32 v125, v132, v64, v125
	s_delay_alu instid0(VALU_DEP_3) | instskip(SKIP_1) | instid1(VALU_DEP_4)
	v_min3_f32 v124, v52, v53, v124
	v_add_f64 v[52:53], v[34:35], v[58:59]
	v_cvt_f32_f64_e32 v54, v[54:55]
	s_delay_alu instid0(VALU_DEP_2) | instskip(NEXT) | instid1(VALU_DEP_1)
	v_cvt_f32_f64_e32 v52, v[52:53]
	v_min3_f32 v123, v54, v52, v123
	v_add_f64 v[52:53], v[30:31], v[58:59]
	v_add_f64 v[54:55], v[28:29], v[56:57]
	s_delay_alu instid0(VALU_DEP_2) | instskip(NEXT) | instid1(VALU_DEP_2)
	v_cvt_f32_f64_e32 v52, v[52:53]
	v_cvt_f32_f64_e32 v54, v[54:55]
	s_delay_alu instid0(VALU_DEP_1) | instskip(SKIP_2) | instid1(VALU_DEP_2)
	v_min3_f32 v120, v54, v52, v120
	v_add_f64 v[52:53], v[26:27], v[58:59]
	v_add_f64 v[54:55], v[24:25], v[56:57]
	v_cvt_f32_f64_e32 v52, v[52:53]
	s_delay_alu instid0(VALU_DEP_2) | instskip(NEXT) | instid1(VALU_DEP_1)
	v_cvt_f32_f64_e32 v54, v[54:55]
	v_min3_f32 v119, v54, v52, v119
	v_add_f64 v[52:53], v[22:23], v[58:59]
	v_add_f64 v[54:55], v[20:21], v[56:57]
	s_delay_alu instid0(VALU_DEP_2) | instskip(NEXT) | instid1(VALU_DEP_2)
	v_cvt_f32_f64_e32 v52, v[52:53]
	v_cvt_f32_f64_e32 v54, v[54:55]
	s_delay_alu instid0(VALU_DEP_1) | instskip(SKIP_2) | instid1(VALU_DEP_2)
	v_min3_f32 v118, v54, v52, v118
	v_add_f64 v[52:53], v[14:15], v[58:59]
	v_add_f64 v[54:55], v[12:13], v[56:57]
	v_cvt_f32_f64_e32 v52, v[52:53]
	s_delay_alu instid0(VALU_DEP_2) | instskip(NEXT) | instid1(VALU_DEP_1)
	v_cvt_f32_f64_e32 v54, v[54:55]
	v_min3_f32 v117, v54, v52, v117
	v_add_f64 v[52:53], v[10:11], v[58:59]
	v_add_f64 v[54:55], v[8:9], v[56:57]
	s_delay_alu instid0(VALU_DEP_2) | instskip(NEXT) | instid1(VALU_DEP_2)
	v_cvt_f32_f64_e32 v52, v[52:53]
	v_cvt_f32_f64_e32 v54, v[54:55]
	s_delay_alu instid0(VALU_DEP_1) | instskip(SKIP_2) | instid1(VALU_DEP_2)
	v_min3_f32 v116, v54, v52, v116
	v_add_f64 v[52:53], v[6:7], v[58:59]
	v_add_f64 v[54:55], v[4:5], v[56:57]
	v_cvt_f32_f64_e32 v52, v[52:53]
	s_delay_alu instid0(VALU_DEP_2) | instskip(NEXT) | instid1(VALU_DEP_1)
	v_cvt_f32_f64_e32 v54, v[54:55]
	v_min3_f32 v115, v54, v52, v115
	v_add_f64 v[52:53], v[2:3], v[58:59]
	v_add_f64 v[54:55], v[0:1], v[56:57]
	s_delay_alu instid0(VALU_DEP_2) | instskip(NEXT) | instid1(VALU_DEP_2)
	v_cvt_f32_f64_e32 v52, v[52:53]
	v_cvt_f32_f64_e32 v54, v[54:55]
	s_delay_alu instid0(VALU_DEP_1) | instskip(SKIP_3) | instid1(VALU_DEP_2)
	v_min3_f32 v114, v54, v52, v114
	s_waitcnt lgkmcnt(5)
	v_add_f64 v[52:53], v[34:35], v[62:63]
	v_add_f64 v[54:55], v[32:33], v[60:61]
	v_cvt_f32_f64_e32 v52, v[52:53]
	s_delay_alu instid0(VALU_DEP_2) | instskip(NEXT) | instid1(VALU_DEP_1)
	v_cvt_f32_f64_e32 v54, v[54:55]
	v_min3_f32 v113, v54, v52, v113
	v_add_f64 v[52:53], v[30:31], v[62:63]
	v_add_f64 v[54:55], v[28:29], v[60:61]
	s_delay_alu instid0(VALU_DEP_2) | instskip(NEXT) | instid1(VALU_DEP_2)
	v_cvt_f32_f64_e32 v52, v[52:53]
	v_cvt_f32_f64_e32 v54, v[54:55]
	s_delay_alu instid0(VALU_DEP_1) | instskip(SKIP_2) | instid1(VALU_DEP_2)
	v_min3_f32 v112, v54, v52, v112
	v_add_f64 v[52:53], v[26:27], v[62:63]
	v_add_f64 v[54:55], v[24:25], v[60:61]
	v_cvt_f32_f64_e32 v52, v[52:53]
	s_delay_alu instid0(VALU_DEP_2) | instskip(NEXT) | instid1(VALU_DEP_1)
	v_cvt_f32_f64_e32 v54, v[54:55]
	v_min3_f32 v111, v54, v52, v111
	v_add_f64 v[52:53], v[22:23], v[62:63]
	v_add_f64 v[54:55], v[20:21], v[60:61]
	s_delay_alu instid0(VALU_DEP_2) | instskip(NEXT) | instid1(VALU_DEP_2)
	v_cvt_f32_f64_e32 v52, v[52:53]
	v_cvt_f32_f64_e32 v54, v[54:55]
	s_delay_alu instid0(VALU_DEP_1) | instskip(SKIP_2) | instid1(VALU_DEP_2)
	v_min3_f32 v110, v54, v52, v110
	;; [unrolled: 13-line block ×3, first 2 shown]
	v_add_f64 v[52:53], v[6:7], v[62:63]
	v_add_f64 v[54:55], v[4:5], v[60:61]
	v_cvt_f32_f64_e32 v52, v[52:53]
	s_delay_alu instid0(VALU_DEP_2) | instskip(NEXT) | instid1(VALU_DEP_1)
	v_cvt_f32_f64_e32 v54, v[54:55]
	v_min3_f32 v107, v54, v52, v107
	v_add_f64 v[52:53], v[2:3], v[62:63]
	v_add_f64 v[54:55], v[0:1], v[60:61]
	s_delay_alu instid0(VALU_DEP_2) | instskip(NEXT) | instid1(VALU_DEP_2)
	v_cvt_f32_f64_e32 v52, v[52:53]
	v_cvt_f32_f64_e32 v54, v[54:55]
	s_delay_alu instid0(VALU_DEP_1) | instskip(SKIP_3) | instid1(VALU_DEP_2)
	v_min3_f32 v106, v54, v52, v106
	s_waitcnt lgkmcnt(4)
	v_add_f64 v[52:53], v[34:35], v[50:51]
	v_add_f64 v[54:55], v[32:33], v[48:49]
	v_cvt_f32_f64_e32 v52, v[52:53]
	s_delay_alu instid0(VALU_DEP_2) | instskip(NEXT) | instid1(VALU_DEP_1)
	v_cvt_f32_f64_e32 v54, v[54:55]
	v_min3_f32 v105, v54, v52, v105
	v_add_f64 v[52:53], v[30:31], v[50:51]
	v_add_f64 v[54:55], v[28:29], v[48:49]
	s_delay_alu instid0(VALU_DEP_2) | instskip(NEXT) | instid1(VALU_DEP_2)
	v_cvt_f32_f64_e32 v52, v[52:53]
	v_cvt_f32_f64_e32 v54, v[54:55]
	s_delay_alu instid0(VALU_DEP_1) | instskip(SKIP_2) | instid1(VALU_DEP_2)
	v_min3_f32 v104, v54, v52, v104
	v_add_f64 v[52:53], v[26:27], v[50:51]
	v_add_f64 v[54:55], v[24:25], v[48:49]
	v_cvt_f32_f64_e32 v52, v[52:53]
	s_delay_alu instid0(VALU_DEP_2) | instskip(NEXT) | instid1(VALU_DEP_1)
	v_cvt_f32_f64_e32 v54, v[54:55]
	v_min3_f32 v103, v54, v52, v103
	v_add_f64 v[52:53], v[22:23], v[50:51]
	v_add_f64 v[54:55], v[20:21], v[48:49]
	s_delay_alu instid0(VALU_DEP_2) | instskip(NEXT) | instid1(VALU_DEP_2)
	v_cvt_f32_f64_e32 v52, v[52:53]
	v_cvt_f32_f64_e32 v54, v[54:55]
	s_delay_alu instid0(VALU_DEP_1) | instskip(SKIP_2) | instid1(VALU_DEP_2)
	v_min3_f32 v102, v54, v52, v102
	v_add_f64 v[52:53], v[14:15], v[50:51]
	v_add_f64 v[54:55], v[12:13], v[48:49]
	v_cvt_f32_f64_e32 v52, v[52:53]
	s_delay_alu instid0(VALU_DEP_2) | instskip(NEXT) | instid1(VALU_DEP_1)
	v_cvt_f32_f64_e32 v54, v[54:55]
	v_min3_f32 v101, v54, v52, v101
	v_add_f64 v[52:53], v[10:11], v[50:51]
	v_add_f64 v[54:55], v[8:9], v[48:49]
	s_delay_alu instid0(VALU_DEP_2) | instskip(NEXT) | instid1(VALU_DEP_2)
	v_cvt_f32_f64_e32 v52, v[52:53]
	v_cvt_f32_f64_e32 v54, v[54:55]
	s_delay_alu instid0(VALU_DEP_1) | instskip(SKIP_4) | instid1(VALU_DEP_4)
	v_min3_f32 v100, v54, v52, v100
	v_add_f64 v[52:53], v[6:7], v[50:51]
	v_add_f64 v[54:55], v[4:5], v[48:49]
	;; [unrolled: 1-line block ×4, first 2 shown]
	v_cvt_f32_f64_e32 v52, v[52:53]
	s_delay_alu instid0(VALU_DEP_4) | instskip(NEXT) | instid1(VALU_DEP_3)
	v_cvt_f32_f64_e32 v54, v[54:55]
	v_cvt_f32_f64_e32 v48, v[48:49]
	;; [unrolled: 1-line block ×3, first 2 shown]
	s_waitcnt lgkmcnt(3)
	v_add_f64 v[50:51], v[32:33], v[44:45]
	s_delay_alu instid0(VALU_DEP_4) | instskip(NEXT) | instid1(VALU_DEP_3)
	v_min3_f32 v99, v54, v52, v99
	v_min3_f32 v98, v48, v49, v98
	v_add_f64 v[48:49], v[34:35], v[46:47]
	s_delay_alu instid0(VALU_DEP_4) | instskip(NEXT) | instid1(VALU_DEP_2)
	v_cvt_f32_f64_e32 v50, v[50:51]
	v_cvt_f32_f64_e32 v48, v[48:49]
	s_delay_alu instid0(VALU_DEP_1) | instskip(SKIP_2) | instid1(VALU_DEP_2)
	v_min3_f32 v97, v50, v48, v97
	v_add_f64 v[48:49], v[30:31], v[46:47]
	v_add_f64 v[50:51], v[28:29], v[44:45]
	v_cvt_f32_f64_e32 v48, v[48:49]
	s_delay_alu instid0(VALU_DEP_2) | instskip(NEXT) | instid1(VALU_DEP_1)
	v_cvt_f32_f64_e32 v50, v[50:51]
	v_min3_f32 v96, v50, v48, v96
	v_add_f64 v[48:49], v[26:27], v[46:47]
	v_add_f64 v[50:51], v[24:25], v[44:45]
	s_delay_alu instid0(VALU_DEP_2) | instskip(NEXT) | instid1(VALU_DEP_2)
	v_cvt_f32_f64_e32 v48, v[48:49]
	v_cvt_f32_f64_e32 v50, v[50:51]
	s_delay_alu instid0(VALU_DEP_1) | instskip(SKIP_2) | instid1(VALU_DEP_2)
	v_min3_f32 v95, v50, v48, v95
	v_add_f64 v[48:49], v[22:23], v[46:47]
	v_add_f64 v[50:51], v[20:21], v[44:45]
	v_cvt_f32_f64_e32 v48, v[48:49]
	s_delay_alu instid0(VALU_DEP_2) | instskip(NEXT) | instid1(VALU_DEP_1)
	v_cvt_f32_f64_e32 v50, v[50:51]
	v_min3_f32 v94, v50, v48, v94
	v_add_f64 v[48:49], v[14:15], v[46:47]
	v_add_f64 v[50:51], v[12:13], v[44:45]
	s_delay_alu instid0(VALU_DEP_2) | instskip(NEXT) | instid1(VALU_DEP_2)
	v_cvt_f32_f64_e32 v48, v[48:49]
	v_cvt_f32_f64_e32 v50, v[50:51]
	s_delay_alu instid0(VALU_DEP_1) | instskip(SKIP_2) | instid1(VALU_DEP_2)
	v_min3_f32 v93, v50, v48, v93
	v_add_f64 v[48:49], v[10:11], v[46:47]
	v_add_f64 v[50:51], v[8:9], v[44:45]
	v_cvt_f32_f64_e32 v48, v[48:49]
	s_delay_alu instid0(VALU_DEP_2) | instskip(NEXT) | instid1(VALU_DEP_1)
	v_cvt_f32_f64_e32 v50, v[50:51]
	v_min3_f32 v92, v50, v48, v92
	v_add_f64 v[48:49], v[6:7], v[46:47]
	v_add_f64 v[50:51], v[4:5], v[44:45]
	;; [unrolled: 1-line block ×4, first 2 shown]
	s_delay_alu instid0(VALU_DEP_4) | instskip(NEXT) | instid1(VALU_DEP_4)
	v_cvt_f32_f64_e32 v48, v[48:49]
	v_cvt_f32_f64_e32 v50, v[50:51]
	s_delay_alu instid0(VALU_DEP_3) | instskip(SKIP_3) | instid1(VALU_DEP_4)
	v_cvt_f32_f64_e32 v44, v[44:45]
	v_cvt_f32_f64_e32 v45, v[46:47]
	s_waitcnt lgkmcnt(2)
	v_add_f64 v[46:47], v[32:33], v[40:41]
	v_min3_f32 v91, v50, v48, v91
	s_delay_alu instid0(VALU_DEP_3) | instskip(SKIP_1) | instid1(VALU_DEP_4)
	v_min3_f32 v90, v44, v45, v90
	v_add_f64 v[44:45], v[34:35], v[42:43]
	v_cvt_f32_f64_e32 v46, v[46:47]
	s_delay_alu instid0(VALU_DEP_2) | instskip(NEXT) | instid1(VALU_DEP_1)
	v_cvt_f32_f64_e32 v44, v[44:45]
	v_min3_f32 v89, v46, v44, v89
	v_add_f64 v[44:45], v[30:31], v[42:43]
	v_add_f64 v[46:47], v[28:29], v[40:41]
	s_delay_alu instid0(VALU_DEP_2) | instskip(NEXT) | instid1(VALU_DEP_2)
	v_cvt_f32_f64_e32 v44, v[44:45]
	v_cvt_f32_f64_e32 v46, v[46:47]
	s_delay_alu instid0(VALU_DEP_1) | instskip(SKIP_2) | instid1(VALU_DEP_2)
	v_min3_f32 v88, v46, v44, v88
	v_add_f64 v[44:45], v[26:27], v[42:43]
	v_add_f64 v[46:47], v[24:25], v[40:41]
	v_cvt_f32_f64_e32 v44, v[44:45]
	s_delay_alu instid0(VALU_DEP_2) | instskip(NEXT) | instid1(VALU_DEP_1)
	v_cvt_f32_f64_e32 v46, v[46:47]
	v_min3_f32 v87, v46, v44, v87
	v_add_f64 v[44:45], v[22:23], v[42:43]
	v_add_f64 v[46:47], v[20:21], v[40:41]
	s_delay_alu instid0(VALU_DEP_2) | instskip(NEXT) | instid1(VALU_DEP_2)
	v_cvt_f32_f64_e32 v44, v[44:45]
	v_cvt_f32_f64_e32 v46, v[46:47]
	s_delay_alu instid0(VALU_DEP_1) | instskip(SKIP_2) | instid1(VALU_DEP_2)
	v_min3_f32 v86, v46, v44, v86
	v_add_f64 v[44:45], v[14:15], v[42:43]
	v_add_f64 v[46:47], v[12:13], v[40:41]
	v_cvt_f32_f64_e32 v44, v[44:45]
	s_delay_alu instid0(VALU_DEP_2) | instskip(NEXT) | instid1(VALU_DEP_1)
	v_cvt_f32_f64_e32 v46, v[46:47]
	v_min3_f32 v85, v46, v44, v85
	v_add_f64 v[44:45], v[10:11], v[42:43]
	v_add_f64 v[46:47], v[8:9], v[40:41]
	s_delay_alu instid0(VALU_DEP_2) | instskip(NEXT) | instid1(VALU_DEP_2)
	v_cvt_f32_f64_e32 v44, v[44:45]
	v_cvt_f32_f64_e32 v46, v[46:47]
	s_delay_alu instid0(VALU_DEP_1) | instskip(SKIP_4) | instid1(VALU_DEP_4)
	v_min3_f32 v84, v46, v44, v84
	v_add_f64 v[44:45], v[6:7], v[42:43]
	v_add_f64 v[46:47], v[4:5], v[40:41]
	;; [unrolled: 1-line block ×4, first 2 shown]
	v_cvt_f32_f64_e32 v44, v[44:45]
	s_delay_alu instid0(VALU_DEP_4) | instskip(NEXT) | instid1(VALU_DEP_3)
	v_cvt_f32_f64_e32 v46, v[46:47]
	v_cvt_f32_f64_e32 v40, v[40:41]
	;; [unrolled: 1-line block ×3, first 2 shown]
	s_waitcnt lgkmcnt(1)
	v_add_f64 v[42:43], v[32:33], v[36:37]
	s_waitcnt lgkmcnt(0)
	v_add_f64 v[32:33], v[32:33], v[16:17]
	v_min3_f32 v83, v46, v44, v83
	s_delay_alu instid0(VALU_DEP_4) | instskip(SKIP_4) | instid1(VALU_DEP_4)
	v_min3_f32 v82, v40, v41, v82
	v_add_f64 v[40:41], v[34:35], v[38:39]
	v_cvt_f32_f64_e32 v42, v[42:43]
	v_add_f64 v[34:35], v[34:35], v[18:19]
	v_cvt_f32_f64_e32 v32, v[32:33]
	v_cvt_f32_f64_e32 v40, v[40:41]
	s_delay_alu instid0(VALU_DEP_3) | instskip(NEXT) | instid1(VALU_DEP_2)
	v_cvt_f32_f64_e32 v33, v[34:35]
	v_min3_f32 v81, v42, v40, v81
	v_add_f64 v[40:41], v[30:31], v[38:39]
	v_add_f64 v[42:43], v[28:29], v[36:37]
	v_add_f64 v[30:31], v[30:31], v[18:19]
	v_add_f64 v[28:29], v[28:29], v[16:17]
	v_min3_f32 v73, v32, v33, v73
	v_cvt_f32_f64_e32 v40, v[40:41]
	v_cvt_f32_f64_e32 v42, v[42:43]
	s_delay_alu instid0(VALU_DEP_4) | instskip(SKIP_1) | instid1(VALU_DEP_3)
	v_cvt_f32_f64_e32 v28, v[28:29]
	v_cvt_f32_f64_e32 v29, v[30:31]
	v_min3_f32 v80, v42, v40, v80
	v_add_f64 v[40:41], v[26:27], v[38:39]
	v_add_f64 v[42:43], v[24:25], v[36:37]
	v_add_f64 v[26:27], v[26:27], v[18:19]
	v_add_f64 v[24:25], v[24:25], v[16:17]
	v_min3_f32 v72, v28, v29, v72
	v_cvt_f32_f64_e32 v40, v[40:41]
	v_cvt_f32_f64_e32 v42, v[42:43]
	s_delay_alu instid0(VALU_DEP_4) | instskip(SKIP_1) | instid1(VALU_DEP_3)
	v_cvt_f32_f64_e32 v24, v[24:25]
	;; [unrolled: 11-line block ×5, first 2 shown]
	v_cvt_f32_f64_e32 v9, v[10:11]
	v_min3_f32 v76, v42, v40, v76
	v_add_f64 v[40:41], v[6:7], v[38:39]
	v_add_f64 v[42:43], v[4:5], v[36:37]
	;; [unrolled: 1-line block ×8, first 2 shown]
	v_min3_f32 v68, v8, v9, v68
	v_cvt_f32_f64_e32 v40, v[40:41]
	v_cvt_f32_f64_e32 v42, v[42:43]
	;; [unrolled: 1-line block ×8, first 2 shown]
	v_min3_f32 v75, v42, v40, v75
	v_min3_f32 v74, v36, v37, v74
	;; [unrolled: 1-line block ×3, first 2 shown]
	s_delay_alu instid0(VALU_DEP_4)
	v_min3_f32 v66, v0, v1, v66
	s_cbranch_vccz .LBB159_56
; %bb.57:
	s_clause 0x2
	s_load_b64 s[2:3], s[0:1], 0x78
	s_load_b32 s18, s[0:1], 0x58
	s_load_b32 s14, s[0:1], 0x70
	v_add_nc_u32_e32 v19, s9, v122
	v_add_nc_u32_e32 v0, s8, v121
	v_cndmask_b32_e64 v18, 0, 1, s15
	s_delay_alu instid0(VALU_DEP_3) | instskip(NEXT) | instid1(VALU_DEP_3)
	v_cmp_gt_i32_e64 s8, s17, v19
	v_cmp_gt_i32_e64 s0, s16, v0
	v_ashrrev_i32_e32 v1, 31, v0
	s_waitcnt lgkmcnt(0)
	s_mul_i32 s1, s22, s3
	v_mad_i64_i32 v[2:3], null, v19, s18, 0
	v_mad_i64_i32 v[4:5], null, v19, s14, 0
	s_mul_hi_u32 s3, s22, s2
	s_mul_i32 s2, s22, s2
	s_add_i32 s3, s3, s1
	s_delay_alu instid0(SALU_CYCLE_1) | instskip(NEXT) | instid1(VALU_DEP_2)
	s_lshl_b64 s[2:3], s[2:3], 3
	v_lshlrev_b64 v[2:3], 3, v[2:3]
	s_delay_alu instid0(VALU_DEP_2) | instskip(SKIP_3) | instid1(VALU_DEP_2)
	v_lshlrev_b64 v[4:5], 3, v[4:5]
	s_add_u32 s9, s10, s2
	s_addc_u32 s10, s11, s3
	s_and_b32 s2, s0, s8
	v_add_co_u32 v16, vcc_lo, s20, v2
	v_add_co_ci_u32_e32 v17, vcc_lo, s21, v3, vcc_lo
	v_add_co_u32 v20, vcc_lo, s9, v4
	v_add_co_ci_u32_e32 v21, vcc_lo, s10, v5, vcc_lo
	s_and_saveexec_b32 s1, s2
	s_cbranch_execz .LBB159_62
; %bb.58:
	s_and_not1_b32 vcc_lo, exec_lo, s15
	s_cbranch_vccnz .LBB159_60
; %bb.59:
	v_lshlrev_b64 v[2:3], 3, v[0:1]
	s_delay_alu instid0(VALU_DEP_1) | instskip(NEXT) | instid1(VALU_DEP_2)
	v_add_co_u32 v2, vcc_lo, v16, v2
	v_add_co_ci_u32_e32 v3, vcc_lo, v17, v3, vcc_lo
	flat_load_b64 v[2:3], v[2:3]
	s_waitcnt vmcnt(0) lgkmcnt(0)
	v_mul_f64 v[2:3], s[12:13], v[2:3]
	s_branch .LBB159_61
.LBB159_60:
	v_mov_b32_e32 v2, 0
	v_mov_b32_e32 v3, 0
.LBB159_61:
	s_delay_alu instid0(VALU_DEP_1) | instskip(SKIP_2) | instid1(VALU_DEP_1)
	v_cvt_f32_f64_e32 v2, v[2:3]
	v_max_f32_e32 v3, v131, v131
	v_lshlrev_b64 v[4:5], 3, v[0:1]
	v_add_co_u32 v4, vcc_lo, v20, v4
	s_delay_alu instid0(VALU_DEP_2) | instskip(NEXT) | instid1(VALU_DEP_4)
	v_add_co_ci_u32_e32 v5, vcc_lo, v21, v5, vcc_lo
	v_min_f32_e32 v2, v2, v3
	s_delay_alu instid0(VALU_DEP_1)
	v_cvt_f64_f32_e32 v[2:3], v2
	global_store_b64 v[4:5], v[2:3], off
.LBB159_62:
	s_or_b32 exec_lo, exec_lo, s1
	v_add_nc_u32_e32 v2, 32, v0
	s_delay_alu instid0(VALU_DEP_1) | instskip(SKIP_1) | instid1(VALU_DEP_2)
	v_cmp_gt_i32_e64 s1, s16, v2
	v_ashrrev_i32_e32 v3, 31, v2
	s_and_b32 s3, s1, s8
	s_delay_alu instid0(SALU_CYCLE_1)
	s_and_saveexec_b32 s2, s3
	s_cbranch_execz .LBB159_67
; %bb.63:
	v_cmp_ne_u32_e32 vcc_lo, 1, v18
	s_cbranch_vccnz .LBB159_65
; %bb.64:
	v_lshlrev_b64 v[4:5], 3, v[2:3]
	s_delay_alu instid0(VALU_DEP_1) | instskip(NEXT) | instid1(VALU_DEP_2)
	v_add_co_u32 v4, vcc_lo, v16, v4
	v_add_co_ci_u32_e32 v5, vcc_lo, v17, v5, vcc_lo
	flat_load_b64 v[4:5], v[4:5]
	s_waitcnt vmcnt(0) lgkmcnt(0)
	v_mul_f64 v[4:5], s[12:13], v[4:5]
	s_branch .LBB159_66
.LBB159_65:
	v_mov_b32_e32 v4, 0
	v_mov_b32_e32 v5, 0
.LBB159_66:
	s_delay_alu instid0(VALU_DEP_1) | instskip(SKIP_2) | instid1(VALU_DEP_1)
	v_cvt_f32_f64_e32 v4, v[4:5]
	v_max_f32_e32 v5, v130, v130
	v_lshlrev_b64 v[6:7], 3, v[2:3]
	v_add_co_u32 v6, vcc_lo, v20, v6
	s_delay_alu instid0(VALU_DEP_2) | instskip(NEXT) | instid1(VALU_DEP_4)
	v_add_co_ci_u32_e32 v7, vcc_lo, v21, v7, vcc_lo
	v_min_f32_e32 v4, v4, v5
	s_delay_alu instid0(VALU_DEP_1)
	v_cvt_f64_f32_e32 v[4:5], v4
	global_store_b64 v[6:7], v[4:5], off
.LBB159_67:
	s_or_b32 exec_lo, exec_lo, s2
	v_add_nc_u32_e32 v4, 64, v0
	s_delay_alu instid0(VALU_DEP_1) | instskip(SKIP_1) | instid1(VALU_DEP_2)
	v_cmp_gt_i32_e64 s2, s16, v4
	v_ashrrev_i32_e32 v5, 31, v4
	s_and_b32 s4, s2, s8
	s_delay_alu instid0(SALU_CYCLE_1)
	s_and_saveexec_b32 s3, s4
	s_cbranch_execz .LBB159_72
; %bb.68:
	v_cmp_ne_u32_e32 vcc_lo, 1, v18
	s_cbranch_vccnz .LBB159_70
; %bb.69:
	v_lshlrev_b64 v[6:7], 3, v[4:5]
	s_delay_alu instid0(VALU_DEP_1) | instskip(NEXT) | instid1(VALU_DEP_2)
	v_add_co_u32 v6, vcc_lo, v16, v6
	v_add_co_ci_u32_e32 v7, vcc_lo, v17, v7, vcc_lo
	flat_load_b64 v[6:7], v[6:7]
	s_waitcnt vmcnt(0) lgkmcnt(0)
	v_mul_f64 v[6:7], s[12:13], v[6:7]
	s_branch .LBB159_71
.LBB159_70:
	v_mov_b32_e32 v6, 0
	v_mov_b32_e32 v7, 0
.LBB159_71:
	s_delay_alu instid0(VALU_DEP_1) | instskip(SKIP_2) | instid1(VALU_DEP_1)
	v_cvt_f32_f64_e32 v6, v[6:7]
	v_max_f32_e32 v7, v129, v129
	v_lshlrev_b64 v[8:9], 3, v[4:5]
	v_add_co_u32 v8, vcc_lo, v20, v8
	s_delay_alu instid0(VALU_DEP_2) | instskip(NEXT) | instid1(VALU_DEP_4)
	v_add_co_ci_u32_e32 v9, vcc_lo, v21, v9, vcc_lo
	v_min_f32_e32 v6, v6, v7
	s_delay_alu instid0(VALU_DEP_1)
	v_cvt_f64_f32_e32 v[6:7], v6
	global_store_b64 v[8:9], v[6:7], off
.LBB159_72:
	;; [unrolled: 37-line block ×7, first 2 shown]
	s_or_b32 exec_lo, exec_lo, s8
	v_add_nc_u32_e32 v22, 8, v19
	s_delay_alu instid0(VALU_DEP_1) | instskip(SKIP_2) | instid1(VALU_DEP_3)
	v_mad_i64_i32 v[16:17], null, v22, s18, 0
	v_mad_i64_i32 v[20:21], null, v22, s14, 0
	v_cmp_gt_i32_e64 s8, s17, v22
	v_lshlrev_b64 v[16:17], 3, v[16:17]
	s_delay_alu instid0(VALU_DEP_2) | instskip(NEXT) | instid1(VALU_DEP_3)
	s_and_b32 s15, s0, s8
	v_lshlrev_b64 v[20:21], 3, v[20:21]
	s_delay_alu instid0(VALU_DEP_2) | instskip(NEXT) | instid1(VALU_DEP_3)
	v_add_co_u32 v22, vcc_lo, s20, v16
	v_add_co_ci_u32_e32 v23, vcc_lo, s21, v17, vcc_lo
	s_delay_alu instid0(VALU_DEP_3) | instskip(NEXT) | instid1(VALU_DEP_4)
	v_add_co_u32 v20, vcc_lo, s9, v20
	v_add_co_ci_u32_e32 v21, vcc_lo, s10, v21, vcc_lo
	s_and_saveexec_b32 s11, s15
	s_cbranch_execnz .LBB159_105
; %bb.98:
	s_or_b32 exec_lo, exec_lo, s11
	s_and_b32 s15, s1, s8
	s_delay_alu instid0(SALU_CYCLE_1)
	s_and_saveexec_b32 s11, s15
	s_cbranch_execnz .LBB159_109
.LBB159_99:
	s_or_b32 exec_lo, exec_lo, s11
	s_and_b32 s15, s2, s8
	s_delay_alu instid0(SALU_CYCLE_1)
	s_and_saveexec_b32 s11, s15
	s_cbranch_execnz .LBB159_113
.LBB159_100:
	s_or_b32 exec_lo, exec_lo, s11
	s_and_b32 s15, s3, s8
	s_delay_alu instid0(SALU_CYCLE_1)
	s_and_saveexec_b32 s11, s15
	s_cbranch_execnz .LBB159_117
.LBB159_101:
	s_or_b32 exec_lo, exec_lo, s11
	s_and_b32 s15, s4, s8
	s_delay_alu instid0(SALU_CYCLE_1)
	s_and_saveexec_b32 s11, s15
	s_cbranch_execnz .LBB159_121
.LBB159_102:
	s_or_b32 exec_lo, exec_lo, s11
	s_and_b32 s15, s5, s8
	s_delay_alu instid0(SALU_CYCLE_1)
	s_and_saveexec_b32 s11, s15
	s_cbranch_execnz .LBB159_125
.LBB159_103:
	s_or_b32 exec_lo, exec_lo, s11
	s_and_b32 s15, s6, s8
	s_delay_alu instid0(SALU_CYCLE_1)
	s_and_saveexec_b32 s11, s15
	s_cbranch_execnz .LBB159_129
.LBB159_104:
	s_or_b32 exec_lo, exec_lo, s11
	s_and_b32 s11, s7, s8
	s_delay_alu instid0(SALU_CYCLE_1)
	s_and_saveexec_b32 s8, s11
	s_cbranch_execnz .LBB159_133
	s_branch .LBB159_137
.LBB159_105:
	v_cmp_ne_u32_e32 vcc_lo, 1, v18
	s_cbranch_vccnz .LBB159_107
; %bb.106:
	v_lshlrev_b64 v[16:17], 3, v[0:1]
	s_delay_alu instid0(VALU_DEP_1) | instskip(NEXT) | instid1(VALU_DEP_2)
	v_add_co_u32 v16, vcc_lo, v22, v16
	v_add_co_ci_u32_e32 v17, vcc_lo, v23, v17, vcc_lo
	flat_load_b64 v[16:17], v[16:17]
	s_waitcnt vmcnt(0) lgkmcnt(0)
	v_mul_f64 v[16:17], s[12:13], v[16:17]
	s_branch .LBB159_108
.LBB159_107:
	v_mov_b32_e32 v16, 0
	v_mov_b32_e32 v17, 0
.LBB159_108:
	s_delay_alu instid0(VALU_DEP_1) | instskip(SKIP_2) | instid1(VALU_DEP_1)
	v_cvt_f32_f64_e32 v16, v[16:17]
	v_max_f32_e32 v17, v123, v123
	v_lshlrev_b64 v[24:25], 3, v[0:1]
	v_add_co_u32 v24, vcc_lo, v20, v24
	s_delay_alu instid0(VALU_DEP_2) | instskip(NEXT) | instid1(VALU_DEP_4)
	v_add_co_ci_u32_e32 v25, vcc_lo, v21, v25, vcc_lo
	v_min_f32_e32 v16, v16, v17
	s_delay_alu instid0(VALU_DEP_1) | instskip(SKIP_3) | instid1(SALU_CYCLE_1)
	v_cvt_f64_f32_e32 v[16:17], v16
	global_store_b64 v[24:25], v[16:17], off
	s_or_b32 exec_lo, exec_lo, s11
	s_and_b32 s15, s1, s8
	s_and_saveexec_b32 s11, s15
	s_cbranch_execz .LBB159_99
.LBB159_109:
	v_cmp_ne_u32_e32 vcc_lo, 1, v18
	s_cbranch_vccnz .LBB159_111
; %bb.110:
	v_lshlrev_b64 v[16:17], 3, v[2:3]
	s_delay_alu instid0(VALU_DEP_1) | instskip(NEXT) | instid1(VALU_DEP_2)
	v_add_co_u32 v16, vcc_lo, v22, v16
	v_add_co_ci_u32_e32 v17, vcc_lo, v23, v17, vcc_lo
	flat_load_b64 v[16:17], v[16:17]
	s_waitcnt vmcnt(0) lgkmcnt(0)
	v_mul_f64 v[16:17], s[12:13], v[16:17]
	s_branch .LBB159_112
.LBB159_111:
	v_mov_b32_e32 v16, 0
	v_mov_b32_e32 v17, 0
.LBB159_112:
	s_delay_alu instid0(VALU_DEP_1) | instskip(SKIP_2) | instid1(VALU_DEP_1)
	v_cvt_f32_f64_e32 v16, v[16:17]
	v_max_f32_e32 v17, v120, v120
	v_lshlrev_b64 v[24:25], 3, v[2:3]
	v_add_co_u32 v24, vcc_lo, v20, v24
	s_delay_alu instid0(VALU_DEP_2) | instskip(NEXT) | instid1(VALU_DEP_4)
	v_add_co_ci_u32_e32 v25, vcc_lo, v21, v25, vcc_lo
	v_min_f32_e32 v16, v16, v17
	s_delay_alu instid0(VALU_DEP_1) | instskip(SKIP_3) | instid1(SALU_CYCLE_1)
	v_cvt_f64_f32_e32 v[16:17], v16
	global_store_b64 v[24:25], v[16:17], off
	s_or_b32 exec_lo, exec_lo, s11
	s_and_b32 s15, s2, s8
	s_and_saveexec_b32 s11, s15
	s_cbranch_execz .LBB159_100
.LBB159_113:
	v_cmp_ne_u32_e32 vcc_lo, 1, v18
	s_cbranch_vccnz .LBB159_115
; %bb.114:
	v_lshlrev_b64 v[16:17], 3, v[4:5]
	s_delay_alu instid0(VALU_DEP_1) | instskip(NEXT) | instid1(VALU_DEP_2)
	v_add_co_u32 v16, vcc_lo, v22, v16
	v_add_co_ci_u32_e32 v17, vcc_lo, v23, v17, vcc_lo
	flat_load_b64 v[16:17], v[16:17]
	s_waitcnt vmcnt(0) lgkmcnt(0)
	v_mul_f64 v[16:17], s[12:13], v[16:17]
	s_branch .LBB159_116
.LBB159_115:
	v_mov_b32_e32 v16, 0
	v_mov_b32_e32 v17, 0
.LBB159_116:
	s_delay_alu instid0(VALU_DEP_1) | instskip(SKIP_2) | instid1(VALU_DEP_1)
	v_cvt_f32_f64_e32 v16, v[16:17]
	v_max_f32_e32 v17, v119, v119
	v_lshlrev_b64 v[24:25], 3, v[4:5]
	v_add_co_u32 v24, vcc_lo, v20, v24
	s_delay_alu instid0(VALU_DEP_2) | instskip(NEXT) | instid1(VALU_DEP_4)
	v_add_co_ci_u32_e32 v25, vcc_lo, v21, v25, vcc_lo
	v_min_f32_e32 v16, v16, v17
	s_delay_alu instid0(VALU_DEP_1) | instskip(SKIP_3) | instid1(SALU_CYCLE_1)
	v_cvt_f64_f32_e32 v[16:17], v16
	global_store_b64 v[24:25], v[16:17], off
	s_or_b32 exec_lo, exec_lo, s11
	s_and_b32 s15, s3, s8
	s_and_saveexec_b32 s11, s15
	s_cbranch_execz .LBB159_101
.LBB159_117:
	v_cmp_ne_u32_e32 vcc_lo, 1, v18
	s_cbranch_vccnz .LBB159_119
; %bb.118:
	v_lshlrev_b64 v[16:17], 3, v[6:7]
	s_delay_alu instid0(VALU_DEP_1) | instskip(NEXT) | instid1(VALU_DEP_2)
	v_add_co_u32 v16, vcc_lo, v22, v16
	v_add_co_ci_u32_e32 v17, vcc_lo, v23, v17, vcc_lo
	flat_load_b64 v[16:17], v[16:17]
	s_waitcnt vmcnt(0) lgkmcnt(0)
	v_mul_f64 v[16:17], s[12:13], v[16:17]
	s_branch .LBB159_120
.LBB159_119:
	v_mov_b32_e32 v16, 0
	v_mov_b32_e32 v17, 0
.LBB159_120:
	s_delay_alu instid0(VALU_DEP_1) | instskip(SKIP_2) | instid1(VALU_DEP_1)
	v_cvt_f32_f64_e32 v16, v[16:17]
	v_max_f32_e32 v17, v118, v118
	v_lshlrev_b64 v[24:25], 3, v[6:7]
	v_add_co_u32 v24, vcc_lo, v20, v24
	s_delay_alu instid0(VALU_DEP_2) | instskip(NEXT) | instid1(VALU_DEP_4)
	v_add_co_ci_u32_e32 v25, vcc_lo, v21, v25, vcc_lo
	v_min_f32_e32 v16, v16, v17
	s_delay_alu instid0(VALU_DEP_1) | instskip(SKIP_3) | instid1(SALU_CYCLE_1)
	v_cvt_f64_f32_e32 v[16:17], v16
	global_store_b64 v[24:25], v[16:17], off
	s_or_b32 exec_lo, exec_lo, s11
	s_and_b32 s15, s4, s8
	s_and_saveexec_b32 s11, s15
	s_cbranch_execz .LBB159_102
.LBB159_121:
	v_cmp_ne_u32_e32 vcc_lo, 1, v18
	s_cbranch_vccnz .LBB159_123
; %bb.122:
	v_lshlrev_b64 v[16:17], 3, v[8:9]
	s_delay_alu instid0(VALU_DEP_1) | instskip(NEXT) | instid1(VALU_DEP_2)
	v_add_co_u32 v16, vcc_lo, v22, v16
	v_add_co_ci_u32_e32 v17, vcc_lo, v23, v17, vcc_lo
	flat_load_b64 v[16:17], v[16:17]
	s_waitcnt vmcnt(0) lgkmcnt(0)
	v_mul_f64 v[16:17], s[12:13], v[16:17]
	s_branch .LBB159_124
.LBB159_123:
	v_mov_b32_e32 v16, 0
	v_mov_b32_e32 v17, 0
.LBB159_124:
	s_delay_alu instid0(VALU_DEP_1) | instskip(SKIP_2) | instid1(VALU_DEP_1)
	v_cvt_f32_f64_e32 v16, v[16:17]
	v_max_f32_e32 v17, v117, v117
	v_lshlrev_b64 v[24:25], 3, v[8:9]
	v_add_co_u32 v24, vcc_lo, v20, v24
	s_delay_alu instid0(VALU_DEP_2) | instskip(NEXT) | instid1(VALU_DEP_4)
	v_add_co_ci_u32_e32 v25, vcc_lo, v21, v25, vcc_lo
	v_min_f32_e32 v16, v16, v17
	s_delay_alu instid0(VALU_DEP_1) | instskip(SKIP_3) | instid1(SALU_CYCLE_1)
	v_cvt_f64_f32_e32 v[16:17], v16
	global_store_b64 v[24:25], v[16:17], off
	s_or_b32 exec_lo, exec_lo, s11
	s_and_b32 s15, s5, s8
	s_and_saveexec_b32 s11, s15
	s_cbranch_execz .LBB159_103
.LBB159_125:
	v_cmp_ne_u32_e32 vcc_lo, 1, v18
	s_cbranch_vccnz .LBB159_127
; %bb.126:
	v_lshlrev_b64 v[16:17], 3, v[10:11]
	s_delay_alu instid0(VALU_DEP_1) | instskip(NEXT) | instid1(VALU_DEP_2)
	v_add_co_u32 v16, vcc_lo, v22, v16
	v_add_co_ci_u32_e32 v17, vcc_lo, v23, v17, vcc_lo
	flat_load_b64 v[16:17], v[16:17]
	s_waitcnt vmcnt(0) lgkmcnt(0)
	v_mul_f64 v[16:17], s[12:13], v[16:17]
	s_branch .LBB159_128
.LBB159_127:
	v_mov_b32_e32 v16, 0
	v_mov_b32_e32 v17, 0
.LBB159_128:
	s_delay_alu instid0(VALU_DEP_1) | instskip(SKIP_2) | instid1(VALU_DEP_1)
	v_cvt_f32_f64_e32 v16, v[16:17]
	v_max_f32_e32 v17, v116, v116
	v_lshlrev_b64 v[24:25], 3, v[10:11]
	v_add_co_u32 v24, vcc_lo, v20, v24
	s_delay_alu instid0(VALU_DEP_2) | instskip(NEXT) | instid1(VALU_DEP_4)
	v_add_co_ci_u32_e32 v25, vcc_lo, v21, v25, vcc_lo
	v_min_f32_e32 v16, v16, v17
	s_delay_alu instid0(VALU_DEP_1) | instskip(SKIP_3) | instid1(SALU_CYCLE_1)
	v_cvt_f64_f32_e32 v[16:17], v16
	global_store_b64 v[24:25], v[16:17], off
	s_or_b32 exec_lo, exec_lo, s11
	s_and_b32 s15, s6, s8
	s_and_saveexec_b32 s11, s15
	s_cbranch_execz .LBB159_104
.LBB159_129:
	v_cmp_ne_u32_e32 vcc_lo, 1, v18
	s_cbranch_vccnz .LBB159_131
; %bb.130:
	v_lshlrev_b64 v[16:17], 3, v[12:13]
	s_delay_alu instid0(VALU_DEP_1) | instskip(NEXT) | instid1(VALU_DEP_2)
	v_add_co_u32 v16, vcc_lo, v22, v16
	v_add_co_ci_u32_e32 v17, vcc_lo, v23, v17, vcc_lo
	flat_load_b64 v[16:17], v[16:17]
	s_waitcnt vmcnt(0) lgkmcnt(0)
	v_mul_f64 v[16:17], s[12:13], v[16:17]
	s_branch .LBB159_132
.LBB159_131:
	v_mov_b32_e32 v16, 0
	v_mov_b32_e32 v17, 0
.LBB159_132:
	s_delay_alu instid0(VALU_DEP_1) | instskip(SKIP_2) | instid1(VALU_DEP_1)
	v_cvt_f32_f64_e32 v16, v[16:17]
	v_max_f32_e32 v17, v115, v115
	v_lshlrev_b64 v[24:25], 3, v[12:13]
	v_add_co_u32 v24, vcc_lo, v20, v24
	s_delay_alu instid0(VALU_DEP_2) | instskip(NEXT) | instid1(VALU_DEP_4)
	v_add_co_ci_u32_e32 v25, vcc_lo, v21, v25, vcc_lo
	v_min_f32_e32 v16, v16, v17
	s_delay_alu instid0(VALU_DEP_1) | instskip(SKIP_3) | instid1(SALU_CYCLE_1)
	v_cvt_f64_f32_e32 v[16:17], v16
	global_store_b64 v[24:25], v[16:17], off
	s_or_b32 exec_lo, exec_lo, s11
	s_and_b32 s11, s7, s8
	s_and_saveexec_b32 s8, s11
	s_cbranch_execz .LBB159_137
.LBB159_133:
	v_cmp_ne_u32_e32 vcc_lo, 1, v18
	s_cbranch_vccnz .LBB159_135
; %bb.134:
	v_lshlrev_b64 v[16:17], 3, v[14:15]
	s_delay_alu instid0(VALU_DEP_1) | instskip(NEXT) | instid1(VALU_DEP_2)
	v_add_co_u32 v16, vcc_lo, v22, v16
	v_add_co_ci_u32_e32 v17, vcc_lo, v23, v17, vcc_lo
	flat_load_b64 v[16:17], v[16:17]
	s_waitcnt vmcnt(0) lgkmcnt(0)
	v_mul_f64 v[16:17], s[12:13], v[16:17]
	s_branch .LBB159_136
.LBB159_135:
	v_mov_b32_e32 v16, 0
	v_mov_b32_e32 v17, 0
.LBB159_136:
	s_delay_alu instid0(VALU_DEP_1) | instskip(SKIP_2) | instid1(VALU_DEP_1)
	v_cvt_f32_f64_e32 v16, v[16:17]
	v_max_f32_e32 v17, v114, v114
	v_lshlrev_b64 v[22:23], 3, v[14:15]
	v_add_co_u32 v20, vcc_lo, v20, v22
	s_delay_alu instid0(VALU_DEP_2) | instskip(NEXT) | instid1(VALU_DEP_4)
	v_add_co_ci_u32_e32 v21, vcc_lo, v21, v23, vcc_lo
	v_min_f32_e32 v16, v16, v17
	s_delay_alu instid0(VALU_DEP_1)
	v_cvt_f64_f32_e32 v[16:17], v16
	global_store_b64 v[20:21], v[16:17], off
.LBB159_137:
	s_or_b32 exec_lo, exec_lo, s8
	v_add_nc_u32_e32 v22, 16, v19
	s_delay_alu instid0(VALU_DEP_1) | instskip(SKIP_2) | instid1(VALU_DEP_3)
	v_mad_i64_i32 v[16:17], null, v22, s18, 0
	v_mad_i64_i32 v[20:21], null, v22, s14, 0
	v_cmp_gt_i32_e64 s8, s17, v22
	v_lshlrev_b64 v[16:17], 3, v[16:17]
	s_delay_alu instid0(VALU_DEP_2) | instskip(NEXT) | instid1(VALU_DEP_3)
	s_and_b32 s15, s0, s8
	v_lshlrev_b64 v[20:21], 3, v[20:21]
	s_delay_alu instid0(VALU_DEP_2) | instskip(NEXT) | instid1(VALU_DEP_3)
	v_add_co_u32 v22, vcc_lo, s20, v16
	v_add_co_ci_u32_e32 v23, vcc_lo, s21, v17, vcc_lo
	s_delay_alu instid0(VALU_DEP_3) | instskip(NEXT) | instid1(VALU_DEP_4)
	v_add_co_u32 v20, vcc_lo, s9, v20
	v_add_co_ci_u32_e32 v21, vcc_lo, s10, v21, vcc_lo
	s_and_saveexec_b32 s11, s15
	s_cbranch_execnz .LBB159_145
; %bb.138:
	s_or_b32 exec_lo, exec_lo, s11
	s_and_b32 s15, s1, s8
	s_delay_alu instid0(SALU_CYCLE_1)
	s_and_saveexec_b32 s11, s15
	s_cbranch_execnz .LBB159_149
.LBB159_139:
	s_or_b32 exec_lo, exec_lo, s11
	s_and_b32 s15, s2, s8
	s_delay_alu instid0(SALU_CYCLE_1)
	s_and_saveexec_b32 s11, s15
	s_cbranch_execnz .LBB159_153
.LBB159_140:
	s_or_b32 exec_lo, exec_lo, s11
	s_and_b32 s15, s3, s8
	s_delay_alu instid0(SALU_CYCLE_1)
	s_and_saveexec_b32 s11, s15
	s_cbranch_execnz .LBB159_157
.LBB159_141:
	s_or_b32 exec_lo, exec_lo, s11
	s_and_b32 s15, s4, s8
	s_delay_alu instid0(SALU_CYCLE_1)
	s_and_saveexec_b32 s11, s15
	s_cbranch_execnz .LBB159_161
.LBB159_142:
	s_or_b32 exec_lo, exec_lo, s11
	s_and_b32 s15, s5, s8
	s_delay_alu instid0(SALU_CYCLE_1)
	s_and_saveexec_b32 s11, s15
	s_cbranch_execnz .LBB159_165
.LBB159_143:
	s_or_b32 exec_lo, exec_lo, s11
	s_and_b32 s15, s6, s8
	s_delay_alu instid0(SALU_CYCLE_1)
	s_and_saveexec_b32 s11, s15
	s_cbranch_execnz .LBB159_169
.LBB159_144:
	s_or_b32 exec_lo, exec_lo, s11
	s_and_b32 s11, s7, s8
	s_delay_alu instid0(SALU_CYCLE_1)
	s_and_saveexec_b32 s8, s11
	s_cbranch_execnz .LBB159_173
	s_branch .LBB159_177
.LBB159_145:
	v_cmp_ne_u32_e32 vcc_lo, 1, v18
	s_cbranch_vccnz .LBB159_147
; %bb.146:
	v_lshlrev_b64 v[16:17], 3, v[0:1]
	s_delay_alu instid0(VALU_DEP_1) | instskip(NEXT) | instid1(VALU_DEP_2)
	v_add_co_u32 v16, vcc_lo, v22, v16
	v_add_co_ci_u32_e32 v17, vcc_lo, v23, v17, vcc_lo
	flat_load_b64 v[16:17], v[16:17]
	s_waitcnt vmcnt(0) lgkmcnt(0)
	v_mul_f64 v[16:17], s[12:13], v[16:17]
	s_branch .LBB159_148
.LBB159_147:
	v_mov_b32_e32 v16, 0
	v_mov_b32_e32 v17, 0
.LBB159_148:
	s_delay_alu instid0(VALU_DEP_1) | instskip(SKIP_2) | instid1(VALU_DEP_1)
	v_cvt_f32_f64_e32 v16, v[16:17]
	v_max_f32_e32 v17, v113, v113
	v_lshlrev_b64 v[24:25], 3, v[0:1]
	v_add_co_u32 v24, vcc_lo, v20, v24
	s_delay_alu instid0(VALU_DEP_2) | instskip(NEXT) | instid1(VALU_DEP_4)
	v_add_co_ci_u32_e32 v25, vcc_lo, v21, v25, vcc_lo
	v_min_f32_e32 v16, v16, v17
	s_delay_alu instid0(VALU_DEP_1) | instskip(SKIP_3) | instid1(SALU_CYCLE_1)
	v_cvt_f64_f32_e32 v[16:17], v16
	global_store_b64 v[24:25], v[16:17], off
	s_or_b32 exec_lo, exec_lo, s11
	s_and_b32 s15, s1, s8
	s_and_saveexec_b32 s11, s15
	s_cbranch_execz .LBB159_139
.LBB159_149:
	v_cmp_ne_u32_e32 vcc_lo, 1, v18
	s_cbranch_vccnz .LBB159_151
; %bb.150:
	v_lshlrev_b64 v[16:17], 3, v[2:3]
	s_delay_alu instid0(VALU_DEP_1) | instskip(NEXT) | instid1(VALU_DEP_2)
	v_add_co_u32 v16, vcc_lo, v22, v16
	v_add_co_ci_u32_e32 v17, vcc_lo, v23, v17, vcc_lo
	flat_load_b64 v[16:17], v[16:17]
	s_waitcnt vmcnt(0) lgkmcnt(0)
	v_mul_f64 v[16:17], s[12:13], v[16:17]
	s_branch .LBB159_152
.LBB159_151:
	v_mov_b32_e32 v16, 0
	v_mov_b32_e32 v17, 0
.LBB159_152:
	s_delay_alu instid0(VALU_DEP_1) | instskip(SKIP_2) | instid1(VALU_DEP_1)
	v_cvt_f32_f64_e32 v16, v[16:17]
	v_max_f32_e32 v17, v112, v112
	v_lshlrev_b64 v[24:25], 3, v[2:3]
	v_add_co_u32 v24, vcc_lo, v20, v24
	s_delay_alu instid0(VALU_DEP_2) | instskip(NEXT) | instid1(VALU_DEP_4)
	v_add_co_ci_u32_e32 v25, vcc_lo, v21, v25, vcc_lo
	v_min_f32_e32 v16, v16, v17
	s_delay_alu instid0(VALU_DEP_1) | instskip(SKIP_3) | instid1(SALU_CYCLE_1)
	v_cvt_f64_f32_e32 v[16:17], v16
	global_store_b64 v[24:25], v[16:17], off
	s_or_b32 exec_lo, exec_lo, s11
	s_and_b32 s15, s2, s8
	s_and_saveexec_b32 s11, s15
	s_cbranch_execz .LBB159_140
.LBB159_153:
	v_cmp_ne_u32_e32 vcc_lo, 1, v18
	s_cbranch_vccnz .LBB159_155
; %bb.154:
	v_lshlrev_b64 v[16:17], 3, v[4:5]
	s_delay_alu instid0(VALU_DEP_1) | instskip(NEXT) | instid1(VALU_DEP_2)
	v_add_co_u32 v16, vcc_lo, v22, v16
	v_add_co_ci_u32_e32 v17, vcc_lo, v23, v17, vcc_lo
	flat_load_b64 v[16:17], v[16:17]
	s_waitcnt vmcnt(0) lgkmcnt(0)
	v_mul_f64 v[16:17], s[12:13], v[16:17]
	s_branch .LBB159_156
.LBB159_155:
	v_mov_b32_e32 v16, 0
	v_mov_b32_e32 v17, 0
.LBB159_156:
	s_delay_alu instid0(VALU_DEP_1) | instskip(SKIP_2) | instid1(VALU_DEP_1)
	v_cvt_f32_f64_e32 v16, v[16:17]
	v_max_f32_e32 v17, v111, v111
	v_lshlrev_b64 v[24:25], 3, v[4:5]
	v_add_co_u32 v24, vcc_lo, v20, v24
	s_delay_alu instid0(VALU_DEP_2) | instskip(NEXT) | instid1(VALU_DEP_4)
	v_add_co_ci_u32_e32 v25, vcc_lo, v21, v25, vcc_lo
	v_min_f32_e32 v16, v16, v17
	s_delay_alu instid0(VALU_DEP_1) | instskip(SKIP_3) | instid1(SALU_CYCLE_1)
	v_cvt_f64_f32_e32 v[16:17], v16
	global_store_b64 v[24:25], v[16:17], off
	s_or_b32 exec_lo, exec_lo, s11
	s_and_b32 s15, s3, s8
	s_and_saveexec_b32 s11, s15
	s_cbranch_execz .LBB159_141
.LBB159_157:
	v_cmp_ne_u32_e32 vcc_lo, 1, v18
	s_cbranch_vccnz .LBB159_159
; %bb.158:
	v_lshlrev_b64 v[16:17], 3, v[6:7]
	s_delay_alu instid0(VALU_DEP_1) | instskip(NEXT) | instid1(VALU_DEP_2)
	v_add_co_u32 v16, vcc_lo, v22, v16
	v_add_co_ci_u32_e32 v17, vcc_lo, v23, v17, vcc_lo
	flat_load_b64 v[16:17], v[16:17]
	s_waitcnt vmcnt(0) lgkmcnt(0)
	v_mul_f64 v[16:17], s[12:13], v[16:17]
	s_branch .LBB159_160
.LBB159_159:
	v_mov_b32_e32 v16, 0
	v_mov_b32_e32 v17, 0
.LBB159_160:
	s_delay_alu instid0(VALU_DEP_1) | instskip(SKIP_2) | instid1(VALU_DEP_1)
	v_cvt_f32_f64_e32 v16, v[16:17]
	v_max_f32_e32 v17, v110, v110
	v_lshlrev_b64 v[24:25], 3, v[6:7]
	v_add_co_u32 v24, vcc_lo, v20, v24
	s_delay_alu instid0(VALU_DEP_2) | instskip(NEXT) | instid1(VALU_DEP_4)
	v_add_co_ci_u32_e32 v25, vcc_lo, v21, v25, vcc_lo
	v_min_f32_e32 v16, v16, v17
	s_delay_alu instid0(VALU_DEP_1) | instskip(SKIP_3) | instid1(SALU_CYCLE_1)
	v_cvt_f64_f32_e32 v[16:17], v16
	global_store_b64 v[24:25], v[16:17], off
	s_or_b32 exec_lo, exec_lo, s11
	s_and_b32 s15, s4, s8
	s_and_saveexec_b32 s11, s15
	s_cbranch_execz .LBB159_142
.LBB159_161:
	v_cmp_ne_u32_e32 vcc_lo, 1, v18
	s_cbranch_vccnz .LBB159_163
; %bb.162:
	v_lshlrev_b64 v[16:17], 3, v[8:9]
	s_delay_alu instid0(VALU_DEP_1) | instskip(NEXT) | instid1(VALU_DEP_2)
	v_add_co_u32 v16, vcc_lo, v22, v16
	v_add_co_ci_u32_e32 v17, vcc_lo, v23, v17, vcc_lo
	flat_load_b64 v[16:17], v[16:17]
	s_waitcnt vmcnt(0) lgkmcnt(0)
	v_mul_f64 v[16:17], s[12:13], v[16:17]
	s_branch .LBB159_164
.LBB159_163:
	v_mov_b32_e32 v16, 0
	v_mov_b32_e32 v17, 0
.LBB159_164:
	s_delay_alu instid0(VALU_DEP_1) | instskip(SKIP_2) | instid1(VALU_DEP_1)
	v_cvt_f32_f64_e32 v16, v[16:17]
	v_max_f32_e32 v17, v109, v109
	v_lshlrev_b64 v[24:25], 3, v[8:9]
	v_add_co_u32 v24, vcc_lo, v20, v24
	s_delay_alu instid0(VALU_DEP_2) | instskip(NEXT) | instid1(VALU_DEP_4)
	v_add_co_ci_u32_e32 v25, vcc_lo, v21, v25, vcc_lo
	v_min_f32_e32 v16, v16, v17
	s_delay_alu instid0(VALU_DEP_1) | instskip(SKIP_3) | instid1(SALU_CYCLE_1)
	v_cvt_f64_f32_e32 v[16:17], v16
	global_store_b64 v[24:25], v[16:17], off
	s_or_b32 exec_lo, exec_lo, s11
	s_and_b32 s15, s5, s8
	s_and_saveexec_b32 s11, s15
	s_cbranch_execz .LBB159_143
.LBB159_165:
	v_cmp_ne_u32_e32 vcc_lo, 1, v18
	s_cbranch_vccnz .LBB159_167
; %bb.166:
	v_lshlrev_b64 v[16:17], 3, v[10:11]
	s_delay_alu instid0(VALU_DEP_1) | instskip(NEXT) | instid1(VALU_DEP_2)
	v_add_co_u32 v16, vcc_lo, v22, v16
	v_add_co_ci_u32_e32 v17, vcc_lo, v23, v17, vcc_lo
	flat_load_b64 v[16:17], v[16:17]
	s_waitcnt vmcnt(0) lgkmcnt(0)
	v_mul_f64 v[16:17], s[12:13], v[16:17]
	s_branch .LBB159_168
.LBB159_167:
	v_mov_b32_e32 v16, 0
	v_mov_b32_e32 v17, 0
.LBB159_168:
	s_delay_alu instid0(VALU_DEP_1) | instskip(SKIP_2) | instid1(VALU_DEP_1)
	v_cvt_f32_f64_e32 v16, v[16:17]
	v_max_f32_e32 v17, v108, v108
	v_lshlrev_b64 v[24:25], 3, v[10:11]
	v_add_co_u32 v24, vcc_lo, v20, v24
	s_delay_alu instid0(VALU_DEP_2) | instskip(NEXT) | instid1(VALU_DEP_4)
	v_add_co_ci_u32_e32 v25, vcc_lo, v21, v25, vcc_lo
	v_min_f32_e32 v16, v16, v17
	s_delay_alu instid0(VALU_DEP_1) | instskip(SKIP_3) | instid1(SALU_CYCLE_1)
	v_cvt_f64_f32_e32 v[16:17], v16
	global_store_b64 v[24:25], v[16:17], off
	s_or_b32 exec_lo, exec_lo, s11
	s_and_b32 s15, s6, s8
	s_and_saveexec_b32 s11, s15
	s_cbranch_execz .LBB159_144
.LBB159_169:
	v_cmp_ne_u32_e32 vcc_lo, 1, v18
	s_cbranch_vccnz .LBB159_171
; %bb.170:
	v_lshlrev_b64 v[16:17], 3, v[12:13]
	s_delay_alu instid0(VALU_DEP_1) | instskip(NEXT) | instid1(VALU_DEP_2)
	v_add_co_u32 v16, vcc_lo, v22, v16
	v_add_co_ci_u32_e32 v17, vcc_lo, v23, v17, vcc_lo
	flat_load_b64 v[16:17], v[16:17]
	s_waitcnt vmcnt(0) lgkmcnt(0)
	v_mul_f64 v[16:17], s[12:13], v[16:17]
	s_branch .LBB159_172
.LBB159_171:
	v_mov_b32_e32 v16, 0
	v_mov_b32_e32 v17, 0
.LBB159_172:
	s_delay_alu instid0(VALU_DEP_1) | instskip(SKIP_2) | instid1(VALU_DEP_1)
	v_cvt_f32_f64_e32 v16, v[16:17]
	v_max_f32_e32 v17, v107, v107
	v_lshlrev_b64 v[24:25], 3, v[12:13]
	v_add_co_u32 v24, vcc_lo, v20, v24
	s_delay_alu instid0(VALU_DEP_2) | instskip(NEXT) | instid1(VALU_DEP_4)
	v_add_co_ci_u32_e32 v25, vcc_lo, v21, v25, vcc_lo
	v_min_f32_e32 v16, v16, v17
	s_delay_alu instid0(VALU_DEP_1) | instskip(SKIP_3) | instid1(SALU_CYCLE_1)
	v_cvt_f64_f32_e32 v[16:17], v16
	global_store_b64 v[24:25], v[16:17], off
	s_or_b32 exec_lo, exec_lo, s11
	s_and_b32 s11, s7, s8
	s_and_saveexec_b32 s8, s11
	s_cbranch_execz .LBB159_177
.LBB159_173:
	v_cmp_ne_u32_e32 vcc_lo, 1, v18
	s_cbranch_vccnz .LBB159_175
; %bb.174:
	v_lshlrev_b64 v[16:17], 3, v[14:15]
	s_delay_alu instid0(VALU_DEP_1) | instskip(NEXT) | instid1(VALU_DEP_2)
	v_add_co_u32 v16, vcc_lo, v22, v16
	v_add_co_ci_u32_e32 v17, vcc_lo, v23, v17, vcc_lo
	flat_load_b64 v[16:17], v[16:17]
	s_waitcnt vmcnt(0) lgkmcnt(0)
	v_mul_f64 v[16:17], s[12:13], v[16:17]
	s_branch .LBB159_176
.LBB159_175:
	v_mov_b32_e32 v16, 0
	v_mov_b32_e32 v17, 0
.LBB159_176:
	s_delay_alu instid0(VALU_DEP_1) | instskip(SKIP_2) | instid1(VALU_DEP_1)
	v_cvt_f32_f64_e32 v16, v[16:17]
	v_max_f32_e32 v17, v106, v106
	v_lshlrev_b64 v[22:23], 3, v[14:15]
	v_add_co_u32 v20, vcc_lo, v20, v22
	s_delay_alu instid0(VALU_DEP_2) | instskip(NEXT) | instid1(VALU_DEP_4)
	v_add_co_ci_u32_e32 v21, vcc_lo, v21, v23, vcc_lo
	v_min_f32_e32 v16, v16, v17
	s_delay_alu instid0(VALU_DEP_1)
	v_cvt_f64_f32_e32 v[16:17], v16
	global_store_b64 v[20:21], v[16:17], off
.LBB159_177:
	s_or_b32 exec_lo, exec_lo, s8
	v_add_nc_u32_e32 v22, 24, v19
	s_delay_alu instid0(VALU_DEP_1) | instskip(SKIP_2) | instid1(VALU_DEP_3)
	v_mad_i64_i32 v[16:17], null, v22, s18, 0
	v_mad_i64_i32 v[20:21], null, v22, s14, 0
	v_cmp_gt_i32_e64 s8, s17, v22
	v_lshlrev_b64 v[16:17], 3, v[16:17]
	s_delay_alu instid0(VALU_DEP_2) | instskip(NEXT) | instid1(VALU_DEP_3)
	s_and_b32 s15, s0, s8
	v_lshlrev_b64 v[20:21], 3, v[20:21]
	s_delay_alu instid0(VALU_DEP_2) | instskip(NEXT) | instid1(VALU_DEP_3)
	v_add_co_u32 v22, vcc_lo, s20, v16
	v_add_co_ci_u32_e32 v23, vcc_lo, s21, v17, vcc_lo
	s_delay_alu instid0(VALU_DEP_3) | instskip(NEXT) | instid1(VALU_DEP_4)
	v_add_co_u32 v20, vcc_lo, s9, v20
	v_add_co_ci_u32_e32 v21, vcc_lo, s10, v21, vcc_lo
	s_and_saveexec_b32 s11, s15
	s_cbranch_execnz .LBB159_185
; %bb.178:
	s_or_b32 exec_lo, exec_lo, s11
	s_and_b32 s15, s1, s8
	s_delay_alu instid0(SALU_CYCLE_1)
	s_and_saveexec_b32 s11, s15
	s_cbranch_execnz .LBB159_189
.LBB159_179:
	s_or_b32 exec_lo, exec_lo, s11
	s_and_b32 s15, s2, s8
	s_delay_alu instid0(SALU_CYCLE_1)
	s_and_saveexec_b32 s11, s15
	s_cbranch_execnz .LBB159_193
.LBB159_180:
	s_or_b32 exec_lo, exec_lo, s11
	s_and_b32 s15, s3, s8
	s_delay_alu instid0(SALU_CYCLE_1)
	s_and_saveexec_b32 s11, s15
	s_cbranch_execnz .LBB159_197
.LBB159_181:
	s_or_b32 exec_lo, exec_lo, s11
	s_and_b32 s15, s4, s8
	s_delay_alu instid0(SALU_CYCLE_1)
	s_and_saveexec_b32 s11, s15
	s_cbranch_execnz .LBB159_201
.LBB159_182:
	s_or_b32 exec_lo, exec_lo, s11
	s_and_b32 s15, s5, s8
	s_delay_alu instid0(SALU_CYCLE_1)
	s_and_saveexec_b32 s11, s15
	s_cbranch_execnz .LBB159_205
.LBB159_183:
	s_or_b32 exec_lo, exec_lo, s11
	s_and_b32 s15, s6, s8
	s_delay_alu instid0(SALU_CYCLE_1)
	s_and_saveexec_b32 s11, s15
	s_cbranch_execnz .LBB159_209
.LBB159_184:
	s_or_b32 exec_lo, exec_lo, s11
	s_and_b32 s11, s7, s8
	s_delay_alu instid0(SALU_CYCLE_1)
	s_and_saveexec_b32 s8, s11
	s_cbranch_execnz .LBB159_213
	s_branch .LBB159_217
.LBB159_185:
	v_cmp_ne_u32_e32 vcc_lo, 1, v18
	s_cbranch_vccnz .LBB159_187
; %bb.186:
	v_lshlrev_b64 v[16:17], 3, v[0:1]
	s_delay_alu instid0(VALU_DEP_1) | instskip(NEXT) | instid1(VALU_DEP_2)
	v_add_co_u32 v16, vcc_lo, v22, v16
	v_add_co_ci_u32_e32 v17, vcc_lo, v23, v17, vcc_lo
	flat_load_b64 v[16:17], v[16:17]
	s_waitcnt vmcnt(0) lgkmcnt(0)
	v_mul_f64 v[16:17], s[12:13], v[16:17]
	s_branch .LBB159_188
.LBB159_187:
	v_mov_b32_e32 v16, 0
	v_mov_b32_e32 v17, 0
.LBB159_188:
	s_delay_alu instid0(VALU_DEP_1) | instskip(SKIP_2) | instid1(VALU_DEP_1)
	v_cvt_f32_f64_e32 v16, v[16:17]
	v_max_f32_e32 v17, v105, v105
	v_lshlrev_b64 v[24:25], 3, v[0:1]
	v_add_co_u32 v24, vcc_lo, v20, v24
	s_delay_alu instid0(VALU_DEP_2) | instskip(NEXT) | instid1(VALU_DEP_4)
	v_add_co_ci_u32_e32 v25, vcc_lo, v21, v25, vcc_lo
	v_min_f32_e32 v16, v16, v17
	s_delay_alu instid0(VALU_DEP_1) | instskip(SKIP_3) | instid1(SALU_CYCLE_1)
	v_cvt_f64_f32_e32 v[16:17], v16
	global_store_b64 v[24:25], v[16:17], off
	s_or_b32 exec_lo, exec_lo, s11
	s_and_b32 s15, s1, s8
	s_and_saveexec_b32 s11, s15
	s_cbranch_execz .LBB159_179
.LBB159_189:
	v_cmp_ne_u32_e32 vcc_lo, 1, v18
	s_cbranch_vccnz .LBB159_191
; %bb.190:
	v_lshlrev_b64 v[16:17], 3, v[2:3]
	s_delay_alu instid0(VALU_DEP_1) | instskip(NEXT) | instid1(VALU_DEP_2)
	v_add_co_u32 v16, vcc_lo, v22, v16
	v_add_co_ci_u32_e32 v17, vcc_lo, v23, v17, vcc_lo
	flat_load_b64 v[16:17], v[16:17]
	s_waitcnt vmcnt(0) lgkmcnt(0)
	v_mul_f64 v[16:17], s[12:13], v[16:17]
	s_branch .LBB159_192
.LBB159_191:
	v_mov_b32_e32 v16, 0
	v_mov_b32_e32 v17, 0
.LBB159_192:
	s_delay_alu instid0(VALU_DEP_1) | instskip(SKIP_2) | instid1(VALU_DEP_1)
	v_cvt_f32_f64_e32 v16, v[16:17]
	v_max_f32_e32 v17, v104, v104
	v_lshlrev_b64 v[24:25], 3, v[2:3]
	v_add_co_u32 v24, vcc_lo, v20, v24
	s_delay_alu instid0(VALU_DEP_2) | instskip(NEXT) | instid1(VALU_DEP_4)
	v_add_co_ci_u32_e32 v25, vcc_lo, v21, v25, vcc_lo
	v_min_f32_e32 v16, v16, v17
	s_delay_alu instid0(VALU_DEP_1) | instskip(SKIP_3) | instid1(SALU_CYCLE_1)
	v_cvt_f64_f32_e32 v[16:17], v16
	global_store_b64 v[24:25], v[16:17], off
	s_or_b32 exec_lo, exec_lo, s11
	s_and_b32 s15, s2, s8
	s_and_saveexec_b32 s11, s15
	s_cbranch_execz .LBB159_180
.LBB159_193:
	v_cmp_ne_u32_e32 vcc_lo, 1, v18
	s_cbranch_vccnz .LBB159_195
; %bb.194:
	v_lshlrev_b64 v[16:17], 3, v[4:5]
	s_delay_alu instid0(VALU_DEP_1) | instskip(NEXT) | instid1(VALU_DEP_2)
	v_add_co_u32 v16, vcc_lo, v22, v16
	v_add_co_ci_u32_e32 v17, vcc_lo, v23, v17, vcc_lo
	flat_load_b64 v[16:17], v[16:17]
	s_waitcnt vmcnt(0) lgkmcnt(0)
	v_mul_f64 v[16:17], s[12:13], v[16:17]
	s_branch .LBB159_196
.LBB159_195:
	v_mov_b32_e32 v16, 0
	v_mov_b32_e32 v17, 0
.LBB159_196:
	s_delay_alu instid0(VALU_DEP_1) | instskip(SKIP_2) | instid1(VALU_DEP_1)
	v_cvt_f32_f64_e32 v16, v[16:17]
	v_max_f32_e32 v17, v103, v103
	v_lshlrev_b64 v[24:25], 3, v[4:5]
	v_add_co_u32 v24, vcc_lo, v20, v24
	s_delay_alu instid0(VALU_DEP_2) | instskip(NEXT) | instid1(VALU_DEP_4)
	v_add_co_ci_u32_e32 v25, vcc_lo, v21, v25, vcc_lo
	v_min_f32_e32 v16, v16, v17
	s_delay_alu instid0(VALU_DEP_1) | instskip(SKIP_3) | instid1(SALU_CYCLE_1)
	v_cvt_f64_f32_e32 v[16:17], v16
	global_store_b64 v[24:25], v[16:17], off
	s_or_b32 exec_lo, exec_lo, s11
	s_and_b32 s15, s3, s8
	s_and_saveexec_b32 s11, s15
	s_cbranch_execz .LBB159_181
.LBB159_197:
	v_cmp_ne_u32_e32 vcc_lo, 1, v18
	s_cbranch_vccnz .LBB159_199
; %bb.198:
	v_lshlrev_b64 v[16:17], 3, v[6:7]
	s_delay_alu instid0(VALU_DEP_1) | instskip(NEXT) | instid1(VALU_DEP_2)
	v_add_co_u32 v16, vcc_lo, v22, v16
	v_add_co_ci_u32_e32 v17, vcc_lo, v23, v17, vcc_lo
	flat_load_b64 v[16:17], v[16:17]
	s_waitcnt vmcnt(0) lgkmcnt(0)
	v_mul_f64 v[16:17], s[12:13], v[16:17]
	s_branch .LBB159_200
.LBB159_199:
	v_mov_b32_e32 v16, 0
	v_mov_b32_e32 v17, 0
.LBB159_200:
	s_delay_alu instid0(VALU_DEP_1) | instskip(SKIP_2) | instid1(VALU_DEP_1)
	v_cvt_f32_f64_e32 v16, v[16:17]
	v_max_f32_e32 v17, v102, v102
	v_lshlrev_b64 v[24:25], 3, v[6:7]
	v_add_co_u32 v24, vcc_lo, v20, v24
	s_delay_alu instid0(VALU_DEP_2) | instskip(NEXT) | instid1(VALU_DEP_4)
	v_add_co_ci_u32_e32 v25, vcc_lo, v21, v25, vcc_lo
	v_min_f32_e32 v16, v16, v17
	s_delay_alu instid0(VALU_DEP_1) | instskip(SKIP_3) | instid1(SALU_CYCLE_1)
	v_cvt_f64_f32_e32 v[16:17], v16
	global_store_b64 v[24:25], v[16:17], off
	s_or_b32 exec_lo, exec_lo, s11
	s_and_b32 s15, s4, s8
	s_and_saveexec_b32 s11, s15
	s_cbranch_execz .LBB159_182
.LBB159_201:
	v_cmp_ne_u32_e32 vcc_lo, 1, v18
	s_cbranch_vccnz .LBB159_203
; %bb.202:
	v_lshlrev_b64 v[16:17], 3, v[8:9]
	s_delay_alu instid0(VALU_DEP_1) | instskip(NEXT) | instid1(VALU_DEP_2)
	v_add_co_u32 v16, vcc_lo, v22, v16
	v_add_co_ci_u32_e32 v17, vcc_lo, v23, v17, vcc_lo
	flat_load_b64 v[16:17], v[16:17]
	s_waitcnt vmcnt(0) lgkmcnt(0)
	v_mul_f64 v[16:17], s[12:13], v[16:17]
	s_branch .LBB159_204
.LBB159_203:
	v_mov_b32_e32 v16, 0
	v_mov_b32_e32 v17, 0
.LBB159_204:
	s_delay_alu instid0(VALU_DEP_1) | instskip(SKIP_2) | instid1(VALU_DEP_1)
	v_cvt_f32_f64_e32 v16, v[16:17]
	v_max_f32_e32 v17, v101, v101
	v_lshlrev_b64 v[24:25], 3, v[8:9]
	v_add_co_u32 v24, vcc_lo, v20, v24
	s_delay_alu instid0(VALU_DEP_2) | instskip(NEXT) | instid1(VALU_DEP_4)
	v_add_co_ci_u32_e32 v25, vcc_lo, v21, v25, vcc_lo
	v_min_f32_e32 v16, v16, v17
	s_delay_alu instid0(VALU_DEP_1) | instskip(SKIP_3) | instid1(SALU_CYCLE_1)
	v_cvt_f64_f32_e32 v[16:17], v16
	global_store_b64 v[24:25], v[16:17], off
	s_or_b32 exec_lo, exec_lo, s11
	s_and_b32 s15, s5, s8
	s_and_saveexec_b32 s11, s15
	s_cbranch_execz .LBB159_183
.LBB159_205:
	v_cmp_ne_u32_e32 vcc_lo, 1, v18
	s_cbranch_vccnz .LBB159_207
; %bb.206:
	v_lshlrev_b64 v[16:17], 3, v[10:11]
	s_delay_alu instid0(VALU_DEP_1) | instskip(NEXT) | instid1(VALU_DEP_2)
	v_add_co_u32 v16, vcc_lo, v22, v16
	v_add_co_ci_u32_e32 v17, vcc_lo, v23, v17, vcc_lo
	flat_load_b64 v[16:17], v[16:17]
	s_waitcnt vmcnt(0) lgkmcnt(0)
	v_mul_f64 v[16:17], s[12:13], v[16:17]
	s_branch .LBB159_208
.LBB159_207:
	v_mov_b32_e32 v16, 0
	v_mov_b32_e32 v17, 0
.LBB159_208:
	s_delay_alu instid0(VALU_DEP_1) | instskip(SKIP_2) | instid1(VALU_DEP_1)
	v_cvt_f32_f64_e32 v16, v[16:17]
	v_max_f32_e32 v17, v100, v100
	v_lshlrev_b64 v[24:25], 3, v[10:11]
	v_add_co_u32 v24, vcc_lo, v20, v24
	s_delay_alu instid0(VALU_DEP_2) | instskip(NEXT) | instid1(VALU_DEP_4)
	v_add_co_ci_u32_e32 v25, vcc_lo, v21, v25, vcc_lo
	v_min_f32_e32 v16, v16, v17
	s_delay_alu instid0(VALU_DEP_1) | instskip(SKIP_3) | instid1(SALU_CYCLE_1)
	v_cvt_f64_f32_e32 v[16:17], v16
	global_store_b64 v[24:25], v[16:17], off
	s_or_b32 exec_lo, exec_lo, s11
	s_and_b32 s15, s6, s8
	s_and_saveexec_b32 s11, s15
	s_cbranch_execz .LBB159_184
.LBB159_209:
	v_cmp_ne_u32_e32 vcc_lo, 1, v18
	s_cbranch_vccnz .LBB159_211
; %bb.210:
	v_lshlrev_b64 v[16:17], 3, v[12:13]
	s_delay_alu instid0(VALU_DEP_1) | instskip(NEXT) | instid1(VALU_DEP_2)
	v_add_co_u32 v16, vcc_lo, v22, v16
	v_add_co_ci_u32_e32 v17, vcc_lo, v23, v17, vcc_lo
	flat_load_b64 v[16:17], v[16:17]
	s_waitcnt vmcnt(0) lgkmcnt(0)
	v_mul_f64 v[16:17], s[12:13], v[16:17]
	s_branch .LBB159_212
.LBB159_211:
	v_mov_b32_e32 v16, 0
	v_mov_b32_e32 v17, 0
.LBB159_212:
	s_delay_alu instid0(VALU_DEP_1) | instskip(SKIP_2) | instid1(VALU_DEP_1)
	v_cvt_f32_f64_e32 v16, v[16:17]
	v_max_f32_e32 v17, v99, v99
	v_lshlrev_b64 v[24:25], 3, v[12:13]
	v_add_co_u32 v24, vcc_lo, v20, v24
	s_delay_alu instid0(VALU_DEP_2) | instskip(NEXT) | instid1(VALU_DEP_4)
	v_add_co_ci_u32_e32 v25, vcc_lo, v21, v25, vcc_lo
	v_min_f32_e32 v16, v16, v17
	s_delay_alu instid0(VALU_DEP_1) | instskip(SKIP_3) | instid1(SALU_CYCLE_1)
	v_cvt_f64_f32_e32 v[16:17], v16
	global_store_b64 v[24:25], v[16:17], off
	s_or_b32 exec_lo, exec_lo, s11
	s_and_b32 s11, s7, s8
	s_and_saveexec_b32 s8, s11
	s_cbranch_execz .LBB159_217
.LBB159_213:
	v_cmp_ne_u32_e32 vcc_lo, 1, v18
	s_cbranch_vccnz .LBB159_215
; %bb.214:
	v_lshlrev_b64 v[16:17], 3, v[14:15]
	s_delay_alu instid0(VALU_DEP_1) | instskip(NEXT) | instid1(VALU_DEP_2)
	v_add_co_u32 v16, vcc_lo, v22, v16
	v_add_co_ci_u32_e32 v17, vcc_lo, v23, v17, vcc_lo
	flat_load_b64 v[16:17], v[16:17]
	s_waitcnt vmcnt(0) lgkmcnt(0)
	v_mul_f64 v[16:17], s[12:13], v[16:17]
	s_branch .LBB159_216
.LBB159_215:
	v_mov_b32_e32 v16, 0
	v_mov_b32_e32 v17, 0
.LBB159_216:
	s_delay_alu instid0(VALU_DEP_1) | instskip(SKIP_2) | instid1(VALU_DEP_1)
	v_cvt_f32_f64_e32 v16, v[16:17]
	v_max_f32_e32 v17, v98, v98
	v_lshlrev_b64 v[22:23], 3, v[14:15]
	v_add_co_u32 v20, vcc_lo, v20, v22
	s_delay_alu instid0(VALU_DEP_2) | instskip(NEXT) | instid1(VALU_DEP_4)
	v_add_co_ci_u32_e32 v21, vcc_lo, v21, v23, vcc_lo
	v_min_f32_e32 v16, v16, v17
	s_delay_alu instid0(VALU_DEP_1)
	v_cvt_f64_f32_e32 v[16:17], v16
	global_store_b64 v[20:21], v[16:17], off
.LBB159_217:
	s_or_b32 exec_lo, exec_lo, s8
	v_add_nc_u32_e32 v22, 32, v19
	s_delay_alu instid0(VALU_DEP_1) | instskip(SKIP_2) | instid1(VALU_DEP_3)
	v_mad_i64_i32 v[16:17], null, v22, s18, 0
	v_mad_i64_i32 v[20:21], null, v22, s14, 0
	v_cmp_gt_i32_e64 s8, s17, v22
	v_lshlrev_b64 v[16:17], 3, v[16:17]
	s_delay_alu instid0(VALU_DEP_2) | instskip(NEXT) | instid1(VALU_DEP_3)
	s_and_b32 s15, s0, s8
	v_lshlrev_b64 v[20:21], 3, v[20:21]
	s_delay_alu instid0(VALU_DEP_2) | instskip(NEXT) | instid1(VALU_DEP_3)
	v_add_co_u32 v22, vcc_lo, s20, v16
	v_add_co_ci_u32_e32 v23, vcc_lo, s21, v17, vcc_lo
	s_delay_alu instid0(VALU_DEP_3) | instskip(NEXT) | instid1(VALU_DEP_4)
	v_add_co_u32 v20, vcc_lo, s9, v20
	v_add_co_ci_u32_e32 v21, vcc_lo, s10, v21, vcc_lo
	s_and_saveexec_b32 s11, s15
	s_cbranch_execnz .LBB159_225
; %bb.218:
	s_or_b32 exec_lo, exec_lo, s11
	s_and_b32 s15, s1, s8
	s_delay_alu instid0(SALU_CYCLE_1)
	s_and_saveexec_b32 s11, s15
	s_cbranch_execnz .LBB159_229
.LBB159_219:
	s_or_b32 exec_lo, exec_lo, s11
	s_and_b32 s15, s2, s8
	s_delay_alu instid0(SALU_CYCLE_1)
	s_and_saveexec_b32 s11, s15
	s_cbranch_execnz .LBB159_233
.LBB159_220:
	s_or_b32 exec_lo, exec_lo, s11
	s_and_b32 s15, s3, s8
	s_delay_alu instid0(SALU_CYCLE_1)
	s_and_saveexec_b32 s11, s15
	s_cbranch_execnz .LBB159_237
.LBB159_221:
	s_or_b32 exec_lo, exec_lo, s11
	s_and_b32 s15, s4, s8
	s_delay_alu instid0(SALU_CYCLE_1)
	s_and_saveexec_b32 s11, s15
	s_cbranch_execnz .LBB159_241
.LBB159_222:
	s_or_b32 exec_lo, exec_lo, s11
	s_and_b32 s15, s5, s8
	s_delay_alu instid0(SALU_CYCLE_1)
	s_and_saveexec_b32 s11, s15
	s_cbranch_execnz .LBB159_245
.LBB159_223:
	s_or_b32 exec_lo, exec_lo, s11
	s_and_b32 s15, s6, s8
	s_delay_alu instid0(SALU_CYCLE_1)
	s_and_saveexec_b32 s11, s15
	s_cbranch_execnz .LBB159_249
.LBB159_224:
	s_or_b32 exec_lo, exec_lo, s11
	s_and_b32 s11, s7, s8
	s_delay_alu instid0(SALU_CYCLE_1)
	s_and_saveexec_b32 s8, s11
	s_cbranch_execnz .LBB159_253
	s_branch .LBB159_257
.LBB159_225:
	v_cmp_ne_u32_e32 vcc_lo, 1, v18
	s_cbranch_vccnz .LBB159_227
; %bb.226:
	v_lshlrev_b64 v[16:17], 3, v[0:1]
	s_delay_alu instid0(VALU_DEP_1) | instskip(NEXT) | instid1(VALU_DEP_2)
	v_add_co_u32 v16, vcc_lo, v22, v16
	v_add_co_ci_u32_e32 v17, vcc_lo, v23, v17, vcc_lo
	flat_load_b64 v[16:17], v[16:17]
	s_waitcnt vmcnt(0) lgkmcnt(0)
	v_mul_f64 v[16:17], s[12:13], v[16:17]
	s_branch .LBB159_228
.LBB159_227:
	v_mov_b32_e32 v16, 0
	v_mov_b32_e32 v17, 0
.LBB159_228:
	s_delay_alu instid0(VALU_DEP_1) | instskip(SKIP_2) | instid1(VALU_DEP_1)
	v_cvt_f32_f64_e32 v16, v[16:17]
	v_max_f32_e32 v17, v97, v97
	v_lshlrev_b64 v[24:25], 3, v[0:1]
	v_add_co_u32 v24, vcc_lo, v20, v24
	s_delay_alu instid0(VALU_DEP_2) | instskip(NEXT) | instid1(VALU_DEP_4)
	v_add_co_ci_u32_e32 v25, vcc_lo, v21, v25, vcc_lo
	v_min_f32_e32 v16, v16, v17
	s_delay_alu instid0(VALU_DEP_1) | instskip(SKIP_3) | instid1(SALU_CYCLE_1)
	v_cvt_f64_f32_e32 v[16:17], v16
	global_store_b64 v[24:25], v[16:17], off
	s_or_b32 exec_lo, exec_lo, s11
	s_and_b32 s15, s1, s8
	s_and_saveexec_b32 s11, s15
	s_cbranch_execz .LBB159_219
.LBB159_229:
	v_cmp_ne_u32_e32 vcc_lo, 1, v18
	s_cbranch_vccnz .LBB159_231
; %bb.230:
	v_lshlrev_b64 v[16:17], 3, v[2:3]
	s_delay_alu instid0(VALU_DEP_1) | instskip(NEXT) | instid1(VALU_DEP_2)
	v_add_co_u32 v16, vcc_lo, v22, v16
	v_add_co_ci_u32_e32 v17, vcc_lo, v23, v17, vcc_lo
	flat_load_b64 v[16:17], v[16:17]
	s_waitcnt vmcnt(0) lgkmcnt(0)
	v_mul_f64 v[16:17], s[12:13], v[16:17]
	s_branch .LBB159_232
.LBB159_231:
	v_mov_b32_e32 v16, 0
	v_mov_b32_e32 v17, 0
.LBB159_232:
	s_delay_alu instid0(VALU_DEP_1) | instskip(SKIP_2) | instid1(VALU_DEP_1)
	v_cvt_f32_f64_e32 v16, v[16:17]
	v_max_f32_e32 v17, v96, v96
	v_lshlrev_b64 v[24:25], 3, v[2:3]
	v_add_co_u32 v24, vcc_lo, v20, v24
	s_delay_alu instid0(VALU_DEP_2) | instskip(NEXT) | instid1(VALU_DEP_4)
	v_add_co_ci_u32_e32 v25, vcc_lo, v21, v25, vcc_lo
	v_min_f32_e32 v16, v16, v17
	s_delay_alu instid0(VALU_DEP_1) | instskip(SKIP_3) | instid1(SALU_CYCLE_1)
	v_cvt_f64_f32_e32 v[16:17], v16
	global_store_b64 v[24:25], v[16:17], off
	s_or_b32 exec_lo, exec_lo, s11
	s_and_b32 s15, s2, s8
	s_and_saveexec_b32 s11, s15
	s_cbranch_execz .LBB159_220
.LBB159_233:
	v_cmp_ne_u32_e32 vcc_lo, 1, v18
	s_cbranch_vccnz .LBB159_235
; %bb.234:
	v_lshlrev_b64 v[16:17], 3, v[4:5]
	s_delay_alu instid0(VALU_DEP_1) | instskip(NEXT) | instid1(VALU_DEP_2)
	v_add_co_u32 v16, vcc_lo, v22, v16
	v_add_co_ci_u32_e32 v17, vcc_lo, v23, v17, vcc_lo
	flat_load_b64 v[16:17], v[16:17]
	s_waitcnt vmcnt(0) lgkmcnt(0)
	v_mul_f64 v[16:17], s[12:13], v[16:17]
	s_branch .LBB159_236
.LBB159_235:
	v_mov_b32_e32 v16, 0
	v_mov_b32_e32 v17, 0
.LBB159_236:
	s_delay_alu instid0(VALU_DEP_1) | instskip(SKIP_2) | instid1(VALU_DEP_1)
	v_cvt_f32_f64_e32 v16, v[16:17]
	v_max_f32_e32 v17, v95, v95
	v_lshlrev_b64 v[24:25], 3, v[4:5]
	v_add_co_u32 v24, vcc_lo, v20, v24
	s_delay_alu instid0(VALU_DEP_2) | instskip(NEXT) | instid1(VALU_DEP_4)
	v_add_co_ci_u32_e32 v25, vcc_lo, v21, v25, vcc_lo
	v_min_f32_e32 v16, v16, v17
	s_delay_alu instid0(VALU_DEP_1) | instskip(SKIP_3) | instid1(SALU_CYCLE_1)
	v_cvt_f64_f32_e32 v[16:17], v16
	global_store_b64 v[24:25], v[16:17], off
	s_or_b32 exec_lo, exec_lo, s11
	s_and_b32 s15, s3, s8
	s_and_saveexec_b32 s11, s15
	s_cbranch_execz .LBB159_221
.LBB159_237:
	v_cmp_ne_u32_e32 vcc_lo, 1, v18
	s_cbranch_vccnz .LBB159_239
; %bb.238:
	v_lshlrev_b64 v[16:17], 3, v[6:7]
	s_delay_alu instid0(VALU_DEP_1) | instskip(NEXT) | instid1(VALU_DEP_2)
	v_add_co_u32 v16, vcc_lo, v22, v16
	v_add_co_ci_u32_e32 v17, vcc_lo, v23, v17, vcc_lo
	flat_load_b64 v[16:17], v[16:17]
	s_waitcnt vmcnt(0) lgkmcnt(0)
	v_mul_f64 v[16:17], s[12:13], v[16:17]
	s_branch .LBB159_240
.LBB159_239:
	v_mov_b32_e32 v16, 0
	v_mov_b32_e32 v17, 0
.LBB159_240:
	s_delay_alu instid0(VALU_DEP_1) | instskip(SKIP_2) | instid1(VALU_DEP_1)
	v_cvt_f32_f64_e32 v16, v[16:17]
	v_max_f32_e32 v17, v94, v94
	v_lshlrev_b64 v[24:25], 3, v[6:7]
	v_add_co_u32 v24, vcc_lo, v20, v24
	s_delay_alu instid0(VALU_DEP_2) | instskip(NEXT) | instid1(VALU_DEP_4)
	v_add_co_ci_u32_e32 v25, vcc_lo, v21, v25, vcc_lo
	v_min_f32_e32 v16, v16, v17
	s_delay_alu instid0(VALU_DEP_1) | instskip(SKIP_3) | instid1(SALU_CYCLE_1)
	v_cvt_f64_f32_e32 v[16:17], v16
	global_store_b64 v[24:25], v[16:17], off
	s_or_b32 exec_lo, exec_lo, s11
	s_and_b32 s15, s4, s8
	s_and_saveexec_b32 s11, s15
	s_cbranch_execz .LBB159_222
.LBB159_241:
	v_cmp_ne_u32_e32 vcc_lo, 1, v18
	s_cbranch_vccnz .LBB159_243
; %bb.242:
	v_lshlrev_b64 v[16:17], 3, v[8:9]
	s_delay_alu instid0(VALU_DEP_1) | instskip(NEXT) | instid1(VALU_DEP_2)
	v_add_co_u32 v16, vcc_lo, v22, v16
	v_add_co_ci_u32_e32 v17, vcc_lo, v23, v17, vcc_lo
	flat_load_b64 v[16:17], v[16:17]
	s_waitcnt vmcnt(0) lgkmcnt(0)
	v_mul_f64 v[16:17], s[12:13], v[16:17]
	s_branch .LBB159_244
.LBB159_243:
	v_mov_b32_e32 v16, 0
	v_mov_b32_e32 v17, 0
.LBB159_244:
	s_delay_alu instid0(VALU_DEP_1) | instskip(SKIP_2) | instid1(VALU_DEP_1)
	v_cvt_f32_f64_e32 v16, v[16:17]
	v_max_f32_e32 v17, v93, v93
	v_lshlrev_b64 v[24:25], 3, v[8:9]
	v_add_co_u32 v24, vcc_lo, v20, v24
	s_delay_alu instid0(VALU_DEP_2) | instskip(NEXT) | instid1(VALU_DEP_4)
	v_add_co_ci_u32_e32 v25, vcc_lo, v21, v25, vcc_lo
	v_min_f32_e32 v16, v16, v17
	s_delay_alu instid0(VALU_DEP_1) | instskip(SKIP_3) | instid1(SALU_CYCLE_1)
	v_cvt_f64_f32_e32 v[16:17], v16
	global_store_b64 v[24:25], v[16:17], off
	s_or_b32 exec_lo, exec_lo, s11
	s_and_b32 s15, s5, s8
	s_and_saveexec_b32 s11, s15
	s_cbranch_execz .LBB159_223
.LBB159_245:
	v_cmp_ne_u32_e32 vcc_lo, 1, v18
	s_cbranch_vccnz .LBB159_247
; %bb.246:
	v_lshlrev_b64 v[16:17], 3, v[10:11]
	s_delay_alu instid0(VALU_DEP_1) | instskip(NEXT) | instid1(VALU_DEP_2)
	v_add_co_u32 v16, vcc_lo, v22, v16
	v_add_co_ci_u32_e32 v17, vcc_lo, v23, v17, vcc_lo
	flat_load_b64 v[16:17], v[16:17]
	s_waitcnt vmcnt(0) lgkmcnt(0)
	v_mul_f64 v[16:17], s[12:13], v[16:17]
	s_branch .LBB159_248
.LBB159_247:
	v_mov_b32_e32 v16, 0
	v_mov_b32_e32 v17, 0
.LBB159_248:
	s_delay_alu instid0(VALU_DEP_1) | instskip(SKIP_2) | instid1(VALU_DEP_1)
	v_cvt_f32_f64_e32 v16, v[16:17]
	v_max_f32_e32 v17, v92, v92
	v_lshlrev_b64 v[24:25], 3, v[10:11]
	v_add_co_u32 v24, vcc_lo, v20, v24
	s_delay_alu instid0(VALU_DEP_2) | instskip(NEXT) | instid1(VALU_DEP_4)
	v_add_co_ci_u32_e32 v25, vcc_lo, v21, v25, vcc_lo
	v_min_f32_e32 v16, v16, v17
	s_delay_alu instid0(VALU_DEP_1) | instskip(SKIP_3) | instid1(SALU_CYCLE_1)
	v_cvt_f64_f32_e32 v[16:17], v16
	global_store_b64 v[24:25], v[16:17], off
	s_or_b32 exec_lo, exec_lo, s11
	s_and_b32 s15, s6, s8
	s_and_saveexec_b32 s11, s15
	s_cbranch_execz .LBB159_224
.LBB159_249:
	v_cmp_ne_u32_e32 vcc_lo, 1, v18
	s_cbranch_vccnz .LBB159_251
; %bb.250:
	v_lshlrev_b64 v[16:17], 3, v[12:13]
	s_delay_alu instid0(VALU_DEP_1) | instskip(NEXT) | instid1(VALU_DEP_2)
	v_add_co_u32 v16, vcc_lo, v22, v16
	v_add_co_ci_u32_e32 v17, vcc_lo, v23, v17, vcc_lo
	flat_load_b64 v[16:17], v[16:17]
	s_waitcnt vmcnt(0) lgkmcnt(0)
	v_mul_f64 v[16:17], s[12:13], v[16:17]
	s_branch .LBB159_252
.LBB159_251:
	v_mov_b32_e32 v16, 0
	v_mov_b32_e32 v17, 0
.LBB159_252:
	s_delay_alu instid0(VALU_DEP_1) | instskip(SKIP_2) | instid1(VALU_DEP_1)
	v_cvt_f32_f64_e32 v16, v[16:17]
	v_max_f32_e32 v17, v91, v91
	v_lshlrev_b64 v[24:25], 3, v[12:13]
	v_add_co_u32 v24, vcc_lo, v20, v24
	s_delay_alu instid0(VALU_DEP_2) | instskip(NEXT) | instid1(VALU_DEP_4)
	v_add_co_ci_u32_e32 v25, vcc_lo, v21, v25, vcc_lo
	v_min_f32_e32 v16, v16, v17
	s_delay_alu instid0(VALU_DEP_1) | instskip(SKIP_3) | instid1(SALU_CYCLE_1)
	v_cvt_f64_f32_e32 v[16:17], v16
	global_store_b64 v[24:25], v[16:17], off
	s_or_b32 exec_lo, exec_lo, s11
	s_and_b32 s11, s7, s8
	s_and_saveexec_b32 s8, s11
	s_cbranch_execz .LBB159_257
.LBB159_253:
	v_cmp_ne_u32_e32 vcc_lo, 1, v18
	s_cbranch_vccnz .LBB159_255
; %bb.254:
	v_lshlrev_b64 v[16:17], 3, v[14:15]
	s_delay_alu instid0(VALU_DEP_1) | instskip(NEXT) | instid1(VALU_DEP_2)
	v_add_co_u32 v16, vcc_lo, v22, v16
	v_add_co_ci_u32_e32 v17, vcc_lo, v23, v17, vcc_lo
	flat_load_b64 v[16:17], v[16:17]
	s_waitcnt vmcnt(0) lgkmcnt(0)
	v_mul_f64 v[16:17], s[12:13], v[16:17]
	s_branch .LBB159_256
.LBB159_255:
	v_mov_b32_e32 v16, 0
	v_mov_b32_e32 v17, 0
.LBB159_256:
	s_delay_alu instid0(VALU_DEP_1) | instskip(SKIP_2) | instid1(VALU_DEP_1)
	v_cvt_f32_f64_e32 v16, v[16:17]
	v_max_f32_e32 v17, v90, v90
	v_lshlrev_b64 v[22:23], 3, v[14:15]
	v_add_co_u32 v20, vcc_lo, v20, v22
	s_delay_alu instid0(VALU_DEP_2) | instskip(NEXT) | instid1(VALU_DEP_4)
	v_add_co_ci_u32_e32 v21, vcc_lo, v21, v23, vcc_lo
	v_min_f32_e32 v16, v16, v17
	s_delay_alu instid0(VALU_DEP_1)
	v_cvt_f64_f32_e32 v[16:17], v16
	global_store_b64 v[20:21], v[16:17], off
.LBB159_257:
	s_or_b32 exec_lo, exec_lo, s8
	v_add_nc_u32_e32 v22, 40, v19
	s_delay_alu instid0(VALU_DEP_1) | instskip(SKIP_2) | instid1(VALU_DEP_3)
	v_mad_i64_i32 v[16:17], null, v22, s18, 0
	v_mad_i64_i32 v[20:21], null, v22, s14, 0
	v_cmp_gt_i32_e64 s8, s17, v22
	v_lshlrev_b64 v[16:17], 3, v[16:17]
	s_delay_alu instid0(VALU_DEP_2) | instskip(NEXT) | instid1(VALU_DEP_3)
	s_and_b32 s15, s0, s8
	v_lshlrev_b64 v[20:21], 3, v[20:21]
	s_delay_alu instid0(VALU_DEP_2) | instskip(NEXT) | instid1(VALU_DEP_3)
	v_add_co_u32 v22, vcc_lo, s20, v16
	v_add_co_ci_u32_e32 v23, vcc_lo, s21, v17, vcc_lo
	s_delay_alu instid0(VALU_DEP_3) | instskip(NEXT) | instid1(VALU_DEP_4)
	v_add_co_u32 v20, vcc_lo, s9, v20
	v_add_co_ci_u32_e32 v21, vcc_lo, s10, v21, vcc_lo
	s_and_saveexec_b32 s11, s15
	s_cbranch_execnz .LBB159_265
; %bb.258:
	s_or_b32 exec_lo, exec_lo, s11
	s_and_b32 s15, s1, s8
	s_delay_alu instid0(SALU_CYCLE_1)
	s_and_saveexec_b32 s11, s15
	s_cbranch_execnz .LBB159_269
.LBB159_259:
	s_or_b32 exec_lo, exec_lo, s11
	s_and_b32 s15, s2, s8
	s_delay_alu instid0(SALU_CYCLE_1)
	s_and_saveexec_b32 s11, s15
	s_cbranch_execnz .LBB159_273
.LBB159_260:
	s_or_b32 exec_lo, exec_lo, s11
	s_and_b32 s15, s3, s8
	s_delay_alu instid0(SALU_CYCLE_1)
	s_and_saveexec_b32 s11, s15
	s_cbranch_execnz .LBB159_277
.LBB159_261:
	s_or_b32 exec_lo, exec_lo, s11
	s_and_b32 s15, s4, s8
	s_delay_alu instid0(SALU_CYCLE_1)
	s_and_saveexec_b32 s11, s15
	s_cbranch_execnz .LBB159_281
.LBB159_262:
	s_or_b32 exec_lo, exec_lo, s11
	s_and_b32 s15, s5, s8
	s_delay_alu instid0(SALU_CYCLE_1)
	s_and_saveexec_b32 s11, s15
	s_cbranch_execnz .LBB159_285
.LBB159_263:
	s_or_b32 exec_lo, exec_lo, s11
	s_and_b32 s15, s6, s8
	s_delay_alu instid0(SALU_CYCLE_1)
	s_and_saveexec_b32 s11, s15
	s_cbranch_execnz .LBB159_289
.LBB159_264:
	s_or_b32 exec_lo, exec_lo, s11
	s_and_b32 s11, s7, s8
	s_delay_alu instid0(SALU_CYCLE_1)
	s_and_saveexec_b32 s8, s11
	s_cbranch_execnz .LBB159_293
	s_branch .LBB159_297
.LBB159_265:
	v_cmp_ne_u32_e32 vcc_lo, 1, v18
	s_cbranch_vccnz .LBB159_267
; %bb.266:
	v_lshlrev_b64 v[16:17], 3, v[0:1]
	s_delay_alu instid0(VALU_DEP_1) | instskip(NEXT) | instid1(VALU_DEP_2)
	v_add_co_u32 v16, vcc_lo, v22, v16
	v_add_co_ci_u32_e32 v17, vcc_lo, v23, v17, vcc_lo
	flat_load_b64 v[16:17], v[16:17]
	s_waitcnt vmcnt(0) lgkmcnt(0)
	v_mul_f64 v[16:17], s[12:13], v[16:17]
	s_branch .LBB159_268
.LBB159_267:
	v_mov_b32_e32 v16, 0
	v_mov_b32_e32 v17, 0
.LBB159_268:
	s_delay_alu instid0(VALU_DEP_1) | instskip(SKIP_2) | instid1(VALU_DEP_1)
	v_cvt_f32_f64_e32 v16, v[16:17]
	v_max_f32_e32 v17, v89, v89
	v_lshlrev_b64 v[24:25], 3, v[0:1]
	v_add_co_u32 v24, vcc_lo, v20, v24
	s_delay_alu instid0(VALU_DEP_2) | instskip(NEXT) | instid1(VALU_DEP_4)
	v_add_co_ci_u32_e32 v25, vcc_lo, v21, v25, vcc_lo
	v_min_f32_e32 v16, v16, v17
	s_delay_alu instid0(VALU_DEP_1) | instskip(SKIP_3) | instid1(SALU_CYCLE_1)
	v_cvt_f64_f32_e32 v[16:17], v16
	global_store_b64 v[24:25], v[16:17], off
	s_or_b32 exec_lo, exec_lo, s11
	s_and_b32 s15, s1, s8
	s_and_saveexec_b32 s11, s15
	s_cbranch_execz .LBB159_259
.LBB159_269:
	v_cmp_ne_u32_e32 vcc_lo, 1, v18
	s_cbranch_vccnz .LBB159_271
; %bb.270:
	v_lshlrev_b64 v[16:17], 3, v[2:3]
	s_delay_alu instid0(VALU_DEP_1) | instskip(NEXT) | instid1(VALU_DEP_2)
	v_add_co_u32 v16, vcc_lo, v22, v16
	v_add_co_ci_u32_e32 v17, vcc_lo, v23, v17, vcc_lo
	flat_load_b64 v[16:17], v[16:17]
	s_waitcnt vmcnt(0) lgkmcnt(0)
	v_mul_f64 v[16:17], s[12:13], v[16:17]
	s_branch .LBB159_272
.LBB159_271:
	v_mov_b32_e32 v16, 0
	v_mov_b32_e32 v17, 0
.LBB159_272:
	s_delay_alu instid0(VALU_DEP_1) | instskip(SKIP_2) | instid1(VALU_DEP_1)
	v_cvt_f32_f64_e32 v16, v[16:17]
	v_max_f32_e32 v17, v88, v88
	v_lshlrev_b64 v[24:25], 3, v[2:3]
	v_add_co_u32 v24, vcc_lo, v20, v24
	s_delay_alu instid0(VALU_DEP_2) | instskip(NEXT) | instid1(VALU_DEP_4)
	v_add_co_ci_u32_e32 v25, vcc_lo, v21, v25, vcc_lo
	v_min_f32_e32 v16, v16, v17
	s_delay_alu instid0(VALU_DEP_1) | instskip(SKIP_3) | instid1(SALU_CYCLE_1)
	v_cvt_f64_f32_e32 v[16:17], v16
	global_store_b64 v[24:25], v[16:17], off
	s_or_b32 exec_lo, exec_lo, s11
	s_and_b32 s15, s2, s8
	s_and_saveexec_b32 s11, s15
	s_cbranch_execz .LBB159_260
.LBB159_273:
	v_cmp_ne_u32_e32 vcc_lo, 1, v18
	s_cbranch_vccnz .LBB159_275
; %bb.274:
	v_lshlrev_b64 v[16:17], 3, v[4:5]
	s_delay_alu instid0(VALU_DEP_1) | instskip(NEXT) | instid1(VALU_DEP_2)
	v_add_co_u32 v16, vcc_lo, v22, v16
	v_add_co_ci_u32_e32 v17, vcc_lo, v23, v17, vcc_lo
	flat_load_b64 v[16:17], v[16:17]
	s_waitcnt vmcnt(0) lgkmcnt(0)
	v_mul_f64 v[16:17], s[12:13], v[16:17]
	s_branch .LBB159_276
.LBB159_275:
	v_mov_b32_e32 v16, 0
	v_mov_b32_e32 v17, 0
.LBB159_276:
	s_delay_alu instid0(VALU_DEP_1) | instskip(SKIP_2) | instid1(VALU_DEP_1)
	v_cvt_f32_f64_e32 v16, v[16:17]
	v_max_f32_e32 v17, v87, v87
	v_lshlrev_b64 v[24:25], 3, v[4:5]
	v_add_co_u32 v24, vcc_lo, v20, v24
	s_delay_alu instid0(VALU_DEP_2) | instskip(NEXT) | instid1(VALU_DEP_4)
	v_add_co_ci_u32_e32 v25, vcc_lo, v21, v25, vcc_lo
	v_min_f32_e32 v16, v16, v17
	s_delay_alu instid0(VALU_DEP_1) | instskip(SKIP_3) | instid1(SALU_CYCLE_1)
	v_cvt_f64_f32_e32 v[16:17], v16
	global_store_b64 v[24:25], v[16:17], off
	s_or_b32 exec_lo, exec_lo, s11
	s_and_b32 s15, s3, s8
	s_and_saveexec_b32 s11, s15
	s_cbranch_execz .LBB159_261
.LBB159_277:
	v_cmp_ne_u32_e32 vcc_lo, 1, v18
	s_cbranch_vccnz .LBB159_279
; %bb.278:
	v_lshlrev_b64 v[16:17], 3, v[6:7]
	s_delay_alu instid0(VALU_DEP_1) | instskip(NEXT) | instid1(VALU_DEP_2)
	v_add_co_u32 v16, vcc_lo, v22, v16
	v_add_co_ci_u32_e32 v17, vcc_lo, v23, v17, vcc_lo
	flat_load_b64 v[16:17], v[16:17]
	s_waitcnt vmcnt(0) lgkmcnt(0)
	v_mul_f64 v[16:17], s[12:13], v[16:17]
	s_branch .LBB159_280
.LBB159_279:
	v_mov_b32_e32 v16, 0
	v_mov_b32_e32 v17, 0
.LBB159_280:
	s_delay_alu instid0(VALU_DEP_1) | instskip(SKIP_2) | instid1(VALU_DEP_1)
	v_cvt_f32_f64_e32 v16, v[16:17]
	v_max_f32_e32 v17, v86, v86
	v_lshlrev_b64 v[24:25], 3, v[6:7]
	v_add_co_u32 v24, vcc_lo, v20, v24
	s_delay_alu instid0(VALU_DEP_2) | instskip(NEXT) | instid1(VALU_DEP_4)
	v_add_co_ci_u32_e32 v25, vcc_lo, v21, v25, vcc_lo
	v_min_f32_e32 v16, v16, v17
	s_delay_alu instid0(VALU_DEP_1) | instskip(SKIP_3) | instid1(SALU_CYCLE_1)
	v_cvt_f64_f32_e32 v[16:17], v16
	global_store_b64 v[24:25], v[16:17], off
	s_or_b32 exec_lo, exec_lo, s11
	s_and_b32 s15, s4, s8
	s_and_saveexec_b32 s11, s15
	s_cbranch_execz .LBB159_262
.LBB159_281:
	v_cmp_ne_u32_e32 vcc_lo, 1, v18
	s_cbranch_vccnz .LBB159_283
; %bb.282:
	v_lshlrev_b64 v[16:17], 3, v[8:9]
	s_delay_alu instid0(VALU_DEP_1) | instskip(NEXT) | instid1(VALU_DEP_2)
	v_add_co_u32 v16, vcc_lo, v22, v16
	v_add_co_ci_u32_e32 v17, vcc_lo, v23, v17, vcc_lo
	flat_load_b64 v[16:17], v[16:17]
	s_waitcnt vmcnt(0) lgkmcnt(0)
	v_mul_f64 v[16:17], s[12:13], v[16:17]
	s_branch .LBB159_284
.LBB159_283:
	v_mov_b32_e32 v16, 0
	v_mov_b32_e32 v17, 0
.LBB159_284:
	s_delay_alu instid0(VALU_DEP_1) | instskip(SKIP_2) | instid1(VALU_DEP_1)
	v_cvt_f32_f64_e32 v16, v[16:17]
	v_max_f32_e32 v17, v85, v85
	v_lshlrev_b64 v[24:25], 3, v[8:9]
	v_add_co_u32 v24, vcc_lo, v20, v24
	s_delay_alu instid0(VALU_DEP_2) | instskip(NEXT) | instid1(VALU_DEP_4)
	v_add_co_ci_u32_e32 v25, vcc_lo, v21, v25, vcc_lo
	v_min_f32_e32 v16, v16, v17
	s_delay_alu instid0(VALU_DEP_1) | instskip(SKIP_3) | instid1(SALU_CYCLE_1)
	v_cvt_f64_f32_e32 v[16:17], v16
	global_store_b64 v[24:25], v[16:17], off
	s_or_b32 exec_lo, exec_lo, s11
	s_and_b32 s15, s5, s8
	s_and_saveexec_b32 s11, s15
	s_cbranch_execz .LBB159_263
.LBB159_285:
	v_cmp_ne_u32_e32 vcc_lo, 1, v18
	s_cbranch_vccnz .LBB159_287
; %bb.286:
	v_lshlrev_b64 v[16:17], 3, v[10:11]
	s_delay_alu instid0(VALU_DEP_1) | instskip(NEXT) | instid1(VALU_DEP_2)
	v_add_co_u32 v16, vcc_lo, v22, v16
	v_add_co_ci_u32_e32 v17, vcc_lo, v23, v17, vcc_lo
	flat_load_b64 v[16:17], v[16:17]
	s_waitcnt vmcnt(0) lgkmcnt(0)
	v_mul_f64 v[16:17], s[12:13], v[16:17]
	s_branch .LBB159_288
.LBB159_287:
	v_mov_b32_e32 v16, 0
	v_mov_b32_e32 v17, 0
.LBB159_288:
	s_delay_alu instid0(VALU_DEP_1) | instskip(SKIP_2) | instid1(VALU_DEP_1)
	v_cvt_f32_f64_e32 v16, v[16:17]
	v_max_f32_e32 v17, v84, v84
	v_lshlrev_b64 v[24:25], 3, v[10:11]
	v_add_co_u32 v24, vcc_lo, v20, v24
	s_delay_alu instid0(VALU_DEP_2) | instskip(NEXT) | instid1(VALU_DEP_4)
	v_add_co_ci_u32_e32 v25, vcc_lo, v21, v25, vcc_lo
	v_min_f32_e32 v16, v16, v17
	s_delay_alu instid0(VALU_DEP_1) | instskip(SKIP_3) | instid1(SALU_CYCLE_1)
	v_cvt_f64_f32_e32 v[16:17], v16
	global_store_b64 v[24:25], v[16:17], off
	s_or_b32 exec_lo, exec_lo, s11
	s_and_b32 s15, s6, s8
	s_and_saveexec_b32 s11, s15
	s_cbranch_execz .LBB159_264
.LBB159_289:
	v_cmp_ne_u32_e32 vcc_lo, 1, v18
	s_cbranch_vccnz .LBB159_291
; %bb.290:
	v_lshlrev_b64 v[16:17], 3, v[12:13]
	s_delay_alu instid0(VALU_DEP_1) | instskip(NEXT) | instid1(VALU_DEP_2)
	v_add_co_u32 v16, vcc_lo, v22, v16
	v_add_co_ci_u32_e32 v17, vcc_lo, v23, v17, vcc_lo
	flat_load_b64 v[16:17], v[16:17]
	s_waitcnt vmcnt(0) lgkmcnt(0)
	v_mul_f64 v[16:17], s[12:13], v[16:17]
	s_branch .LBB159_292
.LBB159_291:
	v_mov_b32_e32 v16, 0
	v_mov_b32_e32 v17, 0
.LBB159_292:
	s_delay_alu instid0(VALU_DEP_1) | instskip(SKIP_2) | instid1(VALU_DEP_1)
	v_cvt_f32_f64_e32 v16, v[16:17]
	v_max_f32_e32 v17, v83, v83
	v_lshlrev_b64 v[24:25], 3, v[12:13]
	v_add_co_u32 v24, vcc_lo, v20, v24
	s_delay_alu instid0(VALU_DEP_2) | instskip(NEXT) | instid1(VALU_DEP_4)
	v_add_co_ci_u32_e32 v25, vcc_lo, v21, v25, vcc_lo
	v_min_f32_e32 v16, v16, v17
	s_delay_alu instid0(VALU_DEP_1) | instskip(SKIP_3) | instid1(SALU_CYCLE_1)
	v_cvt_f64_f32_e32 v[16:17], v16
	global_store_b64 v[24:25], v[16:17], off
	s_or_b32 exec_lo, exec_lo, s11
	s_and_b32 s11, s7, s8
	s_and_saveexec_b32 s8, s11
	s_cbranch_execz .LBB159_297
.LBB159_293:
	v_cmp_ne_u32_e32 vcc_lo, 1, v18
	s_cbranch_vccnz .LBB159_295
; %bb.294:
	v_lshlrev_b64 v[16:17], 3, v[14:15]
	s_delay_alu instid0(VALU_DEP_1) | instskip(NEXT) | instid1(VALU_DEP_2)
	v_add_co_u32 v16, vcc_lo, v22, v16
	v_add_co_ci_u32_e32 v17, vcc_lo, v23, v17, vcc_lo
	flat_load_b64 v[16:17], v[16:17]
	s_waitcnt vmcnt(0) lgkmcnt(0)
	v_mul_f64 v[16:17], s[12:13], v[16:17]
	s_branch .LBB159_296
.LBB159_295:
	v_mov_b32_e32 v16, 0
	v_mov_b32_e32 v17, 0
.LBB159_296:
	s_delay_alu instid0(VALU_DEP_1) | instskip(SKIP_2) | instid1(VALU_DEP_1)
	v_cvt_f32_f64_e32 v16, v[16:17]
	v_max_f32_e32 v17, v82, v82
	v_lshlrev_b64 v[22:23], 3, v[14:15]
	v_add_co_u32 v20, vcc_lo, v20, v22
	s_delay_alu instid0(VALU_DEP_2) | instskip(NEXT) | instid1(VALU_DEP_4)
	v_add_co_ci_u32_e32 v21, vcc_lo, v21, v23, vcc_lo
	v_min_f32_e32 v16, v16, v17
	s_delay_alu instid0(VALU_DEP_1)
	v_cvt_f64_f32_e32 v[16:17], v16
	global_store_b64 v[20:21], v[16:17], off
.LBB159_297:
	s_or_b32 exec_lo, exec_lo, s8
	v_add_nc_u32_e32 v22, 48, v19
	s_delay_alu instid0(VALU_DEP_1) | instskip(SKIP_2) | instid1(VALU_DEP_3)
	v_mad_i64_i32 v[16:17], null, v22, s18, 0
	v_mad_i64_i32 v[20:21], null, v22, s14, 0
	v_cmp_gt_i32_e64 s8, s17, v22
	v_lshlrev_b64 v[16:17], 3, v[16:17]
	s_delay_alu instid0(VALU_DEP_2) | instskip(NEXT) | instid1(VALU_DEP_3)
	s_and_b32 s15, s0, s8
	v_lshlrev_b64 v[20:21], 3, v[20:21]
	s_delay_alu instid0(VALU_DEP_2) | instskip(NEXT) | instid1(VALU_DEP_3)
	v_add_co_u32 v22, vcc_lo, s20, v16
	v_add_co_ci_u32_e32 v23, vcc_lo, s21, v17, vcc_lo
	s_delay_alu instid0(VALU_DEP_3) | instskip(NEXT) | instid1(VALU_DEP_4)
	v_add_co_u32 v20, vcc_lo, s9, v20
	v_add_co_ci_u32_e32 v21, vcc_lo, s10, v21, vcc_lo
	s_and_saveexec_b32 s11, s15
	s_cbranch_execnz .LBB159_305
; %bb.298:
	s_or_b32 exec_lo, exec_lo, s11
	s_and_b32 s15, s1, s8
	s_delay_alu instid0(SALU_CYCLE_1)
	s_and_saveexec_b32 s11, s15
	s_cbranch_execnz .LBB159_309
.LBB159_299:
	s_or_b32 exec_lo, exec_lo, s11
	s_and_b32 s15, s2, s8
	s_delay_alu instid0(SALU_CYCLE_1)
	s_and_saveexec_b32 s11, s15
	s_cbranch_execnz .LBB159_313
.LBB159_300:
	s_or_b32 exec_lo, exec_lo, s11
	s_and_b32 s15, s3, s8
	s_delay_alu instid0(SALU_CYCLE_1)
	s_and_saveexec_b32 s11, s15
	s_cbranch_execnz .LBB159_317
.LBB159_301:
	s_or_b32 exec_lo, exec_lo, s11
	s_and_b32 s15, s4, s8
	s_delay_alu instid0(SALU_CYCLE_1)
	s_and_saveexec_b32 s11, s15
	s_cbranch_execnz .LBB159_321
.LBB159_302:
	s_or_b32 exec_lo, exec_lo, s11
	s_and_b32 s15, s5, s8
	s_delay_alu instid0(SALU_CYCLE_1)
	s_and_saveexec_b32 s11, s15
	s_cbranch_execnz .LBB159_325
.LBB159_303:
	s_or_b32 exec_lo, exec_lo, s11
	s_and_b32 s15, s6, s8
	s_delay_alu instid0(SALU_CYCLE_1)
	s_and_saveexec_b32 s11, s15
	s_cbranch_execnz .LBB159_329
.LBB159_304:
	s_or_b32 exec_lo, exec_lo, s11
	s_and_b32 s11, s7, s8
	s_delay_alu instid0(SALU_CYCLE_1)
	s_and_saveexec_b32 s8, s11
	s_cbranch_execnz .LBB159_333
	s_branch .LBB159_337
.LBB159_305:
	v_cmp_ne_u32_e32 vcc_lo, 1, v18
	s_cbranch_vccnz .LBB159_307
; %bb.306:
	v_lshlrev_b64 v[16:17], 3, v[0:1]
	s_delay_alu instid0(VALU_DEP_1) | instskip(NEXT) | instid1(VALU_DEP_2)
	v_add_co_u32 v16, vcc_lo, v22, v16
	v_add_co_ci_u32_e32 v17, vcc_lo, v23, v17, vcc_lo
	flat_load_b64 v[16:17], v[16:17]
	s_waitcnt vmcnt(0) lgkmcnt(0)
	v_mul_f64 v[16:17], s[12:13], v[16:17]
	s_branch .LBB159_308
.LBB159_307:
	v_mov_b32_e32 v16, 0
	v_mov_b32_e32 v17, 0
.LBB159_308:
	s_delay_alu instid0(VALU_DEP_1) | instskip(SKIP_2) | instid1(VALU_DEP_1)
	v_cvt_f32_f64_e32 v16, v[16:17]
	v_max_f32_e32 v17, v81, v81
	v_lshlrev_b64 v[24:25], 3, v[0:1]
	v_add_co_u32 v24, vcc_lo, v20, v24
	s_delay_alu instid0(VALU_DEP_2) | instskip(NEXT) | instid1(VALU_DEP_4)
	v_add_co_ci_u32_e32 v25, vcc_lo, v21, v25, vcc_lo
	v_min_f32_e32 v16, v16, v17
	s_delay_alu instid0(VALU_DEP_1) | instskip(SKIP_3) | instid1(SALU_CYCLE_1)
	v_cvt_f64_f32_e32 v[16:17], v16
	global_store_b64 v[24:25], v[16:17], off
	s_or_b32 exec_lo, exec_lo, s11
	s_and_b32 s15, s1, s8
	s_and_saveexec_b32 s11, s15
	s_cbranch_execz .LBB159_299
.LBB159_309:
	v_cmp_ne_u32_e32 vcc_lo, 1, v18
	s_cbranch_vccnz .LBB159_311
; %bb.310:
	v_lshlrev_b64 v[16:17], 3, v[2:3]
	s_delay_alu instid0(VALU_DEP_1) | instskip(NEXT) | instid1(VALU_DEP_2)
	v_add_co_u32 v16, vcc_lo, v22, v16
	v_add_co_ci_u32_e32 v17, vcc_lo, v23, v17, vcc_lo
	flat_load_b64 v[16:17], v[16:17]
	s_waitcnt vmcnt(0) lgkmcnt(0)
	v_mul_f64 v[16:17], s[12:13], v[16:17]
	s_branch .LBB159_312
.LBB159_311:
	v_mov_b32_e32 v16, 0
	v_mov_b32_e32 v17, 0
.LBB159_312:
	s_delay_alu instid0(VALU_DEP_1) | instskip(SKIP_2) | instid1(VALU_DEP_1)
	v_cvt_f32_f64_e32 v16, v[16:17]
	v_max_f32_e32 v17, v80, v80
	v_lshlrev_b64 v[24:25], 3, v[2:3]
	v_add_co_u32 v24, vcc_lo, v20, v24
	s_delay_alu instid0(VALU_DEP_2) | instskip(NEXT) | instid1(VALU_DEP_4)
	v_add_co_ci_u32_e32 v25, vcc_lo, v21, v25, vcc_lo
	v_min_f32_e32 v16, v16, v17
	s_delay_alu instid0(VALU_DEP_1) | instskip(SKIP_3) | instid1(SALU_CYCLE_1)
	v_cvt_f64_f32_e32 v[16:17], v16
	global_store_b64 v[24:25], v[16:17], off
	s_or_b32 exec_lo, exec_lo, s11
	s_and_b32 s15, s2, s8
	s_and_saveexec_b32 s11, s15
	s_cbranch_execz .LBB159_300
.LBB159_313:
	v_cmp_ne_u32_e32 vcc_lo, 1, v18
	s_cbranch_vccnz .LBB159_315
; %bb.314:
	v_lshlrev_b64 v[16:17], 3, v[4:5]
	s_delay_alu instid0(VALU_DEP_1) | instskip(NEXT) | instid1(VALU_DEP_2)
	v_add_co_u32 v16, vcc_lo, v22, v16
	v_add_co_ci_u32_e32 v17, vcc_lo, v23, v17, vcc_lo
	flat_load_b64 v[16:17], v[16:17]
	s_waitcnt vmcnt(0) lgkmcnt(0)
	v_mul_f64 v[16:17], s[12:13], v[16:17]
	s_branch .LBB159_316
.LBB159_315:
	v_mov_b32_e32 v16, 0
	v_mov_b32_e32 v17, 0
.LBB159_316:
	s_delay_alu instid0(VALU_DEP_1) | instskip(SKIP_2) | instid1(VALU_DEP_1)
	v_cvt_f32_f64_e32 v16, v[16:17]
	v_max_f32_e32 v17, v79, v79
	v_lshlrev_b64 v[24:25], 3, v[4:5]
	v_add_co_u32 v24, vcc_lo, v20, v24
	s_delay_alu instid0(VALU_DEP_2) | instskip(NEXT) | instid1(VALU_DEP_4)
	v_add_co_ci_u32_e32 v25, vcc_lo, v21, v25, vcc_lo
	v_min_f32_e32 v16, v16, v17
	s_delay_alu instid0(VALU_DEP_1) | instskip(SKIP_3) | instid1(SALU_CYCLE_1)
	v_cvt_f64_f32_e32 v[16:17], v16
	global_store_b64 v[24:25], v[16:17], off
	s_or_b32 exec_lo, exec_lo, s11
	s_and_b32 s15, s3, s8
	s_and_saveexec_b32 s11, s15
	s_cbranch_execz .LBB159_301
.LBB159_317:
	v_cmp_ne_u32_e32 vcc_lo, 1, v18
	s_cbranch_vccnz .LBB159_319
; %bb.318:
	v_lshlrev_b64 v[16:17], 3, v[6:7]
	s_delay_alu instid0(VALU_DEP_1) | instskip(NEXT) | instid1(VALU_DEP_2)
	v_add_co_u32 v16, vcc_lo, v22, v16
	v_add_co_ci_u32_e32 v17, vcc_lo, v23, v17, vcc_lo
	flat_load_b64 v[16:17], v[16:17]
	s_waitcnt vmcnt(0) lgkmcnt(0)
	v_mul_f64 v[16:17], s[12:13], v[16:17]
	s_branch .LBB159_320
.LBB159_319:
	v_mov_b32_e32 v16, 0
	v_mov_b32_e32 v17, 0
.LBB159_320:
	s_delay_alu instid0(VALU_DEP_1) | instskip(SKIP_2) | instid1(VALU_DEP_1)
	v_cvt_f32_f64_e32 v16, v[16:17]
	v_max_f32_e32 v17, v78, v78
	v_lshlrev_b64 v[24:25], 3, v[6:7]
	v_add_co_u32 v24, vcc_lo, v20, v24
	s_delay_alu instid0(VALU_DEP_2) | instskip(NEXT) | instid1(VALU_DEP_4)
	v_add_co_ci_u32_e32 v25, vcc_lo, v21, v25, vcc_lo
	v_min_f32_e32 v16, v16, v17
	s_delay_alu instid0(VALU_DEP_1) | instskip(SKIP_3) | instid1(SALU_CYCLE_1)
	v_cvt_f64_f32_e32 v[16:17], v16
	global_store_b64 v[24:25], v[16:17], off
	s_or_b32 exec_lo, exec_lo, s11
	s_and_b32 s15, s4, s8
	s_and_saveexec_b32 s11, s15
	s_cbranch_execz .LBB159_302
.LBB159_321:
	v_cmp_ne_u32_e32 vcc_lo, 1, v18
	s_cbranch_vccnz .LBB159_323
; %bb.322:
	v_lshlrev_b64 v[16:17], 3, v[8:9]
	s_delay_alu instid0(VALU_DEP_1) | instskip(NEXT) | instid1(VALU_DEP_2)
	v_add_co_u32 v16, vcc_lo, v22, v16
	v_add_co_ci_u32_e32 v17, vcc_lo, v23, v17, vcc_lo
	flat_load_b64 v[16:17], v[16:17]
	s_waitcnt vmcnt(0) lgkmcnt(0)
	v_mul_f64 v[16:17], s[12:13], v[16:17]
	s_branch .LBB159_324
.LBB159_323:
	v_mov_b32_e32 v16, 0
	v_mov_b32_e32 v17, 0
.LBB159_324:
	s_delay_alu instid0(VALU_DEP_1) | instskip(SKIP_2) | instid1(VALU_DEP_1)
	v_cvt_f32_f64_e32 v16, v[16:17]
	v_max_f32_e32 v17, v77, v77
	v_lshlrev_b64 v[24:25], 3, v[8:9]
	v_add_co_u32 v24, vcc_lo, v20, v24
	s_delay_alu instid0(VALU_DEP_2) | instskip(NEXT) | instid1(VALU_DEP_4)
	v_add_co_ci_u32_e32 v25, vcc_lo, v21, v25, vcc_lo
	v_min_f32_e32 v16, v16, v17
	s_delay_alu instid0(VALU_DEP_1) | instskip(SKIP_3) | instid1(SALU_CYCLE_1)
	v_cvt_f64_f32_e32 v[16:17], v16
	global_store_b64 v[24:25], v[16:17], off
	s_or_b32 exec_lo, exec_lo, s11
	s_and_b32 s15, s5, s8
	s_and_saveexec_b32 s11, s15
	s_cbranch_execz .LBB159_303
.LBB159_325:
	v_cmp_ne_u32_e32 vcc_lo, 1, v18
	s_cbranch_vccnz .LBB159_327
; %bb.326:
	v_lshlrev_b64 v[16:17], 3, v[10:11]
	s_delay_alu instid0(VALU_DEP_1) | instskip(NEXT) | instid1(VALU_DEP_2)
	v_add_co_u32 v16, vcc_lo, v22, v16
	v_add_co_ci_u32_e32 v17, vcc_lo, v23, v17, vcc_lo
	flat_load_b64 v[16:17], v[16:17]
	s_waitcnt vmcnt(0) lgkmcnt(0)
	v_mul_f64 v[16:17], s[12:13], v[16:17]
	s_branch .LBB159_328
.LBB159_327:
	v_mov_b32_e32 v16, 0
	v_mov_b32_e32 v17, 0
.LBB159_328:
	s_delay_alu instid0(VALU_DEP_1) | instskip(SKIP_2) | instid1(VALU_DEP_1)
	v_cvt_f32_f64_e32 v16, v[16:17]
	v_max_f32_e32 v17, v76, v76
	v_lshlrev_b64 v[24:25], 3, v[10:11]
	v_add_co_u32 v24, vcc_lo, v20, v24
	s_delay_alu instid0(VALU_DEP_2) | instskip(NEXT) | instid1(VALU_DEP_4)
	v_add_co_ci_u32_e32 v25, vcc_lo, v21, v25, vcc_lo
	v_min_f32_e32 v16, v16, v17
	s_delay_alu instid0(VALU_DEP_1) | instskip(SKIP_3) | instid1(SALU_CYCLE_1)
	v_cvt_f64_f32_e32 v[16:17], v16
	global_store_b64 v[24:25], v[16:17], off
	s_or_b32 exec_lo, exec_lo, s11
	s_and_b32 s15, s6, s8
	s_and_saveexec_b32 s11, s15
	s_cbranch_execz .LBB159_304
.LBB159_329:
	v_cmp_ne_u32_e32 vcc_lo, 1, v18
	s_cbranch_vccnz .LBB159_331
; %bb.330:
	v_lshlrev_b64 v[16:17], 3, v[12:13]
	s_delay_alu instid0(VALU_DEP_1) | instskip(NEXT) | instid1(VALU_DEP_2)
	v_add_co_u32 v16, vcc_lo, v22, v16
	v_add_co_ci_u32_e32 v17, vcc_lo, v23, v17, vcc_lo
	flat_load_b64 v[16:17], v[16:17]
	s_waitcnt vmcnt(0) lgkmcnt(0)
	v_mul_f64 v[16:17], s[12:13], v[16:17]
	s_branch .LBB159_332
.LBB159_331:
	v_mov_b32_e32 v16, 0
	v_mov_b32_e32 v17, 0
.LBB159_332:
	s_delay_alu instid0(VALU_DEP_1) | instskip(SKIP_2) | instid1(VALU_DEP_1)
	v_cvt_f32_f64_e32 v16, v[16:17]
	v_max_f32_e32 v17, v75, v75
	v_lshlrev_b64 v[24:25], 3, v[12:13]
	v_add_co_u32 v24, vcc_lo, v20, v24
	s_delay_alu instid0(VALU_DEP_2) | instskip(NEXT) | instid1(VALU_DEP_4)
	v_add_co_ci_u32_e32 v25, vcc_lo, v21, v25, vcc_lo
	v_min_f32_e32 v16, v16, v17
	s_delay_alu instid0(VALU_DEP_1) | instskip(SKIP_3) | instid1(SALU_CYCLE_1)
	v_cvt_f64_f32_e32 v[16:17], v16
	global_store_b64 v[24:25], v[16:17], off
	s_or_b32 exec_lo, exec_lo, s11
	s_and_b32 s11, s7, s8
	s_and_saveexec_b32 s8, s11
	s_cbranch_execz .LBB159_337
.LBB159_333:
	v_cmp_ne_u32_e32 vcc_lo, 1, v18
	s_cbranch_vccnz .LBB159_335
; %bb.334:
	v_lshlrev_b64 v[16:17], 3, v[14:15]
	s_delay_alu instid0(VALU_DEP_1) | instskip(NEXT) | instid1(VALU_DEP_2)
	v_add_co_u32 v16, vcc_lo, v22, v16
	v_add_co_ci_u32_e32 v17, vcc_lo, v23, v17, vcc_lo
	flat_load_b64 v[16:17], v[16:17]
	s_waitcnt vmcnt(0) lgkmcnt(0)
	v_mul_f64 v[16:17], s[12:13], v[16:17]
	s_branch .LBB159_336
.LBB159_335:
	v_mov_b32_e32 v16, 0
	v_mov_b32_e32 v17, 0
.LBB159_336:
	s_delay_alu instid0(VALU_DEP_1) | instskip(SKIP_2) | instid1(VALU_DEP_1)
	v_cvt_f32_f64_e32 v16, v[16:17]
	v_max_f32_e32 v17, v74, v74
	v_lshlrev_b64 v[22:23], 3, v[14:15]
	v_add_co_u32 v20, vcc_lo, v20, v22
	s_delay_alu instid0(VALU_DEP_2) | instskip(NEXT) | instid1(VALU_DEP_4)
	v_add_co_ci_u32_e32 v21, vcc_lo, v21, v23, vcc_lo
	v_min_f32_e32 v16, v16, v17
	s_delay_alu instid0(VALU_DEP_1)
	v_cvt_f64_f32_e32 v[16:17], v16
	global_store_b64 v[20:21], v[16:17], off
.LBB159_337:
	s_or_b32 exec_lo, exec_lo, s8
	v_add_nc_u32_e32 v21, 56, v19
	s_delay_alu instid0(VALU_DEP_1) | instskip(SKIP_2) | instid1(VALU_DEP_3)
	v_mad_i64_i32 v[16:17], null, v21, s18, 0
	v_mad_i64_i32 v[19:20], null, v21, s14, 0
	v_cmp_gt_i32_e64 s8, s17, v21
	v_lshlrev_b64 v[16:17], 3, v[16:17]
	s_delay_alu instid0(VALU_DEP_3) | instskip(NEXT) | instid1(VALU_DEP_2)
	v_lshlrev_b64 v[21:22], 3, v[19:20]
	v_add_co_u32 v19, vcc_lo, s20, v16
	s_delay_alu instid0(VALU_DEP_3) | instskip(NEXT) | instid1(VALU_DEP_3)
	v_add_co_ci_u32_e32 v20, vcc_lo, s21, v17, vcc_lo
	v_add_co_u32 v16, vcc_lo, s9, v21
	s_delay_alu instid0(VALU_DEP_4) | instskip(SKIP_1) | instid1(SALU_CYCLE_1)
	v_add_co_ci_u32_e32 v17, vcc_lo, s10, v22, vcc_lo
	s_and_b32 s9, s0, s8
	s_and_saveexec_b32 s0, s9
	s_cbranch_execnz .LBB159_346
; %bb.338:
	s_or_b32 exec_lo, exec_lo, s0
	s_and_b32 s1, s1, s8
	s_delay_alu instid0(SALU_CYCLE_1)
	s_and_saveexec_b32 s0, s1
	s_cbranch_execnz .LBB159_350
.LBB159_339:
	s_or_b32 exec_lo, exec_lo, s0
	s_and_b32 s1, s2, s8
	s_delay_alu instid0(SALU_CYCLE_1)
	s_and_saveexec_b32 s0, s1
	s_cbranch_execnz .LBB159_354
.LBB159_340:
	s_or_b32 exec_lo, exec_lo, s0
	s_and_b32 s1, s3, s8
	s_delay_alu instid0(SALU_CYCLE_1)
	s_and_saveexec_b32 s0, s1
	s_cbranch_execnz .LBB159_358
.LBB159_341:
	s_or_b32 exec_lo, exec_lo, s0
	s_and_b32 s1, s4, s8
	s_delay_alu instid0(SALU_CYCLE_1)
	s_and_saveexec_b32 s0, s1
	s_cbranch_execnz .LBB159_362
.LBB159_342:
	s_or_b32 exec_lo, exec_lo, s0
	s_and_b32 s1, s5, s8
	s_delay_alu instid0(SALU_CYCLE_1)
	s_and_saveexec_b32 s0, s1
	s_cbranch_execnz .LBB159_366
.LBB159_343:
	s_or_b32 exec_lo, exec_lo, s0
	s_and_b32 s1, s6, s8
	s_delay_alu instid0(SALU_CYCLE_1)
	s_and_saveexec_b32 s0, s1
	s_cbranch_execnz .LBB159_370
.LBB159_344:
	s_or_b32 exec_lo, exec_lo, s0
	s_and_b32 s0, s7, s8
	s_delay_alu instid0(SALU_CYCLE_1)
	s_and_saveexec_b32 s1, s0
	s_cbranch_execnz .LBB159_374
.LBB159_345:
	s_nop 0
	s_sendmsg sendmsg(MSG_DEALLOC_VGPRS)
	s_endpgm
.LBB159_346:
	v_cmp_ne_u32_e32 vcc_lo, 1, v18
	v_lshlrev_b64 v[0:1], 3, v[0:1]
	s_cbranch_vccnz .LBB159_348
; %bb.347:
	s_delay_alu instid0(VALU_DEP_1) | instskip(NEXT) | instid1(VALU_DEP_2)
	v_add_co_u32 v21, vcc_lo, v19, v0
	v_add_co_ci_u32_e32 v22, vcc_lo, v20, v1, vcc_lo
	flat_load_b64 v[21:22], v[21:22]
	s_waitcnt vmcnt(0) lgkmcnt(0)
	v_mul_f64 v[21:22], s[12:13], v[21:22]
	s_delay_alu instid0(VALU_DEP_1)
	v_cvt_f32_f64_e32 v21, v[21:22]
	s_branch .LBB159_349
.LBB159_348:
	v_mov_b32_e32 v21, 0
.LBB159_349:
	v_max_f32_e32 v22, v73, v73
	s_delay_alu instid0(VALU_DEP_2) | instskip(NEXT) | instid1(VALU_DEP_4)
	v_max_f32_e32 v21, v21, v21
	v_add_co_u32 v0, vcc_lo, v16, v0
	v_add_co_ci_u32_e32 v1, vcc_lo, v17, v1, vcc_lo
	s_delay_alu instid0(VALU_DEP_3) | instskip(NEXT) | instid1(VALU_DEP_1)
	v_min_f32_e32 v21, v21, v22
	v_cvt_f64_f32_e32 v[21:22], v21
	global_store_b64 v[0:1], v[21:22], off
	s_or_b32 exec_lo, exec_lo, s0
	s_and_b32 s1, s1, s8
	s_delay_alu instid0(SALU_CYCLE_1)
	s_and_saveexec_b32 s0, s1
	s_cbranch_execz .LBB159_339
.LBB159_350:
	v_cmp_ne_u32_e32 vcc_lo, 1, v18
	v_lshlrev_b64 v[0:1], 3, v[2:3]
	s_cbranch_vccnz .LBB159_352
; %bb.351:
	s_delay_alu instid0(VALU_DEP_1) | instskip(NEXT) | instid1(VALU_DEP_2)
	v_add_co_u32 v2, vcc_lo, v19, v0
	v_add_co_ci_u32_e32 v3, vcc_lo, v20, v1, vcc_lo
	flat_load_b64 v[2:3], v[2:3]
	s_waitcnt vmcnt(0) lgkmcnt(0)
	v_mul_f64 v[2:3], s[12:13], v[2:3]
	s_delay_alu instid0(VALU_DEP_1)
	v_cvt_f32_f64_e32 v2, v[2:3]
	s_branch .LBB159_353
.LBB159_352:
	v_mov_b32_e32 v2, 0
.LBB159_353:
	s_delay_alu instid0(VALU_DEP_1) | instskip(NEXT) | instid1(VALU_DEP_3)
	v_dual_max_f32 v3, v72, v72 :: v_dual_max_f32 v2, v2, v2
	v_add_co_u32 v0, vcc_lo, v16, v0
	s_delay_alu instid0(VALU_DEP_4) | instskip(NEXT) | instid1(VALU_DEP_3)
	v_add_co_ci_u32_e32 v1, vcc_lo, v17, v1, vcc_lo
	v_min_f32_e32 v2, v2, v3
	s_delay_alu instid0(VALU_DEP_1) | instskip(SKIP_3) | instid1(SALU_CYCLE_1)
	v_cvt_f64_f32_e32 v[2:3], v2
	global_store_b64 v[0:1], v[2:3], off
	s_or_b32 exec_lo, exec_lo, s0
	s_and_b32 s1, s2, s8
	s_and_saveexec_b32 s0, s1
	s_cbranch_execz .LBB159_340
.LBB159_354:
	v_cmp_ne_u32_e32 vcc_lo, 1, v18
	v_lshlrev_b64 v[0:1], 3, v[4:5]
	s_cbranch_vccnz .LBB159_356
; %bb.355:
	s_delay_alu instid0(VALU_DEP_1) | instskip(NEXT) | instid1(VALU_DEP_2)
	v_add_co_u32 v2, vcc_lo, v19, v0
	v_add_co_ci_u32_e32 v3, vcc_lo, v20, v1, vcc_lo
	flat_load_b64 v[2:3], v[2:3]
	s_waitcnt vmcnt(0) lgkmcnt(0)
	v_mul_f64 v[2:3], s[12:13], v[2:3]
	s_delay_alu instid0(VALU_DEP_1)
	v_cvt_f32_f64_e32 v2, v[2:3]
	s_branch .LBB159_357
.LBB159_356:
	v_mov_b32_e32 v2, 0
.LBB159_357:
	s_delay_alu instid0(VALU_DEP_1) | instskip(NEXT) | instid1(VALU_DEP_3)
	v_dual_max_f32 v3, v71, v71 :: v_dual_max_f32 v2, v2, v2
	v_add_co_u32 v0, vcc_lo, v16, v0
	s_delay_alu instid0(VALU_DEP_4) | instskip(NEXT) | instid1(VALU_DEP_3)
	v_add_co_ci_u32_e32 v1, vcc_lo, v17, v1, vcc_lo
	v_min_f32_e32 v2, v2, v3
	s_delay_alu instid0(VALU_DEP_1) | instskip(SKIP_3) | instid1(SALU_CYCLE_1)
	v_cvt_f64_f32_e32 v[2:3], v2
	global_store_b64 v[0:1], v[2:3], off
	s_or_b32 exec_lo, exec_lo, s0
	s_and_b32 s1, s3, s8
	s_and_saveexec_b32 s0, s1
	s_cbranch_execz .LBB159_341
.LBB159_358:
	v_cmp_ne_u32_e32 vcc_lo, 1, v18
	v_lshlrev_b64 v[0:1], 3, v[6:7]
	s_cbranch_vccnz .LBB159_360
; %bb.359:
	s_delay_alu instid0(VALU_DEP_1) | instskip(NEXT) | instid1(VALU_DEP_2)
	v_add_co_u32 v2, vcc_lo, v19, v0
	v_add_co_ci_u32_e32 v3, vcc_lo, v20, v1, vcc_lo
	flat_load_b64 v[2:3], v[2:3]
	s_waitcnt vmcnt(0) lgkmcnt(0)
	v_mul_f64 v[2:3], s[12:13], v[2:3]
	s_delay_alu instid0(VALU_DEP_1)
	v_cvt_f32_f64_e32 v2, v[2:3]
	s_branch .LBB159_361
.LBB159_360:
	v_mov_b32_e32 v2, 0
.LBB159_361:
	v_max_f32_e32 v3, v70, v70
	s_delay_alu instid0(VALU_DEP_2) | instskip(NEXT) | instid1(VALU_DEP_4)
	v_max_f32_e32 v2, v2, v2
	v_add_co_u32 v0, vcc_lo, v16, v0
	v_add_co_ci_u32_e32 v1, vcc_lo, v17, v1, vcc_lo
	s_delay_alu instid0(VALU_DEP_3) | instskip(NEXT) | instid1(VALU_DEP_1)
	v_min_f32_e32 v2, v2, v3
	v_cvt_f64_f32_e32 v[2:3], v2
	global_store_b64 v[0:1], v[2:3], off
	s_or_b32 exec_lo, exec_lo, s0
	s_and_b32 s1, s4, s8
	s_delay_alu instid0(SALU_CYCLE_1)
	s_and_saveexec_b32 s0, s1
	s_cbranch_execz .LBB159_342
.LBB159_362:
	v_cmp_ne_u32_e32 vcc_lo, 1, v18
	v_lshlrev_b64 v[0:1], 3, v[8:9]
	s_cbranch_vccnz .LBB159_364
; %bb.363:
	s_delay_alu instid0(VALU_DEP_1) | instskip(NEXT) | instid1(VALU_DEP_2)
	v_add_co_u32 v2, vcc_lo, v19, v0
	v_add_co_ci_u32_e32 v3, vcc_lo, v20, v1, vcc_lo
	flat_load_b64 v[2:3], v[2:3]
	s_waitcnt vmcnt(0) lgkmcnt(0)
	v_mul_f64 v[2:3], s[12:13], v[2:3]
	s_delay_alu instid0(VALU_DEP_1)
	v_cvt_f32_f64_e32 v2, v[2:3]
	s_branch .LBB159_365
.LBB159_364:
	v_mov_b32_e32 v2, 0
.LBB159_365:
	s_delay_alu instid0(VALU_DEP_1) | instskip(NEXT) | instid1(VALU_DEP_3)
	v_dual_max_f32 v3, v69, v69 :: v_dual_max_f32 v2, v2, v2
	v_add_co_u32 v0, vcc_lo, v16, v0
	s_delay_alu instid0(VALU_DEP_4) | instskip(NEXT) | instid1(VALU_DEP_3)
	v_add_co_ci_u32_e32 v1, vcc_lo, v17, v1, vcc_lo
	v_min_f32_e32 v2, v2, v3
	s_delay_alu instid0(VALU_DEP_1) | instskip(SKIP_3) | instid1(SALU_CYCLE_1)
	v_cvt_f64_f32_e32 v[2:3], v2
	global_store_b64 v[0:1], v[2:3], off
	s_or_b32 exec_lo, exec_lo, s0
	s_and_b32 s1, s5, s8
	s_and_saveexec_b32 s0, s1
	s_cbranch_execz .LBB159_343
.LBB159_366:
	v_cmp_ne_u32_e32 vcc_lo, 1, v18
	v_lshlrev_b64 v[0:1], 3, v[10:11]
	s_cbranch_vccnz .LBB159_368
; %bb.367:
	s_delay_alu instid0(VALU_DEP_1) | instskip(NEXT) | instid1(VALU_DEP_2)
	v_add_co_u32 v2, vcc_lo, v19, v0
	v_add_co_ci_u32_e32 v3, vcc_lo, v20, v1, vcc_lo
	flat_load_b64 v[2:3], v[2:3]
	s_waitcnt vmcnt(0) lgkmcnt(0)
	v_mul_f64 v[2:3], s[12:13], v[2:3]
	s_delay_alu instid0(VALU_DEP_1)
	v_cvt_f32_f64_e32 v2, v[2:3]
	s_branch .LBB159_369
.LBB159_368:
	v_mov_b32_e32 v2, 0
.LBB159_369:
	s_delay_alu instid0(VALU_DEP_1) | instskip(NEXT) | instid1(VALU_DEP_3)
	v_dual_max_f32 v3, v68, v68 :: v_dual_max_f32 v2, v2, v2
	v_add_co_u32 v0, vcc_lo, v16, v0
	s_delay_alu instid0(VALU_DEP_4) | instskip(NEXT) | instid1(VALU_DEP_3)
	v_add_co_ci_u32_e32 v1, vcc_lo, v17, v1, vcc_lo
	v_min_f32_e32 v2, v2, v3
	s_delay_alu instid0(VALU_DEP_1) | instskip(SKIP_3) | instid1(SALU_CYCLE_1)
	v_cvt_f64_f32_e32 v[2:3], v2
	global_store_b64 v[0:1], v[2:3], off
	s_or_b32 exec_lo, exec_lo, s0
	s_and_b32 s1, s6, s8
	s_and_saveexec_b32 s0, s1
	s_cbranch_execz .LBB159_344
.LBB159_370:
	v_cmp_ne_u32_e32 vcc_lo, 1, v18
	v_lshlrev_b64 v[0:1], 3, v[12:13]
	s_cbranch_vccnz .LBB159_372
; %bb.371:
	s_delay_alu instid0(VALU_DEP_1) | instskip(NEXT) | instid1(VALU_DEP_2)
	v_add_co_u32 v2, vcc_lo, v19, v0
	v_add_co_ci_u32_e32 v3, vcc_lo, v20, v1, vcc_lo
	flat_load_b64 v[2:3], v[2:3]
	s_waitcnt vmcnt(0) lgkmcnt(0)
	v_mul_f64 v[2:3], s[12:13], v[2:3]
	s_delay_alu instid0(VALU_DEP_1)
	v_cvt_f32_f64_e32 v2, v[2:3]
	s_branch .LBB159_373
.LBB159_372:
	v_mov_b32_e32 v2, 0
.LBB159_373:
	s_delay_alu instid0(VALU_DEP_1) | instskip(NEXT) | instid1(VALU_DEP_3)
	v_dual_max_f32 v3, v67, v67 :: v_dual_max_f32 v2, v2, v2
	v_add_co_u32 v0, vcc_lo, v16, v0
	s_delay_alu instid0(VALU_DEP_4) | instskip(NEXT) | instid1(VALU_DEP_3)
	v_add_co_ci_u32_e32 v1, vcc_lo, v17, v1, vcc_lo
	v_min_f32_e32 v2, v2, v3
	s_delay_alu instid0(VALU_DEP_1) | instskip(SKIP_3) | instid1(SALU_CYCLE_1)
	v_cvt_f64_f32_e32 v[2:3], v2
	global_store_b64 v[0:1], v[2:3], off
	s_or_b32 exec_lo, exec_lo, s0
	s_and_b32 s0, s7, s8
	s_and_saveexec_b32 s1, s0
	s_cbranch_execz .LBB159_345
.LBB159_374:
	v_cmp_ne_u32_e32 vcc_lo, 1, v18
	v_lshlrev_b64 v[0:1], 3, v[14:15]
	s_cbranch_vccnz .LBB159_376
; %bb.375:
	s_delay_alu instid0(VALU_DEP_1) | instskip(NEXT) | instid1(VALU_DEP_2)
	v_add_co_u32 v2, vcc_lo, v19, v0
	v_add_co_ci_u32_e32 v3, vcc_lo, v20, v1, vcc_lo
	flat_load_b64 v[2:3], v[2:3]
	s_waitcnt vmcnt(0) lgkmcnt(0)
	v_mul_f64 v[2:3], s[12:13], v[2:3]
	s_delay_alu instid0(VALU_DEP_1)
	v_cvt_f32_f64_e32 v2, v[2:3]
	s_branch .LBB159_377
.LBB159_376:
	v_mov_b32_e32 v2, 0
.LBB159_377:
	v_max_f32_e32 v3, v66, v66
	s_delay_alu instid0(VALU_DEP_2) | instskip(NEXT) | instid1(VALU_DEP_4)
	v_max_f32_e32 v2, v2, v2
	v_add_co_u32 v0, vcc_lo, v16, v0
	v_add_co_ci_u32_e32 v1, vcc_lo, v17, v1, vcc_lo
	s_delay_alu instid0(VALU_DEP_3) | instskip(NEXT) | instid1(VALU_DEP_1)
	v_min_f32_e32 v2, v2, v3
	v_cvt_f64_f32_e32 v[2:3], v2
	global_store_b64 v[0:1], v[2:3], off
	s_nop 0
	s_sendmsg sendmsg(MSG_DEALLOC_VGPRS)
	s_endpgm
	.section	.rodata,"a",@progbits
	.p2align	6, 0x0
	.amdhsa_kernel _ZN12_GLOBAL__N_120geam_min_plus_kernelId15HIP_vector_typeIdLj2EEdLi32ELi8ELi256ELi64ELi4ELi64ELi4ELi4ELi64ELc78ELc78ELb0ELb1ELb1EPKdS3_dEEviiiT16_PT17_ilS7_ilS5_S7_ilPT18_ili26rocblas_geam_ex_operation_
		.amdhsa_group_segment_fixed_size 20480
		.amdhsa_private_segment_fixed_size 0
		.amdhsa_kernarg_size 136
		.amdhsa_user_sgpr_count 14
		.amdhsa_user_sgpr_dispatch_ptr 0
		.amdhsa_user_sgpr_queue_ptr 0
		.amdhsa_user_sgpr_kernarg_segment_ptr 1
		.amdhsa_user_sgpr_dispatch_id 0
		.amdhsa_user_sgpr_private_segment_size 0
		.amdhsa_wavefront_size32 1
		.amdhsa_uses_dynamic_stack 0
		.amdhsa_enable_private_segment 0
		.amdhsa_system_sgpr_workgroup_id_x 1
		.amdhsa_system_sgpr_workgroup_id_y 0
		.amdhsa_system_sgpr_workgroup_id_z 1
		.amdhsa_system_sgpr_workgroup_info 0
		.amdhsa_system_vgpr_workitem_id 1
		.amdhsa_next_free_vgpr 158
		.amdhsa_next_free_sgpr 34
		.amdhsa_reserve_vcc 1
		.amdhsa_float_round_mode_32 0
		.amdhsa_float_round_mode_16_64 0
		.amdhsa_float_denorm_mode_32 3
		.amdhsa_float_denorm_mode_16_64 3
		.amdhsa_dx10_clamp 1
		.amdhsa_ieee_mode 1
		.amdhsa_fp16_overflow 0
		.amdhsa_workgroup_processor_mode 1
		.amdhsa_memory_ordered 1
		.amdhsa_forward_progress 0
		.amdhsa_shared_vgpr_count 0
		.amdhsa_exception_fp_ieee_invalid_op 0
		.amdhsa_exception_fp_denorm_src 0
		.amdhsa_exception_fp_ieee_div_zero 0
		.amdhsa_exception_fp_ieee_overflow 0
		.amdhsa_exception_fp_ieee_underflow 0
		.amdhsa_exception_fp_ieee_inexact 0
		.amdhsa_exception_int_div_zero 0
	.end_amdhsa_kernel
	.section	.text._ZN12_GLOBAL__N_120geam_min_plus_kernelId15HIP_vector_typeIdLj2EEdLi32ELi8ELi256ELi64ELi4ELi64ELi4ELi4ELi64ELc78ELc78ELb0ELb1ELb1EPKdS3_dEEviiiT16_PT17_ilS7_ilS5_S7_ilPT18_ili26rocblas_geam_ex_operation_,"axG",@progbits,_ZN12_GLOBAL__N_120geam_min_plus_kernelId15HIP_vector_typeIdLj2EEdLi32ELi8ELi256ELi64ELi4ELi64ELi4ELi4ELi64ELc78ELc78ELb0ELb1ELb1EPKdS3_dEEviiiT16_PT17_ilS7_ilS5_S7_ilPT18_ili26rocblas_geam_ex_operation_,comdat
.Lfunc_end159:
	.size	_ZN12_GLOBAL__N_120geam_min_plus_kernelId15HIP_vector_typeIdLj2EEdLi32ELi8ELi256ELi64ELi4ELi64ELi4ELi4ELi64ELc78ELc78ELb0ELb1ELb1EPKdS3_dEEviiiT16_PT17_ilS7_ilS5_S7_ilPT18_ili26rocblas_geam_ex_operation_, .Lfunc_end159-_ZN12_GLOBAL__N_120geam_min_plus_kernelId15HIP_vector_typeIdLj2EEdLi32ELi8ELi256ELi64ELi4ELi64ELi4ELi4ELi64ELc78ELc78ELb0ELb1ELb1EPKdS3_dEEviiiT16_PT17_ilS7_ilS5_S7_ilPT18_ili26rocblas_geam_ex_operation_
                                        ; -- End function
	.section	.AMDGPU.csdata,"",@progbits
; Kernel info:
; codeLenInByte = 24424
; NumSgprs: 36
; NumVgprs: 158
; ScratchSize: 0
; MemoryBound: 0
; FloatMode: 240
; IeeeMode: 1
; LDSByteSize: 20480 bytes/workgroup (compile time only)
; SGPRBlocks: 4
; VGPRBlocks: 19
; NumSGPRsForWavesPerEU: 36
; NumVGPRsForWavesPerEU: 158
; Occupancy: 9
; WaveLimiterHint : 0
; COMPUTE_PGM_RSRC2:SCRATCH_EN: 0
; COMPUTE_PGM_RSRC2:USER_SGPR: 14
; COMPUTE_PGM_RSRC2:TRAP_HANDLER: 0
; COMPUTE_PGM_RSRC2:TGID_X_EN: 1
; COMPUTE_PGM_RSRC2:TGID_Y_EN: 0
; COMPUTE_PGM_RSRC2:TGID_Z_EN: 1
; COMPUTE_PGM_RSRC2:TIDIG_COMP_CNT: 1
	.section	.text._ZN12_GLOBAL__N_120geam_min_plus_kernelId15HIP_vector_typeIdLj2EEdLi32ELi8ELi256ELi64ELi4ELi64ELi4ELi4ELi64ELc78ELc78ELb1ELb1ELb1EdKddEEviiiT16_PT17_ilS6_ilS4_S6_ilPT18_ili26rocblas_geam_ex_operation_,"axG",@progbits,_ZN12_GLOBAL__N_120geam_min_plus_kernelId15HIP_vector_typeIdLj2EEdLi32ELi8ELi256ELi64ELi4ELi64ELi4ELi4ELi64ELc78ELc78ELb1ELb1ELb1EdKddEEviiiT16_PT17_ilS6_ilS4_S6_ilPT18_ili26rocblas_geam_ex_operation_,comdat
	.globl	_ZN12_GLOBAL__N_120geam_min_plus_kernelId15HIP_vector_typeIdLj2EEdLi32ELi8ELi256ELi64ELi4ELi64ELi4ELi4ELi64ELc78ELc78ELb1ELb1ELb1EdKddEEviiiT16_PT17_ilS6_ilS4_S6_ilPT18_ili26rocblas_geam_ex_operation_ ; -- Begin function _ZN12_GLOBAL__N_120geam_min_plus_kernelId15HIP_vector_typeIdLj2EEdLi32ELi8ELi256ELi64ELi4ELi64ELi4ELi4ELi64ELc78ELc78ELb1ELb1ELb1EdKddEEviiiT16_PT17_ilS6_ilS4_S6_ilPT18_ili26rocblas_geam_ex_operation_
	.p2align	8
	.type	_ZN12_GLOBAL__N_120geam_min_plus_kernelId15HIP_vector_typeIdLj2EEdLi32ELi8ELi256ELi64ELi4ELi64ELi4ELi4ELi64ELc78ELc78ELb1ELb1ELb1EdKddEEviiiT16_PT17_ilS6_ilS4_S6_ilPT18_ili26rocblas_geam_ex_operation_,@function
_ZN12_GLOBAL__N_120geam_min_plus_kernelId15HIP_vector_typeIdLj2EEdLi32ELi8ELi256ELi64ELi4ELi64ELi4ELi4ELi64ELc78ELc78ELb1ELb1ELb1EdKddEEviiiT16_PT17_ilS6_ilS4_S6_ilPT18_ili26rocblas_geam_ex_operation_: ; @_ZN12_GLOBAL__N_120geam_min_plus_kernelId15HIP_vector_typeIdLj2EEdLi32ELi8ELi256ELi64ELi4ELi64ELi4ELi4ELi64ELc78ELc78ELb1ELb1ELb1EdKddEEviiiT16_PT17_ilS6_ilS4_S6_ilPT18_ili26rocblas_geam_ex_operation_
; %bb.0:
	s_clause 0x1
	s_load_b128 s[8:11], s[0:1], 0x10
	s_load_b128 s[4:7], s[0:1], 0x28
	s_mov_b64 s[24:25], 0
	s_waitcnt lgkmcnt(0)
	v_cmp_eq_f64_e64 s12, s[8:9], 0
	s_delay_alu instid0(VALU_DEP_1)
	s_and_b32 vcc_lo, exec_lo, s12
	s_cbranch_vccnz .LBB160_2
; %bb.1:
	s_mul_i32 s2, s15, s5
	s_mul_hi_u32 s3, s15, s4
	s_delay_alu instid0(SALU_CYCLE_1) | instskip(SKIP_1) | instid1(SALU_CYCLE_1)
	s_add_i32 s3, s3, s2
	s_mul_i32 s2, s15, s4
	s_lshl_b64 s[2:3], s[2:3], 3
	s_delay_alu instid0(SALU_CYCLE_1)
	s_add_u32 s24, s10, s2
	s_addc_u32 s25, s11, s3
.LBB160_2:
	s_clause 0x1
	s_load_b128 s[8:11], s[0:1], 0x40
	s_load_b64 s[2:3], s[0:1], 0x50
	s_and_not1_b32 vcc_lo, exec_lo, s12
	s_cbranch_vccnz .LBB160_4
; %bb.3:
	s_mov_b32 s28, 0
	s_mov_b64 s[26:27], 0
	s_cbranch_execz .LBB160_5
	s_branch .LBB160_6
.LBB160_4:
	s_mov_b32 s28, -1
                                        ; implicit-def: $sgpr26_sgpr27
.LBB160_5:
	s_waitcnt lgkmcnt(0)
	s_mul_i32 s4, s15, s9
	s_mul_hi_u32 s5, s15, s8
	s_mov_b32 s28, 0
	s_add_i32 s5, s5, s4
	s_mul_i32 s4, s15, s8
	s_delay_alu instid0(SALU_CYCLE_1) | instskip(NEXT) | instid1(SALU_CYCLE_1)
	s_lshl_b64 s[4:5], s[4:5], 3
	s_add_u32 s26, s6, s4
	s_addc_u32 s27, s7, s5
.LBB160_6:
	s_waitcnt lgkmcnt(0)
	v_cmp_eq_f64_e64 s4, s[10:11], 0
	v_cmp_neq_f64_e64 s29, s[10:11], 0
	s_load_b128 s[20:23], s[0:1], 0x60
	s_mov_b64 s[12:13], 0
	s_delay_alu instid0(VALU_DEP_2)
	s_and_b32 vcc_lo, exec_lo, s4
	s_cbranch_vccnz .LBB160_8
; %bb.7:
	s_waitcnt lgkmcnt(0)
	s_mul_i32 s4, s15, s21
	s_mul_hi_u32 s5, s15, s20
	s_mul_i32 s6, s28, s20
	s_add_i32 s4, s5, s4
	s_delay_alu instid0(SALU_CYCLE_1) | instskip(SKIP_1) | instid1(SALU_CYCLE_1)
	s_add_i32 s5, s4, s6
	s_mul_i32 s4, s15, s20
	s_lshl_b64 s[4:5], s[4:5], 3
	s_delay_alu instid0(SALU_CYCLE_1)
	s_add_u32 s12, s2, s4
	s_addc_u32 s13, s3, s5
.LBB160_8:
	s_load_b128 s[16:19], s[0:1], 0x0
	s_waitcnt lgkmcnt(0)
	s_load_b32 s20, s[0:1], 0x20
	v_and_b32_e32 v122, 0x3ff, v0
	v_bfe_u32 v123, v0, 10, 10
	s_delay_alu instid0(VALU_DEP_1) | instskip(NEXT) | instid1(VALU_DEP_1)
	v_lshl_add_u32 v8, v123, 5, v122
	v_lshrrev_b32_e32 v132, 6, v8
	v_and_b32_e32 v64, 63, v8
	s_add_i32 s2, s16, -1
	s_delay_alu instid0(VALU_DEP_2) | instskip(SKIP_1) | instid1(SALU_CYCLE_1)
	v_cmp_le_i32_e32 vcc_lo, s18, v132
	s_ashr_i32 s3, s2, 31
	s_lshr_b32 s3, s3, 24
	s_delay_alu instid0(SALU_CYCLE_1) | instskip(NEXT) | instid1(SALU_CYCLE_1)
	s_add_i32 s2, s2, s3
	s_ashr_i32 s2, s2, 8
	s_delay_alu instid0(SALU_CYCLE_1) | instskip(SKIP_2) | instid1(VALU_DEP_1)
	s_add_i32 s3, s2, 1
	s_not_b32 s2, s2
	v_cvt_f32_u32_e32 v1, s3
	v_rcp_iflag_f32_e32 v1, v1
	s_waitcnt_depctr 0xfff
	v_mul_f32_e32 v1, 0x4f7ffffe, v1
	s_delay_alu instid0(VALU_DEP_1) | instskip(NEXT) | instid1(VALU_DEP_1)
	v_cvt_u32_f32_e32 v1, v1
	v_readfirstlane_b32 s4, v1
	s_waitcnt lgkmcnt(0)
	v_mad_i64_i32 v[0:1], null, s20, v132, 0
	s_delay_alu instid0(VALU_DEP_2) | instskip(NEXT) | instid1(SALU_CYCLE_1)
	s_mul_i32 s2, s2, s4
	s_mul_hi_u32 s2, s4, s2
	s_delay_alu instid0(VALU_DEP_1) | instskip(SKIP_1) | instid1(SALU_CYCLE_1)
	v_lshlrev_b64 v[0:1], 3, v[0:1]
	s_add_i32 s4, s4, s2
	s_mul_hi_u32 s2, s14, s4
	s_delay_alu instid0(SALU_CYCLE_1) | instskip(SKIP_2) | instid1(SALU_CYCLE_1)
	s_mul_i32 s4, s2, s3
	s_add_i32 s5, s2, 1
	s_sub_i32 s4, s14, s4
	s_sub_i32 s6, s4, s3
	s_cmp_ge_u32 s4, s3
	s_cselect_b32 s2, s5, s2
	s_cselect_b32 s4, s6, s4
	s_add_i32 s5, s2, 1
	s_cmp_ge_u32 s4, s3
	s_cselect_b32 s8, s5, s2
	s_mov_b32 s4, -1
	s_mul_i32 s2, s8, s3
	v_add_co_u32 v9, s3, s24, v0
	s_sub_i32 s2, s14, s2
	s_mov_b32 s5, 0x7fefffff
	s_lshl_b32 s14, s2, 8
	v_add_co_ci_u32_e64 v10, s3, s25, v1, s3
	v_or_b32_e32 v52, s14, v64
	v_dual_mov_b32 v0, s4 :: v_dual_mov_b32 v1, s5
	s_delay_alu instid0(VALU_DEP_2) | instskip(SKIP_1) | instid1(VALU_DEP_2)
	v_cmp_le_i32_e64 s2, s16, v52
	v_ashrrev_i32_e32 v53, 31, v52
	s_or_b32 s3, s2, vcc_lo
	s_delay_alu instid0(SALU_CYCLE_1) | instskip(NEXT) | instid1(SALU_CYCLE_1)
	s_xor_b32 s3, s3, -1
	s_and_saveexec_b32 s6, s3
	s_cbranch_execz .LBB160_10
; %bb.9:
	v_lshlrev_b64 v[0:1], 3, v[52:53]
	s_delay_alu instid0(VALU_DEP_1) | instskip(NEXT) | instid1(VALU_DEP_1)
	v_add_co_u32 v0, s3, v9, v0
	v_add_co_ci_u32_e64 v1, s3, v10, v1, s3
	flat_load_b64 v[0:1], v[0:1]
.LBB160_10:
	s_or_b32 exec_lo, exec_lo, s6
	v_or_b32_e32 v2, 64, v52
	s_delay_alu instid0(VALU_DEP_1) | instskip(SKIP_1) | instid1(VALU_DEP_2)
	v_cmp_le_i32_e64 s3, s16, v2
	v_dual_mov_b32 v2, s4 :: v_dual_mov_b32 v3, s5
	s_or_b32 s4, s3, vcc_lo
	s_delay_alu instid0(SALU_CYCLE_1) | instskip(NEXT) | instid1(SALU_CYCLE_1)
	s_xor_b32 s4, s4, -1
	s_and_saveexec_b32 s5, s4
	s_cbranch_execz .LBB160_12
; %bb.11:
	v_lshlrev_b64 v[2:3], 3, v[52:53]
	s_delay_alu instid0(VALU_DEP_1) | instskip(NEXT) | instid1(VALU_DEP_1)
	v_add_co_u32 v2, s4, v9, v2
	v_add_co_ci_u32_e64 v3, s4, v10, v3, s4
	flat_load_b64 v[2:3], v[2:3] offset:512
.LBB160_12:
	s_or_b32 exec_lo, exec_lo, s5
	v_or_b32_e32 v4, 0x80, v52
	s_mov_b32 s6, -1
	s_mov_b32 s7, 0x7fefffff
	s_ashr_i32 s21, s20, 31
	s_delay_alu instid0(VALU_DEP_1) | instskip(SKIP_1) | instid1(VALU_DEP_2)
	v_cmp_le_i32_e64 s4, s16, v4
	v_dual_mov_b32 v4, s6 :: v_dual_mov_b32 v5, s7
	s_or_b32 s5, s4, vcc_lo
	s_delay_alu instid0(SALU_CYCLE_1) | instskip(NEXT) | instid1(SALU_CYCLE_1)
	s_xor_b32 s5, s5, -1
	s_and_saveexec_b32 s9, s5
	s_cbranch_execz .LBB160_14
; %bb.13:
	v_lshlrev_b64 v[4:5], 3, v[52:53]
	s_delay_alu instid0(VALU_DEP_1) | instskip(NEXT) | instid1(VALU_DEP_1)
	v_add_co_u32 v4, s5, v9, v4
	v_add_co_ci_u32_e64 v5, s5, v10, v5, s5
	flat_load_b64 v[4:5], v[4:5] offset:1024
.LBB160_14:
	s_or_b32 exec_lo, exec_lo, s9
	v_or_b32_e32 v6, 0xc0, v52
	s_delay_alu instid0(VALU_DEP_1) | instskip(SKIP_1) | instid1(VALU_DEP_2)
	v_cmp_le_i32_e64 s5, s16, v6
	v_dual_mov_b32 v6, s6 :: v_dual_mov_b32 v7, s7
	s_or_b32 s6, s5, vcc_lo
	s_delay_alu instid0(SALU_CYCLE_1) | instskip(NEXT) | instid1(SALU_CYCLE_1)
	s_xor_b32 s7, s6, -1
	s_and_saveexec_b32 s6, s7
	s_cbranch_execz .LBB160_16
; %bb.15:
	v_lshlrev_b64 v[6:7], 3, v[52:53]
	s_delay_alu instid0(VALU_DEP_1) | instskip(NEXT) | instid1(VALU_DEP_2)
	v_add_co_u32 v6, vcc_lo, v9, v6
	v_add_co_ci_u32_e32 v7, vcc_lo, v10, v7, vcc_lo
	flat_load_b64 v[6:7], v[6:7] offset:1536
.LBB160_16:
	s_or_b32 exec_lo, exec_lo, s6
	s_load_b32 s31, s[0:1], 0x38
	v_lshrrev_b32_e32 v10, 2, v8
	s_lshl_b32 s19, s8, 6
	s_mov_b32 s8, -1
	s_mov_b32 s9, 0x7fefffff
	v_and_b32_e32 v133, 3, v122
	v_dual_mov_b32 v8, s8 :: v_dual_add_nc_u32 v65, s19, v10
	v_mov_b32_e32 v9, s9
	s_delay_alu instid0(VALU_DEP_3) | instskip(NEXT) | instid1(VALU_DEP_3)
	v_cmp_gt_i32_e64 s6, s18, v133
	v_cmp_le_i32_e32 vcc_lo, s17, v65
	v_lshlrev_b32_e32 v11, 3, v133
	s_xor_b32 s30, vcc_lo, -1
	s_delay_alu instid0(VALU_DEP_3) | instid1(SALU_CYCLE_1)
	s_and_b32 s7, s6, s30
	s_delay_alu instid0(SALU_CYCLE_1)
	s_and_saveexec_b32 s6, s7
	s_cbranch_execz .LBB160_18
; %bb.17:
	s_waitcnt lgkmcnt(0)
	v_mad_i64_i32 v[8:9], null, v65, s31, 0
	s_delay_alu instid0(VALU_DEP_1) | instskip(NEXT) | instid1(VALU_DEP_1)
	v_lshlrev_b64 v[8:9], 3, v[8:9]
	v_add_co_u32 v8, vcc_lo, s26, v8
	s_delay_alu instid0(VALU_DEP_2) | instskip(NEXT) | instid1(VALU_DEP_2)
	v_add_co_ci_u32_e32 v9, vcc_lo, s27, v9, vcc_lo
	v_add_co_u32 v8, vcc_lo, v8, v11
	s_delay_alu instid0(VALU_DEP_2)
	v_add_co_ci_u32_e32 v9, vcc_lo, 0, v9, vcc_lo
	flat_load_b64 v[8:9], v[8:9]
.LBB160_18:
	s_or_b32 exec_lo, exec_lo, s6
	v_dual_mov_b32 v55, s9 :: v_dual_add_nc_u32 v14, 4, v132
	v_mov_b32_e32 v54, s8
	s_delay_alu instid0(VALU_DEP_2) | instskip(SKIP_1) | instid1(VALU_DEP_2)
	v_mad_i64_i32 v[12:13], null, s20, v14, 0
	v_cmp_le_i32_e32 vcc_lo, s18, v14
	v_lshlrev_b64 v[12:13], 3, v[12:13]
	s_delay_alu instid0(VALU_DEP_1) | instskip(NEXT) | instid1(VALU_DEP_1)
	v_add_co_u32 v12, s6, s24, v12
	v_add_co_ci_u32_e64 v13, s6, s25, v13, s6
	s_or_b32 s6, s2, vcc_lo
	s_delay_alu instid0(SALU_CYCLE_1) | instskip(NEXT) | instid1(SALU_CYCLE_1)
	s_xor_b32 s6, s6, -1
	s_and_saveexec_b32 s7, s6
	s_cbranch_execz .LBB160_20
; %bb.19:
	v_lshlrev_b64 v[14:15], 3, v[52:53]
	s_delay_alu instid0(VALU_DEP_1) | instskip(NEXT) | instid1(VALU_DEP_1)
	v_add_co_u32 v14, s6, v12, v14
	v_add_co_ci_u32_e64 v15, s6, v13, v15, s6
	flat_load_b64 v[54:55], v[14:15]
.LBB160_20:
	s_or_b32 exec_lo, exec_lo, s7
	v_dual_mov_b32 v57, s9 :: v_dual_mov_b32 v56, s8
	s_or_b32 s6, s3, vcc_lo
	s_delay_alu instid0(SALU_CYCLE_1) | instskip(NEXT) | instid1(SALU_CYCLE_1)
	s_xor_b32 s6, s6, -1
	s_and_saveexec_b32 s7, s6
	s_cbranch_execz .LBB160_22
; %bb.21:
	v_lshlrev_b64 v[14:15], 3, v[52:53]
	s_delay_alu instid0(VALU_DEP_1) | instskip(NEXT) | instid1(VALU_DEP_1)
	v_add_co_u32 v14, s6, v12, v14
	v_add_co_ci_u32_e64 v15, s6, v13, v15, s6
	flat_load_b64 v[56:57], v[14:15] offset:512
.LBB160_22:
	s_or_b32 exec_lo, exec_lo, s7
	v_dual_mov_b32 v59, s9 :: v_dual_mov_b32 v58, s8
	s_or_b32 s6, s4, vcc_lo
	s_delay_alu instid0(SALU_CYCLE_1) | instskip(NEXT) | instid1(SALU_CYCLE_1)
	s_xor_b32 s6, s6, -1
	s_and_saveexec_b32 s7, s6
	s_cbranch_execz .LBB160_24
; %bb.23:
	v_lshlrev_b64 v[14:15], 3, v[52:53]
	s_delay_alu instid0(VALU_DEP_1) | instskip(NEXT) | instid1(VALU_DEP_1)
	v_add_co_u32 v14, s6, v12, v14
	v_add_co_ci_u32_e64 v15, s6, v13, v15, s6
	flat_load_b64 v[58:59], v[14:15] offset:1024
.LBB160_24:
	s_or_b32 exec_lo, exec_lo, s7
	s_mov_b32 s6, -1
	s_mov_b32 s7, 0x7fefffff
	s_or_b32 s8, s5, vcc_lo
	v_dual_mov_b32 v61, s7 :: v_dual_mov_b32 v60, s6
	s_xor_b32 s9, s8, -1
	s_delay_alu instid0(SALU_CYCLE_1)
	s_and_saveexec_b32 s8, s9
	s_cbranch_execz .LBB160_26
; %bb.25:
	v_lshlrev_b64 v[14:15], 3, v[52:53]
	s_delay_alu instid0(VALU_DEP_1) | instskip(NEXT) | instid1(VALU_DEP_2)
	v_add_co_u32 v12, vcc_lo, v12, v14
	v_add_co_ci_u32_e32 v13, vcc_lo, v13, v15, vcc_lo
	flat_load_b64 v[60:61], v[12:13] offset:1536
.LBB160_26:
	s_or_b32 exec_lo, exec_lo, s8
	v_or_b32_e32 v12, 4, v133
	v_dual_mov_b32 v63, s7 :: v_dual_mov_b32 v62, s6
	s_delay_alu instid0(VALU_DEP_2) | instskip(SKIP_1) | instid1(SALU_CYCLE_1)
	v_cmp_gt_i32_e32 vcc_lo, s18, v12
	s_and_b32 s7, vcc_lo, s30
	s_and_saveexec_b32 s6, s7
	s_cbranch_execz .LBB160_28
; %bb.27:
	s_waitcnt lgkmcnt(0)
	v_mad_i64_i32 v[12:13], null, v65, s31, 0
	s_delay_alu instid0(VALU_DEP_1) | instskip(NEXT) | instid1(VALU_DEP_1)
	v_lshlrev_b64 v[12:13], 3, v[12:13]
	v_add_co_u32 v12, vcc_lo, s26, v12
	s_delay_alu instid0(VALU_DEP_2) | instskip(NEXT) | instid1(VALU_DEP_2)
	v_add_co_ci_u32_e32 v13, vcc_lo, s27, v13, vcc_lo
	v_add_co_u32 v12, vcc_lo, v12, v11
	s_delay_alu instid0(VALU_DEP_2)
	v_add_co_ci_u32_e32 v13, vcc_lo, 0, v13, vcc_lo
	flat_load_b64 v[62:63], v[12:13] offset:32
.LBB160_28:
	s_or_b32 exec_lo, exec_lo, s6
	v_dual_mov_b32 v67, 0x7f800000 :: v_dual_lshlrev_b32 v12, 3, v132
	v_lshl_or_b32 v137, v10, 5, v11
	v_dual_mov_b32 v66, 0x7f800000 :: v_dual_mov_b32 v69, 0x7f800000
	s_delay_alu instid0(VALU_DEP_3) | instskip(SKIP_1) | instid1(VALU_DEP_4)
	v_lshl_add_u32 v134, v64, 5, v12
	v_dual_mov_b32 v68, 0x7f800000 :: v_dual_mov_b32 v71, 0x7f800000
	v_add_nc_u32_e32 v135, 0x4000, v137
	v_dual_mov_b32 v70, 0x7f800000 :: v_dual_mov_b32 v73, 0x7f800000
	v_dual_mov_b32 v72, 0x7f800000 :: v_dual_mov_b32 v75, 0x7f800000
	;; [unrolled: 1-line block ×29, first 2 shown]
	v_mov_b32_e32 v130, 0x7f800000
	s_mov_b32 s7, 0
	s_mov_b32 s6, -1
	s_waitcnt vmcnt(0) lgkmcnt(0)
	ds_store_b64 v137, v[8:9] offset:16384
	ds_store_2addr_stride64_b64 v134, v[0:1], v[2:3] offset1:4
	ds_store_2addr_stride64_b64 v134, v[4:5], v[6:7] offset0:8 offset1:12
	s_waitcnt lgkmcnt(0)
	s_barrier
	buffer_gl0_inv
.LBB160_29:                             ; =>This Inner Loop Header: Depth=1
	s_lshl_b32 s7, s7, 3
	s_and_not1_b32 vcc_lo, exec_lo, s6
	v_lshl_add_u32 v0, v122, 5, s7
	v_lshl_add_u32 v16, v123, 5, s7
	s_mov_b32 s7, 2
	s_mov_b32 s6, 0
	ds_load_b128 v[32:35], v0
	ds_load_b128 v[28:31], v0 offset:1024
	ds_load_b128 v[24:27], v0 offset:2048
	;; [unrolled: 1-line block ×15, first 2 shown]
	s_waitcnt lgkmcnt(7)
	v_add_f64 v[150:151], v[34:35], v[140:141]
	v_add_f64 v[152:153], v[32:33], v[138:139]
	s_delay_alu instid0(VALU_DEP_2) | instskip(NEXT) | instid1(VALU_DEP_2)
	v_cvt_f32_f64_e32 v150, v[150:151]
	v_cvt_f32_f64_e32 v136, v[152:153]
	v_add_f64 v[152:153], v[28:29], v[138:139]
	s_delay_alu instid0(VALU_DEP_2) | instskip(SKIP_1) | instid1(VALU_DEP_3)
	v_min3_f32 v131, v136, v150, v131
	v_add_f64 v[150:151], v[30:31], v[140:141]
	v_cvt_f32_f64_e32 v136, v[152:153]
	v_add_f64 v[152:153], v[24:25], v[138:139]
	s_delay_alu instid0(VALU_DEP_3) | instskip(NEXT) | instid1(VALU_DEP_1)
	v_cvt_f32_f64_e32 v150, v[150:151]
	v_min3_f32 v130, v136, v150, v130
	v_add_f64 v[150:151], v[26:27], v[140:141]
	s_delay_alu instid0(VALU_DEP_4) | instskip(SKIP_1) | instid1(VALU_DEP_3)
	v_cvt_f32_f64_e32 v136, v[152:153]
	v_add_f64 v[152:153], v[20:21], v[138:139]
	v_cvt_f32_f64_e32 v150, v[150:151]
	s_delay_alu instid0(VALU_DEP_1) | instskip(SKIP_1) | instid1(VALU_DEP_4)
	v_min3_f32 v129, v136, v150, v129
	v_add_f64 v[150:151], v[22:23], v[140:141]
	v_cvt_f32_f64_e32 v136, v[152:153]
	v_add_f64 v[152:153], v[12:13], v[138:139]
	s_delay_alu instid0(VALU_DEP_3) | instskip(NEXT) | instid1(VALU_DEP_1)
	v_cvt_f32_f64_e32 v150, v[150:151]
	v_min3_f32 v128, v136, v150, v128
	v_add_f64 v[150:151], v[14:15], v[140:141]
	s_delay_alu instid0(VALU_DEP_4) | instskip(SKIP_1) | instid1(VALU_DEP_3)
	v_cvt_f32_f64_e32 v136, v[152:153]
	v_add_f64 v[152:153], v[8:9], v[138:139]
	v_cvt_f32_f64_e32 v150, v[150:151]
	s_delay_alu instid0(VALU_DEP_1) | instskip(SKIP_1) | instid1(VALU_DEP_4)
	v_min3_f32 v127, v136, v150, v127
	v_add_f64 v[150:151], v[10:11], v[140:141]
	v_cvt_f32_f64_e32 v136, v[152:153]
	v_add_f64 v[152:153], v[4:5], v[138:139]
	v_add_f64 v[138:139], v[0:1], v[138:139]
	s_delay_alu instid0(VALU_DEP_4) | instskip(NEXT) | instid1(VALU_DEP_1)
	v_cvt_f32_f64_e32 v150, v[150:151]
	v_min3_f32 v126, v136, v150, v126
	v_add_f64 v[150:151], v[6:7], v[140:141]
	v_cvt_f32_f64_e32 v136, v[152:153]
	v_add_f64 v[140:141], v[2:3], v[140:141]
	s_delay_alu instid0(VALU_DEP_3) | instskip(NEXT) | instid1(VALU_DEP_1)
	v_cvt_f32_f64_e32 v150, v[150:151]
	v_min3_f32 v125, v136, v150, v125
	v_cvt_f32_f64_e32 v136, v[138:139]
	s_delay_alu instid0(VALU_DEP_4) | instskip(SKIP_2) | instid1(VALU_DEP_2)
	v_cvt_f32_f64_e32 v138, v[140:141]
	s_waitcnt lgkmcnt(6)
	v_add_f64 v[140:141], v[32:33], v[142:143]
	v_min3_f32 v124, v136, v138, v124
	v_add_f64 v[138:139], v[34:35], v[144:145]
	s_delay_alu instid0(VALU_DEP_3) | instskip(SKIP_1) | instid1(VALU_DEP_3)
	v_cvt_f32_f64_e32 v136, v[140:141]
	v_add_f64 v[140:141], v[28:29], v[142:143]
	v_cvt_f32_f64_e32 v138, v[138:139]
	s_delay_alu instid0(VALU_DEP_1) | instskip(SKIP_1) | instid1(VALU_DEP_4)
	v_min3_f32 v121, v136, v138, v121
	v_add_f64 v[138:139], v[30:31], v[144:145]
	v_cvt_f32_f64_e32 v136, v[140:141]
	v_add_f64 v[140:141], v[24:25], v[142:143]
	s_delay_alu instid0(VALU_DEP_3) | instskip(NEXT) | instid1(VALU_DEP_1)
	v_cvt_f32_f64_e32 v138, v[138:139]
	v_min3_f32 v120, v136, v138, v120
	v_add_f64 v[138:139], v[26:27], v[144:145]
	s_delay_alu instid0(VALU_DEP_4) | instskip(SKIP_1) | instid1(VALU_DEP_3)
	v_cvt_f32_f64_e32 v136, v[140:141]
	v_add_f64 v[140:141], v[20:21], v[142:143]
	v_cvt_f32_f64_e32 v138, v[138:139]
	s_delay_alu instid0(VALU_DEP_1) | instskip(SKIP_1) | instid1(VALU_DEP_4)
	v_min3_f32 v119, v136, v138, v119
	v_add_f64 v[138:139], v[22:23], v[144:145]
	v_cvt_f32_f64_e32 v136, v[140:141]
	v_add_f64 v[140:141], v[12:13], v[142:143]
	s_delay_alu instid0(VALU_DEP_3) | instskip(NEXT) | instid1(VALU_DEP_1)
	v_cvt_f32_f64_e32 v138, v[138:139]
	v_min3_f32 v118, v136, v138, v118
	v_add_f64 v[138:139], v[14:15], v[144:145]
	s_delay_alu instid0(VALU_DEP_4) | instskip(SKIP_1) | instid1(VALU_DEP_3)
	;; [unrolled: 13-line block ×3, first 2 shown]
	v_cvt_f32_f64_e32 v136, v[140:141]
	v_add_f64 v[140:141], v[0:1], v[142:143]
	v_cvt_f32_f64_e32 v138, v[138:139]
	s_delay_alu instid0(VALU_DEP_1) | instskip(SKIP_1) | instid1(VALU_DEP_4)
	v_min3_f32 v115, v136, v138, v115
	v_add_f64 v[138:139], v[2:3], v[144:145]
	v_cvt_f32_f64_e32 v136, v[140:141]
	s_waitcnt lgkmcnt(5)
	v_add_f64 v[140:141], v[32:33], v[146:147]
	s_delay_alu instid0(VALU_DEP_3) | instskip(NEXT) | instid1(VALU_DEP_1)
	v_cvt_f32_f64_e32 v138, v[138:139]
	v_min3_f32 v114, v136, v138, v114
	v_add_f64 v[138:139], v[34:35], v[148:149]
	s_delay_alu instid0(VALU_DEP_4) | instskip(SKIP_1) | instid1(VALU_DEP_3)
	v_cvt_f32_f64_e32 v136, v[140:141]
	v_add_f64 v[140:141], v[28:29], v[146:147]
	v_cvt_f32_f64_e32 v138, v[138:139]
	s_delay_alu instid0(VALU_DEP_1) | instskip(SKIP_1) | instid1(VALU_DEP_4)
	v_min3_f32 v113, v136, v138, v113
	v_add_f64 v[138:139], v[30:31], v[148:149]
	v_cvt_f32_f64_e32 v136, v[140:141]
	v_add_f64 v[140:141], v[24:25], v[146:147]
	s_delay_alu instid0(VALU_DEP_3) | instskip(NEXT) | instid1(VALU_DEP_1)
	v_cvt_f32_f64_e32 v138, v[138:139]
	v_min3_f32 v112, v136, v138, v112
	v_add_f64 v[138:139], v[26:27], v[148:149]
	s_delay_alu instid0(VALU_DEP_4) | instskip(SKIP_1) | instid1(VALU_DEP_3)
	v_cvt_f32_f64_e32 v136, v[140:141]
	v_add_f64 v[140:141], v[20:21], v[146:147]
	v_cvt_f32_f64_e32 v138, v[138:139]
	s_delay_alu instid0(VALU_DEP_1) | instskip(SKIP_1) | instid1(VALU_DEP_4)
	v_min3_f32 v111, v136, v138, v111
	v_add_f64 v[138:139], v[22:23], v[148:149]
	v_cvt_f32_f64_e32 v136, v[140:141]
	;; [unrolled: 13-line block ×4, first 2 shown]
	s_waitcnt lgkmcnt(4)
	v_add_f64 v[140:141], v[32:33], v[48:49]
	s_delay_alu instid0(VALU_DEP_3) | instskip(NEXT) | instid1(VALU_DEP_1)
	v_cvt_f32_f64_e32 v138, v[138:139]
	v_min3_f32 v106, v136, v138, v106
	v_add_f64 v[138:139], v[34:35], v[50:51]
	s_delay_alu instid0(VALU_DEP_4) | instskip(SKIP_1) | instid1(VALU_DEP_3)
	v_cvt_f32_f64_e32 v136, v[140:141]
	v_add_f64 v[140:141], v[28:29], v[48:49]
	v_cvt_f32_f64_e32 v138, v[138:139]
	s_delay_alu instid0(VALU_DEP_1) | instskip(SKIP_1) | instid1(VALU_DEP_4)
	v_min3_f32 v105, v136, v138, v105
	v_add_f64 v[138:139], v[30:31], v[50:51]
	v_cvt_f32_f64_e32 v136, v[140:141]
	v_add_f64 v[140:141], v[24:25], v[48:49]
	s_delay_alu instid0(VALU_DEP_3) | instskip(NEXT) | instid1(VALU_DEP_1)
	v_cvt_f32_f64_e32 v138, v[138:139]
	v_min3_f32 v104, v136, v138, v104
	v_add_f64 v[138:139], v[26:27], v[50:51]
	s_delay_alu instid0(VALU_DEP_4) | instskip(SKIP_1) | instid1(VALU_DEP_3)
	v_cvt_f32_f64_e32 v136, v[140:141]
	v_add_f64 v[140:141], v[20:21], v[48:49]
	v_cvt_f32_f64_e32 v138, v[138:139]
	s_delay_alu instid0(VALU_DEP_1) | instskip(SKIP_1) | instid1(VALU_DEP_4)
	v_min3_f32 v103, v136, v138, v103
	v_add_f64 v[138:139], v[22:23], v[50:51]
	v_cvt_f32_f64_e32 v136, v[140:141]
	;; [unrolled: 13-line block ×3, first 2 shown]
	v_add_f64 v[140:141], v[4:5], v[48:49]
	v_add_f64 v[48:49], v[0:1], v[48:49]
	s_delay_alu instid0(VALU_DEP_4) | instskip(NEXT) | instid1(VALU_DEP_2)
	v_cvt_f32_f64_e32 v138, v[138:139]
	v_cvt_f32_f64_e32 v48, v[48:49]
	s_delay_alu instid0(VALU_DEP_2) | instskip(SKIP_3) | instid1(VALU_DEP_3)
	v_min3_f32 v100, v136, v138, v100
	v_add_f64 v[138:139], v[6:7], v[50:51]
	v_add_f64 v[50:51], v[2:3], v[50:51]
	v_cvt_f32_f64_e32 v136, v[140:141]
	v_cvt_f32_f64_e32 v138, v[138:139]
	s_delay_alu instid0(VALU_DEP_3) | instskip(SKIP_2) | instid1(VALU_DEP_3)
	v_cvt_f32_f64_e32 v49, v[50:51]
	s_waitcnt lgkmcnt(3)
	v_add_f64 v[50:51], v[32:33], v[44:45]
	v_min3_f32 v99, v136, v138, v99
	s_delay_alu instid0(VALU_DEP_3) | instskip(SKIP_1) | instid1(VALU_DEP_4)
	v_min3_f32 v98, v48, v49, v98
	v_add_f64 v[48:49], v[34:35], v[46:47]
	v_cvt_f32_f64_e32 v50, v[50:51]
	s_delay_alu instid0(VALU_DEP_2) | instskip(NEXT) | instid1(VALU_DEP_1)
	v_cvt_f32_f64_e32 v48, v[48:49]
	v_min3_f32 v97, v50, v48, v97
	v_add_f64 v[48:49], v[30:31], v[46:47]
	v_add_f64 v[50:51], v[28:29], v[44:45]
	s_delay_alu instid0(VALU_DEP_2) | instskip(NEXT) | instid1(VALU_DEP_2)
	v_cvt_f32_f64_e32 v48, v[48:49]
	v_cvt_f32_f64_e32 v50, v[50:51]
	s_delay_alu instid0(VALU_DEP_1) | instskip(SKIP_2) | instid1(VALU_DEP_2)
	v_min3_f32 v96, v50, v48, v96
	v_add_f64 v[48:49], v[26:27], v[46:47]
	v_add_f64 v[50:51], v[24:25], v[44:45]
	v_cvt_f32_f64_e32 v48, v[48:49]
	s_delay_alu instid0(VALU_DEP_2) | instskip(NEXT) | instid1(VALU_DEP_1)
	v_cvt_f32_f64_e32 v50, v[50:51]
	v_min3_f32 v95, v50, v48, v95
	v_add_f64 v[48:49], v[22:23], v[46:47]
	v_add_f64 v[50:51], v[20:21], v[44:45]
	s_delay_alu instid0(VALU_DEP_2) | instskip(NEXT) | instid1(VALU_DEP_2)
	v_cvt_f32_f64_e32 v48, v[48:49]
	v_cvt_f32_f64_e32 v50, v[50:51]
	s_delay_alu instid0(VALU_DEP_1) | instskip(SKIP_2) | instid1(VALU_DEP_2)
	v_min3_f32 v94, v50, v48, v94
	v_add_f64 v[48:49], v[14:15], v[46:47]
	v_add_f64 v[50:51], v[12:13], v[44:45]
	v_cvt_f32_f64_e32 v48, v[48:49]
	s_delay_alu instid0(VALU_DEP_2) | instskip(NEXT) | instid1(VALU_DEP_1)
	v_cvt_f32_f64_e32 v50, v[50:51]
	v_min3_f32 v93, v50, v48, v93
	v_add_f64 v[48:49], v[10:11], v[46:47]
	v_add_f64 v[50:51], v[8:9], v[44:45]
	s_delay_alu instid0(VALU_DEP_2) | instskip(NEXT) | instid1(VALU_DEP_2)
	v_cvt_f32_f64_e32 v48, v[48:49]
	v_cvt_f32_f64_e32 v50, v[50:51]
	s_delay_alu instid0(VALU_DEP_1) | instskip(SKIP_4) | instid1(VALU_DEP_4)
	v_min3_f32 v92, v50, v48, v92
	v_add_f64 v[48:49], v[6:7], v[46:47]
	v_add_f64 v[50:51], v[4:5], v[44:45]
	;; [unrolled: 1-line block ×4, first 2 shown]
	v_cvt_f32_f64_e32 v48, v[48:49]
	s_delay_alu instid0(VALU_DEP_4) | instskip(NEXT) | instid1(VALU_DEP_3)
	v_cvt_f32_f64_e32 v50, v[50:51]
	v_cvt_f32_f64_e32 v44, v[44:45]
	v_cvt_f32_f64_e32 v45, v[46:47]
	s_waitcnt lgkmcnt(2)
	v_add_f64 v[46:47], v[32:33], v[40:41]
	s_delay_alu instid0(VALU_DEP_4) | instskip(NEXT) | instid1(VALU_DEP_3)
	v_min3_f32 v91, v50, v48, v91
	v_min3_f32 v90, v44, v45, v90
	v_add_f64 v[44:45], v[34:35], v[42:43]
	s_delay_alu instid0(VALU_DEP_4) | instskip(NEXT) | instid1(VALU_DEP_2)
	v_cvt_f32_f64_e32 v46, v[46:47]
	v_cvt_f32_f64_e32 v44, v[44:45]
	s_delay_alu instid0(VALU_DEP_1) | instskip(SKIP_2) | instid1(VALU_DEP_2)
	v_min3_f32 v89, v46, v44, v89
	v_add_f64 v[44:45], v[30:31], v[42:43]
	v_add_f64 v[46:47], v[28:29], v[40:41]
	v_cvt_f32_f64_e32 v44, v[44:45]
	s_delay_alu instid0(VALU_DEP_2) | instskip(NEXT) | instid1(VALU_DEP_1)
	v_cvt_f32_f64_e32 v46, v[46:47]
	v_min3_f32 v88, v46, v44, v88
	v_add_f64 v[44:45], v[26:27], v[42:43]
	v_add_f64 v[46:47], v[24:25], v[40:41]
	s_delay_alu instid0(VALU_DEP_2) | instskip(NEXT) | instid1(VALU_DEP_2)
	v_cvt_f32_f64_e32 v44, v[44:45]
	v_cvt_f32_f64_e32 v46, v[46:47]
	s_delay_alu instid0(VALU_DEP_1) | instskip(SKIP_2) | instid1(VALU_DEP_2)
	v_min3_f32 v87, v46, v44, v87
	v_add_f64 v[44:45], v[22:23], v[42:43]
	v_add_f64 v[46:47], v[20:21], v[40:41]
	v_cvt_f32_f64_e32 v44, v[44:45]
	s_delay_alu instid0(VALU_DEP_2) | instskip(NEXT) | instid1(VALU_DEP_1)
	v_cvt_f32_f64_e32 v46, v[46:47]
	v_min3_f32 v86, v46, v44, v86
	v_add_f64 v[44:45], v[14:15], v[42:43]
	v_add_f64 v[46:47], v[12:13], v[40:41]
	s_delay_alu instid0(VALU_DEP_2) | instskip(NEXT) | instid1(VALU_DEP_2)
	v_cvt_f32_f64_e32 v44, v[44:45]
	v_cvt_f32_f64_e32 v46, v[46:47]
	s_delay_alu instid0(VALU_DEP_1) | instskip(SKIP_2) | instid1(VALU_DEP_2)
	v_min3_f32 v85, v46, v44, v85
	v_add_f64 v[44:45], v[10:11], v[42:43]
	v_add_f64 v[46:47], v[8:9], v[40:41]
	v_cvt_f32_f64_e32 v44, v[44:45]
	s_delay_alu instid0(VALU_DEP_2) | instskip(NEXT) | instid1(VALU_DEP_1)
	v_cvt_f32_f64_e32 v46, v[46:47]
	v_min3_f32 v84, v46, v44, v84
	v_add_f64 v[44:45], v[6:7], v[42:43]
	v_add_f64 v[46:47], v[4:5], v[40:41]
	;; [unrolled: 1-line block ×4, first 2 shown]
	s_delay_alu instid0(VALU_DEP_4) | instskip(NEXT) | instid1(VALU_DEP_4)
	v_cvt_f32_f64_e32 v44, v[44:45]
	v_cvt_f32_f64_e32 v46, v[46:47]
	s_delay_alu instid0(VALU_DEP_3)
	v_cvt_f32_f64_e32 v40, v[40:41]
	v_cvt_f32_f64_e32 v41, v[42:43]
	s_waitcnt lgkmcnt(1)
	v_add_f64 v[42:43], v[32:33], v[36:37]
	s_waitcnt lgkmcnt(0)
	v_add_f64 v[32:33], v[32:33], v[16:17]
	v_min3_f32 v83, v46, v44, v83
	s_delay_alu instid0(VALU_DEP_4) | instskip(SKIP_4) | instid1(VALU_DEP_4)
	v_min3_f32 v82, v40, v41, v82
	v_add_f64 v[40:41], v[34:35], v[38:39]
	v_cvt_f32_f64_e32 v42, v[42:43]
	v_add_f64 v[34:35], v[34:35], v[18:19]
	v_cvt_f32_f64_e32 v32, v[32:33]
	v_cvt_f32_f64_e32 v40, v[40:41]
	s_delay_alu instid0(VALU_DEP_3) | instskip(NEXT) | instid1(VALU_DEP_2)
	v_cvt_f32_f64_e32 v33, v[34:35]
	v_min3_f32 v81, v42, v40, v81
	v_add_f64 v[40:41], v[30:31], v[38:39]
	v_add_f64 v[42:43], v[28:29], v[36:37]
	v_add_f64 v[30:31], v[30:31], v[18:19]
	v_add_f64 v[28:29], v[28:29], v[16:17]
	v_min3_f32 v73, v32, v33, v73
	v_cvt_f32_f64_e32 v40, v[40:41]
	v_cvt_f32_f64_e32 v42, v[42:43]
	s_delay_alu instid0(VALU_DEP_4) | instskip(SKIP_1) | instid1(VALU_DEP_3)
	v_cvt_f32_f64_e32 v28, v[28:29]
	v_cvt_f32_f64_e32 v29, v[30:31]
	v_min3_f32 v80, v42, v40, v80
	v_add_f64 v[40:41], v[26:27], v[38:39]
	v_add_f64 v[42:43], v[24:25], v[36:37]
	v_add_f64 v[26:27], v[26:27], v[18:19]
	v_add_f64 v[24:25], v[24:25], v[16:17]
	v_min3_f32 v72, v28, v29, v72
	v_cvt_f32_f64_e32 v40, v[40:41]
	v_cvt_f32_f64_e32 v42, v[42:43]
	s_delay_alu instid0(VALU_DEP_4) | instskip(SKIP_1) | instid1(VALU_DEP_3)
	v_cvt_f32_f64_e32 v24, v[24:25]
	;; [unrolled: 11-line block ×5, first 2 shown]
	v_cvt_f32_f64_e32 v9, v[10:11]
	v_min3_f32 v76, v42, v40, v76
	v_add_f64 v[40:41], v[6:7], v[38:39]
	v_add_f64 v[42:43], v[4:5], v[36:37]
	;; [unrolled: 1-line block ×8, first 2 shown]
	v_min3_f32 v68, v8, v9, v68
	v_cvt_f32_f64_e32 v40, v[40:41]
	v_cvt_f32_f64_e32 v42, v[42:43]
	;; [unrolled: 1-line block ×8, first 2 shown]
	v_min3_f32 v75, v42, v40, v75
	v_min3_f32 v74, v36, v37, v74
	;; [unrolled: 1-line block ×3, first 2 shown]
	s_delay_alu instid0(VALU_DEP_4)
	v_min3_f32 v66, v0, v1, v66
	s_cbranch_vccz .LBB160_29
; %bb.30:
	v_lshlrev_b32_e32 v0, 5, v64
	s_mov_b32 s7, 8
	s_cmp_gt_i32 s18, 8
	ds_store_b64 v137, v[62:63] offset:18432
	v_lshl_add_u32 v0, v132, 3, v0
	ds_store_2addr_stride64_b64 v0, v[54:55], v[56:57] offset0:16 offset1:20
	ds_store_2addr_stride64_b64 v0, v[58:59], v[60:61] offset0:24 offset1:28
	s_waitcnt lgkmcnt(0)
	s_barrier
	buffer_gl0_inv
	s_cbranch_scc0 .LBB160_57
; %bb.31:
	v_mad_i64_i32 v[1:2], null, v65, s31, 0
	v_lshlrev_b64 v[52:53], 3, v[52:53]
	v_dual_mov_b32 v55, 0 :: v_dual_add_nc_u32 v136, 0x2000, v0
	v_add_nc_u32_e32 v137, 0x4800, v137
	s_mov_b32 s8, -1
	s_mov_b32 s9, 0x7fefffff
	s_delay_alu instid0(VALU_DEP_4) | instskip(NEXT) | instid1(VALU_DEP_1)
	v_lshlrev_b64 v[1:2], 3, v[1:2]
	v_add_co_u32 v138, vcc_lo, s26, v1
	s_delay_alu instid0(VALU_DEP_2) | instskip(SKIP_1) | instid1(VALU_DEP_2)
	v_add_co_ci_u32_e32 v139, vcc_lo, s27, v2, vcc_lo
	s_add_i32 s26, s18, -8
	v_add_co_u32 v140, vcc_lo, v138, 32
	s_delay_alu instid0(VALU_DEP_2)
	v_add_co_ci_u32_e32 v141, vcc_lo, 0, v139, vcc_lo
	s_mov_b32 s27, 0
.LBB160_32:                             ; =>This Loop Header: Depth=1
                                        ;     Child Loop BB160_43 Depth 2
                                        ;     Child Loop BB160_55 Depth 2
	v_dual_mov_b32 v57, s9 :: v_dual_add_nc_u32 v4, s7, v132
	v_mov_b32_e32 v56, s8
	s_delay_alu instid0(VALU_DEP_2) | instskip(NEXT) | instid1(VALU_DEP_1)
	v_mad_u64_u32 v[0:1], null, v4, s20, 0
	v_mad_u64_u32 v[2:3], null, v4, s21, v[1:2]
	s_delay_alu instid0(VALU_DEP_1) | instskip(SKIP_1) | instid1(VALU_DEP_2)
	v_mov_b32_e32 v1, v2
	v_cmp_le_i32_e32 vcc_lo, s18, v4
	v_lshlrev_b64 v[0:1], 3, v[0:1]
	s_delay_alu instid0(VALU_DEP_1) | instskip(NEXT) | instid1(VALU_DEP_1)
	v_add_co_u32 v0, s6, s24, v0
	v_add_co_ci_u32_e64 v1, s6, s25, v1, s6
	s_or_b32 s6, s2, vcc_lo
	s_delay_alu instid0(SALU_CYCLE_1) | instskip(NEXT) | instid1(SALU_CYCLE_1)
	s_xor_b32 s6, s6, -1
	s_and_saveexec_b32 s31, s6
	s_cbranch_execz .LBB160_34
; %bb.33:                               ;   in Loop: Header=BB160_32 Depth=1
	v_add_co_u32 v2, s6, v0, v52
	s_delay_alu instid0(VALU_DEP_1)
	v_add_co_ci_u32_e64 v3, s6, v1, v53, s6
	flat_load_b64 v[56:57], v[2:3]
.LBB160_34:                             ;   in Loop: Header=BB160_32 Depth=1
	s_or_b32 exec_lo, exec_lo, s31
	v_dual_mov_b32 v59, s9 :: v_dual_mov_b32 v58, s8
	s_or_b32 s6, s3, vcc_lo
	s_delay_alu instid0(SALU_CYCLE_1) | instskip(NEXT) | instid1(SALU_CYCLE_1)
	s_xor_b32 s6, s6, -1
	s_and_saveexec_b32 s31, s6
	s_cbranch_execz .LBB160_36
; %bb.35:                               ;   in Loop: Header=BB160_32 Depth=1
	v_add_co_u32 v2, s6, v0, v52
	s_delay_alu instid0(VALU_DEP_1)
	v_add_co_ci_u32_e64 v3, s6, v1, v53, s6
	flat_load_b64 v[58:59], v[2:3] offset:512
.LBB160_36:                             ;   in Loop: Header=BB160_32 Depth=1
	s_or_b32 exec_lo, exec_lo, s31
	v_dual_mov_b32 v61, s9 :: v_dual_mov_b32 v60, s8
	s_or_b32 s6, s4, vcc_lo
	s_delay_alu instid0(SALU_CYCLE_1) | instskip(NEXT) | instid1(SALU_CYCLE_1)
	s_xor_b32 s6, s6, -1
	s_and_saveexec_b32 s31, s6
	s_cbranch_execz .LBB160_38
; %bb.37:                               ;   in Loop: Header=BB160_32 Depth=1
	v_add_co_u32 v2, s6, v0, v52
	s_delay_alu instid0(VALU_DEP_1)
	v_add_co_ci_u32_e64 v3, s6, v1, v53, s6
	flat_load_b64 v[60:61], v[2:3] offset:1024
.LBB160_38:                             ;   in Loop: Header=BB160_32 Depth=1
	s_or_b32 exec_lo, exec_lo, s31
	v_dual_mov_b32 v63, s9 :: v_dual_mov_b32 v62, s8
	s_or_b32 s6, s5, vcc_lo
	s_delay_alu instid0(SALU_CYCLE_1) | instskip(NEXT) | instid1(SALU_CYCLE_1)
	s_xor_b32 s31, s6, -1
	s_and_saveexec_b32 s6, s31
	s_cbranch_execz .LBB160_40
; %bb.39:                               ;   in Loop: Header=BB160_32 Depth=1
	v_add_co_u32 v0, vcc_lo, v0, v52
	v_add_co_ci_u32_e32 v1, vcc_lo, v1, v53, vcc_lo
	flat_load_b64 v[62:63], v[0:1] offset:1536
.LBB160_40:                             ;   in Loop: Header=BB160_32 Depth=1
	s_or_b32 exec_lo, exec_lo, s6
	v_or_b32_e32 v54, s7, v133
	v_dual_mov_b32 v65, s9 :: v_dual_mov_b32 v64, s8
	s_delay_alu instid0(VALU_DEP_2) | instskip(SKIP_1) | instid1(SALU_CYCLE_1)
	v_cmp_gt_i32_e32 vcc_lo, s18, v54
	s_and_b32 s31, vcc_lo, s30
	s_and_saveexec_b32 s6, s31
	s_cbranch_execz .LBB160_42
; %bb.41:                               ;   in Loop: Header=BB160_32 Depth=1
	v_lshlrev_b64 v[0:1], 3, v[54:55]
	s_delay_alu instid0(VALU_DEP_1) | instskip(NEXT) | instid1(VALU_DEP_2)
	v_add_co_u32 v0, vcc_lo, v138, v0
	v_add_co_ci_u32_e32 v1, vcc_lo, v139, v1, vcc_lo
	flat_load_b64 v[64:65], v[0:1]
.LBB160_42:                             ;   in Loop: Header=BB160_32 Depth=1
	s_or_b32 exec_lo, exec_lo, s6
	s_mov_b32 s31, 0
	s_mov_b32 s6, -1
.LBB160_43:                             ;   Parent Loop BB160_32 Depth=1
                                        ; =>  This Inner Loop Header: Depth=2
	s_lshl_b32 s31, s31, 3
	s_and_not1_b32 vcc_lo, exec_lo, s6
	v_lshl_add_u32 v0, v122, 5, s31
	v_lshl_add_u32 v16, v123, 5, s31
	s_mov_b32 s31, 2
	s_mov_b32 s6, 0
	ds_load_b128 v[32:35], v0 offset:8192
	ds_load_b128 v[28:31], v0 offset:9216
	;; [unrolled: 1-line block ×16, first 2 shown]
	s_waitcnt lgkmcnt(7)
	v_add_f64 v[154:155], v[34:35], v[144:145]
	v_add_f64 v[156:157], v[32:33], v[142:143]
	s_delay_alu instid0(VALU_DEP_2) | instskip(NEXT) | instid1(VALU_DEP_2)
	v_cvt_f32_f64_e32 v154, v[154:155]
	v_cvt_f32_f64_e32 v156, v[156:157]
	s_delay_alu instid0(VALU_DEP_1) | instskip(SKIP_2) | instid1(VALU_DEP_2)
	v_min3_f32 v131, v156, v154, v131
	v_add_f64 v[154:155], v[30:31], v[144:145]
	v_add_f64 v[156:157], v[28:29], v[142:143]
	v_cvt_f32_f64_e32 v154, v[154:155]
	s_delay_alu instid0(VALU_DEP_2) | instskip(NEXT) | instid1(VALU_DEP_1)
	v_cvt_f32_f64_e32 v156, v[156:157]
	v_min3_f32 v130, v156, v154, v130
	v_add_f64 v[154:155], v[26:27], v[144:145]
	v_add_f64 v[156:157], v[24:25], v[142:143]
	s_delay_alu instid0(VALU_DEP_2) | instskip(NEXT) | instid1(VALU_DEP_2)
	v_cvt_f32_f64_e32 v154, v[154:155]
	v_cvt_f32_f64_e32 v156, v[156:157]
	s_delay_alu instid0(VALU_DEP_1) | instskip(SKIP_2) | instid1(VALU_DEP_2)
	v_min3_f32 v129, v156, v154, v129
	v_add_f64 v[154:155], v[22:23], v[144:145]
	v_add_f64 v[156:157], v[20:21], v[142:143]
	v_cvt_f32_f64_e32 v154, v[154:155]
	s_delay_alu instid0(VALU_DEP_2) | instskip(NEXT) | instid1(VALU_DEP_1)
	v_cvt_f32_f64_e32 v156, v[156:157]
	v_min3_f32 v128, v156, v154, v128
	;; [unrolled: 13-line block ×3, first 2 shown]
	v_add_f64 v[154:155], v[6:7], v[144:145]
	v_add_f64 v[156:157], v[4:5], v[142:143]
	;; [unrolled: 1-line block ×4, first 2 shown]
	s_delay_alu instid0(VALU_DEP_4) | instskip(NEXT) | instid1(VALU_DEP_4)
	v_cvt_f32_f64_e32 v154, v[154:155]
	v_cvt_f32_f64_e32 v156, v[156:157]
	s_delay_alu instid0(VALU_DEP_3) | instskip(SKIP_3) | instid1(VALU_DEP_4)
	v_cvt_f32_f64_e32 v142, v[142:143]
	v_cvt_f32_f64_e32 v143, v[144:145]
	s_waitcnt lgkmcnt(6)
	v_add_f64 v[144:145], v[32:33], v[146:147]
	v_min3_f32 v125, v156, v154, v125
	s_delay_alu instid0(VALU_DEP_3) | instskip(SKIP_1) | instid1(VALU_DEP_4)
	v_min3_f32 v124, v142, v143, v124
	v_add_f64 v[142:143], v[34:35], v[148:149]
	v_cvt_f32_f64_e32 v144, v[144:145]
	s_delay_alu instid0(VALU_DEP_2) | instskip(NEXT) | instid1(VALU_DEP_1)
	v_cvt_f32_f64_e32 v142, v[142:143]
	v_min3_f32 v121, v144, v142, v121
	v_add_f64 v[142:143], v[30:31], v[148:149]
	v_add_f64 v[144:145], v[28:29], v[146:147]
	s_delay_alu instid0(VALU_DEP_2) | instskip(NEXT) | instid1(VALU_DEP_2)
	v_cvt_f32_f64_e32 v142, v[142:143]
	v_cvt_f32_f64_e32 v144, v[144:145]
	s_delay_alu instid0(VALU_DEP_1) | instskip(SKIP_2) | instid1(VALU_DEP_2)
	v_min3_f32 v120, v144, v142, v120
	v_add_f64 v[142:143], v[26:27], v[148:149]
	v_add_f64 v[144:145], v[24:25], v[146:147]
	v_cvt_f32_f64_e32 v142, v[142:143]
	s_delay_alu instid0(VALU_DEP_2) | instskip(NEXT) | instid1(VALU_DEP_1)
	v_cvt_f32_f64_e32 v144, v[144:145]
	v_min3_f32 v119, v144, v142, v119
	v_add_f64 v[142:143], v[22:23], v[148:149]
	v_add_f64 v[144:145], v[20:21], v[146:147]
	s_delay_alu instid0(VALU_DEP_2) | instskip(NEXT) | instid1(VALU_DEP_2)
	v_cvt_f32_f64_e32 v142, v[142:143]
	v_cvt_f32_f64_e32 v144, v[144:145]
	s_delay_alu instid0(VALU_DEP_1) | instskip(SKIP_2) | instid1(VALU_DEP_2)
	v_min3_f32 v118, v144, v142, v118
	v_add_f64 v[142:143], v[14:15], v[148:149]
	;; [unrolled: 13-line block ×3, first 2 shown]
	v_add_f64 v[144:145], v[4:5], v[146:147]
	v_cvt_f32_f64_e32 v142, v[142:143]
	s_delay_alu instid0(VALU_DEP_2) | instskip(NEXT) | instid1(VALU_DEP_1)
	v_cvt_f32_f64_e32 v144, v[144:145]
	v_min3_f32 v115, v144, v142, v115
	v_add_f64 v[142:143], v[2:3], v[148:149]
	v_add_f64 v[144:145], v[0:1], v[146:147]
	s_delay_alu instid0(VALU_DEP_2) | instskip(NEXT) | instid1(VALU_DEP_2)
	v_cvt_f32_f64_e32 v142, v[142:143]
	v_cvt_f32_f64_e32 v144, v[144:145]
	s_delay_alu instid0(VALU_DEP_1) | instskip(SKIP_3) | instid1(VALU_DEP_2)
	v_min3_f32 v114, v144, v142, v114
	s_waitcnt lgkmcnt(5)
	v_add_f64 v[142:143], v[34:35], v[152:153]
	v_add_f64 v[144:145], v[32:33], v[150:151]
	v_cvt_f32_f64_e32 v142, v[142:143]
	s_delay_alu instid0(VALU_DEP_2) | instskip(NEXT) | instid1(VALU_DEP_1)
	v_cvt_f32_f64_e32 v144, v[144:145]
	v_min3_f32 v113, v144, v142, v113
	v_add_f64 v[142:143], v[30:31], v[152:153]
	v_add_f64 v[144:145], v[28:29], v[150:151]
	s_delay_alu instid0(VALU_DEP_2) | instskip(NEXT) | instid1(VALU_DEP_2)
	v_cvt_f32_f64_e32 v142, v[142:143]
	v_cvt_f32_f64_e32 v144, v[144:145]
	s_delay_alu instid0(VALU_DEP_1) | instskip(SKIP_2) | instid1(VALU_DEP_2)
	v_min3_f32 v112, v144, v142, v112
	v_add_f64 v[142:143], v[26:27], v[152:153]
	v_add_f64 v[144:145], v[24:25], v[150:151]
	v_cvt_f32_f64_e32 v142, v[142:143]
	s_delay_alu instid0(VALU_DEP_2) | instskip(NEXT) | instid1(VALU_DEP_1)
	v_cvt_f32_f64_e32 v144, v[144:145]
	v_min3_f32 v111, v144, v142, v111
	v_add_f64 v[142:143], v[22:23], v[152:153]
	v_add_f64 v[144:145], v[20:21], v[150:151]
	s_delay_alu instid0(VALU_DEP_2) | instskip(NEXT) | instid1(VALU_DEP_2)
	v_cvt_f32_f64_e32 v142, v[142:143]
	v_cvt_f32_f64_e32 v144, v[144:145]
	s_delay_alu instid0(VALU_DEP_1) | instskip(SKIP_2) | instid1(VALU_DEP_2)
	v_min3_f32 v110, v144, v142, v110
	;; [unrolled: 13-line block ×3, first 2 shown]
	v_add_f64 v[142:143], v[6:7], v[152:153]
	v_add_f64 v[144:145], v[4:5], v[150:151]
	v_cvt_f32_f64_e32 v142, v[142:143]
	s_delay_alu instid0(VALU_DEP_2) | instskip(NEXT) | instid1(VALU_DEP_1)
	v_cvt_f32_f64_e32 v144, v[144:145]
	v_min3_f32 v107, v144, v142, v107
	v_add_f64 v[142:143], v[2:3], v[152:153]
	v_add_f64 v[144:145], v[0:1], v[150:151]
	s_delay_alu instid0(VALU_DEP_2) | instskip(NEXT) | instid1(VALU_DEP_2)
	v_cvt_f32_f64_e32 v142, v[142:143]
	v_cvt_f32_f64_e32 v144, v[144:145]
	s_delay_alu instid0(VALU_DEP_1) | instskip(SKIP_3) | instid1(VALU_DEP_2)
	v_min3_f32 v106, v144, v142, v106
	s_waitcnt lgkmcnt(4)
	v_add_f64 v[142:143], v[34:35], v[50:51]
	v_add_f64 v[144:145], v[32:33], v[48:49]
	v_cvt_f32_f64_e32 v142, v[142:143]
	s_delay_alu instid0(VALU_DEP_2) | instskip(NEXT) | instid1(VALU_DEP_1)
	v_cvt_f32_f64_e32 v144, v[144:145]
	v_min3_f32 v105, v144, v142, v105
	v_add_f64 v[142:143], v[30:31], v[50:51]
	v_add_f64 v[144:145], v[28:29], v[48:49]
	s_delay_alu instid0(VALU_DEP_2) | instskip(NEXT) | instid1(VALU_DEP_2)
	v_cvt_f32_f64_e32 v142, v[142:143]
	v_cvt_f32_f64_e32 v144, v[144:145]
	s_delay_alu instid0(VALU_DEP_1) | instskip(SKIP_2) | instid1(VALU_DEP_2)
	v_min3_f32 v104, v144, v142, v104
	v_add_f64 v[142:143], v[26:27], v[50:51]
	v_add_f64 v[144:145], v[24:25], v[48:49]
	v_cvt_f32_f64_e32 v142, v[142:143]
	s_delay_alu instid0(VALU_DEP_2) | instskip(NEXT) | instid1(VALU_DEP_1)
	v_cvt_f32_f64_e32 v144, v[144:145]
	v_min3_f32 v103, v144, v142, v103
	v_add_f64 v[142:143], v[22:23], v[50:51]
	v_add_f64 v[144:145], v[20:21], v[48:49]
	s_delay_alu instid0(VALU_DEP_2) | instskip(NEXT) | instid1(VALU_DEP_2)
	v_cvt_f32_f64_e32 v142, v[142:143]
	v_cvt_f32_f64_e32 v144, v[144:145]
	s_delay_alu instid0(VALU_DEP_1) | instskip(SKIP_2) | instid1(VALU_DEP_2)
	v_min3_f32 v102, v144, v142, v102
	v_add_f64 v[142:143], v[14:15], v[50:51]
	v_add_f64 v[144:145], v[12:13], v[48:49]
	v_cvt_f32_f64_e32 v142, v[142:143]
	s_delay_alu instid0(VALU_DEP_2) | instskip(NEXT) | instid1(VALU_DEP_1)
	v_cvt_f32_f64_e32 v144, v[144:145]
	v_min3_f32 v101, v144, v142, v101
	v_add_f64 v[142:143], v[10:11], v[50:51]
	v_add_f64 v[144:145], v[8:9], v[48:49]
	s_delay_alu instid0(VALU_DEP_2) | instskip(NEXT) | instid1(VALU_DEP_2)
	v_cvt_f32_f64_e32 v142, v[142:143]
	v_cvt_f32_f64_e32 v144, v[144:145]
	s_delay_alu instid0(VALU_DEP_1) | instskip(SKIP_4) | instid1(VALU_DEP_4)
	v_min3_f32 v100, v144, v142, v100
	v_add_f64 v[142:143], v[6:7], v[50:51]
	v_add_f64 v[144:145], v[4:5], v[48:49]
	;; [unrolled: 1-line block ×4, first 2 shown]
	v_cvt_f32_f64_e32 v142, v[142:143]
	s_delay_alu instid0(VALU_DEP_4) | instskip(NEXT) | instid1(VALU_DEP_3)
	v_cvt_f32_f64_e32 v144, v[144:145]
	v_cvt_f32_f64_e32 v48, v[48:49]
	;; [unrolled: 1-line block ×3, first 2 shown]
	s_waitcnt lgkmcnt(3)
	v_add_f64 v[50:51], v[32:33], v[44:45]
	s_delay_alu instid0(VALU_DEP_4) | instskip(NEXT) | instid1(VALU_DEP_3)
	v_min3_f32 v99, v144, v142, v99
	v_min3_f32 v98, v48, v49, v98
	v_add_f64 v[48:49], v[34:35], v[46:47]
	s_delay_alu instid0(VALU_DEP_4) | instskip(NEXT) | instid1(VALU_DEP_2)
	v_cvt_f32_f64_e32 v50, v[50:51]
	v_cvt_f32_f64_e32 v48, v[48:49]
	s_delay_alu instid0(VALU_DEP_1) | instskip(SKIP_2) | instid1(VALU_DEP_2)
	v_min3_f32 v97, v50, v48, v97
	v_add_f64 v[48:49], v[30:31], v[46:47]
	v_add_f64 v[50:51], v[28:29], v[44:45]
	v_cvt_f32_f64_e32 v48, v[48:49]
	s_delay_alu instid0(VALU_DEP_2) | instskip(NEXT) | instid1(VALU_DEP_1)
	v_cvt_f32_f64_e32 v50, v[50:51]
	v_min3_f32 v96, v50, v48, v96
	v_add_f64 v[48:49], v[26:27], v[46:47]
	v_add_f64 v[50:51], v[24:25], v[44:45]
	s_delay_alu instid0(VALU_DEP_2) | instskip(NEXT) | instid1(VALU_DEP_2)
	v_cvt_f32_f64_e32 v48, v[48:49]
	v_cvt_f32_f64_e32 v50, v[50:51]
	s_delay_alu instid0(VALU_DEP_1) | instskip(SKIP_2) | instid1(VALU_DEP_2)
	v_min3_f32 v95, v50, v48, v95
	v_add_f64 v[48:49], v[22:23], v[46:47]
	v_add_f64 v[50:51], v[20:21], v[44:45]
	v_cvt_f32_f64_e32 v48, v[48:49]
	s_delay_alu instid0(VALU_DEP_2) | instskip(NEXT) | instid1(VALU_DEP_1)
	v_cvt_f32_f64_e32 v50, v[50:51]
	v_min3_f32 v94, v50, v48, v94
	v_add_f64 v[48:49], v[14:15], v[46:47]
	v_add_f64 v[50:51], v[12:13], v[44:45]
	s_delay_alu instid0(VALU_DEP_2) | instskip(NEXT) | instid1(VALU_DEP_2)
	v_cvt_f32_f64_e32 v48, v[48:49]
	v_cvt_f32_f64_e32 v50, v[50:51]
	s_delay_alu instid0(VALU_DEP_1) | instskip(SKIP_2) | instid1(VALU_DEP_2)
	v_min3_f32 v93, v50, v48, v93
	v_add_f64 v[48:49], v[10:11], v[46:47]
	v_add_f64 v[50:51], v[8:9], v[44:45]
	v_cvt_f32_f64_e32 v48, v[48:49]
	s_delay_alu instid0(VALU_DEP_2) | instskip(NEXT) | instid1(VALU_DEP_1)
	v_cvt_f32_f64_e32 v50, v[50:51]
	v_min3_f32 v92, v50, v48, v92
	v_add_f64 v[48:49], v[6:7], v[46:47]
	v_add_f64 v[50:51], v[4:5], v[44:45]
	;; [unrolled: 1-line block ×4, first 2 shown]
	s_delay_alu instid0(VALU_DEP_4) | instskip(NEXT) | instid1(VALU_DEP_4)
	v_cvt_f32_f64_e32 v48, v[48:49]
	v_cvt_f32_f64_e32 v50, v[50:51]
	s_delay_alu instid0(VALU_DEP_3) | instskip(SKIP_3) | instid1(VALU_DEP_4)
	v_cvt_f32_f64_e32 v44, v[44:45]
	v_cvt_f32_f64_e32 v45, v[46:47]
	s_waitcnt lgkmcnt(2)
	v_add_f64 v[46:47], v[32:33], v[40:41]
	v_min3_f32 v91, v50, v48, v91
	s_delay_alu instid0(VALU_DEP_3) | instskip(SKIP_1) | instid1(VALU_DEP_4)
	v_min3_f32 v90, v44, v45, v90
	v_add_f64 v[44:45], v[34:35], v[42:43]
	v_cvt_f32_f64_e32 v46, v[46:47]
	s_delay_alu instid0(VALU_DEP_2) | instskip(NEXT) | instid1(VALU_DEP_1)
	v_cvt_f32_f64_e32 v44, v[44:45]
	v_min3_f32 v89, v46, v44, v89
	v_add_f64 v[44:45], v[30:31], v[42:43]
	v_add_f64 v[46:47], v[28:29], v[40:41]
	s_delay_alu instid0(VALU_DEP_2) | instskip(NEXT) | instid1(VALU_DEP_2)
	v_cvt_f32_f64_e32 v44, v[44:45]
	v_cvt_f32_f64_e32 v46, v[46:47]
	s_delay_alu instid0(VALU_DEP_1) | instskip(SKIP_2) | instid1(VALU_DEP_2)
	v_min3_f32 v88, v46, v44, v88
	v_add_f64 v[44:45], v[26:27], v[42:43]
	v_add_f64 v[46:47], v[24:25], v[40:41]
	v_cvt_f32_f64_e32 v44, v[44:45]
	s_delay_alu instid0(VALU_DEP_2) | instskip(NEXT) | instid1(VALU_DEP_1)
	v_cvt_f32_f64_e32 v46, v[46:47]
	v_min3_f32 v87, v46, v44, v87
	v_add_f64 v[44:45], v[22:23], v[42:43]
	v_add_f64 v[46:47], v[20:21], v[40:41]
	s_delay_alu instid0(VALU_DEP_2) | instskip(NEXT) | instid1(VALU_DEP_2)
	v_cvt_f32_f64_e32 v44, v[44:45]
	v_cvt_f32_f64_e32 v46, v[46:47]
	s_delay_alu instid0(VALU_DEP_1) | instskip(SKIP_2) | instid1(VALU_DEP_2)
	v_min3_f32 v86, v46, v44, v86
	v_add_f64 v[44:45], v[14:15], v[42:43]
	v_add_f64 v[46:47], v[12:13], v[40:41]
	v_cvt_f32_f64_e32 v44, v[44:45]
	s_delay_alu instid0(VALU_DEP_2) | instskip(NEXT) | instid1(VALU_DEP_1)
	v_cvt_f32_f64_e32 v46, v[46:47]
	v_min3_f32 v85, v46, v44, v85
	v_add_f64 v[44:45], v[10:11], v[42:43]
	v_add_f64 v[46:47], v[8:9], v[40:41]
	s_delay_alu instid0(VALU_DEP_2) | instskip(NEXT) | instid1(VALU_DEP_2)
	v_cvt_f32_f64_e32 v44, v[44:45]
	v_cvt_f32_f64_e32 v46, v[46:47]
	s_delay_alu instid0(VALU_DEP_1) | instskip(SKIP_4) | instid1(VALU_DEP_4)
	v_min3_f32 v84, v46, v44, v84
	v_add_f64 v[44:45], v[6:7], v[42:43]
	v_add_f64 v[46:47], v[4:5], v[40:41]
	;; [unrolled: 1-line block ×4, first 2 shown]
	v_cvt_f32_f64_e32 v44, v[44:45]
	s_delay_alu instid0(VALU_DEP_4) | instskip(NEXT) | instid1(VALU_DEP_3)
	v_cvt_f32_f64_e32 v46, v[46:47]
	v_cvt_f32_f64_e32 v40, v[40:41]
	;; [unrolled: 1-line block ×3, first 2 shown]
	s_waitcnt lgkmcnt(1)
	v_add_f64 v[42:43], v[32:33], v[36:37]
	s_waitcnt lgkmcnt(0)
	v_add_f64 v[32:33], v[32:33], v[16:17]
	v_min3_f32 v83, v46, v44, v83
	s_delay_alu instid0(VALU_DEP_4) | instskip(SKIP_4) | instid1(VALU_DEP_4)
	v_min3_f32 v82, v40, v41, v82
	v_add_f64 v[40:41], v[34:35], v[38:39]
	v_cvt_f32_f64_e32 v42, v[42:43]
	v_add_f64 v[34:35], v[34:35], v[18:19]
	v_cvt_f32_f64_e32 v32, v[32:33]
	v_cvt_f32_f64_e32 v40, v[40:41]
	s_delay_alu instid0(VALU_DEP_3) | instskip(NEXT) | instid1(VALU_DEP_2)
	v_cvt_f32_f64_e32 v33, v[34:35]
	v_min3_f32 v81, v42, v40, v81
	v_add_f64 v[40:41], v[30:31], v[38:39]
	v_add_f64 v[42:43], v[28:29], v[36:37]
	v_add_f64 v[30:31], v[30:31], v[18:19]
	v_add_f64 v[28:29], v[28:29], v[16:17]
	v_min3_f32 v73, v32, v33, v73
	v_cvt_f32_f64_e32 v40, v[40:41]
	v_cvt_f32_f64_e32 v42, v[42:43]
	s_delay_alu instid0(VALU_DEP_4) | instskip(SKIP_1) | instid1(VALU_DEP_3)
	v_cvt_f32_f64_e32 v28, v[28:29]
	v_cvt_f32_f64_e32 v29, v[30:31]
	v_min3_f32 v80, v42, v40, v80
	v_add_f64 v[40:41], v[26:27], v[38:39]
	v_add_f64 v[42:43], v[24:25], v[36:37]
	v_add_f64 v[26:27], v[26:27], v[18:19]
	v_add_f64 v[24:25], v[24:25], v[16:17]
	v_min3_f32 v72, v28, v29, v72
	v_cvt_f32_f64_e32 v40, v[40:41]
	v_cvt_f32_f64_e32 v42, v[42:43]
	s_delay_alu instid0(VALU_DEP_4) | instskip(SKIP_1) | instid1(VALU_DEP_3)
	v_cvt_f32_f64_e32 v24, v[24:25]
	;; [unrolled: 11-line block ×5, first 2 shown]
	v_cvt_f32_f64_e32 v9, v[10:11]
	v_min3_f32 v76, v42, v40, v76
	v_add_f64 v[40:41], v[6:7], v[38:39]
	v_add_f64 v[42:43], v[4:5], v[36:37]
	;; [unrolled: 1-line block ×8, first 2 shown]
	v_min3_f32 v68, v8, v9, v68
	v_cvt_f32_f64_e32 v40, v[40:41]
	v_cvt_f32_f64_e32 v42, v[42:43]
	;; [unrolled: 1-line block ×8, first 2 shown]
	v_min3_f32 v75, v42, v40, v75
	v_min3_f32 v74, v36, v37, v74
	;; [unrolled: 1-line block ×3, first 2 shown]
	s_delay_alu instid0(VALU_DEP_4)
	v_min3_f32 v66, v0, v1, v66
	s_cbranch_vccz .LBB160_43
; %bb.44:                               ;   in Loop: Header=BB160_32 Depth=1
	v_add3_u32 v4, v132, s7, 4
	s_waitcnt vmcnt(0)
	ds_store_2addr_stride64_b64 v134, v[56:57], v[58:59] offset1:4
	v_mov_b32_e32 v57, s9
	ds_store_2addr_stride64_b64 v134, v[60:61], v[62:63] offset0:8 offset1:12
	ds_store_b64 v135, v[64:65]
	s_waitcnt lgkmcnt(0)
	v_mad_u64_u32 v[0:1], null, v4, s20, 0
	v_cmp_le_i32_e32 vcc_lo, s18, v4
	s_barrier
	buffer_gl0_inv
	v_mov_b32_e32 v56, s8
	v_mad_u64_u32 v[2:3], null, v4, s21, v[1:2]
	s_delay_alu instid0(VALU_DEP_1) | instskip(NEXT) | instid1(VALU_DEP_1)
	v_mov_b32_e32 v1, v2
	v_lshlrev_b64 v[0:1], 3, v[0:1]
	s_delay_alu instid0(VALU_DEP_1) | instskip(NEXT) | instid1(VALU_DEP_1)
	v_add_co_u32 v0, s6, s24, v0
	v_add_co_ci_u32_e64 v1, s6, s25, v1, s6
	s_or_b32 s6, s2, vcc_lo
	s_delay_alu instid0(SALU_CYCLE_1) | instskip(NEXT) | instid1(SALU_CYCLE_1)
	s_xor_b32 s6, s6, -1
	s_and_saveexec_b32 s31, s6
	s_cbranch_execz .LBB160_46
; %bb.45:                               ;   in Loop: Header=BB160_32 Depth=1
	v_add_co_u32 v2, s6, v0, v52
	s_delay_alu instid0(VALU_DEP_1)
	v_add_co_ci_u32_e64 v3, s6, v1, v53, s6
	flat_load_b64 v[56:57], v[2:3]
.LBB160_46:                             ;   in Loop: Header=BB160_32 Depth=1
	s_or_b32 exec_lo, exec_lo, s31
	v_dual_mov_b32 v59, s9 :: v_dual_mov_b32 v58, s8
	s_or_b32 s6, s3, vcc_lo
	s_delay_alu instid0(SALU_CYCLE_1) | instskip(NEXT) | instid1(SALU_CYCLE_1)
	s_xor_b32 s6, s6, -1
	s_and_saveexec_b32 s31, s6
	s_cbranch_execz .LBB160_48
; %bb.47:                               ;   in Loop: Header=BB160_32 Depth=1
	v_add_co_u32 v2, s6, v0, v52
	s_delay_alu instid0(VALU_DEP_1)
	v_add_co_ci_u32_e64 v3, s6, v1, v53, s6
	flat_load_b64 v[58:59], v[2:3] offset:512
.LBB160_48:                             ;   in Loop: Header=BB160_32 Depth=1
	s_or_b32 exec_lo, exec_lo, s31
	v_dual_mov_b32 v61, s9 :: v_dual_mov_b32 v60, s8
	s_or_b32 s6, s4, vcc_lo
	s_delay_alu instid0(SALU_CYCLE_1) | instskip(NEXT) | instid1(SALU_CYCLE_1)
	s_xor_b32 s6, s6, -1
	s_and_saveexec_b32 s31, s6
	s_cbranch_execz .LBB160_50
; %bb.49:                               ;   in Loop: Header=BB160_32 Depth=1
	v_add_co_u32 v2, s6, v0, v52
	s_delay_alu instid0(VALU_DEP_1)
	v_add_co_ci_u32_e64 v3, s6, v1, v53, s6
	flat_load_b64 v[60:61], v[2:3] offset:1024
.LBB160_50:                             ;   in Loop: Header=BB160_32 Depth=1
	s_or_b32 exec_lo, exec_lo, s31
	v_dual_mov_b32 v63, s9 :: v_dual_mov_b32 v62, s8
	s_or_b32 s6, s5, vcc_lo
	s_delay_alu instid0(SALU_CYCLE_1) | instskip(NEXT) | instid1(SALU_CYCLE_1)
	s_xor_b32 s31, s6, -1
	s_and_saveexec_b32 s6, s31
	s_cbranch_execz .LBB160_52
; %bb.51:                               ;   in Loop: Header=BB160_32 Depth=1
	v_add_co_u32 v0, vcc_lo, v0, v52
	v_add_co_ci_u32_e32 v1, vcc_lo, v1, v53, vcc_lo
	flat_load_b64 v[62:63], v[0:1] offset:1536
.LBB160_52:                             ;   in Loop: Header=BB160_32 Depth=1
	s_or_b32 exec_lo, exec_lo, s6
	v_or_b32_e32 v0, 4, v54
	v_dual_mov_b32 v65, s9 :: v_dual_mov_b32 v64, s8
	s_delay_alu instid0(VALU_DEP_2) | instskip(SKIP_1) | instid1(SALU_CYCLE_1)
	v_cmp_gt_i32_e32 vcc_lo, s18, v0
	s_and_b32 s31, vcc_lo, s30
	s_and_saveexec_b32 s6, s31
	s_cbranch_execz .LBB160_54
; %bb.53:                               ;   in Loop: Header=BB160_32 Depth=1
	v_lshlrev_b64 v[0:1], 3, v[54:55]
	s_delay_alu instid0(VALU_DEP_1) | instskip(NEXT) | instid1(VALU_DEP_2)
	v_add_co_u32 v0, vcc_lo, v140, v0
	v_add_co_ci_u32_e32 v1, vcc_lo, v141, v1, vcc_lo
	flat_load_b64 v[64:65], v[0:1]
.LBB160_54:                             ;   in Loop: Header=BB160_32 Depth=1
	s_or_b32 exec_lo, exec_lo, s6
	s_mov_b32 s31, 0
	s_mov_b32 s6, -1
.LBB160_55:                             ;   Parent Loop BB160_32 Depth=1
                                        ; =>  This Inner Loop Header: Depth=2
	s_lshl_b32 s31, s31, 3
	s_and_not1_b32 vcc_lo, exec_lo, s6
	v_lshl_add_u32 v0, v122, 5, s31
	v_lshl_add_u32 v16, v123, 5, s31
	s_mov_b32 s31, 2
	s_mov_b32 s6, 0
	ds_load_b128 v[32:35], v0
	ds_load_b128 v[28:31], v0 offset:1024
	ds_load_b128 v[24:27], v0 offset:2048
	;; [unrolled: 1-line block ×15, first 2 shown]
	s_waitcnt lgkmcnt(7)
	v_add_f64 v[154:155], v[34:35], v[144:145]
	v_add_f64 v[156:157], v[32:33], v[142:143]
	s_delay_alu instid0(VALU_DEP_2) | instskip(NEXT) | instid1(VALU_DEP_2)
	v_cvt_f32_f64_e32 v154, v[154:155]
	v_cvt_f32_f64_e32 v54, v[156:157]
	v_add_f64 v[156:157], v[28:29], v[142:143]
	s_delay_alu instid0(VALU_DEP_2) | instskip(SKIP_1) | instid1(VALU_DEP_3)
	v_min3_f32 v131, v54, v154, v131
	v_add_f64 v[154:155], v[30:31], v[144:145]
	v_cvt_f32_f64_e32 v54, v[156:157]
	v_add_f64 v[156:157], v[24:25], v[142:143]
	s_delay_alu instid0(VALU_DEP_3) | instskip(NEXT) | instid1(VALU_DEP_1)
	v_cvt_f32_f64_e32 v154, v[154:155]
	v_min3_f32 v130, v54, v154, v130
	v_add_f64 v[154:155], v[26:27], v[144:145]
	s_delay_alu instid0(VALU_DEP_4) | instskip(SKIP_1) | instid1(VALU_DEP_3)
	v_cvt_f32_f64_e32 v54, v[156:157]
	v_add_f64 v[156:157], v[20:21], v[142:143]
	v_cvt_f32_f64_e32 v154, v[154:155]
	s_delay_alu instid0(VALU_DEP_1) | instskip(SKIP_1) | instid1(VALU_DEP_4)
	v_min3_f32 v129, v54, v154, v129
	v_add_f64 v[154:155], v[22:23], v[144:145]
	v_cvt_f32_f64_e32 v54, v[156:157]
	v_add_f64 v[156:157], v[12:13], v[142:143]
	s_delay_alu instid0(VALU_DEP_3) | instskip(NEXT) | instid1(VALU_DEP_1)
	v_cvt_f32_f64_e32 v154, v[154:155]
	v_min3_f32 v128, v54, v154, v128
	v_add_f64 v[154:155], v[14:15], v[144:145]
	s_delay_alu instid0(VALU_DEP_4) | instskip(SKIP_1) | instid1(VALU_DEP_3)
	v_cvt_f32_f64_e32 v54, v[156:157]
	v_add_f64 v[156:157], v[8:9], v[142:143]
	v_cvt_f32_f64_e32 v154, v[154:155]
	s_delay_alu instid0(VALU_DEP_1) | instskip(SKIP_1) | instid1(VALU_DEP_4)
	v_min3_f32 v127, v54, v154, v127
	v_add_f64 v[154:155], v[10:11], v[144:145]
	v_cvt_f32_f64_e32 v54, v[156:157]
	v_add_f64 v[156:157], v[4:5], v[142:143]
	v_add_f64 v[142:143], v[0:1], v[142:143]
	s_delay_alu instid0(VALU_DEP_4) | instskip(NEXT) | instid1(VALU_DEP_1)
	v_cvt_f32_f64_e32 v154, v[154:155]
	v_min3_f32 v126, v54, v154, v126
	v_add_f64 v[154:155], v[6:7], v[144:145]
	v_cvt_f32_f64_e32 v54, v[156:157]
	v_add_f64 v[144:145], v[2:3], v[144:145]
	s_delay_alu instid0(VALU_DEP_3) | instskip(NEXT) | instid1(VALU_DEP_1)
	v_cvt_f32_f64_e32 v154, v[154:155]
	v_min3_f32 v125, v54, v154, v125
	v_cvt_f32_f64_e32 v54, v[142:143]
	s_delay_alu instid0(VALU_DEP_4) | instskip(SKIP_2) | instid1(VALU_DEP_2)
	v_cvt_f32_f64_e32 v142, v[144:145]
	s_waitcnt lgkmcnt(6)
	v_add_f64 v[144:145], v[32:33], v[146:147]
	v_min3_f32 v124, v54, v142, v124
	v_add_f64 v[142:143], v[34:35], v[148:149]
	s_delay_alu instid0(VALU_DEP_3) | instskip(SKIP_1) | instid1(VALU_DEP_3)
	v_cvt_f32_f64_e32 v54, v[144:145]
	v_add_f64 v[144:145], v[28:29], v[146:147]
	v_cvt_f32_f64_e32 v142, v[142:143]
	s_delay_alu instid0(VALU_DEP_1) | instskip(SKIP_1) | instid1(VALU_DEP_4)
	v_min3_f32 v121, v54, v142, v121
	v_add_f64 v[142:143], v[30:31], v[148:149]
	v_cvt_f32_f64_e32 v54, v[144:145]
	v_add_f64 v[144:145], v[24:25], v[146:147]
	s_delay_alu instid0(VALU_DEP_3) | instskip(NEXT) | instid1(VALU_DEP_1)
	v_cvt_f32_f64_e32 v142, v[142:143]
	v_min3_f32 v120, v54, v142, v120
	v_add_f64 v[142:143], v[26:27], v[148:149]
	s_delay_alu instid0(VALU_DEP_4) | instskip(SKIP_1) | instid1(VALU_DEP_3)
	v_cvt_f32_f64_e32 v54, v[144:145]
	v_add_f64 v[144:145], v[20:21], v[146:147]
	v_cvt_f32_f64_e32 v142, v[142:143]
	s_delay_alu instid0(VALU_DEP_1) | instskip(SKIP_1) | instid1(VALU_DEP_4)
	v_min3_f32 v119, v54, v142, v119
	v_add_f64 v[142:143], v[22:23], v[148:149]
	v_cvt_f32_f64_e32 v54, v[144:145]
	v_add_f64 v[144:145], v[12:13], v[146:147]
	s_delay_alu instid0(VALU_DEP_3) | instskip(NEXT) | instid1(VALU_DEP_1)
	v_cvt_f32_f64_e32 v142, v[142:143]
	v_min3_f32 v118, v54, v142, v118
	v_add_f64 v[142:143], v[14:15], v[148:149]
	s_delay_alu instid0(VALU_DEP_4) | instskip(SKIP_1) | instid1(VALU_DEP_3)
	;; [unrolled: 13-line block ×3, first 2 shown]
	v_cvt_f32_f64_e32 v54, v[144:145]
	v_add_f64 v[144:145], v[0:1], v[146:147]
	v_cvt_f32_f64_e32 v142, v[142:143]
	s_delay_alu instid0(VALU_DEP_1) | instskip(SKIP_1) | instid1(VALU_DEP_4)
	v_min3_f32 v115, v54, v142, v115
	v_add_f64 v[142:143], v[2:3], v[148:149]
	v_cvt_f32_f64_e32 v54, v[144:145]
	s_waitcnt lgkmcnt(5)
	v_add_f64 v[144:145], v[32:33], v[150:151]
	s_delay_alu instid0(VALU_DEP_3) | instskip(NEXT) | instid1(VALU_DEP_1)
	v_cvt_f32_f64_e32 v142, v[142:143]
	v_min3_f32 v114, v54, v142, v114
	v_add_f64 v[142:143], v[34:35], v[152:153]
	s_delay_alu instid0(VALU_DEP_4) | instskip(SKIP_1) | instid1(VALU_DEP_3)
	v_cvt_f32_f64_e32 v54, v[144:145]
	v_add_f64 v[144:145], v[28:29], v[150:151]
	v_cvt_f32_f64_e32 v142, v[142:143]
	s_delay_alu instid0(VALU_DEP_1) | instskip(SKIP_1) | instid1(VALU_DEP_4)
	v_min3_f32 v113, v54, v142, v113
	v_add_f64 v[142:143], v[30:31], v[152:153]
	v_cvt_f32_f64_e32 v54, v[144:145]
	v_add_f64 v[144:145], v[24:25], v[150:151]
	s_delay_alu instid0(VALU_DEP_3) | instskip(NEXT) | instid1(VALU_DEP_1)
	v_cvt_f32_f64_e32 v142, v[142:143]
	v_min3_f32 v112, v54, v142, v112
	v_add_f64 v[142:143], v[26:27], v[152:153]
	s_delay_alu instid0(VALU_DEP_4) | instskip(SKIP_1) | instid1(VALU_DEP_3)
	v_cvt_f32_f64_e32 v54, v[144:145]
	v_add_f64 v[144:145], v[20:21], v[150:151]
	v_cvt_f32_f64_e32 v142, v[142:143]
	s_delay_alu instid0(VALU_DEP_1) | instskip(SKIP_1) | instid1(VALU_DEP_4)
	v_min3_f32 v111, v54, v142, v111
	v_add_f64 v[142:143], v[22:23], v[152:153]
	v_cvt_f32_f64_e32 v54, v[144:145]
	;; [unrolled: 13-line block ×4, first 2 shown]
	s_waitcnt lgkmcnt(4)
	v_add_f64 v[144:145], v[32:33], v[48:49]
	s_delay_alu instid0(VALU_DEP_3) | instskip(NEXT) | instid1(VALU_DEP_1)
	v_cvt_f32_f64_e32 v142, v[142:143]
	v_min3_f32 v106, v54, v142, v106
	v_add_f64 v[142:143], v[34:35], v[50:51]
	s_delay_alu instid0(VALU_DEP_4) | instskip(SKIP_1) | instid1(VALU_DEP_3)
	v_cvt_f32_f64_e32 v54, v[144:145]
	v_add_f64 v[144:145], v[28:29], v[48:49]
	v_cvt_f32_f64_e32 v142, v[142:143]
	s_delay_alu instid0(VALU_DEP_1) | instskip(SKIP_1) | instid1(VALU_DEP_4)
	v_min3_f32 v105, v54, v142, v105
	v_add_f64 v[142:143], v[30:31], v[50:51]
	v_cvt_f32_f64_e32 v54, v[144:145]
	v_add_f64 v[144:145], v[24:25], v[48:49]
	s_delay_alu instid0(VALU_DEP_3) | instskip(NEXT) | instid1(VALU_DEP_1)
	v_cvt_f32_f64_e32 v142, v[142:143]
	v_min3_f32 v104, v54, v142, v104
	v_add_f64 v[142:143], v[26:27], v[50:51]
	s_delay_alu instid0(VALU_DEP_4) | instskip(SKIP_1) | instid1(VALU_DEP_3)
	v_cvt_f32_f64_e32 v54, v[144:145]
	v_add_f64 v[144:145], v[20:21], v[48:49]
	v_cvt_f32_f64_e32 v142, v[142:143]
	s_delay_alu instid0(VALU_DEP_1) | instskip(SKIP_1) | instid1(VALU_DEP_4)
	v_min3_f32 v103, v54, v142, v103
	v_add_f64 v[142:143], v[22:23], v[50:51]
	v_cvt_f32_f64_e32 v54, v[144:145]
	;; [unrolled: 13-line block ×3, first 2 shown]
	v_add_f64 v[144:145], v[4:5], v[48:49]
	v_add_f64 v[48:49], v[0:1], v[48:49]
	s_delay_alu instid0(VALU_DEP_4) | instskip(NEXT) | instid1(VALU_DEP_2)
	v_cvt_f32_f64_e32 v142, v[142:143]
	v_cvt_f32_f64_e32 v48, v[48:49]
	s_delay_alu instid0(VALU_DEP_2) | instskip(SKIP_3) | instid1(VALU_DEP_3)
	v_min3_f32 v100, v54, v142, v100
	v_add_f64 v[142:143], v[6:7], v[50:51]
	v_add_f64 v[50:51], v[2:3], v[50:51]
	v_cvt_f32_f64_e32 v54, v[144:145]
	v_cvt_f32_f64_e32 v142, v[142:143]
	s_delay_alu instid0(VALU_DEP_3) | instskip(SKIP_2) | instid1(VALU_DEP_3)
	v_cvt_f32_f64_e32 v49, v[50:51]
	s_waitcnt lgkmcnt(3)
	v_add_f64 v[50:51], v[32:33], v[44:45]
	v_min3_f32 v99, v54, v142, v99
	s_delay_alu instid0(VALU_DEP_3) | instskip(SKIP_1) | instid1(VALU_DEP_4)
	v_min3_f32 v98, v48, v49, v98
	v_add_f64 v[48:49], v[34:35], v[46:47]
	v_cvt_f32_f64_e32 v50, v[50:51]
	s_delay_alu instid0(VALU_DEP_2) | instskip(NEXT) | instid1(VALU_DEP_1)
	v_cvt_f32_f64_e32 v48, v[48:49]
	v_min3_f32 v97, v50, v48, v97
	v_add_f64 v[48:49], v[30:31], v[46:47]
	v_add_f64 v[50:51], v[28:29], v[44:45]
	s_delay_alu instid0(VALU_DEP_2) | instskip(NEXT) | instid1(VALU_DEP_2)
	v_cvt_f32_f64_e32 v48, v[48:49]
	v_cvt_f32_f64_e32 v50, v[50:51]
	s_delay_alu instid0(VALU_DEP_1) | instskip(SKIP_2) | instid1(VALU_DEP_2)
	v_min3_f32 v96, v50, v48, v96
	v_add_f64 v[48:49], v[26:27], v[46:47]
	v_add_f64 v[50:51], v[24:25], v[44:45]
	v_cvt_f32_f64_e32 v48, v[48:49]
	s_delay_alu instid0(VALU_DEP_2) | instskip(NEXT) | instid1(VALU_DEP_1)
	v_cvt_f32_f64_e32 v50, v[50:51]
	v_min3_f32 v95, v50, v48, v95
	v_add_f64 v[48:49], v[22:23], v[46:47]
	v_add_f64 v[50:51], v[20:21], v[44:45]
	s_delay_alu instid0(VALU_DEP_2) | instskip(NEXT) | instid1(VALU_DEP_2)
	v_cvt_f32_f64_e32 v48, v[48:49]
	v_cvt_f32_f64_e32 v50, v[50:51]
	s_delay_alu instid0(VALU_DEP_1) | instskip(SKIP_2) | instid1(VALU_DEP_2)
	v_min3_f32 v94, v50, v48, v94
	v_add_f64 v[48:49], v[14:15], v[46:47]
	v_add_f64 v[50:51], v[12:13], v[44:45]
	v_cvt_f32_f64_e32 v48, v[48:49]
	s_delay_alu instid0(VALU_DEP_2) | instskip(NEXT) | instid1(VALU_DEP_1)
	v_cvt_f32_f64_e32 v50, v[50:51]
	v_min3_f32 v93, v50, v48, v93
	v_add_f64 v[48:49], v[10:11], v[46:47]
	v_add_f64 v[50:51], v[8:9], v[44:45]
	s_delay_alu instid0(VALU_DEP_2) | instskip(NEXT) | instid1(VALU_DEP_2)
	v_cvt_f32_f64_e32 v48, v[48:49]
	v_cvt_f32_f64_e32 v50, v[50:51]
	s_delay_alu instid0(VALU_DEP_1) | instskip(SKIP_4) | instid1(VALU_DEP_4)
	v_min3_f32 v92, v50, v48, v92
	v_add_f64 v[48:49], v[6:7], v[46:47]
	v_add_f64 v[50:51], v[4:5], v[44:45]
	;; [unrolled: 1-line block ×4, first 2 shown]
	v_cvt_f32_f64_e32 v48, v[48:49]
	s_delay_alu instid0(VALU_DEP_4) | instskip(NEXT) | instid1(VALU_DEP_3)
	v_cvt_f32_f64_e32 v50, v[50:51]
	v_cvt_f32_f64_e32 v44, v[44:45]
	;; [unrolled: 1-line block ×3, first 2 shown]
	s_waitcnt lgkmcnt(2)
	v_add_f64 v[46:47], v[32:33], v[40:41]
	s_delay_alu instid0(VALU_DEP_4) | instskip(NEXT) | instid1(VALU_DEP_3)
	v_min3_f32 v91, v50, v48, v91
	v_min3_f32 v90, v44, v45, v90
	v_add_f64 v[44:45], v[34:35], v[42:43]
	s_delay_alu instid0(VALU_DEP_4) | instskip(NEXT) | instid1(VALU_DEP_2)
	v_cvt_f32_f64_e32 v46, v[46:47]
	v_cvt_f32_f64_e32 v44, v[44:45]
	s_delay_alu instid0(VALU_DEP_1) | instskip(SKIP_2) | instid1(VALU_DEP_2)
	v_min3_f32 v89, v46, v44, v89
	v_add_f64 v[44:45], v[30:31], v[42:43]
	v_add_f64 v[46:47], v[28:29], v[40:41]
	v_cvt_f32_f64_e32 v44, v[44:45]
	s_delay_alu instid0(VALU_DEP_2) | instskip(NEXT) | instid1(VALU_DEP_1)
	v_cvt_f32_f64_e32 v46, v[46:47]
	v_min3_f32 v88, v46, v44, v88
	v_add_f64 v[44:45], v[26:27], v[42:43]
	v_add_f64 v[46:47], v[24:25], v[40:41]
	s_delay_alu instid0(VALU_DEP_2) | instskip(NEXT) | instid1(VALU_DEP_2)
	v_cvt_f32_f64_e32 v44, v[44:45]
	v_cvt_f32_f64_e32 v46, v[46:47]
	s_delay_alu instid0(VALU_DEP_1) | instskip(SKIP_2) | instid1(VALU_DEP_2)
	v_min3_f32 v87, v46, v44, v87
	v_add_f64 v[44:45], v[22:23], v[42:43]
	v_add_f64 v[46:47], v[20:21], v[40:41]
	v_cvt_f32_f64_e32 v44, v[44:45]
	s_delay_alu instid0(VALU_DEP_2) | instskip(NEXT) | instid1(VALU_DEP_1)
	v_cvt_f32_f64_e32 v46, v[46:47]
	v_min3_f32 v86, v46, v44, v86
	v_add_f64 v[44:45], v[14:15], v[42:43]
	v_add_f64 v[46:47], v[12:13], v[40:41]
	s_delay_alu instid0(VALU_DEP_2) | instskip(NEXT) | instid1(VALU_DEP_2)
	v_cvt_f32_f64_e32 v44, v[44:45]
	v_cvt_f32_f64_e32 v46, v[46:47]
	s_delay_alu instid0(VALU_DEP_1) | instskip(SKIP_2) | instid1(VALU_DEP_2)
	v_min3_f32 v85, v46, v44, v85
	v_add_f64 v[44:45], v[10:11], v[42:43]
	v_add_f64 v[46:47], v[8:9], v[40:41]
	v_cvt_f32_f64_e32 v44, v[44:45]
	s_delay_alu instid0(VALU_DEP_2) | instskip(NEXT) | instid1(VALU_DEP_1)
	v_cvt_f32_f64_e32 v46, v[46:47]
	v_min3_f32 v84, v46, v44, v84
	v_add_f64 v[44:45], v[6:7], v[42:43]
	v_add_f64 v[46:47], v[4:5], v[40:41]
	;; [unrolled: 1-line block ×4, first 2 shown]
	s_delay_alu instid0(VALU_DEP_4) | instskip(NEXT) | instid1(VALU_DEP_4)
	v_cvt_f32_f64_e32 v44, v[44:45]
	v_cvt_f32_f64_e32 v46, v[46:47]
	s_delay_alu instid0(VALU_DEP_3)
	v_cvt_f32_f64_e32 v40, v[40:41]
	v_cvt_f32_f64_e32 v41, v[42:43]
	s_waitcnt lgkmcnt(1)
	v_add_f64 v[42:43], v[32:33], v[36:37]
	s_waitcnt lgkmcnt(0)
	v_add_f64 v[32:33], v[32:33], v[16:17]
	v_min3_f32 v83, v46, v44, v83
	s_delay_alu instid0(VALU_DEP_4) | instskip(SKIP_4) | instid1(VALU_DEP_4)
	v_min3_f32 v82, v40, v41, v82
	v_add_f64 v[40:41], v[34:35], v[38:39]
	v_cvt_f32_f64_e32 v42, v[42:43]
	v_add_f64 v[34:35], v[34:35], v[18:19]
	v_cvt_f32_f64_e32 v32, v[32:33]
	v_cvt_f32_f64_e32 v40, v[40:41]
	s_delay_alu instid0(VALU_DEP_3) | instskip(NEXT) | instid1(VALU_DEP_2)
	v_cvt_f32_f64_e32 v33, v[34:35]
	v_min3_f32 v81, v42, v40, v81
	v_add_f64 v[40:41], v[30:31], v[38:39]
	v_add_f64 v[42:43], v[28:29], v[36:37]
	v_add_f64 v[30:31], v[30:31], v[18:19]
	v_add_f64 v[28:29], v[28:29], v[16:17]
	v_min3_f32 v73, v32, v33, v73
	v_cvt_f32_f64_e32 v40, v[40:41]
	v_cvt_f32_f64_e32 v42, v[42:43]
	s_delay_alu instid0(VALU_DEP_4) | instskip(SKIP_1) | instid1(VALU_DEP_3)
	v_cvt_f32_f64_e32 v28, v[28:29]
	v_cvt_f32_f64_e32 v29, v[30:31]
	v_min3_f32 v80, v42, v40, v80
	v_add_f64 v[40:41], v[26:27], v[38:39]
	v_add_f64 v[42:43], v[24:25], v[36:37]
	v_add_f64 v[26:27], v[26:27], v[18:19]
	v_add_f64 v[24:25], v[24:25], v[16:17]
	v_min3_f32 v72, v28, v29, v72
	v_cvt_f32_f64_e32 v40, v[40:41]
	v_cvt_f32_f64_e32 v42, v[42:43]
	s_delay_alu instid0(VALU_DEP_4) | instskip(SKIP_1) | instid1(VALU_DEP_3)
	v_cvt_f32_f64_e32 v24, v[24:25]
	;; [unrolled: 11-line block ×5, first 2 shown]
	v_cvt_f32_f64_e32 v9, v[10:11]
	v_min3_f32 v76, v42, v40, v76
	v_add_f64 v[40:41], v[6:7], v[38:39]
	v_add_f64 v[42:43], v[4:5], v[36:37]
	;; [unrolled: 1-line block ×8, first 2 shown]
	v_min3_f32 v68, v8, v9, v68
	v_cvt_f32_f64_e32 v40, v[40:41]
	v_cvt_f32_f64_e32 v42, v[42:43]
	;; [unrolled: 1-line block ×8, first 2 shown]
	v_min3_f32 v75, v42, v40, v75
	v_min3_f32 v74, v36, v37, v74
	;; [unrolled: 1-line block ×3, first 2 shown]
	s_delay_alu instid0(VALU_DEP_4)
	v_min3_f32 v66, v0, v1, v66
	s_cbranch_vccz .LBB160_55
; %bb.56:                               ;   in Loop: Header=BB160_32 Depth=1
	s_add_i32 s27, s27, 8
	s_add_i32 s7, s7, 8
	s_cmp_ge_i32 s27, s26
	s_waitcnt vmcnt(0)
	ds_store_2addr_stride64_b64 v136, v[56:57], v[58:59] offset1:4
	ds_store_2addr_stride64_b64 v136, v[60:61], v[62:63] offset0:8 offset1:12
	ds_store_b64 v137, v[64:65]
	s_waitcnt lgkmcnt(0)
	s_barrier
	buffer_gl0_inv
	s_cbranch_scc0 .LBB160_32
.LBB160_57:
	s_mov_b32 s3, 0
	s_mov_b32 s2, -1
.LBB160_58:                             ; =>This Inner Loop Header: Depth=1
	s_lshl_b32 s3, s3, 3
	s_and_not1_b32 vcc_lo, exec_lo, s2
	v_lshl_add_u32 v0, v122, 5, s3
	v_lshl_add_u32 v16, v123, 5, s3
	s_mov_b32 s3, 2
	s_mov_b32 s2, 0
	ds_load_b128 v[32:35], v0 offset:8192
	ds_load_b128 v[28:31], v0 offset:9216
	;; [unrolled: 1-line block ×16, first 2 shown]
	s_waitcnt lgkmcnt(7)
	v_add_f64 v[64:65], v[34:35], v[54:55]
	v_add_f64 v[132:133], v[32:33], v[52:53]
	s_delay_alu instid0(VALU_DEP_2) | instskip(NEXT) | instid1(VALU_DEP_2)
	v_cvt_f32_f64_e32 v64, v[64:65]
	v_cvt_f32_f64_e32 v132, v[132:133]
	s_delay_alu instid0(VALU_DEP_1) | instskip(SKIP_2) | instid1(VALU_DEP_2)
	v_min3_f32 v131, v132, v64, v131
	v_add_f64 v[64:65], v[30:31], v[54:55]
	v_add_f64 v[132:133], v[28:29], v[52:53]
	v_cvt_f32_f64_e32 v64, v[64:65]
	s_delay_alu instid0(VALU_DEP_2) | instskip(NEXT) | instid1(VALU_DEP_1)
	v_cvt_f32_f64_e32 v132, v[132:133]
	v_min3_f32 v130, v132, v64, v130
	v_add_f64 v[64:65], v[26:27], v[54:55]
	v_add_f64 v[132:133], v[24:25], v[52:53]
	s_delay_alu instid0(VALU_DEP_2) | instskip(NEXT) | instid1(VALU_DEP_2)
	v_cvt_f32_f64_e32 v64, v[64:65]
	v_cvt_f32_f64_e32 v132, v[132:133]
	s_delay_alu instid0(VALU_DEP_1) | instskip(SKIP_2) | instid1(VALU_DEP_2)
	v_min3_f32 v129, v132, v64, v129
	v_add_f64 v[64:65], v[22:23], v[54:55]
	v_add_f64 v[132:133], v[20:21], v[52:53]
	v_cvt_f32_f64_e32 v64, v[64:65]
	s_delay_alu instid0(VALU_DEP_2) | instskip(NEXT) | instid1(VALU_DEP_1)
	v_cvt_f32_f64_e32 v132, v[132:133]
	v_min3_f32 v128, v132, v64, v128
	;; [unrolled: 13-line block ×3, first 2 shown]
	v_add_f64 v[64:65], v[6:7], v[54:55]
	v_add_f64 v[132:133], v[4:5], v[52:53]
	;; [unrolled: 1-line block ×4, first 2 shown]
	s_delay_alu instid0(VALU_DEP_4) | instskip(NEXT) | instid1(VALU_DEP_4)
	v_cvt_f32_f64_e32 v64, v[64:65]
	v_cvt_f32_f64_e32 v132, v[132:133]
	s_delay_alu instid0(VALU_DEP_3) | instskip(SKIP_3) | instid1(VALU_DEP_4)
	v_cvt_f32_f64_e32 v52, v[52:53]
	v_cvt_f32_f64_e32 v53, v[54:55]
	s_waitcnt lgkmcnt(6)
	v_add_f64 v[54:55], v[32:33], v[56:57]
	v_min3_f32 v125, v132, v64, v125
	s_delay_alu instid0(VALU_DEP_3) | instskip(SKIP_1) | instid1(VALU_DEP_4)
	v_min3_f32 v124, v52, v53, v124
	v_add_f64 v[52:53], v[34:35], v[58:59]
	v_cvt_f32_f64_e32 v54, v[54:55]
	s_delay_alu instid0(VALU_DEP_2) | instskip(NEXT) | instid1(VALU_DEP_1)
	v_cvt_f32_f64_e32 v52, v[52:53]
	v_min3_f32 v121, v54, v52, v121
	v_add_f64 v[52:53], v[30:31], v[58:59]
	v_add_f64 v[54:55], v[28:29], v[56:57]
	s_delay_alu instid0(VALU_DEP_2) | instskip(NEXT) | instid1(VALU_DEP_2)
	v_cvt_f32_f64_e32 v52, v[52:53]
	v_cvt_f32_f64_e32 v54, v[54:55]
	s_delay_alu instid0(VALU_DEP_1) | instskip(SKIP_2) | instid1(VALU_DEP_2)
	v_min3_f32 v120, v54, v52, v120
	v_add_f64 v[52:53], v[26:27], v[58:59]
	v_add_f64 v[54:55], v[24:25], v[56:57]
	v_cvt_f32_f64_e32 v52, v[52:53]
	s_delay_alu instid0(VALU_DEP_2) | instskip(NEXT) | instid1(VALU_DEP_1)
	v_cvt_f32_f64_e32 v54, v[54:55]
	v_min3_f32 v119, v54, v52, v119
	v_add_f64 v[52:53], v[22:23], v[58:59]
	v_add_f64 v[54:55], v[20:21], v[56:57]
	s_delay_alu instid0(VALU_DEP_2) | instskip(NEXT) | instid1(VALU_DEP_2)
	v_cvt_f32_f64_e32 v52, v[52:53]
	v_cvt_f32_f64_e32 v54, v[54:55]
	s_delay_alu instid0(VALU_DEP_1) | instskip(SKIP_2) | instid1(VALU_DEP_2)
	v_min3_f32 v118, v54, v52, v118
	v_add_f64 v[52:53], v[14:15], v[58:59]
	;; [unrolled: 13-line block ×3, first 2 shown]
	v_add_f64 v[54:55], v[4:5], v[56:57]
	v_cvt_f32_f64_e32 v52, v[52:53]
	s_delay_alu instid0(VALU_DEP_2) | instskip(NEXT) | instid1(VALU_DEP_1)
	v_cvt_f32_f64_e32 v54, v[54:55]
	v_min3_f32 v115, v54, v52, v115
	v_add_f64 v[52:53], v[2:3], v[58:59]
	v_add_f64 v[54:55], v[0:1], v[56:57]
	s_delay_alu instid0(VALU_DEP_2) | instskip(NEXT) | instid1(VALU_DEP_2)
	v_cvt_f32_f64_e32 v52, v[52:53]
	v_cvt_f32_f64_e32 v54, v[54:55]
	s_delay_alu instid0(VALU_DEP_1) | instskip(SKIP_3) | instid1(VALU_DEP_2)
	v_min3_f32 v114, v54, v52, v114
	s_waitcnt lgkmcnt(5)
	v_add_f64 v[52:53], v[34:35], v[62:63]
	v_add_f64 v[54:55], v[32:33], v[60:61]
	v_cvt_f32_f64_e32 v52, v[52:53]
	s_delay_alu instid0(VALU_DEP_2) | instskip(NEXT) | instid1(VALU_DEP_1)
	v_cvt_f32_f64_e32 v54, v[54:55]
	v_min3_f32 v113, v54, v52, v113
	v_add_f64 v[52:53], v[30:31], v[62:63]
	v_add_f64 v[54:55], v[28:29], v[60:61]
	s_delay_alu instid0(VALU_DEP_2) | instskip(NEXT) | instid1(VALU_DEP_2)
	v_cvt_f32_f64_e32 v52, v[52:53]
	v_cvt_f32_f64_e32 v54, v[54:55]
	s_delay_alu instid0(VALU_DEP_1) | instskip(SKIP_2) | instid1(VALU_DEP_2)
	v_min3_f32 v112, v54, v52, v112
	v_add_f64 v[52:53], v[26:27], v[62:63]
	v_add_f64 v[54:55], v[24:25], v[60:61]
	v_cvt_f32_f64_e32 v52, v[52:53]
	s_delay_alu instid0(VALU_DEP_2) | instskip(NEXT) | instid1(VALU_DEP_1)
	v_cvt_f32_f64_e32 v54, v[54:55]
	v_min3_f32 v111, v54, v52, v111
	v_add_f64 v[52:53], v[22:23], v[62:63]
	v_add_f64 v[54:55], v[20:21], v[60:61]
	s_delay_alu instid0(VALU_DEP_2) | instskip(NEXT) | instid1(VALU_DEP_2)
	v_cvt_f32_f64_e32 v52, v[52:53]
	v_cvt_f32_f64_e32 v54, v[54:55]
	s_delay_alu instid0(VALU_DEP_1) | instskip(SKIP_2) | instid1(VALU_DEP_2)
	v_min3_f32 v110, v54, v52, v110
	;; [unrolled: 13-line block ×3, first 2 shown]
	v_add_f64 v[52:53], v[6:7], v[62:63]
	v_add_f64 v[54:55], v[4:5], v[60:61]
	v_cvt_f32_f64_e32 v52, v[52:53]
	s_delay_alu instid0(VALU_DEP_2) | instskip(NEXT) | instid1(VALU_DEP_1)
	v_cvt_f32_f64_e32 v54, v[54:55]
	v_min3_f32 v107, v54, v52, v107
	v_add_f64 v[52:53], v[2:3], v[62:63]
	v_add_f64 v[54:55], v[0:1], v[60:61]
	s_delay_alu instid0(VALU_DEP_2) | instskip(NEXT) | instid1(VALU_DEP_2)
	v_cvt_f32_f64_e32 v52, v[52:53]
	v_cvt_f32_f64_e32 v54, v[54:55]
	s_delay_alu instid0(VALU_DEP_1) | instskip(SKIP_3) | instid1(VALU_DEP_2)
	v_min3_f32 v106, v54, v52, v106
	s_waitcnt lgkmcnt(4)
	v_add_f64 v[52:53], v[34:35], v[50:51]
	v_add_f64 v[54:55], v[32:33], v[48:49]
	v_cvt_f32_f64_e32 v52, v[52:53]
	s_delay_alu instid0(VALU_DEP_2) | instskip(NEXT) | instid1(VALU_DEP_1)
	v_cvt_f32_f64_e32 v54, v[54:55]
	v_min3_f32 v105, v54, v52, v105
	v_add_f64 v[52:53], v[30:31], v[50:51]
	v_add_f64 v[54:55], v[28:29], v[48:49]
	s_delay_alu instid0(VALU_DEP_2) | instskip(NEXT) | instid1(VALU_DEP_2)
	v_cvt_f32_f64_e32 v52, v[52:53]
	v_cvt_f32_f64_e32 v54, v[54:55]
	s_delay_alu instid0(VALU_DEP_1) | instskip(SKIP_2) | instid1(VALU_DEP_2)
	v_min3_f32 v104, v54, v52, v104
	v_add_f64 v[52:53], v[26:27], v[50:51]
	v_add_f64 v[54:55], v[24:25], v[48:49]
	v_cvt_f32_f64_e32 v52, v[52:53]
	s_delay_alu instid0(VALU_DEP_2) | instskip(NEXT) | instid1(VALU_DEP_1)
	v_cvt_f32_f64_e32 v54, v[54:55]
	v_min3_f32 v103, v54, v52, v103
	v_add_f64 v[52:53], v[22:23], v[50:51]
	v_add_f64 v[54:55], v[20:21], v[48:49]
	s_delay_alu instid0(VALU_DEP_2) | instskip(NEXT) | instid1(VALU_DEP_2)
	v_cvt_f32_f64_e32 v52, v[52:53]
	v_cvt_f32_f64_e32 v54, v[54:55]
	s_delay_alu instid0(VALU_DEP_1) | instskip(SKIP_2) | instid1(VALU_DEP_2)
	v_min3_f32 v102, v54, v52, v102
	v_add_f64 v[52:53], v[14:15], v[50:51]
	v_add_f64 v[54:55], v[12:13], v[48:49]
	v_cvt_f32_f64_e32 v52, v[52:53]
	s_delay_alu instid0(VALU_DEP_2) | instskip(NEXT) | instid1(VALU_DEP_1)
	v_cvt_f32_f64_e32 v54, v[54:55]
	v_min3_f32 v101, v54, v52, v101
	v_add_f64 v[52:53], v[10:11], v[50:51]
	v_add_f64 v[54:55], v[8:9], v[48:49]
	s_delay_alu instid0(VALU_DEP_2) | instskip(NEXT) | instid1(VALU_DEP_2)
	v_cvt_f32_f64_e32 v52, v[52:53]
	v_cvt_f32_f64_e32 v54, v[54:55]
	s_delay_alu instid0(VALU_DEP_1) | instskip(SKIP_4) | instid1(VALU_DEP_4)
	v_min3_f32 v100, v54, v52, v100
	v_add_f64 v[52:53], v[6:7], v[50:51]
	v_add_f64 v[54:55], v[4:5], v[48:49]
	;; [unrolled: 1-line block ×4, first 2 shown]
	v_cvt_f32_f64_e32 v52, v[52:53]
	s_delay_alu instid0(VALU_DEP_4) | instskip(NEXT) | instid1(VALU_DEP_3)
	v_cvt_f32_f64_e32 v54, v[54:55]
	v_cvt_f32_f64_e32 v48, v[48:49]
	;; [unrolled: 1-line block ×3, first 2 shown]
	s_waitcnt lgkmcnt(3)
	v_add_f64 v[50:51], v[32:33], v[44:45]
	s_delay_alu instid0(VALU_DEP_4) | instskip(NEXT) | instid1(VALU_DEP_3)
	v_min3_f32 v99, v54, v52, v99
	v_min3_f32 v98, v48, v49, v98
	v_add_f64 v[48:49], v[34:35], v[46:47]
	s_delay_alu instid0(VALU_DEP_4) | instskip(NEXT) | instid1(VALU_DEP_2)
	v_cvt_f32_f64_e32 v50, v[50:51]
	v_cvt_f32_f64_e32 v48, v[48:49]
	s_delay_alu instid0(VALU_DEP_1) | instskip(SKIP_2) | instid1(VALU_DEP_2)
	v_min3_f32 v97, v50, v48, v97
	v_add_f64 v[48:49], v[30:31], v[46:47]
	v_add_f64 v[50:51], v[28:29], v[44:45]
	v_cvt_f32_f64_e32 v48, v[48:49]
	s_delay_alu instid0(VALU_DEP_2) | instskip(NEXT) | instid1(VALU_DEP_1)
	v_cvt_f32_f64_e32 v50, v[50:51]
	v_min3_f32 v96, v50, v48, v96
	v_add_f64 v[48:49], v[26:27], v[46:47]
	v_add_f64 v[50:51], v[24:25], v[44:45]
	s_delay_alu instid0(VALU_DEP_2) | instskip(NEXT) | instid1(VALU_DEP_2)
	v_cvt_f32_f64_e32 v48, v[48:49]
	v_cvt_f32_f64_e32 v50, v[50:51]
	s_delay_alu instid0(VALU_DEP_1) | instskip(SKIP_2) | instid1(VALU_DEP_2)
	v_min3_f32 v95, v50, v48, v95
	v_add_f64 v[48:49], v[22:23], v[46:47]
	v_add_f64 v[50:51], v[20:21], v[44:45]
	v_cvt_f32_f64_e32 v48, v[48:49]
	s_delay_alu instid0(VALU_DEP_2) | instskip(NEXT) | instid1(VALU_DEP_1)
	v_cvt_f32_f64_e32 v50, v[50:51]
	v_min3_f32 v94, v50, v48, v94
	v_add_f64 v[48:49], v[14:15], v[46:47]
	v_add_f64 v[50:51], v[12:13], v[44:45]
	s_delay_alu instid0(VALU_DEP_2) | instskip(NEXT) | instid1(VALU_DEP_2)
	v_cvt_f32_f64_e32 v48, v[48:49]
	v_cvt_f32_f64_e32 v50, v[50:51]
	s_delay_alu instid0(VALU_DEP_1) | instskip(SKIP_2) | instid1(VALU_DEP_2)
	v_min3_f32 v93, v50, v48, v93
	v_add_f64 v[48:49], v[10:11], v[46:47]
	v_add_f64 v[50:51], v[8:9], v[44:45]
	v_cvt_f32_f64_e32 v48, v[48:49]
	s_delay_alu instid0(VALU_DEP_2) | instskip(NEXT) | instid1(VALU_DEP_1)
	v_cvt_f32_f64_e32 v50, v[50:51]
	v_min3_f32 v92, v50, v48, v92
	v_add_f64 v[48:49], v[6:7], v[46:47]
	v_add_f64 v[50:51], v[4:5], v[44:45]
	;; [unrolled: 1-line block ×4, first 2 shown]
	s_delay_alu instid0(VALU_DEP_4) | instskip(NEXT) | instid1(VALU_DEP_4)
	v_cvt_f32_f64_e32 v48, v[48:49]
	v_cvt_f32_f64_e32 v50, v[50:51]
	s_delay_alu instid0(VALU_DEP_3) | instskip(SKIP_3) | instid1(VALU_DEP_4)
	v_cvt_f32_f64_e32 v44, v[44:45]
	v_cvt_f32_f64_e32 v45, v[46:47]
	s_waitcnt lgkmcnt(2)
	v_add_f64 v[46:47], v[32:33], v[40:41]
	v_min3_f32 v91, v50, v48, v91
	s_delay_alu instid0(VALU_DEP_3) | instskip(SKIP_1) | instid1(VALU_DEP_4)
	v_min3_f32 v90, v44, v45, v90
	v_add_f64 v[44:45], v[34:35], v[42:43]
	v_cvt_f32_f64_e32 v46, v[46:47]
	s_delay_alu instid0(VALU_DEP_2) | instskip(NEXT) | instid1(VALU_DEP_1)
	v_cvt_f32_f64_e32 v44, v[44:45]
	v_min3_f32 v89, v46, v44, v89
	v_add_f64 v[44:45], v[30:31], v[42:43]
	v_add_f64 v[46:47], v[28:29], v[40:41]
	s_delay_alu instid0(VALU_DEP_2) | instskip(NEXT) | instid1(VALU_DEP_2)
	v_cvt_f32_f64_e32 v44, v[44:45]
	v_cvt_f32_f64_e32 v46, v[46:47]
	s_delay_alu instid0(VALU_DEP_1) | instskip(SKIP_2) | instid1(VALU_DEP_2)
	v_min3_f32 v88, v46, v44, v88
	v_add_f64 v[44:45], v[26:27], v[42:43]
	v_add_f64 v[46:47], v[24:25], v[40:41]
	v_cvt_f32_f64_e32 v44, v[44:45]
	s_delay_alu instid0(VALU_DEP_2) | instskip(NEXT) | instid1(VALU_DEP_1)
	v_cvt_f32_f64_e32 v46, v[46:47]
	v_min3_f32 v87, v46, v44, v87
	v_add_f64 v[44:45], v[22:23], v[42:43]
	v_add_f64 v[46:47], v[20:21], v[40:41]
	s_delay_alu instid0(VALU_DEP_2) | instskip(NEXT) | instid1(VALU_DEP_2)
	v_cvt_f32_f64_e32 v44, v[44:45]
	v_cvt_f32_f64_e32 v46, v[46:47]
	s_delay_alu instid0(VALU_DEP_1) | instskip(SKIP_2) | instid1(VALU_DEP_2)
	v_min3_f32 v86, v46, v44, v86
	v_add_f64 v[44:45], v[14:15], v[42:43]
	v_add_f64 v[46:47], v[12:13], v[40:41]
	v_cvt_f32_f64_e32 v44, v[44:45]
	s_delay_alu instid0(VALU_DEP_2) | instskip(NEXT) | instid1(VALU_DEP_1)
	v_cvt_f32_f64_e32 v46, v[46:47]
	v_min3_f32 v85, v46, v44, v85
	v_add_f64 v[44:45], v[10:11], v[42:43]
	v_add_f64 v[46:47], v[8:9], v[40:41]
	s_delay_alu instid0(VALU_DEP_2) | instskip(NEXT) | instid1(VALU_DEP_2)
	v_cvt_f32_f64_e32 v44, v[44:45]
	v_cvt_f32_f64_e32 v46, v[46:47]
	s_delay_alu instid0(VALU_DEP_1) | instskip(SKIP_4) | instid1(VALU_DEP_4)
	v_min3_f32 v84, v46, v44, v84
	v_add_f64 v[44:45], v[6:7], v[42:43]
	v_add_f64 v[46:47], v[4:5], v[40:41]
	v_add_f64 v[42:43], v[2:3], v[42:43]
	v_add_f64 v[40:41], v[0:1], v[40:41]
	v_cvt_f32_f64_e32 v44, v[44:45]
	s_delay_alu instid0(VALU_DEP_4) | instskip(NEXT) | instid1(VALU_DEP_3)
	v_cvt_f32_f64_e32 v46, v[46:47]
	v_cvt_f32_f64_e32 v40, v[40:41]
	;; [unrolled: 1-line block ×3, first 2 shown]
	s_waitcnt lgkmcnt(1)
	v_add_f64 v[42:43], v[32:33], v[36:37]
	s_waitcnt lgkmcnt(0)
	v_add_f64 v[32:33], v[32:33], v[16:17]
	v_min3_f32 v83, v46, v44, v83
	s_delay_alu instid0(VALU_DEP_4) | instskip(SKIP_4) | instid1(VALU_DEP_4)
	v_min3_f32 v82, v40, v41, v82
	v_add_f64 v[40:41], v[34:35], v[38:39]
	v_cvt_f32_f64_e32 v42, v[42:43]
	v_add_f64 v[34:35], v[34:35], v[18:19]
	v_cvt_f32_f64_e32 v32, v[32:33]
	v_cvt_f32_f64_e32 v40, v[40:41]
	s_delay_alu instid0(VALU_DEP_3) | instskip(NEXT) | instid1(VALU_DEP_2)
	v_cvt_f32_f64_e32 v33, v[34:35]
	v_min3_f32 v81, v42, v40, v81
	v_add_f64 v[40:41], v[30:31], v[38:39]
	v_add_f64 v[42:43], v[28:29], v[36:37]
	v_add_f64 v[30:31], v[30:31], v[18:19]
	v_add_f64 v[28:29], v[28:29], v[16:17]
	v_min3_f32 v73, v32, v33, v73
	v_cvt_f32_f64_e32 v40, v[40:41]
	v_cvt_f32_f64_e32 v42, v[42:43]
	s_delay_alu instid0(VALU_DEP_4) | instskip(SKIP_1) | instid1(VALU_DEP_3)
	v_cvt_f32_f64_e32 v28, v[28:29]
	v_cvt_f32_f64_e32 v29, v[30:31]
	v_min3_f32 v80, v42, v40, v80
	v_add_f64 v[40:41], v[26:27], v[38:39]
	v_add_f64 v[42:43], v[24:25], v[36:37]
	v_add_f64 v[26:27], v[26:27], v[18:19]
	v_add_f64 v[24:25], v[24:25], v[16:17]
	v_min3_f32 v72, v28, v29, v72
	v_cvt_f32_f64_e32 v40, v[40:41]
	v_cvt_f32_f64_e32 v42, v[42:43]
	s_delay_alu instid0(VALU_DEP_4) | instskip(SKIP_1) | instid1(VALU_DEP_3)
	v_cvt_f32_f64_e32 v24, v[24:25]
	;; [unrolled: 11-line block ×5, first 2 shown]
	v_cvt_f32_f64_e32 v9, v[10:11]
	v_min3_f32 v76, v42, v40, v76
	v_add_f64 v[40:41], v[6:7], v[38:39]
	v_add_f64 v[42:43], v[4:5], v[36:37]
	;; [unrolled: 1-line block ×8, first 2 shown]
	v_min3_f32 v68, v8, v9, v68
	v_cvt_f32_f64_e32 v40, v[40:41]
	v_cvt_f32_f64_e32 v42, v[42:43]
	v_cvt_f32_f64_e32 v36, v[36:37]
	v_cvt_f32_f64_e32 v37, v[38:39]
	v_cvt_f32_f64_e32 v4, v[4:5]
	v_cvt_f32_f64_e32 v5, v[6:7]
	v_cvt_f32_f64_e32 v0, v[0:1]
	v_cvt_f32_f64_e32 v1, v[2:3]
	v_min3_f32 v75, v42, v40, v75
	v_min3_f32 v74, v36, v37, v74
	;; [unrolled: 1-line block ×3, first 2 shown]
	s_delay_alu instid0(VALU_DEP_4)
	v_min3_f32 v66, v0, v1, v66
	s_cbranch_vccz .LBB160_58
; %bb.59:
	s_clause 0x2
	s_load_b64 s[2:3], s[0:1], 0x78
	s_load_b32 s18, s[0:1], 0x58
	s_load_b32 s9, s[0:1], 0x70
	v_add_nc_u32_e32 v19, s19, v123
	v_add_nc_u32_e32 v0, s14, v122
	v_cndmask_b32_e64 v18, 0, 1, s29
	s_delay_alu instid0(VALU_DEP_3) | instskip(NEXT) | instid1(VALU_DEP_3)
	v_cmp_gt_i32_e64 s8, s17, v19
	v_cmp_gt_i32_e64 s0, s16, v0
	v_ashrrev_i32_e32 v1, 31, v0
	s_waitcnt lgkmcnt(0)
	s_mul_i32 s1, s15, s3
	v_mad_i64_i32 v[2:3], null, v19, s18, 0
	v_mad_i64_i32 v[4:5], null, v19, s9, 0
	s_mul_hi_u32 s3, s15, s2
	s_mul_i32 s4, s28, s2
	s_add_i32 s1, s3, s1
	s_mul_i32 s2, s15, s2
	s_delay_alu instid0(VALU_DEP_2) | instskip(SKIP_1) | instid1(VALU_DEP_2)
	v_lshlrev_b64 v[2:3], 3, v[2:3]
	s_add_i32 s3, s1, s4
	v_lshlrev_b64 v[4:5], 3, v[4:5]
	s_lshl_b64 s[2:3], s[2:3], 3
	s_delay_alu instid0(SALU_CYCLE_1) | instskip(NEXT) | instid1(VALU_DEP_2)
	s_add_u32 s14, s22, s2
	v_add_co_u32 v16, vcc_lo, s12, v2
	v_add_co_ci_u32_e32 v17, vcc_lo, s13, v3, vcc_lo
	s_addc_u32 s15, s23, s3
	v_add_co_u32 v20, vcc_lo, s14, v4
	v_add_co_ci_u32_e32 v21, vcc_lo, s15, v5, vcc_lo
	s_and_b32 s2, s0, s8
	s_delay_alu instid0(SALU_CYCLE_1)
	s_and_saveexec_b32 s1, s2
	s_cbranch_execz .LBB160_64
; %bb.60:
	s_and_not1_b32 vcc_lo, exec_lo, s29
	s_cbranch_vccnz .LBB160_62
; %bb.61:
	v_lshlrev_b64 v[2:3], 3, v[0:1]
	s_delay_alu instid0(VALU_DEP_1) | instskip(NEXT) | instid1(VALU_DEP_2)
	v_add_co_u32 v2, vcc_lo, v16, v2
	v_add_co_ci_u32_e32 v3, vcc_lo, v17, v3, vcc_lo
	flat_load_b64 v[2:3], v[2:3]
	s_waitcnt vmcnt(0) lgkmcnt(0)
	v_mul_f64 v[2:3], v[2:3], s[10:11]
	s_branch .LBB160_63
.LBB160_62:
	v_mov_b32_e32 v2, 0
	v_mov_b32_e32 v3, 0
.LBB160_63:
	s_delay_alu instid0(VALU_DEP_1) | instskip(SKIP_2) | instid1(VALU_DEP_1)
	v_cvt_f32_f64_e32 v2, v[2:3]
	v_max_f32_e32 v3, v131, v131
	v_lshlrev_b64 v[4:5], 3, v[0:1]
	v_add_co_u32 v4, vcc_lo, v20, v4
	s_delay_alu instid0(VALU_DEP_2) | instskip(NEXT) | instid1(VALU_DEP_4)
	v_add_co_ci_u32_e32 v5, vcc_lo, v21, v5, vcc_lo
	v_min_f32_e32 v2, v2, v3
	s_delay_alu instid0(VALU_DEP_1)
	v_cvt_f64_f32_e32 v[2:3], v2
	global_store_b64 v[4:5], v[2:3], off
.LBB160_64:
	s_or_b32 exec_lo, exec_lo, s1
	v_add_nc_u32_e32 v2, 32, v0
	s_delay_alu instid0(VALU_DEP_1) | instskip(SKIP_1) | instid1(VALU_DEP_2)
	v_cmp_gt_i32_e64 s1, s16, v2
	v_ashrrev_i32_e32 v3, 31, v2
	s_and_b32 s3, s1, s8
	s_delay_alu instid0(SALU_CYCLE_1)
	s_and_saveexec_b32 s2, s3
	s_cbranch_execz .LBB160_69
; %bb.65:
	v_cmp_ne_u32_e32 vcc_lo, 1, v18
	s_cbranch_vccnz .LBB160_67
; %bb.66:
	v_lshlrev_b64 v[4:5], 3, v[2:3]
	s_delay_alu instid0(VALU_DEP_1) | instskip(NEXT) | instid1(VALU_DEP_2)
	v_add_co_u32 v4, vcc_lo, v16, v4
	v_add_co_ci_u32_e32 v5, vcc_lo, v17, v5, vcc_lo
	flat_load_b64 v[4:5], v[4:5]
	s_waitcnt vmcnt(0) lgkmcnt(0)
	v_mul_f64 v[4:5], v[4:5], s[10:11]
	s_branch .LBB160_68
.LBB160_67:
	v_mov_b32_e32 v4, 0
	v_mov_b32_e32 v5, 0
.LBB160_68:
	s_delay_alu instid0(VALU_DEP_1) | instskip(SKIP_2) | instid1(VALU_DEP_1)
	v_cvt_f32_f64_e32 v4, v[4:5]
	v_max_f32_e32 v5, v130, v130
	v_lshlrev_b64 v[6:7], 3, v[2:3]
	v_add_co_u32 v6, vcc_lo, v20, v6
	s_delay_alu instid0(VALU_DEP_2) | instskip(NEXT) | instid1(VALU_DEP_4)
	v_add_co_ci_u32_e32 v7, vcc_lo, v21, v7, vcc_lo
	v_min_f32_e32 v4, v4, v5
	s_delay_alu instid0(VALU_DEP_1)
	v_cvt_f64_f32_e32 v[4:5], v4
	global_store_b64 v[6:7], v[4:5], off
.LBB160_69:
	s_or_b32 exec_lo, exec_lo, s2
	v_add_nc_u32_e32 v4, 64, v0
	s_delay_alu instid0(VALU_DEP_1) | instskip(SKIP_1) | instid1(VALU_DEP_2)
	v_cmp_gt_i32_e64 s2, s16, v4
	v_ashrrev_i32_e32 v5, 31, v4
	s_and_b32 s4, s2, s8
	s_delay_alu instid0(SALU_CYCLE_1)
	s_and_saveexec_b32 s3, s4
	s_cbranch_execz .LBB160_74
; %bb.70:
	v_cmp_ne_u32_e32 vcc_lo, 1, v18
	s_cbranch_vccnz .LBB160_72
; %bb.71:
	v_lshlrev_b64 v[6:7], 3, v[4:5]
	s_delay_alu instid0(VALU_DEP_1) | instskip(NEXT) | instid1(VALU_DEP_2)
	v_add_co_u32 v6, vcc_lo, v16, v6
	v_add_co_ci_u32_e32 v7, vcc_lo, v17, v7, vcc_lo
	flat_load_b64 v[6:7], v[6:7]
	s_waitcnt vmcnt(0) lgkmcnt(0)
	v_mul_f64 v[6:7], v[6:7], s[10:11]
	s_branch .LBB160_73
.LBB160_72:
	v_mov_b32_e32 v6, 0
	v_mov_b32_e32 v7, 0
.LBB160_73:
	s_delay_alu instid0(VALU_DEP_1) | instskip(SKIP_2) | instid1(VALU_DEP_1)
	v_cvt_f32_f64_e32 v6, v[6:7]
	v_max_f32_e32 v7, v129, v129
	v_lshlrev_b64 v[8:9], 3, v[4:5]
	v_add_co_u32 v8, vcc_lo, v20, v8
	s_delay_alu instid0(VALU_DEP_2) | instskip(NEXT) | instid1(VALU_DEP_4)
	v_add_co_ci_u32_e32 v9, vcc_lo, v21, v9, vcc_lo
	v_min_f32_e32 v6, v6, v7
	s_delay_alu instid0(VALU_DEP_1)
	v_cvt_f64_f32_e32 v[6:7], v6
	global_store_b64 v[8:9], v[6:7], off
.LBB160_74:
	;; [unrolled: 37-line block ×7, first 2 shown]
	s_or_b32 exec_lo, exec_lo, s8
	v_add_nc_u32_e32 v22, 8, v19
	s_delay_alu instid0(VALU_DEP_1) | instskip(SKIP_2) | instid1(VALU_DEP_3)
	v_mad_i64_i32 v[16:17], null, v22, s18, 0
	v_mad_i64_i32 v[20:21], null, v22, s9, 0
	v_cmp_gt_i32_e64 s8, s17, v22
	v_lshlrev_b64 v[16:17], 3, v[16:17]
	s_delay_alu instid0(VALU_DEP_2) | instskip(NEXT) | instid1(VALU_DEP_3)
	s_and_b32 s19, s0, s8
	v_lshlrev_b64 v[20:21], 3, v[20:21]
	s_delay_alu instid0(VALU_DEP_2) | instskip(NEXT) | instid1(VALU_DEP_3)
	v_add_co_u32 v22, vcc_lo, s12, v16
	v_add_co_ci_u32_e32 v23, vcc_lo, s13, v17, vcc_lo
	s_delay_alu instid0(VALU_DEP_3) | instskip(NEXT) | instid1(VALU_DEP_4)
	v_add_co_u32 v20, vcc_lo, s14, v20
	v_add_co_ci_u32_e32 v21, vcc_lo, s15, v21, vcc_lo
	s_and_saveexec_b32 s16, s19
	s_cbranch_execnz .LBB160_107
; %bb.100:
	s_or_b32 exec_lo, exec_lo, s16
	s_and_b32 s19, s1, s8
	s_delay_alu instid0(SALU_CYCLE_1)
	s_and_saveexec_b32 s16, s19
	s_cbranch_execnz .LBB160_111
.LBB160_101:
	s_or_b32 exec_lo, exec_lo, s16
	s_and_b32 s19, s2, s8
	s_delay_alu instid0(SALU_CYCLE_1)
	s_and_saveexec_b32 s16, s19
	s_cbranch_execnz .LBB160_115
.LBB160_102:
	s_or_b32 exec_lo, exec_lo, s16
	s_and_b32 s19, s3, s8
	s_delay_alu instid0(SALU_CYCLE_1)
	s_and_saveexec_b32 s16, s19
	s_cbranch_execnz .LBB160_119
.LBB160_103:
	s_or_b32 exec_lo, exec_lo, s16
	s_and_b32 s19, s4, s8
	s_delay_alu instid0(SALU_CYCLE_1)
	s_and_saveexec_b32 s16, s19
	s_cbranch_execnz .LBB160_123
.LBB160_104:
	s_or_b32 exec_lo, exec_lo, s16
	s_and_b32 s19, s5, s8
	s_delay_alu instid0(SALU_CYCLE_1)
	s_and_saveexec_b32 s16, s19
	s_cbranch_execnz .LBB160_127
.LBB160_105:
	s_or_b32 exec_lo, exec_lo, s16
	s_and_b32 s19, s6, s8
	s_delay_alu instid0(SALU_CYCLE_1)
	s_and_saveexec_b32 s16, s19
	s_cbranch_execnz .LBB160_131
.LBB160_106:
	s_or_b32 exec_lo, exec_lo, s16
	s_and_b32 s16, s7, s8
	s_delay_alu instid0(SALU_CYCLE_1)
	s_and_saveexec_b32 s8, s16
	s_cbranch_execnz .LBB160_135
	s_branch .LBB160_139
.LBB160_107:
	v_cmp_ne_u32_e32 vcc_lo, 1, v18
	s_cbranch_vccnz .LBB160_109
; %bb.108:
	v_lshlrev_b64 v[16:17], 3, v[0:1]
	s_delay_alu instid0(VALU_DEP_1) | instskip(NEXT) | instid1(VALU_DEP_2)
	v_add_co_u32 v16, vcc_lo, v22, v16
	v_add_co_ci_u32_e32 v17, vcc_lo, v23, v17, vcc_lo
	flat_load_b64 v[16:17], v[16:17]
	s_waitcnt vmcnt(0) lgkmcnt(0)
	v_mul_f64 v[16:17], v[16:17], s[10:11]
	s_branch .LBB160_110
.LBB160_109:
	v_mov_b32_e32 v16, 0
	v_mov_b32_e32 v17, 0
.LBB160_110:
	s_delay_alu instid0(VALU_DEP_1) | instskip(SKIP_2) | instid1(VALU_DEP_1)
	v_cvt_f32_f64_e32 v16, v[16:17]
	v_max_f32_e32 v17, v121, v121
	v_lshlrev_b64 v[24:25], 3, v[0:1]
	v_add_co_u32 v24, vcc_lo, v20, v24
	s_delay_alu instid0(VALU_DEP_2) | instskip(NEXT) | instid1(VALU_DEP_4)
	v_add_co_ci_u32_e32 v25, vcc_lo, v21, v25, vcc_lo
	v_min_f32_e32 v16, v16, v17
	s_delay_alu instid0(VALU_DEP_1) | instskip(SKIP_3) | instid1(SALU_CYCLE_1)
	v_cvt_f64_f32_e32 v[16:17], v16
	global_store_b64 v[24:25], v[16:17], off
	s_or_b32 exec_lo, exec_lo, s16
	s_and_b32 s19, s1, s8
	s_and_saveexec_b32 s16, s19
	s_cbranch_execz .LBB160_101
.LBB160_111:
	v_cmp_ne_u32_e32 vcc_lo, 1, v18
	s_cbranch_vccnz .LBB160_113
; %bb.112:
	v_lshlrev_b64 v[16:17], 3, v[2:3]
	s_delay_alu instid0(VALU_DEP_1) | instskip(NEXT) | instid1(VALU_DEP_2)
	v_add_co_u32 v16, vcc_lo, v22, v16
	v_add_co_ci_u32_e32 v17, vcc_lo, v23, v17, vcc_lo
	flat_load_b64 v[16:17], v[16:17]
	s_waitcnt vmcnt(0) lgkmcnt(0)
	v_mul_f64 v[16:17], v[16:17], s[10:11]
	s_branch .LBB160_114
.LBB160_113:
	v_mov_b32_e32 v16, 0
	v_mov_b32_e32 v17, 0
.LBB160_114:
	s_delay_alu instid0(VALU_DEP_1) | instskip(SKIP_2) | instid1(VALU_DEP_1)
	v_cvt_f32_f64_e32 v16, v[16:17]
	v_max_f32_e32 v17, v120, v120
	v_lshlrev_b64 v[24:25], 3, v[2:3]
	v_add_co_u32 v24, vcc_lo, v20, v24
	s_delay_alu instid0(VALU_DEP_2) | instskip(NEXT) | instid1(VALU_DEP_4)
	v_add_co_ci_u32_e32 v25, vcc_lo, v21, v25, vcc_lo
	v_min_f32_e32 v16, v16, v17
	s_delay_alu instid0(VALU_DEP_1) | instskip(SKIP_3) | instid1(SALU_CYCLE_1)
	v_cvt_f64_f32_e32 v[16:17], v16
	global_store_b64 v[24:25], v[16:17], off
	s_or_b32 exec_lo, exec_lo, s16
	s_and_b32 s19, s2, s8
	s_and_saveexec_b32 s16, s19
	s_cbranch_execz .LBB160_102
.LBB160_115:
	v_cmp_ne_u32_e32 vcc_lo, 1, v18
	s_cbranch_vccnz .LBB160_117
; %bb.116:
	v_lshlrev_b64 v[16:17], 3, v[4:5]
	s_delay_alu instid0(VALU_DEP_1) | instskip(NEXT) | instid1(VALU_DEP_2)
	v_add_co_u32 v16, vcc_lo, v22, v16
	v_add_co_ci_u32_e32 v17, vcc_lo, v23, v17, vcc_lo
	flat_load_b64 v[16:17], v[16:17]
	s_waitcnt vmcnt(0) lgkmcnt(0)
	v_mul_f64 v[16:17], v[16:17], s[10:11]
	s_branch .LBB160_118
.LBB160_117:
	v_mov_b32_e32 v16, 0
	v_mov_b32_e32 v17, 0
.LBB160_118:
	s_delay_alu instid0(VALU_DEP_1) | instskip(SKIP_2) | instid1(VALU_DEP_1)
	v_cvt_f32_f64_e32 v16, v[16:17]
	v_max_f32_e32 v17, v119, v119
	v_lshlrev_b64 v[24:25], 3, v[4:5]
	v_add_co_u32 v24, vcc_lo, v20, v24
	s_delay_alu instid0(VALU_DEP_2) | instskip(NEXT) | instid1(VALU_DEP_4)
	v_add_co_ci_u32_e32 v25, vcc_lo, v21, v25, vcc_lo
	v_min_f32_e32 v16, v16, v17
	s_delay_alu instid0(VALU_DEP_1) | instskip(SKIP_3) | instid1(SALU_CYCLE_1)
	v_cvt_f64_f32_e32 v[16:17], v16
	global_store_b64 v[24:25], v[16:17], off
	s_or_b32 exec_lo, exec_lo, s16
	s_and_b32 s19, s3, s8
	s_and_saveexec_b32 s16, s19
	s_cbranch_execz .LBB160_103
.LBB160_119:
	v_cmp_ne_u32_e32 vcc_lo, 1, v18
	s_cbranch_vccnz .LBB160_121
; %bb.120:
	v_lshlrev_b64 v[16:17], 3, v[6:7]
	s_delay_alu instid0(VALU_DEP_1) | instskip(NEXT) | instid1(VALU_DEP_2)
	v_add_co_u32 v16, vcc_lo, v22, v16
	v_add_co_ci_u32_e32 v17, vcc_lo, v23, v17, vcc_lo
	flat_load_b64 v[16:17], v[16:17]
	s_waitcnt vmcnt(0) lgkmcnt(0)
	v_mul_f64 v[16:17], v[16:17], s[10:11]
	s_branch .LBB160_122
.LBB160_121:
	v_mov_b32_e32 v16, 0
	v_mov_b32_e32 v17, 0
.LBB160_122:
	s_delay_alu instid0(VALU_DEP_1) | instskip(SKIP_2) | instid1(VALU_DEP_1)
	v_cvt_f32_f64_e32 v16, v[16:17]
	v_max_f32_e32 v17, v118, v118
	v_lshlrev_b64 v[24:25], 3, v[6:7]
	v_add_co_u32 v24, vcc_lo, v20, v24
	s_delay_alu instid0(VALU_DEP_2) | instskip(NEXT) | instid1(VALU_DEP_4)
	v_add_co_ci_u32_e32 v25, vcc_lo, v21, v25, vcc_lo
	v_min_f32_e32 v16, v16, v17
	s_delay_alu instid0(VALU_DEP_1) | instskip(SKIP_3) | instid1(SALU_CYCLE_1)
	v_cvt_f64_f32_e32 v[16:17], v16
	global_store_b64 v[24:25], v[16:17], off
	s_or_b32 exec_lo, exec_lo, s16
	s_and_b32 s19, s4, s8
	s_and_saveexec_b32 s16, s19
	s_cbranch_execz .LBB160_104
.LBB160_123:
	v_cmp_ne_u32_e32 vcc_lo, 1, v18
	s_cbranch_vccnz .LBB160_125
; %bb.124:
	v_lshlrev_b64 v[16:17], 3, v[8:9]
	s_delay_alu instid0(VALU_DEP_1) | instskip(NEXT) | instid1(VALU_DEP_2)
	v_add_co_u32 v16, vcc_lo, v22, v16
	v_add_co_ci_u32_e32 v17, vcc_lo, v23, v17, vcc_lo
	flat_load_b64 v[16:17], v[16:17]
	s_waitcnt vmcnt(0) lgkmcnt(0)
	v_mul_f64 v[16:17], v[16:17], s[10:11]
	s_branch .LBB160_126
.LBB160_125:
	v_mov_b32_e32 v16, 0
	v_mov_b32_e32 v17, 0
.LBB160_126:
	s_delay_alu instid0(VALU_DEP_1) | instskip(SKIP_2) | instid1(VALU_DEP_1)
	v_cvt_f32_f64_e32 v16, v[16:17]
	v_max_f32_e32 v17, v117, v117
	v_lshlrev_b64 v[24:25], 3, v[8:9]
	v_add_co_u32 v24, vcc_lo, v20, v24
	s_delay_alu instid0(VALU_DEP_2) | instskip(NEXT) | instid1(VALU_DEP_4)
	v_add_co_ci_u32_e32 v25, vcc_lo, v21, v25, vcc_lo
	v_min_f32_e32 v16, v16, v17
	s_delay_alu instid0(VALU_DEP_1) | instskip(SKIP_3) | instid1(SALU_CYCLE_1)
	v_cvt_f64_f32_e32 v[16:17], v16
	global_store_b64 v[24:25], v[16:17], off
	s_or_b32 exec_lo, exec_lo, s16
	s_and_b32 s19, s5, s8
	s_and_saveexec_b32 s16, s19
	s_cbranch_execz .LBB160_105
.LBB160_127:
	v_cmp_ne_u32_e32 vcc_lo, 1, v18
	s_cbranch_vccnz .LBB160_129
; %bb.128:
	v_lshlrev_b64 v[16:17], 3, v[10:11]
	s_delay_alu instid0(VALU_DEP_1) | instskip(NEXT) | instid1(VALU_DEP_2)
	v_add_co_u32 v16, vcc_lo, v22, v16
	v_add_co_ci_u32_e32 v17, vcc_lo, v23, v17, vcc_lo
	flat_load_b64 v[16:17], v[16:17]
	s_waitcnt vmcnt(0) lgkmcnt(0)
	v_mul_f64 v[16:17], v[16:17], s[10:11]
	s_branch .LBB160_130
.LBB160_129:
	v_mov_b32_e32 v16, 0
	v_mov_b32_e32 v17, 0
.LBB160_130:
	s_delay_alu instid0(VALU_DEP_1) | instskip(SKIP_2) | instid1(VALU_DEP_1)
	v_cvt_f32_f64_e32 v16, v[16:17]
	v_max_f32_e32 v17, v116, v116
	v_lshlrev_b64 v[24:25], 3, v[10:11]
	v_add_co_u32 v24, vcc_lo, v20, v24
	s_delay_alu instid0(VALU_DEP_2) | instskip(NEXT) | instid1(VALU_DEP_4)
	v_add_co_ci_u32_e32 v25, vcc_lo, v21, v25, vcc_lo
	v_min_f32_e32 v16, v16, v17
	s_delay_alu instid0(VALU_DEP_1) | instskip(SKIP_3) | instid1(SALU_CYCLE_1)
	v_cvt_f64_f32_e32 v[16:17], v16
	global_store_b64 v[24:25], v[16:17], off
	s_or_b32 exec_lo, exec_lo, s16
	s_and_b32 s19, s6, s8
	s_and_saveexec_b32 s16, s19
	s_cbranch_execz .LBB160_106
.LBB160_131:
	v_cmp_ne_u32_e32 vcc_lo, 1, v18
	s_cbranch_vccnz .LBB160_133
; %bb.132:
	v_lshlrev_b64 v[16:17], 3, v[12:13]
	s_delay_alu instid0(VALU_DEP_1) | instskip(NEXT) | instid1(VALU_DEP_2)
	v_add_co_u32 v16, vcc_lo, v22, v16
	v_add_co_ci_u32_e32 v17, vcc_lo, v23, v17, vcc_lo
	flat_load_b64 v[16:17], v[16:17]
	s_waitcnt vmcnt(0) lgkmcnt(0)
	v_mul_f64 v[16:17], v[16:17], s[10:11]
	s_branch .LBB160_134
.LBB160_133:
	v_mov_b32_e32 v16, 0
	v_mov_b32_e32 v17, 0
.LBB160_134:
	s_delay_alu instid0(VALU_DEP_1) | instskip(SKIP_2) | instid1(VALU_DEP_1)
	v_cvt_f32_f64_e32 v16, v[16:17]
	v_max_f32_e32 v17, v115, v115
	v_lshlrev_b64 v[24:25], 3, v[12:13]
	v_add_co_u32 v24, vcc_lo, v20, v24
	s_delay_alu instid0(VALU_DEP_2) | instskip(NEXT) | instid1(VALU_DEP_4)
	v_add_co_ci_u32_e32 v25, vcc_lo, v21, v25, vcc_lo
	v_min_f32_e32 v16, v16, v17
	s_delay_alu instid0(VALU_DEP_1) | instskip(SKIP_3) | instid1(SALU_CYCLE_1)
	v_cvt_f64_f32_e32 v[16:17], v16
	global_store_b64 v[24:25], v[16:17], off
	s_or_b32 exec_lo, exec_lo, s16
	s_and_b32 s16, s7, s8
	s_and_saveexec_b32 s8, s16
	s_cbranch_execz .LBB160_139
.LBB160_135:
	v_cmp_ne_u32_e32 vcc_lo, 1, v18
	s_cbranch_vccnz .LBB160_137
; %bb.136:
	v_lshlrev_b64 v[16:17], 3, v[14:15]
	s_delay_alu instid0(VALU_DEP_1) | instskip(NEXT) | instid1(VALU_DEP_2)
	v_add_co_u32 v16, vcc_lo, v22, v16
	v_add_co_ci_u32_e32 v17, vcc_lo, v23, v17, vcc_lo
	flat_load_b64 v[16:17], v[16:17]
	s_waitcnt vmcnt(0) lgkmcnt(0)
	v_mul_f64 v[16:17], v[16:17], s[10:11]
	s_branch .LBB160_138
.LBB160_137:
	v_mov_b32_e32 v16, 0
	v_mov_b32_e32 v17, 0
.LBB160_138:
	s_delay_alu instid0(VALU_DEP_1) | instskip(SKIP_2) | instid1(VALU_DEP_1)
	v_cvt_f32_f64_e32 v16, v[16:17]
	v_max_f32_e32 v17, v114, v114
	v_lshlrev_b64 v[22:23], 3, v[14:15]
	v_add_co_u32 v20, vcc_lo, v20, v22
	s_delay_alu instid0(VALU_DEP_2) | instskip(NEXT) | instid1(VALU_DEP_4)
	v_add_co_ci_u32_e32 v21, vcc_lo, v21, v23, vcc_lo
	v_min_f32_e32 v16, v16, v17
	s_delay_alu instid0(VALU_DEP_1)
	v_cvt_f64_f32_e32 v[16:17], v16
	global_store_b64 v[20:21], v[16:17], off
.LBB160_139:
	s_or_b32 exec_lo, exec_lo, s8
	v_add_nc_u32_e32 v22, 16, v19
	s_delay_alu instid0(VALU_DEP_1) | instskip(SKIP_2) | instid1(VALU_DEP_3)
	v_mad_i64_i32 v[16:17], null, v22, s18, 0
	v_mad_i64_i32 v[20:21], null, v22, s9, 0
	v_cmp_gt_i32_e64 s8, s17, v22
	v_lshlrev_b64 v[16:17], 3, v[16:17]
	s_delay_alu instid0(VALU_DEP_2) | instskip(NEXT) | instid1(VALU_DEP_3)
	s_and_b32 s19, s0, s8
	v_lshlrev_b64 v[20:21], 3, v[20:21]
	s_delay_alu instid0(VALU_DEP_2) | instskip(NEXT) | instid1(VALU_DEP_3)
	v_add_co_u32 v22, vcc_lo, s12, v16
	v_add_co_ci_u32_e32 v23, vcc_lo, s13, v17, vcc_lo
	s_delay_alu instid0(VALU_DEP_3) | instskip(NEXT) | instid1(VALU_DEP_4)
	v_add_co_u32 v20, vcc_lo, s14, v20
	v_add_co_ci_u32_e32 v21, vcc_lo, s15, v21, vcc_lo
	s_and_saveexec_b32 s16, s19
	s_cbranch_execnz .LBB160_147
; %bb.140:
	s_or_b32 exec_lo, exec_lo, s16
	s_and_b32 s19, s1, s8
	s_delay_alu instid0(SALU_CYCLE_1)
	s_and_saveexec_b32 s16, s19
	s_cbranch_execnz .LBB160_151
.LBB160_141:
	s_or_b32 exec_lo, exec_lo, s16
	s_and_b32 s19, s2, s8
	s_delay_alu instid0(SALU_CYCLE_1)
	s_and_saveexec_b32 s16, s19
	s_cbranch_execnz .LBB160_155
.LBB160_142:
	s_or_b32 exec_lo, exec_lo, s16
	s_and_b32 s19, s3, s8
	s_delay_alu instid0(SALU_CYCLE_1)
	s_and_saveexec_b32 s16, s19
	s_cbranch_execnz .LBB160_159
.LBB160_143:
	s_or_b32 exec_lo, exec_lo, s16
	s_and_b32 s19, s4, s8
	s_delay_alu instid0(SALU_CYCLE_1)
	s_and_saveexec_b32 s16, s19
	s_cbranch_execnz .LBB160_163
.LBB160_144:
	s_or_b32 exec_lo, exec_lo, s16
	s_and_b32 s19, s5, s8
	s_delay_alu instid0(SALU_CYCLE_1)
	s_and_saveexec_b32 s16, s19
	s_cbranch_execnz .LBB160_167
.LBB160_145:
	s_or_b32 exec_lo, exec_lo, s16
	s_and_b32 s19, s6, s8
	s_delay_alu instid0(SALU_CYCLE_1)
	s_and_saveexec_b32 s16, s19
	s_cbranch_execnz .LBB160_171
.LBB160_146:
	s_or_b32 exec_lo, exec_lo, s16
	s_and_b32 s16, s7, s8
	s_delay_alu instid0(SALU_CYCLE_1)
	s_and_saveexec_b32 s8, s16
	s_cbranch_execnz .LBB160_175
	s_branch .LBB160_179
.LBB160_147:
	v_cmp_ne_u32_e32 vcc_lo, 1, v18
	s_cbranch_vccnz .LBB160_149
; %bb.148:
	v_lshlrev_b64 v[16:17], 3, v[0:1]
	s_delay_alu instid0(VALU_DEP_1) | instskip(NEXT) | instid1(VALU_DEP_2)
	v_add_co_u32 v16, vcc_lo, v22, v16
	v_add_co_ci_u32_e32 v17, vcc_lo, v23, v17, vcc_lo
	flat_load_b64 v[16:17], v[16:17]
	s_waitcnt vmcnt(0) lgkmcnt(0)
	v_mul_f64 v[16:17], v[16:17], s[10:11]
	s_branch .LBB160_150
.LBB160_149:
	v_mov_b32_e32 v16, 0
	v_mov_b32_e32 v17, 0
.LBB160_150:
	s_delay_alu instid0(VALU_DEP_1) | instskip(SKIP_2) | instid1(VALU_DEP_1)
	v_cvt_f32_f64_e32 v16, v[16:17]
	v_max_f32_e32 v17, v113, v113
	v_lshlrev_b64 v[24:25], 3, v[0:1]
	v_add_co_u32 v24, vcc_lo, v20, v24
	s_delay_alu instid0(VALU_DEP_2) | instskip(NEXT) | instid1(VALU_DEP_4)
	v_add_co_ci_u32_e32 v25, vcc_lo, v21, v25, vcc_lo
	v_min_f32_e32 v16, v16, v17
	s_delay_alu instid0(VALU_DEP_1) | instskip(SKIP_3) | instid1(SALU_CYCLE_1)
	v_cvt_f64_f32_e32 v[16:17], v16
	global_store_b64 v[24:25], v[16:17], off
	s_or_b32 exec_lo, exec_lo, s16
	s_and_b32 s19, s1, s8
	s_and_saveexec_b32 s16, s19
	s_cbranch_execz .LBB160_141
.LBB160_151:
	v_cmp_ne_u32_e32 vcc_lo, 1, v18
	s_cbranch_vccnz .LBB160_153
; %bb.152:
	v_lshlrev_b64 v[16:17], 3, v[2:3]
	s_delay_alu instid0(VALU_DEP_1) | instskip(NEXT) | instid1(VALU_DEP_2)
	v_add_co_u32 v16, vcc_lo, v22, v16
	v_add_co_ci_u32_e32 v17, vcc_lo, v23, v17, vcc_lo
	flat_load_b64 v[16:17], v[16:17]
	s_waitcnt vmcnt(0) lgkmcnt(0)
	v_mul_f64 v[16:17], v[16:17], s[10:11]
	s_branch .LBB160_154
.LBB160_153:
	v_mov_b32_e32 v16, 0
	v_mov_b32_e32 v17, 0
.LBB160_154:
	s_delay_alu instid0(VALU_DEP_1) | instskip(SKIP_2) | instid1(VALU_DEP_1)
	v_cvt_f32_f64_e32 v16, v[16:17]
	v_max_f32_e32 v17, v112, v112
	v_lshlrev_b64 v[24:25], 3, v[2:3]
	v_add_co_u32 v24, vcc_lo, v20, v24
	s_delay_alu instid0(VALU_DEP_2) | instskip(NEXT) | instid1(VALU_DEP_4)
	v_add_co_ci_u32_e32 v25, vcc_lo, v21, v25, vcc_lo
	v_min_f32_e32 v16, v16, v17
	s_delay_alu instid0(VALU_DEP_1) | instskip(SKIP_3) | instid1(SALU_CYCLE_1)
	v_cvt_f64_f32_e32 v[16:17], v16
	global_store_b64 v[24:25], v[16:17], off
	s_or_b32 exec_lo, exec_lo, s16
	s_and_b32 s19, s2, s8
	s_and_saveexec_b32 s16, s19
	s_cbranch_execz .LBB160_142
.LBB160_155:
	v_cmp_ne_u32_e32 vcc_lo, 1, v18
	s_cbranch_vccnz .LBB160_157
; %bb.156:
	v_lshlrev_b64 v[16:17], 3, v[4:5]
	s_delay_alu instid0(VALU_DEP_1) | instskip(NEXT) | instid1(VALU_DEP_2)
	v_add_co_u32 v16, vcc_lo, v22, v16
	v_add_co_ci_u32_e32 v17, vcc_lo, v23, v17, vcc_lo
	flat_load_b64 v[16:17], v[16:17]
	s_waitcnt vmcnt(0) lgkmcnt(0)
	v_mul_f64 v[16:17], v[16:17], s[10:11]
	s_branch .LBB160_158
.LBB160_157:
	v_mov_b32_e32 v16, 0
	v_mov_b32_e32 v17, 0
.LBB160_158:
	s_delay_alu instid0(VALU_DEP_1) | instskip(SKIP_2) | instid1(VALU_DEP_1)
	v_cvt_f32_f64_e32 v16, v[16:17]
	v_max_f32_e32 v17, v111, v111
	v_lshlrev_b64 v[24:25], 3, v[4:5]
	v_add_co_u32 v24, vcc_lo, v20, v24
	s_delay_alu instid0(VALU_DEP_2) | instskip(NEXT) | instid1(VALU_DEP_4)
	v_add_co_ci_u32_e32 v25, vcc_lo, v21, v25, vcc_lo
	v_min_f32_e32 v16, v16, v17
	s_delay_alu instid0(VALU_DEP_1) | instskip(SKIP_3) | instid1(SALU_CYCLE_1)
	v_cvt_f64_f32_e32 v[16:17], v16
	global_store_b64 v[24:25], v[16:17], off
	s_or_b32 exec_lo, exec_lo, s16
	s_and_b32 s19, s3, s8
	s_and_saveexec_b32 s16, s19
	s_cbranch_execz .LBB160_143
.LBB160_159:
	v_cmp_ne_u32_e32 vcc_lo, 1, v18
	s_cbranch_vccnz .LBB160_161
; %bb.160:
	v_lshlrev_b64 v[16:17], 3, v[6:7]
	s_delay_alu instid0(VALU_DEP_1) | instskip(NEXT) | instid1(VALU_DEP_2)
	v_add_co_u32 v16, vcc_lo, v22, v16
	v_add_co_ci_u32_e32 v17, vcc_lo, v23, v17, vcc_lo
	flat_load_b64 v[16:17], v[16:17]
	s_waitcnt vmcnt(0) lgkmcnt(0)
	v_mul_f64 v[16:17], v[16:17], s[10:11]
	s_branch .LBB160_162
.LBB160_161:
	v_mov_b32_e32 v16, 0
	v_mov_b32_e32 v17, 0
.LBB160_162:
	s_delay_alu instid0(VALU_DEP_1) | instskip(SKIP_2) | instid1(VALU_DEP_1)
	v_cvt_f32_f64_e32 v16, v[16:17]
	v_max_f32_e32 v17, v110, v110
	v_lshlrev_b64 v[24:25], 3, v[6:7]
	v_add_co_u32 v24, vcc_lo, v20, v24
	s_delay_alu instid0(VALU_DEP_2) | instskip(NEXT) | instid1(VALU_DEP_4)
	v_add_co_ci_u32_e32 v25, vcc_lo, v21, v25, vcc_lo
	v_min_f32_e32 v16, v16, v17
	s_delay_alu instid0(VALU_DEP_1) | instskip(SKIP_3) | instid1(SALU_CYCLE_1)
	v_cvt_f64_f32_e32 v[16:17], v16
	global_store_b64 v[24:25], v[16:17], off
	s_or_b32 exec_lo, exec_lo, s16
	s_and_b32 s19, s4, s8
	s_and_saveexec_b32 s16, s19
	s_cbranch_execz .LBB160_144
.LBB160_163:
	v_cmp_ne_u32_e32 vcc_lo, 1, v18
	s_cbranch_vccnz .LBB160_165
; %bb.164:
	v_lshlrev_b64 v[16:17], 3, v[8:9]
	s_delay_alu instid0(VALU_DEP_1) | instskip(NEXT) | instid1(VALU_DEP_2)
	v_add_co_u32 v16, vcc_lo, v22, v16
	v_add_co_ci_u32_e32 v17, vcc_lo, v23, v17, vcc_lo
	flat_load_b64 v[16:17], v[16:17]
	s_waitcnt vmcnt(0) lgkmcnt(0)
	v_mul_f64 v[16:17], v[16:17], s[10:11]
	s_branch .LBB160_166
.LBB160_165:
	v_mov_b32_e32 v16, 0
	v_mov_b32_e32 v17, 0
.LBB160_166:
	s_delay_alu instid0(VALU_DEP_1) | instskip(SKIP_2) | instid1(VALU_DEP_1)
	v_cvt_f32_f64_e32 v16, v[16:17]
	v_max_f32_e32 v17, v109, v109
	v_lshlrev_b64 v[24:25], 3, v[8:9]
	v_add_co_u32 v24, vcc_lo, v20, v24
	s_delay_alu instid0(VALU_DEP_2) | instskip(NEXT) | instid1(VALU_DEP_4)
	v_add_co_ci_u32_e32 v25, vcc_lo, v21, v25, vcc_lo
	v_min_f32_e32 v16, v16, v17
	s_delay_alu instid0(VALU_DEP_1) | instskip(SKIP_3) | instid1(SALU_CYCLE_1)
	v_cvt_f64_f32_e32 v[16:17], v16
	global_store_b64 v[24:25], v[16:17], off
	s_or_b32 exec_lo, exec_lo, s16
	s_and_b32 s19, s5, s8
	s_and_saveexec_b32 s16, s19
	s_cbranch_execz .LBB160_145
.LBB160_167:
	v_cmp_ne_u32_e32 vcc_lo, 1, v18
	s_cbranch_vccnz .LBB160_169
; %bb.168:
	v_lshlrev_b64 v[16:17], 3, v[10:11]
	s_delay_alu instid0(VALU_DEP_1) | instskip(NEXT) | instid1(VALU_DEP_2)
	v_add_co_u32 v16, vcc_lo, v22, v16
	v_add_co_ci_u32_e32 v17, vcc_lo, v23, v17, vcc_lo
	flat_load_b64 v[16:17], v[16:17]
	s_waitcnt vmcnt(0) lgkmcnt(0)
	v_mul_f64 v[16:17], v[16:17], s[10:11]
	s_branch .LBB160_170
.LBB160_169:
	v_mov_b32_e32 v16, 0
	v_mov_b32_e32 v17, 0
.LBB160_170:
	s_delay_alu instid0(VALU_DEP_1) | instskip(SKIP_2) | instid1(VALU_DEP_1)
	v_cvt_f32_f64_e32 v16, v[16:17]
	v_max_f32_e32 v17, v108, v108
	v_lshlrev_b64 v[24:25], 3, v[10:11]
	v_add_co_u32 v24, vcc_lo, v20, v24
	s_delay_alu instid0(VALU_DEP_2) | instskip(NEXT) | instid1(VALU_DEP_4)
	v_add_co_ci_u32_e32 v25, vcc_lo, v21, v25, vcc_lo
	v_min_f32_e32 v16, v16, v17
	s_delay_alu instid0(VALU_DEP_1) | instskip(SKIP_3) | instid1(SALU_CYCLE_1)
	v_cvt_f64_f32_e32 v[16:17], v16
	global_store_b64 v[24:25], v[16:17], off
	s_or_b32 exec_lo, exec_lo, s16
	s_and_b32 s19, s6, s8
	s_and_saveexec_b32 s16, s19
	s_cbranch_execz .LBB160_146
.LBB160_171:
	v_cmp_ne_u32_e32 vcc_lo, 1, v18
	s_cbranch_vccnz .LBB160_173
; %bb.172:
	v_lshlrev_b64 v[16:17], 3, v[12:13]
	s_delay_alu instid0(VALU_DEP_1) | instskip(NEXT) | instid1(VALU_DEP_2)
	v_add_co_u32 v16, vcc_lo, v22, v16
	v_add_co_ci_u32_e32 v17, vcc_lo, v23, v17, vcc_lo
	flat_load_b64 v[16:17], v[16:17]
	s_waitcnt vmcnt(0) lgkmcnt(0)
	v_mul_f64 v[16:17], v[16:17], s[10:11]
	s_branch .LBB160_174
.LBB160_173:
	v_mov_b32_e32 v16, 0
	v_mov_b32_e32 v17, 0
.LBB160_174:
	s_delay_alu instid0(VALU_DEP_1) | instskip(SKIP_2) | instid1(VALU_DEP_1)
	v_cvt_f32_f64_e32 v16, v[16:17]
	v_max_f32_e32 v17, v107, v107
	v_lshlrev_b64 v[24:25], 3, v[12:13]
	v_add_co_u32 v24, vcc_lo, v20, v24
	s_delay_alu instid0(VALU_DEP_2) | instskip(NEXT) | instid1(VALU_DEP_4)
	v_add_co_ci_u32_e32 v25, vcc_lo, v21, v25, vcc_lo
	v_min_f32_e32 v16, v16, v17
	s_delay_alu instid0(VALU_DEP_1) | instskip(SKIP_3) | instid1(SALU_CYCLE_1)
	v_cvt_f64_f32_e32 v[16:17], v16
	global_store_b64 v[24:25], v[16:17], off
	s_or_b32 exec_lo, exec_lo, s16
	s_and_b32 s16, s7, s8
	s_and_saveexec_b32 s8, s16
	s_cbranch_execz .LBB160_179
.LBB160_175:
	v_cmp_ne_u32_e32 vcc_lo, 1, v18
	s_cbranch_vccnz .LBB160_177
; %bb.176:
	v_lshlrev_b64 v[16:17], 3, v[14:15]
	s_delay_alu instid0(VALU_DEP_1) | instskip(NEXT) | instid1(VALU_DEP_2)
	v_add_co_u32 v16, vcc_lo, v22, v16
	v_add_co_ci_u32_e32 v17, vcc_lo, v23, v17, vcc_lo
	flat_load_b64 v[16:17], v[16:17]
	s_waitcnt vmcnt(0) lgkmcnt(0)
	v_mul_f64 v[16:17], v[16:17], s[10:11]
	s_branch .LBB160_178
.LBB160_177:
	v_mov_b32_e32 v16, 0
	v_mov_b32_e32 v17, 0
.LBB160_178:
	s_delay_alu instid0(VALU_DEP_1) | instskip(SKIP_2) | instid1(VALU_DEP_1)
	v_cvt_f32_f64_e32 v16, v[16:17]
	v_max_f32_e32 v17, v106, v106
	v_lshlrev_b64 v[22:23], 3, v[14:15]
	v_add_co_u32 v20, vcc_lo, v20, v22
	s_delay_alu instid0(VALU_DEP_2) | instskip(NEXT) | instid1(VALU_DEP_4)
	v_add_co_ci_u32_e32 v21, vcc_lo, v21, v23, vcc_lo
	v_min_f32_e32 v16, v16, v17
	s_delay_alu instid0(VALU_DEP_1)
	v_cvt_f64_f32_e32 v[16:17], v16
	global_store_b64 v[20:21], v[16:17], off
.LBB160_179:
	s_or_b32 exec_lo, exec_lo, s8
	v_add_nc_u32_e32 v22, 24, v19
	s_delay_alu instid0(VALU_DEP_1) | instskip(SKIP_2) | instid1(VALU_DEP_3)
	v_mad_i64_i32 v[16:17], null, v22, s18, 0
	v_mad_i64_i32 v[20:21], null, v22, s9, 0
	v_cmp_gt_i32_e64 s8, s17, v22
	v_lshlrev_b64 v[16:17], 3, v[16:17]
	s_delay_alu instid0(VALU_DEP_2) | instskip(NEXT) | instid1(VALU_DEP_3)
	s_and_b32 s19, s0, s8
	v_lshlrev_b64 v[20:21], 3, v[20:21]
	s_delay_alu instid0(VALU_DEP_2) | instskip(NEXT) | instid1(VALU_DEP_3)
	v_add_co_u32 v22, vcc_lo, s12, v16
	v_add_co_ci_u32_e32 v23, vcc_lo, s13, v17, vcc_lo
	s_delay_alu instid0(VALU_DEP_3) | instskip(NEXT) | instid1(VALU_DEP_4)
	v_add_co_u32 v20, vcc_lo, s14, v20
	v_add_co_ci_u32_e32 v21, vcc_lo, s15, v21, vcc_lo
	s_and_saveexec_b32 s16, s19
	s_cbranch_execnz .LBB160_187
; %bb.180:
	s_or_b32 exec_lo, exec_lo, s16
	s_and_b32 s19, s1, s8
	s_delay_alu instid0(SALU_CYCLE_1)
	s_and_saveexec_b32 s16, s19
	s_cbranch_execnz .LBB160_191
.LBB160_181:
	s_or_b32 exec_lo, exec_lo, s16
	s_and_b32 s19, s2, s8
	s_delay_alu instid0(SALU_CYCLE_1)
	s_and_saveexec_b32 s16, s19
	s_cbranch_execnz .LBB160_195
.LBB160_182:
	s_or_b32 exec_lo, exec_lo, s16
	s_and_b32 s19, s3, s8
	s_delay_alu instid0(SALU_CYCLE_1)
	s_and_saveexec_b32 s16, s19
	s_cbranch_execnz .LBB160_199
.LBB160_183:
	s_or_b32 exec_lo, exec_lo, s16
	s_and_b32 s19, s4, s8
	s_delay_alu instid0(SALU_CYCLE_1)
	s_and_saveexec_b32 s16, s19
	s_cbranch_execnz .LBB160_203
.LBB160_184:
	s_or_b32 exec_lo, exec_lo, s16
	s_and_b32 s19, s5, s8
	s_delay_alu instid0(SALU_CYCLE_1)
	s_and_saveexec_b32 s16, s19
	s_cbranch_execnz .LBB160_207
.LBB160_185:
	s_or_b32 exec_lo, exec_lo, s16
	s_and_b32 s19, s6, s8
	s_delay_alu instid0(SALU_CYCLE_1)
	s_and_saveexec_b32 s16, s19
	s_cbranch_execnz .LBB160_211
.LBB160_186:
	s_or_b32 exec_lo, exec_lo, s16
	s_and_b32 s16, s7, s8
	s_delay_alu instid0(SALU_CYCLE_1)
	s_and_saveexec_b32 s8, s16
	s_cbranch_execnz .LBB160_215
	s_branch .LBB160_219
.LBB160_187:
	v_cmp_ne_u32_e32 vcc_lo, 1, v18
	s_cbranch_vccnz .LBB160_189
; %bb.188:
	v_lshlrev_b64 v[16:17], 3, v[0:1]
	s_delay_alu instid0(VALU_DEP_1) | instskip(NEXT) | instid1(VALU_DEP_2)
	v_add_co_u32 v16, vcc_lo, v22, v16
	v_add_co_ci_u32_e32 v17, vcc_lo, v23, v17, vcc_lo
	flat_load_b64 v[16:17], v[16:17]
	s_waitcnt vmcnt(0) lgkmcnt(0)
	v_mul_f64 v[16:17], v[16:17], s[10:11]
	s_branch .LBB160_190
.LBB160_189:
	v_mov_b32_e32 v16, 0
	v_mov_b32_e32 v17, 0
.LBB160_190:
	s_delay_alu instid0(VALU_DEP_1) | instskip(SKIP_2) | instid1(VALU_DEP_1)
	v_cvt_f32_f64_e32 v16, v[16:17]
	v_max_f32_e32 v17, v105, v105
	v_lshlrev_b64 v[24:25], 3, v[0:1]
	v_add_co_u32 v24, vcc_lo, v20, v24
	s_delay_alu instid0(VALU_DEP_2) | instskip(NEXT) | instid1(VALU_DEP_4)
	v_add_co_ci_u32_e32 v25, vcc_lo, v21, v25, vcc_lo
	v_min_f32_e32 v16, v16, v17
	s_delay_alu instid0(VALU_DEP_1) | instskip(SKIP_3) | instid1(SALU_CYCLE_1)
	v_cvt_f64_f32_e32 v[16:17], v16
	global_store_b64 v[24:25], v[16:17], off
	s_or_b32 exec_lo, exec_lo, s16
	s_and_b32 s19, s1, s8
	s_and_saveexec_b32 s16, s19
	s_cbranch_execz .LBB160_181
.LBB160_191:
	v_cmp_ne_u32_e32 vcc_lo, 1, v18
	s_cbranch_vccnz .LBB160_193
; %bb.192:
	v_lshlrev_b64 v[16:17], 3, v[2:3]
	s_delay_alu instid0(VALU_DEP_1) | instskip(NEXT) | instid1(VALU_DEP_2)
	v_add_co_u32 v16, vcc_lo, v22, v16
	v_add_co_ci_u32_e32 v17, vcc_lo, v23, v17, vcc_lo
	flat_load_b64 v[16:17], v[16:17]
	s_waitcnt vmcnt(0) lgkmcnt(0)
	v_mul_f64 v[16:17], v[16:17], s[10:11]
	s_branch .LBB160_194
.LBB160_193:
	v_mov_b32_e32 v16, 0
	v_mov_b32_e32 v17, 0
.LBB160_194:
	s_delay_alu instid0(VALU_DEP_1) | instskip(SKIP_2) | instid1(VALU_DEP_1)
	v_cvt_f32_f64_e32 v16, v[16:17]
	v_max_f32_e32 v17, v104, v104
	v_lshlrev_b64 v[24:25], 3, v[2:3]
	v_add_co_u32 v24, vcc_lo, v20, v24
	s_delay_alu instid0(VALU_DEP_2) | instskip(NEXT) | instid1(VALU_DEP_4)
	v_add_co_ci_u32_e32 v25, vcc_lo, v21, v25, vcc_lo
	v_min_f32_e32 v16, v16, v17
	s_delay_alu instid0(VALU_DEP_1) | instskip(SKIP_3) | instid1(SALU_CYCLE_1)
	v_cvt_f64_f32_e32 v[16:17], v16
	global_store_b64 v[24:25], v[16:17], off
	s_or_b32 exec_lo, exec_lo, s16
	s_and_b32 s19, s2, s8
	s_and_saveexec_b32 s16, s19
	s_cbranch_execz .LBB160_182
.LBB160_195:
	v_cmp_ne_u32_e32 vcc_lo, 1, v18
	s_cbranch_vccnz .LBB160_197
; %bb.196:
	v_lshlrev_b64 v[16:17], 3, v[4:5]
	s_delay_alu instid0(VALU_DEP_1) | instskip(NEXT) | instid1(VALU_DEP_2)
	v_add_co_u32 v16, vcc_lo, v22, v16
	v_add_co_ci_u32_e32 v17, vcc_lo, v23, v17, vcc_lo
	flat_load_b64 v[16:17], v[16:17]
	s_waitcnt vmcnt(0) lgkmcnt(0)
	v_mul_f64 v[16:17], v[16:17], s[10:11]
	s_branch .LBB160_198
.LBB160_197:
	v_mov_b32_e32 v16, 0
	v_mov_b32_e32 v17, 0
.LBB160_198:
	s_delay_alu instid0(VALU_DEP_1) | instskip(SKIP_2) | instid1(VALU_DEP_1)
	v_cvt_f32_f64_e32 v16, v[16:17]
	v_max_f32_e32 v17, v103, v103
	v_lshlrev_b64 v[24:25], 3, v[4:5]
	v_add_co_u32 v24, vcc_lo, v20, v24
	s_delay_alu instid0(VALU_DEP_2) | instskip(NEXT) | instid1(VALU_DEP_4)
	v_add_co_ci_u32_e32 v25, vcc_lo, v21, v25, vcc_lo
	v_min_f32_e32 v16, v16, v17
	s_delay_alu instid0(VALU_DEP_1) | instskip(SKIP_3) | instid1(SALU_CYCLE_1)
	v_cvt_f64_f32_e32 v[16:17], v16
	global_store_b64 v[24:25], v[16:17], off
	s_or_b32 exec_lo, exec_lo, s16
	s_and_b32 s19, s3, s8
	s_and_saveexec_b32 s16, s19
	s_cbranch_execz .LBB160_183
.LBB160_199:
	v_cmp_ne_u32_e32 vcc_lo, 1, v18
	s_cbranch_vccnz .LBB160_201
; %bb.200:
	v_lshlrev_b64 v[16:17], 3, v[6:7]
	s_delay_alu instid0(VALU_DEP_1) | instskip(NEXT) | instid1(VALU_DEP_2)
	v_add_co_u32 v16, vcc_lo, v22, v16
	v_add_co_ci_u32_e32 v17, vcc_lo, v23, v17, vcc_lo
	flat_load_b64 v[16:17], v[16:17]
	s_waitcnt vmcnt(0) lgkmcnt(0)
	v_mul_f64 v[16:17], v[16:17], s[10:11]
	s_branch .LBB160_202
.LBB160_201:
	v_mov_b32_e32 v16, 0
	v_mov_b32_e32 v17, 0
.LBB160_202:
	s_delay_alu instid0(VALU_DEP_1) | instskip(SKIP_2) | instid1(VALU_DEP_1)
	v_cvt_f32_f64_e32 v16, v[16:17]
	v_max_f32_e32 v17, v102, v102
	v_lshlrev_b64 v[24:25], 3, v[6:7]
	v_add_co_u32 v24, vcc_lo, v20, v24
	s_delay_alu instid0(VALU_DEP_2) | instskip(NEXT) | instid1(VALU_DEP_4)
	v_add_co_ci_u32_e32 v25, vcc_lo, v21, v25, vcc_lo
	v_min_f32_e32 v16, v16, v17
	s_delay_alu instid0(VALU_DEP_1) | instskip(SKIP_3) | instid1(SALU_CYCLE_1)
	v_cvt_f64_f32_e32 v[16:17], v16
	global_store_b64 v[24:25], v[16:17], off
	s_or_b32 exec_lo, exec_lo, s16
	s_and_b32 s19, s4, s8
	s_and_saveexec_b32 s16, s19
	s_cbranch_execz .LBB160_184
.LBB160_203:
	v_cmp_ne_u32_e32 vcc_lo, 1, v18
	s_cbranch_vccnz .LBB160_205
; %bb.204:
	v_lshlrev_b64 v[16:17], 3, v[8:9]
	s_delay_alu instid0(VALU_DEP_1) | instskip(NEXT) | instid1(VALU_DEP_2)
	v_add_co_u32 v16, vcc_lo, v22, v16
	v_add_co_ci_u32_e32 v17, vcc_lo, v23, v17, vcc_lo
	flat_load_b64 v[16:17], v[16:17]
	s_waitcnt vmcnt(0) lgkmcnt(0)
	v_mul_f64 v[16:17], v[16:17], s[10:11]
	s_branch .LBB160_206
.LBB160_205:
	v_mov_b32_e32 v16, 0
	v_mov_b32_e32 v17, 0
.LBB160_206:
	s_delay_alu instid0(VALU_DEP_1) | instskip(SKIP_2) | instid1(VALU_DEP_1)
	v_cvt_f32_f64_e32 v16, v[16:17]
	v_max_f32_e32 v17, v101, v101
	v_lshlrev_b64 v[24:25], 3, v[8:9]
	v_add_co_u32 v24, vcc_lo, v20, v24
	s_delay_alu instid0(VALU_DEP_2) | instskip(NEXT) | instid1(VALU_DEP_4)
	v_add_co_ci_u32_e32 v25, vcc_lo, v21, v25, vcc_lo
	v_min_f32_e32 v16, v16, v17
	s_delay_alu instid0(VALU_DEP_1) | instskip(SKIP_3) | instid1(SALU_CYCLE_1)
	v_cvt_f64_f32_e32 v[16:17], v16
	global_store_b64 v[24:25], v[16:17], off
	s_or_b32 exec_lo, exec_lo, s16
	s_and_b32 s19, s5, s8
	s_and_saveexec_b32 s16, s19
	s_cbranch_execz .LBB160_185
.LBB160_207:
	v_cmp_ne_u32_e32 vcc_lo, 1, v18
	s_cbranch_vccnz .LBB160_209
; %bb.208:
	v_lshlrev_b64 v[16:17], 3, v[10:11]
	s_delay_alu instid0(VALU_DEP_1) | instskip(NEXT) | instid1(VALU_DEP_2)
	v_add_co_u32 v16, vcc_lo, v22, v16
	v_add_co_ci_u32_e32 v17, vcc_lo, v23, v17, vcc_lo
	flat_load_b64 v[16:17], v[16:17]
	s_waitcnt vmcnt(0) lgkmcnt(0)
	v_mul_f64 v[16:17], v[16:17], s[10:11]
	s_branch .LBB160_210
.LBB160_209:
	v_mov_b32_e32 v16, 0
	v_mov_b32_e32 v17, 0
.LBB160_210:
	s_delay_alu instid0(VALU_DEP_1) | instskip(SKIP_2) | instid1(VALU_DEP_1)
	v_cvt_f32_f64_e32 v16, v[16:17]
	v_max_f32_e32 v17, v100, v100
	v_lshlrev_b64 v[24:25], 3, v[10:11]
	v_add_co_u32 v24, vcc_lo, v20, v24
	s_delay_alu instid0(VALU_DEP_2) | instskip(NEXT) | instid1(VALU_DEP_4)
	v_add_co_ci_u32_e32 v25, vcc_lo, v21, v25, vcc_lo
	v_min_f32_e32 v16, v16, v17
	s_delay_alu instid0(VALU_DEP_1) | instskip(SKIP_3) | instid1(SALU_CYCLE_1)
	v_cvt_f64_f32_e32 v[16:17], v16
	global_store_b64 v[24:25], v[16:17], off
	s_or_b32 exec_lo, exec_lo, s16
	s_and_b32 s19, s6, s8
	s_and_saveexec_b32 s16, s19
	s_cbranch_execz .LBB160_186
.LBB160_211:
	v_cmp_ne_u32_e32 vcc_lo, 1, v18
	s_cbranch_vccnz .LBB160_213
; %bb.212:
	v_lshlrev_b64 v[16:17], 3, v[12:13]
	s_delay_alu instid0(VALU_DEP_1) | instskip(NEXT) | instid1(VALU_DEP_2)
	v_add_co_u32 v16, vcc_lo, v22, v16
	v_add_co_ci_u32_e32 v17, vcc_lo, v23, v17, vcc_lo
	flat_load_b64 v[16:17], v[16:17]
	s_waitcnt vmcnt(0) lgkmcnt(0)
	v_mul_f64 v[16:17], v[16:17], s[10:11]
	s_branch .LBB160_214
.LBB160_213:
	v_mov_b32_e32 v16, 0
	v_mov_b32_e32 v17, 0
.LBB160_214:
	s_delay_alu instid0(VALU_DEP_1) | instskip(SKIP_2) | instid1(VALU_DEP_1)
	v_cvt_f32_f64_e32 v16, v[16:17]
	v_max_f32_e32 v17, v99, v99
	v_lshlrev_b64 v[24:25], 3, v[12:13]
	v_add_co_u32 v24, vcc_lo, v20, v24
	s_delay_alu instid0(VALU_DEP_2) | instskip(NEXT) | instid1(VALU_DEP_4)
	v_add_co_ci_u32_e32 v25, vcc_lo, v21, v25, vcc_lo
	v_min_f32_e32 v16, v16, v17
	s_delay_alu instid0(VALU_DEP_1) | instskip(SKIP_3) | instid1(SALU_CYCLE_1)
	v_cvt_f64_f32_e32 v[16:17], v16
	global_store_b64 v[24:25], v[16:17], off
	s_or_b32 exec_lo, exec_lo, s16
	s_and_b32 s16, s7, s8
	s_and_saveexec_b32 s8, s16
	s_cbranch_execz .LBB160_219
.LBB160_215:
	v_cmp_ne_u32_e32 vcc_lo, 1, v18
	s_cbranch_vccnz .LBB160_217
; %bb.216:
	v_lshlrev_b64 v[16:17], 3, v[14:15]
	s_delay_alu instid0(VALU_DEP_1) | instskip(NEXT) | instid1(VALU_DEP_2)
	v_add_co_u32 v16, vcc_lo, v22, v16
	v_add_co_ci_u32_e32 v17, vcc_lo, v23, v17, vcc_lo
	flat_load_b64 v[16:17], v[16:17]
	s_waitcnt vmcnt(0) lgkmcnt(0)
	v_mul_f64 v[16:17], v[16:17], s[10:11]
	s_branch .LBB160_218
.LBB160_217:
	v_mov_b32_e32 v16, 0
	v_mov_b32_e32 v17, 0
.LBB160_218:
	s_delay_alu instid0(VALU_DEP_1) | instskip(SKIP_2) | instid1(VALU_DEP_1)
	v_cvt_f32_f64_e32 v16, v[16:17]
	v_max_f32_e32 v17, v98, v98
	v_lshlrev_b64 v[22:23], 3, v[14:15]
	v_add_co_u32 v20, vcc_lo, v20, v22
	s_delay_alu instid0(VALU_DEP_2) | instskip(NEXT) | instid1(VALU_DEP_4)
	v_add_co_ci_u32_e32 v21, vcc_lo, v21, v23, vcc_lo
	v_min_f32_e32 v16, v16, v17
	s_delay_alu instid0(VALU_DEP_1)
	v_cvt_f64_f32_e32 v[16:17], v16
	global_store_b64 v[20:21], v[16:17], off
.LBB160_219:
	s_or_b32 exec_lo, exec_lo, s8
	v_add_nc_u32_e32 v22, 32, v19
	s_delay_alu instid0(VALU_DEP_1) | instskip(SKIP_2) | instid1(VALU_DEP_3)
	v_mad_i64_i32 v[16:17], null, v22, s18, 0
	v_mad_i64_i32 v[20:21], null, v22, s9, 0
	v_cmp_gt_i32_e64 s8, s17, v22
	v_lshlrev_b64 v[16:17], 3, v[16:17]
	s_delay_alu instid0(VALU_DEP_2) | instskip(NEXT) | instid1(VALU_DEP_3)
	s_and_b32 s19, s0, s8
	v_lshlrev_b64 v[20:21], 3, v[20:21]
	s_delay_alu instid0(VALU_DEP_2) | instskip(NEXT) | instid1(VALU_DEP_3)
	v_add_co_u32 v22, vcc_lo, s12, v16
	v_add_co_ci_u32_e32 v23, vcc_lo, s13, v17, vcc_lo
	s_delay_alu instid0(VALU_DEP_3) | instskip(NEXT) | instid1(VALU_DEP_4)
	v_add_co_u32 v20, vcc_lo, s14, v20
	v_add_co_ci_u32_e32 v21, vcc_lo, s15, v21, vcc_lo
	s_and_saveexec_b32 s16, s19
	s_cbranch_execnz .LBB160_227
; %bb.220:
	s_or_b32 exec_lo, exec_lo, s16
	s_and_b32 s19, s1, s8
	s_delay_alu instid0(SALU_CYCLE_1)
	s_and_saveexec_b32 s16, s19
	s_cbranch_execnz .LBB160_231
.LBB160_221:
	s_or_b32 exec_lo, exec_lo, s16
	s_and_b32 s19, s2, s8
	s_delay_alu instid0(SALU_CYCLE_1)
	s_and_saveexec_b32 s16, s19
	s_cbranch_execnz .LBB160_235
.LBB160_222:
	s_or_b32 exec_lo, exec_lo, s16
	s_and_b32 s19, s3, s8
	s_delay_alu instid0(SALU_CYCLE_1)
	s_and_saveexec_b32 s16, s19
	s_cbranch_execnz .LBB160_239
.LBB160_223:
	s_or_b32 exec_lo, exec_lo, s16
	s_and_b32 s19, s4, s8
	s_delay_alu instid0(SALU_CYCLE_1)
	s_and_saveexec_b32 s16, s19
	s_cbranch_execnz .LBB160_243
.LBB160_224:
	s_or_b32 exec_lo, exec_lo, s16
	s_and_b32 s19, s5, s8
	s_delay_alu instid0(SALU_CYCLE_1)
	s_and_saveexec_b32 s16, s19
	s_cbranch_execnz .LBB160_247
.LBB160_225:
	s_or_b32 exec_lo, exec_lo, s16
	s_and_b32 s19, s6, s8
	s_delay_alu instid0(SALU_CYCLE_1)
	s_and_saveexec_b32 s16, s19
	s_cbranch_execnz .LBB160_251
.LBB160_226:
	s_or_b32 exec_lo, exec_lo, s16
	s_and_b32 s16, s7, s8
	s_delay_alu instid0(SALU_CYCLE_1)
	s_and_saveexec_b32 s8, s16
	s_cbranch_execnz .LBB160_255
	s_branch .LBB160_259
.LBB160_227:
	v_cmp_ne_u32_e32 vcc_lo, 1, v18
	s_cbranch_vccnz .LBB160_229
; %bb.228:
	v_lshlrev_b64 v[16:17], 3, v[0:1]
	s_delay_alu instid0(VALU_DEP_1) | instskip(NEXT) | instid1(VALU_DEP_2)
	v_add_co_u32 v16, vcc_lo, v22, v16
	v_add_co_ci_u32_e32 v17, vcc_lo, v23, v17, vcc_lo
	flat_load_b64 v[16:17], v[16:17]
	s_waitcnt vmcnt(0) lgkmcnt(0)
	v_mul_f64 v[16:17], v[16:17], s[10:11]
	s_branch .LBB160_230
.LBB160_229:
	v_mov_b32_e32 v16, 0
	v_mov_b32_e32 v17, 0
.LBB160_230:
	s_delay_alu instid0(VALU_DEP_1) | instskip(SKIP_2) | instid1(VALU_DEP_1)
	v_cvt_f32_f64_e32 v16, v[16:17]
	v_max_f32_e32 v17, v97, v97
	v_lshlrev_b64 v[24:25], 3, v[0:1]
	v_add_co_u32 v24, vcc_lo, v20, v24
	s_delay_alu instid0(VALU_DEP_2) | instskip(NEXT) | instid1(VALU_DEP_4)
	v_add_co_ci_u32_e32 v25, vcc_lo, v21, v25, vcc_lo
	v_min_f32_e32 v16, v16, v17
	s_delay_alu instid0(VALU_DEP_1) | instskip(SKIP_3) | instid1(SALU_CYCLE_1)
	v_cvt_f64_f32_e32 v[16:17], v16
	global_store_b64 v[24:25], v[16:17], off
	s_or_b32 exec_lo, exec_lo, s16
	s_and_b32 s19, s1, s8
	s_and_saveexec_b32 s16, s19
	s_cbranch_execz .LBB160_221
.LBB160_231:
	v_cmp_ne_u32_e32 vcc_lo, 1, v18
	s_cbranch_vccnz .LBB160_233
; %bb.232:
	v_lshlrev_b64 v[16:17], 3, v[2:3]
	s_delay_alu instid0(VALU_DEP_1) | instskip(NEXT) | instid1(VALU_DEP_2)
	v_add_co_u32 v16, vcc_lo, v22, v16
	v_add_co_ci_u32_e32 v17, vcc_lo, v23, v17, vcc_lo
	flat_load_b64 v[16:17], v[16:17]
	s_waitcnt vmcnt(0) lgkmcnt(0)
	v_mul_f64 v[16:17], v[16:17], s[10:11]
	s_branch .LBB160_234
.LBB160_233:
	v_mov_b32_e32 v16, 0
	v_mov_b32_e32 v17, 0
.LBB160_234:
	s_delay_alu instid0(VALU_DEP_1) | instskip(SKIP_2) | instid1(VALU_DEP_1)
	v_cvt_f32_f64_e32 v16, v[16:17]
	v_max_f32_e32 v17, v96, v96
	v_lshlrev_b64 v[24:25], 3, v[2:3]
	v_add_co_u32 v24, vcc_lo, v20, v24
	s_delay_alu instid0(VALU_DEP_2) | instskip(NEXT) | instid1(VALU_DEP_4)
	v_add_co_ci_u32_e32 v25, vcc_lo, v21, v25, vcc_lo
	v_min_f32_e32 v16, v16, v17
	s_delay_alu instid0(VALU_DEP_1) | instskip(SKIP_3) | instid1(SALU_CYCLE_1)
	v_cvt_f64_f32_e32 v[16:17], v16
	global_store_b64 v[24:25], v[16:17], off
	s_or_b32 exec_lo, exec_lo, s16
	s_and_b32 s19, s2, s8
	s_and_saveexec_b32 s16, s19
	s_cbranch_execz .LBB160_222
.LBB160_235:
	v_cmp_ne_u32_e32 vcc_lo, 1, v18
	s_cbranch_vccnz .LBB160_237
; %bb.236:
	v_lshlrev_b64 v[16:17], 3, v[4:5]
	s_delay_alu instid0(VALU_DEP_1) | instskip(NEXT) | instid1(VALU_DEP_2)
	v_add_co_u32 v16, vcc_lo, v22, v16
	v_add_co_ci_u32_e32 v17, vcc_lo, v23, v17, vcc_lo
	flat_load_b64 v[16:17], v[16:17]
	s_waitcnt vmcnt(0) lgkmcnt(0)
	v_mul_f64 v[16:17], v[16:17], s[10:11]
	s_branch .LBB160_238
.LBB160_237:
	v_mov_b32_e32 v16, 0
	v_mov_b32_e32 v17, 0
.LBB160_238:
	s_delay_alu instid0(VALU_DEP_1) | instskip(SKIP_2) | instid1(VALU_DEP_1)
	v_cvt_f32_f64_e32 v16, v[16:17]
	v_max_f32_e32 v17, v95, v95
	v_lshlrev_b64 v[24:25], 3, v[4:5]
	v_add_co_u32 v24, vcc_lo, v20, v24
	s_delay_alu instid0(VALU_DEP_2) | instskip(NEXT) | instid1(VALU_DEP_4)
	v_add_co_ci_u32_e32 v25, vcc_lo, v21, v25, vcc_lo
	v_min_f32_e32 v16, v16, v17
	s_delay_alu instid0(VALU_DEP_1) | instskip(SKIP_3) | instid1(SALU_CYCLE_1)
	v_cvt_f64_f32_e32 v[16:17], v16
	global_store_b64 v[24:25], v[16:17], off
	s_or_b32 exec_lo, exec_lo, s16
	s_and_b32 s19, s3, s8
	s_and_saveexec_b32 s16, s19
	s_cbranch_execz .LBB160_223
.LBB160_239:
	v_cmp_ne_u32_e32 vcc_lo, 1, v18
	s_cbranch_vccnz .LBB160_241
; %bb.240:
	v_lshlrev_b64 v[16:17], 3, v[6:7]
	s_delay_alu instid0(VALU_DEP_1) | instskip(NEXT) | instid1(VALU_DEP_2)
	v_add_co_u32 v16, vcc_lo, v22, v16
	v_add_co_ci_u32_e32 v17, vcc_lo, v23, v17, vcc_lo
	flat_load_b64 v[16:17], v[16:17]
	s_waitcnt vmcnt(0) lgkmcnt(0)
	v_mul_f64 v[16:17], v[16:17], s[10:11]
	s_branch .LBB160_242
.LBB160_241:
	v_mov_b32_e32 v16, 0
	v_mov_b32_e32 v17, 0
.LBB160_242:
	s_delay_alu instid0(VALU_DEP_1) | instskip(SKIP_2) | instid1(VALU_DEP_1)
	v_cvt_f32_f64_e32 v16, v[16:17]
	v_max_f32_e32 v17, v94, v94
	v_lshlrev_b64 v[24:25], 3, v[6:7]
	v_add_co_u32 v24, vcc_lo, v20, v24
	s_delay_alu instid0(VALU_DEP_2) | instskip(NEXT) | instid1(VALU_DEP_4)
	v_add_co_ci_u32_e32 v25, vcc_lo, v21, v25, vcc_lo
	v_min_f32_e32 v16, v16, v17
	s_delay_alu instid0(VALU_DEP_1) | instskip(SKIP_3) | instid1(SALU_CYCLE_1)
	v_cvt_f64_f32_e32 v[16:17], v16
	global_store_b64 v[24:25], v[16:17], off
	s_or_b32 exec_lo, exec_lo, s16
	s_and_b32 s19, s4, s8
	s_and_saveexec_b32 s16, s19
	s_cbranch_execz .LBB160_224
.LBB160_243:
	v_cmp_ne_u32_e32 vcc_lo, 1, v18
	s_cbranch_vccnz .LBB160_245
; %bb.244:
	v_lshlrev_b64 v[16:17], 3, v[8:9]
	s_delay_alu instid0(VALU_DEP_1) | instskip(NEXT) | instid1(VALU_DEP_2)
	v_add_co_u32 v16, vcc_lo, v22, v16
	v_add_co_ci_u32_e32 v17, vcc_lo, v23, v17, vcc_lo
	flat_load_b64 v[16:17], v[16:17]
	s_waitcnt vmcnt(0) lgkmcnt(0)
	v_mul_f64 v[16:17], v[16:17], s[10:11]
	s_branch .LBB160_246
.LBB160_245:
	v_mov_b32_e32 v16, 0
	v_mov_b32_e32 v17, 0
.LBB160_246:
	s_delay_alu instid0(VALU_DEP_1) | instskip(SKIP_2) | instid1(VALU_DEP_1)
	v_cvt_f32_f64_e32 v16, v[16:17]
	v_max_f32_e32 v17, v93, v93
	v_lshlrev_b64 v[24:25], 3, v[8:9]
	v_add_co_u32 v24, vcc_lo, v20, v24
	s_delay_alu instid0(VALU_DEP_2) | instskip(NEXT) | instid1(VALU_DEP_4)
	v_add_co_ci_u32_e32 v25, vcc_lo, v21, v25, vcc_lo
	v_min_f32_e32 v16, v16, v17
	s_delay_alu instid0(VALU_DEP_1) | instskip(SKIP_3) | instid1(SALU_CYCLE_1)
	v_cvt_f64_f32_e32 v[16:17], v16
	global_store_b64 v[24:25], v[16:17], off
	s_or_b32 exec_lo, exec_lo, s16
	s_and_b32 s19, s5, s8
	s_and_saveexec_b32 s16, s19
	s_cbranch_execz .LBB160_225
.LBB160_247:
	v_cmp_ne_u32_e32 vcc_lo, 1, v18
	s_cbranch_vccnz .LBB160_249
; %bb.248:
	v_lshlrev_b64 v[16:17], 3, v[10:11]
	s_delay_alu instid0(VALU_DEP_1) | instskip(NEXT) | instid1(VALU_DEP_2)
	v_add_co_u32 v16, vcc_lo, v22, v16
	v_add_co_ci_u32_e32 v17, vcc_lo, v23, v17, vcc_lo
	flat_load_b64 v[16:17], v[16:17]
	s_waitcnt vmcnt(0) lgkmcnt(0)
	v_mul_f64 v[16:17], v[16:17], s[10:11]
	s_branch .LBB160_250
.LBB160_249:
	v_mov_b32_e32 v16, 0
	v_mov_b32_e32 v17, 0
.LBB160_250:
	s_delay_alu instid0(VALU_DEP_1) | instskip(SKIP_2) | instid1(VALU_DEP_1)
	v_cvt_f32_f64_e32 v16, v[16:17]
	v_max_f32_e32 v17, v92, v92
	v_lshlrev_b64 v[24:25], 3, v[10:11]
	v_add_co_u32 v24, vcc_lo, v20, v24
	s_delay_alu instid0(VALU_DEP_2) | instskip(NEXT) | instid1(VALU_DEP_4)
	v_add_co_ci_u32_e32 v25, vcc_lo, v21, v25, vcc_lo
	v_min_f32_e32 v16, v16, v17
	s_delay_alu instid0(VALU_DEP_1) | instskip(SKIP_3) | instid1(SALU_CYCLE_1)
	v_cvt_f64_f32_e32 v[16:17], v16
	global_store_b64 v[24:25], v[16:17], off
	s_or_b32 exec_lo, exec_lo, s16
	s_and_b32 s19, s6, s8
	s_and_saveexec_b32 s16, s19
	s_cbranch_execz .LBB160_226
.LBB160_251:
	v_cmp_ne_u32_e32 vcc_lo, 1, v18
	s_cbranch_vccnz .LBB160_253
; %bb.252:
	v_lshlrev_b64 v[16:17], 3, v[12:13]
	s_delay_alu instid0(VALU_DEP_1) | instskip(NEXT) | instid1(VALU_DEP_2)
	v_add_co_u32 v16, vcc_lo, v22, v16
	v_add_co_ci_u32_e32 v17, vcc_lo, v23, v17, vcc_lo
	flat_load_b64 v[16:17], v[16:17]
	s_waitcnt vmcnt(0) lgkmcnt(0)
	v_mul_f64 v[16:17], v[16:17], s[10:11]
	s_branch .LBB160_254
.LBB160_253:
	v_mov_b32_e32 v16, 0
	v_mov_b32_e32 v17, 0
.LBB160_254:
	s_delay_alu instid0(VALU_DEP_1) | instskip(SKIP_2) | instid1(VALU_DEP_1)
	v_cvt_f32_f64_e32 v16, v[16:17]
	v_max_f32_e32 v17, v91, v91
	v_lshlrev_b64 v[24:25], 3, v[12:13]
	v_add_co_u32 v24, vcc_lo, v20, v24
	s_delay_alu instid0(VALU_DEP_2) | instskip(NEXT) | instid1(VALU_DEP_4)
	v_add_co_ci_u32_e32 v25, vcc_lo, v21, v25, vcc_lo
	v_min_f32_e32 v16, v16, v17
	s_delay_alu instid0(VALU_DEP_1) | instskip(SKIP_3) | instid1(SALU_CYCLE_1)
	v_cvt_f64_f32_e32 v[16:17], v16
	global_store_b64 v[24:25], v[16:17], off
	s_or_b32 exec_lo, exec_lo, s16
	s_and_b32 s16, s7, s8
	s_and_saveexec_b32 s8, s16
	s_cbranch_execz .LBB160_259
.LBB160_255:
	v_cmp_ne_u32_e32 vcc_lo, 1, v18
	s_cbranch_vccnz .LBB160_257
; %bb.256:
	v_lshlrev_b64 v[16:17], 3, v[14:15]
	s_delay_alu instid0(VALU_DEP_1) | instskip(NEXT) | instid1(VALU_DEP_2)
	v_add_co_u32 v16, vcc_lo, v22, v16
	v_add_co_ci_u32_e32 v17, vcc_lo, v23, v17, vcc_lo
	flat_load_b64 v[16:17], v[16:17]
	s_waitcnt vmcnt(0) lgkmcnt(0)
	v_mul_f64 v[16:17], v[16:17], s[10:11]
	s_branch .LBB160_258
.LBB160_257:
	v_mov_b32_e32 v16, 0
	v_mov_b32_e32 v17, 0
.LBB160_258:
	s_delay_alu instid0(VALU_DEP_1) | instskip(SKIP_2) | instid1(VALU_DEP_1)
	v_cvt_f32_f64_e32 v16, v[16:17]
	v_max_f32_e32 v17, v90, v90
	v_lshlrev_b64 v[22:23], 3, v[14:15]
	v_add_co_u32 v20, vcc_lo, v20, v22
	s_delay_alu instid0(VALU_DEP_2) | instskip(NEXT) | instid1(VALU_DEP_4)
	v_add_co_ci_u32_e32 v21, vcc_lo, v21, v23, vcc_lo
	v_min_f32_e32 v16, v16, v17
	s_delay_alu instid0(VALU_DEP_1)
	v_cvt_f64_f32_e32 v[16:17], v16
	global_store_b64 v[20:21], v[16:17], off
.LBB160_259:
	s_or_b32 exec_lo, exec_lo, s8
	v_add_nc_u32_e32 v22, 40, v19
	s_delay_alu instid0(VALU_DEP_1) | instskip(SKIP_2) | instid1(VALU_DEP_3)
	v_mad_i64_i32 v[16:17], null, v22, s18, 0
	v_mad_i64_i32 v[20:21], null, v22, s9, 0
	v_cmp_gt_i32_e64 s8, s17, v22
	v_lshlrev_b64 v[16:17], 3, v[16:17]
	s_delay_alu instid0(VALU_DEP_2) | instskip(NEXT) | instid1(VALU_DEP_3)
	s_and_b32 s19, s0, s8
	v_lshlrev_b64 v[20:21], 3, v[20:21]
	s_delay_alu instid0(VALU_DEP_2) | instskip(NEXT) | instid1(VALU_DEP_3)
	v_add_co_u32 v22, vcc_lo, s12, v16
	v_add_co_ci_u32_e32 v23, vcc_lo, s13, v17, vcc_lo
	s_delay_alu instid0(VALU_DEP_3) | instskip(NEXT) | instid1(VALU_DEP_4)
	v_add_co_u32 v20, vcc_lo, s14, v20
	v_add_co_ci_u32_e32 v21, vcc_lo, s15, v21, vcc_lo
	s_and_saveexec_b32 s16, s19
	s_cbranch_execnz .LBB160_267
; %bb.260:
	s_or_b32 exec_lo, exec_lo, s16
	s_and_b32 s19, s1, s8
	s_delay_alu instid0(SALU_CYCLE_1)
	s_and_saveexec_b32 s16, s19
	s_cbranch_execnz .LBB160_271
.LBB160_261:
	s_or_b32 exec_lo, exec_lo, s16
	s_and_b32 s19, s2, s8
	s_delay_alu instid0(SALU_CYCLE_1)
	s_and_saveexec_b32 s16, s19
	s_cbranch_execnz .LBB160_275
.LBB160_262:
	s_or_b32 exec_lo, exec_lo, s16
	s_and_b32 s19, s3, s8
	s_delay_alu instid0(SALU_CYCLE_1)
	s_and_saveexec_b32 s16, s19
	s_cbranch_execnz .LBB160_279
.LBB160_263:
	s_or_b32 exec_lo, exec_lo, s16
	s_and_b32 s19, s4, s8
	s_delay_alu instid0(SALU_CYCLE_1)
	s_and_saveexec_b32 s16, s19
	s_cbranch_execnz .LBB160_283
.LBB160_264:
	s_or_b32 exec_lo, exec_lo, s16
	s_and_b32 s19, s5, s8
	s_delay_alu instid0(SALU_CYCLE_1)
	s_and_saveexec_b32 s16, s19
	s_cbranch_execnz .LBB160_287
.LBB160_265:
	s_or_b32 exec_lo, exec_lo, s16
	s_and_b32 s19, s6, s8
	s_delay_alu instid0(SALU_CYCLE_1)
	s_and_saveexec_b32 s16, s19
	s_cbranch_execnz .LBB160_291
.LBB160_266:
	s_or_b32 exec_lo, exec_lo, s16
	s_and_b32 s16, s7, s8
	s_delay_alu instid0(SALU_CYCLE_1)
	s_and_saveexec_b32 s8, s16
	s_cbranch_execnz .LBB160_295
	s_branch .LBB160_299
.LBB160_267:
	v_cmp_ne_u32_e32 vcc_lo, 1, v18
	s_cbranch_vccnz .LBB160_269
; %bb.268:
	v_lshlrev_b64 v[16:17], 3, v[0:1]
	s_delay_alu instid0(VALU_DEP_1) | instskip(NEXT) | instid1(VALU_DEP_2)
	v_add_co_u32 v16, vcc_lo, v22, v16
	v_add_co_ci_u32_e32 v17, vcc_lo, v23, v17, vcc_lo
	flat_load_b64 v[16:17], v[16:17]
	s_waitcnt vmcnt(0) lgkmcnt(0)
	v_mul_f64 v[16:17], v[16:17], s[10:11]
	s_branch .LBB160_270
.LBB160_269:
	v_mov_b32_e32 v16, 0
	v_mov_b32_e32 v17, 0
.LBB160_270:
	s_delay_alu instid0(VALU_DEP_1) | instskip(SKIP_2) | instid1(VALU_DEP_1)
	v_cvt_f32_f64_e32 v16, v[16:17]
	v_max_f32_e32 v17, v89, v89
	v_lshlrev_b64 v[24:25], 3, v[0:1]
	v_add_co_u32 v24, vcc_lo, v20, v24
	s_delay_alu instid0(VALU_DEP_2) | instskip(NEXT) | instid1(VALU_DEP_4)
	v_add_co_ci_u32_e32 v25, vcc_lo, v21, v25, vcc_lo
	v_min_f32_e32 v16, v16, v17
	s_delay_alu instid0(VALU_DEP_1) | instskip(SKIP_3) | instid1(SALU_CYCLE_1)
	v_cvt_f64_f32_e32 v[16:17], v16
	global_store_b64 v[24:25], v[16:17], off
	s_or_b32 exec_lo, exec_lo, s16
	s_and_b32 s19, s1, s8
	s_and_saveexec_b32 s16, s19
	s_cbranch_execz .LBB160_261
.LBB160_271:
	v_cmp_ne_u32_e32 vcc_lo, 1, v18
	s_cbranch_vccnz .LBB160_273
; %bb.272:
	v_lshlrev_b64 v[16:17], 3, v[2:3]
	s_delay_alu instid0(VALU_DEP_1) | instskip(NEXT) | instid1(VALU_DEP_2)
	v_add_co_u32 v16, vcc_lo, v22, v16
	v_add_co_ci_u32_e32 v17, vcc_lo, v23, v17, vcc_lo
	flat_load_b64 v[16:17], v[16:17]
	s_waitcnt vmcnt(0) lgkmcnt(0)
	v_mul_f64 v[16:17], v[16:17], s[10:11]
	s_branch .LBB160_274
.LBB160_273:
	v_mov_b32_e32 v16, 0
	v_mov_b32_e32 v17, 0
.LBB160_274:
	s_delay_alu instid0(VALU_DEP_1) | instskip(SKIP_2) | instid1(VALU_DEP_1)
	v_cvt_f32_f64_e32 v16, v[16:17]
	v_max_f32_e32 v17, v88, v88
	v_lshlrev_b64 v[24:25], 3, v[2:3]
	v_add_co_u32 v24, vcc_lo, v20, v24
	s_delay_alu instid0(VALU_DEP_2) | instskip(NEXT) | instid1(VALU_DEP_4)
	v_add_co_ci_u32_e32 v25, vcc_lo, v21, v25, vcc_lo
	v_min_f32_e32 v16, v16, v17
	s_delay_alu instid0(VALU_DEP_1) | instskip(SKIP_3) | instid1(SALU_CYCLE_1)
	v_cvt_f64_f32_e32 v[16:17], v16
	global_store_b64 v[24:25], v[16:17], off
	s_or_b32 exec_lo, exec_lo, s16
	s_and_b32 s19, s2, s8
	s_and_saveexec_b32 s16, s19
	s_cbranch_execz .LBB160_262
.LBB160_275:
	v_cmp_ne_u32_e32 vcc_lo, 1, v18
	s_cbranch_vccnz .LBB160_277
; %bb.276:
	v_lshlrev_b64 v[16:17], 3, v[4:5]
	s_delay_alu instid0(VALU_DEP_1) | instskip(NEXT) | instid1(VALU_DEP_2)
	v_add_co_u32 v16, vcc_lo, v22, v16
	v_add_co_ci_u32_e32 v17, vcc_lo, v23, v17, vcc_lo
	flat_load_b64 v[16:17], v[16:17]
	s_waitcnt vmcnt(0) lgkmcnt(0)
	v_mul_f64 v[16:17], v[16:17], s[10:11]
	s_branch .LBB160_278
.LBB160_277:
	v_mov_b32_e32 v16, 0
	v_mov_b32_e32 v17, 0
.LBB160_278:
	s_delay_alu instid0(VALU_DEP_1) | instskip(SKIP_2) | instid1(VALU_DEP_1)
	v_cvt_f32_f64_e32 v16, v[16:17]
	v_max_f32_e32 v17, v87, v87
	v_lshlrev_b64 v[24:25], 3, v[4:5]
	v_add_co_u32 v24, vcc_lo, v20, v24
	s_delay_alu instid0(VALU_DEP_2) | instskip(NEXT) | instid1(VALU_DEP_4)
	v_add_co_ci_u32_e32 v25, vcc_lo, v21, v25, vcc_lo
	v_min_f32_e32 v16, v16, v17
	s_delay_alu instid0(VALU_DEP_1) | instskip(SKIP_3) | instid1(SALU_CYCLE_1)
	v_cvt_f64_f32_e32 v[16:17], v16
	global_store_b64 v[24:25], v[16:17], off
	s_or_b32 exec_lo, exec_lo, s16
	s_and_b32 s19, s3, s8
	s_and_saveexec_b32 s16, s19
	s_cbranch_execz .LBB160_263
.LBB160_279:
	v_cmp_ne_u32_e32 vcc_lo, 1, v18
	s_cbranch_vccnz .LBB160_281
; %bb.280:
	v_lshlrev_b64 v[16:17], 3, v[6:7]
	s_delay_alu instid0(VALU_DEP_1) | instskip(NEXT) | instid1(VALU_DEP_2)
	v_add_co_u32 v16, vcc_lo, v22, v16
	v_add_co_ci_u32_e32 v17, vcc_lo, v23, v17, vcc_lo
	flat_load_b64 v[16:17], v[16:17]
	s_waitcnt vmcnt(0) lgkmcnt(0)
	v_mul_f64 v[16:17], v[16:17], s[10:11]
	s_branch .LBB160_282
.LBB160_281:
	v_mov_b32_e32 v16, 0
	v_mov_b32_e32 v17, 0
.LBB160_282:
	s_delay_alu instid0(VALU_DEP_1) | instskip(SKIP_2) | instid1(VALU_DEP_1)
	v_cvt_f32_f64_e32 v16, v[16:17]
	v_max_f32_e32 v17, v86, v86
	v_lshlrev_b64 v[24:25], 3, v[6:7]
	v_add_co_u32 v24, vcc_lo, v20, v24
	s_delay_alu instid0(VALU_DEP_2) | instskip(NEXT) | instid1(VALU_DEP_4)
	v_add_co_ci_u32_e32 v25, vcc_lo, v21, v25, vcc_lo
	v_min_f32_e32 v16, v16, v17
	s_delay_alu instid0(VALU_DEP_1) | instskip(SKIP_3) | instid1(SALU_CYCLE_1)
	v_cvt_f64_f32_e32 v[16:17], v16
	global_store_b64 v[24:25], v[16:17], off
	s_or_b32 exec_lo, exec_lo, s16
	s_and_b32 s19, s4, s8
	s_and_saveexec_b32 s16, s19
	s_cbranch_execz .LBB160_264
.LBB160_283:
	v_cmp_ne_u32_e32 vcc_lo, 1, v18
	s_cbranch_vccnz .LBB160_285
; %bb.284:
	v_lshlrev_b64 v[16:17], 3, v[8:9]
	s_delay_alu instid0(VALU_DEP_1) | instskip(NEXT) | instid1(VALU_DEP_2)
	v_add_co_u32 v16, vcc_lo, v22, v16
	v_add_co_ci_u32_e32 v17, vcc_lo, v23, v17, vcc_lo
	flat_load_b64 v[16:17], v[16:17]
	s_waitcnt vmcnt(0) lgkmcnt(0)
	v_mul_f64 v[16:17], v[16:17], s[10:11]
	s_branch .LBB160_286
.LBB160_285:
	v_mov_b32_e32 v16, 0
	v_mov_b32_e32 v17, 0
.LBB160_286:
	s_delay_alu instid0(VALU_DEP_1) | instskip(SKIP_2) | instid1(VALU_DEP_1)
	v_cvt_f32_f64_e32 v16, v[16:17]
	v_max_f32_e32 v17, v85, v85
	v_lshlrev_b64 v[24:25], 3, v[8:9]
	v_add_co_u32 v24, vcc_lo, v20, v24
	s_delay_alu instid0(VALU_DEP_2) | instskip(NEXT) | instid1(VALU_DEP_4)
	v_add_co_ci_u32_e32 v25, vcc_lo, v21, v25, vcc_lo
	v_min_f32_e32 v16, v16, v17
	s_delay_alu instid0(VALU_DEP_1) | instskip(SKIP_3) | instid1(SALU_CYCLE_1)
	v_cvt_f64_f32_e32 v[16:17], v16
	global_store_b64 v[24:25], v[16:17], off
	s_or_b32 exec_lo, exec_lo, s16
	s_and_b32 s19, s5, s8
	s_and_saveexec_b32 s16, s19
	s_cbranch_execz .LBB160_265
.LBB160_287:
	v_cmp_ne_u32_e32 vcc_lo, 1, v18
	s_cbranch_vccnz .LBB160_289
; %bb.288:
	v_lshlrev_b64 v[16:17], 3, v[10:11]
	s_delay_alu instid0(VALU_DEP_1) | instskip(NEXT) | instid1(VALU_DEP_2)
	v_add_co_u32 v16, vcc_lo, v22, v16
	v_add_co_ci_u32_e32 v17, vcc_lo, v23, v17, vcc_lo
	flat_load_b64 v[16:17], v[16:17]
	s_waitcnt vmcnt(0) lgkmcnt(0)
	v_mul_f64 v[16:17], v[16:17], s[10:11]
	s_branch .LBB160_290
.LBB160_289:
	v_mov_b32_e32 v16, 0
	v_mov_b32_e32 v17, 0
.LBB160_290:
	s_delay_alu instid0(VALU_DEP_1) | instskip(SKIP_2) | instid1(VALU_DEP_1)
	v_cvt_f32_f64_e32 v16, v[16:17]
	v_max_f32_e32 v17, v84, v84
	v_lshlrev_b64 v[24:25], 3, v[10:11]
	v_add_co_u32 v24, vcc_lo, v20, v24
	s_delay_alu instid0(VALU_DEP_2) | instskip(NEXT) | instid1(VALU_DEP_4)
	v_add_co_ci_u32_e32 v25, vcc_lo, v21, v25, vcc_lo
	v_min_f32_e32 v16, v16, v17
	s_delay_alu instid0(VALU_DEP_1) | instskip(SKIP_3) | instid1(SALU_CYCLE_1)
	v_cvt_f64_f32_e32 v[16:17], v16
	global_store_b64 v[24:25], v[16:17], off
	s_or_b32 exec_lo, exec_lo, s16
	s_and_b32 s19, s6, s8
	s_and_saveexec_b32 s16, s19
	s_cbranch_execz .LBB160_266
.LBB160_291:
	v_cmp_ne_u32_e32 vcc_lo, 1, v18
	s_cbranch_vccnz .LBB160_293
; %bb.292:
	v_lshlrev_b64 v[16:17], 3, v[12:13]
	s_delay_alu instid0(VALU_DEP_1) | instskip(NEXT) | instid1(VALU_DEP_2)
	v_add_co_u32 v16, vcc_lo, v22, v16
	v_add_co_ci_u32_e32 v17, vcc_lo, v23, v17, vcc_lo
	flat_load_b64 v[16:17], v[16:17]
	s_waitcnt vmcnt(0) lgkmcnt(0)
	v_mul_f64 v[16:17], v[16:17], s[10:11]
	s_branch .LBB160_294
.LBB160_293:
	v_mov_b32_e32 v16, 0
	v_mov_b32_e32 v17, 0
.LBB160_294:
	s_delay_alu instid0(VALU_DEP_1) | instskip(SKIP_2) | instid1(VALU_DEP_1)
	v_cvt_f32_f64_e32 v16, v[16:17]
	v_max_f32_e32 v17, v83, v83
	v_lshlrev_b64 v[24:25], 3, v[12:13]
	v_add_co_u32 v24, vcc_lo, v20, v24
	s_delay_alu instid0(VALU_DEP_2) | instskip(NEXT) | instid1(VALU_DEP_4)
	v_add_co_ci_u32_e32 v25, vcc_lo, v21, v25, vcc_lo
	v_min_f32_e32 v16, v16, v17
	s_delay_alu instid0(VALU_DEP_1) | instskip(SKIP_3) | instid1(SALU_CYCLE_1)
	v_cvt_f64_f32_e32 v[16:17], v16
	global_store_b64 v[24:25], v[16:17], off
	s_or_b32 exec_lo, exec_lo, s16
	s_and_b32 s16, s7, s8
	s_and_saveexec_b32 s8, s16
	s_cbranch_execz .LBB160_299
.LBB160_295:
	v_cmp_ne_u32_e32 vcc_lo, 1, v18
	s_cbranch_vccnz .LBB160_297
; %bb.296:
	v_lshlrev_b64 v[16:17], 3, v[14:15]
	s_delay_alu instid0(VALU_DEP_1) | instskip(NEXT) | instid1(VALU_DEP_2)
	v_add_co_u32 v16, vcc_lo, v22, v16
	v_add_co_ci_u32_e32 v17, vcc_lo, v23, v17, vcc_lo
	flat_load_b64 v[16:17], v[16:17]
	s_waitcnt vmcnt(0) lgkmcnt(0)
	v_mul_f64 v[16:17], v[16:17], s[10:11]
	s_branch .LBB160_298
.LBB160_297:
	v_mov_b32_e32 v16, 0
	v_mov_b32_e32 v17, 0
.LBB160_298:
	s_delay_alu instid0(VALU_DEP_1) | instskip(SKIP_2) | instid1(VALU_DEP_1)
	v_cvt_f32_f64_e32 v16, v[16:17]
	v_max_f32_e32 v17, v82, v82
	v_lshlrev_b64 v[22:23], 3, v[14:15]
	v_add_co_u32 v20, vcc_lo, v20, v22
	s_delay_alu instid0(VALU_DEP_2) | instskip(NEXT) | instid1(VALU_DEP_4)
	v_add_co_ci_u32_e32 v21, vcc_lo, v21, v23, vcc_lo
	v_min_f32_e32 v16, v16, v17
	s_delay_alu instid0(VALU_DEP_1)
	v_cvt_f64_f32_e32 v[16:17], v16
	global_store_b64 v[20:21], v[16:17], off
.LBB160_299:
	s_or_b32 exec_lo, exec_lo, s8
	v_add_nc_u32_e32 v22, 48, v19
	s_delay_alu instid0(VALU_DEP_1) | instskip(SKIP_2) | instid1(VALU_DEP_3)
	v_mad_i64_i32 v[16:17], null, v22, s18, 0
	v_mad_i64_i32 v[20:21], null, v22, s9, 0
	v_cmp_gt_i32_e64 s8, s17, v22
	v_lshlrev_b64 v[16:17], 3, v[16:17]
	s_delay_alu instid0(VALU_DEP_2) | instskip(NEXT) | instid1(VALU_DEP_3)
	s_and_b32 s19, s0, s8
	v_lshlrev_b64 v[20:21], 3, v[20:21]
	s_delay_alu instid0(VALU_DEP_2) | instskip(NEXT) | instid1(VALU_DEP_3)
	v_add_co_u32 v22, vcc_lo, s12, v16
	v_add_co_ci_u32_e32 v23, vcc_lo, s13, v17, vcc_lo
	s_delay_alu instid0(VALU_DEP_3) | instskip(NEXT) | instid1(VALU_DEP_4)
	v_add_co_u32 v20, vcc_lo, s14, v20
	v_add_co_ci_u32_e32 v21, vcc_lo, s15, v21, vcc_lo
	s_and_saveexec_b32 s16, s19
	s_cbranch_execnz .LBB160_307
; %bb.300:
	s_or_b32 exec_lo, exec_lo, s16
	s_and_b32 s19, s1, s8
	s_delay_alu instid0(SALU_CYCLE_1)
	s_and_saveexec_b32 s16, s19
	s_cbranch_execnz .LBB160_311
.LBB160_301:
	s_or_b32 exec_lo, exec_lo, s16
	s_and_b32 s19, s2, s8
	s_delay_alu instid0(SALU_CYCLE_1)
	s_and_saveexec_b32 s16, s19
	s_cbranch_execnz .LBB160_315
.LBB160_302:
	s_or_b32 exec_lo, exec_lo, s16
	s_and_b32 s19, s3, s8
	s_delay_alu instid0(SALU_CYCLE_1)
	s_and_saveexec_b32 s16, s19
	s_cbranch_execnz .LBB160_319
.LBB160_303:
	s_or_b32 exec_lo, exec_lo, s16
	s_and_b32 s19, s4, s8
	s_delay_alu instid0(SALU_CYCLE_1)
	s_and_saveexec_b32 s16, s19
	s_cbranch_execnz .LBB160_323
.LBB160_304:
	s_or_b32 exec_lo, exec_lo, s16
	s_and_b32 s19, s5, s8
	s_delay_alu instid0(SALU_CYCLE_1)
	s_and_saveexec_b32 s16, s19
	s_cbranch_execnz .LBB160_327
.LBB160_305:
	s_or_b32 exec_lo, exec_lo, s16
	s_and_b32 s19, s6, s8
	s_delay_alu instid0(SALU_CYCLE_1)
	s_and_saveexec_b32 s16, s19
	s_cbranch_execnz .LBB160_331
.LBB160_306:
	s_or_b32 exec_lo, exec_lo, s16
	s_and_b32 s16, s7, s8
	s_delay_alu instid0(SALU_CYCLE_1)
	s_and_saveexec_b32 s8, s16
	s_cbranch_execnz .LBB160_335
	s_branch .LBB160_339
.LBB160_307:
	v_cmp_ne_u32_e32 vcc_lo, 1, v18
	s_cbranch_vccnz .LBB160_309
; %bb.308:
	v_lshlrev_b64 v[16:17], 3, v[0:1]
	s_delay_alu instid0(VALU_DEP_1) | instskip(NEXT) | instid1(VALU_DEP_2)
	v_add_co_u32 v16, vcc_lo, v22, v16
	v_add_co_ci_u32_e32 v17, vcc_lo, v23, v17, vcc_lo
	flat_load_b64 v[16:17], v[16:17]
	s_waitcnt vmcnt(0) lgkmcnt(0)
	v_mul_f64 v[16:17], v[16:17], s[10:11]
	s_branch .LBB160_310
.LBB160_309:
	v_mov_b32_e32 v16, 0
	v_mov_b32_e32 v17, 0
.LBB160_310:
	s_delay_alu instid0(VALU_DEP_1) | instskip(SKIP_2) | instid1(VALU_DEP_1)
	v_cvt_f32_f64_e32 v16, v[16:17]
	v_max_f32_e32 v17, v81, v81
	v_lshlrev_b64 v[24:25], 3, v[0:1]
	v_add_co_u32 v24, vcc_lo, v20, v24
	s_delay_alu instid0(VALU_DEP_2) | instskip(NEXT) | instid1(VALU_DEP_4)
	v_add_co_ci_u32_e32 v25, vcc_lo, v21, v25, vcc_lo
	v_min_f32_e32 v16, v16, v17
	s_delay_alu instid0(VALU_DEP_1) | instskip(SKIP_3) | instid1(SALU_CYCLE_1)
	v_cvt_f64_f32_e32 v[16:17], v16
	global_store_b64 v[24:25], v[16:17], off
	s_or_b32 exec_lo, exec_lo, s16
	s_and_b32 s19, s1, s8
	s_and_saveexec_b32 s16, s19
	s_cbranch_execz .LBB160_301
.LBB160_311:
	v_cmp_ne_u32_e32 vcc_lo, 1, v18
	s_cbranch_vccnz .LBB160_313
; %bb.312:
	v_lshlrev_b64 v[16:17], 3, v[2:3]
	s_delay_alu instid0(VALU_DEP_1) | instskip(NEXT) | instid1(VALU_DEP_2)
	v_add_co_u32 v16, vcc_lo, v22, v16
	v_add_co_ci_u32_e32 v17, vcc_lo, v23, v17, vcc_lo
	flat_load_b64 v[16:17], v[16:17]
	s_waitcnt vmcnt(0) lgkmcnt(0)
	v_mul_f64 v[16:17], v[16:17], s[10:11]
	s_branch .LBB160_314
.LBB160_313:
	v_mov_b32_e32 v16, 0
	v_mov_b32_e32 v17, 0
.LBB160_314:
	s_delay_alu instid0(VALU_DEP_1) | instskip(SKIP_2) | instid1(VALU_DEP_1)
	v_cvt_f32_f64_e32 v16, v[16:17]
	v_max_f32_e32 v17, v80, v80
	v_lshlrev_b64 v[24:25], 3, v[2:3]
	v_add_co_u32 v24, vcc_lo, v20, v24
	s_delay_alu instid0(VALU_DEP_2) | instskip(NEXT) | instid1(VALU_DEP_4)
	v_add_co_ci_u32_e32 v25, vcc_lo, v21, v25, vcc_lo
	v_min_f32_e32 v16, v16, v17
	s_delay_alu instid0(VALU_DEP_1) | instskip(SKIP_3) | instid1(SALU_CYCLE_1)
	v_cvt_f64_f32_e32 v[16:17], v16
	global_store_b64 v[24:25], v[16:17], off
	s_or_b32 exec_lo, exec_lo, s16
	s_and_b32 s19, s2, s8
	s_and_saveexec_b32 s16, s19
	s_cbranch_execz .LBB160_302
.LBB160_315:
	v_cmp_ne_u32_e32 vcc_lo, 1, v18
	s_cbranch_vccnz .LBB160_317
; %bb.316:
	v_lshlrev_b64 v[16:17], 3, v[4:5]
	s_delay_alu instid0(VALU_DEP_1) | instskip(NEXT) | instid1(VALU_DEP_2)
	v_add_co_u32 v16, vcc_lo, v22, v16
	v_add_co_ci_u32_e32 v17, vcc_lo, v23, v17, vcc_lo
	flat_load_b64 v[16:17], v[16:17]
	s_waitcnt vmcnt(0) lgkmcnt(0)
	v_mul_f64 v[16:17], v[16:17], s[10:11]
	s_branch .LBB160_318
.LBB160_317:
	v_mov_b32_e32 v16, 0
	v_mov_b32_e32 v17, 0
.LBB160_318:
	s_delay_alu instid0(VALU_DEP_1) | instskip(SKIP_2) | instid1(VALU_DEP_1)
	v_cvt_f32_f64_e32 v16, v[16:17]
	v_max_f32_e32 v17, v79, v79
	v_lshlrev_b64 v[24:25], 3, v[4:5]
	v_add_co_u32 v24, vcc_lo, v20, v24
	s_delay_alu instid0(VALU_DEP_2) | instskip(NEXT) | instid1(VALU_DEP_4)
	v_add_co_ci_u32_e32 v25, vcc_lo, v21, v25, vcc_lo
	v_min_f32_e32 v16, v16, v17
	s_delay_alu instid0(VALU_DEP_1) | instskip(SKIP_3) | instid1(SALU_CYCLE_1)
	v_cvt_f64_f32_e32 v[16:17], v16
	global_store_b64 v[24:25], v[16:17], off
	s_or_b32 exec_lo, exec_lo, s16
	s_and_b32 s19, s3, s8
	s_and_saveexec_b32 s16, s19
	s_cbranch_execz .LBB160_303
.LBB160_319:
	v_cmp_ne_u32_e32 vcc_lo, 1, v18
	s_cbranch_vccnz .LBB160_321
; %bb.320:
	v_lshlrev_b64 v[16:17], 3, v[6:7]
	s_delay_alu instid0(VALU_DEP_1) | instskip(NEXT) | instid1(VALU_DEP_2)
	v_add_co_u32 v16, vcc_lo, v22, v16
	v_add_co_ci_u32_e32 v17, vcc_lo, v23, v17, vcc_lo
	flat_load_b64 v[16:17], v[16:17]
	s_waitcnt vmcnt(0) lgkmcnt(0)
	v_mul_f64 v[16:17], v[16:17], s[10:11]
	s_branch .LBB160_322
.LBB160_321:
	v_mov_b32_e32 v16, 0
	v_mov_b32_e32 v17, 0
.LBB160_322:
	s_delay_alu instid0(VALU_DEP_1) | instskip(SKIP_2) | instid1(VALU_DEP_1)
	v_cvt_f32_f64_e32 v16, v[16:17]
	v_max_f32_e32 v17, v78, v78
	v_lshlrev_b64 v[24:25], 3, v[6:7]
	v_add_co_u32 v24, vcc_lo, v20, v24
	s_delay_alu instid0(VALU_DEP_2) | instskip(NEXT) | instid1(VALU_DEP_4)
	v_add_co_ci_u32_e32 v25, vcc_lo, v21, v25, vcc_lo
	v_min_f32_e32 v16, v16, v17
	s_delay_alu instid0(VALU_DEP_1) | instskip(SKIP_3) | instid1(SALU_CYCLE_1)
	v_cvt_f64_f32_e32 v[16:17], v16
	global_store_b64 v[24:25], v[16:17], off
	s_or_b32 exec_lo, exec_lo, s16
	s_and_b32 s19, s4, s8
	s_and_saveexec_b32 s16, s19
	s_cbranch_execz .LBB160_304
.LBB160_323:
	v_cmp_ne_u32_e32 vcc_lo, 1, v18
	s_cbranch_vccnz .LBB160_325
; %bb.324:
	v_lshlrev_b64 v[16:17], 3, v[8:9]
	s_delay_alu instid0(VALU_DEP_1) | instskip(NEXT) | instid1(VALU_DEP_2)
	v_add_co_u32 v16, vcc_lo, v22, v16
	v_add_co_ci_u32_e32 v17, vcc_lo, v23, v17, vcc_lo
	flat_load_b64 v[16:17], v[16:17]
	s_waitcnt vmcnt(0) lgkmcnt(0)
	v_mul_f64 v[16:17], v[16:17], s[10:11]
	s_branch .LBB160_326
.LBB160_325:
	v_mov_b32_e32 v16, 0
	v_mov_b32_e32 v17, 0
.LBB160_326:
	s_delay_alu instid0(VALU_DEP_1) | instskip(SKIP_2) | instid1(VALU_DEP_1)
	v_cvt_f32_f64_e32 v16, v[16:17]
	v_max_f32_e32 v17, v77, v77
	v_lshlrev_b64 v[24:25], 3, v[8:9]
	v_add_co_u32 v24, vcc_lo, v20, v24
	s_delay_alu instid0(VALU_DEP_2) | instskip(NEXT) | instid1(VALU_DEP_4)
	v_add_co_ci_u32_e32 v25, vcc_lo, v21, v25, vcc_lo
	v_min_f32_e32 v16, v16, v17
	s_delay_alu instid0(VALU_DEP_1) | instskip(SKIP_3) | instid1(SALU_CYCLE_1)
	v_cvt_f64_f32_e32 v[16:17], v16
	global_store_b64 v[24:25], v[16:17], off
	s_or_b32 exec_lo, exec_lo, s16
	s_and_b32 s19, s5, s8
	s_and_saveexec_b32 s16, s19
	s_cbranch_execz .LBB160_305
.LBB160_327:
	v_cmp_ne_u32_e32 vcc_lo, 1, v18
	s_cbranch_vccnz .LBB160_329
; %bb.328:
	v_lshlrev_b64 v[16:17], 3, v[10:11]
	s_delay_alu instid0(VALU_DEP_1) | instskip(NEXT) | instid1(VALU_DEP_2)
	v_add_co_u32 v16, vcc_lo, v22, v16
	v_add_co_ci_u32_e32 v17, vcc_lo, v23, v17, vcc_lo
	flat_load_b64 v[16:17], v[16:17]
	s_waitcnt vmcnt(0) lgkmcnt(0)
	v_mul_f64 v[16:17], v[16:17], s[10:11]
	s_branch .LBB160_330
.LBB160_329:
	v_mov_b32_e32 v16, 0
	v_mov_b32_e32 v17, 0
.LBB160_330:
	s_delay_alu instid0(VALU_DEP_1) | instskip(SKIP_2) | instid1(VALU_DEP_1)
	v_cvt_f32_f64_e32 v16, v[16:17]
	v_max_f32_e32 v17, v76, v76
	v_lshlrev_b64 v[24:25], 3, v[10:11]
	v_add_co_u32 v24, vcc_lo, v20, v24
	s_delay_alu instid0(VALU_DEP_2) | instskip(NEXT) | instid1(VALU_DEP_4)
	v_add_co_ci_u32_e32 v25, vcc_lo, v21, v25, vcc_lo
	v_min_f32_e32 v16, v16, v17
	s_delay_alu instid0(VALU_DEP_1) | instskip(SKIP_3) | instid1(SALU_CYCLE_1)
	v_cvt_f64_f32_e32 v[16:17], v16
	global_store_b64 v[24:25], v[16:17], off
	s_or_b32 exec_lo, exec_lo, s16
	s_and_b32 s19, s6, s8
	s_and_saveexec_b32 s16, s19
	s_cbranch_execz .LBB160_306
.LBB160_331:
	v_cmp_ne_u32_e32 vcc_lo, 1, v18
	s_cbranch_vccnz .LBB160_333
; %bb.332:
	v_lshlrev_b64 v[16:17], 3, v[12:13]
	s_delay_alu instid0(VALU_DEP_1) | instskip(NEXT) | instid1(VALU_DEP_2)
	v_add_co_u32 v16, vcc_lo, v22, v16
	v_add_co_ci_u32_e32 v17, vcc_lo, v23, v17, vcc_lo
	flat_load_b64 v[16:17], v[16:17]
	s_waitcnt vmcnt(0) lgkmcnt(0)
	v_mul_f64 v[16:17], v[16:17], s[10:11]
	s_branch .LBB160_334
.LBB160_333:
	v_mov_b32_e32 v16, 0
	v_mov_b32_e32 v17, 0
.LBB160_334:
	s_delay_alu instid0(VALU_DEP_1) | instskip(SKIP_2) | instid1(VALU_DEP_1)
	v_cvt_f32_f64_e32 v16, v[16:17]
	v_max_f32_e32 v17, v75, v75
	v_lshlrev_b64 v[24:25], 3, v[12:13]
	v_add_co_u32 v24, vcc_lo, v20, v24
	s_delay_alu instid0(VALU_DEP_2) | instskip(NEXT) | instid1(VALU_DEP_4)
	v_add_co_ci_u32_e32 v25, vcc_lo, v21, v25, vcc_lo
	v_min_f32_e32 v16, v16, v17
	s_delay_alu instid0(VALU_DEP_1) | instskip(SKIP_3) | instid1(SALU_CYCLE_1)
	v_cvt_f64_f32_e32 v[16:17], v16
	global_store_b64 v[24:25], v[16:17], off
	s_or_b32 exec_lo, exec_lo, s16
	s_and_b32 s16, s7, s8
	s_and_saveexec_b32 s8, s16
	s_cbranch_execz .LBB160_339
.LBB160_335:
	v_cmp_ne_u32_e32 vcc_lo, 1, v18
	s_cbranch_vccnz .LBB160_337
; %bb.336:
	v_lshlrev_b64 v[16:17], 3, v[14:15]
	s_delay_alu instid0(VALU_DEP_1) | instskip(NEXT) | instid1(VALU_DEP_2)
	v_add_co_u32 v16, vcc_lo, v22, v16
	v_add_co_ci_u32_e32 v17, vcc_lo, v23, v17, vcc_lo
	flat_load_b64 v[16:17], v[16:17]
	s_waitcnt vmcnt(0) lgkmcnt(0)
	v_mul_f64 v[16:17], v[16:17], s[10:11]
	s_branch .LBB160_338
.LBB160_337:
	v_mov_b32_e32 v16, 0
	v_mov_b32_e32 v17, 0
.LBB160_338:
	s_delay_alu instid0(VALU_DEP_1) | instskip(SKIP_2) | instid1(VALU_DEP_1)
	v_cvt_f32_f64_e32 v16, v[16:17]
	v_max_f32_e32 v17, v74, v74
	v_lshlrev_b64 v[22:23], 3, v[14:15]
	v_add_co_u32 v20, vcc_lo, v20, v22
	s_delay_alu instid0(VALU_DEP_2) | instskip(NEXT) | instid1(VALU_DEP_4)
	v_add_co_ci_u32_e32 v21, vcc_lo, v21, v23, vcc_lo
	v_min_f32_e32 v16, v16, v17
	s_delay_alu instid0(VALU_DEP_1)
	v_cvt_f64_f32_e32 v[16:17], v16
	global_store_b64 v[20:21], v[16:17], off
.LBB160_339:
	s_or_b32 exec_lo, exec_lo, s8
	v_add_nc_u32_e32 v21, 56, v19
	s_delay_alu instid0(VALU_DEP_1) | instskip(SKIP_2) | instid1(VALU_DEP_3)
	v_mad_i64_i32 v[16:17], null, v21, s18, 0
	v_mad_i64_i32 v[19:20], null, v21, s9, 0
	v_cmp_gt_i32_e64 s8, s17, v21
	v_lshlrev_b64 v[16:17], 3, v[16:17]
	s_delay_alu instid0(VALU_DEP_2) | instskip(NEXT) | instid1(VALU_DEP_3)
	s_and_b32 s9, s0, s8
	v_lshlrev_b64 v[21:22], 3, v[19:20]
	s_delay_alu instid0(VALU_DEP_2) | instskip(NEXT) | instid1(VALU_DEP_3)
	v_add_co_u32 v19, vcc_lo, s12, v16
	v_add_co_ci_u32_e32 v20, vcc_lo, s13, v17, vcc_lo
	s_delay_alu instid0(VALU_DEP_3) | instskip(NEXT) | instid1(VALU_DEP_4)
	v_add_co_u32 v16, vcc_lo, s14, v21
	v_add_co_ci_u32_e32 v17, vcc_lo, s15, v22, vcc_lo
	s_and_saveexec_b32 s0, s9
	s_cbranch_execnz .LBB160_348
; %bb.340:
	s_or_b32 exec_lo, exec_lo, s0
	s_and_b32 s1, s1, s8
	s_delay_alu instid0(SALU_CYCLE_1)
	s_and_saveexec_b32 s0, s1
	s_cbranch_execnz .LBB160_352
.LBB160_341:
	s_or_b32 exec_lo, exec_lo, s0
	s_and_b32 s1, s2, s8
	s_delay_alu instid0(SALU_CYCLE_1)
	s_and_saveexec_b32 s0, s1
	s_cbranch_execnz .LBB160_356
.LBB160_342:
	s_or_b32 exec_lo, exec_lo, s0
	s_and_b32 s1, s3, s8
	s_delay_alu instid0(SALU_CYCLE_1)
	s_and_saveexec_b32 s0, s1
	s_cbranch_execnz .LBB160_360
.LBB160_343:
	s_or_b32 exec_lo, exec_lo, s0
	s_and_b32 s1, s4, s8
	s_delay_alu instid0(SALU_CYCLE_1)
	s_and_saveexec_b32 s0, s1
	s_cbranch_execnz .LBB160_364
.LBB160_344:
	s_or_b32 exec_lo, exec_lo, s0
	s_and_b32 s1, s5, s8
	s_delay_alu instid0(SALU_CYCLE_1)
	s_and_saveexec_b32 s0, s1
	s_cbranch_execnz .LBB160_368
.LBB160_345:
	s_or_b32 exec_lo, exec_lo, s0
	s_and_b32 s1, s6, s8
	s_delay_alu instid0(SALU_CYCLE_1)
	s_and_saveexec_b32 s0, s1
	s_cbranch_execnz .LBB160_372
.LBB160_346:
	s_or_b32 exec_lo, exec_lo, s0
	s_and_b32 s0, s7, s8
	s_delay_alu instid0(SALU_CYCLE_1)
	s_and_saveexec_b32 s1, s0
	s_cbranch_execnz .LBB160_376
.LBB160_347:
	s_nop 0
	s_sendmsg sendmsg(MSG_DEALLOC_VGPRS)
	s_endpgm
.LBB160_348:
	v_cmp_ne_u32_e32 vcc_lo, 1, v18
	v_lshlrev_b64 v[0:1], 3, v[0:1]
	s_cbranch_vccnz .LBB160_350
; %bb.349:
	s_delay_alu instid0(VALU_DEP_1) | instskip(NEXT) | instid1(VALU_DEP_2)
	v_add_co_u32 v21, vcc_lo, v19, v0
	v_add_co_ci_u32_e32 v22, vcc_lo, v20, v1, vcc_lo
	flat_load_b64 v[21:22], v[21:22]
	s_waitcnt vmcnt(0) lgkmcnt(0)
	v_mul_f64 v[21:22], v[21:22], s[10:11]
	s_delay_alu instid0(VALU_DEP_1)
	v_cvt_f32_f64_e32 v21, v[21:22]
	s_branch .LBB160_351
.LBB160_350:
	v_mov_b32_e32 v21, 0
.LBB160_351:
	v_max_f32_e32 v22, v73, v73
	s_delay_alu instid0(VALU_DEP_2) | instskip(NEXT) | instid1(VALU_DEP_4)
	v_max_f32_e32 v21, v21, v21
	v_add_co_u32 v0, vcc_lo, v16, v0
	v_add_co_ci_u32_e32 v1, vcc_lo, v17, v1, vcc_lo
	s_delay_alu instid0(VALU_DEP_3) | instskip(NEXT) | instid1(VALU_DEP_1)
	v_min_f32_e32 v21, v21, v22
	v_cvt_f64_f32_e32 v[21:22], v21
	global_store_b64 v[0:1], v[21:22], off
	s_or_b32 exec_lo, exec_lo, s0
	s_and_b32 s1, s1, s8
	s_delay_alu instid0(SALU_CYCLE_1)
	s_and_saveexec_b32 s0, s1
	s_cbranch_execz .LBB160_341
.LBB160_352:
	v_cmp_ne_u32_e32 vcc_lo, 1, v18
	v_lshlrev_b64 v[0:1], 3, v[2:3]
	s_cbranch_vccnz .LBB160_354
; %bb.353:
	s_delay_alu instid0(VALU_DEP_1) | instskip(NEXT) | instid1(VALU_DEP_2)
	v_add_co_u32 v2, vcc_lo, v19, v0
	v_add_co_ci_u32_e32 v3, vcc_lo, v20, v1, vcc_lo
	flat_load_b64 v[2:3], v[2:3]
	s_waitcnt vmcnt(0) lgkmcnt(0)
	v_mul_f64 v[2:3], v[2:3], s[10:11]
	s_delay_alu instid0(VALU_DEP_1)
	v_cvt_f32_f64_e32 v2, v[2:3]
	s_branch .LBB160_355
.LBB160_354:
	v_mov_b32_e32 v2, 0
.LBB160_355:
	s_delay_alu instid0(VALU_DEP_1) | instskip(NEXT) | instid1(VALU_DEP_3)
	v_dual_max_f32 v3, v72, v72 :: v_dual_max_f32 v2, v2, v2
	v_add_co_u32 v0, vcc_lo, v16, v0
	s_delay_alu instid0(VALU_DEP_4) | instskip(NEXT) | instid1(VALU_DEP_3)
	v_add_co_ci_u32_e32 v1, vcc_lo, v17, v1, vcc_lo
	v_min_f32_e32 v2, v2, v3
	s_delay_alu instid0(VALU_DEP_1) | instskip(SKIP_3) | instid1(SALU_CYCLE_1)
	v_cvt_f64_f32_e32 v[2:3], v2
	global_store_b64 v[0:1], v[2:3], off
	s_or_b32 exec_lo, exec_lo, s0
	s_and_b32 s1, s2, s8
	s_and_saveexec_b32 s0, s1
	s_cbranch_execz .LBB160_342
.LBB160_356:
	v_cmp_ne_u32_e32 vcc_lo, 1, v18
	v_lshlrev_b64 v[0:1], 3, v[4:5]
	s_cbranch_vccnz .LBB160_358
; %bb.357:
	s_delay_alu instid0(VALU_DEP_1) | instskip(NEXT) | instid1(VALU_DEP_2)
	v_add_co_u32 v2, vcc_lo, v19, v0
	v_add_co_ci_u32_e32 v3, vcc_lo, v20, v1, vcc_lo
	flat_load_b64 v[2:3], v[2:3]
	s_waitcnt vmcnt(0) lgkmcnt(0)
	v_mul_f64 v[2:3], v[2:3], s[10:11]
	s_delay_alu instid0(VALU_DEP_1)
	v_cvt_f32_f64_e32 v2, v[2:3]
	s_branch .LBB160_359
.LBB160_358:
	v_mov_b32_e32 v2, 0
.LBB160_359:
	s_delay_alu instid0(VALU_DEP_1) | instskip(NEXT) | instid1(VALU_DEP_3)
	v_dual_max_f32 v3, v71, v71 :: v_dual_max_f32 v2, v2, v2
	v_add_co_u32 v0, vcc_lo, v16, v0
	s_delay_alu instid0(VALU_DEP_4) | instskip(NEXT) | instid1(VALU_DEP_3)
	v_add_co_ci_u32_e32 v1, vcc_lo, v17, v1, vcc_lo
	v_min_f32_e32 v2, v2, v3
	s_delay_alu instid0(VALU_DEP_1) | instskip(SKIP_3) | instid1(SALU_CYCLE_1)
	v_cvt_f64_f32_e32 v[2:3], v2
	global_store_b64 v[0:1], v[2:3], off
	s_or_b32 exec_lo, exec_lo, s0
	s_and_b32 s1, s3, s8
	s_and_saveexec_b32 s0, s1
	s_cbranch_execz .LBB160_343
.LBB160_360:
	v_cmp_ne_u32_e32 vcc_lo, 1, v18
	v_lshlrev_b64 v[0:1], 3, v[6:7]
	s_cbranch_vccnz .LBB160_362
; %bb.361:
	s_delay_alu instid0(VALU_DEP_1) | instskip(NEXT) | instid1(VALU_DEP_2)
	v_add_co_u32 v2, vcc_lo, v19, v0
	v_add_co_ci_u32_e32 v3, vcc_lo, v20, v1, vcc_lo
	flat_load_b64 v[2:3], v[2:3]
	s_waitcnt vmcnt(0) lgkmcnt(0)
	v_mul_f64 v[2:3], v[2:3], s[10:11]
	s_delay_alu instid0(VALU_DEP_1)
	v_cvt_f32_f64_e32 v2, v[2:3]
	s_branch .LBB160_363
.LBB160_362:
	v_mov_b32_e32 v2, 0
.LBB160_363:
	v_max_f32_e32 v3, v70, v70
	s_delay_alu instid0(VALU_DEP_2) | instskip(NEXT) | instid1(VALU_DEP_4)
	v_max_f32_e32 v2, v2, v2
	v_add_co_u32 v0, vcc_lo, v16, v0
	v_add_co_ci_u32_e32 v1, vcc_lo, v17, v1, vcc_lo
	s_delay_alu instid0(VALU_DEP_3) | instskip(NEXT) | instid1(VALU_DEP_1)
	v_min_f32_e32 v2, v2, v3
	v_cvt_f64_f32_e32 v[2:3], v2
	global_store_b64 v[0:1], v[2:3], off
	s_or_b32 exec_lo, exec_lo, s0
	s_and_b32 s1, s4, s8
	s_delay_alu instid0(SALU_CYCLE_1)
	s_and_saveexec_b32 s0, s1
	s_cbranch_execz .LBB160_344
.LBB160_364:
	v_cmp_ne_u32_e32 vcc_lo, 1, v18
	v_lshlrev_b64 v[0:1], 3, v[8:9]
	s_cbranch_vccnz .LBB160_366
; %bb.365:
	s_delay_alu instid0(VALU_DEP_1) | instskip(NEXT) | instid1(VALU_DEP_2)
	v_add_co_u32 v2, vcc_lo, v19, v0
	v_add_co_ci_u32_e32 v3, vcc_lo, v20, v1, vcc_lo
	flat_load_b64 v[2:3], v[2:3]
	s_waitcnt vmcnt(0) lgkmcnt(0)
	v_mul_f64 v[2:3], v[2:3], s[10:11]
	s_delay_alu instid0(VALU_DEP_1)
	v_cvt_f32_f64_e32 v2, v[2:3]
	s_branch .LBB160_367
.LBB160_366:
	v_mov_b32_e32 v2, 0
.LBB160_367:
	s_delay_alu instid0(VALU_DEP_1) | instskip(NEXT) | instid1(VALU_DEP_3)
	v_dual_max_f32 v3, v69, v69 :: v_dual_max_f32 v2, v2, v2
	v_add_co_u32 v0, vcc_lo, v16, v0
	s_delay_alu instid0(VALU_DEP_4) | instskip(NEXT) | instid1(VALU_DEP_3)
	v_add_co_ci_u32_e32 v1, vcc_lo, v17, v1, vcc_lo
	v_min_f32_e32 v2, v2, v3
	s_delay_alu instid0(VALU_DEP_1) | instskip(SKIP_3) | instid1(SALU_CYCLE_1)
	v_cvt_f64_f32_e32 v[2:3], v2
	global_store_b64 v[0:1], v[2:3], off
	s_or_b32 exec_lo, exec_lo, s0
	s_and_b32 s1, s5, s8
	s_and_saveexec_b32 s0, s1
	s_cbranch_execz .LBB160_345
.LBB160_368:
	v_cmp_ne_u32_e32 vcc_lo, 1, v18
	v_lshlrev_b64 v[0:1], 3, v[10:11]
	s_cbranch_vccnz .LBB160_370
; %bb.369:
	s_delay_alu instid0(VALU_DEP_1) | instskip(NEXT) | instid1(VALU_DEP_2)
	v_add_co_u32 v2, vcc_lo, v19, v0
	v_add_co_ci_u32_e32 v3, vcc_lo, v20, v1, vcc_lo
	flat_load_b64 v[2:3], v[2:3]
	s_waitcnt vmcnt(0) lgkmcnt(0)
	v_mul_f64 v[2:3], v[2:3], s[10:11]
	s_delay_alu instid0(VALU_DEP_1)
	v_cvt_f32_f64_e32 v2, v[2:3]
	s_branch .LBB160_371
.LBB160_370:
	v_mov_b32_e32 v2, 0
.LBB160_371:
	s_delay_alu instid0(VALU_DEP_1) | instskip(NEXT) | instid1(VALU_DEP_3)
	v_dual_max_f32 v3, v68, v68 :: v_dual_max_f32 v2, v2, v2
	v_add_co_u32 v0, vcc_lo, v16, v0
	s_delay_alu instid0(VALU_DEP_4) | instskip(NEXT) | instid1(VALU_DEP_3)
	v_add_co_ci_u32_e32 v1, vcc_lo, v17, v1, vcc_lo
	v_min_f32_e32 v2, v2, v3
	s_delay_alu instid0(VALU_DEP_1) | instskip(SKIP_3) | instid1(SALU_CYCLE_1)
	v_cvt_f64_f32_e32 v[2:3], v2
	global_store_b64 v[0:1], v[2:3], off
	s_or_b32 exec_lo, exec_lo, s0
	s_and_b32 s1, s6, s8
	s_and_saveexec_b32 s0, s1
	s_cbranch_execz .LBB160_346
.LBB160_372:
	v_cmp_ne_u32_e32 vcc_lo, 1, v18
	v_lshlrev_b64 v[0:1], 3, v[12:13]
	s_cbranch_vccnz .LBB160_374
; %bb.373:
	s_delay_alu instid0(VALU_DEP_1) | instskip(NEXT) | instid1(VALU_DEP_2)
	v_add_co_u32 v2, vcc_lo, v19, v0
	v_add_co_ci_u32_e32 v3, vcc_lo, v20, v1, vcc_lo
	flat_load_b64 v[2:3], v[2:3]
	s_waitcnt vmcnt(0) lgkmcnt(0)
	v_mul_f64 v[2:3], v[2:3], s[10:11]
	s_delay_alu instid0(VALU_DEP_1)
	v_cvt_f32_f64_e32 v2, v[2:3]
	s_branch .LBB160_375
.LBB160_374:
	v_mov_b32_e32 v2, 0
.LBB160_375:
	s_delay_alu instid0(VALU_DEP_1) | instskip(NEXT) | instid1(VALU_DEP_3)
	v_dual_max_f32 v3, v67, v67 :: v_dual_max_f32 v2, v2, v2
	v_add_co_u32 v0, vcc_lo, v16, v0
	s_delay_alu instid0(VALU_DEP_4) | instskip(NEXT) | instid1(VALU_DEP_3)
	v_add_co_ci_u32_e32 v1, vcc_lo, v17, v1, vcc_lo
	v_min_f32_e32 v2, v2, v3
	s_delay_alu instid0(VALU_DEP_1) | instskip(SKIP_3) | instid1(SALU_CYCLE_1)
	v_cvt_f64_f32_e32 v[2:3], v2
	global_store_b64 v[0:1], v[2:3], off
	s_or_b32 exec_lo, exec_lo, s0
	s_and_b32 s0, s7, s8
	s_and_saveexec_b32 s1, s0
	s_cbranch_execz .LBB160_347
.LBB160_376:
	v_cmp_ne_u32_e32 vcc_lo, 1, v18
	v_lshlrev_b64 v[0:1], 3, v[14:15]
	s_cbranch_vccnz .LBB160_378
; %bb.377:
	s_delay_alu instid0(VALU_DEP_1) | instskip(NEXT) | instid1(VALU_DEP_2)
	v_add_co_u32 v2, vcc_lo, v19, v0
	v_add_co_ci_u32_e32 v3, vcc_lo, v20, v1, vcc_lo
	flat_load_b64 v[2:3], v[2:3]
	s_waitcnt vmcnt(0) lgkmcnt(0)
	v_mul_f64 v[2:3], v[2:3], s[10:11]
	s_delay_alu instid0(VALU_DEP_1)
	v_cvt_f32_f64_e32 v2, v[2:3]
	s_branch .LBB160_379
.LBB160_378:
	v_mov_b32_e32 v2, 0
.LBB160_379:
	v_max_f32_e32 v3, v66, v66
	s_delay_alu instid0(VALU_DEP_2) | instskip(NEXT) | instid1(VALU_DEP_4)
	v_max_f32_e32 v2, v2, v2
	v_add_co_u32 v0, vcc_lo, v16, v0
	v_add_co_ci_u32_e32 v1, vcc_lo, v17, v1, vcc_lo
	s_delay_alu instid0(VALU_DEP_3) | instskip(NEXT) | instid1(VALU_DEP_1)
	v_min_f32_e32 v2, v2, v3
	v_cvt_f64_f32_e32 v[2:3], v2
	global_store_b64 v[0:1], v[2:3], off
	s_nop 0
	s_sendmsg sendmsg(MSG_DEALLOC_VGPRS)
	s_endpgm
	.section	.rodata,"a",@progbits
	.p2align	6, 0x0
	.amdhsa_kernel _ZN12_GLOBAL__N_120geam_min_plus_kernelId15HIP_vector_typeIdLj2EEdLi32ELi8ELi256ELi64ELi4ELi64ELi4ELi4ELi64ELc78ELc78ELb1ELb1ELb1EdKddEEviiiT16_PT17_ilS6_ilS4_S6_ilPT18_ili26rocblas_geam_ex_operation_
		.amdhsa_group_segment_fixed_size 20480
		.amdhsa_private_segment_fixed_size 0
		.amdhsa_kernarg_size 136
		.amdhsa_user_sgpr_count 14
		.amdhsa_user_sgpr_dispatch_ptr 0
		.amdhsa_user_sgpr_queue_ptr 0
		.amdhsa_user_sgpr_kernarg_segment_ptr 1
		.amdhsa_user_sgpr_dispatch_id 0
		.amdhsa_user_sgpr_private_segment_size 0
		.amdhsa_wavefront_size32 1
		.amdhsa_uses_dynamic_stack 0
		.amdhsa_enable_private_segment 0
		.amdhsa_system_sgpr_workgroup_id_x 1
		.amdhsa_system_sgpr_workgroup_id_y 0
		.amdhsa_system_sgpr_workgroup_id_z 1
		.amdhsa_system_sgpr_workgroup_info 0
		.amdhsa_system_vgpr_workitem_id 1
		.amdhsa_next_free_vgpr 158
		.amdhsa_next_free_sgpr 32
		.amdhsa_reserve_vcc 1
		.amdhsa_float_round_mode_32 0
		.amdhsa_float_round_mode_16_64 0
		.amdhsa_float_denorm_mode_32 3
		.amdhsa_float_denorm_mode_16_64 3
		.amdhsa_dx10_clamp 1
		.amdhsa_ieee_mode 1
		.amdhsa_fp16_overflow 0
		.amdhsa_workgroup_processor_mode 1
		.amdhsa_memory_ordered 1
		.amdhsa_forward_progress 0
		.amdhsa_shared_vgpr_count 0
		.amdhsa_exception_fp_ieee_invalid_op 0
		.amdhsa_exception_fp_denorm_src 0
		.amdhsa_exception_fp_ieee_div_zero 0
		.amdhsa_exception_fp_ieee_overflow 0
		.amdhsa_exception_fp_ieee_underflow 0
		.amdhsa_exception_fp_ieee_inexact 0
		.amdhsa_exception_int_div_zero 0
	.end_amdhsa_kernel
	.section	.text._ZN12_GLOBAL__N_120geam_min_plus_kernelId15HIP_vector_typeIdLj2EEdLi32ELi8ELi256ELi64ELi4ELi64ELi4ELi4ELi64ELc78ELc78ELb1ELb1ELb1EdKddEEviiiT16_PT17_ilS6_ilS4_S6_ilPT18_ili26rocblas_geam_ex_operation_,"axG",@progbits,_ZN12_GLOBAL__N_120geam_min_plus_kernelId15HIP_vector_typeIdLj2EEdLi32ELi8ELi256ELi64ELi4ELi64ELi4ELi4ELi64ELc78ELc78ELb1ELb1ELb1EdKddEEviiiT16_PT17_ilS6_ilS4_S6_ilPT18_ili26rocblas_geam_ex_operation_,comdat
.Lfunc_end160:
	.size	_ZN12_GLOBAL__N_120geam_min_plus_kernelId15HIP_vector_typeIdLj2EEdLi32ELi8ELi256ELi64ELi4ELi64ELi4ELi4ELi64ELc78ELc78ELb1ELb1ELb1EdKddEEviiiT16_PT17_ilS6_ilS4_S6_ilPT18_ili26rocblas_geam_ex_operation_, .Lfunc_end160-_ZN12_GLOBAL__N_120geam_min_plus_kernelId15HIP_vector_typeIdLj2EEdLi32ELi8ELi256ELi64ELi4ELi64ELi4ELi4ELi64ELc78ELc78ELb1ELb1ELb1EdKddEEviiiT16_PT17_ilS6_ilS4_S6_ilPT18_ili26rocblas_geam_ex_operation_
                                        ; -- End function
	.section	.AMDGPU.csdata,"",@progbits
; Kernel info:
; codeLenInByte = 23812
; NumSgprs: 34
; NumVgprs: 158
; ScratchSize: 0
; MemoryBound: 0
; FloatMode: 240
; IeeeMode: 1
; LDSByteSize: 20480 bytes/workgroup (compile time only)
; SGPRBlocks: 4
; VGPRBlocks: 19
; NumSGPRsForWavesPerEU: 34
; NumVGPRsForWavesPerEU: 158
; Occupancy: 9
; WaveLimiterHint : 0
; COMPUTE_PGM_RSRC2:SCRATCH_EN: 0
; COMPUTE_PGM_RSRC2:USER_SGPR: 14
; COMPUTE_PGM_RSRC2:TRAP_HANDLER: 0
; COMPUTE_PGM_RSRC2:TGID_X_EN: 1
; COMPUTE_PGM_RSRC2:TGID_Y_EN: 0
; COMPUTE_PGM_RSRC2:TGID_Z_EN: 1
; COMPUTE_PGM_RSRC2:TIDIG_COMP_CNT: 1
	.section	.text._ZN12_GLOBAL__N_120geam_min_plus_kernelId15HIP_vector_typeIdLj2EEdLi32ELi8ELi256ELi64ELi4ELi64ELi4ELi4ELi64ELc78ELc78ELb0ELb1ELb1EdKddEEviiiT16_PT17_ilS6_ilS4_S6_ilPT18_ili26rocblas_geam_ex_operation_,"axG",@progbits,_ZN12_GLOBAL__N_120geam_min_plus_kernelId15HIP_vector_typeIdLj2EEdLi32ELi8ELi256ELi64ELi4ELi64ELi4ELi4ELi64ELc78ELc78ELb0ELb1ELb1EdKddEEviiiT16_PT17_ilS6_ilS4_S6_ilPT18_ili26rocblas_geam_ex_operation_,comdat
	.globl	_ZN12_GLOBAL__N_120geam_min_plus_kernelId15HIP_vector_typeIdLj2EEdLi32ELi8ELi256ELi64ELi4ELi64ELi4ELi4ELi64ELc78ELc78ELb0ELb1ELb1EdKddEEviiiT16_PT17_ilS6_ilS4_S6_ilPT18_ili26rocblas_geam_ex_operation_ ; -- Begin function _ZN12_GLOBAL__N_120geam_min_plus_kernelId15HIP_vector_typeIdLj2EEdLi32ELi8ELi256ELi64ELi4ELi64ELi4ELi4ELi64ELc78ELc78ELb0ELb1ELb1EdKddEEviiiT16_PT17_ilS6_ilS4_S6_ilPT18_ili26rocblas_geam_ex_operation_
	.p2align	8
	.type	_ZN12_GLOBAL__N_120geam_min_plus_kernelId15HIP_vector_typeIdLj2EEdLi32ELi8ELi256ELi64ELi4ELi64ELi4ELi4ELi64ELc78ELc78ELb0ELb1ELb1EdKddEEviiiT16_PT17_ilS6_ilS4_S6_ilPT18_ili26rocblas_geam_ex_operation_,@function
_ZN12_GLOBAL__N_120geam_min_plus_kernelId15HIP_vector_typeIdLj2EEdLi32ELi8ELi256ELi64ELi4ELi64ELi4ELi4ELi64ELc78ELc78ELb0ELb1ELb1EdKddEEviiiT16_PT17_ilS6_ilS4_S6_ilPT18_ili26rocblas_geam_ex_operation_: ; @_ZN12_GLOBAL__N_120geam_min_plus_kernelId15HIP_vector_typeIdLj2EEdLi32ELi8ELi256ELi64ELi4ELi64ELi4ELi4ELi64ELc78ELc78ELb0ELb1ELb1EdKddEEviiiT16_PT17_ilS6_ilS4_S6_ilPT18_ili26rocblas_geam_ex_operation_
; %bb.0:
	s_clause 0x1
	s_load_b128 s[24:27], s[0:1], 0x10
	s_load_b128 s[4:7], s[0:1], 0x28
	s_mov_b64 s[28:29], 0
	s_waitcnt lgkmcnt(0)
	v_cmp_eq_f64_e64 s12, s[24:25], 0
	s_delay_alu instid0(VALU_DEP_1)
	s_and_b32 vcc_lo, exec_lo, s12
	s_cbranch_vccnz .LBB161_2
; %bb.1:
	s_mul_i32 s2, s15, s5
	s_mul_hi_u32 s3, s15, s4
	s_delay_alu instid0(SALU_CYCLE_1) | instskip(SKIP_1) | instid1(SALU_CYCLE_1)
	s_add_i32 s3, s3, s2
	s_mul_i32 s2, s15, s4
	s_lshl_b64 s[2:3], s[2:3], 3
	s_delay_alu instid0(SALU_CYCLE_1)
	s_add_u32 s28, s26, s2
	s_addc_u32 s29, s27, s3
.LBB161_2:
	s_clause 0x1
	s_load_b128 s[8:11], s[0:1], 0x40
	s_load_b64 s[2:3], s[0:1], 0x50
	s_and_not1_b32 vcc_lo, exec_lo, s12
	s_cbranch_vccnz .LBB161_4
; %bb.3:
	s_mov_b32 s30, 0
	s_mov_b64 s[26:27], 0
	s_cbranch_execz .LBB161_5
	s_branch .LBB161_6
.LBB161_4:
	s_mov_b32 s30, -1
                                        ; implicit-def: $sgpr26_sgpr27
.LBB161_5:
	s_waitcnt lgkmcnt(0)
	s_mul_i32 s4, s15, s9
	s_mul_hi_u32 s5, s15, s8
	s_mov_b32 s30, 0
	s_add_i32 s5, s5, s4
	s_mul_i32 s4, s15, s8
	s_delay_alu instid0(SALU_CYCLE_1) | instskip(NEXT) | instid1(SALU_CYCLE_1)
	s_lshl_b64 s[4:5], s[4:5], 3
	s_add_u32 s26, s6, s4
	s_addc_u32 s27, s7, s5
.LBB161_6:
	s_waitcnt lgkmcnt(0)
	v_cmp_eq_f64_e64 s4, s[10:11], 0
	v_cmp_neq_f64_e64 s9, s[10:11], 0
	s_load_b128 s[20:23], s[0:1], 0x60
	s_mov_b64 s[12:13], 0
	s_delay_alu instid0(VALU_DEP_2)
	s_and_b32 vcc_lo, exec_lo, s4
	s_cbranch_vccnz .LBB161_8
; %bb.7:
	s_waitcnt lgkmcnt(0)
	s_mul_i32 s4, s15, s21
	s_mul_hi_u32 s5, s15, s20
	s_mul_i32 s6, s30, s20
	s_add_i32 s4, s5, s4
	s_delay_alu instid0(SALU_CYCLE_1) | instskip(SKIP_1) | instid1(SALU_CYCLE_1)
	s_add_i32 s5, s4, s6
	s_mul_i32 s4, s15, s20
	s_lshl_b64 s[4:5], s[4:5], 3
	s_delay_alu instid0(SALU_CYCLE_1)
	s_add_u32 s12, s2, s4
	s_addc_u32 s13, s3, s5
.LBB161_8:
	s_load_b128 s[16:19], s[0:1], 0x0
	v_and_b32_e32 v121, 0x3ff, v0
	v_bfe_u32 v122, v0, 10, 10
	s_waitcnt lgkmcnt(0)
	v_cmp_eq_f64_e64 s20, s[24:25], 0
	s_load_b32 s19, s[0:1], 0x20
	s_delay_alu instid0(VALU_DEP_2) | instskip(NEXT) | instid1(VALU_DEP_1)
	v_lshl_add_u32 v8, v122, 5, v121
	v_lshrrev_b32_e32 v132, 6, v8
	v_and_b32_e32 v64, 63, v8
	s_add_i32 s2, s16, -1
	s_delay_alu instid0(VALU_DEP_2) | instskip(SKIP_1) | instid1(SALU_CYCLE_1)
	v_cmp_le_i32_e32 vcc_lo, s18, v132
	s_ashr_i32 s3, s2, 31
	s_lshr_b32 s3, s3, 24
	s_delay_alu instid0(SALU_CYCLE_1) | instskip(NEXT) | instid1(SALU_CYCLE_1)
	s_add_i32 s2, s2, s3
	s_ashr_i32 s2, s2, 8
	s_delay_alu instid0(SALU_CYCLE_1) | instskip(SKIP_2) | instid1(VALU_DEP_1)
	s_add_i32 s3, s2, 1
	s_not_b32 s2, s2
	v_cvt_f32_u32_e32 v1, s3
	v_rcp_iflag_f32_e32 v1, v1
	s_waitcnt_depctr 0xfff
	v_mul_f32_e32 v1, 0x4f7ffffe, v1
	s_delay_alu instid0(VALU_DEP_1) | instskip(NEXT) | instid1(VALU_DEP_1)
	v_cvt_u32_f32_e32 v1, v1
	v_readfirstlane_b32 s4, v1
	s_delay_alu instid0(VALU_DEP_1) | instskip(NEXT) | instid1(SALU_CYCLE_1)
	s_mul_i32 s2, s2, s4
	s_mul_hi_u32 s2, s4, s2
	s_delay_alu instid0(SALU_CYCLE_1) | instskip(NEXT) | instid1(SALU_CYCLE_1)
	s_add_i32 s4, s4, s2
	s_mul_hi_u32 s2, s14, s4
	s_delay_alu instid0(SALU_CYCLE_1) | instskip(SKIP_2) | instid1(SALU_CYCLE_1)
	s_mul_i32 s4, s2, s3
	s_add_i32 s5, s2, 1
	s_sub_i32 s4, s14, s4
	s_sub_i32 s6, s4, s3
	s_cmp_ge_u32 s4, s3
	s_cselect_b32 s2, s5, s2
	s_cselect_b32 s4, s6, s4
	s_add_i32 s5, s2, 1
	s_cmp_ge_u32 s4, s3
	s_cselect_b32 s6, s5, s2
	s_add_i32 s21, s18, -1
	s_mul_i32 s2, s6, s3
	v_min_i32_e32 v2, s21, v132
	s_sub_i32 s2, s14, s2
	s_delay_alu instid0(SALU_CYCLE_1) | instskip(SKIP_1) | instid1(VALU_DEP_1)
	s_lshl_b32 s8, s2, 8
	s_waitcnt lgkmcnt(0)
	v_mad_i64_i32 v[0:1], null, s19, v2, 0
	v_or_b32_e32 v52, s8, v64
	s_delay_alu instid0(VALU_DEP_1) | instskip(NEXT) | instid1(VALU_DEP_3)
	v_cmp_le_i32_e64 s2, s16, v52
	v_lshlrev_b64 v[2:3], 3, v[0:1]
	v_ashrrev_i32_e32 v53, 31, v52
	s_delay_alu instid0(VALU_DEP_3) | instskip(NEXT) | instid1(VALU_DEP_2)
	s_or_b32 s4, s2, vcc_lo
	v_add_co_u32 v9, s3, s28, v2
	v_cndmask_b32_e64 v1, 0, 0x7fefffff, s4
	v_cndmask_b32_e64 v0, 0, -1, s4
	v_add_co_ci_u32_e64 v10, s3, s29, v3, s3
	s_or_b32 s3, s20, s4
	s_delay_alu instid0(SALU_CYCLE_1) | instskip(NEXT) | instid1(SALU_CYCLE_1)
	s_xor_b32 s3, s3, -1
	s_and_saveexec_b32 s4, s3
	s_cbranch_execz .LBB161_10
; %bb.9:
	v_lshlrev_b64 v[0:1], 3, v[52:53]
	s_delay_alu instid0(VALU_DEP_1) | instskip(NEXT) | instid1(VALU_DEP_1)
	v_add_co_u32 v0, s3, v9, v0
	v_add_co_ci_u32_e64 v1, s3, v10, v1, s3
	flat_load_b64 v[0:1], v[0:1]
	s_waitcnt vmcnt(0) lgkmcnt(0)
	v_mul_f64 v[0:1], v[0:1], s[24:25]
.LBB161_10:
	s_or_b32 exec_lo, exec_lo, s4
	v_or_b32_e32 v2, 64, v52
	s_delay_alu instid0(VALU_DEP_1) | instskip(NEXT) | instid1(VALU_DEP_1)
	v_cmp_le_i32_e64 s3, s16, v2
	s_or_b32 s4, s3, vcc_lo
	s_delay_alu instid0(SALU_CYCLE_1) | instskip(SKIP_2) | instid1(SALU_CYCLE_1)
	v_cndmask_b32_e64 v3, 0, 0x7fefffff, s4
	v_cndmask_b32_e64 v2, 0, -1, s4
	s_or_b32 s4, s20, s4
	s_xor_b32 s4, s4, -1
	s_delay_alu instid0(SALU_CYCLE_1)
	s_and_saveexec_b32 s5, s4
	s_cbranch_execz .LBB161_12
; %bb.11:
	v_lshlrev_b64 v[2:3], 3, v[52:53]
	s_delay_alu instid0(VALU_DEP_1) | instskip(NEXT) | instid1(VALU_DEP_1)
	v_add_co_u32 v2, s4, v9, v2
	v_add_co_ci_u32_e64 v3, s4, v10, v3, s4
	flat_load_b64 v[2:3], v[2:3] offset:512
	s_waitcnt vmcnt(0) lgkmcnt(0)
	v_mul_f64 v[2:3], v[2:3], s[24:25]
.LBB161_12:
	s_or_b32 exec_lo, exec_lo, s5
	v_or_b32_e32 v4, 0x80, v52
	s_delay_alu instid0(VALU_DEP_1) | instskip(NEXT) | instid1(VALU_DEP_1)
	v_cmp_le_i32_e64 s4, s16, v4
	s_or_b32 s5, s4, vcc_lo
	s_delay_alu instid0(SALU_CYCLE_1) | instskip(SKIP_2) | instid1(SALU_CYCLE_1)
	v_cndmask_b32_e64 v5, 0, 0x7fefffff, s5
	v_cndmask_b32_e64 v4, 0, -1, s5
	s_or_b32 s5, s20, s5
	s_xor_b32 s5, s5, -1
	s_delay_alu instid0(SALU_CYCLE_1)
	s_and_saveexec_b32 s7, s5
	s_cbranch_execz .LBB161_14
; %bb.13:
	v_lshlrev_b64 v[4:5], 3, v[52:53]
	s_delay_alu instid0(VALU_DEP_1) | instskip(NEXT) | instid1(VALU_DEP_1)
	v_add_co_u32 v4, s5, v9, v4
	v_add_co_ci_u32_e64 v5, s5, v10, v5, s5
	flat_load_b64 v[4:5], v[4:5] offset:1024
	s_waitcnt vmcnt(0) lgkmcnt(0)
	v_mul_f64 v[4:5], v[4:5], s[24:25]
.LBB161_14:
	s_or_b32 exec_lo, exec_lo, s7
	v_or_b32_e32 v6, 0xc0, v52
	s_delay_alu instid0(VALU_DEP_1) | instskip(NEXT) | instid1(VALU_DEP_1)
	v_cmp_le_i32_e64 s5, s16, v6
	s_or_b32 s7, s5, vcc_lo
	s_delay_alu instid0(SALU_CYCLE_1) | instskip(SKIP_2) | instid1(SALU_CYCLE_1)
	v_cndmask_b32_e64 v7, 0, 0x7fefffff, s7
	v_cndmask_b32_e64 v6, 0, -1, s7
	s_or_b32 s7, s20, s7
	s_xor_b32 s14, s7, -1
	s_delay_alu instid0(SALU_CYCLE_1)
	s_and_saveexec_b32 s7, s14
	s_cbranch_execz .LBB161_16
; %bb.15:
	v_lshlrev_b64 v[6:7], 3, v[52:53]
	s_delay_alu instid0(VALU_DEP_1) | instskip(NEXT) | instid1(VALU_DEP_2)
	v_add_co_u32 v6, vcc_lo, v9, v6
	v_add_co_ci_u32_e32 v7, vcc_lo, v10, v7, vcc_lo
	flat_load_b64 v[6:7], v[6:7] offset:1536
	s_waitcnt vmcnt(0) lgkmcnt(0)
	v_mul_f64 v[6:7], v[6:7], s[24:25]
.LBB161_16:
	s_or_b32 exec_lo, exec_lo, s7
	v_lshrrev_b32_e32 v10, 2, v8
	s_load_b32 s33, s[0:1], 0x38
	s_lshl_b32 s14, s6, 6
	v_and_b32_e32 v133, 3, v121
	s_delay_alu instid0(VALU_DEP_2) | instskip(NEXT) | instid1(VALU_DEP_2)
	v_add_nc_u32_e32 v65, s14, v10
	v_cmp_le_i32_e32 vcc_lo, s18, v133
	s_delay_alu instid0(VALU_DEP_2) | instskip(NEXT) | instid1(VALU_DEP_1)
	v_cmp_le_i32_e64 s6, s17, v65
	s_or_b32 s7, vcc_lo, s6
	s_delay_alu instid0(SALU_CYCLE_1) | instskip(SKIP_2) | instid1(SALU_CYCLE_1)
	v_cndmask_b32_e64 v9, 0, 0x7fefffff, s7
	v_cndmask_b32_e64 v8, 0, -1, s7
	s_or_b32 s7, s20, s7
	s_xor_b32 s31, s7, -1
	s_delay_alu instid0(SALU_CYCLE_1)
	s_and_saveexec_b32 s7, s31
	s_cbranch_execz .LBB161_18
; %bb.17:
	s_waitcnt lgkmcnt(0)
	v_mad_i64_i32 v[8:9], null, v65, s33, 0
	v_min_u32_e32 v11, s21, v133
	s_delay_alu instid0(VALU_DEP_1) | instskip(NEXT) | instid1(VALU_DEP_3)
	v_lshlrev_b32_e32 v11, 3, v11
	v_lshlrev_b64 v[8:9], 3, v[8:9]
	s_delay_alu instid0(VALU_DEP_1) | instskip(NEXT) | instid1(VALU_DEP_2)
	v_add_co_u32 v8, vcc_lo, s26, v8
	v_add_co_ci_u32_e32 v9, vcc_lo, s27, v9, vcc_lo
	s_delay_alu instid0(VALU_DEP_2) | instskip(NEXT) | instid1(VALU_DEP_2)
	v_add_co_u32 v8, vcc_lo, v8, v11
	v_add_co_ci_u32_e32 v9, vcc_lo, 0, v9, vcc_lo
	flat_load_b64 v[8:9], v[8:9]
	s_waitcnt vmcnt(0) lgkmcnt(0)
	v_mul_f64 v[8:9], v[8:9], s[24:25]
.LBB161_18:
	s_or_b32 exec_lo, exec_lo, s7
	v_add_nc_u32_e32 v13, 4, v132
	s_delay_alu instid0(VALU_DEP_1) | instskip(SKIP_1) | instid1(VALU_DEP_2)
	v_min_i32_e32 v14, s21, v13
	v_cmp_le_i32_e32 vcc_lo, s18, v13
	v_mad_i64_i32 v[11:12], null, s19, v14, 0
	s_or_b32 s31, s2, vcc_lo
	s_delay_alu instid0(SALU_CYCLE_1) | instskip(SKIP_1) | instid1(VALU_DEP_3)
	v_cndmask_b32_e64 v55, 0, 0x7fefffff, s31
	v_cndmask_b32_e64 v54, 0, -1, s31
	v_lshlrev_b64 v[11:12], 3, v[11:12]
	s_delay_alu instid0(VALU_DEP_1) | instskip(NEXT) | instid1(VALU_DEP_1)
	v_add_co_u32 v11, s7, s28, v11
	v_add_co_ci_u32_e64 v12, s7, s29, v12, s7
	s_or_b32 s7, s20, s31
	s_delay_alu instid0(SALU_CYCLE_1) | instskip(NEXT) | instid1(SALU_CYCLE_1)
	s_xor_b32 s7, s7, -1
	s_and_saveexec_b32 s31, s7
	s_cbranch_execz .LBB161_20
; %bb.19:
	v_lshlrev_b64 v[13:14], 3, v[52:53]
	s_delay_alu instid0(VALU_DEP_1) | instskip(NEXT) | instid1(VALU_DEP_1)
	v_add_co_u32 v13, s7, v11, v13
	v_add_co_ci_u32_e64 v14, s7, v12, v14, s7
	flat_load_b64 v[13:14], v[13:14]
	s_waitcnt vmcnt(0) lgkmcnt(0)
	v_mul_f64 v[54:55], v[13:14], s[24:25]
.LBB161_20:
	s_or_b32 exec_lo, exec_lo, s31
	s_or_b32 s7, s3, vcc_lo
	s_delay_alu instid0(SALU_CYCLE_1) | instskip(SKIP_2) | instid1(SALU_CYCLE_1)
	v_cndmask_b32_e64 v57, 0, 0x7fefffff, s7
	v_cndmask_b32_e64 v56, 0, -1, s7
	s_or_b32 s7, s20, s7
	s_xor_b32 s7, s7, -1
	s_delay_alu instid0(SALU_CYCLE_1)
	s_and_saveexec_b32 s31, s7
	s_cbranch_execz .LBB161_22
; %bb.21:
	v_lshlrev_b64 v[13:14], 3, v[52:53]
	s_delay_alu instid0(VALU_DEP_1) | instskip(NEXT) | instid1(VALU_DEP_1)
	v_add_co_u32 v13, s7, v11, v13
	v_add_co_ci_u32_e64 v14, s7, v12, v14, s7
	flat_load_b64 v[13:14], v[13:14] offset:512
	s_waitcnt vmcnt(0) lgkmcnt(0)
	v_mul_f64 v[56:57], v[13:14], s[24:25]
.LBB161_22:
	s_or_b32 exec_lo, exec_lo, s31
	s_or_b32 s7, s4, vcc_lo
	s_delay_alu instid0(SALU_CYCLE_1) | instskip(SKIP_2) | instid1(SALU_CYCLE_1)
	v_cndmask_b32_e64 v59, 0, 0x7fefffff, s7
	v_cndmask_b32_e64 v58, 0, -1, s7
	s_or_b32 s7, s20, s7
	s_xor_b32 s7, s7, -1
	s_delay_alu instid0(SALU_CYCLE_1)
	s_and_saveexec_b32 s31, s7
	s_cbranch_execz .LBB161_24
; %bb.23:
	v_lshlrev_b64 v[13:14], 3, v[52:53]
	s_delay_alu instid0(VALU_DEP_1) | instskip(NEXT) | instid1(VALU_DEP_1)
	v_add_co_u32 v13, s7, v11, v13
	v_add_co_ci_u32_e64 v14, s7, v12, v14, s7
	flat_load_b64 v[13:14], v[13:14] offset:1024
	s_waitcnt vmcnt(0) lgkmcnt(0)
	v_mul_f64 v[58:59], v[13:14], s[24:25]
.LBB161_24:
	s_or_b32 exec_lo, exec_lo, s31
	s_or_b32 s7, s5, vcc_lo
	s_delay_alu instid0(SALU_CYCLE_1) | instskip(SKIP_2) | instid1(SALU_CYCLE_1)
	v_cndmask_b32_e64 v61, 0, 0x7fefffff, s7
	v_cndmask_b32_e64 v60, 0, -1, s7
	s_or_b32 s7, s20, s7
	s_xor_b32 s31, s7, -1
	s_delay_alu instid0(SALU_CYCLE_1)
	s_and_saveexec_b32 s7, s31
	s_cbranch_execz .LBB161_26
; %bb.25:
	v_lshlrev_b64 v[13:14], 3, v[52:53]
	s_delay_alu instid0(VALU_DEP_1) | instskip(NEXT) | instid1(VALU_DEP_2)
	v_add_co_u32 v11, vcc_lo, v11, v13
	v_add_co_ci_u32_e32 v12, vcc_lo, v12, v14, vcc_lo
	flat_load_b64 v[11:12], v[11:12] offset:1536
	s_waitcnt vmcnt(0) lgkmcnt(0)
	v_mul_f64 v[60:61], v[11:12], s[24:25]
.LBB161_26:
	s_or_b32 exec_lo, exec_lo, s7
	v_or_b32_e32 v11, 4, v133
	s_delay_alu instid0(VALU_DEP_1) | instskip(SKIP_1) | instid1(SALU_CYCLE_1)
	v_cmp_le_i32_e32 vcc_lo, s18, v11
	s_or_b32 s7, vcc_lo, s6
	v_cndmask_b32_e64 v63, 0, 0x7fefffff, s7
	v_cndmask_b32_e64 v62, 0, -1, s7
	s_or_b32 s31, s20, s7
	s_mov_b32 s7, -1
	s_xor_b32 s34, s31, -1
	s_delay_alu instid0(SALU_CYCLE_1)
	s_and_saveexec_b32 s31, s34
	s_cbranch_execz .LBB161_28
; %bb.27:
	s_waitcnt lgkmcnt(0)
	v_mad_i64_i32 v[12:13], null, v65, s33, 0
	v_min_u32_e32 v14, s21, v11
	s_delay_alu instid0(VALU_DEP_2) | instskip(NEXT) | instid1(VALU_DEP_2)
	v_lshlrev_b64 v[11:12], 3, v[12:13]
	v_lshlrev_b32_e32 v13, 3, v14
	s_delay_alu instid0(VALU_DEP_2) | instskip(NEXT) | instid1(VALU_DEP_3)
	v_add_co_u32 v11, vcc_lo, s26, v11
	v_add_co_ci_u32_e32 v12, vcc_lo, s27, v12, vcc_lo
	s_delay_alu instid0(VALU_DEP_2) | instskip(NEXT) | instid1(VALU_DEP_2)
	v_add_co_u32 v11, vcc_lo, v11, v13
	v_add_co_ci_u32_e32 v12, vcc_lo, 0, v12, vcc_lo
	flat_load_b64 v[11:12], v[11:12]
	s_waitcnt vmcnt(0) lgkmcnt(0)
	v_mul_f64 v[62:63], v[11:12], s[24:25]
.LBB161_28:
	s_or_b32 exec_lo, exec_lo, s31
	v_dual_mov_b32 v67, 0x7f800000 :: v_dual_lshlrev_b32 v12, 3, v133
	v_dual_mov_b32 v66, 0x7f800000 :: v_dual_lshlrev_b32 v11, 3, v132
	v_dual_mov_b32 v68, 0x7f800000 :: v_dual_mov_b32 v69, 0x7f800000
	s_delay_alu instid0(VALU_DEP_3) | instskip(NEXT) | instid1(VALU_DEP_3)
	v_lshl_or_b32 v137, v10, 5, v12
	v_lshl_add_u32 v134, v64, 5, v11
	v_dual_mov_b32 v70, 0x7f800000 :: v_dual_mov_b32 v71, 0x7f800000
	v_dual_mov_b32 v72, 0x7f800000 :: v_dual_mov_b32 v73, 0x7f800000
	s_delay_alu instid0(VALU_DEP_4)
	v_add_nc_u32_e32 v135, 0x4000, v137
	v_dual_mov_b32 v74, 0x7f800000 :: v_dual_mov_b32 v75, 0x7f800000
	v_dual_mov_b32 v76, 0x7f800000 :: v_dual_mov_b32 v77, 0x7f800000
	v_dual_mov_b32 v78, 0x7f800000 :: v_dual_mov_b32 v79, 0x7f800000
	v_dual_mov_b32 v80, 0x7f800000 :: v_dual_mov_b32 v81, 0x7f800000
	v_dual_mov_b32 v82, 0x7f800000 :: v_dual_mov_b32 v83, 0x7f800000
	v_dual_mov_b32 v84, 0x7f800000 :: v_dual_mov_b32 v85, 0x7f800000
	v_dual_mov_b32 v86, 0x7f800000 :: v_dual_mov_b32 v87, 0x7f800000
	v_dual_mov_b32 v88, 0x7f800000 :: v_dual_mov_b32 v89, 0x7f800000
	v_dual_mov_b32 v90, 0x7f800000 :: v_dual_mov_b32 v91, 0x7f800000
	v_dual_mov_b32 v92, 0x7f800000 :: v_dual_mov_b32 v93, 0x7f800000
	v_dual_mov_b32 v94, 0x7f800000 :: v_dual_mov_b32 v95, 0x7f800000
	v_dual_mov_b32 v96, 0x7f800000 :: v_dual_mov_b32 v97, 0x7f800000
	v_dual_mov_b32 v98, 0x7f800000 :: v_dual_mov_b32 v99, 0x7f800000
	v_dual_mov_b32 v100, 0x7f800000 :: v_dual_mov_b32 v101, 0x7f800000
	v_dual_mov_b32 v102, 0x7f800000 :: v_dual_mov_b32 v103, 0x7f800000
	v_dual_mov_b32 v104, 0x7f800000 :: v_dual_mov_b32 v105, 0x7f800000
	v_dual_mov_b32 v106, 0x7f800000 :: v_dual_mov_b32 v107, 0x7f800000
	v_dual_mov_b32 v108, 0x7f800000 :: v_dual_mov_b32 v109, 0x7f800000
	v_dual_mov_b32 v110, 0x7f800000 :: v_dual_mov_b32 v111, 0x7f800000
	v_dual_mov_b32 v112, 0x7f800000 :: v_dual_mov_b32 v113, 0x7f800000
	v_dual_mov_b32 v114, 0x7f800000 :: v_dual_mov_b32 v115, 0x7f800000
	v_dual_mov_b32 v116, 0x7f800000 :: v_dual_mov_b32 v117, 0x7f800000
	v_dual_mov_b32 v118, 0x7f800000 :: v_dual_mov_b32 v119, 0x7f800000
	v_dual_mov_b32 v120, 0x7f800000 :: v_dual_mov_b32 v123, 0x7f800000
	v_dual_mov_b32 v124, 0x7f800000 :: v_dual_mov_b32 v125, 0x7f800000
	v_dual_mov_b32 v126, 0x7f800000 :: v_dual_mov_b32 v127, 0x7f800000
	v_dual_mov_b32 v128, 0x7f800000 :: v_dual_mov_b32 v129, 0x7f800000
	v_dual_mov_b32 v130, 0x7f800000 :: v_dual_mov_b32 v131, 0x7f800000
	s_mov_b32 s31, 0
	ds_store_2addr_stride64_b64 v134, v[0:1], v[2:3] offset1:4
	ds_store_2addr_stride64_b64 v134, v[4:5], v[6:7] offset0:8 offset1:12
	ds_store_b64 v137, v[8:9] offset:16384
	s_waitcnt lgkmcnt(0)
	s_barrier
	buffer_gl0_inv
.LBB161_29:                             ; =>This Inner Loop Header: Depth=1
	s_lshl_b32 s31, s31, 3
	s_and_not1_b32 vcc_lo, exec_lo, s7
	v_lshl_add_u32 v0, v121, 5, s31
	v_lshl_add_u32 v16, v122, 5, s31
	s_mov_b32 s31, 2
	s_mov_b32 s7, 0
	ds_load_b128 v[32:35], v0
	ds_load_b128 v[28:31], v0 offset:1024
	ds_load_b128 v[24:27], v0 offset:2048
	;; [unrolled: 1-line block ×15, first 2 shown]
	s_waitcnt lgkmcnt(7)
	v_add_f64 v[150:151], v[34:35], v[140:141]
	v_add_f64 v[152:153], v[32:33], v[138:139]
	s_delay_alu instid0(VALU_DEP_2) | instskip(NEXT) | instid1(VALU_DEP_2)
	v_cvt_f32_f64_e32 v150, v[150:151]
	v_cvt_f32_f64_e32 v136, v[152:153]
	v_add_f64 v[152:153], v[28:29], v[138:139]
	s_delay_alu instid0(VALU_DEP_2) | instskip(SKIP_1) | instid1(VALU_DEP_3)
	v_min3_f32 v131, v136, v150, v131
	v_add_f64 v[150:151], v[30:31], v[140:141]
	v_cvt_f32_f64_e32 v136, v[152:153]
	v_add_f64 v[152:153], v[24:25], v[138:139]
	s_delay_alu instid0(VALU_DEP_3) | instskip(NEXT) | instid1(VALU_DEP_1)
	v_cvt_f32_f64_e32 v150, v[150:151]
	v_min3_f32 v130, v136, v150, v130
	v_add_f64 v[150:151], v[26:27], v[140:141]
	s_delay_alu instid0(VALU_DEP_4) | instskip(SKIP_1) | instid1(VALU_DEP_3)
	v_cvt_f32_f64_e32 v136, v[152:153]
	v_add_f64 v[152:153], v[20:21], v[138:139]
	v_cvt_f32_f64_e32 v150, v[150:151]
	s_delay_alu instid0(VALU_DEP_1) | instskip(SKIP_1) | instid1(VALU_DEP_4)
	v_min3_f32 v129, v136, v150, v129
	v_add_f64 v[150:151], v[22:23], v[140:141]
	v_cvt_f32_f64_e32 v136, v[152:153]
	v_add_f64 v[152:153], v[12:13], v[138:139]
	s_delay_alu instid0(VALU_DEP_3) | instskip(NEXT) | instid1(VALU_DEP_1)
	v_cvt_f32_f64_e32 v150, v[150:151]
	v_min3_f32 v128, v136, v150, v128
	v_add_f64 v[150:151], v[14:15], v[140:141]
	s_delay_alu instid0(VALU_DEP_4) | instskip(SKIP_1) | instid1(VALU_DEP_3)
	v_cvt_f32_f64_e32 v136, v[152:153]
	v_add_f64 v[152:153], v[8:9], v[138:139]
	v_cvt_f32_f64_e32 v150, v[150:151]
	s_delay_alu instid0(VALU_DEP_1) | instskip(SKIP_1) | instid1(VALU_DEP_4)
	v_min3_f32 v127, v136, v150, v127
	v_add_f64 v[150:151], v[10:11], v[140:141]
	v_cvt_f32_f64_e32 v136, v[152:153]
	v_add_f64 v[152:153], v[4:5], v[138:139]
	v_add_f64 v[138:139], v[0:1], v[138:139]
	s_delay_alu instid0(VALU_DEP_4) | instskip(NEXT) | instid1(VALU_DEP_1)
	v_cvt_f32_f64_e32 v150, v[150:151]
	v_min3_f32 v126, v136, v150, v126
	v_add_f64 v[150:151], v[6:7], v[140:141]
	v_cvt_f32_f64_e32 v136, v[152:153]
	v_add_f64 v[140:141], v[2:3], v[140:141]
	s_delay_alu instid0(VALU_DEP_3) | instskip(NEXT) | instid1(VALU_DEP_1)
	v_cvt_f32_f64_e32 v150, v[150:151]
	v_min3_f32 v125, v136, v150, v125
	v_cvt_f32_f64_e32 v136, v[138:139]
	s_delay_alu instid0(VALU_DEP_4) | instskip(SKIP_2) | instid1(VALU_DEP_2)
	v_cvt_f32_f64_e32 v138, v[140:141]
	s_waitcnt lgkmcnt(6)
	v_add_f64 v[140:141], v[32:33], v[142:143]
	v_min3_f32 v124, v136, v138, v124
	v_add_f64 v[138:139], v[34:35], v[144:145]
	s_delay_alu instid0(VALU_DEP_3) | instskip(SKIP_1) | instid1(VALU_DEP_3)
	v_cvt_f32_f64_e32 v136, v[140:141]
	v_add_f64 v[140:141], v[28:29], v[142:143]
	v_cvt_f32_f64_e32 v138, v[138:139]
	s_delay_alu instid0(VALU_DEP_1) | instskip(SKIP_1) | instid1(VALU_DEP_4)
	v_min3_f32 v123, v136, v138, v123
	v_add_f64 v[138:139], v[30:31], v[144:145]
	v_cvt_f32_f64_e32 v136, v[140:141]
	v_add_f64 v[140:141], v[24:25], v[142:143]
	s_delay_alu instid0(VALU_DEP_3) | instskip(NEXT) | instid1(VALU_DEP_1)
	v_cvt_f32_f64_e32 v138, v[138:139]
	v_min3_f32 v120, v136, v138, v120
	v_add_f64 v[138:139], v[26:27], v[144:145]
	s_delay_alu instid0(VALU_DEP_4) | instskip(SKIP_1) | instid1(VALU_DEP_3)
	v_cvt_f32_f64_e32 v136, v[140:141]
	v_add_f64 v[140:141], v[20:21], v[142:143]
	v_cvt_f32_f64_e32 v138, v[138:139]
	s_delay_alu instid0(VALU_DEP_1) | instskip(SKIP_1) | instid1(VALU_DEP_4)
	v_min3_f32 v119, v136, v138, v119
	v_add_f64 v[138:139], v[22:23], v[144:145]
	v_cvt_f32_f64_e32 v136, v[140:141]
	v_add_f64 v[140:141], v[12:13], v[142:143]
	s_delay_alu instid0(VALU_DEP_3) | instskip(NEXT) | instid1(VALU_DEP_1)
	v_cvt_f32_f64_e32 v138, v[138:139]
	v_min3_f32 v118, v136, v138, v118
	v_add_f64 v[138:139], v[14:15], v[144:145]
	s_delay_alu instid0(VALU_DEP_4) | instskip(SKIP_1) | instid1(VALU_DEP_3)
	;; [unrolled: 13-line block ×3, first 2 shown]
	v_cvt_f32_f64_e32 v136, v[140:141]
	v_add_f64 v[140:141], v[0:1], v[142:143]
	v_cvt_f32_f64_e32 v138, v[138:139]
	s_delay_alu instid0(VALU_DEP_1) | instskip(SKIP_1) | instid1(VALU_DEP_4)
	v_min3_f32 v115, v136, v138, v115
	v_add_f64 v[138:139], v[2:3], v[144:145]
	v_cvt_f32_f64_e32 v136, v[140:141]
	s_waitcnt lgkmcnt(5)
	v_add_f64 v[140:141], v[32:33], v[146:147]
	s_delay_alu instid0(VALU_DEP_3) | instskip(NEXT) | instid1(VALU_DEP_1)
	v_cvt_f32_f64_e32 v138, v[138:139]
	v_min3_f32 v114, v136, v138, v114
	v_add_f64 v[138:139], v[34:35], v[148:149]
	s_delay_alu instid0(VALU_DEP_4) | instskip(SKIP_1) | instid1(VALU_DEP_3)
	v_cvt_f32_f64_e32 v136, v[140:141]
	v_add_f64 v[140:141], v[28:29], v[146:147]
	v_cvt_f32_f64_e32 v138, v[138:139]
	s_delay_alu instid0(VALU_DEP_1) | instskip(SKIP_1) | instid1(VALU_DEP_4)
	v_min3_f32 v113, v136, v138, v113
	v_add_f64 v[138:139], v[30:31], v[148:149]
	v_cvt_f32_f64_e32 v136, v[140:141]
	v_add_f64 v[140:141], v[24:25], v[146:147]
	s_delay_alu instid0(VALU_DEP_3) | instskip(NEXT) | instid1(VALU_DEP_1)
	v_cvt_f32_f64_e32 v138, v[138:139]
	v_min3_f32 v112, v136, v138, v112
	v_add_f64 v[138:139], v[26:27], v[148:149]
	s_delay_alu instid0(VALU_DEP_4) | instskip(SKIP_1) | instid1(VALU_DEP_3)
	v_cvt_f32_f64_e32 v136, v[140:141]
	v_add_f64 v[140:141], v[20:21], v[146:147]
	v_cvt_f32_f64_e32 v138, v[138:139]
	s_delay_alu instid0(VALU_DEP_1) | instskip(SKIP_1) | instid1(VALU_DEP_4)
	v_min3_f32 v111, v136, v138, v111
	v_add_f64 v[138:139], v[22:23], v[148:149]
	v_cvt_f32_f64_e32 v136, v[140:141]
	;; [unrolled: 13-line block ×4, first 2 shown]
	s_waitcnt lgkmcnt(4)
	v_add_f64 v[140:141], v[32:33], v[48:49]
	s_delay_alu instid0(VALU_DEP_3) | instskip(NEXT) | instid1(VALU_DEP_1)
	v_cvt_f32_f64_e32 v138, v[138:139]
	v_min3_f32 v106, v136, v138, v106
	v_add_f64 v[138:139], v[34:35], v[50:51]
	s_delay_alu instid0(VALU_DEP_4) | instskip(SKIP_1) | instid1(VALU_DEP_3)
	v_cvt_f32_f64_e32 v136, v[140:141]
	v_add_f64 v[140:141], v[28:29], v[48:49]
	v_cvt_f32_f64_e32 v138, v[138:139]
	s_delay_alu instid0(VALU_DEP_1) | instskip(SKIP_1) | instid1(VALU_DEP_4)
	v_min3_f32 v105, v136, v138, v105
	v_add_f64 v[138:139], v[30:31], v[50:51]
	v_cvt_f32_f64_e32 v136, v[140:141]
	v_add_f64 v[140:141], v[24:25], v[48:49]
	s_delay_alu instid0(VALU_DEP_3) | instskip(NEXT) | instid1(VALU_DEP_1)
	v_cvt_f32_f64_e32 v138, v[138:139]
	v_min3_f32 v104, v136, v138, v104
	v_add_f64 v[138:139], v[26:27], v[50:51]
	s_delay_alu instid0(VALU_DEP_4) | instskip(SKIP_1) | instid1(VALU_DEP_3)
	v_cvt_f32_f64_e32 v136, v[140:141]
	v_add_f64 v[140:141], v[20:21], v[48:49]
	v_cvt_f32_f64_e32 v138, v[138:139]
	s_delay_alu instid0(VALU_DEP_1) | instskip(SKIP_1) | instid1(VALU_DEP_4)
	v_min3_f32 v103, v136, v138, v103
	v_add_f64 v[138:139], v[22:23], v[50:51]
	v_cvt_f32_f64_e32 v136, v[140:141]
	;; [unrolled: 13-line block ×3, first 2 shown]
	v_add_f64 v[140:141], v[4:5], v[48:49]
	v_add_f64 v[48:49], v[0:1], v[48:49]
	s_delay_alu instid0(VALU_DEP_4) | instskip(NEXT) | instid1(VALU_DEP_2)
	v_cvt_f32_f64_e32 v138, v[138:139]
	v_cvt_f32_f64_e32 v48, v[48:49]
	s_delay_alu instid0(VALU_DEP_2) | instskip(SKIP_3) | instid1(VALU_DEP_3)
	v_min3_f32 v100, v136, v138, v100
	v_add_f64 v[138:139], v[6:7], v[50:51]
	v_add_f64 v[50:51], v[2:3], v[50:51]
	v_cvt_f32_f64_e32 v136, v[140:141]
	v_cvt_f32_f64_e32 v138, v[138:139]
	s_delay_alu instid0(VALU_DEP_3) | instskip(SKIP_2) | instid1(VALU_DEP_3)
	v_cvt_f32_f64_e32 v49, v[50:51]
	s_waitcnt lgkmcnt(3)
	v_add_f64 v[50:51], v[32:33], v[44:45]
	v_min3_f32 v99, v136, v138, v99
	s_delay_alu instid0(VALU_DEP_3) | instskip(SKIP_1) | instid1(VALU_DEP_4)
	v_min3_f32 v98, v48, v49, v98
	v_add_f64 v[48:49], v[34:35], v[46:47]
	v_cvt_f32_f64_e32 v50, v[50:51]
	s_delay_alu instid0(VALU_DEP_2) | instskip(NEXT) | instid1(VALU_DEP_1)
	v_cvt_f32_f64_e32 v48, v[48:49]
	v_min3_f32 v97, v50, v48, v97
	v_add_f64 v[48:49], v[30:31], v[46:47]
	v_add_f64 v[50:51], v[28:29], v[44:45]
	s_delay_alu instid0(VALU_DEP_2) | instskip(NEXT) | instid1(VALU_DEP_2)
	v_cvt_f32_f64_e32 v48, v[48:49]
	v_cvt_f32_f64_e32 v50, v[50:51]
	s_delay_alu instid0(VALU_DEP_1) | instskip(SKIP_2) | instid1(VALU_DEP_2)
	v_min3_f32 v96, v50, v48, v96
	v_add_f64 v[48:49], v[26:27], v[46:47]
	v_add_f64 v[50:51], v[24:25], v[44:45]
	v_cvt_f32_f64_e32 v48, v[48:49]
	s_delay_alu instid0(VALU_DEP_2) | instskip(NEXT) | instid1(VALU_DEP_1)
	v_cvt_f32_f64_e32 v50, v[50:51]
	v_min3_f32 v95, v50, v48, v95
	v_add_f64 v[48:49], v[22:23], v[46:47]
	v_add_f64 v[50:51], v[20:21], v[44:45]
	s_delay_alu instid0(VALU_DEP_2) | instskip(NEXT) | instid1(VALU_DEP_2)
	v_cvt_f32_f64_e32 v48, v[48:49]
	v_cvt_f32_f64_e32 v50, v[50:51]
	s_delay_alu instid0(VALU_DEP_1) | instskip(SKIP_2) | instid1(VALU_DEP_2)
	v_min3_f32 v94, v50, v48, v94
	v_add_f64 v[48:49], v[14:15], v[46:47]
	v_add_f64 v[50:51], v[12:13], v[44:45]
	v_cvt_f32_f64_e32 v48, v[48:49]
	s_delay_alu instid0(VALU_DEP_2) | instskip(NEXT) | instid1(VALU_DEP_1)
	v_cvt_f32_f64_e32 v50, v[50:51]
	v_min3_f32 v93, v50, v48, v93
	v_add_f64 v[48:49], v[10:11], v[46:47]
	v_add_f64 v[50:51], v[8:9], v[44:45]
	s_delay_alu instid0(VALU_DEP_2) | instskip(NEXT) | instid1(VALU_DEP_2)
	v_cvt_f32_f64_e32 v48, v[48:49]
	v_cvt_f32_f64_e32 v50, v[50:51]
	s_delay_alu instid0(VALU_DEP_1) | instskip(SKIP_4) | instid1(VALU_DEP_4)
	v_min3_f32 v92, v50, v48, v92
	v_add_f64 v[48:49], v[6:7], v[46:47]
	v_add_f64 v[50:51], v[4:5], v[44:45]
	;; [unrolled: 1-line block ×4, first 2 shown]
	v_cvt_f32_f64_e32 v48, v[48:49]
	s_delay_alu instid0(VALU_DEP_4) | instskip(NEXT) | instid1(VALU_DEP_3)
	v_cvt_f32_f64_e32 v50, v[50:51]
	v_cvt_f32_f64_e32 v44, v[44:45]
	;; [unrolled: 1-line block ×3, first 2 shown]
	s_waitcnt lgkmcnt(2)
	v_add_f64 v[46:47], v[32:33], v[40:41]
	s_delay_alu instid0(VALU_DEP_4) | instskip(NEXT) | instid1(VALU_DEP_3)
	v_min3_f32 v91, v50, v48, v91
	v_min3_f32 v90, v44, v45, v90
	v_add_f64 v[44:45], v[34:35], v[42:43]
	s_delay_alu instid0(VALU_DEP_4) | instskip(NEXT) | instid1(VALU_DEP_2)
	v_cvt_f32_f64_e32 v46, v[46:47]
	v_cvt_f32_f64_e32 v44, v[44:45]
	s_delay_alu instid0(VALU_DEP_1) | instskip(SKIP_2) | instid1(VALU_DEP_2)
	v_min3_f32 v89, v46, v44, v89
	v_add_f64 v[44:45], v[30:31], v[42:43]
	v_add_f64 v[46:47], v[28:29], v[40:41]
	v_cvt_f32_f64_e32 v44, v[44:45]
	s_delay_alu instid0(VALU_DEP_2) | instskip(NEXT) | instid1(VALU_DEP_1)
	v_cvt_f32_f64_e32 v46, v[46:47]
	v_min3_f32 v88, v46, v44, v88
	v_add_f64 v[44:45], v[26:27], v[42:43]
	v_add_f64 v[46:47], v[24:25], v[40:41]
	s_delay_alu instid0(VALU_DEP_2) | instskip(NEXT) | instid1(VALU_DEP_2)
	v_cvt_f32_f64_e32 v44, v[44:45]
	v_cvt_f32_f64_e32 v46, v[46:47]
	s_delay_alu instid0(VALU_DEP_1) | instskip(SKIP_2) | instid1(VALU_DEP_2)
	v_min3_f32 v87, v46, v44, v87
	v_add_f64 v[44:45], v[22:23], v[42:43]
	v_add_f64 v[46:47], v[20:21], v[40:41]
	v_cvt_f32_f64_e32 v44, v[44:45]
	s_delay_alu instid0(VALU_DEP_2) | instskip(NEXT) | instid1(VALU_DEP_1)
	v_cvt_f32_f64_e32 v46, v[46:47]
	v_min3_f32 v86, v46, v44, v86
	v_add_f64 v[44:45], v[14:15], v[42:43]
	v_add_f64 v[46:47], v[12:13], v[40:41]
	s_delay_alu instid0(VALU_DEP_2) | instskip(NEXT) | instid1(VALU_DEP_2)
	v_cvt_f32_f64_e32 v44, v[44:45]
	v_cvt_f32_f64_e32 v46, v[46:47]
	s_delay_alu instid0(VALU_DEP_1) | instskip(SKIP_2) | instid1(VALU_DEP_2)
	v_min3_f32 v85, v46, v44, v85
	v_add_f64 v[44:45], v[10:11], v[42:43]
	v_add_f64 v[46:47], v[8:9], v[40:41]
	v_cvt_f32_f64_e32 v44, v[44:45]
	s_delay_alu instid0(VALU_DEP_2) | instskip(NEXT) | instid1(VALU_DEP_1)
	v_cvt_f32_f64_e32 v46, v[46:47]
	v_min3_f32 v84, v46, v44, v84
	v_add_f64 v[44:45], v[6:7], v[42:43]
	v_add_f64 v[46:47], v[4:5], v[40:41]
	;; [unrolled: 1-line block ×4, first 2 shown]
	s_delay_alu instid0(VALU_DEP_4) | instskip(NEXT) | instid1(VALU_DEP_4)
	v_cvt_f32_f64_e32 v44, v[44:45]
	v_cvt_f32_f64_e32 v46, v[46:47]
	s_delay_alu instid0(VALU_DEP_3)
	v_cvt_f32_f64_e32 v40, v[40:41]
	v_cvt_f32_f64_e32 v41, v[42:43]
	s_waitcnt lgkmcnt(1)
	v_add_f64 v[42:43], v[32:33], v[36:37]
	s_waitcnt lgkmcnt(0)
	v_add_f64 v[32:33], v[32:33], v[16:17]
	v_min3_f32 v83, v46, v44, v83
	s_delay_alu instid0(VALU_DEP_4) | instskip(SKIP_4) | instid1(VALU_DEP_4)
	v_min3_f32 v82, v40, v41, v82
	v_add_f64 v[40:41], v[34:35], v[38:39]
	v_cvt_f32_f64_e32 v42, v[42:43]
	v_add_f64 v[34:35], v[34:35], v[18:19]
	v_cvt_f32_f64_e32 v32, v[32:33]
	v_cvt_f32_f64_e32 v40, v[40:41]
	s_delay_alu instid0(VALU_DEP_3) | instskip(NEXT) | instid1(VALU_DEP_2)
	v_cvt_f32_f64_e32 v33, v[34:35]
	v_min3_f32 v81, v42, v40, v81
	v_add_f64 v[40:41], v[30:31], v[38:39]
	v_add_f64 v[42:43], v[28:29], v[36:37]
	v_add_f64 v[30:31], v[30:31], v[18:19]
	v_add_f64 v[28:29], v[28:29], v[16:17]
	v_min3_f32 v73, v32, v33, v73
	v_cvt_f32_f64_e32 v40, v[40:41]
	v_cvt_f32_f64_e32 v42, v[42:43]
	s_delay_alu instid0(VALU_DEP_4) | instskip(SKIP_1) | instid1(VALU_DEP_3)
	v_cvt_f32_f64_e32 v28, v[28:29]
	v_cvt_f32_f64_e32 v29, v[30:31]
	v_min3_f32 v80, v42, v40, v80
	v_add_f64 v[40:41], v[26:27], v[38:39]
	v_add_f64 v[42:43], v[24:25], v[36:37]
	v_add_f64 v[26:27], v[26:27], v[18:19]
	v_add_f64 v[24:25], v[24:25], v[16:17]
	v_min3_f32 v72, v28, v29, v72
	v_cvt_f32_f64_e32 v40, v[40:41]
	v_cvt_f32_f64_e32 v42, v[42:43]
	s_delay_alu instid0(VALU_DEP_4) | instskip(SKIP_1) | instid1(VALU_DEP_3)
	v_cvt_f32_f64_e32 v24, v[24:25]
	v_cvt_f32_f64_e32 v25, v[26:27]
	v_min3_f32 v79, v42, v40, v79
	v_add_f64 v[40:41], v[22:23], v[38:39]
	v_add_f64 v[42:43], v[20:21], v[36:37]
	v_add_f64 v[22:23], v[22:23], v[18:19]
	v_add_f64 v[20:21], v[20:21], v[16:17]
	v_min3_f32 v71, v24, v25, v71
	v_cvt_f32_f64_e32 v40, v[40:41]
	v_cvt_f32_f64_e32 v42, v[42:43]
	s_delay_alu instid0(VALU_DEP_4) | instskip(SKIP_1) | instid1(VALU_DEP_3)
	v_cvt_f32_f64_e32 v20, v[20:21]
	v_cvt_f32_f64_e32 v21, v[22:23]
	v_min3_f32 v78, v42, v40, v78
	v_add_f64 v[40:41], v[14:15], v[38:39]
	v_add_f64 v[42:43], v[12:13], v[36:37]
	v_add_f64 v[14:15], v[14:15], v[18:19]
	v_add_f64 v[12:13], v[12:13], v[16:17]
	v_min3_f32 v70, v20, v21, v70
	v_cvt_f32_f64_e32 v40, v[40:41]
	v_cvt_f32_f64_e32 v42, v[42:43]
	s_delay_alu instid0(VALU_DEP_4) | instskip(SKIP_1) | instid1(VALU_DEP_3)
	v_cvt_f32_f64_e32 v12, v[12:13]
	v_cvt_f32_f64_e32 v13, v[14:15]
	v_min3_f32 v77, v42, v40, v77
	v_add_f64 v[40:41], v[10:11], v[38:39]
	v_add_f64 v[42:43], v[8:9], v[36:37]
	v_add_f64 v[10:11], v[10:11], v[18:19]
	v_add_f64 v[8:9], v[8:9], v[16:17]
	v_min3_f32 v69, v12, v13, v69
	v_cvt_f32_f64_e32 v40, v[40:41]
	v_cvt_f32_f64_e32 v42, v[42:43]
	s_delay_alu instid0(VALU_DEP_4) | instskip(SKIP_1) | instid1(VALU_DEP_3)
	v_cvt_f32_f64_e32 v8, v[8:9]
	v_cvt_f32_f64_e32 v9, v[10:11]
	v_min3_f32 v76, v42, v40, v76
	v_add_f64 v[40:41], v[6:7], v[38:39]
	v_add_f64 v[42:43], v[4:5], v[36:37]
	;; [unrolled: 1-line block ×8, first 2 shown]
	v_min3_f32 v68, v8, v9, v68
	v_cvt_f32_f64_e32 v40, v[40:41]
	v_cvt_f32_f64_e32 v42, v[42:43]
	;; [unrolled: 1-line block ×8, first 2 shown]
	v_min3_f32 v75, v42, v40, v75
	v_min3_f32 v74, v36, v37, v74
	;; [unrolled: 1-line block ×3, first 2 shown]
	s_delay_alu instid0(VALU_DEP_4)
	v_min3_f32 v66, v0, v1, v66
	s_cbranch_vccz .LBB161_29
; %bb.30:
	v_lshlrev_b32_e32 v0, 5, v64
	s_mov_b32 s31, 8
	s_cmp_gt_i32 s18, 8
	ds_store_b64 v137, v[62:63] offset:18432
	v_lshl_add_u32 v0, v132, 3, v0
	ds_store_2addr_stride64_b64 v0, v[54:55], v[56:57] offset0:16 offset1:20
	ds_store_2addr_stride64_b64 v0, v[58:59], v[60:61] offset0:24 offset1:28
	s_waitcnt lgkmcnt(0)
	s_barrier
	buffer_gl0_inv
	s_cbranch_scc0 .LBB161_57
; %bb.31:
	v_mad_i64_i32 v[1:2], null, v65, s33, 0
	v_lshlrev_b64 v[52:53], 3, v[52:53]
	v_dual_mov_b32 v55, 0 :: v_dual_add_nc_u32 v136, 0x2000, v0
	v_add_nc_u32_e32 v137, 0x4800, v137
	s_delay_alu instid0(VALU_DEP_4) | instskip(NEXT) | instid1(VALU_DEP_1)
	v_lshlrev_b64 v[1:2], 3, v[1:2]
	v_add_co_u32 v138, vcc_lo, s26, v1
	s_delay_alu instid0(VALU_DEP_2) | instskip(SKIP_1) | instid1(VALU_DEP_2)
	v_add_co_ci_u32_e32 v139, vcc_lo, s27, v2, vcc_lo
	s_add_i32 s26, s18, -8
	v_add_co_u32 v140, vcc_lo, v138, 32
	s_delay_alu instid0(VALU_DEP_2)
	v_add_co_ci_u32_e32 v141, vcc_lo, 0, v139, vcc_lo
	s_mov_b32 s27, 0
.LBB161_32:                             ; =>This Loop Header: Depth=1
                                        ;     Child Loop BB161_43 Depth 2
                                        ;     Child Loop BB161_55 Depth 2
	v_add_nc_u32_e32 v2, s31, v132
	s_delay_alu instid0(VALU_DEP_1) | instskip(SKIP_1) | instid1(VALU_DEP_2)
	v_min_i32_e32 v3, s21, v2
	v_cmp_le_i32_e32 vcc_lo, s18, v2
	v_mad_i64_i32 v[0:1], null, v3, s19, 0
	s_or_b32 s33, s2, vcc_lo
	s_delay_alu instid0(SALU_CYCLE_1) | instskip(SKIP_1) | instid1(VALU_DEP_3)
	v_cndmask_b32_e64 v57, 0, 0x7fefffff, s33
	v_cndmask_b32_e64 v56, 0, -1, s33
	v_lshlrev_b64 v[0:1], 3, v[0:1]
	s_delay_alu instid0(VALU_DEP_1) | instskip(NEXT) | instid1(VALU_DEP_1)
	v_add_co_u32 v0, s7, s28, v0
	v_add_co_ci_u32_e64 v1, s7, s29, v1, s7
	s_or_b32 s7, s20, s33
	s_delay_alu instid0(SALU_CYCLE_1) | instskip(NEXT) | instid1(SALU_CYCLE_1)
	s_xor_b32 s7, s7, -1
	s_and_saveexec_b32 s33, s7
	s_cbranch_execz .LBB161_34
; %bb.33:                               ;   in Loop: Header=BB161_32 Depth=1
	v_add_co_u32 v2, s7, v0, v52
	s_delay_alu instid0(VALU_DEP_1)
	v_add_co_ci_u32_e64 v3, s7, v1, v53, s7
	flat_load_b64 v[2:3], v[2:3]
	s_waitcnt vmcnt(0) lgkmcnt(0)
	v_mul_f64 v[56:57], v[2:3], s[24:25]
.LBB161_34:                             ;   in Loop: Header=BB161_32 Depth=1
	s_or_b32 exec_lo, exec_lo, s33
	s_or_b32 s7, s3, vcc_lo
	s_delay_alu instid0(SALU_CYCLE_1) | instskip(SKIP_2) | instid1(SALU_CYCLE_1)
	v_cndmask_b32_e64 v59, 0, 0x7fefffff, s7
	v_cndmask_b32_e64 v58, 0, -1, s7
	s_or_b32 s7, s20, s7
	s_xor_b32 s7, s7, -1
	s_delay_alu instid0(SALU_CYCLE_1)
	s_and_saveexec_b32 s33, s7
	s_cbranch_execz .LBB161_36
; %bb.35:                               ;   in Loop: Header=BB161_32 Depth=1
	v_add_co_u32 v2, s7, v0, v52
	s_delay_alu instid0(VALU_DEP_1)
	v_add_co_ci_u32_e64 v3, s7, v1, v53, s7
	flat_load_b64 v[2:3], v[2:3] offset:512
	s_waitcnt vmcnt(0) lgkmcnt(0)
	v_mul_f64 v[58:59], v[2:3], s[24:25]
.LBB161_36:                             ;   in Loop: Header=BB161_32 Depth=1
	s_or_b32 exec_lo, exec_lo, s33
	s_or_b32 s7, s4, vcc_lo
	s_delay_alu instid0(SALU_CYCLE_1) | instskip(SKIP_2) | instid1(SALU_CYCLE_1)
	v_cndmask_b32_e64 v61, 0, 0x7fefffff, s7
	v_cndmask_b32_e64 v60, 0, -1, s7
	s_or_b32 s7, s20, s7
	s_xor_b32 s7, s7, -1
	s_delay_alu instid0(SALU_CYCLE_1)
	s_and_saveexec_b32 s33, s7
	s_cbranch_execz .LBB161_38
; %bb.37:                               ;   in Loop: Header=BB161_32 Depth=1
	v_add_co_u32 v2, s7, v0, v52
	s_delay_alu instid0(VALU_DEP_1)
	v_add_co_ci_u32_e64 v3, s7, v1, v53, s7
	flat_load_b64 v[2:3], v[2:3] offset:1024
	s_waitcnt vmcnt(0) lgkmcnt(0)
	v_mul_f64 v[60:61], v[2:3], s[24:25]
.LBB161_38:                             ;   in Loop: Header=BB161_32 Depth=1
	s_or_b32 exec_lo, exec_lo, s33
	s_or_b32 s7, s5, vcc_lo
	s_delay_alu instid0(SALU_CYCLE_1) | instskip(SKIP_2) | instid1(SALU_CYCLE_1)
	v_cndmask_b32_e64 v63, 0, 0x7fefffff, s7
	v_cndmask_b32_e64 v62, 0, -1, s7
	s_or_b32 s7, s20, s7
	s_xor_b32 s33, s7, -1
	s_delay_alu instid0(SALU_CYCLE_1)
	s_and_saveexec_b32 s7, s33
	s_cbranch_execz .LBB161_40
; %bb.39:                               ;   in Loop: Header=BB161_32 Depth=1
	v_add_co_u32 v0, vcc_lo, v0, v52
	v_add_co_ci_u32_e32 v1, vcc_lo, v1, v53, vcc_lo
	flat_load_b64 v[0:1], v[0:1] offset:1536
	s_waitcnt vmcnt(0) lgkmcnt(0)
	v_mul_f64 v[62:63], v[0:1], s[24:25]
.LBB161_40:                             ;   in Loop: Header=BB161_32 Depth=1
	s_or_b32 exec_lo, exec_lo, s7
	v_or_b32_e32 v54, s31, v133
	s_delay_alu instid0(VALU_DEP_1) | instskip(SKIP_1) | instid1(SALU_CYCLE_1)
	v_cmp_le_i32_e32 vcc_lo, s18, v54
	s_or_b32 s7, vcc_lo, s6
	v_cndmask_b32_e64 v65, 0, 0x7fefffff, s7
	v_cndmask_b32_e64 v64, 0, -1, s7
	s_or_b32 s7, s20, s7
	s_delay_alu instid0(SALU_CYCLE_1) | instskip(NEXT) | instid1(SALU_CYCLE_1)
	s_xor_b32 s33, s7, -1
	s_and_saveexec_b32 s7, s33
	s_cbranch_execz .LBB161_42
; %bb.41:                               ;   in Loop: Header=BB161_32 Depth=1
	v_lshlrev_b64 v[0:1], 3, v[54:55]
	s_delay_alu instid0(VALU_DEP_1) | instskip(NEXT) | instid1(VALU_DEP_2)
	v_add_co_u32 v0, vcc_lo, v138, v0
	v_add_co_ci_u32_e32 v1, vcc_lo, v139, v1, vcc_lo
	flat_load_b64 v[0:1], v[0:1]
	s_waitcnt vmcnt(0) lgkmcnt(0)
	v_mul_f64 v[64:65], v[0:1], s[24:25]
.LBB161_42:                             ;   in Loop: Header=BB161_32 Depth=1
	s_or_b32 exec_lo, exec_lo, s7
	s_mov_b32 s33, 0
	s_mov_b32 s7, -1
.LBB161_43:                             ;   Parent Loop BB161_32 Depth=1
                                        ; =>  This Inner Loop Header: Depth=2
	s_lshl_b32 s33, s33, 3
	s_and_not1_b32 vcc_lo, exec_lo, s7
	v_lshl_add_u32 v0, v121, 5, s33
	v_lshl_add_u32 v16, v122, 5, s33
	s_mov_b32 s33, 2
	s_mov_b32 s7, 0
	ds_load_b128 v[32:35], v0 offset:8192
	ds_load_b128 v[28:31], v0 offset:9216
	;; [unrolled: 1-line block ×16, first 2 shown]
	s_waitcnt lgkmcnt(7)
	v_add_f64 v[154:155], v[34:35], v[144:145]
	v_add_f64 v[156:157], v[32:33], v[142:143]
	s_delay_alu instid0(VALU_DEP_2) | instskip(NEXT) | instid1(VALU_DEP_2)
	v_cvt_f32_f64_e32 v154, v[154:155]
	v_cvt_f32_f64_e32 v156, v[156:157]
	s_delay_alu instid0(VALU_DEP_1) | instskip(SKIP_2) | instid1(VALU_DEP_2)
	v_min3_f32 v131, v156, v154, v131
	v_add_f64 v[154:155], v[30:31], v[144:145]
	v_add_f64 v[156:157], v[28:29], v[142:143]
	v_cvt_f32_f64_e32 v154, v[154:155]
	s_delay_alu instid0(VALU_DEP_2) | instskip(NEXT) | instid1(VALU_DEP_1)
	v_cvt_f32_f64_e32 v156, v[156:157]
	v_min3_f32 v130, v156, v154, v130
	v_add_f64 v[154:155], v[26:27], v[144:145]
	v_add_f64 v[156:157], v[24:25], v[142:143]
	s_delay_alu instid0(VALU_DEP_2) | instskip(NEXT) | instid1(VALU_DEP_2)
	v_cvt_f32_f64_e32 v154, v[154:155]
	v_cvt_f32_f64_e32 v156, v[156:157]
	s_delay_alu instid0(VALU_DEP_1) | instskip(SKIP_2) | instid1(VALU_DEP_2)
	v_min3_f32 v129, v156, v154, v129
	v_add_f64 v[154:155], v[22:23], v[144:145]
	v_add_f64 v[156:157], v[20:21], v[142:143]
	v_cvt_f32_f64_e32 v154, v[154:155]
	s_delay_alu instid0(VALU_DEP_2) | instskip(NEXT) | instid1(VALU_DEP_1)
	v_cvt_f32_f64_e32 v156, v[156:157]
	v_min3_f32 v128, v156, v154, v128
	;; [unrolled: 13-line block ×3, first 2 shown]
	v_add_f64 v[154:155], v[6:7], v[144:145]
	v_add_f64 v[156:157], v[4:5], v[142:143]
	;; [unrolled: 1-line block ×4, first 2 shown]
	s_delay_alu instid0(VALU_DEP_4) | instskip(NEXT) | instid1(VALU_DEP_4)
	v_cvt_f32_f64_e32 v154, v[154:155]
	v_cvt_f32_f64_e32 v156, v[156:157]
	s_delay_alu instid0(VALU_DEP_3) | instskip(SKIP_3) | instid1(VALU_DEP_4)
	v_cvt_f32_f64_e32 v142, v[142:143]
	v_cvt_f32_f64_e32 v143, v[144:145]
	s_waitcnt lgkmcnt(6)
	v_add_f64 v[144:145], v[32:33], v[146:147]
	v_min3_f32 v125, v156, v154, v125
	s_delay_alu instid0(VALU_DEP_3) | instskip(SKIP_1) | instid1(VALU_DEP_4)
	v_min3_f32 v124, v142, v143, v124
	v_add_f64 v[142:143], v[34:35], v[148:149]
	v_cvt_f32_f64_e32 v144, v[144:145]
	s_delay_alu instid0(VALU_DEP_2) | instskip(NEXT) | instid1(VALU_DEP_1)
	v_cvt_f32_f64_e32 v142, v[142:143]
	v_min3_f32 v123, v144, v142, v123
	v_add_f64 v[142:143], v[30:31], v[148:149]
	v_add_f64 v[144:145], v[28:29], v[146:147]
	s_delay_alu instid0(VALU_DEP_2) | instskip(NEXT) | instid1(VALU_DEP_2)
	v_cvt_f32_f64_e32 v142, v[142:143]
	v_cvt_f32_f64_e32 v144, v[144:145]
	s_delay_alu instid0(VALU_DEP_1) | instskip(SKIP_2) | instid1(VALU_DEP_2)
	v_min3_f32 v120, v144, v142, v120
	v_add_f64 v[142:143], v[26:27], v[148:149]
	v_add_f64 v[144:145], v[24:25], v[146:147]
	v_cvt_f32_f64_e32 v142, v[142:143]
	s_delay_alu instid0(VALU_DEP_2) | instskip(NEXT) | instid1(VALU_DEP_1)
	v_cvt_f32_f64_e32 v144, v[144:145]
	v_min3_f32 v119, v144, v142, v119
	v_add_f64 v[142:143], v[22:23], v[148:149]
	v_add_f64 v[144:145], v[20:21], v[146:147]
	s_delay_alu instid0(VALU_DEP_2) | instskip(NEXT) | instid1(VALU_DEP_2)
	v_cvt_f32_f64_e32 v142, v[142:143]
	v_cvt_f32_f64_e32 v144, v[144:145]
	s_delay_alu instid0(VALU_DEP_1) | instskip(SKIP_2) | instid1(VALU_DEP_2)
	v_min3_f32 v118, v144, v142, v118
	v_add_f64 v[142:143], v[14:15], v[148:149]
	;; [unrolled: 13-line block ×3, first 2 shown]
	v_add_f64 v[144:145], v[4:5], v[146:147]
	v_cvt_f32_f64_e32 v142, v[142:143]
	s_delay_alu instid0(VALU_DEP_2) | instskip(NEXT) | instid1(VALU_DEP_1)
	v_cvt_f32_f64_e32 v144, v[144:145]
	v_min3_f32 v115, v144, v142, v115
	v_add_f64 v[142:143], v[2:3], v[148:149]
	v_add_f64 v[144:145], v[0:1], v[146:147]
	s_delay_alu instid0(VALU_DEP_2) | instskip(NEXT) | instid1(VALU_DEP_2)
	v_cvt_f32_f64_e32 v142, v[142:143]
	v_cvt_f32_f64_e32 v144, v[144:145]
	s_delay_alu instid0(VALU_DEP_1) | instskip(SKIP_3) | instid1(VALU_DEP_2)
	v_min3_f32 v114, v144, v142, v114
	s_waitcnt lgkmcnt(5)
	v_add_f64 v[142:143], v[34:35], v[152:153]
	v_add_f64 v[144:145], v[32:33], v[150:151]
	v_cvt_f32_f64_e32 v142, v[142:143]
	s_delay_alu instid0(VALU_DEP_2) | instskip(NEXT) | instid1(VALU_DEP_1)
	v_cvt_f32_f64_e32 v144, v[144:145]
	v_min3_f32 v113, v144, v142, v113
	v_add_f64 v[142:143], v[30:31], v[152:153]
	v_add_f64 v[144:145], v[28:29], v[150:151]
	s_delay_alu instid0(VALU_DEP_2) | instskip(NEXT) | instid1(VALU_DEP_2)
	v_cvt_f32_f64_e32 v142, v[142:143]
	v_cvt_f32_f64_e32 v144, v[144:145]
	s_delay_alu instid0(VALU_DEP_1) | instskip(SKIP_2) | instid1(VALU_DEP_2)
	v_min3_f32 v112, v144, v142, v112
	v_add_f64 v[142:143], v[26:27], v[152:153]
	v_add_f64 v[144:145], v[24:25], v[150:151]
	v_cvt_f32_f64_e32 v142, v[142:143]
	s_delay_alu instid0(VALU_DEP_2) | instskip(NEXT) | instid1(VALU_DEP_1)
	v_cvt_f32_f64_e32 v144, v[144:145]
	v_min3_f32 v111, v144, v142, v111
	v_add_f64 v[142:143], v[22:23], v[152:153]
	v_add_f64 v[144:145], v[20:21], v[150:151]
	s_delay_alu instid0(VALU_DEP_2) | instskip(NEXT) | instid1(VALU_DEP_2)
	v_cvt_f32_f64_e32 v142, v[142:143]
	v_cvt_f32_f64_e32 v144, v[144:145]
	s_delay_alu instid0(VALU_DEP_1) | instskip(SKIP_2) | instid1(VALU_DEP_2)
	v_min3_f32 v110, v144, v142, v110
	;; [unrolled: 13-line block ×3, first 2 shown]
	v_add_f64 v[142:143], v[6:7], v[152:153]
	v_add_f64 v[144:145], v[4:5], v[150:151]
	v_cvt_f32_f64_e32 v142, v[142:143]
	s_delay_alu instid0(VALU_DEP_2) | instskip(NEXT) | instid1(VALU_DEP_1)
	v_cvt_f32_f64_e32 v144, v[144:145]
	v_min3_f32 v107, v144, v142, v107
	v_add_f64 v[142:143], v[2:3], v[152:153]
	v_add_f64 v[144:145], v[0:1], v[150:151]
	s_delay_alu instid0(VALU_DEP_2) | instskip(NEXT) | instid1(VALU_DEP_2)
	v_cvt_f32_f64_e32 v142, v[142:143]
	v_cvt_f32_f64_e32 v144, v[144:145]
	s_delay_alu instid0(VALU_DEP_1) | instskip(SKIP_3) | instid1(VALU_DEP_2)
	v_min3_f32 v106, v144, v142, v106
	s_waitcnt lgkmcnt(4)
	v_add_f64 v[142:143], v[34:35], v[50:51]
	v_add_f64 v[144:145], v[32:33], v[48:49]
	v_cvt_f32_f64_e32 v142, v[142:143]
	s_delay_alu instid0(VALU_DEP_2) | instskip(NEXT) | instid1(VALU_DEP_1)
	v_cvt_f32_f64_e32 v144, v[144:145]
	v_min3_f32 v105, v144, v142, v105
	v_add_f64 v[142:143], v[30:31], v[50:51]
	v_add_f64 v[144:145], v[28:29], v[48:49]
	s_delay_alu instid0(VALU_DEP_2) | instskip(NEXT) | instid1(VALU_DEP_2)
	v_cvt_f32_f64_e32 v142, v[142:143]
	v_cvt_f32_f64_e32 v144, v[144:145]
	s_delay_alu instid0(VALU_DEP_1) | instskip(SKIP_2) | instid1(VALU_DEP_2)
	v_min3_f32 v104, v144, v142, v104
	v_add_f64 v[142:143], v[26:27], v[50:51]
	v_add_f64 v[144:145], v[24:25], v[48:49]
	v_cvt_f32_f64_e32 v142, v[142:143]
	s_delay_alu instid0(VALU_DEP_2) | instskip(NEXT) | instid1(VALU_DEP_1)
	v_cvt_f32_f64_e32 v144, v[144:145]
	v_min3_f32 v103, v144, v142, v103
	v_add_f64 v[142:143], v[22:23], v[50:51]
	v_add_f64 v[144:145], v[20:21], v[48:49]
	s_delay_alu instid0(VALU_DEP_2) | instskip(NEXT) | instid1(VALU_DEP_2)
	v_cvt_f32_f64_e32 v142, v[142:143]
	v_cvt_f32_f64_e32 v144, v[144:145]
	s_delay_alu instid0(VALU_DEP_1) | instskip(SKIP_2) | instid1(VALU_DEP_2)
	v_min3_f32 v102, v144, v142, v102
	v_add_f64 v[142:143], v[14:15], v[50:51]
	v_add_f64 v[144:145], v[12:13], v[48:49]
	v_cvt_f32_f64_e32 v142, v[142:143]
	s_delay_alu instid0(VALU_DEP_2) | instskip(NEXT) | instid1(VALU_DEP_1)
	v_cvt_f32_f64_e32 v144, v[144:145]
	v_min3_f32 v101, v144, v142, v101
	v_add_f64 v[142:143], v[10:11], v[50:51]
	v_add_f64 v[144:145], v[8:9], v[48:49]
	s_delay_alu instid0(VALU_DEP_2) | instskip(NEXT) | instid1(VALU_DEP_2)
	v_cvt_f32_f64_e32 v142, v[142:143]
	v_cvt_f32_f64_e32 v144, v[144:145]
	s_delay_alu instid0(VALU_DEP_1) | instskip(SKIP_4) | instid1(VALU_DEP_4)
	v_min3_f32 v100, v144, v142, v100
	v_add_f64 v[142:143], v[6:7], v[50:51]
	v_add_f64 v[144:145], v[4:5], v[48:49]
	;; [unrolled: 1-line block ×4, first 2 shown]
	v_cvt_f32_f64_e32 v142, v[142:143]
	s_delay_alu instid0(VALU_DEP_4) | instskip(NEXT) | instid1(VALU_DEP_3)
	v_cvt_f32_f64_e32 v144, v[144:145]
	v_cvt_f32_f64_e32 v48, v[48:49]
	;; [unrolled: 1-line block ×3, first 2 shown]
	s_waitcnt lgkmcnt(3)
	v_add_f64 v[50:51], v[32:33], v[44:45]
	s_delay_alu instid0(VALU_DEP_4) | instskip(NEXT) | instid1(VALU_DEP_3)
	v_min3_f32 v99, v144, v142, v99
	v_min3_f32 v98, v48, v49, v98
	v_add_f64 v[48:49], v[34:35], v[46:47]
	s_delay_alu instid0(VALU_DEP_4) | instskip(NEXT) | instid1(VALU_DEP_2)
	v_cvt_f32_f64_e32 v50, v[50:51]
	v_cvt_f32_f64_e32 v48, v[48:49]
	s_delay_alu instid0(VALU_DEP_1) | instskip(SKIP_2) | instid1(VALU_DEP_2)
	v_min3_f32 v97, v50, v48, v97
	v_add_f64 v[48:49], v[30:31], v[46:47]
	v_add_f64 v[50:51], v[28:29], v[44:45]
	v_cvt_f32_f64_e32 v48, v[48:49]
	s_delay_alu instid0(VALU_DEP_2) | instskip(NEXT) | instid1(VALU_DEP_1)
	v_cvt_f32_f64_e32 v50, v[50:51]
	v_min3_f32 v96, v50, v48, v96
	v_add_f64 v[48:49], v[26:27], v[46:47]
	v_add_f64 v[50:51], v[24:25], v[44:45]
	s_delay_alu instid0(VALU_DEP_2) | instskip(NEXT) | instid1(VALU_DEP_2)
	v_cvt_f32_f64_e32 v48, v[48:49]
	v_cvt_f32_f64_e32 v50, v[50:51]
	s_delay_alu instid0(VALU_DEP_1) | instskip(SKIP_2) | instid1(VALU_DEP_2)
	v_min3_f32 v95, v50, v48, v95
	v_add_f64 v[48:49], v[22:23], v[46:47]
	v_add_f64 v[50:51], v[20:21], v[44:45]
	v_cvt_f32_f64_e32 v48, v[48:49]
	s_delay_alu instid0(VALU_DEP_2) | instskip(NEXT) | instid1(VALU_DEP_1)
	v_cvt_f32_f64_e32 v50, v[50:51]
	v_min3_f32 v94, v50, v48, v94
	v_add_f64 v[48:49], v[14:15], v[46:47]
	v_add_f64 v[50:51], v[12:13], v[44:45]
	s_delay_alu instid0(VALU_DEP_2) | instskip(NEXT) | instid1(VALU_DEP_2)
	v_cvt_f32_f64_e32 v48, v[48:49]
	v_cvt_f32_f64_e32 v50, v[50:51]
	s_delay_alu instid0(VALU_DEP_1) | instskip(SKIP_2) | instid1(VALU_DEP_2)
	v_min3_f32 v93, v50, v48, v93
	v_add_f64 v[48:49], v[10:11], v[46:47]
	v_add_f64 v[50:51], v[8:9], v[44:45]
	v_cvt_f32_f64_e32 v48, v[48:49]
	s_delay_alu instid0(VALU_DEP_2) | instskip(NEXT) | instid1(VALU_DEP_1)
	v_cvt_f32_f64_e32 v50, v[50:51]
	v_min3_f32 v92, v50, v48, v92
	v_add_f64 v[48:49], v[6:7], v[46:47]
	v_add_f64 v[50:51], v[4:5], v[44:45]
	;; [unrolled: 1-line block ×4, first 2 shown]
	s_delay_alu instid0(VALU_DEP_4) | instskip(NEXT) | instid1(VALU_DEP_4)
	v_cvt_f32_f64_e32 v48, v[48:49]
	v_cvt_f32_f64_e32 v50, v[50:51]
	s_delay_alu instid0(VALU_DEP_3) | instskip(SKIP_3) | instid1(VALU_DEP_4)
	v_cvt_f32_f64_e32 v44, v[44:45]
	v_cvt_f32_f64_e32 v45, v[46:47]
	s_waitcnt lgkmcnt(2)
	v_add_f64 v[46:47], v[32:33], v[40:41]
	v_min3_f32 v91, v50, v48, v91
	s_delay_alu instid0(VALU_DEP_3) | instskip(SKIP_1) | instid1(VALU_DEP_4)
	v_min3_f32 v90, v44, v45, v90
	v_add_f64 v[44:45], v[34:35], v[42:43]
	v_cvt_f32_f64_e32 v46, v[46:47]
	s_delay_alu instid0(VALU_DEP_2) | instskip(NEXT) | instid1(VALU_DEP_1)
	v_cvt_f32_f64_e32 v44, v[44:45]
	v_min3_f32 v89, v46, v44, v89
	v_add_f64 v[44:45], v[30:31], v[42:43]
	v_add_f64 v[46:47], v[28:29], v[40:41]
	s_delay_alu instid0(VALU_DEP_2) | instskip(NEXT) | instid1(VALU_DEP_2)
	v_cvt_f32_f64_e32 v44, v[44:45]
	v_cvt_f32_f64_e32 v46, v[46:47]
	s_delay_alu instid0(VALU_DEP_1) | instskip(SKIP_2) | instid1(VALU_DEP_2)
	v_min3_f32 v88, v46, v44, v88
	v_add_f64 v[44:45], v[26:27], v[42:43]
	v_add_f64 v[46:47], v[24:25], v[40:41]
	v_cvt_f32_f64_e32 v44, v[44:45]
	s_delay_alu instid0(VALU_DEP_2) | instskip(NEXT) | instid1(VALU_DEP_1)
	v_cvt_f32_f64_e32 v46, v[46:47]
	v_min3_f32 v87, v46, v44, v87
	v_add_f64 v[44:45], v[22:23], v[42:43]
	v_add_f64 v[46:47], v[20:21], v[40:41]
	s_delay_alu instid0(VALU_DEP_2) | instskip(NEXT) | instid1(VALU_DEP_2)
	v_cvt_f32_f64_e32 v44, v[44:45]
	v_cvt_f32_f64_e32 v46, v[46:47]
	s_delay_alu instid0(VALU_DEP_1) | instskip(SKIP_2) | instid1(VALU_DEP_2)
	v_min3_f32 v86, v46, v44, v86
	v_add_f64 v[44:45], v[14:15], v[42:43]
	v_add_f64 v[46:47], v[12:13], v[40:41]
	v_cvt_f32_f64_e32 v44, v[44:45]
	s_delay_alu instid0(VALU_DEP_2) | instskip(NEXT) | instid1(VALU_DEP_1)
	v_cvt_f32_f64_e32 v46, v[46:47]
	v_min3_f32 v85, v46, v44, v85
	v_add_f64 v[44:45], v[10:11], v[42:43]
	v_add_f64 v[46:47], v[8:9], v[40:41]
	s_delay_alu instid0(VALU_DEP_2) | instskip(NEXT) | instid1(VALU_DEP_2)
	v_cvt_f32_f64_e32 v44, v[44:45]
	v_cvt_f32_f64_e32 v46, v[46:47]
	s_delay_alu instid0(VALU_DEP_1) | instskip(SKIP_4) | instid1(VALU_DEP_4)
	v_min3_f32 v84, v46, v44, v84
	v_add_f64 v[44:45], v[6:7], v[42:43]
	v_add_f64 v[46:47], v[4:5], v[40:41]
	;; [unrolled: 1-line block ×4, first 2 shown]
	v_cvt_f32_f64_e32 v44, v[44:45]
	s_delay_alu instid0(VALU_DEP_4) | instskip(NEXT) | instid1(VALU_DEP_3)
	v_cvt_f32_f64_e32 v46, v[46:47]
	v_cvt_f32_f64_e32 v40, v[40:41]
	;; [unrolled: 1-line block ×3, first 2 shown]
	s_waitcnt lgkmcnt(1)
	v_add_f64 v[42:43], v[32:33], v[36:37]
	s_waitcnt lgkmcnt(0)
	v_add_f64 v[32:33], v[32:33], v[16:17]
	v_min3_f32 v83, v46, v44, v83
	s_delay_alu instid0(VALU_DEP_4) | instskip(SKIP_4) | instid1(VALU_DEP_4)
	v_min3_f32 v82, v40, v41, v82
	v_add_f64 v[40:41], v[34:35], v[38:39]
	v_cvt_f32_f64_e32 v42, v[42:43]
	v_add_f64 v[34:35], v[34:35], v[18:19]
	v_cvt_f32_f64_e32 v32, v[32:33]
	v_cvt_f32_f64_e32 v40, v[40:41]
	s_delay_alu instid0(VALU_DEP_3) | instskip(NEXT) | instid1(VALU_DEP_2)
	v_cvt_f32_f64_e32 v33, v[34:35]
	v_min3_f32 v81, v42, v40, v81
	v_add_f64 v[40:41], v[30:31], v[38:39]
	v_add_f64 v[42:43], v[28:29], v[36:37]
	v_add_f64 v[30:31], v[30:31], v[18:19]
	v_add_f64 v[28:29], v[28:29], v[16:17]
	v_min3_f32 v73, v32, v33, v73
	v_cvt_f32_f64_e32 v40, v[40:41]
	v_cvt_f32_f64_e32 v42, v[42:43]
	s_delay_alu instid0(VALU_DEP_4) | instskip(SKIP_1) | instid1(VALU_DEP_3)
	v_cvt_f32_f64_e32 v28, v[28:29]
	v_cvt_f32_f64_e32 v29, v[30:31]
	v_min3_f32 v80, v42, v40, v80
	v_add_f64 v[40:41], v[26:27], v[38:39]
	v_add_f64 v[42:43], v[24:25], v[36:37]
	v_add_f64 v[26:27], v[26:27], v[18:19]
	v_add_f64 v[24:25], v[24:25], v[16:17]
	v_min3_f32 v72, v28, v29, v72
	v_cvt_f32_f64_e32 v40, v[40:41]
	v_cvt_f32_f64_e32 v42, v[42:43]
	s_delay_alu instid0(VALU_DEP_4) | instskip(SKIP_1) | instid1(VALU_DEP_3)
	v_cvt_f32_f64_e32 v24, v[24:25]
	;; [unrolled: 11-line block ×5, first 2 shown]
	v_cvt_f32_f64_e32 v9, v[10:11]
	v_min3_f32 v76, v42, v40, v76
	v_add_f64 v[40:41], v[6:7], v[38:39]
	v_add_f64 v[42:43], v[4:5], v[36:37]
	v_add_f64 v[38:39], v[2:3], v[38:39]
	v_add_f64 v[36:37], v[0:1], v[36:37]
	v_add_f64 v[6:7], v[6:7], v[18:19]
	v_add_f64 v[4:5], v[4:5], v[16:17]
	v_add_f64 v[2:3], v[2:3], v[18:19]
	v_add_f64 v[0:1], v[0:1], v[16:17]
	v_min3_f32 v68, v8, v9, v68
	v_cvt_f32_f64_e32 v40, v[40:41]
	v_cvt_f32_f64_e32 v42, v[42:43]
	;; [unrolled: 1-line block ×8, first 2 shown]
	v_min3_f32 v75, v42, v40, v75
	v_min3_f32 v74, v36, v37, v74
	;; [unrolled: 1-line block ×3, first 2 shown]
	s_delay_alu instid0(VALU_DEP_4)
	v_min3_f32 v66, v0, v1, v66
	s_cbranch_vccz .LBB161_43
; %bb.44:                               ;   in Loop: Header=BB161_32 Depth=1
	v_add3_u32 v2, v132, s31, 4
	ds_store_2addr_stride64_b64 v134, v[56:57], v[58:59] offset1:4
	ds_store_2addr_stride64_b64 v134, v[60:61], v[62:63] offset0:8 offset1:12
	ds_store_b64 v135, v[64:65]
	s_waitcnt lgkmcnt(0)
	v_min_i32_e32 v3, s21, v2
	v_cmp_le_i32_e32 vcc_lo, s18, v2
	s_barrier
	buffer_gl0_inv
	v_mad_i64_i32 v[0:1], null, v3, s19, 0
	s_or_b32 s33, s2, vcc_lo
	s_delay_alu instid0(SALU_CYCLE_1) | instskip(SKIP_1) | instid1(VALU_DEP_3)
	v_cndmask_b32_e64 v57, 0, 0x7fefffff, s33
	v_cndmask_b32_e64 v56, 0, -1, s33
	v_lshlrev_b64 v[0:1], 3, v[0:1]
	s_delay_alu instid0(VALU_DEP_1) | instskip(NEXT) | instid1(VALU_DEP_1)
	v_add_co_u32 v0, s7, s28, v0
	v_add_co_ci_u32_e64 v1, s7, s29, v1, s7
	s_or_b32 s7, s20, s33
	s_delay_alu instid0(SALU_CYCLE_1) | instskip(NEXT) | instid1(SALU_CYCLE_1)
	s_xor_b32 s7, s7, -1
	s_and_saveexec_b32 s33, s7
	s_cbranch_execz .LBB161_46
; %bb.45:                               ;   in Loop: Header=BB161_32 Depth=1
	v_add_co_u32 v2, s7, v0, v52
	s_delay_alu instid0(VALU_DEP_1)
	v_add_co_ci_u32_e64 v3, s7, v1, v53, s7
	flat_load_b64 v[2:3], v[2:3]
	s_waitcnt vmcnt(0) lgkmcnt(0)
	v_mul_f64 v[56:57], v[2:3], s[24:25]
.LBB161_46:                             ;   in Loop: Header=BB161_32 Depth=1
	s_or_b32 exec_lo, exec_lo, s33
	s_or_b32 s7, s3, vcc_lo
	s_delay_alu instid0(SALU_CYCLE_1) | instskip(SKIP_2) | instid1(SALU_CYCLE_1)
	v_cndmask_b32_e64 v59, 0, 0x7fefffff, s7
	v_cndmask_b32_e64 v58, 0, -1, s7
	s_or_b32 s7, s20, s7
	s_xor_b32 s7, s7, -1
	s_delay_alu instid0(SALU_CYCLE_1)
	s_and_saveexec_b32 s33, s7
	s_cbranch_execz .LBB161_48
; %bb.47:                               ;   in Loop: Header=BB161_32 Depth=1
	v_add_co_u32 v2, s7, v0, v52
	s_delay_alu instid0(VALU_DEP_1)
	v_add_co_ci_u32_e64 v3, s7, v1, v53, s7
	flat_load_b64 v[2:3], v[2:3] offset:512
	s_waitcnt vmcnt(0) lgkmcnt(0)
	v_mul_f64 v[58:59], v[2:3], s[24:25]
.LBB161_48:                             ;   in Loop: Header=BB161_32 Depth=1
	s_or_b32 exec_lo, exec_lo, s33
	s_or_b32 s7, s4, vcc_lo
	s_delay_alu instid0(SALU_CYCLE_1) | instskip(SKIP_2) | instid1(SALU_CYCLE_1)
	v_cndmask_b32_e64 v61, 0, 0x7fefffff, s7
	v_cndmask_b32_e64 v60, 0, -1, s7
	s_or_b32 s7, s20, s7
	s_xor_b32 s7, s7, -1
	s_delay_alu instid0(SALU_CYCLE_1)
	s_and_saveexec_b32 s33, s7
	s_cbranch_execz .LBB161_50
; %bb.49:                               ;   in Loop: Header=BB161_32 Depth=1
	v_add_co_u32 v2, s7, v0, v52
	s_delay_alu instid0(VALU_DEP_1)
	v_add_co_ci_u32_e64 v3, s7, v1, v53, s7
	flat_load_b64 v[2:3], v[2:3] offset:1024
	s_waitcnt vmcnt(0) lgkmcnt(0)
	v_mul_f64 v[60:61], v[2:3], s[24:25]
.LBB161_50:                             ;   in Loop: Header=BB161_32 Depth=1
	s_or_b32 exec_lo, exec_lo, s33
	s_or_b32 s7, s5, vcc_lo
	s_delay_alu instid0(SALU_CYCLE_1) | instskip(SKIP_2) | instid1(SALU_CYCLE_1)
	v_cndmask_b32_e64 v63, 0, 0x7fefffff, s7
	v_cndmask_b32_e64 v62, 0, -1, s7
	s_or_b32 s7, s20, s7
	s_xor_b32 s33, s7, -1
	s_delay_alu instid0(SALU_CYCLE_1)
	s_and_saveexec_b32 s7, s33
	s_cbranch_execz .LBB161_52
; %bb.51:                               ;   in Loop: Header=BB161_32 Depth=1
	v_add_co_u32 v0, vcc_lo, v0, v52
	v_add_co_ci_u32_e32 v1, vcc_lo, v1, v53, vcc_lo
	flat_load_b64 v[0:1], v[0:1] offset:1536
	s_waitcnt vmcnt(0) lgkmcnt(0)
	v_mul_f64 v[62:63], v[0:1], s[24:25]
.LBB161_52:                             ;   in Loop: Header=BB161_32 Depth=1
	s_or_b32 exec_lo, exec_lo, s7
	v_or_b32_e32 v0, 4, v54
	s_delay_alu instid0(VALU_DEP_1) | instskip(SKIP_1) | instid1(SALU_CYCLE_1)
	v_cmp_le_i32_e32 vcc_lo, s18, v0
	s_or_b32 s7, vcc_lo, s6
	v_cndmask_b32_e64 v65, 0, 0x7fefffff, s7
	v_cndmask_b32_e64 v64, 0, -1, s7
	s_or_b32 s7, s20, s7
	s_delay_alu instid0(SALU_CYCLE_1) | instskip(NEXT) | instid1(SALU_CYCLE_1)
	s_xor_b32 s33, s7, -1
	s_and_saveexec_b32 s7, s33
	s_cbranch_execz .LBB161_54
; %bb.53:                               ;   in Loop: Header=BB161_32 Depth=1
	v_lshlrev_b64 v[0:1], 3, v[54:55]
	s_delay_alu instid0(VALU_DEP_1) | instskip(NEXT) | instid1(VALU_DEP_2)
	v_add_co_u32 v0, vcc_lo, v140, v0
	v_add_co_ci_u32_e32 v1, vcc_lo, v141, v1, vcc_lo
	flat_load_b64 v[0:1], v[0:1]
	s_waitcnt vmcnt(0) lgkmcnt(0)
	v_mul_f64 v[64:65], v[0:1], s[24:25]
.LBB161_54:                             ;   in Loop: Header=BB161_32 Depth=1
	s_or_b32 exec_lo, exec_lo, s7
	s_mov_b32 s33, 0
	s_mov_b32 s7, -1
.LBB161_55:                             ;   Parent Loop BB161_32 Depth=1
                                        ; =>  This Inner Loop Header: Depth=2
	s_lshl_b32 s33, s33, 3
	s_and_not1_b32 vcc_lo, exec_lo, s7
	v_lshl_add_u32 v0, v121, 5, s33
	v_lshl_add_u32 v16, v122, 5, s33
	s_mov_b32 s33, 2
	s_mov_b32 s7, 0
	ds_load_b128 v[32:35], v0
	ds_load_b128 v[28:31], v0 offset:1024
	ds_load_b128 v[24:27], v0 offset:2048
	;; [unrolled: 1-line block ×15, first 2 shown]
	s_waitcnt lgkmcnt(7)
	v_add_f64 v[154:155], v[34:35], v[144:145]
	v_add_f64 v[156:157], v[32:33], v[142:143]
	s_delay_alu instid0(VALU_DEP_2) | instskip(NEXT) | instid1(VALU_DEP_2)
	v_cvt_f32_f64_e32 v154, v[154:155]
	v_cvt_f32_f64_e32 v54, v[156:157]
	v_add_f64 v[156:157], v[28:29], v[142:143]
	s_delay_alu instid0(VALU_DEP_2) | instskip(SKIP_1) | instid1(VALU_DEP_3)
	v_min3_f32 v131, v54, v154, v131
	v_add_f64 v[154:155], v[30:31], v[144:145]
	v_cvt_f32_f64_e32 v54, v[156:157]
	v_add_f64 v[156:157], v[24:25], v[142:143]
	s_delay_alu instid0(VALU_DEP_3) | instskip(NEXT) | instid1(VALU_DEP_1)
	v_cvt_f32_f64_e32 v154, v[154:155]
	v_min3_f32 v130, v54, v154, v130
	v_add_f64 v[154:155], v[26:27], v[144:145]
	s_delay_alu instid0(VALU_DEP_4) | instskip(SKIP_1) | instid1(VALU_DEP_3)
	v_cvt_f32_f64_e32 v54, v[156:157]
	v_add_f64 v[156:157], v[20:21], v[142:143]
	v_cvt_f32_f64_e32 v154, v[154:155]
	s_delay_alu instid0(VALU_DEP_1) | instskip(SKIP_1) | instid1(VALU_DEP_4)
	v_min3_f32 v129, v54, v154, v129
	v_add_f64 v[154:155], v[22:23], v[144:145]
	v_cvt_f32_f64_e32 v54, v[156:157]
	v_add_f64 v[156:157], v[12:13], v[142:143]
	s_delay_alu instid0(VALU_DEP_3) | instskip(NEXT) | instid1(VALU_DEP_1)
	v_cvt_f32_f64_e32 v154, v[154:155]
	v_min3_f32 v128, v54, v154, v128
	v_add_f64 v[154:155], v[14:15], v[144:145]
	s_delay_alu instid0(VALU_DEP_4) | instskip(SKIP_1) | instid1(VALU_DEP_3)
	v_cvt_f32_f64_e32 v54, v[156:157]
	v_add_f64 v[156:157], v[8:9], v[142:143]
	v_cvt_f32_f64_e32 v154, v[154:155]
	s_delay_alu instid0(VALU_DEP_1) | instskip(SKIP_1) | instid1(VALU_DEP_4)
	v_min3_f32 v127, v54, v154, v127
	v_add_f64 v[154:155], v[10:11], v[144:145]
	v_cvt_f32_f64_e32 v54, v[156:157]
	v_add_f64 v[156:157], v[4:5], v[142:143]
	v_add_f64 v[142:143], v[0:1], v[142:143]
	s_delay_alu instid0(VALU_DEP_4) | instskip(NEXT) | instid1(VALU_DEP_1)
	v_cvt_f32_f64_e32 v154, v[154:155]
	v_min3_f32 v126, v54, v154, v126
	v_add_f64 v[154:155], v[6:7], v[144:145]
	v_cvt_f32_f64_e32 v54, v[156:157]
	v_add_f64 v[144:145], v[2:3], v[144:145]
	s_delay_alu instid0(VALU_DEP_3) | instskip(NEXT) | instid1(VALU_DEP_1)
	v_cvt_f32_f64_e32 v154, v[154:155]
	v_min3_f32 v125, v54, v154, v125
	v_cvt_f32_f64_e32 v54, v[142:143]
	s_delay_alu instid0(VALU_DEP_4) | instskip(SKIP_2) | instid1(VALU_DEP_2)
	v_cvt_f32_f64_e32 v142, v[144:145]
	s_waitcnt lgkmcnt(6)
	v_add_f64 v[144:145], v[32:33], v[146:147]
	v_min3_f32 v124, v54, v142, v124
	v_add_f64 v[142:143], v[34:35], v[148:149]
	s_delay_alu instid0(VALU_DEP_3) | instskip(SKIP_1) | instid1(VALU_DEP_3)
	v_cvt_f32_f64_e32 v54, v[144:145]
	v_add_f64 v[144:145], v[28:29], v[146:147]
	v_cvt_f32_f64_e32 v142, v[142:143]
	s_delay_alu instid0(VALU_DEP_1) | instskip(SKIP_1) | instid1(VALU_DEP_4)
	v_min3_f32 v123, v54, v142, v123
	v_add_f64 v[142:143], v[30:31], v[148:149]
	v_cvt_f32_f64_e32 v54, v[144:145]
	v_add_f64 v[144:145], v[24:25], v[146:147]
	s_delay_alu instid0(VALU_DEP_3) | instskip(NEXT) | instid1(VALU_DEP_1)
	v_cvt_f32_f64_e32 v142, v[142:143]
	v_min3_f32 v120, v54, v142, v120
	v_add_f64 v[142:143], v[26:27], v[148:149]
	s_delay_alu instid0(VALU_DEP_4) | instskip(SKIP_1) | instid1(VALU_DEP_3)
	v_cvt_f32_f64_e32 v54, v[144:145]
	v_add_f64 v[144:145], v[20:21], v[146:147]
	v_cvt_f32_f64_e32 v142, v[142:143]
	s_delay_alu instid0(VALU_DEP_1) | instskip(SKIP_1) | instid1(VALU_DEP_4)
	v_min3_f32 v119, v54, v142, v119
	v_add_f64 v[142:143], v[22:23], v[148:149]
	v_cvt_f32_f64_e32 v54, v[144:145]
	v_add_f64 v[144:145], v[12:13], v[146:147]
	s_delay_alu instid0(VALU_DEP_3) | instskip(NEXT) | instid1(VALU_DEP_1)
	v_cvt_f32_f64_e32 v142, v[142:143]
	v_min3_f32 v118, v54, v142, v118
	v_add_f64 v[142:143], v[14:15], v[148:149]
	s_delay_alu instid0(VALU_DEP_4) | instskip(SKIP_1) | instid1(VALU_DEP_3)
	;; [unrolled: 13-line block ×3, first 2 shown]
	v_cvt_f32_f64_e32 v54, v[144:145]
	v_add_f64 v[144:145], v[0:1], v[146:147]
	v_cvt_f32_f64_e32 v142, v[142:143]
	s_delay_alu instid0(VALU_DEP_1) | instskip(SKIP_1) | instid1(VALU_DEP_4)
	v_min3_f32 v115, v54, v142, v115
	v_add_f64 v[142:143], v[2:3], v[148:149]
	v_cvt_f32_f64_e32 v54, v[144:145]
	s_waitcnt lgkmcnt(5)
	v_add_f64 v[144:145], v[32:33], v[150:151]
	s_delay_alu instid0(VALU_DEP_3) | instskip(NEXT) | instid1(VALU_DEP_1)
	v_cvt_f32_f64_e32 v142, v[142:143]
	v_min3_f32 v114, v54, v142, v114
	v_add_f64 v[142:143], v[34:35], v[152:153]
	s_delay_alu instid0(VALU_DEP_4) | instskip(SKIP_1) | instid1(VALU_DEP_3)
	v_cvt_f32_f64_e32 v54, v[144:145]
	v_add_f64 v[144:145], v[28:29], v[150:151]
	v_cvt_f32_f64_e32 v142, v[142:143]
	s_delay_alu instid0(VALU_DEP_1) | instskip(SKIP_1) | instid1(VALU_DEP_4)
	v_min3_f32 v113, v54, v142, v113
	v_add_f64 v[142:143], v[30:31], v[152:153]
	v_cvt_f32_f64_e32 v54, v[144:145]
	v_add_f64 v[144:145], v[24:25], v[150:151]
	s_delay_alu instid0(VALU_DEP_3) | instskip(NEXT) | instid1(VALU_DEP_1)
	v_cvt_f32_f64_e32 v142, v[142:143]
	v_min3_f32 v112, v54, v142, v112
	v_add_f64 v[142:143], v[26:27], v[152:153]
	s_delay_alu instid0(VALU_DEP_4) | instskip(SKIP_1) | instid1(VALU_DEP_3)
	v_cvt_f32_f64_e32 v54, v[144:145]
	v_add_f64 v[144:145], v[20:21], v[150:151]
	v_cvt_f32_f64_e32 v142, v[142:143]
	s_delay_alu instid0(VALU_DEP_1) | instskip(SKIP_1) | instid1(VALU_DEP_4)
	v_min3_f32 v111, v54, v142, v111
	v_add_f64 v[142:143], v[22:23], v[152:153]
	v_cvt_f32_f64_e32 v54, v[144:145]
	;; [unrolled: 13-line block ×4, first 2 shown]
	s_waitcnt lgkmcnt(4)
	v_add_f64 v[144:145], v[32:33], v[48:49]
	s_delay_alu instid0(VALU_DEP_3) | instskip(NEXT) | instid1(VALU_DEP_1)
	v_cvt_f32_f64_e32 v142, v[142:143]
	v_min3_f32 v106, v54, v142, v106
	v_add_f64 v[142:143], v[34:35], v[50:51]
	s_delay_alu instid0(VALU_DEP_4) | instskip(SKIP_1) | instid1(VALU_DEP_3)
	v_cvt_f32_f64_e32 v54, v[144:145]
	v_add_f64 v[144:145], v[28:29], v[48:49]
	v_cvt_f32_f64_e32 v142, v[142:143]
	s_delay_alu instid0(VALU_DEP_1) | instskip(SKIP_1) | instid1(VALU_DEP_4)
	v_min3_f32 v105, v54, v142, v105
	v_add_f64 v[142:143], v[30:31], v[50:51]
	v_cvt_f32_f64_e32 v54, v[144:145]
	v_add_f64 v[144:145], v[24:25], v[48:49]
	s_delay_alu instid0(VALU_DEP_3) | instskip(NEXT) | instid1(VALU_DEP_1)
	v_cvt_f32_f64_e32 v142, v[142:143]
	v_min3_f32 v104, v54, v142, v104
	v_add_f64 v[142:143], v[26:27], v[50:51]
	s_delay_alu instid0(VALU_DEP_4) | instskip(SKIP_1) | instid1(VALU_DEP_3)
	v_cvt_f32_f64_e32 v54, v[144:145]
	v_add_f64 v[144:145], v[20:21], v[48:49]
	v_cvt_f32_f64_e32 v142, v[142:143]
	s_delay_alu instid0(VALU_DEP_1) | instskip(SKIP_1) | instid1(VALU_DEP_4)
	v_min3_f32 v103, v54, v142, v103
	v_add_f64 v[142:143], v[22:23], v[50:51]
	v_cvt_f32_f64_e32 v54, v[144:145]
	;; [unrolled: 13-line block ×3, first 2 shown]
	v_add_f64 v[144:145], v[4:5], v[48:49]
	v_add_f64 v[48:49], v[0:1], v[48:49]
	s_delay_alu instid0(VALU_DEP_4) | instskip(NEXT) | instid1(VALU_DEP_2)
	v_cvt_f32_f64_e32 v142, v[142:143]
	v_cvt_f32_f64_e32 v48, v[48:49]
	s_delay_alu instid0(VALU_DEP_2) | instskip(SKIP_3) | instid1(VALU_DEP_3)
	v_min3_f32 v100, v54, v142, v100
	v_add_f64 v[142:143], v[6:7], v[50:51]
	v_add_f64 v[50:51], v[2:3], v[50:51]
	v_cvt_f32_f64_e32 v54, v[144:145]
	v_cvt_f32_f64_e32 v142, v[142:143]
	s_delay_alu instid0(VALU_DEP_3) | instskip(SKIP_2) | instid1(VALU_DEP_3)
	v_cvt_f32_f64_e32 v49, v[50:51]
	s_waitcnt lgkmcnt(3)
	v_add_f64 v[50:51], v[32:33], v[44:45]
	v_min3_f32 v99, v54, v142, v99
	s_delay_alu instid0(VALU_DEP_3) | instskip(SKIP_1) | instid1(VALU_DEP_4)
	v_min3_f32 v98, v48, v49, v98
	v_add_f64 v[48:49], v[34:35], v[46:47]
	v_cvt_f32_f64_e32 v50, v[50:51]
	s_delay_alu instid0(VALU_DEP_2) | instskip(NEXT) | instid1(VALU_DEP_1)
	v_cvt_f32_f64_e32 v48, v[48:49]
	v_min3_f32 v97, v50, v48, v97
	v_add_f64 v[48:49], v[30:31], v[46:47]
	v_add_f64 v[50:51], v[28:29], v[44:45]
	s_delay_alu instid0(VALU_DEP_2) | instskip(NEXT) | instid1(VALU_DEP_2)
	v_cvt_f32_f64_e32 v48, v[48:49]
	v_cvt_f32_f64_e32 v50, v[50:51]
	s_delay_alu instid0(VALU_DEP_1) | instskip(SKIP_2) | instid1(VALU_DEP_2)
	v_min3_f32 v96, v50, v48, v96
	v_add_f64 v[48:49], v[26:27], v[46:47]
	v_add_f64 v[50:51], v[24:25], v[44:45]
	v_cvt_f32_f64_e32 v48, v[48:49]
	s_delay_alu instid0(VALU_DEP_2) | instskip(NEXT) | instid1(VALU_DEP_1)
	v_cvt_f32_f64_e32 v50, v[50:51]
	v_min3_f32 v95, v50, v48, v95
	v_add_f64 v[48:49], v[22:23], v[46:47]
	v_add_f64 v[50:51], v[20:21], v[44:45]
	s_delay_alu instid0(VALU_DEP_2) | instskip(NEXT) | instid1(VALU_DEP_2)
	v_cvt_f32_f64_e32 v48, v[48:49]
	v_cvt_f32_f64_e32 v50, v[50:51]
	s_delay_alu instid0(VALU_DEP_1) | instskip(SKIP_2) | instid1(VALU_DEP_2)
	v_min3_f32 v94, v50, v48, v94
	v_add_f64 v[48:49], v[14:15], v[46:47]
	v_add_f64 v[50:51], v[12:13], v[44:45]
	v_cvt_f32_f64_e32 v48, v[48:49]
	s_delay_alu instid0(VALU_DEP_2) | instskip(NEXT) | instid1(VALU_DEP_1)
	v_cvt_f32_f64_e32 v50, v[50:51]
	v_min3_f32 v93, v50, v48, v93
	v_add_f64 v[48:49], v[10:11], v[46:47]
	v_add_f64 v[50:51], v[8:9], v[44:45]
	s_delay_alu instid0(VALU_DEP_2) | instskip(NEXT) | instid1(VALU_DEP_2)
	v_cvt_f32_f64_e32 v48, v[48:49]
	v_cvt_f32_f64_e32 v50, v[50:51]
	s_delay_alu instid0(VALU_DEP_1) | instskip(SKIP_4) | instid1(VALU_DEP_4)
	v_min3_f32 v92, v50, v48, v92
	v_add_f64 v[48:49], v[6:7], v[46:47]
	v_add_f64 v[50:51], v[4:5], v[44:45]
	;; [unrolled: 1-line block ×4, first 2 shown]
	v_cvt_f32_f64_e32 v48, v[48:49]
	s_delay_alu instid0(VALU_DEP_4) | instskip(NEXT) | instid1(VALU_DEP_3)
	v_cvt_f32_f64_e32 v50, v[50:51]
	v_cvt_f32_f64_e32 v44, v[44:45]
	;; [unrolled: 1-line block ×3, first 2 shown]
	s_waitcnt lgkmcnt(2)
	v_add_f64 v[46:47], v[32:33], v[40:41]
	s_delay_alu instid0(VALU_DEP_4) | instskip(NEXT) | instid1(VALU_DEP_3)
	v_min3_f32 v91, v50, v48, v91
	v_min3_f32 v90, v44, v45, v90
	v_add_f64 v[44:45], v[34:35], v[42:43]
	s_delay_alu instid0(VALU_DEP_4) | instskip(NEXT) | instid1(VALU_DEP_2)
	v_cvt_f32_f64_e32 v46, v[46:47]
	v_cvt_f32_f64_e32 v44, v[44:45]
	s_delay_alu instid0(VALU_DEP_1) | instskip(SKIP_2) | instid1(VALU_DEP_2)
	v_min3_f32 v89, v46, v44, v89
	v_add_f64 v[44:45], v[30:31], v[42:43]
	v_add_f64 v[46:47], v[28:29], v[40:41]
	v_cvt_f32_f64_e32 v44, v[44:45]
	s_delay_alu instid0(VALU_DEP_2) | instskip(NEXT) | instid1(VALU_DEP_1)
	v_cvt_f32_f64_e32 v46, v[46:47]
	v_min3_f32 v88, v46, v44, v88
	v_add_f64 v[44:45], v[26:27], v[42:43]
	v_add_f64 v[46:47], v[24:25], v[40:41]
	s_delay_alu instid0(VALU_DEP_2) | instskip(NEXT) | instid1(VALU_DEP_2)
	v_cvt_f32_f64_e32 v44, v[44:45]
	v_cvt_f32_f64_e32 v46, v[46:47]
	s_delay_alu instid0(VALU_DEP_1) | instskip(SKIP_2) | instid1(VALU_DEP_2)
	v_min3_f32 v87, v46, v44, v87
	v_add_f64 v[44:45], v[22:23], v[42:43]
	v_add_f64 v[46:47], v[20:21], v[40:41]
	v_cvt_f32_f64_e32 v44, v[44:45]
	s_delay_alu instid0(VALU_DEP_2) | instskip(NEXT) | instid1(VALU_DEP_1)
	v_cvt_f32_f64_e32 v46, v[46:47]
	v_min3_f32 v86, v46, v44, v86
	v_add_f64 v[44:45], v[14:15], v[42:43]
	v_add_f64 v[46:47], v[12:13], v[40:41]
	s_delay_alu instid0(VALU_DEP_2) | instskip(NEXT) | instid1(VALU_DEP_2)
	v_cvt_f32_f64_e32 v44, v[44:45]
	v_cvt_f32_f64_e32 v46, v[46:47]
	s_delay_alu instid0(VALU_DEP_1) | instskip(SKIP_2) | instid1(VALU_DEP_2)
	v_min3_f32 v85, v46, v44, v85
	v_add_f64 v[44:45], v[10:11], v[42:43]
	v_add_f64 v[46:47], v[8:9], v[40:41]
	v_cvt_f32_f64_e32 v44, v[44:45]
	s_delay_alu instid0(VALU_DEP_2) | instskip(NEXT) | instid1(VALU_DEP_1)
	v_cvt_f32_f64_e32 v46, v[46:47]
	v_min3_f32 v84, v46, v44, v84
	v_add_f64 v[44:45], v[6:7], v[42:43]
	v_add_f64 v[46:47], v[4:5], v[40:41]
	;; [unrolled: 1-line block ×4, first 2 shown]
	s_delay_alu instid0(VALU_DEP_4) | instskip(NEXT) | instid1(VALU_DEP_4)
	v_cvt_f32_f64_e32 v44, v[44:45]
	v_cvt_f32_f64_e32 v46, v[46:47]
	s_delay_alu instid0(VALU_DEP_3)
	v_cvt_f32_f64_e32 v40, v[40:41]
	v_cvt_f32_f64_e32 v41, v[42:43]
	s_waitcnt lgkmcnt(1)
	v_add_f64 v[42:43], v[32:33], v[36:37]
	s_waitcnt lgkmcnt(0)
	v_add_f64 v[32:33], v[32:33], v[16:17]
	v_min3_f32 v83, v46, v44, v83
	s_delay_alu instid0(VALU_DEP_4) | instskip(SKIP_4) | instid1(VALU_DEP_4)
	v_min3_f32 v82, v40, v41, v82
	v_add_f64 v[40:41], v[34:35], v[38:39]
	v_cvt_f32_f64_e32 v42, v[42:43]
	v_add_f64 v[34:35], v[34:35], v[18:19]
	v_cvt_f32_f64_e32 v32, v[32:33]
	v_cvt_f32_f64_e32 v40, v[40:41]
	s_delay_alu instid0(VALU_DEP_3) | instskip(NEXT) | instid1(VALU_DEP_2)
	v_cvt_f32_f64_e32 v33, v[34:35]
	v_min3_f32 v81, v42, v40, v81
	v_add_f64 v[40:41], v[30:31], v[38:39]
	v_add_f64 v[42:43], v[28:29], v[36:37]
	v_add_f64 v[30:31], v[30:31], v[18:19]
	v_add_f64 v[28:29], v[28:29], v[16:17]
	v_min3_f32 v73, v32, v33, v73
	v_cvt_f32_f64_e32 v40, v[40:41]
	v_cvt_f32_f64_e32 v42, v[42:43]
	s_delay_alu instid0(VALU_DEP_4) | instskip(SKIP_1) | instid1(VALU_DEP_3)
	v_cvt_f32_f64_e32 v28, v[28:29]
	v_cvt_f32_f64_e32 v29, v[30:31]
	v_min3_f32 v80, v42, v40, v80
	v_add_f64 v[40:41], v[26:27], v[38:39]
	v_add_f64 v[42:43], v[24:25], v[36:37]
	v_add_f64 v[26:27], v[26:27], v[18:19]
	v_add_f64 v[24:25], v[24:25], v[16:17]
	v_min3_f32 v72, v28, v29, v72
	v_cvt_f32_f64_e32 v40, v[40:41]
	v_cvt_f32_f64_e32 v42, v[42:43]
	s_delay_alu instid0(VALU_DEP_4) | instskip(SKIP_1) | instid1(VALU_DEP_3)
	v_cvt_f32_f64_e32 v24, v[24:25]
	;; [unrolled: 11-line block ×5, first 2 shown]
	v_cvt_f32_f64_e32 v9, v[10:11]
	v_min3_f32 v76, v42, v40, v76
	v_add_f64 v[40:41], v[6:7], v[38:39]
	v_add_f64 v[42:43], v[4:5], v[36:37]
	;; [unrolled: 1-line block ×8, first 2 shown]
	v_min3_f32 v68, v8, v9, v68
	v_cvt_f32_f64_e32 v40, v[40:41]
	v_cvt_f32_f64_e32 v42, v[42:43]
	;; [unrolled: 1-line block ×8, first 2 shown]
	v_min3_f32 v75, v42, v40, v75
	v_min3_f32 v74, v36, v37, v74
	;; [unrolled: 1-line block ×3, first 2 shown]
	s_delay_alu instid0(VALU_DEP_4)
	v_min3_f32 v66, v0, v1, v66
	s_cbranch_vccz .LBB161_55
; %bb.56:                               ;   in Loop: Header=BB161_32 Depth=1
	s_add_i32 s27, s27, 8
	s_add_i32 s31, s31, 8
	s_cmp_ge_i32 s27, s26
	ds_store_2addr_stride64_b64 v136, v[56:57], v[58:59] offset1:4
	ds_store_2addr_stride64_b64 v136, v[60:61], v[62:63] offset0:8 offset1:12
	ds_store_b64 v137, v[64:65]
	s_waitcnt lgkmcnt(0)
	s_barrier
	buffer_gl0_inv
	s_cbranch_scc0 .LBB161_32
.LBB161_57:
	s_mov_b32 s3, 0
	s_mov_b32 s2, -1
.LBB161_58:                             ; =>This Inner Loop Header: Depth=1
	s_lshl_b32 s3, s3, 3
	s_and_not1_b32 vcc_lo, exec_lo, s2
	v_lshl_add_u32 v0, v121, 5, s3
	v_lshl_add_u32 v16, v122, 5, s3
	s_mov_b32 s3, 2
	s_mov_b32 s2, 0
	ds_load_b128 v[32:35], v0 offset:8192
	ds_load_b128 v[28:31], v0 offset:9216
	;; [unrolled: 1-line block ×16, first 2 shown]
	s_waitcnt lgkmcnt(7)
	v_add_f64 v[64:65], v[34:35], v[54:55]
	v_add_f64 v[132:133], v[32:33], v[52:53]
	s_delay_alu instid0(VALU_DEP_2) | instskip(NEXT) | instid1(VALU_DEP_2)
	v_cvt_f32_f64_e32 v64, v[64:65]
	v_cvt_f32_f64_e32 v132, v[132:133]
	s_delay_alu instid0(VALU_DEP_1) | instskip(SKIP_2) | instid1(VALU_DEP_2)
	v_min3_f32 v131, v132, v64, v131
	v_add_f64 v[64:65], v[30:31], v[54:55]
	v_add_f64 v[132:133], v[28:29], v[52:53]
	v_cvt_f32_f64_e32 v64, v[64:65]
	s_delay_alu instid0(VALU_DEP_2) | instskip(NEXT) | instid1(VALU_DEP_1)
	v_cvt_f32_f64_e32 v132, v[132:133]
	v_min3_f32 v130, v132, v64, v130
	v_add_f64 v[64:65], v[26:27], v[54:55]
	v_add_f64 v[132:133], v[24:25], v[52:53]
	s_delay_alu instid0(VALU_DEP_2) | instskip(NEXT) | instid1(VALU_DEP_2)
	v_cvt_f32_f64_e32 v64, v[64:65]
	v_cvt_f32_f64_e32 v132, v[132:133]
	s_delay_alu instid0(VALU_DEP_1) | instskip(SKIP_2) | instid1(VALU_DEP_2)
	v_min3_f32 v129, v132, v64, v129
	v_add_f64 v[64:65], v[22:23], v[54:55]
	v_add_f64 v[132:133], v[20:21], v[52:53]
	v_cvt_f32_f64_e32 v64, v[64:65]
	s_delay_alu instid0(VALU_DEP_2) | instskip(NEXT) | instid1(VALU_DEP_1)
	v_cvt_f32_f64_e32 v132, v[132:133]
	v_min3_f32 v128, v132, v64, v128
	;; [unrolled: 13-line block ×3, first 2 shown]
	v_add_f64 v[64:65], v[6:7], v[54:55]
	v_add_f64 v[132:133], v[4:5], v[52:53]
	;; [unrolled: 1-line block ×4, first 2 shown]
	s_delay_alu instid0(VALU_DEP_4) | instskip(NEXT) | instid1(VALU_DEP_4)
	v_cvt_f32_f64_e32 v64, v[64:65]
	v_cvt_f32_f64_e32 v132, v[132:133]
	s_delay_alu instid0(VALU_DEP_3) | instskip(SKIP_3) | instid1(VALU_DEP_4)
	v_cvt_f32_f64_e32 v52, v[52:53]
	v_cvt_f32_f64_e32 v53, v[54:55]
	s_waitcnt lgkmcnt(6)
	v_add_f64 v[54:55], v[32:33], v[56:57]
	v_min3_f32 v125, v132, v64, v125
	s_delay_alu instid0(VALU_DEP_3) | instskip(SKIP_1) | instid1(VALU_DEP_4)
	v_min3_f32 v124, v52, v53, v124
	v_add_f64 v[52:53], v[34:35], v[58:59]
	v_cvt_f32_f64_e32 v54, v[54:55]
	s_delay_alu instid0(VALU_DEP_2) | instskip(NEXT) | instid1(VALU_DEP_1)
	v_cvt_f32_f64_e32 v52, v[52:53]
	v_min3_f32 v123, v54, v52, v123
	v_add_f64 v[52:53], v[30:31], v[58:59]
	v_add_f64 v[54:55], v[28:29], v[56:57]
	s_delay_alu instid0(VALU_DEP_2) | instskip(NEXT) | instid1(VALU_DEP_2)
	v_cvt_f32_f64_e32 v52, v[52:53]
	v_cvt_f32_f64_e32 v54, v[54:55]
	s_delay_alu instid0(VALU_DEP_1) | instskip(SKIP_2) | instid1(VALU_DEP_2)
	v_min3_f32 v120, v54, v52, v120
	v_add_f64 v[52:53], v[26:27], v[58:59]
	v_add_f64 v[54:55], v[24:25], v[56:57]
	v_cvt_f32_f64_e32 v52, v[52:53]
	s_delay_alu instid0(VALU_DEP_2) | instskip(NEXT) | instid1(VALU_DEP_1)
	v_cvt_f32_f64_e32 v54, v[54:55]
	v_min3_f32 v119, v54, v52, v119
	v_add_f64 v[52:53], v[22:23], v[58:59]
	v_add_f64 v[54:55], v[20:21], v[56:57]
	s_delay_alu instid0(VALU_DEP_2) | instskip(NEXT) | instid1(VALU_DEP_2)
	v_cvt_f32_f64_e32 v52, v[52:53]
	v_cvt_f32_f64_e32 v54, v[54:55]
	s_delay_alu instid0(VALU_DEP_1) | instskip(SKIP_2) | instid1(VALU_DEP_2)
	v_min3_f32 v118, v54, v52, v118
	v_add_f64 v[52:53], v[14:15], v[58:59]
	;; [unrolled: 13-line block ×3, first 2 shown]
	v_add_f64 v[54:55], v[4:5], v[56:57]
	v_cvt_f32_f64_e32 v52, v[52:53]
	s_delay_alu instid0(VALU_DEP_2) | instskip(NEXT) | instid1(VALU_DEP_1)
	v_cvt_f32_f64_e32 v54, v[54:55]
	v_min3_f32 v115, v54, v52, v115
	v_add_f64 v[52:53], v[2:3], v[58:59]
	v_add_f64 v[54:55], v[0:1], v[56:57]
	s_delay_alu instid0(VALU_DEP_2) | instskip(NEXT) | instid1(VALU_DEP_2)
	v_cvt_f32_f64_e32 v52, v[52:53]
	v_cvt_f32_f64_e32 v54, v[54:55]
	s_delay_alu instid0(VALU_DEP_1) | instskip(SKIP_3) | instid1(VALU_DEP_2)
	v_min3_f32 v114, v54, v52, v114
	s_waitcnt lgkmcnt(5)
	v_add_f64 v[52:53], v[34:35], v[62:63]
	v_add_f64 v[54:55], v[32:33], v[60:61]
	v_cvt_f32_f64_e32 v52, v[52:53]
	s_delay_alu instid0(VALU_DEP_2) | instskip(NEXT) | instid1(VALU_DEP_1)
	v_cvt_f32_f64_e32 v54, v[54:55]
	v_min3_f32 v113, v54, v52, v113
	v_add_f64 v[52:53], v[30:31], v[62:63]
	v_add_f64 v[54:55], v[28:29], v[60:61]
	s_delay_alu instid0(VALU_DEP_2) | instskip(NEXT) | instid1(VALU_DEP_2)
	v_cvt_f32_f64_e32 v52, v[52:53]
	v_cvt_f32_f64_e32 v54, v[54:55]
	s_delay_alu instid0(VALU_DEP_1) | instskip(SKIP_2) | instid1(VALU_DEP_2)
	v_min3_f32 v112, v54, v52, v112
	v_add_f64 v[52:53], v[26:27], v[62:63]
	v_add_f64 v[54:55], v[24:25], v[60:61]
	v_cvt_f32_f64_e32 v52, v[52:53]
	s_delay_alu instid0(VALU_DEP_2) | instskip(NEXT) | instid1(VALU_DEP_1)
	v_cvt_f32_f64_e32 v54, v[54:55]
	v_min3_f32 v111, v54, v52, v111
	v_add_f64 v[52:53], v[22:23], v[62:63]
	v_add_f64 v[54:55], v[20:21], v[60:61]
	s_delay_alu instid0(VALU_DEP_2) | instskip(NEXT) | instid1(VALU_DEP_2)
	v_cvt_f32_f64_e32 v52, v[52:53]
	v_cvt_f32_f64_e32 v54, v[54:55]
	s_delay_alu instid0(VALU_DEP_1) | instskip(SKIP_2) | instid1(VALU_DEP_2)
	v_min3_f32 v110, v54, v52, v110
	;; [unrolled: 13-line block ×3, first 2 shown]
	v_add_f64 v[52:53], v[6:7], v[62:63]
	v_add_f64 v[54:55], v[4:5], v[60:61]
	v_cvt_f32_f64_e32 v52, v[52:53]
	s_delay_alu instid0(VALU_DEP_2) | instskip(NEXT) | instid1(VALU_DEP_1)
	v_cvt_f32_f64_e32 v54, v[54:55]
	v_min3_f32 v107, v54, v52, v107
	v_add_f64 v[52:53], v[2:3], v[62:63]
	v_add_f64 v[54:55], v[0:1], v[60:61]
	s_delay_alu instid0(VALU_DEP_2) | instskip(NEXT) | instid1(VALU_DEP_2)
	v_cvt_f32_f64_e32 v52, v[52:53]
	v_cvt_f32_f64_e32 v54, v[54:55]
	s_delay_alu instid0(VALU_DEP_1) | instskip(SKIP_3) | instid1(VALU_DEP_2)
	v_min3_f32 v106, v54, v52, v106
	s_waitcnt lgkmcnt(4)
	v_add_f64 v[52:53], v[34:35], v[50:51]
	v_add_f64 v[54:55], v[32:33], v[48:49]
	v_cvt_f32_f64_e32 v52, v[52:53]
	s_delay_alu instid0(VALU_DEP_2) | instskip(NEXT) | instid1(VALU_DEP_1)
	v_cvt_f32_f64_e32 v54, v[54:55]
	v_min3_f32 v105, v54, v52, v105
	v_add_f64 v[52:53], v[30:31], v[50:51]
	v_add_f64 v[54:55], v[28:29], v[48:49]
	s_delay_alu instid0(VALU_DEP_2) | instskip(NEXT) | instid1(VALU_DEP_2)
	v_cvt_f32_f64_e32 v52, v[52:53]
	v_cvt_f32_f64_e32 v54, v[54:55]
	s_delay_alu instid0(VALU_DEP_1) | instskip(SKIP_2) | instid1(VALU_DEP_2)
	v_min3_f32 v104, v54, v52, v104
	v_add_f64 v[52:53], v[26:27], v[50:51]
	v_add_f64 v[54:55], v[24:25], v[48:49]
	v_cvt_f32_f64_e32 v52, v[52:53]
	s_delay_alu instid0(VALU_DEP_2) | instskip(NEXT) | instid1(VALU_DEP_1)
	v_cvt_f32_f64_e32 v54, v[54:55]
	v_min3_f32 v103, v54, v52, v103
	v_add_f64 v[52:53], v[22:23], v[50:51]
	v_add_f64 v[54:55], v[20:21], v[48:49]
	s_delay_alu instid0(VALU_DEP_2) | instskip(NEXT) | instid1(VALU_DEP_2)
	v_cvt_f32_f64_e32 v52, v[52:53]
	v_cvt_f32_f64_e32 v54, v[54:55]
	s_delay_alu instid0(VALU_DEP_1) | instskip(SKIP_2) | instid1(VALU_DEP_2)
	v_min3_f32 v102, v54, v52, v102
	v_add_f64 v[52:53], v[14:15], v[50:51]
	v_add_f64 v[54:55], v[12:13], v[48:49]
	v_cvt_f32_f64_e32 v52, v[52:53]
	s_delay_alu instid0(VALU_DEP_2) | instskip(NEXT) | instid1(VALU_DEP_1)
	v_cvt_f32_f64_e32 v54, v[54:55]
	v_min3_f32 v101, v54, v52, v101
	v_add_f64 v[52:53], v[10:11], v[50:51]
	v_add_f64 v[54:55], v[8:9], v[48:49]
	s_delay_alu instid0(VALU_DEP_2) | instskip(NEXT) | instid1(VALU_DEP_2)
	v_cvt_f32_f64_e32 v52, v[52:53]
	v_cvt_f32_f64_e32 v54, v[54:55]
	s_delay_alu instid0(VALU_DEP_1) | instskip(SKIP_4) | instid1(VALU_DEP_4)
	v_min3_f32 v100, v54, v52, v100
	v_add_f64 v[52:53], v[6:7], v[50:51]
	v_add_f64 v[54:55], v[4:5], v[48:49]
	;; [unrolled: 1-line block ×4, first 2 shown]
	v_cvt_f32_f64_e32 v52, v[52:53]
	s_delay_alu instid0(VALU_DEP_4) | instskip(NEXT) | instid1(VALU_DEP_3)
	v_cvt_f32_f64_e32 v54, v[54:55]
	v_cvt_f32_f64_e32 v48, v[48:49]
	;; [unrolled: 1-line block ×3, first 2 shown]
	s_waitcnt lgkmcnt(3)
	v_add_f64 v[50:51], v[32:33], v[44:45]
	s_delay_alu instid0(VALU_DEP_4) | instskip(NEXT) | instid1(VALU_DEP_3)
	v_min3_f32 v99, v54, v52, v99
	v_min3_f32 v98, v48, v49, v98
	v_add_f64 v[48:49], v[34:35], v[46:47]
	s_delay_alu instid0(VALU_DEP_4) | instskip(NEXT) | instid1(VALU_DEP_2)
	v_cvt_f32_f64_e32 v50, v[50:51]
	v_cvt_f32_f64_e32 v48, v[48:49]
	s_delay_alu instid0(VALU_DEP_1) | instskip(SKIP_2) | instid1(VALU_DEP_2)
	v_min3_f32 v97, v50, v48, v97
	v_add_f64 v[48:49], v[30:31], v[46:47]
	v_add_f64 v[50:51], v[28:29], v[44:45]
	v_cvt_f32_f64_e32 v48, v[48:49]
	s_delay_alu instid0(VALU_DEP_2) | instskip(NEXT) | instid1(VALU_DEP_1)
	v_cvt_f32_f64_e32 v50, v[50:51]
	v_min3_f32 v96, v50, v48, v96
	v_add_f64 v[48:49], v[26:27], v[46:47]
	v_add_f64 v[50:51], v[24:25], v[44:45]
	s_delay_alu instid0(VALU_DEP_2) | instskip(NEXT) | instid1(VALU_DEP_2)
	v_cvt_f32_f64_e32 v48, v[48:49]
	v_cvt_f32_f64_e32 v50, v[50:51]
	s_delay_alu instid0(VALU_DEP_1) | instskip(SKIP_2) | instid1(VALU_DEP_2)
	v_min3_f32 v95, v50, v48, v95
	v_add_f64 v[48:49], v[22:23], v[46:47]
	v_add_f64 v[50:51], v[20:21], v[44:45]
	v_cvt_f32_f64_e32 v48, v[48:49]
	s_delay_alu instid0(VALU_DEP_2) | instskip(NEXT) | instid1(VALU_DEP_1)
	v_cvt_f32_f64_e32 v50, v[50:51]
	v_min3_f32 v94, v50, v48, v94
	v_add_f64 v[48:49], v[14:15], v[46:47]
	v_add_f64 v[50:51], v[12:13], v[44:45]
	s_delay_alu instid0(VALU_DEP_2) | instskip(NEXT) | instid1(VALU_DEP_2)
	v_cvt_f32_f64_e32 v48, v[48:49]
	v_cvt_f32_f64_e32 v50, v[50:51]
	s_delay_alu instid0(VALU_DEP_1) | instskip(SKIP_2) | instid1(VALU_DEP_2)
	v_min3_f32 v93, v50, v48, v93
	v_add_f64 v[48:49], v[10:11], v[46:47]
	v_add_f64 v[50:51], v[8:9], v[44:45]
	v_cvt_f32_f64_e32 v48, v[48:49]
	s_delay_alu instid0(VALU_DEP_2) | instskip(NEXT) | instid1(VALU_DEP_1)
	v_cvt_f32_f64_e32 v50, v[50:51]
	v_min3_f32 v92, v50, v48, v92
	v_add_f64 v[48:49], v[6:7], v[46:47]
	v_add_f64 v[50:51], v[4:5], v[44:45]
	;; [unrolled: 1-line block ×4, first 2 shown]
	s_delay_alu instid0(VALU_DEP_4) | instskip(NEXT) | instid1(VALU_DEP_4)
	v_cvt_f32_f64_e32 v48, v[48:49]
	v_cvt_f32_f64_e32 v50, v[50:51]
	s_delay_alu instid0(VALU_DEP_3) | instskip(SKIP_3) | instid1(VALU_DEP_4)
	v_cvt_f32_f64_e32 v44, v[44:45]
	v_cvt_f32_f64_e32 v45, v[46:47]
	s_waitcnt lgkmcnt(2)
	v_add_f64 v[46:47], v[32:33], v[40:41]
	v_min3_f32 v91, v50, v48, v91
	s_delay_alu instid0(VALU_DEP_3) | instskip(SKIP_1) | instid1(VALU_DEP_4)
	v_min3_f32 v90, v44, v45, v90
	v_add_f64 v[44:45], v[34:35], v[42:43]
	v_cvt_f32_f64_e32 v46, v[46:47]
	s_delay_alu instid0(VALU_DEP_2) | instskip(NEXT) | instid1(VALU_DEP_1)
	v_cvt_f32_f64_e32 v44, v[44:45]
	v_min3_f32 v89, v46, v44, v89
	v_add_f64 v[44:45], v[30:31], v[42:43]
	v_add_f64 v[46:47], v[28:29], v[40:41]
	s_delay_alu instid0(VALU_DEP_2) | instskip(NEXT) | instid1(VALU_DEP_2)
	v_cvt_f32_f64_e32 v44, v[44:45]
	v_cvt_f32_f64_e32 v46, v[46:47]
	s_delay_alu instid0(VALU_DEP_1) | instskip(SKIP_2) | instid1(VALU_DEP_2)
	v_min3_f32 v88, v46, v44, v88
	v_add_f64 v[44:45], v[26:27], v[42:43]
	v_add_f64 v[46:47], v[24:25], v[40:41]
	v_cvt_f32_f64_e32 v44, v[44:45]
	s_delay_alu instid0(VALU_DEP_2) | instskip(NEXT) | instid1(VALU_DEP_1)
	v_cvt_f32_f64_e32 v46, v[46:47]
	v_min3_f32 v87, v46, v44, v87
	v_add_f64 v[44:45], v[22:23], v[42:43]
	v_add_f64 v[46:47], v[20:21], v[40:41]
	s_delay_alu instid0(VALU_DEP_2) | instskip(NEXT) | instid1(VALU_DEP_2)
	v_cvt_f32_f64_e32 v44, v[44:45]
	v_cvt_f32_f64_e32 v46, v[46:47]
	s_delay_alu instid0(VALU_DEP_1) | instskip(SKIP_2) | instid1(VALU_DEP_2)
	v_min3_f32 v86, v46, v44, v86
	v_add_f64 v[44:45], v[14:15], v[42:43]
	v_add_f64 v[46:47], v[12:13], v[40:41]
	v_cvt_f32_f64_e32 v44, v[44:45]
	s_delay_alu instid0(VALU_DEP_2) | instskip(NEXT) | instid1(VALU_DEP_1)
	v_cvt_f32_f64_e32 v46, v[46:47]
	v_min3_f32 v85, v46, v44, v85
	v_add_f64 v[44:45], v[10:11], v[42:43]
	v_add_f64 v[46:47], v[8:9], v[40:41]
	s_delay_alu instid0(VALU_DEP_2) | instskip(NEXT) | instid1(VALU_DEP_2)
	v_cvt_f32_f64_e32 v44, v[44:45]
	v_cvt_f32_f64_e32 v46, v[46:47]
	s_delay_alu instid0(VALU_DEP_1) | instskip(SKIP_4) | instid1(VALU_DEP_4)
	v_min3_f32 v84, v46, v44, v84
	v_add_f64 v[44:45], v[6:7], v[42:43]
	v_add_f64 v[46:47], v[4:5], v[40:41]
	;; [unrolled: 1-line block ×4, first 2 shown]
	v_cvt_f32_f64_e32 v44, v[44:45]
	s_delay_alu instid0(VALU_DEP_4) | instskip(NEXT) | instid1(VALU_DEP_3)
	v_cvt_f32_f64_e32 v46, v[46:47]
	v_cvt_f32_f64_e32 v40, v[40:41]
	;; [unrolled: 1-line block ×3, first 2 shown]
	s_waitcnt lgkmcnt(1)
	v_add_f64 v[42:43], v[32:33], v[36:37]
	s_waitcnt lgkmcnt(0)
	v_add_f64 v[32:33], v[32:33], v[16:17]
	v_min3_f32 v83, v46, v44, v83
	s_delay_alu instid0(VALU_DEP_4) | instskip(SKIP_4) | instid1(VALU_DEP_4)
	v_min3_f32 v82, v40, v41, v82
	v_add_f64 v[40:41], v[34:35], v[38:39]
	v_cvt_f32_f64_e32 v42, v[42:43]
	v_add_f64 v[34:35], v[34:35], v[18:19]
	v_cvt_f32_f64_e32 v32, v[32:33]
	v_cvt_f32_f64_e32 v40, v[40:41]
	s_delay_alu instid0(VALU_DEP_3) | instskip(NEXT) | instid1(VALU_DEP_2)
	v_cvt_f32_f64_e32 v33, v[34:35]
	v_min3_f32 v81, v42, v40, v81
	v_add_f64 v[40:41], v[30:31], v[38:39]
	v_add_f64 v[42:43], v[28:29], v[36:37]
	v_add_f64 v[30:31], v[30:31], v[18:19]
	v_add_f64 v[28:29], v[28:29], v[16:17]
	v_min3_f32 v73, v32, v33, v73
	v_cvt_f32_f64_e32 v40, v[40:41]
	v_cvt_f32_f64_e32 v42, v[42:43]
	s_delay_alu instid0(VALU_DEP_4) | instskip(SKIP_1) | instid1(VALU_DEP_3)
	v_cvt_f32_f64_e32 v28, v[28:29]
	v_cvt_f32_f64_e32 v29, v[30:31]
	v_min3_f32 v80, v42, v40, v80
	v_add_f64 v[40:41], v[26:27], v[38:39]
	v_add_f64 v[42:43], v[24:25], v[36:37]
	v_add_f64 v[26:27], v[26:27], v[18:19]
	v_add_f64 v[24:25], v[24:25], v[16:17]
	v_min3_f32 v72, v28, v29, v72
	v_cvt_f32_f64_e32 v40, v[40:41]
	v_cvt_f32_f64_e32 v42, v[42:43]
	s_delay_alu instid0(VALU_DEP_4) | instskip(SKIP_1) | instid1(VALU_DEP_3)
	v_cvt_f32_f64_e32 v24, v[24:25]
	;; [unrolled: 11-line block ×5, first 2 shown]
	v_cvt_f32_f64_e32 v9, v[10:11]
	v_min3_f32 v76, v42, v40, v76
	v_add_f64 v[40:41], v[6:7], v[38:39]
	v_add_f64 v[42:43], v[4:5], v[36:37]
	v_add_f64 v[38:39], v[2:3], v[38:39]
	v_add_f64 v[36:37], v[0:1], v[36:37]
	v_add_f64 v[6:7], v[6:7], v[18:19]
	v_add_f64 v[4:5], v[4:5], v[16:17]
	v_add_f64 v[2:3], v[2:3], v[18:19]
	v_add_f64 v[0:1], v[0:1], v[16:17]
	v_min3_f32 v68, v8, v9, v68
	v_cvt_f32_f64_e32 v40, v[40:41]
	v_cvt_f32_f64_e32 v42, v[42:43]
	;; [unrolled: 1-line block ×8, first 2 shown]
	v_min3_f32 v75, v42, v40, v75
	v_min3_f32 v74, v36, v37, v74
	;; [unrolled: 1-line block ×3, first 2 shown]
	s_delay_alu instid0(VALU_DEP_4)
	v_min3_f32 v66, v0, v1, v66
	s_cbranch_vccz .LBB161_58
; %bb.59:
	s_clause 0x2
	s_load_b64 s[2:3], s[0:1], 0x78
	s_load_b32 s19, s[0:1], 0x58
	s_load_b32 s18, s[0:1], 0x70
	v_add_nc_u32_e32 v19, s14, v122
	v_add_nc_u32_e32 v0, s8, v121
	v_cndmask_b32_e64 v18, 0, 1, s9
	s_delay_alu instid0(VALU_DEP_3) | instskip(NEXT) | instid1(VALU_DEP_3)
	v_cmp_gt_i32_e64 s8, s17, v19
	v_cmp_gt_i32_e64 s0, s16, v0
	v_ashrrev_i32_e32 v1, 31, v0
	s_waitcnt lgkmcnt(0)
	s_mul_i32 s1, s15, s3
	v_mad_i64_i32 v[2:3], null, v19, s19, 0
	v_mad_i64_i32 v[4:5], null, v19, s18, 0
	s_mul_hi_u32 s3, s15, s2
	s_mul_i32 s4, s30, s2
	s_add_i32 s1, s3, s1
	s_mul_i32 s2, s15, s2
	s_delay_alu instid0(VALU_DEP_2) | instskip(SKIP_1) | instid1(VALU_DEP_2)
	v_lshlrev_b64 v[2:3], 3, v[2:3]
	s_add_i32 s3, s1, s4
	v_lshlrev_b64 v[4:5], 3, v[4:5]
	s_lshl_b64 s[2:3], s[2:3], 3
	s_delay_alu instid0(SALU_CYCLE_1) | instskip(NEXT) | instid1(VALU_DEP_2)
	s_add_u32 s14, s22, s2
	v_add_co_u32 v16, vcc_lo, s12, v2
	v_add_co_ci_u32_e32 v17, vcc_lo, s13, v3, vcc_lo
	s_addc_u32 s15, s23, s3
	v_add_co_u32 v20, vcc_lo, s14, v4
	v_add_co_ci_u32_e32 v21, vcc_lo, s15, v5, vcc_lo
	s_and_b32 s2, s0, s8
	s_delay_alu instid0(SALU_CYCLE_1)
	s_and_saveexec_b32 s1, s2
	s_cbranch_execz .LBB161_64
; %bb.60:
	s_and_not1_b32 vcc_lo, exec_lo, s9
	s_cbranch_vccnz .LBB161_62
; %bb.61:
	v_lshlrev_b64 v[2:3], 3, v[0:1]
	s_delay_alu instid0(VALU_DEP_1) | instskip(NEXT) | instid1(VALU_DEP_2)
	v_add_co_u32 v2, vcc_lo, v16, v2
	v_add_co_ci_u32_e32 v3, vcc_lo, v17, v3, vcc_lo
	flat_load_b64 v[2:3], v[2:3]
	s_waitcnt vmcnt(0) lgkmcnt(0)
	v_mul_f64 v[2:3], v[2:3], s[10:11]
	s_branch .LBB161_63
.LBB161_62:
	v_mov_b32_e32 v2, 0
	v_mov_b32_e32 v3, 0
.LBB161_63:
	s_delay_alu instid0(VALU_DEP_1) | instskip(SKIP_2) | instid1(VALU_DEP_1)
	v_cvt_f32_f64_e32 v2, v[2:3]
	v_max_f32_e32 v3, v131, v131
	v_lshlrev_b64 v[4:5], 3, v[0:1]
	v_add_co_u32 v4, vcc_lo, v20, v4
	s_delay_alu instid0(VALU_DEP_2) | instskip(NEXT) | instid1(VALU_DEP_4)
	v_add_co_ci_u32_e32 v5, vcc_lo, v21, v5, vcc_lo
	v_min_f32_e32 v2, v2, v3
	s_delay_alu instid0(VALU_DEP_1)
	v_cvt_f64_f32_e32 v[2:3], v2
	global_store_b64 v[4:5], v[2:3], off
.LBB161_64:
	s_or_b32 exec_lo, exec_lo, s1
	v_add_nc_u32_e32 v2, 32, v0
	s_delay_alu instid0(VALU_DEP_1) | instskip(SKIP_1) | instid1(VALU_DEP_2)
	v_cmp_gt_i32_e64 s1, s16, v2
	v_ashrrev_i32_e32 v3, 31, v2
	s_and_b32 s3, s1, s8
	s_delay_alu instid0(SALU_CYCLE_1)
	s_and_saveexec_b32 s2, s3
	s_cbranch_execz .LBB161_69
; %bb.65:
	v_cmp_ne_u32_e32 vcc_lo, 1, v18
	s_cbranch_vccnz .LBB161_67
; %bb.66:
	v_lshlrev_b64 v[4:5], 3, v[2:3]
	s_delay_alu instid0(VALU_DEP_1) | instskip(NEXT) | instid1(VALU_DEP_2)
	v_add_co_u32 v4, vcc_lo, v16, v4
	v_add_co_ci_u32_e32 v5, vcc_lo, v17, v5, vcc_lo
	flat_load_b64 v[4:5], v[4:5]
	s_waitcnt vmcnt(0) lgkmcnt(0)
	v_mul_f64 v[4:5], v[4:5], s[10:11]
	s_branch .LBB161_68
.LBB161_67:
	v_mov_b32_e32 v4, 0
	v_mov_b32_e32 v5, 0
.LBB161_68:
	s_delay_alu instid0(VALU_DEP_1) | instskip(SKIP_2) | instid1(VALU_DEP_1)
	v_cvt_f32_f64_e32 v4, v[4:5]
	v_max_f32_e32 v5, v130, v130
	v_lshlrev_b64 v[6:7], 3, v[2:3]
	v_add_co_u32 v6, vcc_lo, v20, v6
	s_delay_alu instid0(VALU_DEP_2) | instskip(NEXT) | instid1(VALU_DEP_4)
	v_add_co_ci_u32_e32 v7, vcc_lo, v21, v7, vcc_lo
	v_min_f32_e32 v4, v4, v5
	s_delay_alu instid0(VALU_DEP_1)
	v_cvt_f64_f32_e32 v[4:5], v4
	global_store_b64 v[6:7], v[4:5], off
.LBB161_69:
	s_or_b32 exec_lo, exec_lo, s2
	v_add_nc_u32_e32 v4, 64, v0
	s_delay_alu instid0(VALU_DEP_1) | instskip(SKIP_1) | instid1(VALU_DEP_2)
	v_cmp_gt_i32_e64 s2, s16, v4
	v_ashrrev_i32_e32 v5, 31, v4
	s_and_b32 s4, s2, s8
	s_delay_alu instid0(SALU_CYCLE_1)
	s_and_saveexec_b32 s3, s4
	s_cbranch_execz .LBB161_74
; %bb.70:
	v_cmp_ne_u32_e32 vcc_lo, 1, v18
	s_cbranch_vccnz .LBB161_72
; %bb.71:
	v_lshlrev_b64 v[6:7], 3, v[4:5]
	s_delay_alu instid0(VALU_DEP_1) | instskip(NEXT) | instid1(VALU_DEP_2)
	v_add_co_u32 v6, vcc_lo, v16, v6
	v_add_co_ci_u32_e32 v7, vcc_lo, v17, v7, vcc_lo
	flat_load_b64 v[6:7], v[6:7]
	s_waitcnt vmcnt(0) lgkmcnt(0)
	v_mul_f64 v[6:7], v[6:7], s[10:11]
	s_branch .LBB161_73
.LBB161_72:
	v_mov_b32_e32 v6, 0
	v_mov_b32_e32 v7, 0
.LBB161_73:
	s_delay_alu instid0(VALU_DEP_1) | instskip(SKIP_2) | instid1(VALU_DEP_1)
	v_cvt_f32_f64_e32 v6, v[6:7]
	v_max_f32_e32 v7, v129, v129
	v_lshlrev_b64 v[8:9], 3, v[4:5]
	v_add_co_u32 v8, vcc_lo, v20, v8
	s_delay_alu instid0(VALU_DEP_2) | instskip(NEXT) | instid1(VALU_DEP_4)
	v_add_co_ci_u32_e32 v9, vcc_lo, v21, v9, vcc_lo
	v_min_f32_e32 v6, v6, v7
	s_delay_alu instid0(VALU_DEP_1)
	v_cvt_f64_f32_e32 v[6:7], v6
	global_store_b64 v[8:9], v[6:7], off
.LBB161_74:
	;; [unrolled: 37-line block ×7, first 2 shown]
	s_or_b32 exec_lo, exec_lo, s8
	v_add_nc_u32_e32 v22, 8, v19
	s_delay_alu instid0(VALU_DEP_1) | instskip(SKIP_2) | instid1(VALU_DEP_3)
	v_mad_i64_i32 v[16:17], null, v22, s19, 0
	v_mad_i64_i32 v[20:21], null, v22, s18, 0
	v_cmp_gt_i32_e64 s8, s17, v22
	v_lshlrev_b64 v[16:17], 3, v[16:17]
	s_delay_alu instid0(VALU_DEP_2) | instskip(NEXT) | instid1(VALU_DEP_3)
	s_and_b32 s16, s0, s8
	v_lshlrev_b64 v[20:21], 3, v[20:21]
	s_delay_alu instid0(VALU_DEP_2) | instskip(NEXT) | instid1(VALU_DEP_3)
	v_add_co_u32 v22, vcc_lo, s12, v16
	v_add_co_ci_u32_e32 v23, vcc_lo, s13, v17, vcc_lo
	s_delay_alu instid0(VALU_DEP_3) | instskip(NEXT) | instid1(VALU_DEP_4)
	v_add_co_u32 v20, vcc_lo, s14, v20
	v_add_co_ci_u32_e32 v21, vcc_lo, s15, v21, vcc_lo
	s_and_saveexec_b32 s9, s16
	s_cbranch_execnz .LBB161_107
; %bb.100:
	s_or_b32 exec_lo, exec_lo, s9
	s_and_b32 s16, s1, s8
	s_delay_alu instid0(SALU_CYCLE_1)
	s_and_saveexec_b32 s9, s16
	s_cbranch_execnz .LBB161_111
.LBB161_101:
	s_or_b32 exec_lo, exec_lo, s9
	s_and_b32 s16, s2, s8
	s_delay_alu instid0(SALU_CYCLE_1)
	s_and_saveexec_b32 s9, s16
	s_cbranch_execnz .LBB161_115
.LBB161_102:
	s_or_b32 exec_lo, exec_lo, s9
	s_and_b32 s16, s3, s8
	s_delay_alu instid0(SALU_CYCLE_1)
	s_and_saveexec_b32 s9, s16
	s_cbranch_execnz .LBB161_119
.LBB161_103:
	s_or_b32 exec_lo, exec_lo, s9
	s_and_b32 s16, s4, s8
	s_delay_alu instid0(SALU_CYCLE_1)
	s_and_saveexec_b32 s9, s16
	s_cbranch_execnz .LBB161_123
.LBB161_104:
	s_or_b32 exec_lo, exec_lo, s9
	s_and_b32 s16, s5, s8
	s_delay_alu instid0(SALU_CYCLE_1)
	s_and_saveexec_b32 s9, s16
	s_cbranch_execnz .LBB161_127
.LBB161_105:
	s_or_b32 exec_lo, exec_lo, s9
	s_and_b32 s16, s6, s8
	s_delay_alu instid0(SALU_CYCLE_1)
	s_and_saveexec_b32 s9, s16
	s_cbranch_execnz .LBB161_131
.LBB161_106:
	s_or_b32 exec_lo, exec_lo, s9
	s_and_b32 s9, s7, s8
	s_delay_alu instid0(SALU_CYCLE_1)
	s_and_saveexec_b32 s8, s9
	s_cbranch_execnz .LBB161_135
	s_branch .LBB161_139
.LBB161_107:
	v_cmp_ne_u32_e32 vcc_lo, 1, v18
	s_cbranch_vccnz .LBB161_109
; %bb.108:
	v_lshlrev_b64 v[16:17], 3, v[0:1]
	s_delay_alu instid0(VALU_DEP_1) | instskip(NEXT) | instid1(VALU_DEP_2)
	v_add_co_u32 v16, vcc_lo, v22, v16
	v_add_co_ci_u32_e32 v17, vcc_lo, v23, v17, vcc_lo
	flat_load_b64 v[16:17], v[16:17]
	s_waitcnt vmcnt(0) lgkmcnt(0)
	v_mul_f64 v[16:17], v[16:17], s[10:11]
	s_branch .LBB161_110
.LBB161_109:
	v_mov_b32_e32 v16, 0
	v_mov_b32_e32 v17, 0
.LBB161_110:
	s_delay_alu instid0(VALU_DEP_1) | instskip(SKIP_2) | instid1(VALU_DEP_1)
	v_cvt_f32_f64_e32 v16, v[16:17]
	v_max_f32_e32 v17, v123, v123
	v_lshlrev_b64 v[24:25], 3, v[0:1]
	v_add_co_u32 v24, vcc_lo, v20, v24
	s_delay_alu instid0(VALU_DEP_2) | instskip(NEXT) | instid1(VALU_DEP_4)
	v_add_co_ci_u32_e32 v25, vcc_lo, v21, v25, vcc_lo
	v_min_f32_e32 v16, v16, v17
	s_delay_alu instid0(VALU_DEP_1) | instskip(SKIP_3) | instid1(SALU_CYCLE_1)
	v_cvt_f64_f32_e32 v[16:17], v16
	global_store_b64 v[24:25], v[16:17], off
	s_or_b32 exec_lo, exec_lo, s9
	s_and_b32 s16, s1, s8
	s_and_saveexec_b32 s9, s16
	s_cbranch_execz .LBB161_101
.LBB161_111:
	v_cmp_ne_u32_e32 vcc_lo, 1, v18
	s_cbranch_vccnz .LBB161_113
; %bb.112:
	v_lshlrev_b64 v[16:17], 3, v[2:3]
	s_delay_alu instid0(VALU_DEP_1) | instskip(NEXT) | instid1(VALU_DEP_2)
	v_add_co_u32 v16, vcc_lo, v22, v16
	v_add_co_ci_u32_e32 v17, vcc_lo, v23, v17, vcc_lo
	flat_load_b64 v[16:17], v[16:17]
	s_waitcnt vmcnt(0) lgkmcnt(0)
	v_mul_f64 v[16:17], v[16:17], s[10:11]
	s_branch .LBB161_114
.LBB161_113:
	v_mov_b32_e32 v16, 0
	v_mov_b32_e32 v17, 0
.LBB161_114:
	s_delay_alu instid0(VALU_DEP_1) | instskip(SKIP_2) | instid1(VALU_DEP_1)
	v_cvt_f32_f64_e32 v16, v[16:17]
	v_max_f32_e32 v17, v120, v120
	v_lshlrev_b64 v[24:25], 3, v[2:3]
	v_add_co_u32 v24, vcc_lo, v20, v24
	s_delay_alu instid0(VALU_DEP_2) | instskip(NEXT) | instid1(VALU_DEP_4)
	v_add_co_ci_u32_e32 v25, vcc_lo, v21, v25, vcc_lo
	v_min_f32_e32 v16, v16, v17
	s_delay_alu instid0(VALU_DEP_1) | instskip(SKIP_3) | instid1(SALU_CYCLE_1)
	v_cvt_f64_f32_e32 v[16:17], v16
	global_store_b64 v[24:25], v[16:17], off
	s_or_b32 exec_lo, exec_lo, s9
	s_and_b32 s16, s2, s8
	s_and_saveexec_b32 s9, s16
	s_cbranch_execz .LBB161_102
.LBB161_115:
	v_cmp_ne_u32_e32 vcc_lo, 1, v18
	s_cbranch_vccnz .LBB161_117
; %bb.116:
	v_lshlrev_b64 v[16:17], 3, v[4:5]
	s_delay_alu instid0(VALU_DEP_1) | instskip(NEXT) | instid1(VALU_DEP_2)
	v_add_co_u32 v16, vcc_lo, v22, v16
	v_add_co_ci_u32_e32 v17, vcc_lo, v23, v17, vcc_lo
	flat_load_b64 v[16:17], v[16:17]
	s_waitcnt vmcnt(0) lgkmcnt(0)
	v_mul_f64 v[16:17], v[16:17], s[10:11]
	s_branch .LBB161_118
.LBB161_117:
	v_mov_b32_e32 v16, 0
	v_mov_b32_e32 v17, 0
.LBB161_118:
	s_delay_alu instid0(VALU_DEP_1) | instskip(SKIP_2) | instid1(VALU_DEP_1)
	v_cvt_f32_f64_e32 v16, v[16:17]
	v_max_f32_e32 v17, v119, v119
	v_lshlrev_b64 v[24:25], 3, v[4:5]
	v_add_co_u32 v24, vcc_lo, v20, v24
	s_delay_alu instid0(VALU_DEP_2) | instskip(NEXT) | instid1(VALU_DEP_4)
	v_add_co_ci_u32_e32 v25, vcc_lo, v21, v25, vcc_lo
	v_min_f32_e32 v16, v16, v17
	s_delay_alu instid0(VALU_DEP_1) | instskip(SKIP_3) | instid1(SALU_CYCLE_1)
	v_cvt_f64_f32_e32 v[16:17], v16
	global_store_b64 v[24:25], v[16:17], off
	s_or_b32 exec_lo, exec_lo, s9
	s_and_b32 s16, s3, s8
	s_and_saveexec_b32 s9, s16
	s_cbranch_execz .LBB161_103
.LBB161_119:
	v_cmp_ne_u32_e32 vcc_lo, 1, v18
	s_cbranch_vccnz .LBB161_121
; %bb.120:
	v_lshlrev_b64 v[16:17], 3, v[6:7]
	s_delay_alu instid0(VALU_DEP_1) | instskip(NEXT) | instid1(VALU_DEP_2)
	v_add_co_u32 v16, vcc_lo, v22, v16
	v_add_co_ci_u32_e32 v17, vcc_lo, v23, v17, vcc_lo
	flat_load_b64 v[16:17], v[16:17]
	s_waitcnt vmcnt(0) lgkmcnt(0)
	v_mul_f64 v[16:17], v[16:17], s[10:11]
	s_branch .LBB161_122
.LBB161_121:
	v_mov_b32_e32 v16, 0
	v_mov_b32_e32 v17, 0
.LBB161_122:
	s_delay_alu instid0(VALU_DEP_1) | instskip(SKIP_2) | instid1(VALU_DEP_1)
	v_cvt_f32_f64_e32 v16, v[16:17]
	v_max_f32_e32 v17, v118, v118
	v_lshlrev_b64 v[24:25], 3, v[6:7]
	v_add_co_u32 v24, vcc_lo, v20, v24
	s_delay_alu instid0(VALU_DEP_2) | instskip(NEXT) | instid1(VALU_DEP_4)
	v_add_co_ci_u32_e32 v25, vcc_lo, v21, v25, vcc_lo
	v_min_f32_e32 v16, v16, v17
	s_delay_alu instid0(VALU_DEP_1) | instskip(SKIP_3) | instid1(SALU_CYCLE_1)
	v_cvt_f64_f32_e32 v[16:17], v16
	global_store_b64 v[24:25], v[16:17], off
	s_or_b32 exec_lo, exec_lo, s9
	s_and_b32 s16, s4, s8
	s_and_saveexec_b32 s9, s16
	s_cbranch_execz .LBB161_104
.LBB161_123:
	v_cmp_ne_u32_e32 vcc_lo, 1, v18
	s_cbranch_vccnz .LBB161_125
; %bb.124:
	v_lshlrev_b64 v[16:17], 3, v[8:9]
	s_delay_alu instid0(VALU_DEP_1) | instskip(NEXT) | instid1(VALU_DEP_2)
	v_add_co_u32 v16, vcc_lo, v22, v16
	v_add_co_ci_u32_e32 v17, vcc_lo, v23, v17, vcc_lo
	flat_load_b64 v[16:17], v[16:17]
	s_waitcnt vmcnt(0) lgkmcnt(0)
	v_mul_f64 v[16:17], v[16:17], s[10:11]
	s_branch .LBB161_126
.LBB161_125:
	v_mov_b32_e32 v16, 0
	v_mov_b32_e32 v17, 0
.LBB161_126:
	s_delay_alu instid0(VALU_DEP_1) | instskip(SKIP_2) | instid1(VALU_DEP_1)
	v_cvt_f32_f64_e32 v16, v[16:17]
	v_max_f32_e32 v17, v117, v117
	v_lshlrev_b64 v[24:25], 3, v[8:9]
	v_add_co_u32 v24, vcc_lo, v20, v24
	s_delay_alu instid0(VALU_DEP_2) | instskip(NEXT) | instid1(VALU_DEP_4)
	v_add_co_ci_u32_e32 v25, vcc_lo, v21, v25, vcc_lo
	v_min_f32_e32 v16, v16, v17
	s_delay_alu instid0(VALU_DEP_1) | instskip(SKIP_3) | instid1(SALU_CYCLE_1)
	v_cvt_f64_f32_e32 v[16:17], v16
	global_store_b64 v[24:25], v[16:17], off
	s_or_b32 exec_lo, exec_lo, s9
	s_and_b32 s16, s5, s8
	s_and_saveexec_b32 s9, s16
	s_cbranch_execz .LBB161_105
.LBB161_127:
	v_cmp_ne_u32_e32 vcc_lo, 1, v18
	s_cbranch_vccnz .LBB161_129
; %bb.128:
	v_lshlrev_b64 v[16:17], 3, v[10:11]
	s_delay_alu instid0(VALU_DEP_1) | instskip(NEXT) | instid1(VALU_DEP_2)
	v_add_co_u32 v16, vcc_lo, v22, v16
	v_add_co_ci_u32_e32 v17, vcc_lo, v23, v17, vcc_lo
	flat_load_b64 v[16:17], v[16:17]
	s_waitcnt vmcnt(0) lgkmcnt(0)
	v_mul_f64 v[16:17], v[16:17], s[10:11]
	s_branch .LBB161_130
.LBB161_129:
	v_mov_b32_e32 v16, 0
	v_mov_b32_e32 v17, 0
.LBB161_130:
	s_delay_alu instid0(VALU_DEP_1) | instskip(SKIP_2) | instid1(VALU_DEP_1)
	v_cvt_f32_f64_e32 v16, v[16:17]
	v_max_f32_e32 v17, v116, v116
	v_lshlrev_b64 v[24:25], 3, v[10:11]
	v_add_co_u32 v24, vcc_lo, v20, v24
	s_delay_alu instid0(VALU_DEP_2) | instskip(NEXT) | instid1(VALU_DEP_4)
	v_add_co_ci_u32_e32 v25, vcc_lo, v21, v25, vcc_lo
	v_min_f32_e32 v16, v16, v17
	s_delay_alu instid0(VALU_DEP_1) | instskip(SKIP_3) | instid1(SALU_CYCLE_1)
	v_cvt_f64_f32_e32 v[16:17], v16
	global_store_b64 v[24:25], v[16:17], off
	s_or_b32 exec_lo, exec_lo, s9
	s_and_b32 s16, s6, s8
	s_and_saveexec_b32 s9, s16
	s_cbranch_execz .LBB161_106
.LBB161_131:
	v_cmp_ne_u32_e32 vcc_lo, 1, v18
	s_cbranch_vccnz .LBB161_133
; %bb.132:
	v_lshlrev_b64 v[16:17], 3, v[12:13]
	s_delay_alu instid0(VALU_DEP_1) | instskip(NEXT) | instid1(VALU_DEP_2)
	v_add_co_u32 v16, vcc_lo, v22, v16
	v_add_co_ci_u32_e32 v17, vcc_lo, v23, v17, vcc_lo
	flat_load_b64 v[16:17], v[16:17]
	s_waitcnt vmcnt(0) lgkmcnt(0)
	v_mul_f64 v[16:17], v[16:17], s[10:11]
	s_branch .LBB161_134
.LBB161_133:
	v_mov_b32_e32 v16, 0
	v_mov_b32_e32 v17, 0
.LBB161_134:
	s_delay_alu instid0(VALU_DEP_1) | instskip(SKIP_2) | instid1(VALU_DEP_1)
	v_cvt_f32_f64_e32 v16, v[16:17]
	v_max_f32_e32 v17, v115, v115
	v_lshlrev_b64 v[24:25], 3, v[12:13]
	v_add_co_u32 v24, vcc_lo, v20, v24
	s_delay_alu instid0(VALU_DEP_2) | instskip(NEXT) | instid1(VALU_DEP_4)
	v_add_co_ci_u32_e32 v25, vcc_lo, v21, v25, vcc_lo
	v_min_f32_e32 v16, v16, v17
	s_delay_alu instid0(VALU_DEP_1) | instskip(SKIP_3) | instid1(SALU_CYCLE_1)
	v_cvt_f64_f32_e32 v[16:17], v16
	global_store_b64 v[24:25], v[16:17], off
	s_or_b32 exec_lo, exec_lo, s9
	s_and_b32 s9, s7, s8
	s_and_saveexec_b32 s8, s9
	s_cbranch_execz .LBB161_139
.LBB161_135:
	v_cmp_ne_u32_e32 vcc_lo, 1, v18
	s_cbranch_vccnz .LBB161_137
; %bb.136:
	v_lshlrev_b64 v[16:17], 3, v[14:15]
	s_delay_alu instid0(VALU_DEP_1) | instskip(NEXT) | instid1(VALU_DEP_2)
	v_add_co_u32 v16, vcc_lo, v22, v16
	v_add_co_ci_u32_e32 v17, vcc_lo, v23, v17, vcc_lo
	flat_load_b64 v[16:17], v[16:17]
	s_waitcnt vmcnt(0) lgkmcnt(0)
	v_mul_f64 v[16:17], v[16:17], s[10:11]
	s_branch .LBB161_138
.LBB161_137:
	v_mov_b32_e32 v16, 0
	v_mov_b32_e32 v17, 0
.LBB161_138:
	s_delay_alu instid0(VALU_DEP_1) | instskip(SKIP_2) | instid1(VALU_DEP_1)
	v_cvt_f32_f64_e32 v16, v[16:17]
	v_max_f32_e32 v17, v114, v114
	v_lshlrev_b64 v[22:23], 3, v[14:15]
	v_add_co_u32 v20, vcc_lo, v20, v22
	s_delay_alu instid0(VALU_DEP_2) | instskip(NEXT) | instid1(VALU_DEP_4)
	v_add_co_ci_u32_e32 v21, vcc_lo, v21, v23, vcc_lo
	v_min_f32_e32 v16, v16, v17
	s_delay_alu instid0(VALU_DEP_1)
	v_cvt_f64_f32_e32 v[16:17], v16
	global_store_b64 v[20:21], v[16:17], off
.LBB161_139:
	s_or_b32 exec_lo, exec_lo, s8
	v_add_nc_u32_e32 v22, 16, v19
	s_delay_alu instid0(VALU_DEP_1) | instskip(SKIP_2) | instid1(VALU_DEP_3)
	v_mad_i64_i32 v[16:17], null, v22, s19, 0
	v_mad_i64_i32 v[20:21], null, v22, s18, 0
	v_cmp_gt_i32_e64 s8, s17, v22
	v_lshlrev_b64 v[16:17], 3, v[16:17]
	s_delay_alu instid0(VALU_DEP_2) | instskip(NEXT) | instid1(VALU_DEP_3)
	s_and_b32 s16, s0, s8
	v_lshlrev_b64 v[20:21], 3, v[20:21]
	s_delay_alu instid0(VALU_DEP_2) | instskip(NEXT) | instid1(VALU_DEP_3)
	v_add_co_u32 v22, vcc_lo, s12, v16
	v_add_co_ci_u32_e32 v23, vcc_lo, s13, v17, vcc_lo
	s_delay_alu instid0(VALU_DEP_3) | instskip(NEXT) | instid1(VALU_DEP_4)
	v_add_co_u32 v20, vcc_lo, s14, v20
	v_add_co_ci_u32_e32 v21, vcc_lo, s15, v21, vcc_lo
	s_and_saveexec_b32 s9, s16
	s_cbranch_execnz .LBB161_147
; %bb.140:
	s_or_b32 exec_lo, exec_lo, s9
	s_and_b32 s16, s1, s8
	s_delay_alu instid0(SALU_CYCLE_1)
	s_and_saveexec_b32 s9, s16
	s_cbranch_execnz .LBB161_151
.LBB161_141:
	s_or_b32 exec_lo, exec_lo, s9
	s_and_b32 s16, s2, s8
	s_delay_alu instid0(SALU_CYCLE_1)
	s_and_saveexec_b32 s9, s16
	s_cbranch_execnz .LBB161_155
.LBB161_142:
	s_or_b32 exec_lo, exec_lo, s9
	s_and_b32 s16, s3, s8
	s_delay_alu instid0(SALU_CYCLE_1)
	s_and_saveexec_b32 s9, s16
	s_cbranch_execnz .LBB161_159
.LBB161_143:
	s_or_b32 exec_lo, exec_lo, s9
	s_and_b32 s16, s4, s8
	s_delay_alu instid0(SALU_CYCLE_1)
	s_and_saveexec_b32 s9, s16
	s_cbranch_execnz .LBB161_163
.LBB161_144:
	s_or_b32 exec_lo, exec_lo, s9
	s_and_b32 s16, s5, s8
	s_delay_alu instid0(SALU_CYCLE_1)
	s_and_saveexec_b32 s9, s16
	s_cbranch_execnz .LBB161_167
.LBB161_145:
	s_or_b32 exec_lo, exec_lo, s9
	s_and_b32 s16, s6, s8
	s_delay_alu instid0(SALU_CYCLE_1)
	s_and_saveexec_b32 s9, s16
	s_cbranch_execnz .LBB161_171
.LBB161_146:
	s_or_b32 exec_lo, exec_lo, s9
	s_and_b32 s9, s7, s8
	s_delay_alu instid0(SALU_CYCLE_1)
	s_and_saveexec_b32 s8, s9
	s_cbranch_execnz .LBB161_175
	s_branch .LBB161_179
.LBB161_147:
	v_cmp_ne_u32_e32 vcc_lo, 1, v18
	s_cbranch_vccnz .LBB161_149
; %bb.148:
	v_lshlrev_b64 v[16:17], 3, v[0:1]
	s_delay_alu instid0(VALU_DEP_1) | instskip(NEXT) | instid1(VALU_DEP_2)
	v_add_co_u32 v16, vcc_lo, v22, v16
	v_add_co_ci_u32_e32 v17, vcc_lo, v23, v17, vcc_lo
	flat_load_b64 v[16:17], v[16:17]
	s_waitcnt vmcnt(0) lgkmcnt(0)
	v_mul_f64 v[16:17], v[16:17], s[10:11]
	s_branch .LBB161_150
.LBB161_149:
	v_mov_b32_e32 v16, 0
	v_mov_b32_e32 v17, 0
.LBB161_150:
	s_delay_alu instid0(VALU_DEP_1) | instskip(SKIP_2) | instid1(VALU_DEP_1)
	v_cvt_f32_f64_e32 v16, v[16:17]
	v_max_f32_e32 v17, v113, v113
	v_lshlrev_b64 v[24:25], 3, v[0:1]
	v_add_co_u32 v24, vcc_lo, v20, v24
	s_delay_alu instid0(VALU_DEP_2) | instskip(NEXT) | instid1(VALU_DEP_4)
	v_add_co_ci_u32_e32 v25, vcc_lo, v21, v25, vcc_lo
	v_min_f32_e32 v16, v16, v17
	s_delay_alu instid0(VALU_DEP_1) | instskip(SKIP_3) | instid1(SALU_CYCLE_1)
	v_cvt_f64_f32_e32 v[16:17], v16
	global_store_b64 v[24:25], v[16:17], off
	s_or_b32 exec_lo, exec_lo, s9
	s_and_b32 s16, s1, s8
	s_and_saveexec_b32 s9, s16
	s_cbranch_execz .LBB161_141
.LBB161_151:
	v_cmp_ne_u32_e32 vcc_lo, 1, v18
	s_cbranch_vccnz .LBB161_153
; %bb.152:
	v_lshlrev_b64 v[16:17], 3, v[2:3]
	s_delay_alu instid0(VALU_DEP_1) | instskip(NEXT) | instid1(VALU_DEP_2)
	v_add_co_u32 v16, vcc_lo, v22, v16
	v_add_co_ci_u32_e32 v17, vcc_lo, v23, v17, vcc_lo
	flat_load_b64 v[16:17], v[16:17]
	s_waitcnt vmcnt(0) lgkmcnt(0)
	v_mul_f64 v[16:17], v[16:17], s[10:11]
	s_branch .LBB161_154
.LBB161_153:
	v_mov_b32_e32 v16, 0
	v_mov_b32_e32 v17, 0
.LBB161_154:
	s_delay_alu instid0(VALU_DEP_1) | instskip(SKIP_2) | instid1(VALU_DEP_1)
	v_cvt_f32_f64_e32 v16, v[16:17]
	v_max_f32_e32 v17, v112, v112
	v_lshlrev_b64 v[24:25], 3, v[2:3]
	v_add_co_u32 v24, vcc_lo, v20, v24
	s_delay_alu instid0(VALU_DEP_2) | instskip(NEXT) | instid1(VALU_DEP_4)
	v_add_co_ci_u32_e32 v25, vcc_lo, v21, v25, vcc_lo
	v_min_f32_e32 v16, v16, v17
	s_delay_alu instid0(VALU_DEP_1) | instskip(SKIP_3) | instid1(SALU_CYCLE_1)
	v_cvt_f64_f32_e32 v[16:17], v16
	global_store_b64 v[24:25], v[16:17], off
	s_or_b32 exec_lo, exec_lo, s9
	s_and_b32 s16, s2, s8
	s_and_saveexec_b32 s9, s16
	s_cbranch_execz .LBB161_142
.LBB161_155:
	v_cmp_ne_u32_e32 vcc_lo, 1, v18
	s_cbranch_vccnz .LBB161_157
; %bb.156:
	v_lshlrev_b64 v[16:17], 3, v[4:5]
	s_delay_alu instid0(VALU_DEP_1) | instskip(NEXT) | instid1(VALU_DEP_2)
	v_add_co_u32 v16, vcc_lo, v22, v16
	v_add_co_ci_u32_e32 v17, vcc_lo, v23, v17, vcc_lo
	flat_load_b64 v[16:17], v[16:17]
	s_waitcnt vmcnt(0) lgkmcnt(0)
	v_mul_f64 v[16:17], v[16:17], s[10:11]
	s_branch .LBB161_158
.LBB161_157:
	v_mov_b32_e32 v16, 0
	v_mov_b32_e32 v17, 0
.LBB161_158:
	s_delay_alu instid0(VALU_DEP_1) | instskip(SKIP_2) | instid1(VALU_DEP_1)
	v_cvt_f32_f64_e32 v16, v[16:17]
	v_max_f32_e32 v17, v111, v111
	v_lshlrev_b64 v[24:25], 3, v[4:5]
	v_add_co_u32 v24, vcc_lo, v20, v24
	s_delay_alu instid0(VALU_DEP_2) | instskip(NEXT) | instid1(VALU_DEP_4)
	v_add_co_ci_u32_e32 v25, vcc_lo, v21, v25, vcc_lo
	v_min_f32_e32 v16, v16, v17
	s_delay_alu instid0(VALU_DEP_1) | instskip(SKIP_3) | instid1(SALU_CYCLE_1)
	v_cvt_f64_f32_e32 v[16:17], v16
	global_store_b64 v[24:25], v[16:17], off
	s_or_b32 exec_lo, exec_lo, s9
	s_and_b32 s16, s3, s8
	s_and_saveexec_b32 s9, s16
	s_cbranch_execz .LBB161_143
.LBB161_159:
	v_cmp_ne_u32_e32 vcc_lo, 1, v18
	s_cbranch_vccnz .LBB161_161
; %bb.160:
	v_lshlrev_b64 v[16:17], 3, v[6:7]
	s_delay_alu instid0(VALU_DEP_1) | instskip(NEXT) | instid1(VALU_DEP_2)
	v_add_co_u32 v16, vcc_lo, v22, v16
	v_add_co_ci_u32_e32 v17, vcc_lo, v23, v17, vcc_lo
	flat_load_b64 v[16:17], v[16:17]
	s_waitcnt vmcnt(0) lgkmcnt(0)
	v_mul_f64 v[16:17], v[16:17], s[10:11]
	s_branch .LBB161_162
.LBB161_161:
	v_mov_b32_e32 v16, 0
	v_mov_b32_e32 v17, 0
.LBB161_162:
	s_delay_alu instid0(VALU_DEP_1) | instskip(SKIP_2) | instid1(VALU_DEP_1)
	v_cvt_f32_f64_e32 v16, v[16:17]
	v_max_f32_e32 v17, v110, v110
	v_lshlrev_b64 v[24:25], 3, v[6:7]
	v_add_co_u32 v24, vcc_lo, v20, v24
	s_delay_alu instid0(VALU_DEP_2) | instskip(NEXT) | instid1(VALU_DEP_4)
	v_add_co_ci_u32_e32 v25, vcc_lo, v21, v25, vcc_lo
	v_min_f32_e32 v16, v16, v17
	s_delay_alu instid0(VALU_DEP_1) | instskip(SKIP_3) | instid1(SALU_CYCLE_1)
	v_cvt_f64_f32_e32 v[16:17], v16
	global_store_b64 v[24:25], v[16:17], off
	s_or_b32 exec_lo, exec_lo, s9
	s_and_b32 s16, s4, s8
	s_and_saveexec_b32 s9, s16
	s_cbranch_execz .LBB161_144
.LBB161_163:
	v_cmp_ne_u32_e32 vcc_lo, 1, v18
	s_cbranch_vccnz .LBB161_165
; %bb.164:
	v_lshlrev_b64 v[16:17], 3, v[8:9]
	s_delay_alu instid0(VALU_DEP_1) | instskip(NEXT) | instid1(VALU_DEP_2)
	v_add_co_u32 v16, vcc_lo, v22, v16
	v_add_co_ci_u32_e32 v17, vcc_lo, v23, v17, vcc_lo
	flat_load_b64 v[16:17], v[16:17]
	s_waitcnt vmcnt(0) lgkmcnt(0)
	v_mul_f64 v[16:17], v[16:17], s[10:11]
	s_branch .LBB161_166
.LBB161_165:
	v_mov_b32_e32 v16, 0
	v_mov_b32_e32 v17, 0
.LBB161_166:
	s_delay_alu instid0(VALU_DEP_1) | instskip(SKIP_2) | instid1(VALU_DEP_1)
	v_cvt_f32_f64_e32 v16, v[16:17]
	v_max_f32_e32 v17, v109, v109
	v_lshlrev_b64 v[24:25], 3, v[8:9]
	v_add_co_u32 v24, vcc_lo, v20, v24
	s_delay_alu instid0(VALU_DEP_2) | instskip(NEXT) | instid1(VALU_DEP_4)
	v_add_co_ci_u32_e32 v25, vcc_lo, v21, v25, vcc_lo
	v_min_f32_e32 v16, v16, v17
	s_delay_alu instid0(VALU_DEP_1) | instskip(SKIP_3) | instid1(SALU_CYCLE_1)
	v_cvt_f64_f32_e32 v[16:17], v16
	global_store_b64 v[24:25], v[16:17], off
	s_or_b32 exec_lo, exec_lo, s9
	s_and_b32 s16, s5, s8
	s_and_saveexec_b32 s9, s16
	s_cbranch_execz .LBB161_145
.LBB161_167:
	v_cmp_ne_u32_e32 vcc_lo, 1, v18
	s_cbranch_vccnz .LBB161_169
; %bb.168:
	v_lshlrev_b64 v[16:17], 3, v[10:11]
	s_delay_alu instid0(VALU_DEP_1) | instskip(NEXT) | instid1(VALU_DEP_2)
	v_add_co_u32 v16, vcc_lo, v22, v16
	v_add_co_ci_u32_e32 v17, vcc_lo, v23, v17, vcc_lo
	flat_load_b64 v[16:17], v[16:17]
	s_waitcnt vmcnt(0) lgkmcnt(0)
	v_mul_f64 v[16:17], v[16:17], s[10:11]
	s_branch .LBB161_170
.LBB161_169:
	v_mov_b32_e32 v16, 0
	v_mov_b32_e32 v17, 0
.LBB161_170:
	s_delay_alu instid0(VALU_DEP_1) | instskip(SKIP_2) | instid1(VALU_DEP_1)
	v_cvt_f32_f64_e32 v16, v[16:17]
	v_max_f32_e32 v17, v108, v108
	v_lshlrev_b64 v[24:25], 3, v[10:11]
	v_add_co_u32 v24, vcc_lo, v20, v24
	s_delay_alu instid0(VALU_DEP_2) | instskip(NEXT) | instid1(VALU_DEP_4)
	v_add_co_ci_u32_e32 v25, vcc_lo, v21, v25, vcc_lo
	v_min_f32_e32 v16, v16, v17
	s_delay_alu instid0(VALU_DEP_1) | instskip(SKIP_3) | instid1(SALU_CYCLE_1)
	v_cvt_f64_f32_e32 v[16:17], v16
	global_store_b64 v[24:25], v[16:17], off
	s_or_b32 exec_lo, exec_lo, s9
	s_and_b32 s16, s6, s8
	s_and_saveexec_b32 s9, s16
	s_cbranch_execz .LBB161_146
.LBB161_171:
	v_cmp_ne_u32_e32 vcc_lo, 1, v18
	s_cbranch_vccnz .LBB161_173
; %bb.172:
	v_lshlrev_b64 v[16:17], 3, v[12:13]
	s_delay_alu instid0(VALU_DEP_1) | instskip(NEXT) | instid1(VALU_DEP_2)
	v_add_co_u32 v16, vcc_lo, v22, v16
	v_add_co_ci_u32_e32 v17, vcc_lo, v23, v17, vcc_lo
	flat_load_b64 v[16:17], v[16:17]
	s_waitcnt vmcnt(0) lgkmcnt(0)
	v_mul_f64 v[16:17], v[16:17], s[10:11]
	s_branch .LBB161_174
.LBB161_173:
	v_mov_b32_e32 v16, 0
	v_mov_b32_e32 v17, 0
.LBB161_174:
	s_delay_alu instid0(VALU_DEP_1) | instskip(SKIP_2) | instid1(VALU_DEP_1)
	v_cvt_f32_f64_e32 v16, v[16:17]
	v_max_f32_e32 v17, v107, v107
	v_lshlrev_b64 v[24:25], 3, v[12:13]
	v_add_co_u32 v24, vcc_lo, v20, v24
	s_delay_alu instid0(VALU_DEP_2) | instskip(NEXT) | instid1(VALU_DEP_4)
	v_add_co_ci_u32_e32 v25, vcc_lo, v21, v25, vcc_lo
	v_min_f32_e32 v16, v16, v17
	s_delay_alu instid0(VALU_DEP_1) | instskip(SKIP_3) | instid1(SALU_CYCLE_1)
	v_cvt_f64_f32_e32 v[16:17], v16
	global_store_b64 v[24:25], v[16:17], off
	s_or_b32 exec_lo, exec_lo, s9
	s_and_b32 s9, s7, s8
	s_and_saveexec_b32 s8, s9
	s_cbranch_execz .LBB161_179
.LBB161_175:
	v_cmp_ne_u32_e32 vcc_lo, 1, v18
	s_cbranch_vccnz .LBB161_177
; %bb.176:
	v_lshlrev_b64 v[16:17], 3, v[14:15]
	s_delay_alu instid0(VALU_DEP_1) | instskip(NEXT) | instid1(VALU_DEP_2)
	v_add_co_u32 v16, vcc_lo, v22, v16
	v_add_co_ci_u32_e32 v17, vcc_lo, v23, v17, vcc_lo
	flat_load_b64 v[16:17], v[16:17]
	s_waitcnt vmcnt(0) lgkmcnt(0)
	v_mul_f64 v[16:17], v[16:17], s[10:11]
	s_branch .LBB161_178
.LBB161_177:
	v_mov_b32_e32 v16, 0
	v_mov_b32_e32 v17, 0
.LBB161_178:
	s_delay_alu instid0(VALU_DEP_1) | instskip(SKIP_2) | instid1(VALU_DEP_1)
	v_cvt_f32_f64_e32 v16, v[16:17]
	v_max_f32_e32 v17, v106, v106
	v_lshlrev_b64 v[22:23], 3, v[14:15]
	v_add_co_u32 v20, vcc_lo, v20, v22
	s_delay_alu instid0(VALU_DEP_2) | instskip(NEXT) | instid1(VALU_DEP_4)
	v_add_co_ci_u32_e32 v21, vcc_lo, v21, v23, vcc_lo
	v_min_f32_e32 v16, v16, v17
	s_delay_alu instid0(VALU_DEP_1)
	v_cvt_f64_f32_e32 v[16:17], v16
	global_store_b64 v[20:21], v[16:17], off
.LBB161_179:
	s_or_b32 exec_lo, exec_lo, s8
	v_add_nc_u32_e32 v22, 24, v19
	s_delay_alu instid0(VALU_DEP_1) | instskip(SKIP_2) | instid1(VALU_DEP_3)
	v_mad_i64_i32 v[16:17], null, v22, s19, 0
	v_mad_i64_i32 v[20:21], null, v22, s18, 0
	v_cmp_gt_i32_e64 s8, s17, v22
	v_lshlrev_b64 v[16:17], 3, v[16:17]
	s_delay_alu instid0(VALU_DEP_2) | instskip(NEXT) | instid1(VALU_DEP_3)
	s_and_b32 s16, s0, s8
	v_lshlrev_b64 v[20:21], 3, v[20:21]
	s_delay_alu instid0(VALU_DEP_2) | instskip(NEXT) | instid1(VALU_DEP_3)
	v_add_co_u32 v22, vcc_lo, s12, v16
	v_add_co_ci_u32_e32 v23, vcc_lo, s13, v17, vcc_lo
	s_delay_alu instid0(VALU_DEP_3) | instskip(NEXT) | instid1(VALU_DEP_4)
	v_add_co_u32 v20, vcc_lo, s14, v20
	v_add_co_ci_u32_e32 v21, vcc_lo, s15, v21, vcc_lo
	s_and_saveexec_b32 s9, s16
	s_cbranch_execnz .LBB161_187
; %bb.180:
	s_or_b32 exec_lo, exec_lo, s9
	s_and_b32 s16, s1, s8
	s_delay_alu instid0(SALU_CYCLE_1)
	s_and_saveexec_b32 s9, s16
	s_cbranch_execnz .LBB161_191
.LBB161_181:
	s_or_b32 exec_lo, exec_lo, s9
	s_and_b32 s16, s2, s8
	s_delay_alu instid0(SALU_CYCLE_1)
	s_and_saveexec_b32 s9, s16
	s_cbranch_execnz .LBB161_195
.LBB161_182:
	s_or_b32 exec_lo, exec_lo, s9
	s_and_b32 s16, s3, s8
	s_delay_alu instid0(SALU_CYCLE_1)
	s_and_saveexec_b32 s9, s16
	s_cbranch_execnz .LBB161_199
.LBB161_183:
	s_or_b32 exec_lo, exec_lo, s9
	s_and_b32 s16, s4, s8
	s_delay_alu instid0(SALU_CYCLE_1)
	s_and_saveexec_b32 s9, s16
	s_cbranch_execnz .LBB161_203
.LBB161_184:
	s_or_b32 exec_lo, exec_lo, s9
	s_and_b32 s16, s5, s8
	s_delay_alu instid0(SALU_CYCLE_1)
	s_and_saveexec_b32 s9, s16
	s_cbranch_execnz .LBB161_207
.LBB161_185:
	s_or_b32 exec_lo, exec_lo, s9
	s_and_b32 s16, s6, s8
	s_delay_alu instid0(SALU_CYCLE_1)
	s_and_saveexec_b32 s9, s16
	s_cbranch_execnz .LBB161_211
.LBB161_186:
	s_or_b32 exec_lo, exec_lo, s9
	s_and_b32 s9, s7, s8
	s_delay_alu instid0(SALU_CYCLE_1)
	s_and_saveexec_b32 s8, s9
	s_cbranch_execnz .LBB161_215
	s_branch .LBB161_219
.LBB161_187:
	v_cmp_ne_u32_e32 vcc_lo, 1, v18
	s_cbranch_vccnz .LBB161_189
; %bb.188:
	v_lshlrev_b64 v[16:17], 3, v[0:1]
	s_delay_alu instid0(VALU_DEP_1) | instskip(NEXT) | instid1(VALU_DEP_2)
	v_add_co_u32 v16, vcc_lo, v22, v16
	v_add_co_ci_u32_e32 v17, vcc_lo, v23, v17, vcc_lo
	flat_load_b64 v[16:17], v[16:17]
	s_waitcnt vmcnt(0) lgkmcnt(0)
	v_mul_f64 v[16:17], v[16:17], s[10:11]
	s_branch .LBB161_190
.LBB161_189:
	v_mov_b32_e32 v16, 0
	v_mov_b32_e32 v17, 0
.LBB161_190:
	s_delay_alu instid0(VALU_DEP_1) | instskip(SKIP_2) | instid1(VALU_DEP_1)
	v_cvt_f32_f64_e32 v16, v[16:17]
	v_max_f32_e32 v17, v105, v105
	v_lshlrev_b64 v[24:25], 3, v[0:1]
	v_add_co_u32 v24, vcc_lo, v20, v24
	s_delay_alu instid0(VALU_DEP_2) | instskip(NEXT) | instid1(VALU_DEP_4)
	v_add_co_ci_u32_e32 v25, vcc_lo, v21, v25, vcc_lo
	v_min_f32_e32 v16, v16, v17
	s_delay_alu instid0(VALU_DEP_1) | instskip(SKIP_3) | instid1(SALU_CYCLE_1)
	v_cvt_f64_f32_e32 v[16:17], v16
	global_store_b64 v[24:25], v[16:17], off
	s_or_b32 exec_lo, exec_lo, s9
	s_and_b32 s16, s1, s8
	s_and_saveexec_b32 s9, s16
	s_cbranch_execz .LBB161_181
.LBB161_191:
	v_cmp_ne_u32_e32 vcc_lo, 1, v18
	s_cbranch_vccnz .LBB161_193
; %bb.192:
	v_lshlrev_b64 v[16:17], 3, v[2:3]
	s_delay_alu instid0(VALU_DEP_1) | instskip(NEXT) | instid1(VALU_DEP_2)
	v_add_co_u32 v16, vcc_lo, v22, v16
	v_add_co_ci_u32_e32 v17, vcc_lo, v23, v17, vcc_lo
	flat_load_b64 v[16:17], v[16:17]
	s_waitcnt vmcnt(0) lgkmcnt(0)
	v_mul_f64 v[16:17], v[16:17], s[10:11]
	s_branch .LBB161_194
.LBB161_193:
	v_mov_b32_e32 v16, 0
	v_mov_b32_e32 v17, 0
.LBB161_194:
	s_delay_alu instid0(VALU_DEP_1) | instskip(SKIP_2) | instid1(VALU_DEP_1)
	v_cvt_f32_f64_e32 v16, v[16:17]
	v_max_f32_e32 v17, v104, v104
	v_lshlrev_b64 v[24:25], 3, v[2:3]
	v_add_co_u32 v24, vcc_lo, v20, v24
	s_delay_alu instid0(VALU_DEP_2) | instskip(NEXT) | instid1(VALU_DEP_4)
	v_add_co_ci_u32_e32 v25, vcc_lo, v21, v25, vcc_lo
	v_min_f32_e32 v16, v16, v17
	s_delay_alu instid0(VALU_DEP_1) | instskip(SKIP_3) | instid1(SALU_CYCLE_1)
	v_cvt_f64_f32_e32 v[16:17], v16
	global_store_b64 v[24:25], v[16:17], off
	s_or_b32 exec_lo, exec_lo, s9
	s_and_b32 s16, s2, s8
	s_and_saveexec_b32 s9, s16
	s_cbranch_execz .LBB161_182
.LBB161_195:
	v_cmp_ne_u32_e32 vcc_lo, 1, v18
	s_cbranch_vccnz .LBB161_197
; %bb.196:
	v_lshlrev_b64 v[16:17], 3, v[4:5]
	s_delay_alu instid0(VALU_DEP_1) | instskip(NEXT) | instid1(VALU_DEP_2)
	v_add_co_u32 v16, vcc_lo, v22, v16
	v_add_co_ci_u32_e32 v17, vcc_lo, v23, v17, vcc_lo
	flat_load_b64 v[16:17], v[16:17]
	s_waitcnt vmcnt(0) lgkmcnt(0)
	v_mul_f64 v[16:17], v[16:17], s[10:11]
	s_branch .LBB161_198
.LBB161_197:
	v_mov_b32_e32 v16, 0
	v_mov_b32_e32 v17, 0
.LBB161_198:
	s_delay_alu instid0(VALU_DEP_1) | instskip(SKIP_2) | instid1(VALU_DEP_1)
	v_cvt_f32_f64_e32 v16, v[16:17]
	v_max_f32_e32 v17, v103, v103
	v_lshlrev_b64 v[24:25], 3, v[4:5]
	v_add_co_u32 v24, vcc_lo, v20, v24
	s_delay_alu instid0(VALU_DEP_2) | instskip(NEXT) | instid1(VALU_DEP_4)
	v_add_co_ci_u32_e32 v25, vcc_lo, v21, v25, vcc_lo
	v_min_f32_e32 v16, v16, v17
	s_delay_alu instid0(VALU_DEP_1) | instskip(SKIP_3) | instid1(SALU_CYCLE_1)
	v_cvt_f64_f32_e32 v[16:17], v16
	global_store_b64 v[24:25], v[16:17], off
	s_or_b32 exec_lo, exec_lo, s9
	s_and_b32 s16, s3, s8
	s_and_saveexec_b32 s9, s16
	s_cbranch_execz .LBB161_183
.LBB161_199:
	v_cmp_ne_u32_e32 vcc_lo, 1, v18
	s_cbranch_vccnz .LBB161_201
; %bb.200:
	v_lshlrev_b64 v[16:17], 3, v[6:7]
	s_delay_alu instid0(VALU_DEP_1) | instskip(NEXT) | instid1(VALU_DEP_2)
	v_add_co_u32 v16, vcc_lo, v22, v16
	v_add_co_ci_u32_e32 v17, vcc_lo, v23, v17, vcc_lo
	flat_load_b64 v[16:17], v[16:17]
	s_waitcnt vmcnt(0) lgkmcnt(0)
	v_mul_f64 v[16:17], v[16:17], s[10:11]
	s_branch .LBB161_202
.LBB161_201:
	v_mov_b32_e32 v16, 0
	v_mov_b32_e32 v17, 0
.LBB161_202:
	s_delay_alu instid0(VALU_DEP_1) | instskip(SKIP_2) | instid1(VALU_DEP_1)
	v_cvt_f32_f64_e32 v16, v[16:17]
	v_max_f32_e32 v17, v102, v102
	v_lshlrev_b64 v[24:25], 3, v[6:7]
	v_add_co_u32 v24, vcc_lo, v20, v24
	s_delay_alu instid0(VALU_DEP_2) | instskip(NEXT) | instid1(VALU_DEP_4)
	v_add_co_ci_u32_e32 v25, vcc_lo, v21, v25, vcc_lo
	v_min_f32_e32 v16, v16, v17
	s_delay_alu instid0(VALU_DEP_1) | instskip(SKIP_3) | instid1(SALU_CYCLE_1)
	v_cvt_f64_f32_e32 v[16:17], v16
	global_store_b64 v[24:25], v[16:17], off
	s_or_b32 exec_lo, exec_lo, s9
	s_and_b32 s16, s4, s8
	s_and_saveexec_b32 s9, s16
	s_cbranch_execz .LBB161_184
.LBB161_203:
	v_cmp_ne_u32_e32 vcc_lo, 1, v18
	s_cbranch_vccnz .LBB161_205
; %bb.204:
	v_lshlrev_b64 v[16:17], 3, v[8:9]
	s_delay_alu instid0(VALU_DEP_1) | instskip(NEXT) | instid1(VALU_DEP_2)
	v_add_co_u32 v16, vcc_lo, v22, v16
	v_add_co_ci_u32_e32 v17, vcc_lo, v23, v17, vcc_lo
	flat_load_b64 v[16:17], v[16:17]
	s_waitcnt vmcnt(0) lgkmcnt(0)
	v_mul_f64 v[16:17], v[16:17], s[10:11]
	s_branch .LBB161_206
.LBB161_205:
	v_mov_b32_e32 v16, 0
	v_mov_b32_e32 v17, 0
.LBB161_206:
	s_delay_alu instid0(VALU_DEP_1) | instskip(SKIP_2) | instid1(VALU_DEP_1)
	v_cvt_f32_f64_e32 v16, v[16:17]
	v_max_f32_e32 v17, v101, v101
	v_lshlrev_b64 v[24:25], 3, v[8:9]
	v_add_co_u32 v24, vcc_lo, v20, v24
	s_delay_alu instid0(VALU_DEP_2) | instskip(NEXT) | instid1(VALU_DEP_4)
	v_add_co_ci_u32_e32 v25, vcc_lo, v21, v25, vcc_lo
	v_min_f32_e32 v16, v16, v17
	s_delay_alu instid0(VALU_DEP_1) | instskip(SKIP_3) | instid1(SALU_CYCLE_1)
	v_cvt_f64_f32_e32 v[16:17], v16
	global_store_b64 v[24:25], v[16:17], off
	s_or_b32 exec_lo, exec_lo, s9
	s_and_b32 s16, s5, s8
	s_and_saveexec_b32 s9, s16
	s_cbranch_execz .LBB161_185
.LBB161_207:
	v_cmp_ne_u32_e32 vcc_lo, 1, v18
	s_cbranch_vccnz .LBB161_209
; %bb.208:
	v_lshlrev_b64 v[16:17], 3, v[10:11]
	s_delay_alu instid0(VALU_DEP_1) | instskip(NEXT) | instid1(VALU_DEP_2)
	v_add_co_u32 v16, vcc_lo, v22, v16
	v_add_co_ci_u32_e32 v17, vcc_lo, v23, v17, vcc_lo
	flat_load_b64 v[16:17], v[16:17]
	s_waitcnt vmcnt(0) lgkmcnt(0)
	v_mul_f64 v[16:17], v[16:17], s[10:11]
	s_branch .LBB161_210
.LBB161_209:
	v_mov_b32_e32 v16, 0
	v_mov_b32_e32 v17, 0
.LBB161_210:
	s_delay_alu instid0(VALU_DEP_1) | instskip(SKIP_2) | instid1(VALU_DEP_1)
	v_cvt_f32_f64_e32 v16, v[16:17]
	v_max_f32_e32 v17, v100, v100
	v_lshlrev_b64 v[24:25], 3, v[10:11]
	v_add_co_u32 v24, vcc_lo, v20, v24
	s_delay_alu instid0(VALU_DEP_2) | instskip(NEXT) | instid1(VALU_DEP_4)
	v_add_co_ci_u32_e32 v25, vcc_lo, v21, v25, vcc_lo
	v_min_f32_e32 v16, v16, v17
	s_delay_alu instid0(VALU_DEP_1) | instskip(SKIP_3) | instid1(SALU_CYCLE_1)
	v_cvt_f64_f32_e32 v[16:17], v16
	global_store_b64 v[24:25], v[16:17], off
	s_or_b32 exec_lo, exec_lo, s9
	s_and_b32 s16, s6, s8
	s_and_saveexec_b32 s9, s16
	s_cbranch_execz .LBB161_186
.LBB161_211:
	v_cmp_ne_u32_e32 vcc_lo, 1, v18
	s_cbranch_vccnz .LBB161_213
; %bb.212:
	v_lshlrev_b64 v[16:17], 3, v[12:13]
	s_delay_alu instid0(VALU_DEP_1) | instskip(NEXT) | instid1(VALU_DEP_2)
	v_add_co_u32 v16, vcc_lo, v22, v16
	v_add_co_ci_u32_e32 v17, vcc_lo, v23, v17, vcc_lo
	flat_load_b64 v[16:17], v[16:17]
	s_waitcnt vmcnt(0) lgkmcnt(0)
	v_mul_f64 v[16:17], v[16:17], s[10:11]
	s_branch .LBB161_214
.LBB161_213:
	v_mov_b32_e32 v16, 0
	v_mov_b32_e32 v17, 0
.LBB161_214:
	s_delay_alu instid0(VALU_DEP_1) | instskip(SKIP_2) | instid1(VALU_DEP_1)
	v_cvt_f32_f64_e32 v16, v[16:17]
	v_max_f32_e32 v17, v99, v99
	v_lshlrev_b64 v[24:25], 3, v[12:13]
	v_add_co_u32 v24, vcc_lo, v20, v24
	s_delay_alu instid0(VALU_DEP_2) | instskip(NEXT) | instid1(VALU_DEP_4)
	v_add_co_ci_u32_e32 v25, vcc_lo, v21, v25, vcc_lo
	v_min_f32_e32 v16, v16, v17
	s_delay_alu instid0(VALU_DEP_1) | instskip(SKIP_3) | instid1(SALU_CYCLE_1)
	v_cvt_f64_f32_e32 v[16:17], v16
	global_store_b64 v[24:25], v[16:17], off
	s_or_b32 exec_lo, exec_lo, s9
	s_and_b32 s9, s7, s8
	s_and_saveexec_b32 s8, s9
	s_cbranch_execz .LBB161_219
.LBB161_215:
	v_cmp_ne_u32_e32 vcc_lo, 1, v18
	s_cbranch_vccnz .LBB161_217
; %bb.216:
	v_lshlrev_b64 v[16:17], 3, v[14:15]
	s_delay_alu instid0(VALU_DEP_1) | instskip(NEXT) | instid1(VALU_DEP_2)
	v_add_co_u32 v16, vcc_lo, v22, v16
	v_add_co_ci_u32_e32 v17, vcc_lo, v23, v17, vcc_lo
	flat_load_b64 v[16:17], v[16:17]
	s_waitcnt vmcnt(0) lgkmcnt(0)
	v_mul_f64 v[16:17], v[16:17], s[10:11]
	s_branch .LBB161_218
.LBB161_217:
	v_mov_b32_e32 v16, 0
	v_mov_b32_e32 v17, 0
.LBB161_218:
	s_delay_alu instid0(VALU_DEP_1) | instskip(SKIP_2) | instid1(VALU_DEP_1)
	v_cvt_f32_f64_e32 v16, v[16:17]
	v_max_f32_e32 v17, v98, v98
	v_lshlrev_b64 v[22:23], 3, v[14:15]
	v_add_co_u32 v20, vcc_lo, v20, v22
	s_delay_alu instid0(VALU_DEP_2) | instskip(NEXT) | instid1(VALU_DEP_4)
	v_add_co_ci_u32_e32 v21, vcc_lo, v21, v23, vcc_lo
	v_min_f32_e32 v16, v16, v17
	s_delay_alu instid0(VALU_DEP_1)
	v_cvt_f64_f32_e32 v[16:17], v16
	global_store_b64 v[20:21], v[16:17], off
.LBB161_219:
	s_or_b32 exec_lo, exec_lo, s8
	v_add_nc_u32_e32 v22, 32, v19
	s_delay_alu instid0(VALU_DEP_1) | instskip(SKIP_2) | instid1(VALU_DEP_3)
	v_mad_i64_i32 v[16:17], null, v22, s19, 0
	v_mad_i64_i32 v[20:21], null, v22, s18, 0
	v_cmp_gt_i32_e64 s8, s17, v22
	v_lshlrev_b64 v[16:17], 3, v[16:17]
	s_delay_alu instid0(VALU_DEP_2) | instskip(NEXT) | instid1(VALU_DEP_3)
	s_and_b32 s16, s0, s8
	v_lshlrev_b64 v[20:21], 3, v[20:21]
	s_delay_alu instid0(VALU_DEP_2) | instskip(NEXT) | instid1(VALU_DEP_3)
	v_add_co_u32 v22, vcc_lo, s12, v16
	v_add_co_ci_u32_e32 v23, vcc_lo, s13, v17, vcc_lo
	s_delay_alu instid0(VALU_DEP_3) | instskip(NEXT) | instid1(VALU_DEP_4)
	v_add_co_u32 v20, vcc_lo, s14, v20
	v_add_co_ci_u32_e32 v21, vcc_lo, s15, v21, vcc_lo
	s_and_saveexec_b32 s9, s16
	s_cbranch_execnz .LBB161_227
; %bb.220:
	s_or_b32 exec_lo, exec_lo, s9
	s_and_b32 s16, s1, s8
	s_delay_alu instid0(SALU_CYCLE_1)
	s_and_saveexec_b32 s9, s16
	s_cbranch_execnz .LBB161_231
.LBB161_221:
	s_or_b32 exec_lo, exec_lo, s9
	s_and_b32 s16, s2, s8
	s_delay_alu instid0(SALU_CYCLE_1)
	s_and_saveexec_b32 s9, s16
	s_cbranch_execnz .LBB161_235
.LBB161_222:
	s_or_b32 exec_lo, exec_lo, s9
	s_and_b32 s16, s3, s8
	s_delay_alu instid0(SALU_CYCLE_1)
	s_and_saveexec_b32 s9, s16
	s_cbranch_execnz .LBB161_239
.LBB161_223:
	s_or_b32 exec_lo, exec_lo, s9
	s_and_b32 s16, s4, s8
	s_delay_alu instid0(SALU_CYCLE_1)
	s_and_saveexec_b32 s9, s16
	s_cbranch_execnz .LBB161_243
.LBB161_224:
	s_or_b32 exec_lo, exec_lo, s9
	s_and_b32 s16, s5, s8
	s_delay_alu instid0(SALU_CYCLE_1)
	s_and_saveexec_b32 s9, s16
	s_cbranch_execnz .LBB161_247
.LBB161_225:
	s_or_b32 exec_lo, exec_lo, s9
	s_and_b32 s16, s6, s8
	s_delay_alu instid0(SALU_CYCLE_1)
	s_and_saveexec_b32 s9, s16
	s_cbranch_execnz .LBB161_251
.LBB161_226:
	s_or_b32 exec_lo, exec_lo, s9
	s_and_b32 s9, s7, s8
	s_delay_alu instid0(SALU_CYCLE_1)
	s_and_saveexec_b32 s8, s9
	s_cbranch_execnz .LBB161_255
	s_branch .LBB161_259
.LBB161_227:
	v_cmp_ne_u32_e32 vcc_lo, 1, v18
	s_cbranch_vccnz .LBB161_229
; %bb.228:
	v_lshlrev_b64 v[16:17], 3, v[0:1]
	s_delay_alu instid0(VALU_DEP_1) | instskip(NEXT) | instid1(VALU_DEP_2)
	v_add_co_u32 v16, vcc_lo, v22, v16
	v_add_co_ci_u32_e32 v17, vcc_lo, v23, v17, vcc_lo
	flat_load_b64 v[16:17], v[16:17]
	s_waitcnt vmcnt(0) lgkmcnt(0)
	v_mul_f64 v[16:17], v[16:17], s[10:11]
	s_branch .LBB161_230
.LBB161_229:
	v_mov_b32_e32 v16, 0
	v_mov_b32_e32 v17, 0
.LBB161_230:
	s_delay_alu instid0(VALU_DEP_1) | instskip(SKIP_2) | instid1(VALU_DEP_1)
	v_cvt_f32_f64_e32 v16, v[16:17]
	v_max_f32_e32 v17, v97, v97
	v_lshlrev_b64 v[24:25], 3, v[0:1]
	v_add_co_u32 v24, vcc_lo, v20, v24
	s_delay_alu instid0(VALU_DEP_2) | instskip(NEXT) | instid1(VALU_DEP_4)
	v_add_co_ci_u32_e32 v25, vcc_lo, v21, v25, vcc_lo
	v_min_f32_e32 v16, v16, v17
	s_delay_alu instid0(VALU_DEP_1) | instskip(SKIP_3) | instid1(SALU_CYCLE_1)
	v_cvt_f64_f32_e32 v[16:17], v16
	global_store_b64 v[24:25], v[16:17], off
	s_or_b32 exec_lo, exec_lo, s9
	s_and_b32 s16, s1, s8
	s_and_saveexec_b32 s9, s16
	s_cbranch_execz .LBB161_221
.LBB161_231:
	v_cmp_ne_u32_e32 vcc_lo, 1, v18
	s_cbranch_vccnz .LBB161_233
; %bb.232:
	v_lshlrev_b64 v[16:17], 3, v[2:3]
	s_delay_alu instid0(VALU_DEP_1) | instskip(NEXT) | instid1(VALU_DEP_2)
	v_add_co_u32 v16, vcc_lo, v22, v16
	v_add_co_ci_u32_e32 v17, vcc_lo, v23, v17, vcc_lo
	flat_load_b64 v[16:17], v[16:17]
	s_waitcnt vmcnt(0) lgkmcnt(0)
	v_mul_f64 v[16:17], v[16:17], s[10:11]
	s_branch .LBB161_234
.LBB161_233:
	v_mov_b32_e32 v16, 0
	v_mov_b32_e32 v17, 0
.LBB161_234:
	s_delay_alu instid0(VALU_DEP_1) | instskip(SKIP_2) | instid1(VALU_DEP_1)
	v_cvt_f32_f64_e32 v16, v[16:17]
	v_max_f32_e32 v17, v96, v96
	v_lshlrev_b64 v[24:25], 3, v[2:3]
	v_add_co_u32 v24, vcc_lo, v20, v24
	s_delay_alu instid0(VALU_DEP_2) | instskip(NEXT) | instid1(VALU_DEP_4)
	v_add_co_ci_u32_e32 v25, vcc_lo, v21, v25, vcc_lo
	v_min_f32_e32 v16, v16, v17
	s_delay_alu instid0(VALU_DEP_1) | instskip(SKIP_3) | instid1(SALU_CYCLE_1)
	v_cvt_f64_f32_e32 v[16:17], v16
	global_store_b64 v[24:25], v[16:17], off
	s_or_b32 exec_lo, exec_lo, s9
	s_and_b32 s16, s2, s8
	s_and_saveexec_b32 s9, s16
	s_cbranch_execz .LBB161_222
.LBB161_235:
	v_cmp_ne_u32_e32 vcc_lo, 1, v18
	s_cbranch_vccnz .LBB161_237
; %bb.236:
	v_lshlrev_b64 v[16:17], 3, v[4:5]
	s_delay_alu instid0(VALU_DEP_1) | instskip(NEXT) | instid1(VALU_DEP_2)
	v_add_co_u32 v16, vcc_lo, v22, v16
	v_add_co_ci_u32_e32 v17, vcc_lo, v23, v17, vcc_lo
	flat_load_b64 v[16:17], v[16:17]
	s_waitcnt vmcnt(0) lgkmcnt(0)
	v_mul_f64 v[16:17], v[16:17], s[10:11]
	s_branch .LBB161_238
.LBB161_237:
	v_mov_b32_e32 v16, 0
	v_mov_b32_e32 v17, 0
.LBB161_238:
	s_delay_alu instid0(VALU_DEP_1) | instskip(SKIP_2) | instid1(VALU_DEP_1)
	v_cvt_f32_f64_e32 v16, v[16:17]
	v_max_f32_e32 v17, v95, v95
	v_lshlrev_b64 v[24:25], 3, v[4:5]
	v_add_co_u32 v24, vcc_lo, v20, v24
	s_delay_alu instid0(VALU_DEP_2) | instskip(NEXT) | instid1(VALU_DEP_4)
	v_add_co_ci_u32_e32 v25, vcc_lo, v21, v25, vcc_lo
	v_min_f32_e32 v16, v16, v17
	s_delay_alu instid0(VALU_DEP_1) | instskip(SKIP_3) | instid1(SALU_CYCLE_1)
	v_cvt_f64_f32_e32 v[16:17], v16
	global_store_b64 v[24:25], v[16:17], off
	s_or_b32 exec_lo, exec_lo, s9
	s_and_b32 s16, s3, s8
	s_and_saveexec_b32 s9, s16
	s_cbranch_execz .LBB161_223
.LBB161_239:
	v_cmp_ne_u32_e32 vcc_lo, 1, v18
	s_cbranch_vccnz .LBB161_241
; %bb.240:
	v_lshlrev_b64 v[16:17], 3, v[6:7]
	s_delay_alu instid0(VALU_DEP_1) | instskip(NEXT) | instid1(VALU_DEP_2)
	v_add_co_u32 v16, vcc_lo, v22, v16
	v_add_co_ci_u32_e32 v17, vcc_lo, v23, v17, vcc_lo
	flat_load_b64 v[16:17], v[16:17]
	s_waitcnt vmcnt(0) lgkmcnt(0)
	v_mul_f64 v[16:17], v[16:17], s[10:11]
	s_branch .LBB161_242
.LBB161_241:
	v_mov_b32_e32 v16, 0
	v_mov_b32_e32 v17, 0
.LBB161_242:
	s_delay_alu instid0(VALU_DEP_1) | instskip(SKIP_2) | instid1(VALU_DEP_1)
	v_cvt_f32_f64_e32 v16, v[16:17]
	v_max_f32_e32 v17, v94, v94
	v_lshlrev_b64 v[24:25], 3, v[6:7]
	v_add_co_u32 v24, vcc_lo, v20, v24
	s_delay_alu instid0(VALU_DEP_2) | instskip(NEXT) | instid1(VALU_DEP_4)
	v_add_co_ci_u32_e32 v25, vcc_lo, v21, v25, vcc_lo
	v_min_f32_e32 v16, v16, v17
	s_delay_alu instid0(VALU_DEP_1) | instskip(SKIP_3) | instid1(SALU_CYCLE_1)
	v_cvt_f64_f32_e32 v[16:17], v16
	global_store_b64 v[24:25], v[16:17], off
	s_or_b32 exec_lo, exec_lo, s9
	s_and_b32 s16, s4, s8
	s_and_saveexec_b32 s9, s16
	s_cbranch_execz .LBB161_224
.LBB161_243:
	v_cmp_ne_u32_e32 vcc_lo, 1, v18
	s_cbranch_vccnz .LBB161_245
; %bb.244:
	v_lshlrev_b64 v[16:17], 3, v[8:9]
	s_delay_alu instid0(VALU_DEP_1) | instskip(NEXT) | instid1(VALU_DEP_2)
	v_add_co_u32 v16, vcc_lo, v22, v16
	v_add_co_ci_u32_e32 v17, vcc_lo, v23, v17, vcc_lo
	flat_load_b64 v[16:17], v[16:17]
	s_waitcnt vmcnt(0) lgkmcnt(0)
	v_mul_f64 v[16:17], v[16:17], s[10:11]
	s_branch .LBB161_246
.LBB161_245:
	v_mov_b32_e32 v16, 0
	v_mov_b32_e32 v17, 0
.LBB161_246:
	s_delay_alu instid0(VALU_DEP_1) | instskip(SKIP_2) | instid1(VALU_DEP_1)
	v_cvt_f32_f64_e32 v16, v[16:17]
	v_max_f32_e32 v17, v93, v93
	v_lshlrev_b64 v[24:25], 3, v[8:9]
	v_add_co_u32 v24, vcc_lo, v20, v24
	s_delay_alu instid0(VALU_DEP_2) | instskip(NEXT) | instid1(VALU_DEP_4)
	v_add_co_ci_u32_e32 v25, vcc_lo, v21, v25, vcc_lo
	v_min_f32_e32 v16, v16, v17
	s_delay_alu instid0(VALU_DEP_1) | instskip(SKIP_3) | instid1(SALU_CYCLE_1)
	v_cvt_f64_f32_e32 v[16:17], v16
	global_store_b64 v[24:25], v[16:17], off
	s_or_b32 exec_lo, exec_lo, s9
	s_and_b32 s16, s5, s8
	s_and_saveexec_b32 s9, s16
	s_cbranch_execz .LBB161_225
.LBB161_247:
	v_cmp_ne_u32_e32 vcc_lo, 1, v18
	s_cbranch_vccnz .LBB161_249
; %bb.248:
	v_lshlrev_b64 v[16:17], 3, v[10:11]
	s_delay_alu instid0(VALU_DEP_1) | instskip(NEXT) | instid1(VALU_DEP_2)
	v_add_co_u32 v16, vcc_lo, v22, v16
	v_add_co_ci_u32_e32 v17, vcc_lo, v23, v17, vcc_lo
	flat_load_b64 v[16:17], v[16:17]
	s_waitcnt vmcnt(0) lgkmcnt(0)
	v_mul_f64 v[16:17], v[16:17], s[10:11]
	s_branch .LBB161_250
.LBB161_249:
	v_mov_b32_e32 v16, 0
	v_mov_b32_e32 v17, 0
.LBB161_250:
	s_delay_alu instid0(VALU_DEP_1) | instskip(SKIP_2) | instid1(VALU_DEP_1)
	v_cvt_f32_f64_e32 v16, v[16:17]
	v_max_f32_e32 v17, v92, v92
	v_lshlrev_b64 v[24:25], 3, v[10:11]
	v_add_co_u32 v24, vcc_lo, v20, v24
	s_delay_alu instid0(VALU_DEP_2) | instskip(NEXT) | instid1(VALU_DEP_4)
	v_add_co_ci_u32_e32 v25, vcc_lo, v21, v25, vcc_lo
	v_min_f32_e32 v16, v16, v17
	s_delay_alu instid0(VALU_DEP_1) | instskip(SKIP_3) | instid1(SALU_CYCLE_1)
	v_cvt_f64_f32_e32 v[16:17], v16
	global_store_b64 v[24:25], v[16:17], off
	s_or_b32 exec_lo, exec_lo, s9
	s_and_b32 s16, s6, s8
	s_and_saveexec_b32 s9, s16
	s_cbranch_execz .LBB161_226
.LBB161_251:
	v_cmp_ne_u32_e32 vcc_lo, 1, v18
	s_cbranch_vccnz .LBB161_253
; %bb.252:
	v_lshlrev_b64 v[16:17], 3, v[12:13]
	s_delay_alu instid0(VALU_DEP_1) | instskip(NEXT) | instid1(VALU_DEP_2)
	v_add_co_u32 v16, vcc_lo, v22, v16
	v_add_co_ci_u32_e32 v17, vcc_lo, v23, v17, vcc_lo
	flat_load_b64 v[16:17], v[16:17]
	s_waitcnt vmcnt(0) lgkmcnt(0)
	v_mul_f64 v[16:17], v[16:17], s[10:11]
	s_branch .LBB161_254
.LBB161_253:
	v_mov_b32_e32 v16, 0
	v_mov_b32_e32 v17, 0
.LBB161_254:
	s_delay_alu instid0(VALU_DEP_1) | instskip(SKIP_2) | instid1(VALU_DEP_1)
	v_cvt_f32_f64_e32 v16, v[16:17]
	v_max_f32_e32 v17, v91, v91
	v_lshlrev_b64 v[24:25], 3, v[12:13]
	v_add_co_u32 v24, vcc_lo, v20, v24
	s_delay_alu instid0(VALU_DEP_2) | instskip(NEXT) | instid1(VALU_DEP_4)
	v_add_co_ci_u32_e32 v25, vcc_lo, v21, v25, vcc_lo
	v_min_f32_e32 v16, v16, v17
	s_delay_alu instid0(VALU_DEP_1) | instskip(SKIP_3) | instid1(SALU_CYCLE_1)
	v_cvt_f64_f32_e32 v[16:17], v16
	global_store_b64 v[24:25], v[16:17], off
	s_or_b32 exec_lo, exec_lo, s9
	s_and_b32 s9, s7, s8
	s_and_saveexec_b32 s8, s9
	s_cbranch_execz .LBB161_259
.LBB161_255:
	v_cmp_ne_u32_e32 vcc_lo, 1, v18
	s_cbranch_vccnz .LBB161_257
; %bb.256:
	v_lshlrev_b64 v[16:17], 3, v[14:15]
	s_delay_alu instid0(VALU_DEP_1) | instskip(NEXT) | instid1(VALU_DEP_2)
	v_add_co_u32 v16, vcc_lo, v22, v16
	v_add_co_ci_u32_e32 v17, vcc_lo, v23, v17, vcc_lo
	flat_load_b64 v[16:17], v[16:17]
	s_waitcnt vmcnt(0) lgkmcnt(0)
	v_mul_f64 v[16:17], v[16:17], s[10:11]
	s_branch .LBB161_258
.LBB161_257:
	v_mov_b32_e32 v16, 0
	v_mov_b32_e32 v17, 0
.LBB161_258:
	s_delay_alu instid0(VALU_DEP_1) | instskip(SKIP_2) | instid1(VALU_DEP_1)
	v_cvt_f32_f64_e32 v16, v[16:17]
	v_max_f32_e32 v17, v90, v90
	v_lshlrev_b64 v[22:23], 3, v[14:15]
	v_add_co_u32 v20, vcc_lo, v20, v22
	s_delay_alu instid0(VALU_DEP_2) | instskip(NEXT) | instid1(VALU_DEP_4)
	v_add_co_ci_u32_e32 v21, vcc_lo, v21, v23, vcc_lo
	v_min_f32_e32 v16, v16, v17
	s_delay_alu instid0(VALU_DEP_1)
	v_cvt_f64_f32_e32 v[16:17], v16
	global_store_b64 v[20:21], v[16:17], off
.LBB161_259:
	s_or_b32 exec_lo, exec_lo, s8
	v_add_nc_u32_e32 v22, 40, v19
	s_delay_alu instid0(VALU_DEP_1) | instskip(SKIP_2) | instid1(VALU_DEP_3)
	v_mad_i64_i32 v[16:17], null, v22, s19, 0
	v_mad_i64_i32 v[20:21], null, v22, s18, 0
	v_cmp_gt_i32_e64 s8, s17, v22
	v_lshlrev_b64 v[16:17], 3, v[16:17]
	s_delay_alu instid0(VALU_DEP_2) | instskip(NEXT) | instid1(VALU_DEP_3)
	s_and_b32 s16, s0, s8
	v_lshlrev_b64 v[20:21], 3, v[20:21]
	s_delay_alu instid0(VALU_DEP_2) | instskip(NEXT) | instid1(VALU_DEP_3)
	v_add_co_u32 v22, vcc_lo, s12, v16
	v_add_co_ci_u32_e32 v23, vcc_lo, s13, v17, vcc_lo
	s_delay_alu instid0(VALU_DEP_3) | instskip(NEXT) | instid1(VALU_DEP_4)
	v_add_co_u32 v20, vcc_lo, s14, v20
	v_add_co_ci_u32_e32 v21, vcc_lo, s15, v21, vcc_lo
	s_and_saveexec_b32 s9, s16
	s_cbranch_execnz .LBB161_267
; %bb.260:
	s_or_b32 exec_lo, exec_lo, s9
	s_and_b32 s16, s1, s8
	s_delay_alu instid0(SALU_CYCLE_1)
	s_and_saveexec_b32 s9, s16
	s_cbranch_execnz .LBB161_271
.LBB161_261:
	s_or_b32 exec_lo, exec_lo, s9
	s_and_b32 s16, s2, s8
	s_delay_alu instid0(SALU_CYCLE_1)
	s_and_saveexec_b32 s9, s16
	s_cbranch_execnz .LBB161_275
.LBB161_262:
	s_or_b32 exec_lo, exec_lo, s9
	s_and_b32 s16, s3, s8
	s_delay_alu instid0(SALU_CYCLE_1)
	s_and_saveexec_b32 s9, s16
	s_cbranch_execnz .LBB161_279
.LBB161_263:
	s_or_b32 exec_lo, exec_lo, s9
	s_and_b32 s16, s4, s8
	s_delay_alu instid0(SALU_CYCLE_1)
	s_and_saveexec_b32 s9, s16
	s_cbranch_execnz .LBB161_283
.LBB161_264:
	s_or_b32 exec_lo, exec_lo, s9
	s_and_b32 s16, s5, s8
	s_delay_alu instid0(SALU_CYCLE_1)
	s_and_saveexec_b32 s9, s16
	s_cbranch_execnz .LBB161_287
.LBB161_265:
	s_or_b32 exec_lo, exec_lo, s9
	s_and_b32 s16, s6, s8
	s_delay_alu instid0(SALU_CYCLE_1)
	s_and_saveexec_b32 s9, s16
	s_cbranch_execnz .LBB161_291
.LBB161_266:
	s_or_b32 exec_lo, exec_lo, s9
	s_and_b32 s9, s7, s8
	s_delay_alu instid0(SALU_CYCLE_1)
	s_and_saveexec_b32 s8, s9
	s_cbranch_execnz .LBB161_295
	s_branch .LBB161_299
.LBB161_267:
	v_cmp_ne_u32_e32 vcc_lo, 1, v18
	s_cbranch_vccnz .LBB161_269
; %bb.268:
	v_lshlrev_b64 v[16:17], 3, v[0:1]
	s_delay_alu instid0(VALU_DEP_1) | instskip(NEXT) | instid1(VALU_DEP_2)
	v_add_co_u32 v16, vcc_lo, v22, v16
	v_add_co_ci_u32_e32 v17, vcc_lo, v23, v17, vcc_lo
	flat_load_b64 v[16:17], v[16:17]
	s_waitcnt vmcnt(0) lgkmcnt(0)
	v_mul_f64 v[16:17], v[16:17], s[10:11]
	s_branch .LBB161_270
.LBB161_269:
	v_mov_b32_e32 v16, 0
	v_mov_b32_e32 v17, 0
.LBB161_270:
	s_delay_alu instid0(VALU_DEP_1) | instskip(SKIP_2) | instid1(VALU_DEP_1)
	v_cvt_f32_f64_e32 v16, v[16:17]
	v_max_f32_e32 v17, v89, v89
	v_lshlrev_b64 v[24:25], 3, v[0:1]
	v_add_co_u32 v24, vcc_lo, v20, v24
	s_delay_alu instid0(VALU_DEP_2) | instskip(NEXT) | instid1(VALU_DEP_4)
	v_add_co_ci_u32_e32 v25, vcc_lo, v21, v25, vcc_lo
	v_min_f32_e32 v16, v16, v17
	s_delay_alu instid0(VALU_DEP_1) | instskip(SKIP_3) | instid1(SALU_CYCLE_1)
	v_cvt_f64_f32_e32 v[16:17], v16
	global_store_b64 v[24:25], v[16:17], off
	s_or_b32 exec_lo, exec_lo, s9
	s_and_b32 s16, s1, s8
	s_and_saveexec_b32 s9, s16
	s_cbranch_execz .LBB161_261
.LBB161_271:
	v_cmp_ne_u32_e32 vcc_lo, 1, v18
	s_cbranch_vccnz .LBB161_273
; %bb.272:
	v_lshlrev_b64 v[16:17], 3, v[2:3]
	s_delay_alu instid0(VALU_DEP_1) | instskip(NEXT) | instid1(VALU_DEP_2)
	v_add_co_u32 v16, vcc_lo, v22, v16
	v_add_co_ci_u32_e32 v17, vcc_lo, v23, v17, vcc_lo
	flat_load_b64 v[16:17], v[16:17]
	s_waitcnt vmcnt(0) lgkmcnt(0)
	v_mul_f64 v[16:17], v[16:17], s[10:11]
	s_branch .LBB161_274
.LBB161_273:
	v_mov_b32_e32 v16, 0
	v_mov_b32_e32 v17, 0
.LBB161_274:
	s_delay_alu instid0(VALU_DEP_1) | instskip(SKIP_2) | instid1(VALU_DEP_1)
	v_cvt_f32_f64_e32 v16, v[16:17]
	v_max_f32_e32 v17, v88, v88
	v_lshlrev_b64 v[24:25], 3, v[2:3]
	v_add_co_u32 v24, vcc_lo, v20, v24
	s_delay_alu instid0(VALU_DEP_2) | instskip(NEXT) | instid1(VALU_DEP_4)
	v_add_co_ci_u32_e32 v25, vcc_lo, v21, v25, vcc_lo
	v_min_f32_e32 v16, v16, v17
	s_delay_alu instid0(VALU_DEP_1) | instskip(SKIP_3) | instid1(SALU_CYCLE_1)
	v_cvt_f64_f32_e32 v[16:17], v16
	global_store_b64 v[24:25], v[16:17], off
	s_or_b32 exec_lo, exec_lo, s9
	s_and_b32 s16, s2, s8
	s_and_saveexec_b32 s9, s16
	s_cbranch_execz .LBB161_262
.LBB161_275:
	v_cmp_ne_u32_e32 vcc_lo, 1, v18
	s_cbranch_vccnz .LBB161_277
; %bb.276:
	v_lshlrev_b64 v[16:17], 3, v[4:5]
	s_delay_alu instid0(VALU_DEP_1) | instskip(NEXT) | instid1(VALU_DEP_2)
	v_add_co_u32 v16, vcc_lo, v22, v16
	v_add_co_ci_u32_e32 v17, vcc_lo, v23, v17, vcc_lo
	flat_load_b64 v[16:17], v[16:17]
	s_waitcnt vmcnt(0) lgkmcnt(0)
	v_mul_f64 v[16:17], v[16:17], s[10:11]
	s_branch .LBB161_278
.LBB161_277:
	v_mov_b32_e32 v16, 0
	v_mov_b32_e32 v17, 0
.LBB161_278:
	s_delay_alu instid0(VALU_DEP_1) | instskip(SKIP_2) | instid1(VALU_DEP_1)
	v_cvt_f32_f64_e32 v16, v[16:17]
	v_max_f32_e32 v17, v87, v87
	v_lshlrev_b64 v[24:25], 3, v[4:5]
	v_add_co_u32 v24, vcc_lo, v20, v24
	s_delay_alu instid0(VALU_DEP_2) | instskip(NEXT) | instid1(VALU_DEP_4)
	v_add_co_ci_u32_e32 v25, vcc_lo, v21, v25, vcc_lo
	v_min_f32_e32 v16, v16, v17
	s_delay_alu instid0(VALU_DEP_1) | instskip(SKIP_3) | instid1(SALU_CYCLE_1)
	v_cvt_f64_f32_e32 v[16:17], v16
	global_store_b64 v[24:25], v[16:17], off
	s_or_b32 exec_lo, exec_lo, s9
	s_and_b32 s16, s3, s8
	s_and_saveexec_b32 s9, s16
	s_cbranch_execz .LBB161_263
.LBB161_279:
	v_cmp_ne_u32_e32 vcc_lo, 1, v18
	s_cbranch_vccnz .LBB161_281
; %bb.280:
	v_lshlrev_b64 v[16:17], 3, v[6:7]
	s_delay_alu instid0(VALU_DEP_1) | instskip(NEXT) | instid1(VALU_DEP_2)
	v_add_co_u32 v16, vcc_lo, v22, v16
	v_add_co_ci_u32_e32 v17, vcc_lo, v23, v17, vcc_lo
	flat_load_b64 v[16:17], v[16:17]
	s_waitcnt vmcnt(0) lgkmcnt(0)
	v_mul_f64 v[16:17], v[16:17], s[10:11]
	s_branch .LBB161_282
.LBB161_281:
	v_mov_b32_e32 v16, 0
	v_mov_b32_e32 v17, 0
.LBB161_282:
	s_delay_alu instid0(VALU_DEP_1) | instskip(SKIP_2) | instid1(VALU_DEP_1)
	v_cvt_f32_f64_e32 v16, v[16:17]
	v_max_f32_e32 v17, v86, v86
	v_lshlrev_b64 v[24:25], 3, v[6:7]
	v_add_co_u32 v24, vcc_lo, v20, v24
	s_delay_alu instid0(VALU_DEP_2) | instskip(NEXT) | instid1(VALU_DEP_4)
	v_add_co_ci_u32_e32 v25, vcc_lo, v21, v25, vcc_lo
	v_min_f32_e32 v16, v16, v17
	s_delay_alu instid0(VALU_DEP_1) | instskip(SKIP_3) | instid1(SALU_CYCLE_1)
	v_cvt_f64_f32_e32 v[16:17], v16
	global_store_b64 v[24:25], v[16:17], off
	s_or_b32 exec_lo, exec_lo, s9
	s_and_b32 s16, s4, s8
	s_and_saveexec_b32 s9, s16
	s_cbranch_execz .LBB161_264
.LBB161_283:
	v_cmp_ne_u32_e32 vcc_lo, 1, v18
	s_cbranch_vccnz .LBB161_285
; %bb.284:
	v_lshlrev_b64 v[16:17], 3, v[8:9]
	s_delay_alu instid0(VALU_DEP_1) | instskip(NEXT) | instid1(VALU_DEP_2)
	v_add_co_u32 v16, vcc_lo, v22, v16
	v_add_co_ci_u32_e32 v17, vcc_lo, v23, v17, vcc_lo
	flat_load_b64 v[16:17], v[16:17]
	s_waitcnt vmcnt(0) lgkmcnt(0)
	v_mul_f64 v[16:17], v[16:17], s[10:11]
	s_branch .LBB161_286
.LBB161_285:
	v_mov_b32_e32 v16, 0
	v_mov_b32_e32 v17, 0
.LBB161_286:
	s_delay_alu instid0(VALU_DEP_1) | instskip(SKIP_2) | instid1(VALU_DEP_1)
	v_cvt_f32_f64_e32 v16, v[16:17]
	v_max_f32_e32 v17, v85, v85
	v_lshlrev_b64 v[24:25], 3, v[8:9]
	v_add_co_u32 v24, vcc_lo, v20, v24
	s_delay_alu instid0(VALU_DEP_2) | instskip(NEXT) | instid1(VALU_DEP_4)
	v_add_co_ci_u32_e32 v25, vcc_lo, v21, v25, vcc_lo
	v_min_f32_e32 v16, v16, v17
	s_delay_alu instid0(VALU_DEP_1) | instskip(SKIP_3) | instid1(SALU_CYCLE_1)
	v_cvt_f64_f32_e32 v[16:17], v16
	global_store_b64 v[24:25], v[16:17], off
	s_or_b32 exec_lo, exec_lo, s9
	s_and_b32 s16, s5, s8
	s_and_saveexec_b32 s9, s16
	s_cbranch_execz .LBB161_265
.LBB161_287:
	v_cmp_ne_u32_e32 vcc_lo, 1, v18
	s_cbranch_vccnz .LBB161_289
; %bb.288:
	v_lshlrev_b64 v[16:17], 3, v[10:11]
	s_delay_alu instid0(VALU_DEP_1) | instskip(NEXT) | instid1(VALU_DEP_2)
	v_add_co_u32 v16, vcc_lo, v22, v16
	v_add_co_ci_u32_e32 v17, vcc_lo, v23, v17, vcc_lo
	flat_load_b64 v[16:17], v[16:17]
	s_waitcnt vmcnt(0) lgkmcnt(0)
	v_mul_f64 v[16:17], v[16:17], s[10:11]
	s_branch .LBB161_290
.LBB161_289:
	v_mov_b32_e32 v16, 0
	v_mov_b32_e32 v17, 0
.LBB161_290:
	s_delay_alu instid0(VALU_DEP_1) | instskip(SKIP_2) | instid1(VALU_DEP_1)
	v_cvt_f32_f64_e32 v16, v[16:17]
	v_max_f32_e32 v17, v84, v84
	v_lshlrev_b64 v[24:25], 3, v[10:11]
	v_add_co_u32 v24, vcc_lo, v20, v24
	s_delay_alu instid0(VALU_DEP_2) | instskip(NEXT) | instid1(VALU_DEP_4)
	v_add_co_ci_u32_e32 v25, vcc_lo, v21, v25, vcc_lo
	v_min_f32_e32 v16, v16, v17
	s_delay_alu instid0(VALU_DEP_1) | instskip(SKIP_3) | instid1(SALU_CYCLE_1)
	v_cvt_f64_f32_e32 v[16:17], v16
	global_store_b64 v[24:25], v[16:17], off
	s_or_b32 exec_lo, exec_lo, s9
	s_and_b32 s16, s6, s8
	s_and_saveexec_b32 s9, s16
	s_cbranch_execz .LBB161_266
.LBB161_291:
	v_cmp_ne_u32_e32 vcc_lo, 1, v18
	s_cbranch_vccnz .LBB161_293
; %bb.292:
	v_lshlrev_b64 v[16:17], 3, v[12:13]
	s_delay_alu instid0(VALU_DEP_1) | instskip(NEXT) | instid1(VALU_DEP_2)
	v_add_co_u32 v16, vcc_lo, v22, v16
	v_add_co_ci_u32_e32 v17, vcc_lo, v23, v17, vcc_lo
	flat_load_b64 v[16:17], v[16:17]
	s_waitcnt vmcnt(0) lgkmcnt(0)
	v_mul_f64 v[16:17], v[16:17], s[10:11]
	s_branch .LBB161_294
.LBB161_293:
	v_mov_b32_e32 v16, 0
	v_mov_b32_e32 v17, 0
.LBB161_294:
	s_delay_alu instid0(VALU_DEP_1) | instskip(SKIP_2) | instid1(VALU_DEP_1)
	v_cvt_f32_f64_e32 v16, v[16:17]
	v_max_f32_e32 v17, v83, v83
	v_lshlrev_b64 v[24:25], 3, v[12:13]
	v_add_co_u32 v24, vcc_lo, v20, v24
	s_delay_alu instid0(VALU_DEP_2) | instskip(NEXT) | instid1(VALU_DEP_4)
	v_add_co_ci_u32_e32 v25, vcc_lo, v21, v25, vcc_lo
	v_min_f32_e32 v16, v16, v17
	s_delay_alu instid0(VALU_DEP_1) | instskip(SKIP_3) | instid1(SALU_CYCLE_1)
	v_cvt_f64_f32_e32 v[16:17], v16
	global_store_b64 v[24:25], v[16:17], off
	s_or_b32 exec_lo, exec_lo, s9
	s_and_b32 s9, s7, s8
	s_and_saveexec_b32 s8, s9
	s_cbranch_execz .LBB161_299
.LBB161_295:
	v_cmp_ne_u32_e32 vcc_lo, 1, v18
	s_cbranch_vccnz .LBB161_297
; %bb.296:
	v_lshlrev_b64 v[16:17], 3, v[14:15]
	s_delay_alu instid0(VALU_DEP_1) | instskip(NEXT) | instid1(VALU_DEP_2)
	v_add_co_u32 v16, vcc_lo, v22, v16
	v_add_co_ci_u32_e32 v17, vcc_lo, v23, v17, vcc_lo
	flat_load_b64 v[16:17], v[16:17]
	s_waitcnt vmcnt(0) lgkmcnt(0)
	v_mul_f64 v[16:17], v[16:17], s[10:11]
	s_branch .LBB161_298
.LBB161_297:
	v_mov_b32_e32 v16, 0
	v_mov_b32_e32 v17, 0
.LBB161_298:
	s_delay_alu instid0(VALU_DEP_1) | instskip(SKIP_2) | instid1(VALU_DEP_1)
	v_cvt_f32_f64_e32 v16, v[16:17]
	v_max_f32_e32 v17, v82, v82
	v_lshlrev_b64 v[22:23], 3, v[14:15]
	v_add_co_u32 v20, vcc_lo, v20, v22
	s_delay_alu instid0(VALU_DEP_2) | instskip(NEXT) | instid1(VALU_DEP_4)
	v_add_co_ci_u32_e32 v21, vcc_lo, v21, v23, vcc_lo
	v_min_f32_e32 v16, v16, v17
	s_delay_alu instid0(VALU_DEP_1)
	v_cvt_f64_f32_e32 v[16:17], v16
	global_store_b64 v[20:21], v[16:17], off
.LBB161_299:
	s_or_b32 exec_lo, exec_lo, s8
	v_add_nc_u32_e32 v22, 48, v19
	s_delay_alu instid0(VALU_DEP_1) | instskip(SKIP_2) | instid1(VALU_DEP_3)
	v_mad_i64_i32 v[16:17], null, v22, s19, 0
	v_mad_i64_i32 v[20:21], null, v22, s18, 0
	v_cmp_gt_i32_e64 s8, s17, v22
	v_lshlrev_b64 v[16:17], 3, v[16:17]
	s_delay_alu instid0(VALU_DEP_2) | instskip(NEXT) | instid1(VALU_DEP_3)
	s_and_b32 s16, s0, s8
	v_lshlrev_b64 v[20:21], 3, v[20:21]
	s_delay_alu instid0(VALU_DEP_2) | instskip(NEXT) | instid1(VALU_DEP_3)
	v_add_co_u32 v22, vcc_lo, s12, v16
	v_add_co_ci_u32_e32 v23, vcc_lo, s13, v17, vcc_lo
	s_delay_alu instid0(VALU_DEP_3) | instskip(NEXT) | instid1(VALU_DEP_4)
	v_add_co_u32 v20, vcc_lo, s14, v20
	v_add_co_ci_u32_e32 v21, vcc_lo, s15, v21, vcc_lo
	s_and_saveexec_b32 s9, s16
	s_cbranch_execnz .LBB161_307
; %bb.300:
	s_or_b32 exec_lo, exec_lo, s9
	s_and_b32 s16, s1, s8
	s_delay_alu instid0(SALU_CYCLE_1)
	s_and_saveexec_b32 s9, s16
	s_cbranch_execnz .LBB161_311
.LBB161_301:
	s_or_b32 exec_lo, exec_lo, s9
	s_and_b32 s16, s2, s8
	s_delay_alu instid0(SALU_CYCLE_1)
	s_and_saveexec_b32 s9, s16
	s_cbranch_execnz .LBB161_315
.LBB161_302:
	s_or_b32 exec_lo, exec_lo, s9
	s_and_b32 s16, s3, s8
	s_delay_alu instid0(SALU_CYCLE_1)
	s_and_saveexec_b32 s9, s16
	s_cbranch_execnz .LBB161_319
.LBB161_303:
	s_or_b32 exec_lo, exec_lo, s9
	s_and_b32 s16, s4, s8
	s_delay_alu instid0(SALU_CYCLE_1)
	s_and_saveexec_b32 s9, s16
	s_cbranch_execnz .LBB161_323
.LBB161_304:
	s_or_b32 exec_lo, exec_lo, s9
	s_and_b32 s16, s5, s8
	s_delay_alu instid0(SALU_CYCLE_1)
	s_and_saveexec_b32 s9, s16
	s_cbranch_execnz .LBB161_327
.LBB161_305:
	s_or_b32 exec_lo, exec_lo, s9
	s_and_b32 s16, s6, s8
	s_delay_alu instid0(SALU_CYCLE_1)
	s_and_saveexec_b32 s9, s16
	s_cbranch_execnz .LBB161_331
.LBB161_306:
	s_or_b32 exec_lo, exec_lo, s9
	s_and_b32 s9, s7, s8
	s_delay_alu instid0(SALU_CYCLE_1)
	s_and_saveexec_b32 s8, s9
	s_cbranch_execnz .LBB161_335
	s_branch .LBB161_339
.LBB161_307:
	v_cmp_ne_u32_e32 vcc_lo, 1, v18
	s_cbranch_vccnz .LBB161_309
; %bb.308:
	v_lshlrev_b64 v[16:17], 3, v[0:1]
	s_delay_alu instid0(VALU_DEP_1) | instskip(NEXT) | instid1(VALU_DEP_2)
	v_add_co_u32 v16, vcc_lo, v22, v16
	v_add_co_ci_u32_e32 v17, vcc_lo, v23, v17, vcc_lo
	flat_load_b64 v[16:17], v[16:17]
	s_waitcnt vmcnt(0) lgkmcnt(0)
	v_mul_f64 v[16:17], v[16:17], s[10:11]
	s_branch .LBB161_310
.LBB161_309:
	v_mov_b32_e32 v16, 0
	v_mov_b32_e32 v17, 0
.LBB161_310:
	s_delay_alu instid0(VALU_DEP_1) | instskip(SKIP_2) | instid1(VALU_DEP_1)
	v_cvt_f32_f64_e32 v16, v[16:17]
	v_max_f32_e32 v17, v81, v81
	v_lshlrev_b64 v[24:25], 3, v[0:1]
	v_add_co_u32 v24, vcc_lo, v20, v24
	s_delay_alu instid0(VALU_DEP_2) | instskip(NEXT) | instid1(VALU_DEP_4)
	v_add_co_ci_u32_e32 v25, vcc_lo, v21, v25, vcc_lo
	v_min_f32_e32 v16, v16, v17
	s_delay_alu instid0(VALU_DEP_1) | instskip(SKIP_3) | instid1(SALU_CYCLE_1)
	v_cvt_f64_f32_e32 v[16:17], v16
	global_store_b64 v[24:25], v[16:17], off
	s_or_b32 exec_lo, exec_lo, s9
	s_and_b32 s16, s1, s8
	s_and_saveexec_b32 s9, s16
	s_cbranch_execz .LBB161_301
.LBB161_311:
	v_cmp_ne_u32_e32 vcc_lo, 1, v18
	s_cbranch_vccnz .LBB161_313
; %bb.312:
	v_lshlrev_b64 v[16:17], 3, v[2:3]
	s_delay_alu instid0(VALU_DEP_1) | instskip(NEXT) | instid1(VALU_DEP_2)
	v_add_co_u32 v16, vcc_lo, v22, v16
	v_add_co_ci_u32_e32 v17, vcc_lo, v23, v17, vcc_lo
	flat_load_b64 v[16:17], v[16:17]
	s_waitcnt vmcnt(0) lgkmcnt(0)
	v_mul_f64 v[16:17], v[16:17], s[10:11]
	s_branch .LBB161_314
.LBB161_313:
	v_mov_b32_e32 v16, 0
	v_mov_b32_e32 v17, 0
.LBB161_314:
	s_delay_alu instid0(VALU_DEP_1) | instskip(SKIP_2) | instid1(VALU_DEP_1)
	v_cvt_f32_f64_e32 v16, v[16:17]
	v_max_f32_e32 v17, v80, v80
	v_lshlrev_b64 v[24:25], 3, v[2:3]
	v_add_co_u32 v24, vcc_lo, v20, v24
	s_delay_alu instid0(VALU_DEP_2) | instskip(NEXT) | instid1(VALU_DEP_4)
	v_add_co_ci_u32_e32 v25, vcc_lo, v21, v25, vcc_lo
	v_min_f32_e32 v16, v16, v17
	s_delay_alu instid0(VALU_DEP_1) | instskip(SKIP_3) | instid1(SALU_CYCLE_1)
	v_cvt_f64_f32_e32 v[16:17], v16
	global_store_b64 v[24:25], v[16:17], off
	s_or_b32 exec_lo, exec_lo, s9
	s_and_b32 s16, s2, s8
	s_and_saveexec_b32 s9, s16
	s_cbranch_execz .LBB161_302
.LBB161_315:
	v_cmp_ne_u32_e32 vcc_lo, 1, v18
	s_cbranch_vccnz .LBB161_317
; %bb.316:
	v_lshlrev_b64 v[16:17], 3, v[4:5]
	s_delay_alu instid0(VALU_DEP_1) | instskip(NEXT) | instid1(VALU_DEP_2)
	v_add_co_u32 v16, vcc_lo, v22, v16
	v_add_co_ci_u32_e32 v17, vcc_lo, v23, v17, vcc_lo
	flat_load_b64 v[16:17], v[16:17]
	s_waitcnt vmcnt(0) lgkmcnt(0)
	v_mul_f64 v[16:17], v[16:17], s[10:11]
	s_branch .LBB161_318
.LBB161_317:
	v_mov_b32_e32 v16, 0
	v_mov_b32_e32 v17, 0
.LBB161_318:
	s_delay_alu instid0(VALU_DEP_1) | instskip(SKIP_2) | instid1(VALU_DEP_1)
	v_cvt_f32_f64_e32 v16, v[16:17]
	v_max_f32_e32 v17, v79, v79
	v_lshlrev_b64 v[24:25], 3, v[4:5]
	v_add_co_u32 v24, vcc_lo, v20, v24
	s_delay_alu instid0(VALU_DEP_2) | instskip(NEXT) | instid1(VALU_DEP_4)
	v_add_co_ci_u32_e32 v25, vcc_lo, v21, v25, vcc_lo
	v_min_f32_e32 v16, v16, v17
	s_delay_alu instid0(VALU_DEP_1) | instskip(SKIP_3) | instid1(SALU_CYCLE_1)
	v_cvt_f64_f32_e32 v[16:17], v16
	global_store_b64 v[24:25], v[16:17], off
	s_or_b32 exec_lo, exec_lo, s9
	s_and_b32 s16, s3, s8
	s_and_saveexec_b32 s9, s16
	s_cbranch_execz .LBB161_303
.LBB161_319:
	v_cmp_ne_u32_e32 vcc_lo, 1, v18
	s_cbranch_vccnz .LBB161_321
; %bb.320:
	v_lshlrev_b64 v[16:17], 3, v[6:7]
	s_delay_alu instid0(VALU_DEP_1) | instskip(NEXT) | instid1(VALU_DEP_2)
	v_add_co_u32 v16, vcc_lo, v22, v16
	v_add_co_ci_u32_e32 v17, vcc_lo, v23, v17, vcc_lo
	flat_load_b64 v[16:17], v[16:17]
	s_waitcnt vmcnt(0) lgkmcnt(0)
	v_mul_f64 v[16:17], v[16:17], s[10:11]
	s_branch .LBB161_322
.LBB161_321:
	v_mov_b32_e32 v16, 0
	v_mov_b32_e32 v17, 0
.LBB161_322:
	s_delay_alu instid0(VALU_DEP_1) | instskip(SKIP_2) | instid1(VALU_DEP_1)
	v_cvt_f32_f64_e32 v16, v[16:17]
	v_max_f32_e32 v17, v78, v78
	v_lshlrev_b64 v[24:25], 3, v[6:7]
	v_add_co_u32 v24, vcc_lo, v20, v24
	s_delay_alu instid0(VALU_DEP_2) | instskip(NEXT) | instid1(VALU_DEP_4)
	v_add_co_ci_u32_e32 v25, vcc_lo, v21, v25, vcc_lo
	v_min_f32_e32 v16, v16, v17
	s_delay_alu instid0(VALU_DEP_1) | instskip(SKIP_3) | instid1(SALU_CYCLE_1)
	v_cvt_f64_f32_e32 v[16:17], v16
	global_store_b64 v[24:25], v[16:17], off
	s_or_b32 exec_lo, exec_lo, s9
	s_and_b32 s16, s4, s8
	s_and_saveexec_b32 s9, s16
	s_cbranch_execz .LBB161_304
.LBB161_323:
	v_cmp_ne_u32_e32 vcc_lo, 1, v18
	s_cbranch_vccnz .LBB161_325
; %bb.324:
	v_lshlrev_b64 v[16:17], 3, v[8:9]
	s_delay_alu instid0(VALU_DEP_1) | instskip(NEXT) | instid1(VALU_DEP_2)
	v_add_co_u32 v16, vcc_lo, v22, v16
	v_add_co_ci_u32_e32 v17, vcc_lo, v23, v17, vcc_lo
	flat_load_b64 v[16:17], v[16:17]
	s_waitcnt vmcnt(0) lgkmcnt(0)
	v_mul_f64 v[16:17], v[16:17], s[10:11]
	s_branch .LBB161_326
.LBB161_325:
	v_mov_b32_e32 v16, 0
	v_mov_b32_e32 v17, 0
.LBB161_326:
	s_delay_alu instid0(VALU_DEP_1) | instskip(SKIP_2) | instid1(VALU_DEP_1)
	v_cvt_f32_f64_e32 v16, v[16:17]
	v_max_f32_e32 v17, v77, v77
	v_lshlrev_b64 v[24:25], 3, v[8:9]
	v_add_co_u32 v24, vcc_lo, v20, v24
	s_delay_alu instid0(VALU_DEP_2) | instskip(NEXT) | instid1(VALU_DEP_4)
	v_add_co_ci_u32_e32 v25, vcc_lo, v21, v25, vcc_lo
	v_min_f32_e32 v16, v16, v17
	s_delay_alu instid0(VALU_DEP_1) | instskip(SKIP_3) | instid1(SALU_CYCLE_1)
	v_cvt_f64_f32_e32 v[16:17], v16
	global_store_b64 v[24:25], v[16:17], off
	s_or_b32 exec_lo, exec_lo, s9
	s_and_b32 s16, s5, s8
	s_and_saveexec_b32 s9, s16
	s_cbranch_execz .LBB161_305
.LBB161_327:
	v_cmp_ne_u32_e32 vcc_lo, 1, v18
	s_cbranch_vccnz .LBB161_329
; %bb.328:
	v_lshlrev_b64 v[16:17], 3, v[10:11]
	s_delay_alu instid0(VALU_DEP_1) | instskip(NEXT) | instid1(VALU_DEP_2)
	v_add_co_u32 v16, vcc_lo, v22, v16
	v_add_co_ci_u32_e32 v17, vcc_lo, v23, v17, vcc_lo
	flat_load_b64 v[16:17], v[16:17]
	s_waitcnt vmcnt(0) lgkmcnt(0)
	v_mul_f64 v[16:17], v[16:17], s[10:11]
	s_branch .LBB161_330
.LBB161_329:
	v_mov_b32_e32 v16, 0
	v_mov_b32_e32 v17, 0
.LBB161_330:
	s_delay_alu instid0(VALU_DEP_1) | instskip(SKIP_2) | instid1(VALU_DEP_1)
	v_cvt_f32_f64_e32 v16, v[16:17]
	v_max_f32_e32 v17, v76, v76
	v_lshlrev_b64 v[24:25], 3, v[10:11]
	v_add_co_u32 v24, vcc_lo, v20, v24
	s_delay_alu instid0(VALU_DEP_2) | instskip(NEXT) | instid1(VALU_DEP_4)
	v_add_co_ci_u32_e32 v25, vcc_lo, v21, v25, vcc_lo
	v_min_f32_e32 v16, v16, v17
	s_delay_alu instid0(VALU_DEP_1) | instskip(SKIP_3) | instid1(SALU_CYCLE_1)
	v_cvt_f64_f32_e32 v[16:17], v16
	global_store_b64 v[24:25], v[16:17], off
	s_or_b32 exec_lo, exec_lo, s9
	s_and_b32 s16, s6, s8
	s_and_saveexec_b32 s9, s16
	s_cbranch_execz .LBB161_306
.LBB161_331:
	v_cmp_ne_u32_e32 vcc_lo, 1, v18
	s_cbranch_vccnz .LBB161_333
; %bb.332:
	v_lshlrev_b64 v[16:17], 3, v[12:13]
	s_delay_alu instid0(VALU_DEP_1) | instskip(NEXT) | instid1(VALU_DEP_2)
	v_add_co_u32 v16, vcc_lo, v22, v16
	v_add_co_ci_u32_e32 v17, vcc_lo, v23, v17, vcc_lo
	flat_load_b64 v[16:17], v[16:17]
	s_waitcnt vmcnt(0) lgkmcnt(0)
	v_mul_f64 v[16:17], v[16:17], s[10:11]
	s_branch .LBB161_334
.LBB161_333:
	v_mov_b32_e32 v16, 0
	v_mov_b32_e32 v17, 0
.LBB161_334:
	s_delay_alu instid0(VALU_DEP_1) | instskip(SKIP_2) | instid1(VALU_DEP_1)
	v_cvt_f32_f64_e32 v16, v[16:17]
	v_max_f32_e32 v17, v75, v75
	v_lshlrev_b64 v[24:25], 3, v[12:13]
	v_add_co_u32 v24, vcc_lo, v20, v24
	s_delay_alu instid0(VALU_DEP_2) | instskip(NEXT) | instid1(VALU_DEP_4)
	v_add_co_ci_u32_e32 v25, vcc_lo, v21, v25, vcc_lo
	v_min_f32_e32 v16, v16, v17
	s_delay_alu instid0(VALU_DEP_1) | instskip(SKIP_3) | instid1(SALU_CYCLE_1)
	v_cvt_f64_f32_e32 v[16:17], v16
	global_store_b64 v[24:25], v[16:17], off
	s_or_b32 exec_lo, exec_lo, s9
	s_and_b32 s9, s7, s8
	s_and_saveexec_b32 s8, s9
	s_cbranch_execz .LBB161_339
.LBB161_335:
	v_cmp_ne_u32_e32 vcc_lo, 1, v18
	s_cbranch_vccnz .LBB161_337
; %bb.336:
	v_lshlrev_b64 v[16:17], 3, v[14:15]
	s_delay_alu instid0(VALU_DEP_1) | instskip(NEXT) | instid1(VALU_DEP_2)
	v_add_co_u32 v16, vcc_lo, v22, v16
	v_add_co_ci_u32_e32 v17, vcc_lo, v23, v17, vcc_lo
	flat_load_b64 v[16:17], v[16:17]
	s_waitcnt vmcnt(0) lgkmcnt(0)
	v_mul_f64 v[16:17], v[16:17], s[10:11]
	s_branch .LBB161_338
.LBB161_337:
	v_mov_b32_e32 v16, 0
	v_mov_b32_e32 v17, 0
.LBB161_338:
	s_delay_alu instid0(VALU_DEP_1) | instskip(SKIP_2) | instid1(VALU_DEP_1)
	v_cvt_f32_f64_e32 v16, v[16:17]
	v_max_f32_e32 v17, v74, v74
	v_lshlrev_b64 v[22:23], 3, v[14:15]
	v_add_co_u32 v20, vcc_lo, v20, v22
	s_delay_alu instid0(VALU_DEP_2) | instskip(NEXT) | instid1(VALU_DEP_4)
	v_add_co_ci_u32_e32 v21, vcc_lo, v21, v23, vcc_lo
	v_min_f32_e32 v16, v16, v17
	s_delay_alu instid0(VALU_DEP_1)
	v_cvt_f64_f32_e32 v[16:17], v16
	global_store_b64 v[20:21], v[16:17], off
.LBB161_339:
	s_or_b32 exec_lo, exec_lo, s8
	v_add_nc_u32_e32 v21, 56, v19
	s_delay_alu instid0(VALU_DEP_1) | instskip(SKIP_2) | instid1(VALU_DEP_3)
	v_mad_i64_i32 v[16:17], null, v21, s19, 0
	v_mad_i64_i32 v[19:20], null, v21, s18, 0
	v_cmp_gt_i32_e64 s8, s17, v21
	v_lshlrev_b64 v[16:17], 3, v[16:17]
	s_delay_alu instid0(VALU_DEP_2) | instskip(NEXT) | instid1(VALU_DEP_3)
	s_and_b32 s9, s0, s8
	v_lshlrev_b64 v[21:22], 3, v[19:20]
	s_delay_alu instid0(VALU_DEP_2) | instskip(NEXT) | instid1(VALU_DEP_3)
	v_add_co_u32 v19, vcc_lo, s12, v16
	v_add_co_ci_u32_e32 v20, vcc_lo, s13, v17, vcc_lo
	s_delay_alu instid0(VALU_DEP_3) | instskip(NEXT) | instid1(VALU_DEP_4)
	v_add_co_u32 v16, vcc_lo, s14, v21
	v_add_co_ci_u32_e32 v17, vcc_lo, s15, v22, vcc_lo
	s_and_saveexec_b32 s0, s9
	s_cbranch_execnz .LBB161_348
; %bb.340:
	s_or_b32 exec_lo, exec_lo, s0
	s_and_b32 s1, s1, s8
	s_delay_alu instid0(SALU_CYCLE_1)
	s_and_saveexec_b32 s0, s1
	s_cbranch_execnz .LBB161_352
.LBB161_341:
	s_or_b32 exec_lo, exec_lo, s0
	s_and_b32 s1, s2, s8
	s_delay_alu instid0(SALU_CYCLE_1)
	s_and_saveexec_b32 s0, s1
	s_cbranch_execnz .LBB161_356
.LBB161_342:
	s_or_b32 exec_lo, exec_lo, s0
	s_and_b32 s1, s3, s8
	s_delay_alu instid0(SALU_CYCLE_1)
	s_and_saveexec_b32 s0, s1
	s_cbranch_execnz .LBB161_360
.LBB161_343:
	s_or_b32 exec_lo, exec_lo, s0
	s_and_b32 s1, s4, s8
	s_delay_alu instid0(SALU_CYCLE_1)
	s_and_saveexec_b32 s0, s1
	s_cbranch_execnz .LBB161_364
.LBB161_344:
	s_or_b32 exec_lo, exec_lo, s0
	s_and_b32 s1, s5, s8
	s_delay_alu instid0(SALU_CYCLE_1)
	s_and_saveexec_b32 s0, s1
	s_cbranch_execnz .LBB161_368
.LBB161_345:
	s_or_b32 exec_lo, exec_lo, s0
	s_and_b32 s1, s6, s8
	s_delay_alu instid0(SALU_CYCLE_1)
	s_and_saveexec_b32 s0, s1
	s_cbranch_execnz .LBB161_372
.LBB161_346:
	s_or_b32 exec_lo, exec_lo, s0
	s_and_b32 s0, s7, s8
	s_delay_alu instid0(SALU_CYCLE_1)
	s_and_saveexec_b32 s1, s0
	s_cbranch_execnz .LBB161_376
.LBB161_347:
	s_nop 0
	s_sendmsg sendmsg(MSG_DEALLOC_VGPRS)
	s_endpgm
.LBB161_348:
	v_cmp_ne_u32_e32 vcc_lo, 1, v18
	v_lshlrev_b64 v[0:1], 3, v[0:1]
	s_cbranch_vccnz .LBB161_350
; %bb.349:
	s_delay_alu instid0(VALU_DEP_1) | instskip(NEXT) | instid1(VALU_DEP_2)
	v_add_co_u32 v21, vcc_lo, v19, v0
	v_add_co_ci_u32_e32 v22, vcc_lo, v20, v1, vcc_lo
	flat_load_b64 v[21:22], v[21:22]
	s_waitcnt vmcnt(0) lgkmcnt(0)
	v_mul_f64 v[21:22], v[21:22], s[10:11]
	s_delay_alu instid0(VALU_DEP_1)
	v_cvt_f32_f64_e32 v21, v[21:22]
	s_branch .LBB161_351
.LBB161_350:
	v_mov_b32_e32 v21, 0
.LBB161_351:
	v_max_f32_e32 v22, v73, v73
	s_delay_alu instid0(VALU_DEP_2) | instskip(NEXT) | instid1(VALU_DEP_4)
	v_max_f32_e32 v21, v21, v21
	v_add_co_u32 v0, vcc_lo, v16, v0
	v_add_co_ci_u32_e32 v1, vcc_lo, v17, v1, vcc_lo
	s_delay_alu instid0(VALU_DEP_3) | instskip(NEXT) | instid1(VALU_DEP_1)
	v_min_f32_e32 v21, v21, v22
	v_cvt_f64_f32_e32 v[21:22], v21
	global_store_b64 v[0:1], v[21:22], off
	s_or_b32 exec_lo, exec_lo, s0
	s_and_b32 s1, s1, s8
	s_delay_alu instid0(SALU_CYCLE_1)
	s_and_saveexec_b32 s0, s1
	s_cbranch_execz .LBB161_341
.LBB161_352:
	v_cmp_ne_u32_e32 vcc_lo, 1, v18
	v_lshlrev_b64 v[0:1], 3, v[2:3]
	s_cbranch_vccnz .LBB161_354
; %bb.353:
	s_delay_alu instid0(VALU_DEP_1) | instskip(NEXT) | instid1(VALU_DEP_2)
	v_add_co_u32 v2, vcc_lo, v19, v0
	v_add_co_ci_u32_e32 v3, vcc_lo, v20, v1, vcc_lo
	flat_load_b64 v[2:3], v[2:3]
	s_waitcnt vmcnt(0) lgkmcnt(0)
	v_mul_f64 v[2:3], v[2:3], s[10:11]
	s_delay_alu instid0(VALU_DEP_1)
	v_cvt_f32_f64_e32 v2, v[2:3]
	s_branch .LBB161_355
.LBB161_354:
	v_mov_b32_e32 v2, 0
.LBB161_355:
	s_delay_alu instid0(VALU_DEP_1) | instskip(NEXT) | instid1(VALU_DEP_3)
	v_dual_max_f32 v3, v72, v72 :: v_dual_max_f32 v2, v2, v2
	v_add_co_u32 v0, vcc_lo, v16, v0
	s_delay_alu instid0(VALU_DEP_4) | instskip(NEXT) | instid1(VALU_DEP_3)
	v_add_co_ci_u32_e32 v1, vcc_lo, v17, v1, vcc_lo
	v_min_f32_e32 v2, v2, v3
	s_delay_alu instid0(VALU_DEP_1) | instskip(SKIP_3) | instid1(SALU_CYCLE_1)
	v_cvt_f64_f32_e32 v[2:3], v2
	global_store_b64 v[0:1], v[2:3], off
	s_or_b32 exec_lo, exec_lo, s0
	s_and_b32 s1, s2, s8
	s_and_saveexec_b32 s0, s1
	s_cbranch_execz .LBB161_342
.LBB161_356:
	v_cmp_ne_u32_e32 vcc_lo, 1, v18
	v_lshlrev_b64 v[0:1], 3, v[4:5]
	s_cbranch_vccnz .LBB161_358
; %bb.357:
	s_delay_alu instid0(VALU_DEP_1) | instskip(NEXT) | instid1(VALU_DEP_2)
	v_add_co_u32 v2, vcc_lo, v19, v0
	v_add_co_ci_u32_e32 v3, vcc_lo, v20, v1, vcc_lo
	flat_load_b64 v[2:3], v[2:3]
	s_waitcnt vmcnt(0) lgkmcnt(0)
	v_mul_f64 v[2:3], v[2:3], s[10:11]
	s_delay_alu instid0(VALU_DEP_1)
	v_cvt_f32_f64_e32 v2, v[2:3]
	s_branch .LBB161_359
.LBB161_358:
	v_mov_b32_e32 v2, 0
.LBB161_359:
	s_delay_alu instid0(VALU_DEP_1) | instskip(NEXT) | instid1(VALU_DEP_3)
	v_dual_max_f32 v3, v71, v71 :: v_dual_max_f32 v2, v2, v2
	v_add_co_u32 v0, vcc_lo, v16, v0
	s_delay_alu instid0(VALU_DEP_4) | instskip(NEXT) | instid1(VALU_DEP_3)
	v_add_co_ci_u32_e32 v1, vcc_lo, v17, v1, vcc_lo
	v_min_f32_e32 v2, v2, v3
	s_delay_alu instid0(VALU_DEP_1) | instskip(SKIP_3) | instid1(SALU_CYCLE_1)
	v_cvt_f64_f32_e32 v[2:3], v2
	global_store_b64 v[0:1], v[2:3], off
	s_or_b32 exec_lo, exec_lo, s0
	s_and_b32 s1, s3, s8
	s_and_saveexec_b32 s0, s1
	s_cbranch_execz .LBB161_343
.LBB161_360:
	v_cmp_ne_u32_e32 vcc_lo, 1, v18
	v_lshlrev_b64 v[0:1], 3, v[6:7]
	s_cbranch_vccnz .LBB161_362
; %bb.361:
	s_delay_alu instid0(VALU_DEP_1) | instskip(NEXT) | instid1(VALU_DEP_2)
	v_add_co_u32 v2, vcc_lo, v19, v0
	v_add_co_ci_u32_e32 v3, vcc_lo, v20, v1, vcc_lo
	flat_load_b64 v[2:3], v[2:3]
	s_waitcnt vmcnt(0) lgkmcnt(0)
	v_mul_f64 v[2:3], v[2:3], s[10:11]
	s_delay_alu instid0(VALU_DEP_1)
	v_cvt_f32_f64_e32 v2, v[2:3]
	s_branch .LBB161_363
.LBB161_362:
	v_mov_b32_e32 v2, 0
.LBB161_363:
	v_max_f32_e32 v3, v70, v70
	s_delay_alu instid0(VALU_DEP_2) | instskip(NEXT) | instid1(VALU_DEP_4)
	v_max_f32_e32 v2, v2, v2
	v_add_co_u32 v0, vcc_lo, v16, v0
	v_add_co_ci_u32_e32 v1, vcc_lo, v17, v1, vcc_lo
	s_delay_alu instid0(VALU_DEP_3) | instskip(NEXT) | instid1(VALU_DEP_1)
	v_min_f32_e32 v2, v2, v3
	v_cvt_f64_f32_e32 v[2:3], v2
	global_store_b64 v[0:1], v[2:3], off
	s_or_b32 exec_lo, exec_lo, s0
	s_and_b32 s1, s4, s8
	s_delay_alu instid0(SALU_CYCLE_1)
	s_and_saveexec_b32 s0, s1
	s_cbranch_execz .LBB161_344
.LBB161_364:
	v_cmp_ne_u32_e32 vcc_lo, 1, v18
	v_lshlrev_b64 v[0:1], 3, v[8:9]
	s_cbranch_vccnz .LBB161_366
; %bb.365:
	s_delay_alu instid0(VALU_DEP_1) | instskip(NEXT) | instid1(VALU_DEP_2)
	v_add_co_u32 v2, vcc_lo, v19, v0
	v_add_co_ci_u32_e32 v3, vcc_lo, v20, v1, vcc_lo
	flat_load_b64 v[2:3], v[2:3]
	s_waitcnt vmcnt(0) lgkmcnt(0)
	v_mul_f64 v[2:3], v[2:3], s[10:11]
	s_delay_alu instid0(VALU_DEP_1)
	v_cvt_f32_f64_e32 v2, v[2:3]
	s_branch .LBB161_367
.LBB161_366:
	v_mov_b32_e32 v2, 0
.LBB161_367:
	s_delay_alu instid0(VALU_DEP_1) | instskip(NEXT) | instid1(VALU_DEP_3)
	v_dual_max_f32 v3, v69, v69 :: v_dual_max_f32 v2, v2, v2
	v_add_co_u32 v0, vcc_lo, v16, v0
	s_delay_alu instid0(VALU_DEP_4) | instskip(NEXT) | instid1(VALU_DEP_3)
	v_add_co_ci_u32_e32 v1, vcc_lo, v17, v1, vcc_lo
	v_min_f32_e32 v2, v2, v3
	s_delay_alu instid0(VALU_DEP_1) | instskip(SKIP_3) | instid1(SALU_CYCLE_1)
	v_cvt_f64_f32_e32 v[2:3], v2
	global_store_b64 v[0:1], v[2:3], off
	s_or_b32 exec_lo, exec_lo, s0
	s_and_b32 s1, s5, s8
	s_and_saveexec_b32 s0, s1
	s_cbranch_execz .LBB161_345
.LBB161_368:
	v_cmp_ne_u32_e32 vcc_lo, 1, v18
	v_lshlrev_b64 v[0:1], 3, v[10:11]
	s_cbranch_vccnz .LBB161_370
; %bb.369:
	s_delay_alu instid0(VALU_DEP_1) | instskip(NEXT) | instid1(VALU_DEP_2)
	v_add_co_u32 v2, vcc_lo, v19, v0
	v_add_co_ci_u32_e32 v3, vcc_lo, v20, v1, vcc_lo
	flat_load_b64 v[2:3], v[2:3]
	s_waitcnt vmcnt(0) lgkmcnt(0)
	v_mul_f64 v[2:3], v[2:3], s[10:11]
	s_delay_alu instid0(VALU_DEP_1)
	v_cvt_f32_f64_e32 v2, v[2:3]
	s_branch .LBB161_371
.LBB161_370:
	v_mov_b32_e32 v2, 0
.LBB161_371:
	s_delay_alu instid0(VALU_DEP_1) | instskip(NEXT) | instid1(VALU_DEP_3)
	v_dual_max_f32 v3, v68, v68 :: v_dual_max_f32 v2, v2, v2
	v_add_co_u32 v0, vcc_lo, v16, v0
	s_delay_alu instid0(VALU_DEP_4) | instskip(NEXT) | instid1(VALU_DEP_3)
	v_add_co_ci_u32_e32 v1, vcc_lo, v17, v1, vcc_lo
	v_min_f32_e32 v2, v2, v3
	s_delay_alu instid0(VALU_DEP_1) | instskip(SKIP_3) | instid1(SALU_CYCLE_1)
	v_cvt_f64_f32_e32 v[2:3], v2
	global_store_b64 v[0:1], v[2:3], off
	s_or_b32 exec_lo, exec_lo, s0
	s_and_b32 s1, s6, s8
	s_and_saveexec_b32 s0, s1
	s_cbranch_execz .LBB161_346
.LBB161_372:
	v_cmp_ne_u32_e32 vcc_lo, 1, v18
	v_lshlrev_b64 v[0:1], 3, v[12:13]
	s_cbranch_vccnz .LBB161_374
; %bb.373:
	s_delay_alu instid0(VALU_DEP_1) | instskip(NEXT) | instid1(VALU_DEP_2)
	v_add_co_u32 v2, vcc_lo, v19, v0
	v_add_co_ci_u32_e32 v3, vcc_lo, v20, v1, vcc_lo
	flat_load_b64 v[2:3], v[2:3]
	s_waitcnt vmcnt(0) lgkmcnt(0)
	v_mul_f64 v[2:3], v[2:3], s[10:11]
	s_delay_alu instid0(VALU_DEP_1)
	v_cvt_f32_f64_e32 v2, v[2:3]
	s_branch .LBB161_375
.LBB161_374:
	v_mov_b32_e32 v2, 0
.LBB161_375:
	s_delay_alu instid0(VALU_DEP_1) | instskip(NEXT) | instid1(VALU_DEP_3)
	v_dual_max_f32 v3, v67, v67 :: v_dual_max_f32 v2, v2, v2
	v_add_co_u32 v0, vcc_lo, v16, v0
	s_delay_alu instid0(VALU_DEP_4) | instskip(NEXT) | instid1(VALU_DEP_3)
	v_add_co_ci_u32_e32 v1, vcc_lo, v17, v1, vcc_lo
	v_min_f32_e32 v2, v2, v3
	s_delay_alu instid0(VALU_DEP_1) | instskip(SKIP_3) | instid1(SALU_CYCLE_1)
	v_cvt_f64_f32_e32 v[2:3], v2
	global_store_b64 v[0:1], v[2:3], off
	s_or_b32 exec_lo, exec_lo, s0
	s_and_b32 s0, s7, s8
	s_and_saveexec_b32 s1, s0
	s_cbranch_execz .LBB161_347
.LBB161_376:
	v_cmp_ne_u32_e32 vcc_lo, 1, v18
	v_lshlrev_b64 v[0:1], 3, v[14:15]
	s_cbranch_vccnz .LBB161_378
; %bb.377:
	s_delay_alu instid0(VALU_DEP_1) | instskip(NEXT) | instid1(VALU_DEP_2)
	v_add_co_u32 v2, vcc_lo, v19, v0
	v_add_co_ci_u32_e32 v3, vcc_lo, v20, v1, vcc_lo
	flat_load_b64 v[2:3], v[2:3]
	s_waitcnt vmcnt(0) lgkmcnt(0)
	v_mul_f64 v[2:3], v[2:3], s[10:11]
	s_delay_alu instid0(VALU_DEP_1)
	v_cvt_f32_f64_e32 v2, v[2:3]
	s_branch .LBB161_379
.LBB161_378:
	v_mov_b32_e32 v2, 0
.LBB161_379:
	v_max_f32_e32 v3, v66, v66
	s_delay_alu instid0(VALU_DEP_2) | instskip(NEXT) | instid1(VALU_DEP_4)
	v_max_f32_e32 v2, v2, v2
	v_add_co_u32 v0, vcc_lo, v16, v0
	v_add_co_ci_u32_e32 v1, vcc_lo, v17, v1, vcc_lo
	s_delay_alu instid0(VALU_DEP_3) | instskip(NEXT) | instid1(VALU_DEP_1)
	v_min_f32_e32 v2, v2, v3
	v_cvt_f64_f32_e32 v[2:3], v2
	global_store_b64 v[0:1], v[2:3], off
	s_nop 0
	s_sendmsg sendmsg(MSG_DEALLOC_VGPRS)
	s_endpgm
	.section	.rodata,"a",@progbits
	.p2align	6, 0x0
	.amdhsa_kernel _ZN12_GLOBAL__N_120geam_min_plus_kernelId15HIP_vector_typeIdLj2EEdLi32ELi8ELi256ELi64ELi4ELi64ELi4ELi4ELi64ELc78ELc78ELb0ELb1ELb1EdKddEEviiiT16_PT17_ilS6_ilS4_S6_ilPT18_ili26rocblas_geam_ex_operation_
		.amdhsa_group_segment_fixed_size 20480
		.amdhsa_private_segment_fixed_size 0
		.amdhsa_kernarg_size 136
		.amdhsa_user_sgpr_count 14
		.amdhsa_user_sgpr_dispatch_ptr 0
		.amdhsa_user_sgpr_queue_ptr 0
		.amdhsa_user_sgpr_kernarg_segment_ptr 1
		.amdhsa_user_sgpr_dispatch_id 0
		.amdhsa_user_sgpr_private_segment_size 0
		.amdhsa_wavefront_size32 1
		.amdhsa_uses_dynamic_stack 0
		.amdhsa_enable_private_segment 0
		.amdhsa_system_sgpr_workgroup_id_x 1
		.amdhsa_system_sgpr_workgroup_id_y 0
		.amdhsa_system_sgpr_workgroup_id_z 1
		.amdhsa_system_sgpr_workgroup_info 0
		.amdhsa_system_vgpr_workitem_id 1
		.amdhsa_next_free_vgpr 158
		.amdhsa_next_free_sgpr 35
		.amdhsa_reserve_vcc 1
		.amdhsa_float_round_mode_32 0
		.amdhsa_float_round_mode_16_64 0
		.amdhsa_float_denorm_mode_32 3
		.amdhsa_float_denorm_mode_16_64 3
		.amdhsa_dx10_clamp 1
		.amdhsa_ieee_mode 1
		.amdhsa_fp16_overflow 0
		.amdhsa_workgroup_processor_mode 1
		.amdhsa_memory_ordered 1
		.amdhsa_forward_progress 0
		.amdhsa_shared_vgpr_count 0
		.amdhsa_exception_fp_ieee_invalid_op 0
		.amdhsa_exception_fp_denorm_src 0
		.amdhsa_exception_fp_ieee_div_zero 0
		.amdhsa_exception_fp_ieee_overflow 0
		.amdhsa_exception_fp_ieee_underflow 0
		.amdhsa_exception_fp_ieee_inexact 0
		.amdhsa_exception_int_div_zero 0
	.end_amdhsa_kernel
	.section	.text._ZN12_GLOBAL__N_120geam_min_plus_kernelId15HIP_vector_typeIdLj2EEdLi32ELi8ELi256ELi64ELi4ELi64ELi4ELi4ELi64ELc78ELc78ELb0ELb1ELb1EdKddEEviiiT16_PT17_ilS6_ilS4_S6_ilPT18_ili26rocblas_geam_ex_operation_,"axG",@progbits,_ZN12_GLOBAL__N_120geam_min_plus_kernelId15HIP_vector_typeIdLj2EEdLi32ELi8ELi256ELi64ELi4ELi64ELi4ELi4ELi64ELc78ELc78ELb0ELb1ELb1EdKddEEviiiT16_PT17_ilS6_ilS4_S6_ilPT18_ili26rocblas_geam_ex_operation_,comdat
.Lfunc_end161:
	.size	_ZN12_GLOBAL__N_120geam_min_plus_kernelId15HIP_vector_typeIdLj2EEdLi32ELi8ELi256ELi64ELi4ELi64ELi4ELi4ELi64ELc78ELc78ELb0ELb1ELb1EdKddEEviiiT16_PT17_ilS6_ilS4_S6_ilPT18_ili26rocblas_geam_ex_operation_, .Lfunc_end161-_ZN12_GLOBAL__N_120geam_min_plus_kernelId15HIP_vector_typeIdLj2EEdLi32ELi8ELi256ELi64ELi4ELi64ELi4ELi4ELi64ELc78ELc78ELb0ELb1ELb1EdKddEEviiiT16_PT17_ilS6_ilS4_S6_ilPT18_ili26rocblas_geam_ex_operation_
                                        ; -- End function
	.section	.AMDGPU.csdata,"",@progbits
; Kernel info:
; codeLenInByte = 24408
; NumSgprs: 37
; NumVgprs: 158
; ScratchSize: 0
; MemoryBound: 0
; FloatMode: 240
; IeeeMode: 1
; LDSByteSize: 20480 bytes/workgroup (compile time only)
; SGPRBlocks: 4
; VGPRBlocks: 19
; NumSGPRsForWavesPerEU: 37
; NumVGPRsForWavesPerEU: 158
; Occupancy: 9
; WaveLimiterHint : 0
; COMPUTE_PGM_RSRC2:SCRATCH_EN: 0
; COMPUTE_PGM_RSRC2:USER_SGPR: 14
; COMPUTE_PGM_RSRC2:TRAP_HANDLER: 0
; COMPUTE_PGM_RSRC2:TGID_X_EN: 1
; COMPUTE_PGM_RSRC2:TGID_Y_EN: 0
; COMPUTE_PGM_RSRC2:TGID_Z_EN: 1
; COMPUTE_PGM_RSRC2:TIDIG_COMP_CNT: 1
	.section	.text._ZN12_GLOBAL__N_120geam_min_plus_kernelId15HIP_vector_typeIdLj2EEdLi32ELi8ELi128ELi128ELi4ELi4ELi64ELi4ELi64ELc84ELc78ELb0ELb0ELb1EPKdS3_dEEviiiT16_PT17_ilS7_ilS5_S7_ilPT18_ili26rocblas_geam_ex_operation_,"axG",@progbits,_ZN12_GLOBAL__N_120geam_min_plus_kernelId15HIP_vector_typeIdLj2EEdLi32ELi8ELi128ELi128ELi4ELi4ELi64ELi4ELi64ELc84ELc78ELb0ELb0ELb1EPKdS3_dEEviiiT16_PT17_ilS7_ilS5_S7_ilPT18_ili26rocblas_geam_ex_operation_,comdat
	.globl	_ZN12_GLOBAL__N_120geam_min_plus_kernelId15HIP_vector_typeIdLj2EEdLi32ELi8ELi128ELi128ELi4ELi4ELi64ELi4ELi64ELc84ELc78ELb0ELb0ELb1EPKdS3_dEEviiiT16_PT17_ilS7_ilS5_S7_ilPT18_ili26rocblas_geam_ex_operation_ ; -- Begin function _ZN12_GLOBAL__N_120geam_min_plus_kernelId15HIP_vector_typeIdLj2EEdLi32ELi8ELi128ELi128ELi4ELi4ELi64ELi4ELi64ELc84ELc78ELb0ELb0ELb1EPKdS3_dEEviiiT16_PT17_ilS7_ilS5_S7_ilPT18_ili26rocblas_geam_ex_operation_
	.p2align	8
	.type	_ZN12_GLOBAL__N_120geam_min_plus_kernelId15HIP_vector_typeIdLj2EEdLi32ELi8ELi128ELi128ELi4ELi4ELi64ELi4ELi64ELc84ELc78ELb0ELb0ELb1EPKdS3_dEEviiiT16_PT17_ilS7_ilS5_S7_ilPT18_ili26rocblas_geam_ex_operation_,@function
_ZN12_GLOBAL__N_120geam_min_plus_kernelId15HIP_vector_typeIdLj2EEdLi32ELi8ELi128ELi128ELi4ELi4ELi64ELi4ELi64ELc84ELc78ELb0ELb0ELb1EPKdS3_dEEviiiT16_PT17_ilS7_ilS5_S7_ilPT18_ili26rocblas_geam_ex_operation_: ; @_ZN12_GLOBAL__N_120geam_min_plus_kernelId15HIP_vector_typeIdLj2EEdLi32ELi8ELi128ELi128ELi4ELi4ELi64ELi4ELi64ELc84ELc78ELb0ELb0ELb1EPKdS3_dEEviiiT16_PT17_ilS7_ilS5_S7_ilPT18_ili26rocblas_geam_ex_operation_
; %bb.0:
	s_clause 0x1
	s_load_b128 s[8:11], s[0:1], 0x10
	s_load_b128 s[4:7], s[0:1], 0x28
	s_mov_b32 s12, s15
	s_mov_b32 s13, 0
	s_mov_b64 s[22:23], 0
	s_lshl_b64 s[2:3], s[12:13], 3
	s_waitcnt lgkmcnt(0)
	s_add_u32 s8, s8, s2
	s_addc_u32 s9, s9, s3
	s_load_b64 s[20:21], s[8:9], 0x0
	s_clause 0x1
	s_load_b128 s[16:19], s[0:1], 0x40
	s_load_b64 s[24:25], s[0:1], 0x50
	s_waitcnt lgkmcnt(0)
	s_add_u32 s2, s18, s2
	v_cmp_eq_f64_e64 s8, s[20:21], 0
	v_cmp_neq_f64_e64 s13, s[20:21], 0
	s_addc_u32 s3, s19, s3
	s_mov_b64 s[18:19], 0
	s_delay_alu instid0(VALU_DEP_2)
	s_and_b32 vcc_lo, exec_lo, s8
	s_cbranch_vccnz .LBB162_2
; %bb.1:
	s_mul_i32 s5, s12, s5
	s_mul_hi_u32 s8, s12, s4
	s_mul_i32 s4, s12, s4
	s_add_i32 s5, s8, s5
	s_delay_alu instid0(SALU_CYCLE_1) | instskip(NEXT) | instid1(SALU_CYCLE_1)
	s_lshl_b64 s[4:5], s[4:5], 3
	s_add_u32 s22, s10, s4
	s_addc_u32 s23, s11, s5
.LBB162_2:
	s_load_b64 s[8:9], s[2:3], 0x0
	s_delay_alu instid0(VALU_DEP_1) | instskip(SKIP_1) | instid1(VALU_DEP_1)
	v_cndmask_b32_e64 v1, 0, 1, s13
	s_and_not1_b32 vcc_lo, exec_lo, s13
	v_cmp_ne_u32_e64 s3, 1, v1
	s_cbranch_vccnz .LBB162_4
; %bb.3:
	s_mul_i32 s2, s12, s17
	s_mul_hi_u32 s4, s12, s16
	s_delay_alu instid0(SALU_CYCLE_1) | instskip(SKIP_1) | instid1(SALU_CYCLE_1)
	s_add_i32 s5, s4, s2
	s_mul_i32 s4, s12, s16
	s_lshl_b64 s[4:5], s[4:5], 3
	s_delay_alu instid0(SALU_CYCLE_1)
	s_add_u32 s18, s6, s4
	s_addc_u32 s19, s7, s5
.LBB162_4:
	s_waitcnt lgkmcnt(0)
	v_cmp_eq_f64_e64 s2, s[8:9], 0
	s_load_b128 s[4:7], s[0:1], 0x60
	s_mov_b64 s[10:11], 0
	s_delay_alu instid0(VALU_DEP_1) | instskip(NEXT) | instid1(SALU_CYCLE_1)
	s_and_b32 s2, exec_lo, s2
	s_mov_b32 vcc_lo, s2
	s_cbranch_vccnz .LBB162_6
; %bb.5:
	s_waitcnt lgkmcnt(0)
	s_mul_i32 s5, s12, s5
	s_mul_hi_u32 s10, s12, s4
	s_mul_i32 s4, s12, s4
	s_add_i32 s5, s10, s5
	s_delay_alu instid0(SALU_CYCLE_1) | instskip(NEXT) | instid1(SALU_CYCLE_1)
	s_lshl_b64 s[4:5], s[4:5], 3
	s_add_u32 s10, s24, s4
	s_addc_u32 s11, s25, s5
.LBB162_6:
	s_waitcnt lgkmcnt(0)
	s_clause 0x1
	s_load_b32 s4, s[0:1], 0x0
	s_load_b32 s15, s[0:1], 0x20
	v_and_b32_e32 v133, 0x3ff, v0
	v_bfe_u32 v134, v0, 10, 10
	s_delay_alu instid0(VALU_DEP_2) | instskip(NEXT) | instid1(VALU_DEP_2)
	v_and_b32_e32 v140, 3, v133
	v_lshl_add_u32 v0, v134, 5, v133
	s_delay_alu instid0(VALU_DEP_2) | instskip(NEXT) | instid1(VALU_DEP_2)
	v_lshlrev_b32_e32 v9, 3, v140
	v_lshrrev_b32_e32 v8, 2, v0
	s_waitcnt lgkmcnt(0)
	s_add_i32 s4, s4, -1
	s_delay_alu instid0(SALU_CYCLE_1) | instskip(NEXT) | instid1(SALU_CYCLE_1)
	s_ashr_i32 s5, s4, 31
	s_lshr_b32 s5, s5, 25
	s_delay_alu instid0(SALU_CYCLE_1) | instskip(NEXT) | instid1(SALU_CYCLE_1)
	s_add_i32 s4, s4, s5
	s_ashr_i32 s4, s4, 7
	s_delay_alu instid0(SALU_CYCLE_1) | instskip(SKIP_2) | instid1(VALU_DEP_1)
	s_add_i32 s13, s4, 1
	s_not_b32 s4, s4
	v_cvt_f32_u32_e32 v1, s13
	v_rcp_iflag_f32_e32 v1, v1
	s_waitcnt_depctr 0xfff
	v_mul_f32_e32 v1, 0x4f7ffffe, v1
	s_delay_alu instid0(VALU_DEP_1) | instskip(NEXT) | instid1(VALU_DEP_1)
	v_cvt_u32_f32_e32 v1, v1
	v_readfirstlane_b32 s5, v1
	s_delay_alu instid0(VALU_DEP_1) | instskip(NEXT) | instid1(SALU_CYCLE_1)
	s_mul_i32 s4, s4, s5
	s_mul_hi_u32 s4, s5, s4
	s_delay_alu instid0(SALU_CYCLE_1) | instskip(NEXT) | instid1(SALU_CYCLE_1)
	s_add_i32 s5, s5, s4
	s_mul_hi_u32 s4, s14, s5
	s_delay_alu instid0(SALU_CYCLE_1) | instskip(SKIP_2) | instid1(SALU_CYCLE_1)
	s_mul_i32 s5, s4, s13
	s_add_i32 s16, s4, 1
	s_sub_i32 s5, s14, s5
	s_sub_i32 s17, s5, s13
	s_cmp_ge_u32 s5, s13
	s_cselect_b32 s4, s16, s4
	s_cselect_b32 s5, s17, s5
	s_add_i32 s16, s4, 1
	s_cmp_ge_u32 s5, s13
	s_cselect_b32 s5, s16, s4
	s_and_b32 vcc_lo, exec_lo, s3
	s_mul_i32 s4, s5, s13
	s_delay_alu instid0(SALU_CYCLE_1) | instskip(NEXT) | instid1(SALU_CYCLE_1)
	s_sub_i32 s4, s14, s4
	s_lshl_b32 s4, s4, 7
	s_delay_alu instid0(SALU_CYCLE_1) | instskip(NEXT) | instid1(VALU_DEP_1)
	v_add_nc_u32_e32 v65, s4, v8
	v_add_nc_u32_e32 v64, 64, v65
	s_cbranch_vccnz .LBB162_8
; %bb.7:
	v_mad_i64_i32 v[0:1], null, v65, s15, 0
	s_delay_alu instid0(VALU_DEP_2) | instskip(SKIP_1) | instid1(VALU_DEP_1)
	v_mad_i64_i32 v[2:3], null, v64, s15, 0
	v_add_co_u32 v4, s13, s22, v9
	v_add_co_ci_u32_e64 v5, null, s23, 0, s13
	s_delay_alu instid0(VALU_DEP_4) | instskip(NEXT) | instid1(VALU_DEP_4)
	v_lshlrev_b64 v[0:1], 3, v[0:1]
	v_lshlrev_b64 v[2:3], 3, v[2:3]
	s_delay_alu instid0(VALU_DEP_2) | instskip(NEXT) | instid1(VALU_DEP_3)
	v_add_co_u32 v0, vcc_lo, v4, v0
	v_add_co_ci_u32_e32 v1, vcc_lo, v5, v1, vcc_lo
	s_delay_alu instid0(VALU_DEP_3) | instskip(NEXT) | instid1(VALU_DEP_4)
	v_add_co_u32 v2, vcc_lo, v4, v2
	v_add_co_ci_u32_e32 v3, vcc_lo, v5, v3, vcc_lo
	s_clause 0x1
	flat_load_b64 v[0:1], v[0:1]
	flat_load_b64 v[2:3], v[2:3]
	s_waitcnt vmcnt(1) lgkmcnt(1)
	v_mul_f64 v[0:1], s[20:21], v[0:1]
	s_waitcnt vmcnt(0) lgkmcnt(0)
	v_mul_f64 v[2:3], s[20:21], v[2:3]
	s_branch .LBB162_9
.LBB162_8:
	v_mov_b32_e32 v0, 0
	v_dual_mov_b32 v1, 0 :: v_dual_mov_b32 v2, 0
	v_mov_b32_e32 v3, 0
.LBB162_9:
	s_load_b32 s14, s[0:1], 0x38
	s_lshl_b32 s5, s5, 7
	s_and_b32 vcc_lo, exec_lo, s3
	v_add_nc_u32_e32 v67, s5, v8
	s_delay_alu instid0(VALU_DEP_1)
	v_add_nc_u32_e32 v66, 64, v67
	s_cbranch_vccnz .LBB162_13
; %bb.10:
	s_waitcnt lgkmcnt(0)
	v_mad_i64_i32 v[4:5], null, v67, s14, 0
	s_delay_alu instid0(VALU_DEP_2) | instskip(SKIP_1) | instid1(VALU_DEP_1)
	v_mad_i64_i32 v[6:7], null, v66, s14, 0
	v_add_co_u32 v10, s13, s18, v9
	v_add_co_ci_u32_e64 v11, null, s19, 0, s13
	s_delay_alu instid0(VALU_DEP_4) | instskip(NEXT) | instid1(VALU_DEP_4)
	v_lshlrev_b64 v[4:5], 3, v[4:5]
	v_lshlrev_b64 v[6:7], 3, v[6:7]
	s_delay_alu instid0(VALU_DEP_2) | instskip(NEXT) | instid1(VALU_DEP_3)
	v_add_co_u32 v4, vcc_lo, v10, v4
	v_add_co_ci_u32_e32 v5, vcc_lo, v11, v5, vcc_lo
	s_delay_alu instid0(VALU_DEP_3) | instskip(NEXT) | instid1(VALU_DEP_4)
	v_add_co_u32 v6, vcc_lo, v10, v6
	v_add_co_ci_u32_e32 v7, vcc_lo, v11, v7, vcc_lo
	s_clause 0x1
	flat_load_b64 v[4:5], v[4:5]
	flat_load_b64 v[6:7], v[6:7]
	s_waitcnt vmcnt(1) lgkmcnt(1)
	v_mul_f64 v[4:5], s[20:21], v[4:5]
	s_waitcnt vmcnt(0) lgkmcnt(0)
	v_mul_f64 v[6:7], s[20:21], v[6:7]
	s_and_b32 vcc_lo, exec_lo, s3
	s_cbranch_vccnz .LBB162_14
.LBB162_11:
	v_mad_i64_i32 v[10:11], null, v65, s15, 0
	v_mad_i64_i32 v[12:13], null, v64, s15, 0
	v_add_co_u32 v14, s13, s22, v9
	s_delay_alu instid0(VALU_DEP_1) | instskip(NEXT) | instid1(VALU_DEP_4)
	v_add_co_ci_u32_e64 v15, null, s23, 0, s13
	v_lshlrev_b64 v[10:11], 3, v[10:11]
	s_delay_alu instid0(VALU_DEP_4) | instskip(NEXT) | instid1(VALU_DEP_2)
	v_lshlrev_b64 v[12:13], 3, v[12:13]
	v_add_co_u32 v10, vcc_lo, v14, v10
	s_delay_alu instid0(VALU_DEP_3) | instskip(NEXT) | instid1(VALU_DEP_3)
	v_add_co_ci_u32_e32 v11, vcc_lo, v15, v11, vcc_lo
	v_add_co_u32 v12, vcc_lo, v14, v12
	s_delay_alu instid0(VALU_DEP_4)
	v_add_co_ci_u32_e32 v13, vcc_lo, v15, v13, vcc_lo
	s_clause 0x1
	flat_load_b64 v[10:11], v[10:11] offset:32
	flat_load_b64 v[12:13], v[12:13] offset:32
	s_waitcnt vmcnt(1) lgkmcnt(0)
	v_mul_f64 v[56:57], s[20:21], v[10:11]
	s_waitcnt vmcnt(0)
	v_mul_f64 v[58:59], s[20:21], v[12:13]
	s_and_b32 vcc_lo, exec_lo, s3
	s_cbranch_vccnz .LBB162_15
.LBB162_12:
	s_waitcnt lgkmcnt(0)
	v_mad_i64_i32 v[10:11], null, v67, s14, 0
	v_mad_i64_i32 v[12:13], null, v66, s14, 0
	v_add_co_u32 v14, s13, s18, v9
	s_delay_alu instid0(VALU_DEP_1) | instskip(NEXT) | instid1(VALU_DEP_4)
	v_add_co_ci_u32_e64 v15, null, s19, 0, s13
	v_lshlrev_b64 v[10:11], 3, v[10:11]
	s_delay_alu instid0(VALU_DEP_4) | instskip(NEXT) | instid1(VALU_DEP_2)
	v_lshlrev_b64 v[12:13], 3, v[12:13]
	v_add_co_u32 v10, vcc_lo, v14, v10
	s_delay_alu instid0(VALU_DEP_3) | instskip(NEXT) | instid1(VALU_DEP_3)
	v_add_co_ci_u32_e32 v11, vcc_lo, v15, v11, vcc_lo
	v_add_co_u32 v12, vcc_lo, v14, v12
	s_delay_alu instid0(VALU_DEP_4)
	v_add_co_ci_u32_e32 v13, vcc_lo, v15, v13, vcc_lo
	s_clause 0x1
	flat_load_b64 v[10:11], v[10:11] offset:32
	flat_load_b64 v[12:13], v[12:13] offset:32
	s_waitcnt vmcnt(1) lgkmcnt(1)
	v_mul_f64 v[60:61], s[20:21], v[10:11]
	s_waitcnt vmcnt(0) lgkmcnt(0)
	v_mul_f64 v[62:63], s[20:21], v[12:13]
	s_branch .LBB162_16
.LBB162_13:
	v_mov_b32_e32 v4, 0
	v_dual_mov_b32 v5, 0 :: v_dual_mov_b32 v6, 0
	v_mov_b32_e32 v7, 0
	s_and_b32 vcc_lo, exec_lo, s3
	s_cbranch_vccz .LBB162_11
.LBB162_14:
	v_mov_b32_e32 v56, 0
	v_dual_mov_b32 v57, 0 :: v_dual_mov_b32 v58, 0
	v_mov_b32_e32 v59, 0
	s_and_b32 vcc_lo, exec_lo, s3
	s_cbranch_vccz .LBB162_12
.LBB162_15:
	v_mov_b32_e32 v60, 0
	v_dual_mov_b32 v61, 0 :: v_dual_mov_b32 v62, 0
	v_mov_b32_e32 v63, 0
.LBB162_16:
	v_lshl_or_b32 v141, v8, 5, v9
	v_dual_mov_b32 v74, 0x7f800000 :: v_dual_mov_b32 v75, 0x7f800000
	v_dual_mov_b32 v76, 0x7f800000 :: v_dual_mov_b32 v77, 0x7f800000
	s_delay_alu instid0(VALU_DEP_3)
	v_add_nc_u32_e32 v142, 0x2000, v141
	v_dual_mov_b32 v78, 0x7f800000 :: v_dual_mov_b32 v79, 0x7f800000
	v_dual_mov_b32 v80, 0x7f800000 :: v_dual_mov_b32 v81, 0x7f800000
	;; [unrolled: 1-line block ×30, first 2 shown]
	s_mov_b32 s16, 0
	s_mov_b32 s13, -1
	ds_store_2addr_stride64_b64 v141, v[0:1], v[2:3] offset1:4
	ds_store_2addr_stride64_b64 v141, v[4:5], v[6:7] offset0:16 offset1:20
	s_waitcnt lgkmcnt(0)
	s_barrier
	buffer_gl0_inv
.LBB162_17:                             ; =>This Inner Loop Header: Depth=1
	s_lshl_b32 s16, s16, 3
	s_and_not1_b32 vcc_lo, exec_lo, s13
	v_lshl_add_u32 v0, v133, 5, s16
	v_lshl_add_u32 v16, v134, 5, s16
	s_mov_b32 s16, 2
	s_mov_b32 s13, 0
	ds_load_b128 v[12:15], v0
	ds_load_b128 v[8:11], v0 offset:1024
	ds_load_b128 v[4:7], v0 offset:2048
	;; [unrolled: 1-line block ×19, first 2 shown]
	s_waitcnt lgkmcnt(15)
	v_add_f64 v[72:73], v[14:15], v[70:71]
	v_add_f64 v[163:164], v[12:13], v[68:69]
	s_delay_alu instid0(VALU_DEP_2) | instskip(NEXT) | instid1(VALU_DEP_2)
	v_cvt_f32_f64_e32 v72, v[72:73]
	v_cvt_f32_f64_e32 v163, v[163:164]
	s_delay_alu instid0(VALU_DEP_1) | instskip(SKIP_2) | instid1(VALU_DEP_2)
	v_min3_f32 v139, v163, v72, v139
	v_add_f64 v[72:73], v[10:11], v[70:71]
	v_add_f64 v[163:164], v[8:9], v[68:69]
	v_cvt_f32_f64_e32 v72, v[72:73]
	s_delay_alu instid0(VALU_DEP_2) | instskip(NEXT) | instid1(VALU_DEP_1)
	v_cvt_f32_f64_e32 v163, v[163:164]
	v_min3_f32 v138, v163, v72, v138
	v_add_f64 v[72:73], v[6:7], v[70:71]
	v_add_f64 v[163:164], v[4:5], v[68:69]
	;; [unrolled: 1-line block ×4, first 2 shown]
	s_delay_alu instid0(VALU_DEP_4) | instskip(NEXT) | instid1(VALU_DEP_4)
	v_cvt_f32_f64_e32 v72, v[72:73]
	v_cvt_f32_f64_e32 v163, v[163:164]
	s_delay_alu instid0(VALU_DEP_3) | instskip(SKIP_3) | instid1(VALU_DEP_4)
	v_cvt_f32_f64_e32 v68, v[68:69]
	v_cvt_f32_f64_e32 v69, v[70:71]
	s_waitcnt lgkmcnt(14)
	v_add_f64 v[70:71], v[12:13], v[143:144]
	v_min3_f32 v137, v163, v72, v137
	s_delay_alu instid0(VALU_DEP_3) | instskip(SKIP_1) | instid1(VALU_DEP_4)
	v_min3_f32 v136, v68, v69, v136
	v_add_f64 v[68:69], v[14:15], v[145:146]
	v_cvt_f32_f64_e32 v70, v[70:71]
	s_delay_alu instid0(VALU_DEP_2) | instskip(NEXT) | instid1(VALU_DEP_1)
	v_cvt_f32_f64_e32 v68, v[68:69]
	v_min3_f32 v135, v70, v68, v135
	v_add_f64 v[68:69], v[10:11], v[145:146]
	v_add_f64 v[70:71], v[8:9], v[143:144]
	s_delay_alu instid0(VALU_DEP_2) | instskip(NEXT) | instid1(VALU_DEP_2)
	v_cvt_f32_f64_e32 v68, v[68:69]
	v_cvt_f32_f64_e32 v70, v[70:71]
	s_delay_alu instid0(VALU_DEP_1) | instskip(SKIP_2) | instid1(VALU_DEP_2)
	v_min3_f32 v132, v70, v68, v132
	v_add_f64 v[68:69], v[6:7], v[145:146]
	v_add_f64 v[70:71], v[4:5], v[143:144]
	v_cvt_f32_f64_e32 v68, v[68:69]
	s_delay_alu instid0(VALU_DEP_2) | instskip(NEXT) | instid1(VALU_DEP_1)
	v_cvt_f32_f64_e32 v70, v[70:71]
	v_min3_f32 v131, v70, v68, v131
	v_add_f64 v[68:69], v[2:3], v[145:146]
	v_add_f64 v[70:71], v[0:1], v[143:144]
	s_delay_alu instid0(VALU_DEP_2) | instskip(NEXT) | instid1(VALU_DEP_2)
	v_cvt_f32_f64_e32 v68, v[68:69]
	v_cvt_f32_f64_e32 v70, v[70:71]
	s_delay_alu instid0(VALU_DEP_1) | instskip(SKIP_3) | instid1(VALU_DEP_2)
	v_min3_f32 v130, v70, v68, v130
	s_waitcnt lgkmcnt(13)
	v_add_f64 v[68:69], v[14:15], v[149:150]
	v_add_f64 v[70:71], v[12:13], v[147:148]
	v_cvt_f32_f64_e32 v68, v[68:69]
	s_delay_alu instid0(VALU_DEP_2) | instskip(NEXT) | instid1(VALU_DEP_1)
	v_cvt_f32_f64_e32 v70, v[70:71]
	v_min3_f32 v129, v70, v68, v129
	v_add_f64 v[68:69], v[10:11], v[149:150]
	v_add_f64 v[70:71], v[8:9], v[147:148]
	s_delay_alu instid0(VALU_DEP_2) | instskip(NEXT) | instid1(VALU_DEP_2)
	v_cvt_f32_f64_e32 v68, v[68:69]
	v_cvt_f32_f64_e32 v70, v[70:71]
	s_delay_alu instid0(VALU_DEP_1) | instskip(SKIP_2) | instid1(VALU_DEP_2)
	v_min3_f32 v128, v70, v68, v128
	v_add_f64 v[68:69], v[6:7], v[149:150]
	v_add_f64 v[70:71], v[4:5], v[147:148]
	v_cvt_f32_f64_e32 v68, v[68:69]
	s_delay_alu instid0(VALU_DEP_2) | instskip(NEXT) | instid1(VALU_DEP_1)
	v_cvt_f32_f64_e32 v70, v[70:71]
	v_min3_f32 v127, v70, v68, v127
	v_add_f64 v[68:69], v[2:3], v[149:150]
	v_add_f64 v[70:71], v[0:1], v[147:148]
	s_delay_alu instid0(VALU_DEP_2) | instskip(NEXT) | instid1(VALU_DEP_2)
	v_cvt_f32_f64_e32 v68, v[68:69]
	v_cvt_f32_f64_e32 v70, v[70:71]
	s_delay_alu instid0(VALU_DEP_1) | instskip(SKIP_3) | instid1(VALU_DEP_2)
	v_min3_f32 v126, v70, v68, v126
	s_waitcnt lgkmcnt(12)
	v_add_f64 v[68:69], v[14:15], v[153:154]
	;; [unrolled: 27-line block ×5, first 2 shown]
	v_add_f64 v[70:71], v[12:13], v[52:53]
	v_cvt_f32_f64_e32 v68, v[68:69]
	s_delay_alu instid0(VALU_DEP_2) | instskip(NEXT) | instid1(VALU_DEP_1)
	v_cvt_f32_f64_e32 v70, v[70:71]
	v_min3_f32 v113, v70, v68, v113
	v_add_f64 v[68:69], v[10:11], v[54:55]
	v_add_f64 v[70:71], v[8:9], v[52:53]
	s_delay_alu instid0(VALU_DEP_2) | instskip(NEXT) | instid1(VALU_DEP_2)
	v_cvt_f32_f64_e32 v68, v[68:69]
	v_cvt_f32_f64_e32 v70, v[70:71]
	s_delay_alu instid0(VALU_DEP_1) | instskip(SKIP_4) | instid1(VALU_DEP_4)
	v_min3_f32 v112, v70, v68, v112
	v_add_f64 v[68:69], v[6:7], v[54:55]
	v_add_f64 v[70:71], v[4:5], v[52:53]
	v_add_f64 v[54:55], v[2:3], v[54:55]
	v_add_f64 v[52:53], v[0:1], v[52:53]
	v_cvt_f32_f64_e32 v68, v[68:69]
	s_delay_alu instid0(VALU_DEP_4) | instskip(NEXT) | instid1(VALU_DEP_3)
	v_cvt_f32_f64_e32 v70, v[70:71]
	v_cvt_f32_f64_e32 v52, v[52:53]
	v_cvt_f32_f64_e32 v53, v[54:55]
	s_waitcnt lgkmcnt(8)
	v_add_f64 v[54:55], v[12:13], v[48:49]
	s_delay_alu instid0(VALU_DEP_4) | instskip(NEXT) | instid1(VALU_DEP_3)
	v_min3_f32 v111, v70, v68, v111
	v_min3_f32 v110, v52, v53, v110
	v_add_f64 v[52:53], v[14:15], v[50:51]
	s_delay_alu instid0(VALU_DEP_4) | instskip(NEXT) | instid1(VALU_DEP_2)
	v_cvt_f32_f64_e32 v54, v[54:55]
	v_cvt_f32_f64_e32 v52, v[52:53]
	s_delay_alu instid0(VALU_DEP_1) | instskip(SKIP_2) | instid1(VALU_DEP_2)
	v_min3_f32 v109, v54, v52, v109
	v_add_f64 v[52:53], v[10:11], v[50:51]
	v_add_f64 v[54:55], v[8:9], v[48:49]
	v_cvt_f32_f64_e32 v52, v[52:53]
	s_delay_alu instid0(VALU_DEP_2) | instskip(NEXT) | instid1(VALU_DEP_1)
	v_cvt_f32_f64_e32 v54, v[54:55]
	v_min3_f32 v108, v54, v52, v108
	v_add_f64 v[52:53], v[6:7], v[50:51]
	v_add_f64 v[54:55], v[4:5], v[48:49]
	v_add_f64 v[50:51], v[2:3], v[50:51]
	v_add_f64 v[48:49], v[0:1], v[48:49]
	s_delay_alu instid0(VALU_DEP_4) | instskip(NEXT) | instid1(VALU_DEP_4)
	v_cvt_f32_f64_e32 v52, v[52:53]
	v_cvt_f32_f64_e32 v54, v[54:55]
	s_delay_alu instid0(VALU_DEP_3) | instskip(SKIP_3) | instid1(VALU_DEP_4)
	v_cvt_f32_f64_e32 v48, v[48:49]
	v_cvt_f32_f64_e32 v49, v[50:51]
	s_waitcnt lgkmcnt(7)
	v_add_f64 v[50:51], v[12:13], v[44:45]
	v_min3_f32 v107, v54, v52, v107
	s_delay_alu instid0(VALU_DEP_3) | instskip(SKIP_1) | instid1(VALU_DEP_4)
	v_min3_f32 v106, v48, v49, v106
	v_add_f64 v[48:49], v[14:15], v[46:47]
	v_cvt_f32_f64_e32 v50, v[50:51]
	s_delay_alu instid0(VALU_DEP_2) | instskip(NEXT) | instid1(VALU_DEP_1)
	v_cvt_f32_f64_e32 v48, v[48:49]
	v_min3_f32 v105, v50, v48, v105
	v_add_f64 v[48:49], v[10:11], v[46:47]
	v_add_f64 v[50:51], v[8:9], v[44:45]
	s_delay_alu instid0(VALU_DEP_2) | instskip(NEXT) | instid1(VALU_DEP_2)
	v_cvt_f32_f64_e32 v48, v[48:49]
	v_cvt_f32_f64_e32 v50, v[50:51]
	s_delay_alu instid0(VALU_DEP_1) | instskip(SKIP_4) | instid1(VALU_DEP_4)
	v_min3_f32 v104, v50, v48, v104
	v_add_f64 v[48:49], v[6:7], v[46:47]
	v_add_f64 v[50:51], v[4:5], v[44:45]
	v_add_f64 v[46:47], v[2:3], v[46:47]
	v_add_f64 v[44:45], v[0:1], v[44:45]
	v_cvt_f32_f64_e32 v48, v[48:49]
	s_delay_alu instid0(VALU_DEP_4) | instskip(NEXT) | instid1(VALU_DEP_3)
	v_cvt_f32_f64_e32 v50, v[50:51]
	v_cvt_f32_f64_e32 v44, v[44:45]
	v_cvt_f32_f64_e32 v45, v[46:47]
	s_waitcnt lgkmcnt(6)
	v_add_f64 v[46:47], v[12:13], v[40:41]
	s_delay_alu instid0(VALU_DEP_4) | instskip(NEXT) | instid1(VALU_DEP_3)
	v_min3_f32 v103, v50, v48, v103
	v_min3_f32 v102, v44, v45, v102
	v_add_f64 v[44:45], v[14:15], v[42:43]
	s_delay_alu instid0(VALU_DEP_4) | instskip(NEXT) | instid1(VALU_DEP_2)
	v_cvt_f32_f64_e32 v46, v[46:47]
	v_cvt_f32_f64_e32 v44, v[44:45]
	s_delay_alu instid0(VALU_DEP_1) | instskip(SKIP_2) | instid1(VALU_DEP_2)
	v_min3_f32 v101, v46, v44, v101
	v_add_f64 v[44:45], v[10:11], v[42:43]
	v_add_f64 v[46:47], v[8:9], v[40:41]
	v_cvt_f32_f64_e32 v44, v[44:45]
	s_delay_alu instid0(VALU_DEP_2) | instskip(NEXT) | instid1(VALU_DEP_1)
	v_cvt_f32_f64_e32 v46, v[46:47]
	v_min3_f32 v100, v46, v44, v100
	v_add_f64 v[44:45], v[6:7], v[42:43]
	v_add_f64 v[46:47], v[4:5], v[40:41]
	v_add_f64 v[42:43], v[2:3], v[42:43]
	v_add_f64 v[40:41], v[0:1], v[40:41]
	s_delay_alu instid0(VALU_DEP_4) | instskip(NEXT) | instid1(VALU_DEP_4)
	v_cvt_f32_f64_e32 v44, v[44:45]
	v_cvt_f32_f64_e32 v46, v[46:47]
	s_delay_alu instid0(VALU_DEP_3) | instskip(SKIP_3) | instid1(VALU_DEP_4)
	v_cvt_f32_f64_e32 v40, v[40:41]
	v_cvt_f32_f64_e32 v41, v[42:43]
	s_waitcnt lgkmcnt(5)
	v_add_f64 v[42:43], v[12:13], v[36:37]
	v_min3_f32 v99, v46, v44, v99
	s_delay_alu instid0(VALU_DEP_3) | instskip(SKIP_1) | instid1(VALU_DEP_4)
	v_min3_f32 v98, v40, v41, v98
	v_add_f64 v[40:41], v[14:15], v[38:39]
	v_cvt_f32_f64_e32 v42, v[42:43]
	s_delay_alu instid0(VALU_DEP_2) | instskip(NEXT) | instid1(VALU_DEP_1)
	v_cvt_f32_f64_e32 v40, v[40:41]
	v_min3_f32 v97, v42, v40, v97
	v_add_f64 v[40:41], v[10:11], v[38:39]
	v_add_f64 v[42:43], v[8:9], v[36:37]
	s_delay_alu instid0(VALU_DEP_2) | instskip(NEXT) | instid1(VALU_DEP_2)
	v_cvt_f32_f64_e32 v40, v[40:41]
	v_cvt_f32_f64_e32 v42, v[42:43]
	s_delay_alu instid0(VALU_DEP_1) | instskip(SKIP_4) | instid1(VALU_DEP_4)
	v_min3_f32 v96, v42, v40, v96
	v_add_f64 v[40:41], v[6:7], v[38:39]
	v_add_f64 v[42:43], v[4:5], v[36:37]
	v_add_f64 v[38:39], v[2:3], v[38:39]
	v_add_f64 v[36:37], v[0:1], v[36:37]
	v_cvt_f32_f64_e32 v40, v[40:41]
	s_delay_alu instid0(VALU_DEP_4) | instskip(NEXT) | instid1(VALU_DEP_3)
	v_cvt_f32_f64_e32 v42, v[42:43]
	v_cvt_f32_f64_e32 v36, v[36:37]
	v_cvt_f32_f64_e32 v37, v[38:39]
	s_waitcnt lgkmcnt(4)
	v_add_f64 v[38:39], v[12:13], v[32:33]
	s_delay_alu instid0(VALU_DEP_4) | instskip(NEXT) | instid1(VALU_DEP_3)
	v_min3_f32 v95, v42, v40, v95
	v_min3_f32 v94, v36, v37, v94
	v_add_f64 v[36:37], v[14:15], v[34:35]
	s_delay_alu instid0(VALU_DEP_4) | instskip(NEXT) | instid1(VALU_DEP_2)
	v_cvt_f32_f64_e32 v38, v[38:39]
	v_cvt_f32_f64_e32 v36, v[36:37]
	s_delay_alu instid0(VALU_DEP_1) | instskip(SKIP_2) | instid1(VALU_DEP_2)
	v_min3_f32 v93, v38, v36, v93
	v_add_f64 v[36:37], v[10:11], v[34:35]
	v_add_f64 v[38:39], v[8:9], v[32:33]
	v_cvt_f32_f64_e32 v36, v[36:37]
	s_delay_alu instid0(VALU_DEP_2) | instskip(NEXT) | instid1(VALU_DEP_1)
	v_cvt_f32_f64_e32 v38, v[38:39]
	v_min3_f32 v92, v38, v36, v92
	v_add_f64 v[36:37], v[6:7], v[34:35]
	v_add_f64 v[38:39], v[4:5], v[32:33]
	v_add_f64 v[34:35], v[2:3], v[34:35]
	v_add_f64 v[32:33], v[0:1], v[32:33]
	s_delay_alu instid0(VALU_DEP_4) | instskip(NEXT) | instid1(VALU_DEP_4)
	v_cvt_f32_f64_e32 v36, v[36:37]
	v_cvt_f32_f64_e32 v38, v[38:39]
	s_delay_alu instid0(VALU_DEP_3) | instskip(SKIP_3) | instid1(VALU_DEP_4)
	v_cvt_f32_f64_e32 v32, v[32:33]
	v_cvt_f32_f64_e32 v33, v[34:35]
	s_waitcnt lgkmcnt(3)
	v_add_f64 v[34:35], v[12:13], v[28:29]
	v_min3_f32 v91, v38, v36, v91
	s_delay_alu instid0(VALU_DEP_3) | instskip(SKIP_1) | instid1(VALU_DEP_4)
	v_min3_f32 v90, v32, v33, v90
	v_add_f64 v[32:33], v[14:15], v[30:31]
	v_cvt_f32_f64_e32 v34, v[34:35]
	s_delay_alu instid0(VALU_DEP_2) | instskip(NEXT) | instid1(VALU_DEP_1)
	v_cvt_f32_f64_e32 v32, v[32:33]
	v_min3_f32 v89, v34, v32, v89
	v_add_f64 v[32:33], v[10:11], v[30:31]
	v_add_f64 v[34:35], v[8:9], v[28:29]
	s_delay_alu instid0(VALU_DEP_2) | instskip(NEXT) | instid1(VALU_DEP_2)
	v_cvt_f32_f64_e32 v32, v[32:33]
	v_cvt_f32_f64_e32 v34, v[34:35]
	s_delay_alu instid0(VALU_DEP_1) | instskip(SKIP_4) | instid1(VALU_DEP_4)
	v_min3_f32 v88, v34, v32, v88
	v_add_f64 v[32:33], v[6:7], v[30:31]
	v_add_f64 v[34:35], v[4:5], v[28:29]
	;; [unrolled: 1-line block ×4, first 2 shown]
	v_cvt_f32_f64_e32 v32, v[32:33]
	s_delay_alu instid0(VALU_DEP_4) | instskip(NEXT) | instid1(VALU_DEP_3)
	v_cvt_f32_f64_e32 v34, v[34:35]
	v_cvt_f32_f64_e32 v28, v[28:29]
	;; [unrolled: 1-line block ×3, first 2 shown]
	s_waitcnt lgkmcnt(2)
	v_add_f64 v[30:31], v[12:13], v[24:25]
	s_delay_alu instid0(VALU_DEP_4) | instskip(NEXT) | instid1(VALU_DEP_3)
	v_min3_f32 v87, v34, v32, v87
	v_min3_f32 v86, v28, v29, v86
	v_add_f64 v[28:29], v[14:15], v[26:27]
	s_delay_alu instid0(VALU_DEP_4) | instskip(NEXT) | instid1(VALU_DEP_2)
	v_cvt_f32_f64_e32 v30, v[30:31]
	v_cvt_f32_f64_e32 v28, v[28:29]
	s_delay_alu instid0(VALU_DEP_1) | instskip(SKIP_2) | instid1(VALU_DEP_2)
	v_min3_f32 v85, v30, v28, v85
	v_add_f64 v[28:29], v[10:11], v[26:27]
	v_add_f64 v[30:31], v[8:9], v[24:25]
	v_cvt_f32_f64_e32 v28, v[28:29]
	s_delay_alu instid0(VALU_DEP_2) | instskip(NEXT) | instid1(VALU_DEP_1)
	v_cvt_f32_f64_e32 v30, v[30:31]
	v_min3_f32 v84, v30, v28, v84
	v_add_f64 v[28:29], v[6:7], v[26:27]
	v_add_f64 v[30:31], v[4:5], v[24:25]
	;; [unrolled: 1-line block ×4, first 2 shown]
	s_delay_alu instid0(VALU_DEP_4) | instskip(NEXT) | instid1(VALU_DEP_4)
	v_cvt_f32_f64_e32 v28, v[28:29]
	v_cvt_f32_f64_e32 v30, v[30:31]
	s_delay_alu instid0(VALU_DEP_3)
	v_cvt_f32_f64_e32 v24, v[24:25]
	v_cvt_f32_f64_e32 v25, v[26:27]
	s_waitcnt lgkmcnt(1)
	v_add_f64 v[26:27], v[12:13], v[20:21]
	s_waitcnt lgkmcnt(0)
	v_add_f64 v[12:13], v[12:13], v[16:17]
	v_min3_f32 v83, v30, v28, v83
	s_delay_alu instid0(VALU_DEP_4) | instskip(SKIP_4) | instid1(VALU_DEP_4)
	v_min3_f32 v82, v24, v25, v82
	v_add_f64 v[24:25], v[14:15], v[22:23]
	v_cvt_f32_f64_e32 v26, v[26:27]
	v_add_f64 v[14:15], v[14:15], v[18:19]
	v_cvt_f32_f64_e32 v12, v[12:13]
	v_cvt_f32_f64_e32 v24, v[24:25]
	s_delay_alu instid0(VALU_DEP_3) | instskip(NEXT) | instid1(VALU_DEP_2)
	v_cvt_f32_f64_e32 v13, v[14:15]
	v_min3_f32 v81, v26, v24, v81
	v_add_f64 v[24:25], v[10:11], v[22:23]
	v_add_f64 v[26:27], v[8:9], v[20:21]
	v_add_f64 v[10:11], v[10:11], v[18:19]
	v_add_f64 v[8:9], v[8:9], v[16:17]
	v_min3_f32 v77, v12, v13, v77
	v_cvt_f32_f64_e32 v24, v[24:25]
	v_cvt_f32_f64_e32 v26, v[26:27]
	s_delay_alu instid0(VALU_DEP_4) | instskip(SKIP_1) | instid1(VALU_DEP_3)
	v_cvt_f32_f64_e32 v8, v[8:9]
	v_cvt_f32_f64_e32 v9, v[10:11]
	v_min3_f32 v80, v26, v24, v80
	v_add_f64 v[24:25], v[6:7], v[22:23]
	v_add_f64 v[26:27], v[4:5], v[20:21]
	;; [unrolled: 1-line block ×8, first 2 shown]
	v_min3_f32 v76, v8, v9, v76
	v_cvt_f32_f64_e32 v24, v[24:25]
	v_cvt_f32_f64_e32 v26, v[26:27]
	;; [unrolled: 1-line block ×8, first 2 shown]
	v_min3_f32 v79, v26, v24, v79
	v_min3_f32 v78, v20, v21, v78
	;; [unrolled: 1-line block ×3, first 2 shown]
	s_delay_alu instid0(VALU_DEP_4)
	v_min3_f32 v74, v0, v1, v74
	s_cbranch_vccz .LBB162_17
; %bb.18:
	s_load_b32 s16, s[0:1], 0x8
	s_mov_b32 s13, 8
	ds_store_2addr_stride64_b64 v141, v[56:57], v[58:59] offset0:8 offset1:12
	ds_store_2addr_stride64_b64 v141, v[60:61], v[62:63] offset0:24 offset1:28
	s_waitcnt lgkmcnt(0)
	s_barrier
	buffer_gl0_inv
	s_cmp_gt_i32 s16, 8
	s_cbranch_scc0 .LBB162_35
; %bb.19:
	v_mad_i64_i32 v[0:1], null, v65, s15, 0
	v_mad_i64_i32 v[2:3], null, v64, s15, 0
	v_mad_i64_i32 v[4:5], null, v67, s14, 0
	v_mad_i64_i32 v[6:7], null, v66, s14, 0
	s_delay_alu instid0(VALU_DEP_4)
	v_lshlrev_b64 v[56:57], 3, v[0:1]
	v_add_nc_u32_e32 v143, 0x1000, v141
	v_lshlrev_b64 v[58:59], 3, v[2:3]
	v_dual_mov_b32 v65, 0 :: v_dual_add_nc_u32 v144, 0x3000, v141
	v_lshlrev_b64 v[60:61], 3, v[4:5]
	v_lshlrev_b64 v[62:63], 3, v[6:7]
	s_add_i32 s14, s16, -8
	s_mov_b32 s15, 0
.LBB162_20:                             ; =>This Loop Header: Depth=1
                                        ;     Child Loop BB162_26 Depth 2
                                        ;     Child Loop BB162_33 Depth 2
	v_or_b32_e32 v64, s13, v140
	s_and_b32 vcc_lo, exec_lo, s3
	s_cbranch_vccnz .LBB162_23
; %bb.21:                               ;   in Loop: Header=BB162_20 Depth=1
	s_delay_alu instid0(VALU_DEP_1) | instskip(NEXT) | instid1(VALU_DEP_1)
	v_lshlrev_b64 v[0:1], 3, v[64:65]
	v_add_co_u32 v2, vcc_lo, s22, v0
	s_delay_alu instid0(VALU_DEP_2) | instskip(NEXT) | instid1(VALU_DEP_2)
	v_add_co_ci_u32_e32 v3, vcc_lo, s23, v1, vcc_lo
	v_add_co_u32 v0, vcc_lo, v2, v56
	s_delay_alu instid0(VALU_DEP_2)
	v_add_co_ci_u32_e32 v1, vcc_lo, v3, v57, vcc_lo
	v_add_co_u32 v2, vcc_lo, v2, v58
	v_add_co_ci_u32_e32 v3, vcc_lo, v3, v59, vcc_lo
	s_clause 0x1
	flat_load_b64 v[0:1], v[0:1]
	flat_load_b64 v[2:3], v[2:3]
	s_waitcnt vmcnt(1) lgkmcnt(1)
	v_mul_f64 v[66:67], s[20:21], v[0:1]
	s_waitcnt vmcnt(0) lgkmcnt(0)
	v_mul_f64 v[68:69], s[20:21], v[2:3]
	s_and_b32 vcc_lo, exec_lo, s3
	s_cbranch_vccnz .LBB162_24
.LBB162_22:                             ;   in Loop: Header=BB162_20 Depth=1
	v_lshlrev_b64 v[0:1], 3, v[64:65]
	s_delay_alu instid0(VALU_DEP_1) | instskip(NEXT) | instid1(VALU_DEP_2)
	v_add_co_u32 v2, vcc_lo, s18, v0
	v_add_co_ci_u32_e32 v3, vcc_lo, s19, v1, vcc_lo
	s_delay_alu instid0(VALU_DEP_2) | instskip(NEXT) | instid1(VALU_DEP_2)
	v_add_co_u32 v0, vcc_lo, v2, v60
	v_add_co_ci_u32_e32 v1, vcc_lo, v3, v61, vcc_lo
	v_add_co_u32 v2, vcc_lo, v2, v62
	v_add_co_ci_u32_e32 v3, vcc_lo, v3, v63, vcc_lo
	s_clause 0x1
	flat_load_b64 v[0:1], v[0:1]
	flat_load_b64 v[2:3], v[2:3]
	s_waitcnt vmcnt(1) lgkmcnt(1)
	v_mul_f64 v[70:71], s[20:21], v[0:1]
	s_waitcnt vmcnt(0) lgkmcnt(0)
	v_mul_f64 v[72:73], s[20:21], v[2:3]
	s_branch .LBB162_25
.LBB162_23:                             ;   in Loop: Header=BB162_20 Depth=1
	v_mov_b32_e32 v66, 0
	v_dual_mov_b32 v67, 0 :: v_dual_mov_b32 v68, 0
	v_mov_b32_e32 v69, 0
	s_and_b32 vcc_lo, exec_lo, s3
	s_cbranch_vccz .LBB162_22
.LBB162_24:                             ;   in Loop: Header=BB162_20 Depth=1
	v_mov_b32_e32 v70, 0
	v_dual_mov_b32 v71, 0 :: v_dual_mov_b32 v72, 0
	v_mov_b32_e32 v73, 0
.LBB162_25:                             ;   in Loop: Header=BB162_20 Depth=1
	s_mov_b32 s17, 0
	s_mov_b32 s16, -1
.LBB162_26:                             ;   Parent Loop BB162_20 Depth=1
                                        ; =>  This Inner Loop Header: Depth=2
	s_lshl_b32 s17, s17, 3
	s_and_not1_b32 vcc_lo, exec_lo, s16
	v_lshl_add_u32 v0, v133, 5, s17
	v_lshl_add_u32 v16, v134, 5, s17
	s_mov_b32 s17, 2
	s_mov_b32 s16, 0
	ds_load_b128 v[12:15], v0 offset:4096
	ds_load_b128 v[8:11], v0 offset:5120
	;; [unrolled: 1-line block ×20, first 2 shown]
	s_waitcnt lgkmcnt(15)
	v_add_f64 v[169:170], v[14:15], v[147:148]
	v_add_f64 v[171:172], v[12:13], v[145:146]
	s_delay_alu instid0(VALU_DEP_2) | instskip(NEXT) | instid1(VALU_DEP_2)
	v_cvt_f32_f64_e32 v169, v[169:170]
	v_cvt_f32_f64_e32 v171, v[171:172]
	s_delay_alu instid0(VALU_DEP_1) | instskip(SKIP_2) | instid1(VALU_DEP_2)
	v_min3_f32 v139, v171, v169, v139
	v_add_f64 v[169:170], v[10:11], v[147:148]
	v_add_f64 v[171:172], v[8:9], v[145:146]
	v_cvt_f32_f64_e32 v169, v[169:170]
	s_delay_alu instid0(VALU_DEP_2) | instskip(NEXT) | instid1(VALU_DEP_1)
	v_cvt_f32_f64_e32 v171, v[171:172]
	v_min3_f32 v138, v171, v169, v138
	v_add_f64 v[169:170], v[6:7], v[147:148]
	v_add_f64 v[171:172], v[4:5], v[145:146]
	;; [unrolled: 1-line block ×4, first 2 shown]
	s_delay_alu instid0(VALU_DEP_4) | instskip(NEXT) | instid1(VALU_DEP_4)
	v_cvt_f32_f64_e32 v169, v[169:170]
	v_cvt_f32_f64_e32 v171, v[171:172]
	s_delay_alu instid0(VALU_DEP_3) | instskip(SKIP_3) | instid1(VALU_DEP_4)
	v_cvt_f32_f64_e32 v145, v[145:146]
	v_cvt_f32_f64_e32 v146, v[147:148]
	s_waitcnt lgkmcnt(14)
	v_add_f64 v[147:148], v[12:13], v[149:150]
	v_min3_f32 v137, v171, v169, v137
	s_delay_alu instid0(VALU_DEP_3) | instskip(SKIP_1) | instid1(VALU_DEP_4)
	v_min3_f32 v136, v145, v146, v136
	v_add_f64 v[145:146], v[14:15], v[151:152]
	v_cvt_f32_f64_e32 v147, v[147:148]
	s_delay_alu instid0(VALU_DEP_2) | instskip(NEXT) | instid1(VALU_DEP_1)
	v_cvt_f32_f64_e32 v145, v[145:146]
	v_min3_f32 v135, v147, v145, v135
	v_add_f64 v[145:146], v[10:11], v[151:152]
	v_add_f64 v[147:148], v[8:9], v[149:150]
	s_delay_alu instid0(VALU_DEP_2) | instskip(NEXT) | instid1(VALU_DEP_2)
	v_cvt_f32_f64_e32 v145, v[145:146]
	v_cvt_f32_f64_e32 v147, v[147:148]
	s_delay_alu instid0(VALU_DEP_1) | instskip(SKIP_2) | instid1(VALU_DEP_2)
	v_min3_f32 v132, v147, v145, v132
	v_add_f64 v[145:146], v[6:7], v[151:152]
	v_add_f64 v[147:148], v[4:5], v[149:150]
	v_cvt_f32_f64_e32 v145, v[145:146]
	s_delay_alu instid0(VALU_DEP_2) | instskip(NEXT) | instid1(VALU_DEP_1)
	v_cvt_f32_f64_e32 v147, v[147:148]
	v_min3_f32 v131, v147, v145, v131
	v_add_f64 v[145:146], v[2:3], v[151:152]
	v_add_f64 v[147:148], v[0:1], v[149:150]
	s_delay_alu instid0(VALU_DEP_2) | instskip(NEXT) | instid1(VALU_DEP_2)
	v_cvt_f32_f64_e32 v145, v[145:146]
	v_cvt_f32_f64_e32 v147, v[147:148]
	s_delay_alu instid0(VALU_DEP_1) | instskip(SKIP_3) | instid1(VALU_DEP_2)
	v_min3_f32 v130, v147, v145, v130
	s_waitcnt lgkmcnt(13)
	v_add_f64 v[145:146], v[14:15], v[155:156]
	v_add_f64 v[147:148], v[12:13], v[153:154]
	v_cvt_f32_f64_e32 v145, v[145:146]
	s_delay_alu instid0(VALU_DEP_2) | instskip(NEXT) | instid1(VALU_DEP_1)
	v_cvt_f32_f64_e32 v147, v[147:148]
	v_min3_f32 v129, v147, v145, v129
	v_add_f64 v[145:146], v[10:11], v[155:156]
	v_add_f64 v[147:148], v[8:9], v[153:154]
	s_delay_alu instid0(VALU_DEP_2) | instskip(NEXT) | instid1(VALU_DEP_2)
	v_cvt_f32_f64_e32 v145, v[145:146]
	v_cvt_f32_f64_e32 v147, v[147:148]
	s_delay_alu instid0(VALU_DEP_1) | instskip(SKIP_2) | instid1(VALU_DEP_2)
	v_min3_f32 v128, v147, v145, v128
	v_add_f64 v[145:146], v[6:7], v[155:156]
	v_add_f64 v[147:148], v[4:5], v[153:154]
	v_cvt_f32_f64_e32 v145, v[145:146]
	s_delay_alu instid0(VALU_DEP_2) | instskip(NEXT) | instid1(VALU_DEP_1)
	v_cvt_f32_f64_e32 v147, v[147:148]
	v_min3_f32 v127, v147, v145, v127
	v_add_f64 v[145:146], v[2:3], v[155:156]
	v_add_f64 v[147:148], v[0:1], v[153:154]
	s_delay_alu instid0(VALU_DEP_2) | instskip(NEXT) | instid1(VALU_DEP_2)
	v_cvt_f32_f64_e32 v145, v[145:146]
	v_cvt_f32_f64_e32 v147, v[147:148]
	s_delay_alu instid0(VALU_DEP_1) | instskip(SKIP_3) | instid1(VALU_DEP_2)
	v_min3_f32 v126, v147, v145, v126
	s_waitcnt lgkmcnt(12)
	v_add_f64 v[145:146], v[14:15], v[159:160]
	;; [unrolled: 27-line block ×5, first 2 shown]
	v_add_f64 v[147:148], v[12:13], v[52:53]
	v_cvt_f32_f64_e32 v145, v[145:146]
	s_delay_alu instid0(VALU_DEP_2) | instskip(NEXT) | instid1(VALU_DEP_1)
	v_cvt_f32_f64_e32 v147, v[147:148]
	v_min3_f32 v113, v147, v145, v113
	v_add_f64 v[145:146], v[10:11], v[54:55]
	v_add_f64 v[147:148], v[8:9], v[52:53]
	s_delay_alu instid0(VALU_DEP_2) | instskip(NEXT) | instid1(VALU_DEP_2)
	v_cvt_f32_f64_e32 v145, v[145:146]
	v_cvt_f32_f64_e32 v147, v[147:148]
	s_delay_alu instid0(VALU_DEP_1) | instskip(SKIP_4) | instid1(VALU_DEP_4)
	v_min3_f32 v112, v147, v145, v112
	v_add_f64 v[145:146], v[6:7], v[54:55]
	v_add_f64 v[147:148], v[4:5], v[52:53]
	v_add_f64 v[54:55], v[2:3], v[54:55]
	v_add_f64 v[52:53], v[0:1], v[52:53]
	v_cvt_f32_f64_e32 v145, v[145:146]
	s_delay_alu instid0(VALU_DEP_4) | instskip(NEXT) | instid1(VALU_DEP_3)
	v_cvt_f32_f64_e32 v147, v[147:148]
	v_cvt_f32_f64_e32 v52, v[52:53]
	v_cvt_f32_f64_e32 v53, v[54:55]
	s_waitcnt lgkmcnt(8)
	v_add_f64 v[54:55], v[12:13], v[48:49]
	s_delay_alu instid0(VALU_DEP_4) | instskip(NEXT) | instid1(VALU_DEP_3)
	v_min3_f32 v111, v147, v145, v111
	v_min3_f32 v110, v52, v53, v110
	v_add_f64 v[52:53], v[14:15], v[50:51]
	s_delay_alu instid0(VALU_DEP_4) | instskip(NEXT) | instid1(VALU_DEP_2)
	v_cvt_f32_f64_e32 v54, v[54:55]
	v_cvt_f32_f64_e32 v52, v[52:53]
	s_delay_alu instid0(VALU_DEP_1) | instskip(SKIP_2) | instid1(VALU_DEP_2)
	v_min3_f32 v109, v54, v52, v109
	v_add_f64 v[52:53], v[10:11], v[50:51]
	v_add_f64 v[54:55], v[8:9], v[48:49]
	v_cvt_f32_f64_e32 v52, v[52:53]
	s_delay_alu instid0(VALU_DEP_2) | instskip(NEXT) | instid1(VALU_DEP_1)
	v_cvt_f32_f64_e32 v54, v[54:55]
	v_min3_f32 v108, v54, v52, v108
	v_add_f64 v[52:53], v[6:7], v[50:51]
	v_add_f64 v[54:55], v[4:5], v[48:49]
	v_add_f64 v[50:51], v[2:3], v[50:51]
	v_add_f64 v[48:49], v[0:1], v[48:49]
	s_delay_alu instid0(VALU_DEP_4) | instskip(NEXT) | instid1(VALU_DEP_4)
	v_cvt_f32_f64_e32 v52, v[52:53]
	v_cvt_f32_f64_e32 v54, v[54:55]
	s_delay_alu instid0(VALU_DEP_3) | instskip(SKIP_3) | instid1(VALU_DEP_4)
	v_cvt_f32_f64_e32 v48, v[48:49]
	v_cvt_f32_f64_e32 v49, v[50:51]
	s_waitcnt lgkmcnt(7)
	v_add_f64 v[50:51], v[12:13], v[44:45]
	v_min3_f32 v107, v54, v52, v107
	s_delay_alu instid0(VALU_DEP_3) | instskip(SKIP_1) | instid1(VALU_DEP_4)
	v_min3_f32 v106, v48, v49, v106
	v_add_f64 v[48:49], v[14:15], v[46:47]
	v_cvt_f32_f64_e32 v50, v[50:51]
	s_delay_alu instid0(VALU_DEP_2) | instskip(NEXT) | instid1(VALU_DEP_1)
	v_cvt_f32_f64_e32 v48, v[48:49]
	v_min3_f32 v105, v50, v48, v105
	v_add_f64 v[48:49], v[10:11], v[46:47]
	v_add_f64 v[50:51], v[8:9], v[44:45]
	s_delay_alu instid0(VALU_DEP_2) | instskip(NEXT) | instid1(VALU_DEP_2)
	v_cvt_f32_f64_e32 v48, v[48:49]
	v_cvt_f32_f64_e32 v50, v[50:51]
	s_delay_alu instid0(VALU_DEP_1) | instskip(SKIP_4) | instid1(VALU_DEP_4)
	v_min3_f32 v104, v50, v48, v104
	v_add_f64 v[48:49], v[6:7], v[46:47]
	v_add_f64 v[50:51], v[4:5], v[44:45]
	v_add_f64 v[46:47], v[2:3], v[46:47]
	v_add_f64 v[44:45], v[0:1], v[44:45]
	v_cvt_f32_f64_e32 v48, v[48:49]
	s_delay_alu instid0(VALU_DEP_4) | instskip(NEXT) | instid1(VALU_DEP_3)
	v_cvt_f32_f64_e32 v50, v[50:51]
	v_cvt_f32_f64_e32 v44, v[44:45]
	v_cvt_f32_f64_e32 v45, v[46:47]
	s_waitcnt lgkmcnt(6)
	v_add_f64 v[46:47], v[12:13], v[40:41]
	s_delay_alu instid0(VALU_DEP_4) | instskip(NEXT) | instid1(VALU_DEP_3)
	v_min3_f32 v103, v50, v48, v103
	v_min3_f32 v102, v44, v45, v102
	v_add_f64 v[44:45], v[14:15], v[42:43]
	s_delay_alu instid0(VALU_DEP_4) | instskip(NEXT) | instid1(VALU_DEP_2)
	v_cvt_f32_f64_e32 v46, v[46:47]
	v_cvt_f32_f64_e32 v44, v[44:45]
	s_delay_alu instid0(VALU_DEP_1) | instskip(SKIP_2) | instid1(VALU_DEP_2)
	v_min3_f32 v101, v46, v44, v101
	v_add_f64 v[44:45], v[10:11], v[42:43]
	v_add_f64 v[46:47], v[8:9], v[40:41]
	v_cvt_f32_f64_e32 v44, v[44:45]
	s_delay_alu instid0(VALU_DEP_2) | instskip(NEXT) | instid1(VALU_DEP_1)
	v_cvt_f32_f64_e32 v46, v[46:47]
	v_min3_f32 v100, v46, v44, v100
	v_add_f64 v[44:45], v[6:7], v[42:43]
	v_add_f64 v[46:47], v[4:5], v[40:41]
	v_add_f64 v[42:43], v[2:3], v[42:43]
	v_add_f64 v[40:41], v[0:1], v[40:41]
	s_delay_alu instid0(VALU_DEP_4) | instskip(NEXT) | instid1(VALU_DEP_4)
	v_cvt_f32_f64_e32 v44, v[44:45]
	v_cvt_f32_f64_e32 v46, v[46:47]
	s_delay_alu instid0(VALU_DEP_3) | instskip(SKIP_3) | instid1(VALU_DEP_4)
	v_cvt_f32_f64_e32 v40, v[40:41]
	v_cvt_f32_f64_e32 v41, v[42:43]
	s_waitcnt lgkmcnt(5)
	v_add_f64 v[42:43], v[12:13], v[36:37]
	v_min3_f32 v99, v46, v44, v99
	s_delay_alu instid0(VALU_DEP_3) | instskip(SKIP_1) | instid1(VALU_DEP_4)
	v_min3_f32 v98, v40, v41, v98
	;; [unrolled: 53-line block ×3, first 2 shown]
	v_add_f64 v[32:33], v[14:15], v[30:31]
	v_cvt_f32_f64_e32 v34, v[34:35]
	s_delay_alu instid0(VALU_DEP_2) | instskip(NEXT) | instid1(VALU_DEP_1)
	v_cvt_f32_f64_e32 v32, v[32:33]
	v_min3_f32 v89, v34, v32, v89
	v_add_f64 v[32:33], v[10:11], v[30:31]
	v_add_f64 v[34:35], v[8:9], v[28:29]
	s_delay_alu instid0(VALU_DEP_2) | instskip(NEXT) | instid1(VALU_DEP_2)
	v_cvt_f32_f64_e32 v32, v[32:33]
	v_cvt_f32_f64_e32 v34, v[34:35]
	s_delay_alu instid0(VALU_DEP_1) | instskip(SKIP_4) | instid1(VALU_DEP_4)
	v_min3_f32 v88, v34, v32, v88
	v_add_f64 v[32:33], v[6:7], v[30:31]
	v_add_f64 v[34:35], v[4:5], v[28:29]
	;; [unrolled: 1-line block ×4, first 2 shown]
	v_cvt_f32_f64_e32 v32, v[32:33]
	s_delay_alu instid0(VALU_DEP_4) | instskip(NEXT) | instid1(VALU_DEP_3)
	v_cvt_f32_f64_e32 v34, v[34:35]
	v_cvt_f32_f64_e32 v28, v[28:29]
	;; [unrolled: 1-line block ×3, first 2 shown]
	s_waitcnt lgkmcnt(2)
	v_add_f64 v[30:31], v[12:13], v[24:25]
	s_delay_alu instid0(VALU_DEP_4) | instskip(NEXT) | instid1(VALU_DEP_3)
	v_min3_f32 v87, v34, v32, v87
	v_min3_f32 v86, v28, v29, v86
	v_add_f64 v[28:29], v[14:15], v[26:27]
	s_delay_alu instid0(VALU_DEP_4) | instskip(NEXT) | instid1(VALU_DEP_2)
	v_cvt_f32_f64_e32 v30, v[30:31]
	v_cvt_f32_f64_e32 v28, v[28:29]
	s_delay_alu instid0(VALU_DEP_1) | instskip(SKIP_2) | instid1(VALU_DEP_2)
	v_min3_f32 v85, v30, v28, v85
	v_add_f64 v[28:29], v[10:11], v[26:27]
	v_add_f64 v[30:31], v[8:9], v[24:25]
	v_cvt_f32_f64_e32 v28, v[28:29]
	s_delay_alu instid0(VALU_DEP_2) | instskip(NEXT) | instid1(VALU_DEP_1)
	v_cvt_f32_f64_e32 v30, v[30:31]
	v_min3_f32 v84, v30, v28, v84
	v_add_f64 v[28:29], v[6:7], v[26:27]
	v_add_f64 v[30:31], v[4:5], v[24:25]
	;; [unrolled: 1-line block ×4, first 2 shown]
	s_delay_alu instid0(VALU_DEP_4) | instskip(NEXT) | instid1(VALU_DEP_4)
	v_cvt_f32_f64_e32 v28, v[28:29]
	v_cvt_f32_f64_e32 v30, v[30:31]
	s_delay_alu instid0(VALU_DEP_3)
	v_cvt_f32_f64_e32 v24, v[24:25]
	v_cvt_f32_f64_e32 v25, v[26:27]
	s_waitcnt lgkmcnt(1)
	v_add_f64 v[26:27], v[12:13], v[20:21]
	s_waitcnt lgkmcnt(0)
	v_add_f64 v[12:13], v[12:13], v[16:17]
	v_min3_f32 v83, v30, v28, v83
	s_delay_alu instid0(VALU_DEP_4) | instskip(SKIP_4) | instid1(VALU_DEP_4)
	v_min3_f32 v82, v24, v25, v82
	v_add_f64 v[24:25], v[14:15], v[22:23]
	v_cvt_f32_f64_e32 v26, v[26:27]
	v_add_f64 v[14:15], v[14:15], v[18:19]
	v_cvt_f32_f64_e32 v12, v[12:13]
	v_cvt_f32_f64_e32 v24, v[24:25]
	s_delay_alu instid0(VALU_DEP_3) | instskip(NEXT) | instid1(VALU_DEP_2)
	v_cvt_f32_f64_e32 v13, v[14:15]
	v_min3_f32 v81, v26, v24, v81
	v_add_f64 v[24:25], v[10:11], v[22:23]
	v_add_f64 v[26:27], v[8:9], v[20:21]
	;; [unrolled: 1-line block ×4, first 2 shown]
	v_min3_f32 v77, v12, v13, v77
	v_cvt_f32_f64_e32 v24, v[24:25]
	v_cvt_f32_f64_e32 v26, v[26:27]
	s_delay_alu instid0(VALU_DEP_4) | instskip(SKIP_1) | instid1(VALU_DEP_3)
	v_cvt_f32_f64_e32 v8, v[8:9]
	v_cvt_f32_f64_e32 v9, v[10:11]
	v_min3_f32 v80, v26, v24, v80
	v_add_f64 v[24:25], v[6:7], v[22:23]
	v_add_f64 v[26:27], v[4:5], v[20:21]
	v_add_f64 v[22:23], v[2:3], v[22:23]
	v_add_f64 v[20:21], v[0:1], v[20:21]
	v_add_f64 v[6:7], v[6:7], v[18:19]
	v_add_f64 v[4:5], v[4:5], v[16:17]
	v_add_f64 v[2:3], v[2:3], v[18:19]
	v_add_f64 v[0:1], v[0:1], v[16:17]
	v_min3_f32 v76, v8, v9, v76
	v_cvt_f32_f64_e32 v24, v[24:25]
	v_cvt_f32_f64_e32 v26, v[26:27]
	;; [unrolled: 1-line block ×8, first 2 shown]
	v_min3_f32 v79, v26, v24, v79
	v_min3_f32 v78, v20, v21, v78
	;; [unrolled: 1-line block ×3, first 2 shown]
	s_delay_alu instid0(VALU_DEP_4)
	v_min3_f32 v74, v0, v1, v74
	s_cbranch_vccz .LBB162_26
; %bb.27:                               ;   in Loop: Header=BB162_20 Depth=1
	s_and_b32 vcc_lo, exec_lo, s3
	ds_store_2addr_stride64_b64 v141, v[66:67], v[68:69] offset1:4
	ds_store_2addr_stride64_b64 v142, v[70:71], v[72:73] offset1:4
	s_waitcnt lgkmcnt(0)
	s_barrier
	buffer_gl0_inv
	s_cbranch_vccnz .LBB162_30
; %bb.28:                               ;   in Loop: Header=BB162_20 Depth=1
	v_lshlrev_b64 v[0:1], 3, v[64:65]
	s_delay_alu instid0(VALU_DEP_1) | instskip(NEXT) | instid1(VALU_DEP_2)
	v_add_co_u32 v2, vcc_lo, s22, v0
	v_add_co_ci_u32_e32 v3, vcc_lo, s23, v1, vcc_lo
	s_delay_alu instid0(VALU_DEP_2) | instskip(NEXT) | instid1(VALU_DEP_2)
	v_add_co_u32 v0, vcc_lo, v2, v56
	v_add_co_ci_u32_e32 v1, vcc_lo, v3, v57, vcc_lo
	v_add_co_u32 v2, vcc_lo, v2, v58
	v_add_co_ci_u32_e32 v3, vcc_lo, v3, v59, vcc_lo
	s_clause 0x1
	flat_load_b64 v[0:1], v[0:1] offset:32
	flat_load_b64 v[2:3], v[2:3] offset:32
	s_waitcnt vmcnt(1) lgkmcnt(1)
	v_mul_f64 v[66:67], s[20:21], v[0:1]
	s_waitcnt vmcnt(0) lgkmcnt(0)
	v_mul_f64 v[68:69], s[20:21], v[2:3]
	s_and_b32 vcc_lo, exec_lo, s3
	s_cbranch_vccnz .LBB162_31
.LBB162_29:                             ;   in Loop: Header=BB162_20 Depth=1
	v_lshlrev_b64 v[0:1], 3, v[64:65]
	s_delay_alu instid0(VALU_DEP_1) | instskip(NEXT) | instid1(VALU_DEP_2)
	v_add_co_u32 v2, vcc_lo, s18, v0
	v_add_co_ci_u32_e32 v3, vcc_lo, s19, v1, vcc_lo
	s_delay_alu instid0(VALU_DEP_2) | instskip(NEXT) | instid1(VALU_DEP_2)
	v_add_co_u32 v0, vcc_lo, v2, v60
	v_add_co_ci_u32_e32 v1, vcc_lo, v3, v61, vcc_lo
	v_add_co_u32 v2, vcc_lo, v2, v62
	v_add_co_ci_u32_e32 v3, vcc_lo, v3, v63, vcc_lo
	s_clause 0x1
	flat_load_b64 v[0:1], v[0:1] offset:32
	flat_load_b64 v[2:3], v[2:3] offset:32
	s_waitcnt vmcnt(1) lgkmcnt(1)
	v_mul_f64 v[70:71], s[20:21], v[0:1]
	s_waitcnt vmcnt(0) lgkmcnt(0)
	v_mul_f64 v[72:73], s[20:21], v[2:3]
	s_branch .LBB162_32
.LBB162_30:                             ;   in Loop: Header=BB162_20 Depth=1
	v_mov_b32_e32 v66, 0
	v_dual_mov_b32 v67, 0 :: v_dual_mov_b32 v68, 0
	v_mov_b32_e32 v69, 0
	s_and_b32 vcc_lo, exec_lo, s3
	s_cbranch_vccz .LBB162_29
.LBB162_31:                             ;   in Loop: Header=BB162_20 Depth=1
	v_mov_b32_e32 v70, 0
	v_dual_mov_b32 v71, 0 :: v_dual_mov_b32 v72, 0
	v_mov_b32_e32 v73, 0
.LBB162_32:                             ;   in Loop: Header=BB162_20 Depth=1
	s_mov_b32 s17, 0
	s_mov_b32 s16, -1
.LBB162_33:                             ;   Parent Loop BB162_20 Depth=1
                                        ; =>  This Inner Loop Header: Depth=2
	s_lshl_b32 s17, s17, 3
	s_and_not1_b32 vcc_lo, exec_lo, s16
	v_lshl_add_u32 v0, v133, 5, s17
	v_lshl_add_u32 v16, v134, 5, s17
	s_mov_b32 s17, 2
	s_mov_b32 s16, 0
	ds_load_b128 v[12:15], v0
	ds_load_b128 v[8:11], v0 offset:1024
	ds_load_b128 v[4:7], v0 offset:2048
	;; [unrolled: 1-line block ×19, first 2 shown]
	s_waitcnt lgkmcnt(15)
	v_add_f64 v[169:170], v[14:15], v[147:148]
	v_add_f64 v[171:172], v[12:13], v[145:146]
	s_delay_alu instid0(VALU_DEP_2) | instskip(NEXT) | instid1(VALU_DEP_2)
	v_cvt_f32_f64_e32 v169, v[169:170]
	v_cvt_f32_f64_e32 v64, v[171:172]
	v_add_f64 v[171:172], v[8:9], v[145:146]
	s_delay_alu instid0(VALU_DEP_2) | instskip(SKIP_1) | instid1(VALU_DEP_3)
	v_min3_f32 v139, v64, v169, v139
	v_add_f64 v[169:170], v[10:11], v[147:148]
	v_cvt_f32_f64_e32 v64, v[171:172]
	v_add_f64 v[171:172], v[4:5], v[145:146]
	v_add_f64 v[145:146], v[0:1], v[145:146]
	s_delay_alu instid0(VALU_DEP_4) | instskip(NEXT) | instid1(VALU_DEP_1)
	v_cvt_f32_f64_e32 v169, v[169:170]
	v_min3_f32 v138, v64, v169, v138
	v_add_f64 v[169:170], v[6:7], v[147:148]
	v_cvt_f32_f64_e32 v64, v[171:172]
	v_add_f64 v[147:148], v[2:3], v[147:148]
	s_delay_alu instid0(VALU_DEP_3) | instskip(NEXT) | instid1(VALU_DEP_1)
	v_cvt_f32_f64_e32 v169, v[169:170]
	v_min3_f32 v137, v64, v169, v137
	v_cvt_f32_f64_e32 v64, v[145:146]
	s_delay_alu instid0(VALU_DEP_4) | instskip(SKIP_2) | instid1(VALU_DEP_2)
	v_cvt_f32_f64_e32 v145, v[147:148]
	s_waitcnt lgkmcnt(14)
	v_add_f64 v[147:148], v[12:13], v[149:150]
	v_min3_f32 v136, v64, v145, v136
	v_add_f64 v[145:146], v[14:15], v[151:152]
	s_delay_alu instid0(VALU_DEP_3) | instskip(SKIP_1) | instid1(VALU_DEP_3)
	v_cvt_f32_f64_e32 v64, v[147:148]
	v_add_f64 v[147:148], v[8:9], v[149:150]
	v_cvt_f32_f64_e32 v145, v[145:146]
	s_delay_alu instid0(VALU_DEP_1) | instskip(SKIP_1) | instid1(VALU_DEP_4)
	v_min3_f32 v135, v64, v145, v135
	v_add_f64 v[145:146], v[10:11], v[151:152]
	v_cvt_f32_f64_e32 v64, v[147:148]
	v_add_f64 v[147:148], v[4:5], v[149:150]
	s_delay_alu instid0(VALU_DEP_3) | instskip(NEXT) | instid1(VALU_DEP_1)
	v_cvt_f32_f64_e32 v145, v[145:146]
	v_min3_f32 v132, v64, v145, v132
	v_add_f64 v[145:146], v[6:7], v[151:152]
	s_delay_alu instid0(VALU_DEP_4) | instskip(SKIP_1) | instid1(VALU_DEP_3)
	v_cvt_f32_f64_e32 v64, v[147:148]
	v_add_f64 v[147:148], v[0:1], v[149:150]
	v_cvt_f32_f64_e32 v145, v[145:146]
	s_delay_alu instid0(VALU_DEP_1) | instskip(SKIP_1) | instid1(VALU_DEP_4)
	v_min3_f32 v131, v64, v145, v131
	v_add_f64 v[145:146], v[2:3], v[151:152]
	v_cvt_f32_f64_e32 v64, v[147:148]
	s_waitcnt lgkmcnt(13)
	v_add_f64 v[147:148], v[12:13], v[153:154]
	s_delay_alu instid0(VALU_DEP_3) | instskip(NEXT) | instid1(VALU_DEP_1)
	v_cvt_f32_f64_e32 v145, v[145:146]
	v_min3_f32 v130, v64, v145, v130
	v_add_f64 v[145:146], v[14:15], v[155:156]
	s_delay_alu instid0(VALU_DEP_4) | instskip(SKIP_1) | instid1(VALU_DEP_3)
	v_cvt_f32_f64_e32 v64, v[147:148]
	v_add_f64 v[147:148], v[8:9], v[153:154]
	v_cvt_f32_f64_e32 v145, v[145:146]
	s_delay_alu instid0(VALU_DEP_1) | instskip(SKIP_1) | instid1(VALU_DEP_4)
	v_min3_f32 v129, v64, v145, v129
	v_add_f64 v[145:146], v[10:11], v[155:156]
	v_cvt_f32_f64_e32 v64, v[147:148]
	v_add_f64 v[147:148], v[4:5], v[153:154]
	s_delay_alu instid0(VALU_DEP_3) | instskip(NEXT) | instid1(VALU_DEP_1)
	v_cvt_f32_f64_e32 v145, v[145:146]
	v_min3_f32 v128, v64, v145, v128
	v_add_f64 v[145:146], v[6:7], v[155:156]
	s_delay_alu instid0(VALU_DEP_4) | instskip(SKIP_1) | instid1(VALU_DEP_3)
	v_cvt_f32_f64_e32 v64, v[147:148]
	v_add_f64 v[147:148], v[0:1], v[153:154]
	v_cvt_f32_f64_e32 v145, v[145:146]
	s_delay_alu instid0(VALU_DEP_1) | instskip(SKIP_1) | instid1(VALU_DEP_4)
	v_min3_f32 v127, v64, v145, v127
	v_add_f64 v[145:146], v[2:3], v[155:156]
	v_cvt_f32_f64_e32 v64, v[147:148]
	s_waitcnt lgkmcnt(12)
	v_add_f64 v[147:148], v[12:13], v[157:158]
	s_delay_alu instid0(VALU_DEP_3) | instskip(NEXT) | instid1(VALU_DEP_1)
	v_cvt_f32_f64_e32 v145, v[145:146]
	v_min3_f32 v126, v64, v145, v126
	v_add_f64 v[145:146], v[14:15], v[159:160]
	s_delay_alu instid0(VALU_DEP_4) | instskip(SKIP_1) | instid1(VALU_DEP_3)
	;; [unrolled: 27-line block ×5, first 2 shown]
	v_cvt_f32_f64_e32 v64, v[147:148]
	v_add_f64 v[147:148], v[8:9], v[52:53]
	v_cvt_f32_f64_e32 v145, v[145:146]
	s_delay_alu instid0(VALU_DEP_1) | instskip(SKIP_1) | instid1(VALU_DEP_4)
	v_min3_f32 v113, v64, v145, v113
	v_add_f64 v[145:146], v[10:11], v[54:55]
	v_cvt_f32_f64_e32 v64, v[147:148]
	v_add_f64 v[147:148], v[4:5], v[52:53]
	v_add_f64 v[52:53], v[0:1], v[52:53]
	s_delay_alu instid0(VALU_DEP_4) | instskip(NEXT) | instid1(VALU_DEP_2)
	v_cvt_f32_f64_e32 v145, v[145:146]
	v_cvt_f32_f64_e32 v52, v[52:53]
	s_delay_alu instid0(VALU_DEP_2) | instskip(SKIP_3) | instid1(VALU_DEP_3)
	v_min3_f32 v112, v64, v145, v112
	v_add_f64 v[145:146], v[6:7], v[54:55]
	v_add_f64 v[54:55], v[2:3], v[54:55]
	v_cvt_f32_f64_e32 v64, v[147:148]
	v_cvt_f32_f64_e32 v145, v[145:146]
	s_delay_alu instid0(VALU_DEP_3) | instskip(SKIP_2) | instid1(VALU_DEP_3)
	v_cvt_f32_f64_e32 v53, v[54:55]
	s_waitcnt lgkmcnt(8)
	v_add_f64 v[54:55], v[12:13], v[48:49]
	v_min3_f32 v111, v64, v145, v111
	s_delay_alu instid0(VALU_DEP_3) | instskip(SKIP_1) | instid1(VALU_DEP_4)
	v_min3_f32 v110, v52, v53, v110
	v_add_f64 v[52:53], v[14:15], v[50:51]
	v_cvt_f32_f64_e32 v54, v[54:55]
	s_delay_alu instid0(VALU_DEP_2) | instskip(NEXT) | instid1(VALU_DEP_1)
	v_cvt_f32_f64_e32 v52, v[52:53]
	v_min3_f32 v109, v54, v52, v109
	v_add_f64 v[52:53], v[10:11], v[50:51]
	v_add_f64 v[54:55], v[8:9], v[48:49]
	s_delay_alu instid0(VALU_DEP_2) | instskip(NEXT) | instid1(VALU_DEP_2)
	v_cvt_f32_f64_e32 v52, v[52:53]
	v_cvt_f32_f64_e32 v54, v[54:55]
	s_delay_alu instid0(VALU_DEP_1) | instskip(SKIP_4) | instid1(VALU_DEP_4)
	v_min3_f32 v108, v54, v52, v108
	v_add_f64 v[52:53], v[6:7], v[50:51]
	v_add_f64 v[54:55], v[4:5], v[48:49]
	v_add_f64 v[50:51], v[2:3], v[50:51]
	v_add_f64 v[48:49], v[0:1], v[48:49]
	v_cvt_f32_f64_e32 v52, v[52:53]
	s_delay_alu instid0(VALU_DEP_4) | instskip(NEXT) | instid1(VALU_DEP_3)
	v_cvt_f32_f64_e32 v54, v[54:55]
	v_cvt_f32_f64_e32 v48, v[48:49]
	v_cvt_f32_f64_e32 v49, v[50:51]
	s_waitcnt lgkmcnt(7)
	v_add_f64 v[50:51], v[12:13], v[44:45]
	s_delay_alu instid0(VALU_DEP_4) | instskip(NEXT) | instid1(VALU_DEP_3)
	v_min3_f32 v107, v54, v52, v107
	v_min3_f32 v106, v48, v49, v106
	v_add_f64 v[48:49], v[14:15], v[46:47]
	s_delay_alu instid0(VALU_DEP_4) | instskip(NEXT) | instid1(VALU_DEP_2)
	v_cvt_f32_f64_e32 v50, v[50:51]
	v_cvt_f32_f64_e32 v48, v[48:49]
	s_delay_alu instid0(VALU_DEP_1) | instskip(SKIP_2) | instid1(VALU_DEP_2)
	v_min3_f32 v105, v50, v48, v105
	v_add_f64 v[48:49], v[10:11], v[46:47]
	v_add_f64 v[50:51], v[8:9], v[44:45]
	v_cvt_f32_f64_e32 v48, v[48:49]
	s_delay_alu instid0(VALU_DEP_2) | instskip(NEXT) | instid1(VALU_DEP_1)
	v_cvt_f32_f64_e32 v50, v[50:51]
	v_min3_f32 v104, v50, v48, v104
	v_add_f64 v[48:49], v[6:7], v[46:47]
	v_add_f64 v[50:51], v[4:5], v[44:45]
	v_add_f64 v[46:47], v[2:3], v[46:47]
	v_add_f64 v[44:45], v[0:1], v[44:45]
	s_delay_alu instid0(VALU_DEP_4) | instskip(NEXT) | instid1(VALU_DEP_4)
	v_cvt_f32_f64_e32 v48, v[48:49]
	v_cvt_f32_f64_e32 v50, v[50:51]
	s_delay_alu instid0(VALU_DEP_3) | instskip(SKIP_3) | instid1(VALU_DEP_4)
	v_cvt_f32_f64_e32 v44, v[44:45]
	v_cvt_f32_f64_e32 v45, v[46:47]
	s_waitcnt lgkmcnt(6)
	v_add_f64 v[46:47], v[12:13], v[40:41]
	v_min3_f32 v103, v50, v48, v103
	s_delay_alu instid0(VALU_DEP_3) | instskip(SKIP_1) | instid1(VALU_DEP_4)
	v_min3_f32 v102, v44, v45, v102
	v_add_f64 v[44:45], v[14:15], v[42:43]
	v_cvt_f32_f64_e32 v46, v[46:47]
	s_delay_alu instid0(VALU_DEP_2) | instskip(NEXT) | instid1(VALU_DEP_1)
	v_cvt_f32_f64_e32 v44, v[44:45]
	v_min3_f32 v101, v46, v44, v101
	v_add_f64 v[44:45], v[10:11], v[42:43]
	v_add_f64 v[46:47], v[8:9], v[40:41]
	s_delay_alu instid0(VALU_DEP_2) | instskip(NEXT) | instid1(VALU_DEP_2)
	v_cvt_f32_f64_e32 v44, v[44:45]
	v_cvt_f32_f64_e32 v46, v[46:47]
	s_delay_alu instid0(VALU_DEP_1) | instskip(SKIP_4) | instid1(VALU_DEP_4)
	v_min3_f32 v100, v46, v44, v100
	v_add_f64 v[44:45], v[6:7], v[42:43]
	v_add_f64 v[46:47], v[4:5], v[40:41]
	v_add_f64 v[42:43], v[2:3], v[42:43]
	v_add_f64 v[40:41], v[0:1], v[40:41]
	v_cvt_f32_f64_e32 v44, v[44:45]
	s_delay_alu instid0(VALU_DEP_4) | instskip(NEXT) | instid1(VALU_DEP_3)
	v_cvt_f32_f64_e32 v46, v[46:47]
	v_cvt_f32_f64_e32 v40, v[40:41]
	v_cvt_f32_f64_e32 v41, v[42:43]
	s_waitcnt lgkmcnt(5)
	v_add_f64 v[42:43], v[12:13], v[36:37]
	s_delay_alu instid0(VALU_DEP_4) | instskip(NEXT) | instid1(VALU_DEP_3)
	v_min3_f32 v99, v46, v44, v99
	v_min3_f32 v98, v40, v41, v98
	v_add_f64 v[40:41], v[14:15], v[38:39]
	s_delay_alu instid0(VALU_DEP_4) | instskip(NEXT) | instid1(VALU_DEP_2)
	v_cvt_f32_f64_e32 v42, v[42:43]
	v_cvt_f32_f64_e32 v40, v[40:41]
	s_delay_alu instid0(VALU_DEP_1) | instskip(SKIP_2) | instid1(VALU_DEP_2)
	v_min3_f32 v97, v42, v40, v97
	v_add_f64 v[40:41], v[10:11], v[38:39]
	v_add_f64 v[42:43], v[8:9], v[36:37]
	v_cvt_f32_f64_e32 v40, v[40:41]
	s_delay_alu instid0(VALU_DEP_2) | instskip(NEXT) | instid1(VALU_DEP_1)
	v_cvt_f32_f64_e32 v42, v[42:43]
	v_min3_f32 v96, v42, v40, v96
	v_add_f64 v[40:41], v[6:7], v[38:39]
	v_add_f64 v[42:43], v[4:5], v[36:37]
	v_add_f64 v[38:39], v[2:3], v[38:39]
	v_add_f64 v[36:37], v[0:1], v[36:37]
	s_delay_alu instid0(VALU_DEP_4) | instskip(NEXT) | instid1(VALU_DEP_4)
	v_cvt_f32_f64_e32 v40, v[40:41]
	v_cvt_f32_f64_e32 v42, v[42:43]
	s_delay_alu instid0(VALU_DEP_3) | instskip(SKIP_3) | instid1(VALU_DEP_4)
	v_cvt_f32_f64_e32 v36, v[36:37]
	;; [unrolled: 53-line block ×3, first 2 shown]
	v_cvt_f32_f64_e32 v29, v[30:31]
	s_waitcnt lgkmcnt(2)
	v_add_f64 v[30:31], v[12:13], v[24:25]
	v_min3_f32 v87, v34, v32, v87
	s_delay_alu instid0(VALU_DEP_3) | instskip(SKIP_1) | instid1(VALU_DEP_4)
	v_min3_f32 v86, v28, v29, v86
	v_add_f64 v[28:29], v[14:15], v[26:27]
	v_cvt_f32_f64_e32 v30, v[30:31]
	s_delay_alu instid0(VALU_DEP_2) | instskip(NEXT) | instid1(VALU_DEP_1)
	v_cvt_f32_f64_e32 v28, v[28:29]
	v_min3_f32 v85, v30, v28, v85
	v_add_f64 v[28:29], v[10:11], v[26:27]
	v_add_f64 v[30:31], v[8:9], v[24:25]
	s_delay_alu instid0(VALU_DEP_2) | instskip(NEXT) | instid1(VALU_DEP_2)
	v_cvt_f32_f64_e32 v28, v[28:29]
	v_cvt_f32_f64_e32 v30, v[30:31]
	s_delay_alu instid0(VALU_DEP_1) | instskip(SKIP_4) | instid1(VALU_DEP_4)
	v_min3_f32 v84, v30, v28, v84
	v_add_f64 v[28:29], v[6:7], v[26:27]
	v_add_f64 v[30:31], v[4:5], v[24:25]
	;; [unrolled: 1-line block ×4, first 2 shown]
	v_cvt_f32_f64_e32 v28, v[28:29]
	s_delay_alu instid0(VALU_DEP_4) | instskip(NEXT) | instid1(VALU_DEP_3)
	v_cvt_f32_f64_e32 v30, v[30:31]
	v_cvt_f32_f64_e32 v24, v[24:25]
	;; [unrolled: 1-line block ×3, first 2 shown]
	s_waitcnt lgkmcnt(1)
	v_add_f64 v[26:27], v[12:13], v[20:21]
	s_waitcnt lgkmcnt(0)
	v_add_f64 v[12:13], v[12:13], v[16:17]
	v_min3_f32 v83, v30, v28, v83
	s_delay_alu instid0(VALU_DEP_4) | instskip(SKIP_4) | instid1(VALU_DEP_4)
	v_min3_f32 v82, v24, v25, v82
	v_add_f64 v[24:25], v[14:15], v[22:23]
	v_cvt_f32_f64_e32 v26, v[26:27]
	v_add_f64 v[14:15], v[14:15], v[18:19]
	v_cvt_f32_f64_e32 v12, v[12:13]
	v_cvt_f32_f64_e32 v24, v[24:25]
	s_delay_alu instid0(VALU_DEP_3) | instskip(NEXT) | instid1(VALU_DEP_2)
	v_cvt_f32_f64_e32 v13, v[14:15]
	v_min3_f32 v81, v26, v24, v81
	v_add_f64 v[24:25], v[10:11], v[22:23]
	v_add_f64 v[26:27], v[8:9], v[20:21]
	;; [unrolled: 1-line block ×4, first 2 shown]
	v_min3_f32 v77, v12, v13, v77
	v_cvt_f32_f64_e32 v24, v[24:25]
	v_cvt_f32_f64_e32 v26, v[26:27]
	s_delay_alu instid0(VALU_DEP_4) | instskip(SKIP_1) | instid1(VALU_DEP_3)
	v_cvt_f32_f64_e32 v8, v[8:9]
	v_cvt_f32_f64_e32 v9, v[10:11]
	v_min3_f32 v80, v26, v24, v80
	v_add_f64 v[24:25], v[6:7], v[22:23]
	v_add_f64 v[26:27], v[4:5], v[20:21]
	;; [unrolled: 1-line block ×8, first 2 shown]
	v_min3_f32 v76, v8, v9, v76
	v_cvt_f32_f64_e32 v24, v[24:25]
	v_cvt_f32_f64_e32 v26, v[26:27]
	;; [unrolled: 1-line block ×8, first 2 shown]
	v_min3_f32 v79, v26, v24, v79
	v_min3_f32 v78, v20, v21, v78
	v_min3_f32 v75, v4, v5, v75
	s_delay_alu instid0(VALU_DEP_4)
	v_min3_f32 v74, v0, v1, v74
	s_cbranch_vccz .LBB162_33
; %bb.34:                               ;   in Loop: Header=BB162_20 Depth=1
	s_add_i32 s15, s15, 8
	s_add_i32 s13, s13, 8
	s_cmp_ge_i32 s15, s14
	ds_store_2addr_stride64_b64 v143, v[66:67], v[68:69] offset1:4
	ds_store_2addr_stride64_b64 v144, v[70:71], v[72:73] offset1:4
	s_waitcnt lgkmcnt(0)
	s_barrier
	buffer_gl0_inv
	s_cbranch_scc0 .LBB162_20
.LBB162_35:
	s_mov_b32 s13, 0
	s_mov_b32 s3, -1
.LBB162_36:                             ; =>This Inner Loop Header: Depth=1
	s_lshl_b32 s13, s13, 3
	s_and_not1_b32 vcc_lo, exec_lo, s3
	v_lshl_add_u32 v0, v133, 5, s13
	v_lshl_add_u32 v16, v134, 5, s13
	s_mov_b32 s13, 2
	s_mov_b32 s3, 0
	ds_load_b128 v[12:15], v0 offset:4096
	ds_load_b128 v[8:11], v0 offset:5120
	;; [unrolled: 1-line block ×20, first 2 shown]
	s_waitcnt lgkmcnt(15)
	v_add_f64 v[72:73], v[14:15], v[58:59]
	v_add_f64 v[148:149], v[12:13], v[56:57]
	s_delay_alu instid0(VALU_DEP_2) | instskip(NEXT) | instid1(VALU_DEP_2)
	v_cvt_f32_f64_e32 v72, v[72:73]
	v_cvt_f32_f64_e32 v148, v[148:149]
	s_delay_alu instid0(VALU_DEP_1) | instskip(SKIP_2) | instid1(VALU_DEP_2)
	v_min3_f32 v139, v148, v72, v139
	v_add_f64 v[72:73], v[10:11], v[58:59]
	v_add_f64 v[148:149], v[8:9], v[56:57]
	v_cvt_f32_f64_e32 v72, v[72:73]
	s_delay_alu instid0(VALU_DEP_2) | instskip(NEXT) | instid1(VALU_DEP_1)
	v_cvt_f32_f64_e32 v148, v[148:149]
	v_min3_f32 v138, v148, v72, v138
	v_add_f64 v[72:73], v[6:7], v[58:59]
	v_add_f64 v[148:149], v[4:5], v[56:57]
	v_add_f64 v[58:59], v[2:3], v[58:59]
	v_add_f64 v[56:57], v[0:1], v[56:57]
	s_delay_alu instid0(VALU_DEP_4) | instskip(NEXT) | instid1(VALU_DEP_4)
	v_cvt_f32_f64_e32 v72, v[72:73]
	v_cvt_f32_f64_e32 v148, v[148:149]
	s_delay_alu instid0(VALU_DEP_3) | instskip(SKIP_3) | instid1(VALU_DEP_4)
	v_cvt_f32_f64_e32 v56, v[56:57]
	v_cvt_f32_f64_e32 v57, v[58:59]
	s_waitcnt lgkmcnt(14)
	v_add_f64 v[58:59], v[12:13], v[60:61]
	v_min3_f32 v137, v148, v72, v137
	s_delay_alu instid0(VALU_DEP_3) | instskip(SKIP_1) | instid1(VALU_DEP_4)
	v_min3_f32 v136, v56, v57, v136
	v_add_f64 v[56:57], v[14:15], v[62:63]
	v_cvt_f32_f64_e32 v58, v[58:59]
	s_delay_alu instid0(VALU_DEP_2) | instskip(NEXT) | instid1(VALU_DEP_1)
	v_cvt_f32_f64_e32 v56, v[56:57]
	v_min3_f32 v135, v58, v56, v135
	v_add_f64 v[56:57], v[10:11], v[62:63]
	v_add_f64 v[58:59], v[8:9], v[60:61]
	s_delay_alu instid0(VALU_DEP_2) | instskip(NEXT) | instid1(VALU_DEP_2)
	v_cvt_f32_f64_e32 v56, v[56:57]
	v_cvt_f32_f64_e32 v58, v[58:59]
	s_delay_alu instid0(VALU_DEP_1) | instskip(SKIP_2) | instid1(VALU_DEP_2)
	v_min3_f32 v132, v58, v56, v132
	v_add_f64 v[56:57], v[6:7], v[62:63]
	v_add_f64 v[58:59], v[4:5], v[60:61]
	v_cvt_f32_f64_e32 v56, v[56:57]
	s_delay_alu instid0(VALU_DEP_2) | instskip(NEXT) | instid1(VALU_DEP_1)
	v_cvt_f32_f64_e32 v58, v[58:59]
	v_min3_f32 v131, v58, v56, v131
	v_add_f64 v[56:57], v[2:3], v[62:63]
	v_add_f64 v[58:59], v[0:1], v[60:61]
	s_delay_alu instid0(VALU_DEP_2) | instskip(NEXT) | instid1(VALU_DEP_2)
	v_cvt_f32_f64_e32 v56, v[56:57]
	v_cvt_f32_f64_e32 v58, v[58:59]
	s_delay_alu instid0(VALU_DEP_1) | instskip(SKIP_3) | instid1(VALU_DEP_2)
	v_min3_f32 v130, v58, v56, v130
	s_waitcnt lgkmcnt(13)
	v_add_f64 v[56:57], v[14:15], v[66:67]
	v_add_f64 v[58:59], v[12:13], v[64:65]
	v_cvt_f32_f64_e32 v56, v[56:57]
	s_delay_alu instid0(VALU_DEP_2) | instskip(NEXT) | instid1(VALU_DEP_1)
	v_cvt_f32_f64_e32 v58, v[58:59]
	v_min3_f32 v129, v58, v56, v129
	v_add_f64 v[56:57], v[10:11], v[66:67]
	v_add_f64 v[58:59], v[8:9], v[64:65]
	s_delay_alu instid0(VALU_DEP_2) | instskip(NEXT) | instid1(VALU_DEP_2)
	v_cvt_f32_f64_e32 v56, v[56:57]
	v_cvt_f32_f64_e32 v58, v[58:59]
	s_delay_alu instid0(VALU_DEP_1) | instskip(SKIP_2) | instid1(VALU_DEP_2)
	v_min3_f32 v128, v58, v56, v128
	v_add_f64 v[56:57], v[6:7], v[66:67]
	v_add_f64 v[58:59], v[4:5], v[64:65]
	v_cvt_f32_f64_e32 v56, v[56:57]
	s_delay_alu instid0(VALU_DEP_2) | instskip(NEXT) | instid1(VALU_DEP_1)
	v_cvt_f32_f64_e32 v58, v[58:59]
	v_min3_f32 v127, v58, v56, v127
	v_add_f64 v[56:57], v[2:3], v[66:67]
	v_add_f64 v[58:59], v[0:1], v[64:65]
	s_delay_alu instid0(VALU_DEP_2) | instskip(NEXT) | instid1(VALU_DEP_2)
	v_cvt_f32_f64_e32 v56, v[56:57]
	v_cvt_f32_f64_e32 v58, v[58:59]
	s_delay_alu instid0(VALU_DEP_1) | instskip(SKIP_3) | instid1(VALU_DEP_2)
	v_min3_f32 v126, v58, v56, v126
	s_waitcnt lgkmcnt(12)
	v_add_f64 v[56:57], v[14:15], v[70:71]
	;; [unrolled: 27-line block ×5, first 2 shown]
	v_add_f64 v[58:59], v[12:13], v[52:53]
	v_cvt_f32_f64_e32 v56, v[56:57]
	s_delay_alu instid0(VALU_DEP_2) | instskip(NEXT) | instid1(VALU_DEP_1)
	v_cvt_f32_f64_e32 v58, v[58:59]
	v_min3_f32 v113, v58, v56, v113
	v_add_f64 v[56:57], v[10:11], v[54:55]
	v_add_f64 v[58:59], v[8:9], v[52:53]
	s_delay_alu instid0(VALU_DEP_2) | instskip(NEXT) | instid1(VALU_DEP_2)
	v_cvt_f32_f64_e32 v56, v[56:57]
	v_cvt_f32_f64_e32 v58, v[58:59]
	s_delay_alu instid0(VALU_DEP_1) | instskip(SKIP_4) | instid1(VALU_DEP_4)
	v_min3_f32 v112, v58, v56, v112
	v_add_f64 v[56:57], v[6:7], v[54:55]
	v_add_f64 v[58:59], v[4:5], v[52:53]
	v_add_f64 v[54:55], v[2:3], v[54:55]
	v_add_f64 v[52:53], v[0:1], v[52:53]
	v_cvt_f32_f64_e32 v56, v[56:57]
	s_delay_alu instid0(VALU_DEP_4) | instskip(NEXT) | instid1(VALU_DEP_3)
	v_cvt_f32_f64_e32 v58, v[58:59]
	v_cvt_f32_f64_e32 v52, v[52:53]
	v_cvt_f32_f64_e32 v53, v[54:55]
	s_waitcnt lgkmcnt(8)
	v_add_f64 v[54:55], v[12:13], v[48:49]
	s_delay_alu instid0(VALU_DEP_4) | instskip(NEXT) | instid1(VALU_DEP_3)
	v_min3_f32 v111, v58, v56, v111
	v_min3_f32 v110, v52, v53, v110
	v_add_f64 v[52:53], v[14:15], v[50:51]
	s_delay_alu instid0(VALU_DEP_4) | instskip(NEXT) | instid1(VALU_DEP_2)
	v_cvt_f32_f64_e32 v54, v[54:55]
	v_cvt_f32_f64_e32 v52, v[52:53]
	s_delay_alu instid0(VALU_DEP_1) | instskip(SKIP_2) | instid1(VALU_DEP_2)
	v_min3_f32 v109, v54, v52, v109
	v_add_f64 v[52:53], v[10:11], v[50:51]
	v_add_f64 v[54:55], v[8:9], v[48:49]
	v_cvt_f32_f64_e32 v52, v[52:53]
	s_delay_alu instid0(VALU_DEP_2) | instskip(NEXT) | instid1(VALU_DEP_1)
	v_cvt_f32_f64_e32 v54, v[54:55]
	v_min3_f32 v108, v54, v52, v108
	v_add_f64 v[52:53], v[6:7], v[50:51]
	v_add_f64 v[54:55], v[4:5], v[48:49]
	v_add_f64 v[50:51], v[2:3], v[50:51]
	v_add_f64 v[48:49], v[0:1], v[48:49]
	s_delay_alu instid0(VALU_DEP_4) | instskip(NEXT) | instid1(VALU_DEP_4)
	v_cvt_f32_f64_e32 v52, v[52:53]
	v_cvt_f32_f64_e32 v54, v[54:55]
	s_delay_alu instid0(VALU_DEP_3) | instskip(SKIP_3) | instid1(VALU_DEP_4)
	v_cvt_f32_f64_e32 v48, v[48:49]
	v_cvt_f32_f64_e32 v49, v[50:51]
	s_waitcnt lgkmcnt(7)
	v_add_f64 v[50:51], v[12:13], v[44:45]
	v_min3_f32 v107, v54, v52, v107
	s_delay_alu instid0(VALU_DEP_3) | instskip(SKIP_1) | instid1(VALU_DEP_4)
	v_min3_f32 v106, v48, v49, v106
	v_add_f64 v[48:49], v[14:15], v[46:47]
	v_cvt_f32_f64_e32 v50, v[50:51]
	s_delay_alu instid0(VALU_DEP_2) | instskip(NEXT) | instid1(VALU_DEP_1)
	v_cvt_f32_f64_e32 v48, v[48:49]
	v_min3_f32 v105, v50, v48, v105
	v_add_f64 v[48:49], v[10:11], v[46:47]
	v_add_f64 v[50:51], v[8:9], v[44:45]
	s_delay_alu instid0(VALU_DEP_2) | instskip(NEXT) | instid1(VALU_DEP_2)
	v_cvt_f32_f64_e32 v48, v[48:49]
	v_cvt_f32_f64_e32 v50, v[50:51]
	s_delay_alu instid0(VALU_DEP_1) | instskip(SKIP_4) | instid1(VALU_DEP_4)
	v_min3_f32 v104, v50, v48, v104
	v_add_f64 v[48:49], v[6:7], v[46:47]
	v_add_f64 v[50:51], v[4:5], v[44:45]
	v_add_f64 v[46:47], v[2:3], v[46:47]
	v_add_f64 v[44:45], v[0:1], v[44:45]
	v_cvt_f32_f64_e32 v48, v[48:49]
	s_delay_alu instid0(VALU_DEP_4) | instskip(NEXT) | instid1(VALU_DEP_3)
	v_cvt_f32_f64_e32 v50, v[50:51]
	v_cvt_f32_f64_e32 v44, v[44:45]
	v_cvt_f32_f64_e32 v45, v[46:47]
	s_waitcnt lgkmcnt(6)
	v_add_f64 v[46:47], v[12:13], v[40:41]
	s_delay_alu instid0(VALU_DEP_4) | instskip(NEXT) | instid1(VALU_DEP_3)
	v_min3_f32 v103, v50, v48, v103
	v_min3_f32 v102, v44, v45, v102
	v_add_f64 v[44:45], v[14:15], v[42:43]
	s_delay_alu instid0(VALU_DEP_4) | instskip(NEXT) | instid1(VALU_DEP_2)
	v_cvt_f32_f64_e32 v46, v[46:47]
	v_cvt_f32_f64_e32 v44, v[44:45]
	s_delay_alu instid0(VALU_DEP_1) | instskip(SKIP_2) | instid1(VALU_DEP_2)
	v_min3_f32 v101, v46, v44, v101
	v_add_f64 v[44:45], v[10:11], v[42:43]
	v_add_f64 v[46:47], v[8:9], v[40:41]
	v_cvt_f32_f64_e32 v44, v[44:45]
	s_delay_alu instid0(VALU_DEP_2) | instskip(NEXT) | instid1(VALU_DEP_1)
	v_cvt_f32_f64_e32 v46, v[46:47]
	v_min3_f32 v100, v46, v44, v100
	v_add_f64 v[44:45], v[6:7], v[42:43]
	v_add_f64 v[46:47], v[4:5], v[40:41]
	v_add_f64 v[42:43], v[2:3], v[42:43]
	v_add_f64 v[40:41], v[0:1], v[40:41]
	s_delay_alu instid0(VALU_DEP_4) | instskip(NEXT) | instid1(VALU_DEP_4)
	v_cvt_f32_f64_e32 v44, v[44:45]
	v_cvt_f32_f64_e32 v46, v[46:47]
	s_delay_alu instid0(VALU_DEP_3) | instskip(SKIP_3) | instid1(VALU_DEP_4)
	v_cvt_f32_f64_e32 v40, v[40:41]
	v_cvt_f32_f64_e32 v41, v[42:43]
	s_waitcnt lgkmcnt(5)
	v_add_f64 v[42:43], v[12:13], v[36:37]
	v_min3_f32 v99, v46, v44, v99
	s_delay_alu instid0(VALU_DEP_3) | instskip(SKIP_1) | instid1(VALU_DEP_4)
	v_min3_f32 v98, v40, v41, v98
	;; [unrolled: 53-line block ×3, first 2 shown]
	v_add_f64 v[32:33], v[14:15], v[30:31]
	v_cvt_f32_f64_e32 v34, v[34:35]
	s_delay_alu instid0(VALU_DEP_2) | instskip(NEXT) | instid1(VALU_DEP_1)
	v_cvt_f32_f64_e32 v32, v[32:33]
	v_min3_f32 v89, v34, v32, v89
	v_add_f64 v[32:33], v[10:11], v[30:31]
	v_add_f64 v[34:35], v[8:9], v[28:29]
	s_delay_alu instid0(VALU_DEP_2) | instskip(NEXT) | instid1(VALU_DEP_2)
	v_cvt_f32_f64_e32 v32, v[32:33]
	v_cvt_f32_f64_e32 v34, v[34:35]
	s_delay_alu instid0(VALU_DEP_1) | instskip(SKIP_4) | instid1(VALU_DEP_4)
	v_min3_f32 v88, v34, v32, v88
	v_add_f64 v[32:33], v[6:7], v[30:31]
	v_add_f64 v[34:35], v[4:5], v[28:29]
	;; [unrolled: 1-line block ×4, first 2 shown]
	v_cvt_f32_f64_e32 v32, v[32:33]
	s_delay_alu instid0(VALU_DEP_4) | instskip(NEXT) | instid1(VALU_DEP_3)
	v_cvt_f32_f64_e32 v34, v[34:35]
	v_cvt_f32_f64_e32 v28, v[28:29]
	;; [unrolled: 1-line block ×3, first 2 shown]
	s_waitcnt lgkmcnt(2)
	v_add_f64 v[30:31], v[12:13], v[24:25]
	s_delay_alu instid0(VALU_DEP_4) | instskip(NEXT) | instid1(VALU_DEP_3)
	v_min3_f32 v87, v34, v32, v87
	v_min3_f32 v86, v28, v29, v86
	v_add_f64 v[28:29], v[14:15], v[26:27]
	s_delay_alu instid0(VALU_DEP_4) | instskip(NEXT) | instid1(VALU_DEP_2)
	v_cvt_f32_f64_e32 v30, v[30:31]
	v_cvt_f32_f64_e32 v28, v[28:29]
	s_delay_alu instid0(VALU_DEP_1) | instskip(SKIP_2) | instid1(VALU_DEP_2)
	v_min3_f32 v85, v30, v28, v85
	v_add_f64 v[28:29], v[10:11], v[26:27]
	v_add_f64 v[30:31], v[8:9], v[24:25]
	v_cvt_f32_f64_e32 v28, v[28:29]
	s_delay_alu instid0(VALU_DEP_2) | instskip(NEXT) | instid1(VALU_DEP_1)
	v_cvt_f32_f64_e32 v30, v[30:31]
	v_min3_f32 v84, v30, v28, v84
	v_add_f64 v[28:29], v[6:7], v[26:27]
	v_add_f64 v[30:31], v[4:5], v[24:25]
	;; [unrolled: 1-line block ×4, first 2 shown]
	s_delay_alu instid0(VALU_DEP_4) | instskip(NEXT) | instid1(VALU_DEP_4)
	v_cvt_f32_f64_e32 v28, v[28:29]
	v_cvt_f32_f64_e32 v30, v[30:31]
	s_delay_alu instid0(VALU_DEP_3)
	v_cvt_f32_f64_e32 v24, v[24:25]
	v_cvt_f32_f64_e32 v25, v[26:27]
	s_waitcnt lgkmcnt(1)
	v_add_f64 v[26:27], v[12:13], v[20:21]
	s_waitcnt lgkmcnt(0)
	v_add_f64 v[12:13], v[12:13], v[16:17]
	v_min3_f32 v83, v30, v28, v83
	s_delay_alu instid0(VALU_DEP_4) | instskip(SKIP_4) | instid1(VALU_DEP_4)
	v_min3_f32 v82, v24, v25, v82
	v_add_f64 v[24:25], v[14:15], v[22:23]
	v_cvt_f32_f64_e32 v26, v[26:27]
	v_add_f64 v[14:15], v[14:15], v[18:19]
	v_cvt_f32_f64_e32 v12, v[12:13]
	v_cvt_f32_f64_e32 v24, v[24:25]
	s_delay_alu instid0(VALU_DEP_3) | instskip(NEXT) | instid1(VALU_DEP_2)
	v_cvt_f32_f64_e32 v13, v[14:15]
	v_min3_f32 v81, v26, v24, v81
	v_add_f64 v[24:25], v[10:11], v[22:23]
	v_add_f64 v[26:27], v[8:9], v[20:21]
	;; [unrolled: 1-line block ×4, first 2 shown]
	v_min3_f32 v77, v12, v13, v77
	v_cvt_f32_f64_e32 v24, v[24:25]
	v_cvt_f32_f64_e32 v26, v[26:27]
	s_delay_alu instid0(VALU_DEP_4) | instskip(SKIP_1) | instid1(VALU_DEP_3)
	v_cvt_f32_f64_e32 v8, v[8:9]
	v_cvt_f32_f64_e32 v9, v[10:11]
	v_min3_f32 v80, v26, v24, v80
	v_add_f64 v[24:25], v[6:7], v[22:23]
	v_add_f64 v[26:27], v[4:5], v[20:21]
	;; [unrolled: 1-line block ×8, first 2 shown]
	v_min3_f32 v76, v8, v9, v76
	v_cvt_f32_f64_e32 v24, v[24:25]
	v_cvt_f32_f64_e32 v26, v[26:27]
	;; [unrolled: 1-line block ×8, first 2 shown]
	v_min3_f32 v79, v26, v24, v79
	v_min3_f32 v78, v20, v21, v78
	;; [unrolled: 1-line block ×3, first 2 shown]
	s_delay_alu instid0(VALU_DEP_4)
	v_min3_f32 v74, v0, v1, v74
	s_cbranch_vccz .LBB162_36
; %bb.37:
	s_clause 0x2
	s_load_b64 s[14:15], s[0:1], 0x78
	s_load_b32 s13, s[0:1], 0x70
	s_load_b32 s3, s[0:1], 0x58
	v_add_nc_u32_e32 v10, s5, v134
	v_add_nc_u32_e32 v4, s4, v133
	s_delay_alu instid0(VALU_DEP_1)
	v_ashrrev_i32_e32 v5, 31, v4
	s_waitcnt lgkmcnt(0)
	s_mul_i32 s1, s12, s15
	v_mad_i64_i32 v[0:1], null, v10, s13, 0
	v_mad_i64_i32 v[6:7], null, v10, s3, 0
	s_mul_hi_u32 s4, s12, s14
	s_mul_i32 s0, s12, s14
	s_add_i32 s1, s4, s1
	s_delay_alu instid0(SALU_CYCLE_1) | instskip(NEXT) | instid1(VALU_DEP_2)
	s_lshl_b64 s[0:1], s[0:1], 3
	v_lshlrev_b64 v[8:9], 3, v[0:1]
	v_lshlrev_b64 v[0:1], 3, v[4:5]
	s_delay_alu instid0(VALU_DEP_3) | instskip(SKIP_2) | instid1(VALU_DEP_3)
	v_lshlrev_b64 v[5:6], 3, v[6:7]
	s_add_u32 s4, s6, s0
	s_addc_u32 s5, s7, s1
	v_add_co_u32 v11, vcc_lo, s4, v8
	v_add_co_ci_u32_e32 v12, vcc_lo, s5, v9, vcc_lo
	s_delay_alu instid0(VALU_DEP_3) | instskip(SKIP_3) | instid1(VALU_DEP_2)
	v_add_co_u32 v8, vcc_lo, s10, v5
	v_dual_max_f32 v5, v139, v139 :: v_dual_add_nc_u32 v2, 32, v4
	v_add_co_ci_u32_e32 v9, vcc_lo, s11, v6, vcc_lo
	s_mov_b32 vcc_lo, s2
	v_ashrrev_i32_e32 v3, 31, v2
	s_cbranch_vccz .LBB162_40
; %bb.38:
	v_min_f32_e32 v6, 0, v5
	v_add_co_u32 v13, vcc_lo, v11, v0
	v_add_co_ci_u32_e32 v14, vcc_lo, v12, v1, vcc_lo
	s_delay_alu instid0(VALU_DEP_3)
	v_cvt_f64_f32_e32 v[6:7], v6
	s_mov_b64 s[0:1], 0
	global_store_b64 v[13:14], v[6:7], off
	v_lshlrev_b64 v[2:3], 3, v[2:3]
	s_cbranch_execz .LBB162_41
; %bb.39:
	v_dual_mov_b32 v6, s1 :: v_dual_mov_b32 v5, s0
	s_branch .LBB162_42
.LBB162_40:
                                        ; implicit-def: $sgpr0_sgpr1
	s_delay_alu instid0(VALU_DEP_1)
	v_lshlrev_b64 v[2:3], 3, v[2:3]
.LBB162_41:
	v_add_co_u32 v6, vcc_lo, v8, v0
	v_add_co_ci_u32_e32 v7, vcc_lo, v9, v1, vcc_lo
	v_add_co_u32 v13, vcc_lo, v11, v0
	v_add_co_ci_u32_e32 v14, vcc_lo, v12, v1, vcc_lo
	flat_load_b64 v[6:7], v[6:7]
	v_add_co_u32 v15, vcc_lo, v8, v2
	v_add_co_ci_u32_e32 v16, vcc_lo, v9, v3, vcc_lo
	s_waitcnt vmcnt(0) lgkmcnt(0)
	v_mul_f64 v[6:7], s[8:9], v[6:7]
	s_delay_alu instid0(VALU_DEP_1) | instskip(NEXT) | instid1(VALU_DEP_1)
	v_cvt_f32_f64_e32 v6, v[6:7]
	v_min_f32_e32 v5, v6, v5
	s_delay_alu instid0(VALU_DEP_1)
	v_cvt_f64_f32_e32 v[5:6], v5
	global_store_b64 v[13:14], v[5:6], off
	flat_load_b64 v[5:6], v[15:16]
	s_waitcnt vmcnt(0) lgkmcnt(0)
	v_mul_f64 v[5:6], s[8:9], v[5:6]
.LBB162_42:
	s_delay_alu instid0(VALU_DEP_1)
	v_cvt_f32_f64_e32 v5, v[5:6]
	v_dual_max_f32 v6, v138, v138 :: v_dual_max_f32 v13, v137, v137
	v_add_co_u32 v18, vcc_lo, v11, v2
	v_add_co_ci_u32_e32 v19, vcc_lo, v12, v3, vcc_lo
	s_mov_b32 vcc_lo, s2
	v_add_nc_u32_e32 v16, 64, v4
	s_delay_alu instid0(VALU_DEP_1) | instskip(SKIP_1) | instid1(VALU_DEP_1)
	v_ashrrev_i32_e32 v17, 31, v16
	v_dual_min_f32 v5, v5, v6 :: v_dual_add_nc_u32 v6, 0x60, v4
	v_cvt_f64_f32_e32 v[14:15], v5
	s_delay_alu instid0(VALU_DEP_2) | instskip(NEXT) | instid1(VALU_DEP_4)
	v_ashrrev_i32_e32 v7, 31, v6
	v_lshlrev_b64 v[4:5], 3, v[16:17]
	global_store_b64 v[18:19], v[14:15], off
	s_cbranch_vccz .LBB162_45
; %bb.43:
	v_min_f32_e32 v14, 0, v13
	v_add_co_u32 v16, vcc_lo, v11, v4
	v_add_co_ci_u32_e32 v17, vcc_lo, v12, v5, vcc_lo
	s_delay_alu instid0(VALU_DEP_3)
	v_cvt_f64_f32_e32 v[14:15], v14
	s_mov_b64 s[0:1], 0
	global_store_b64 v[16:17], v[14:15], off
	v_lshlrev_b64 v[6:7], 3, v[6:7]
	s_cbranch_execz .LBB162_46
; %bb.44:
	v_dual_mov_b32 v9, s1 :: v_dual_mov_b32 v8, s0
	s_branch .LBB162_47
.LBB162_45:
                                        ; implicit-def: $sgpr0_sgpr1
	v_lshlrev_b64 v[6:7], 3, v[6:7]
.LBB162_46:
	v_add_co_u32 v14, vcc_lo, v8, v4
	v_add_co_ci_u32_e32 v15, vcc_lo, v9, v5, vcc_lo
	flat_load_b64 v[14:15], v[14:15]
	s_waitcnt vmcnt(0) lgkmcnt(0)
	v_mul_f64 v[14:15], s[8:9], v[14:15]
	s_delay_alu instid0(VALU_DEP_1)
	v_cvt_f32_f64_e32 v14, v[14:15]
	v_add_co_u32 v15, vcc_lo, v11, v4
	v_add_co_ci_u32_e32 v16, vcc_lo, v12, v5, vcc_lo
	v_add_co_u32 v8, vcc_lo, v8, v6
	v_add_co_ci_u32_e32 v9, vcc_lo, v9, v7, vcc_lo
	v_min_f32_e32 v13, v14, v13
	s_delay_alu instid0(VALU_DEP_1)
	v_cvt_f64_f32_e32 v[13:14], v13
	global_store_b64 v[15:16], v[13:14], off
	flat_load_b64 v[8:9], v[8:9]
	s_waitcnt vmcnt(0) lgkmcnt(0)
	v_mul_f64 v[8:9], s[8:9], v[8:9]
.LBB162_47:
	s_delay_alu instid0(VALU_DEP_1) | instskip(SKIP_4) | instid1(VALU_DEP_1)
	v_cvt_f32_f64_e32 v8, v[8:9]
	v_max_f32_e32 v9, v136, v136
	v_add_co_u32 v19, vcc_lo, v11, v6
	v_add_co_ci_u32_e32 v20, vcc_lo, v12, v7, vcc_lo
	v_add_nc_u32_e32 v17, 8, v10
	v_mad_i64_i32 v[13:14], null, v17, s3, 0
	s_delay_alu instid0(VALU_DEP_1) | instskip(SKIP_1) | instid1(VALU_DEP_1)
	v_lshlrev_b64 v[13:14], 3, v[13:14]
	v_min_f32_e32 v8, v8, v9
	v_cvt_f64_f32_e32 v[15:16], v8
	v_mad_i64_i32 v[8:9], null, v17, s13, 0
	s_delay_alu instid0(VALU_DEP_1) | instskip(SKIP_1) | instid1(VALU_DEP_2)
	v_lshlrev_b64 v[17:18], 3, v[8:9]
	v_max_f32_e32 v8, v135, v135
	v_add_co_u32 v11, vcc_lo, s4, v17
	s_delay_alu instid0(VALU_DEP_3)
	v_add_co_ci_u32_e32 v12, vcc_lo, s5, v18, vcc_lo
	v_add_co_u32 v13, vcc_lo, s10, v13
	v_add_co_ci_u32_e32 v14, vcc_lo, s11, v14, vcc_lo
	s_mov_b32 vcc_lo, s2
	global_store_b64 v[19:20], v[15:16], off
	s_cbranch_vccz .LBB162_50
; %bb.48:
	v_min_f32_e32 v9, 0, v8
	v_add_co_u32 v17, vcc_lo, v11, v0
	v_add_co_ci_u32_e32 v18, vcc_lo, v12, v1, vcc_lo
	s_delay_alu instid0(VALU_DEP_3)
	v_cvt_f64_f32_e32 v[15:16], v9
	s_mov_b64 s[0:1], 0
	global_store_b64 v[17:18], v[15:16], off
	s_cbranch_execz .LBB162_51
; %bb.49:
	v_dual_mov_b32 v9, s1 :: v_dual_mov_b32 v8, s0
	s_branch .LBB162_52
.LBB162_50:
                                        ; implicit-def: $sgpr0_sgpr1
.LBB162_51:
	v_add_co_u32 v15, vcc_lo, v13, v0
	v_add_co_ci_u32_e32 v16, vcc_lo, v14, v1, vcc_lo
	flat_load_b64 v[15:16], v[15:16]
	s_waitcnt vmcnt(0) lgkmcnt(0)
	v_mul_f64 v[15:16], s[8:9], v[15:16]
	s_delay_alu instid0(VALU_DEP_1)
	v_cvt_f32_f64_e32 v9, v[15:16]
	v_add_co_u32 v15, vcc_lo, v11, v0
	v_add_co_ci_u32_e32 v16, vcc_lo, v12, v1, vcc_lo
	v_add_co_u32 v17, vcc_lo, v13, v2
	v_add_co_ci_u32_e32 v18, vcc_lo, v14, v3, vcc_lo
	v_min_f32_e32 v8, v9, v8
	s_delay_alu instid0(VALU_DEP_1)
	v_cvt_f64_f32_e32 v[8:9], v8
	global_store_b64 v[15:16], v[8:9], off
	flat_load_b64 v[8:9], v[17:18]
	s_waitcnt vmcnt(0) lgkmcnt(0)
	v_mul_f64 v[8:9], s[8:9], v[8:9]
.LBB162_52:
	s_delay_alu instid0(VALU_DEP_1) | instskip(SKIP_4) | instid1(VALU_DEP_3)
	v_cvt_f32_f64_e32 v8, v[8:9]
	v_max_f32_e32 v9, v132, v132
	v_add_co_u32 v17, vcc_lo, v11, v2
	v_add_co_ci_u32_e32 v18, vcc_lo, v12, v3, vcc_lo
	s_mov_b32 vcc_lo, s2
	v_min_f32_e32 v8, v8, v9
	s_delay_alu instid0(VALU_DEP_1)
	v_cvt_f64_f32_e32 v[15:16], v8
	v_max_f32_e32 v8, v131, v131
	global_store_b64 v[17:18], v[15:16], off
	s_cbranch_vccz .LBB162_55
; %bb.53:
	v_min_f32_e32 v9, 0, v8
	v_add_co_u32 v17, vcc_lo, v11, v4
	v_add_co_ci_u32_e32 v18, vcc_lo, v12, v5, vcc_lo
	s_delay_alu instid0(VALU_DEP_3)
	v_cvt_f64_f32_e32 v[15:16], v9
	s_mov_b64 s[0:1], 0
	global_store_b64 v[17:18], v[15:16], off
	s_cbranch_execz .LBB162_56
; %bb.54:
	v_dual_mov_b32 v9, s1 :: v_dual_mov_b32 v8, s0
	s_branch .LBB162_57
.LBB162_55:
                                        ; implicit-def: $sgpr0_sgpr1
.LBB162_56:
	v_add_co_u32 v15, vcc_lo, v13, v4
	v_add_co_ci_u32_e32 v16, vcc_lo, v14, v5, vcc_lo
	flat_load_b64 v[15:16], v[15:16]
	s_waitcnt vmcnt(0) lgkmcnt(0)
	v_mul_f64 v[15:16], s[8:9], v[15:16]
	s_delay_alu instid0(VALU_DEP_1)
	v_cvt_f32_f64_e32 v9, v[15:16]
	v_add_co_u32 v15, vcc_lo, v11, v4
	v_add_co_ci_u32_e32 v16, vcc_lo, v12, v5, vcc_lo
	v_add_co_u32 v13, vcc_lo, v13, v6
	v_add_co_ci_u32_e32 v14, vcc_lo, v14, v7, vcc_lo
	v_min_f32_e32 v8, v9, v8
	s_delay_alu instid0(VALU_DEP_1)
	v_cvt_f64_f32_e32 v[8:9], v8
	global_store_b64 v[15:16], v[8:9], off
	flat_load_b64 v[8:9], v[13:14]
	s_waitcnt vmcnt(0) lgkmcnt(0)
	v_mul_f64 v[8:9], s[8:9], v[8:9]
.LBB162_57:
	s_delay_alu instid0(VALU_DEP_1) | instskip(SKIP_4) | instid1(VALU_DEP_1)
	v_cvt_f32_f64_e32 v8, v[8:9]
	v_max_f32_e32 v9, v130, v130
	v_add_co_u32 v19, vcc_lo, v11, v6
	v_add_co_ci_u32_e32 v20, vcc_lo, v12, v7, vcc_lo
	v_add_nc_u32_e32 v17, 16, v10
	v_mad_i64_i32 v[13:14], null, v17, s3, 0
	s_delay_alu instid0(VALU_DEP_1) | instskip(SKIP_1) | instid1(VALU_DEP_1)
	v_lshlrev_b64 v[13:14], 3, v[13:14]
	v_min_f32_e32 v8, v8, v9
	v_cvt_f64_f32_e32 v[15:16], v8
	v_mad_i64_i32 v[8:9], null, v17, s13, 0
	s_delay_alu instid0(VALU_DEP_1) | instskip(SKIP_1) | instid1(VALU_DEP_2)
	v_lshlrev_b64 v[17:18], 3, v[8:9]
	v_max_f32_e32 v8, v129, v129
	v_add_co_u32 v11, vcc_lo, s4, v17
	s_delay_alu instid0(VALU_DEP_3)
	v_add_co_ci_u32_e32 v12, vcc_lo, s5, v18, vcc_lo
	v_add_co_u32 v13, vcc_lo, s10, v13
	v_add_co_ci_u32_e32 v14, vcc_lo, s11, v14, vcc_lo
	s_mov_b32 vcc_lo, s2
	global_store_b64 v[19:20], v[15:16], off
	s_cbranch_vccz .LBB162_60
; %bb.58:
	v_min_f32_e32 v9, 0, v8
	v_add_co_u32 v17, vcc_lo, v11, v0
	v_add_co_ci_u32_e32 v18, vcc_lo, v12, v1, vcc_lo
	s_delay_alu instid0(VALU_DEP_3)
	v_cvt_f64_f32_e32 v[15:16], v9
	s_mov_b64 s[0:1], 0
	global_store_b64 v[17:18], v[15:16], off
	s_cbranch_execz .LBB162_61
; %bb.59:
	v_dual_mov_b32 v9, s1 :: v_dual_mov_b32 v8, s0
	s_branch .LBB162_62
.LBB162_60:
                                        ; implicit-def: $sgpr0_sgpr1
.LBB162_61:
	v_add_co_u32 v15, vcc_lo, v13, v0
	v_add_co_ci_u32_e32 v16, vcc_lo, v14, v1, vcc_lo
	flat_load_b64 v[15:16], v[15:16]
	s_waitcnt vmcnt(0) lgkmcnt(0)
	v_mul_f64 v[15:16], s[8:9], v[15:16]
	s_delay_alu instid0(VALU_DEP_1)
	v_cvt_f32_f64_e32 v9, v[15:16]
	v_add_co_u32 v15, vcc_lo, v11, v0
	v_add_co_ci_u32_e32 v16, vcc_lo, v12, v1, vcc_lo
	v_add_co_u32 v17, vcc_lo, v13, v2
	v_add_co_ci_u32_e32 v18, vcc_lo, v14, v3, vcc_lo
	v_min_f32_e32 v8, v9, v8
	s_delay_alu instid0(VALU_DEP_1)
	v_cvt_f64_f32_e32 v[8:9], v8
	global_store_b64 v[15:16], v[8:9], off
	flat_load_b64 v[8:9], v[17:18]
	s_waitcnt vmcnt(0) lgkmcnt(0)
	v_mul_f64 v[8:9], s[8:9], v[8:9]
.LBB162_62:
	s_delay_alu instid0(VALU_DEP_1) | instskip(SKIP_4) | instid1(VALU_DEP_3)
	v_cvt_f32_f64_e32 v8, v[8:9]
	v_max_f32_e32 v9, v128, v128
	v_add_co_u32 v17, vcc_lo, v11, v2
	v_add_co_ci_u32_e32 v18, vcc_lo, v12, v3, vcc_lo
	s_mov_b32 vcc_lo, s2
	v_min_f32_e32 v8, v8, v9
	s_delay_alu instid0(VALU_DEP_1)
	v_cvt_f64_f32_e32 v[15:16], v8
	v_max_f32_e32 v8, v127, v127
	global_store_b64 v[17:18], v[15:16], off
	s_cbranch_vccz .LBB162_65
; %bb.63:
	v_min_f32_e32 v9, 0, v8
	v_add_co_u32 v17, vcc_lo, v11, v4
	v_add_co_ci_u32_e32 v18, vcc_lo, v12, v5, vcc_lo
	s_delay_alu instid0(VALU_DEP_3)
	v_cvt_f64_f32_e32 v[15:16], v9
	s_mov_b64 s[0:1], 0
	global_store_b64 v[17:18], v[15:16], off
	s_cbranch_execz .LBB162_66
; %bb.64:
	v_dual_mov_b32 v9, s1 :: v_dual_mov_b32 v8, s0
	s_branch .LBB162_67
.LBB162_65:
                                        ; implicit-def: $sgpr0_sgpr1
.LBB162_66:
	v_add_co_u32 v15, vcc_lo, v13, v4
	v_add_co_ci_u32_e32 v16, vcc_lo, v14, v5, vcc_lo
	flat_load_b64 v[15:16], v[15:16]
	s_waitcnt vmcnt(0) lgkmcnt(0)
	v_mul_f64 v[15:16], s[8:9], v[15:16]
	s_delay_alu instid0(VALU_DEP_1)
	v_cvt_f32_f64_e32 v9, v[15:16]
	v_add_co_u32 v15, vcc_lo, v11, v4
	v_add_co_ci_u32_e32 v16, vcc_lo, v12, v5, vcc_lo
	v_add_co_u32 v13, vcc_lo, v13, v6
	v_add_co_ci_u32_e32 v14, vcc_lo, v14, v7, vcc_lo
	v_min_f32_e32 v8, v9, v8
	s_delay_alu instid0(VALU_DEP_1)
	v_cvt_f64_f32_e32 v[8:9], v8
	global_store_b64 v[15:16], v[8:9], off
	flat_load_b64 v[8:9], v[13:14]
	s_waitcnt vmcnt(0) lgkmcnt(0)
	v_mul_f64 v[8:9], s[8:9], v[8:9]
.LBB162_67:
	s_delay_alu instid0(VALU_DEP_1) | instskip(SKIP_4) | instid1(VALU_DEP_1)
	v_cvt_f32_f64_e32 v8, v[8:9]
	v_max_f32_e32 v9, v126, v126
	v_add_co_u32 v19, vcc_lo, v11, v6
	v_add_co_ci_u32_e32 v20, vcc_lo, v12, v7, vcc_lo
	v_add_nc_u32_e32 v17, 24, v10
	v_mad_i64_i32 v[13:14], null, v17, s3, 0
	s_delay_alu instid0(VALU_DEP_1) | instskip(SKIP_1) | instid1(VALU_DEP_1)
	v_lshlrev_b64 v[13:14], 3, v[13:14]
	v_min_f32_e32 v8, v8, v9
	v_cvt_f64_f32_e32 v[15:16], v8
	v_mad_i64_i32 v[8:9], null, v17, s13, 0
	s_delay_alu instid0(VALU_DEP_1) | instskip(SKIP_1) | instid1(VALU_DEP_2)
	v_lshlrev_b64 v[17:18], 3, v[8:9]
	v_max_f32_e32 v8, v125, v125
	v_add_co_u32 v11, vcc_lo, s4, v17
	s_delay_alu instid0(VALU_DEP_3)
	v_add_co_ci_u32_e32 v12, vcc_lo, s5, v18, vcc_lo
	v_add_co_u32 v13, vcc_lo, s10, v13
	v_add_co_ci_u32_e32 v14, vcc_lo, s11, v14, vcc_lo
	s_mov_b32 vcc_lo, s2
	global_store_b64 v[19:20], v[15:16], off
	s_cbranch_vccz .LBB162_70
; %bb.68:
	v_min_f32_e32 v9, 0, v8
	v_add_co_u32 v17, vcc_lo, v11, v0
	v_add_co_ci_u32_e32 v18, vcc_lo, v12, v1, vcc_lo
	s_delay_alu instid0(VALU_DEP_3)
	v_cvt_f64_f32_e32 v[15:16], v9
	s_mov_b64 s[0:1], 0
	global_store_b64 v[17:18], v[15:16], off
	s_cbranch_execz .LBB162_71
; %bb.69:
	v_dual_mov_b32 v9, s1 :: v_dual_mov_b32 v8, s0
	s_branch .LBB162_72
.LBB162_70:
                                        ; implicit-def: $sgpr0_sgpr1
.LBB162_71:
	v_add_co_u32 v15, vcc_lo, v13, v0
	v_add_co_ci_u32_e32 v16, vcc_lo, v14, v1, vcc_lo
	flat_load_b64 v[15:16], v[15:16]
	s_waitcnt vmcnt(0) lgkmcnt(0)
	v_mul_f64 v[15:16], s[8:9], v[15:16]
	s_delay_alu instid0(VALU_DEP_1)
	v_cvt_f32_f64_e32 v9, v[15:16]
	v_add_co_u32 v15, vcc_lo, v11, v0
	v_add_co_ci_u32_e32 v16, vcc_lo, v12, v1, vcc_lo
	v_add_co_u32 v17, vcc_lo, v13, v2
	v_add_co_ci_u32_e32 v18, vcc_lo, v14, v3, vcc_lo
	v_min_f32_e32 v8, v9, v8
	s_delay_alu instid0(VALU_DEP_1)
	v_cvt_f64_f32_e32 v[8:9], v8
	global_store_b64 v[15:16], v[8:9], off
	flat_load_b64 v[8:9], v[17:18]
	s_waitcnt vmcnt(0) lgkmcnt(0)
	v_mul_f64 v[8:9], s[8:9], v[8:9]
.LBB162_72:
	s_delay_alu instid0(VALU_DEP_1) | instskip(SKIP_4) | instid1(VALU_DEP_3)
	v_cvt_f32_f64_e32 v8, v[8:9]
	v_max_f32_e32 v9, v124, v124
	v_add_co_u32 v17, vcc_lo, v11, v2
	v_add_co_ci_u32_e32 v18, vcc_lo, v12, v3, vcc_lo
	s_mov_b32 vcc_lo, s2
	v_min_f32_e32 v8, v8, v9
	s_delay_alu instid0(VALU_DEP_1)
	v_cvt_f64_f32_e32 v[15:16], v8
	v_max_f32_e32 v8, v123, v123
	global_store_b64 v[17:18], v[15:16], off
	s_cbranch_vccz .LBB162_75
; %bb.73:
	v_min_f32_e32 v9, 0, v8
	v_add_co_u32 v17, vcc_lo, v11, v4
	v_add_co_ci_u32_e32 v18, vcc_lo, v12, v5, vcc_lo
	s_delay_alu instid0(VALU_DEP_3)
	v_cvt_f64_f32_e32 v[15:16], v9
	s_mov_b64 s[0:1], 0
	global_store_b64 v[17:18], v[15:16], off
	s_cbranch_execz .LBB162_76
; %bb.74:
	v_dual_mov_b32 v9, s1 :: v_dual_mov_b32 v8, s0
	s_branch .LBB162_77
.LBB162_75:
                                        ; implicit-def: $sgpr0_sgpr1
.LBB162_76:
	v_add_co_u32 v15, vcc_lo, v13, v4
	v_add_co_ci_u32_e32 v16, vcc_lo, v14, v5, vcc_lo
	flat_load_b64 v[15:16], v[15:16]
	s_waitcnt vmcnt(0) lgkmcnt(0)
	v_mul_f64 v[15:16], s[8:9], v[15:16]
	s_delay_alu instid0(VALU_DEP_1)
	v_cvt_f32_f64_e32 v9, v[15:16]
	v_add_co_u32 v15, vcc_lo, v11, v4
	v_add_co_ci_u32_e32 v16, vcc_lo, v12, v5, vcc_lo
	v_add_co_u32 v13, vcc_lo, v13, v6
	v_add_co_ci_u32_e32 v14, vcc_lo, v14, v7, vcc_lo
	v_min_f32_e32 v8, v9, v8
	s_delay_alu instid0(VALU_DEP_1)
	v_cvt_f64_f32_e32 v[8:9], v8
	global_store_b64 v[15:16], v[8:9], off
	flat_load_b64 v[8:9], v[13:14]
	s_waitcnt vmcnt(0) lgkmcnt(0)
	v_mul_f64 v[8:9], s[8:9], v[8:9]
.LBB162_77:
	s_delay_alu instid0(VALU_DEP_1) | instskip(SKIP_4) | instid1(VALU_DEP_1)
	v_cvt_f32_f64_e32 v8, v[8:9]
	v_max_f32_e32 v9, v122, v122
	v_add_co_u32 v19, vcc_lo, v11, v6
	v_add_co_ci_u32_e32 v20, vcc_lo, v12, v7, vcc_lo
	v_add_nc_u32_e32 v17, 32, v10
	v_mad_i64_i32 v[13:14], null, v17, s3, 0
	s_delay_alu instid0(VALU_DEP_1) | instskip(SKIP_1) | instid1(VALU_DEP_1)
	v_lshlrev_b64 v[13:14], 3, v[13:14]
	v_min_f32_e32 v8, v8, v9
	v_cvt_f64_f32_e32 v[15:16], v8
	v_mad_i64_i32 v[8:9], null, v17, s13, 0
	s_delay_alu instid0(VALU_DEP_1) | instskip(SKIP_1) | instid1(VALU_DEP_2)
	v_lshlrev_b64 v[17:18], 3, v[8:9]
	v_max_f32_e32 v8, v121, v121
	v_add_co_u32 v11, vcc_lo, s4, v17
	s_delay_alu instid0(VALU_DEP_3)
	v_add_co_ci_u32_e32 v12, vcc_lo, s5, v18, vcc_lo
	v_add_co_u32 v13, vcc_lo, s10, v13
	v_add_co_ci_u32_e32 v14, vcc_lo, s11, v14, vcc_lo
	s_mov_b32 vcc_lo, s2
	global_store_b64 v[19:20], v[15:16], off
	s_cbranch_vccz .LBB162_80
; %bb.78:
	v_min_f32_e32 v9, 0, v8
	v_add_co_u32 v17, vcc_lo, v11, v0
	v_add_co_ci_u32_e32 v18, vcc_lo, v12, v1, vcc_lo
	s_delay_alu instid0(VALU_DEP_3)
	v_cvt_f64_f32_e32 v[15:16], v9
	s_mov_b64 s[0:1], 0
	global_store_b64 v[17:18], v[15:16], off
	s_cbranch_execz .LBB162_81
; %bb.79:
	v_dual_mov_b32 v9, s1 :: v_dual_mov_b32 v8, s0
	s_branch .LBB162_82
.LBB162_80:
                                        ; implicit-def: $sgpr0_sgpr1
.LBB162_81:
	v_add_co_u32 v15, vcc_lo, v13, v0
	v_add_co_ci_u32_e32 v16, vcc_lo, v14, v1, vcc_lo
	flat_load_b64 v[15:16], v[15:16]
	s_waitcnt vmcnt(0) lgkmcnt(0)
	v_mul_f64 v[15:16], s[8:9], v[15:16]
	s_delay_alu instid0(VALU_DEP_1)
	v_cvt_f32_f64_e32 v9, v[15:16]
	v_add_co_u32 v15, vcc_lo, v11, v0
	v_add_co_ci_u32_e32 v16, vcc_lo, v12, v1, vcc_lo
	v_add_co_u32 v17, vcc_lo, v13, v2
	v_add_co_ci_u32_e32 v18, vcc_lo, v14, v3, vcc_lo
	v_min_f32_e32 v8, v9, v8
	s_delay_alu instid0(VALU_DEP_1)
	v_cvt_f64_f32_e32 v[8:9], v8
	global_store_b64 v[15:16], v[8:9], off
	flat_load_b64 v[8:9], v[17:18]
	s_waitcnt vmcnt(0) lgkmcnt(0)
	v_mul_f64 v[8:9], s[8:9], v[8:9]
.LBB162_82:
	s_delay_alu instid0(VALU_DEP_1) | instskip(SKIP_4) | instid1(VALU_DEP_3)
	v_cvt_f32_f64_e32 v8, v[8:9]
	v_max_f32_e32 v9, v120, v120
	v_add_co_u32 v17, vcc_lo, v11, v2
	v_add_co_ci_u32_e32 v18, vcc_lo, v12, v3, vcc_lo
	s_mov_b32 vcc_lo, s2
	v_min_f32_e32 v8, v8, v9
	s_delay_alu instid0(VALU_DEP_1)
	v_cvt_f64_f32_e32 v[15:16], v8
	v_max_f32_e32 v8, v119, v119
	global_store_b64 v[17:18], v[15:16], off
	s_cbranch_vccz .LBB162_85
; %bb.83:
	v_min_f32_e32 v9, 0, v8
	v_add_co_u32 v17, vcc_lo, v11, v4
	v_add_co_ci_u32_e32 v18, vcc_lo, v12, v5, vcc_lo
	s_delay_alu instid0(VALU_DEP_3)
	v_cvt_f64_f32_e32 v[15:16], v9
	s_mov_b64 s[0:1], 0
	global_store_b64 v[17:18], v[15:16], off
	s_cbranch_execz .LBB162_86
; %bb.84:
	v_dual_mov_b32 v9, s1 :: v_dual_mov_b32 v8, s0
	s_branch .LBB162_87
.LBB162_85:
                                        ; implicit-def: $sgpr0_sgpr1
.LBB162_86:
	v_add_co_u32 v15, vcc_lo, v13, v4
	v_add_co_ci_u32_e32 v16, vcc_lo, v14, v5, vcc_lo
	flat_load_b64 v[15:16], v[15:16]
	s_waitcnt vmcnt(0) lgkmcnt(0)
	v_mul_f64 v[15:16], s[8:9], v[15:16]
	s_delay_alu instid0(VALU_DEP_1)
	v_cvt_f32_f64_e32 v9, v[15:16]
	v_add_co_u32 v15, vcc_lo, v11, v4
	v_add_co_ci_u32_e32 v16, vcc_lo, v12, v5, vcc_lo
	v_add_co_u32 v13, vcc_lo, v13, v6
	v_add_co_ci_u32_e32 v14, vcc_lo, v14, v7, vcc_lo
	v_min_f32_e32 v8, v9, v8
	s_delay_alu instid0(VALU_DEP_1)
	v_cvt_f64_f32_e32 v[8:9], v8
	global_store_b64 v[15:16], v[8:9], off
	flat_load_b64 v[8:9], v[13:14]
	s_waitcnt vmcnt(0) lgkmcnt(0)
	v_mul_f64 v[8:9], s[8:9], v[8:9]
.LBB162_87:
	s_delay_alu instid0(VALU_DEP_1) | instskip(SKIP_4) | instid1(VALU_DEP_1)
	v_cvt_f32_f64_e32 v8, v[8:9]
	v_max_f32_e32 v9, v118, v118
	v_add_co_u32 v19, vcc_lo, v11, v6
	v_add_co_ci_u32_e32 v20, vcc_lo, v12, v7, vcc_lo
	v_add_nc_u32_e32 v17, 40, v10
	v_mad_i64_i32 v[13:14], null, v17, s3, 0
	s_delay_alu instid0(VALU_DEP_1) | instskip(SKIP_1) | instid1(VALU_DEP_1)
	v_lshlrev_b64 v[13:14], 3, v[13:14]
	v_min_f32_e32 v8, v8, v9
	v_cvt_f64_f32_e32 v[15:16], v8
	v_mad_i64_i32 v[8:9], null, v17, s13, 0
	s_delay_alu instid0(VALU_DEP_1) | instskip(SKIP_1) | instid1(VALU_DEP_2)
	v_lshlrev_b64 v[17:18], 3, v[8:9]
	v_max_f32_e32 v8, v117, v117
	v_add_co_u32 v11, vcc_lo, s4, v17
	s_delay_alu instid0(VALU_DEP_3)
	v_add_co_ci_u32_e32 v12, vcc_lo, s5, v18, vcc_lo
	v_add_co_u32 v13, vcc_lo, s10, v13
	v_add_co_ci_u32_e32 v14, vcc_lo, s11, v14, vcc_lo
	s_mov_b32 vcc_lo, s2
	global_store_b64 v[19:20], v[15:16], off
	s_cbranch_vccz .LBB162_90
; %bb.88:
	v_min_f32_e32 v9, 0, v8
	v_add_co_u32 v17, vcc_lo, v11, v0
	v_add_co_ci_u32_e32 v18, vcc_lo, v12, v1, vcc_lo
	s_delay_alu instid0(VALU_DEP_3)
	v_cvt_f64_f32_e32 v[15:16], v9
	s_mov_b64 s[0:1], 0
	global_store_b64 v[17:18], v[15:16], off
	s_cbranch_execz .LBB162_91
; %bb.89:
	v_dual_mov_b32 v9, s1 :: v_dual_mov_b32 v8, s0
	s_branch .LBB162_92
.LBB162_90:
                                        ; implicit-def: $sgpr0_sgpr1
.LBB162_91:
	v_add_co_u32 v15, vcc_lo, v13, v0
	v_add_co_ci_u32_e32 v16, vcc_lo, v14, v1, vcc_lo
	flat_load_b64 v[15:16], v[15:16]
	s_waitcnt vmcnt(0) lgkmcnt(0)
	v_mul_f64 v[15:16], s[8:9], v[15:16]
	s_delay_alu instid0(VALU_DEP_1)
	v_cvt_f32_f64_e32 v9, v[15:16]
	v_add_co_u32 v15, vcc_lo, v11, v0
	v_add_co_ci_u32_e32 v16, vcc_lo, v12, v1, vcc_lo
	v_add_co_u32 v17, vcc_lo, v13, v2
	v_add_co_ci_u32_e32 v18, vcc_lo, v14, v3, vcc_lo
	v_min_f32_e32 v8, v9, v8
	s_delay_alu instid0(VALU_DEP_1)
	v_cvt_f64_f32_e32 v[8:9], v8
	global_store_b64 v[15:16], v[8:9], off
	flat_load_b64 v[8:9], v[17:18]
	s_waitcnt vmcnt(0) lgkmcnt(0)
	v_mul_f64 v[8:9], s[8:9], v[8:9]
.LBB162_92:
	s_delay_alu instid0(VALU_DEP_1) | instskip(SKIP_4) | instid1(VALU_DEP_3)
	v_cvt_f32_f64_e32 v8, v[8:9]
	v_max_f32_e32 v9, v116, v116
	v_add_co_u32 v17, vcc_lo, v11, v2
	v_add_co_ci_u32_e32 v18, vcc_lo, v12, v3, vcc_lo
	s_mov_b32 vcc_lo, s2
	v_min_f32_e32 v8, v8, v9
	s_delay_alu instid0(VALU_DEP_1)
	v_cvt_f64_f32_e32 v[15:16], v8
	v_max_f32_e32 v8, v115, v115
	global_store_b64 v[17:18], v[15:16], off
	s_cbranch_vccz .LBB162_95
; %bb.93:
	v_min_f32_e32 v9, 0, v8
	v_add_co_u32 v17, vcc_lo, v11, v4
	v_add_co_ci_u32_e32 v18, vcc_lo, v12, v5, vcc_lo
	s_delay_alu instid0(VALU_DEP_3)
	v_cvt_f64_f32_e32 v[15:16], v9
	s_mov_b64 s[0:1], 0
	global_store_b64 v[17:18], v[15:16], off
	s_cbranch_execz .LBB162_96
; %bb.94:
	v_dual_mov_b32 v9, s1 :: v_dual_mov_b32 v8, s0
	s_branch .LBB162_97
.LBB162_95:
                                        ; implicit-def: $sgpr0_sgpr1
.LBB162_96:
	v_add_co_u32 v15, vcc_lo, v13, v4
	v_add_co_ci_u32_e32 v16, vcc_lo, v14, v5, vcc_lo
	flat_load_b64 v[15:16], v[15:16]
	s_waitcnt vmcnt(0) lgkmcnt(0)
	v_mul_f64 v[15:16], s[8:9], v[15:16]
	s_delay_alu instid0(VALU_DEP_1)
	v_cvt_f32_f64_e32 v9, v[15:16]
	v_add_co_u32 v15, vcc_lo, v11, v4
	v_add_co_ci_u32_e32 v16, vcc_lo, v12, v5, vcc_lo
	v_add_co_u32 v13, vcc_lo, v13, v6
	v_add_co_ci_u32_e32 v14, vcc_lo, v14, v7, vcc_lo
	v_min_f32_e32 v8, v9, v8
	s_delay_alu instid0(VALU_DEP_1)
	v_cvt_f64_f32_e32 v[8:9], v8
	global_store_b64 v[15:16], v[8:9], off
	flat_load_b64 v[8:9], v[13:14]
	s_waitcnt vmcnt(0) lgkmcnt(0)
	v_mul_f64 v[8:9], s[8:9], v[8:9]
.LBB162_97:
	s_delay_alu instid0(VALU_DEP_1) | instskip(SKIP_4) | instid1(VALU_DEP_1)
	v_cvt_f32_f64_e32 v8, v[8:9]
	v_max_f32_e32 v9, v114, v114
	v_add_co_u32 v19, vcc_lo, v11, v6
	v_add_co_ci_u32_e32 v20, vcc_lo, v12, v7, vcc_lo
	v_add_nc_u32_e32 v17, 48, v10
	v_mad_i64_i32 v[13:14], null, v17, s3, 0
	s_delay_alu instid0(VALU_DEP_1) | instskip(SKIP_1) | instid1(VALU_DEP_1)
	v_lshlrev_b64 v[13:14], 3, v[13:14]
	v_min_f32_e32 v8, v8, v9
	v_cvt_f64_f32_e32 v[15:16], v8
	v_mad_i64_i32 v[8:9], null, v17, s13, 0
	s_delay_alu instid0(VALU_DEP_1) | instskip(SKIP_1) | instid1(VALU_DEP_2)
	v_lshlrev_b64 v[17:18], 3, v[8:9]
	v_max_f32_e32 v8, v113, v113
	v_add_co_u32 v11, vcc_lo, s4, v17
	s_delay_alu instid0(VALU_DEP_3)
	v_add_co_ci_u32_e32 v12, vcc_lo, s5, v18, vcc_lo
	v_add_co_u32 v13, vcc_lo, s10, v13
	v_add_co_ci_u32_e32 v14, vcc_lo, s11, v14, vcc_lo
	s_mov_b32 vcc_lo, s2
	global_store_b64 v[19:20], v[15:16], off
	s_cbranch_vccz .LBB162_100
; %bb.98:
	v_min_f32_e32 v9, 0, v8
	v_add_co_u32 v17, vcc_lo, v11, v0
	v_add_co_ci_u32_e32 v18, vcc_lo, v12, v1, vcc_lo
	s_delay_alu instid0(VALU_DEP_3)
	v_cvt_f64_f32_e32 v[15:16], v9
	s_mov_b64 s[0:1], 0
	global_store_b64 v[17:18], v[15:16], off
	s_cbranch_execz .LBB162_101
; %bb.99:
	v_dual_mov_b32 v9, s1 :: v_dual_mov_b32 v8, s0
	s_branch .LBB162_102
.LBB162_100:
                                        ; implicit-def: $sgpr0_sgpr1
.LBB162_101:
	v_add_co_u32 v15, vcc_lo, v13, v0
	v_add_co_ci_u32_e32 v16, vcc_lo, v14, v1, vcc_lo
	flat_load_b64 v[15:16], v[15:16]
	s_waitcnt vmcnt(0) lgkmcnt(0)
	v_mul_f64 v[15:16], s[8:9], v[15:16]
	s_delay_alu instid0(VALU_DEP_1)
	v_cvt_f32_f64_e32 v9, v[15:16]
	v_add_co_u32 v15, vcc_lo, v11, v0
	v_add_co_ci_u32_e32 v16, vcc_lo, v12, v1, vcc_lo
	v_add_co_u32 v17, vcc_lo, v13, v2
	v_add_co_ci_u32_e32 v18, vcc_lo, v14, v3, vcc_lo
	v_min_f32_e32 v8, v9, v8
	s_delay_alu instid0(VALU_DEP_1)
	v_cvt_f64_f32_e32 v[8:9], v8
	global_store_b64 v[15:16], v[8:9], off
	flat_load_b64 v[8:9], v[17:18]
	s_waitcnt vmcnt(0) lgkmcnt(0)
	v_mul_f64 v[8:9], s[8:9], v[8:9]
.LBB162_102:
	s_delay_alu instid0(VALU_DEP_1) | instskip(SKIP_4) | instid1(VALU_DEP_3)
	v_cvt_f32_f64_e32 v8, v[8:9]
	v_max_f32_e32 v9, v112, v112
	v_add_co_u32 v17, vcc_lo, v11, v2
	v_add_co_ci_u32_e32 v18, vcc_lo, v12, v3, vcc_lo
	s_mov_b32 vcc_lo, s2
	v_min_f32_e32 v8, v8, v9
	s_delay_alu instid0(VALU_DEP_1)
	v_cvt_f64_f32_e32 v[15:16], v8
	v_max_f32_e32 v8, v111, v111
	global_store_b64 v[17:18], v[15:16], off
	s_cbranch_vccz .LBB162_105
; %bb.103:
	v_min_f32_e32 v9, 0, v8
	v_add_co_u32 v17, vcc_lo, v11, v4
	v_add_co_ci_u32_e32 v18, vcc_lo, v12, v5, vcc_lo
	s_delay_alu instid0(VALU_DEP_3)
	v_cvt_f64_f32_e32 v[15:16], v9
	s_mov_b64 s[0:1], 0
	global_store_b64 v[17:18], v[15:16], off
	s_cbranch_execz .LBB162_106
; %bb.104:
	v_dual_mov_b32 v9, s1 :: v_dual_mov_b32 v8, s0
	s_branch .LBB162_107
.LBB162_105:
                                        ; implicit-def: $sgpr0_sgpr1
.LBB162_106:
	v_add_co_u32 v15, vcc_lo, v13, v4
	v_add_co_ci_u32_e32 v16, vcc_lo, v14, v5, vcc_lo
	flat_load_b64 v[15:16], v[15:16]
	s_waitcnt vmcnt(0) lgkmcnt(0)
	v_mul_f64 v[15:16], s[8:9], v[15:16]
	s_delay_alu instid0(VALU_DEP_1)
	v_cvt_f32_f64_e32 v9, v[15:16]
	v_add_co_u32 v15, vcc_lo, v11, v4
	v_add_co_ci_u32_e32 v16, vcc_lo, v12, v5, vcc_lo
	v_add_co_u32 v13, vcc_lo, v13, v6
	v_add_co_ci_u32_e32 v14, vcc_lo, v14, v7, vcc_lo
	v_min_f32_e32 v8, v9, v8
	s_delay_alu instid0(VALU_DEP_1)
	v_cvt_f64_f32_e32 v[8:9], v8
	global_store_b64 v[15:16], v[8:9], off
	flat_load_b64 v[8:9], v[13:14]
	s_waitcnt vmcnt(0) lgkmcnt(0)
	v_mul_f64 v[8:9], s[8:9], v[8:9]
.LBB162_107:
	s_delay_alu instid0(VALU_DEP_1) | instskip(SKIP_4) | instid1(VALU_DEP_1)
	v_cvt_f32_f64_e32 v8, v[8:9]
	v_max_f32_e32 v9, v110, v110
	v_add_co_u32 v19, vcc_lo, v11, v6
	v_add_co_ci_u32_e32 v20, vcc_lo, v12, v7, vcc_lo
	v_add_nc_u32_e32 v17, 56, v10
	v_mad_i64_i32 v[13:14], null, v17, s3, 0
	s_delay_alu instid0(VALU_DEP_1) | instskip(SKIP_1) | instid1(VALU_DEP_1)
	v_lshlrev_b64 v[13:14], 3, v[13:14]
	v_min_f32_e32 v8, v8, v9
	v_cvt_f64_f32_e32 v[15:16], v8
	v_mad_i64_i32 v[8:9], null, v17, s13, 0
	s_delay_alu instid0(VALU_DEP_1) | instskip(SKIP_1) | instid1(VALU_DEP_2)
	v_lshlrev_b64 v[17:18], 3, v[8:9]
	v_max_f32_e32 v8, v109, v109
	v_add_co_u32 v11, vcc_lo, s4, v17
	s_delay_alu instid0(VALU_DEP_3)
	v_add_co_ci_u32_e32 v12, vcc_lo, s5, v18, vcc_lo
	v_add_co_u32 v13, vcc_lo, s10, v13
	v_add_co_ci_u32_e32 v14, vcc_lo, s11, v14, vcc_lo
	s_mov_b32 vcc_lo, s2
	global_store_b64 v[19:20], v[15:16], off
	s_cbranch_vccz .LBB162_110
; %bb.108:
	v_min_f32_e32 v9, 0, v8
	v_add_co_u32 v17, vcc_lo, v11, v0
	v_add_co_ci_u32_e32 v18, vcc_lo, v12, v1, vcc_lo
	s_delay_alu instid0(VALU_DEP_3)
	v_cvt_f64_f32_e32 v[15:16], v9
	s_mov_b64 s[0:1], 0
	global_store_b64 v[17:18], v[15:16], off
	s_cbranch_execz .LBB162_111
; %bb.109:
	v_dual_mov_b32 v9, s1 :: v_dual_mov_b32 v8, s0
	s_branch .LBB162_112
.LBB162_110:
                                        ; implicit-def: $sgpr0_sgpr1
.LBB162_111:
	v_add_co_u32 v15, vcc_lo, v13, v0
	v_add_co_ci_u32_e32 v16, vcc_lo, v14, v1, vcc_lo
	flat_load_b64 v[15:16], v[15:16]
	s_waitcnt vmcnt(0) lgkmcnt(0)
	v_mul_f64 v[15:16], s[8:9], v[15:16]
	s_delay_alu instid0(VALU_DEP_1)
	v_cvt_f32_f64_e32 v9, v[15:16]
	v_add_co_u32 v15, vcc_lo, v11, v0
	v_add_co_ci_u32_e32 v16, vcc_lo, v12, v1, vcc_lo
	v_add_co_u32 v17, vcc_lo, v13, v2
	v_add_co_ci_u32_e32 v18, vcc_lo, v14, v3, vcc_lo
	v_min_f32_e32 v8, v9, v8
	s_delay_alu instid0(VALU_DEP_1)
	v_cvt_f64_f32_e32 v[8:9], v8
	global_store_b64 v[15:16], v[8:9], off
	flat_load_b64 v[8:9], v[17:18]
	s_waitcnt vmcnt(0) lgkmcnt(0)
	v_mul_f64 v[8:9], s[8:9], v[8:9]
.LBB162_112:
	s_delay_alu instid0(VALU_DEP_1) | instskip(SKIP_4) | instid1(VALU_DEP_3)
	v_cvt_f32_f64_e32 v8, v[8:9]
	v_max_f32_e32 v9, v108, v108
	v_add_co_u32 v17, vcc_lo, v11, v2
	v_add_co_ci_u32_e32 v18, vcc_lo, v12, v3, vcc_lo
	s_mov_b32 vcc_lo, s2
	v_min_f32_e32 v8, v8, v9
	s_delay_alu instid0(VALU_DEP_1)
	v_cvt_f64_f32_e32 v[15:16], v8
	v_max_f32_e32 v8, v107, v107
	global_store_b64 v[17:18], v[15:16], off
	s_cbranch_vccz .LBB162_115
; %bb.113:
	v_min_f32_e32 v9, 0, v8
	v_add_co_u32 v17, vcc_lo, v11, v4
	v_add_co_ci_u32_e32 v18, vcc_lo, v12, v5, vcc_lo
	s_delay_alu instid0(VALU_DEP_3)
	v_cvt_f64_f32_e32 v[15:16], v9
	s_mov_b64 s[0:1], 0
	global_store_b64 v[17:18], v[15:16], off
	s_cbranch_execz .LBB162_116
; %bb.114:
	v_dual_mov_b32 v9, s1 :: v_dual_mov_b32 v8, s0
	s_branch .LBB162_117
.LBB162_115:
                                        ; implicit-def: $sgpr0_sgpr1
.LBB162_116:
	v_add_co_u32 v15, vcc_lo, v13, v4
	v_add_co_ci_u32_e32 v16, vcc_lo, v14, v5, vcc_lo
	flat_load_b64 v[15:16], v[15:16]
	s_waitcnt vmcnt(0) lgkmcnt(0)
	v_mul_f64 v[15:16], s[8:9], v[15:16]
	s_delay_alu instid0(VALU_DEP_1)
	v_cvt_f32_f64_e32 v9, v[15:16]
	v_add_co_u32 v15, vcc_lo, v11, v4
	v_add_co_ci_u32_e32 v16, vcc_lo, v12, v5, vcc_lo
	v_add_co_u32 v13, vcc_lo, v13, v6
	v_add_co_ci_u32_e32 v14, vcc_lo, v14, v7, vcc_lo
	v_min_f32_e32 v8, v9, v8
	s_delay_alu instid0(VALU_DEP_1)
	v_cvt_f64_f32_e32 v[8:9], v8
	global_store_b64 v[15:16], v[8:9], off
	flat_load_b64 v[8:9], v[13:14]
	s_waitcnt vmcnt(0) lgkmcnt(0)
	v_mul_f64 v[8:9], s[8:9], v[8:9]
.LBB162_117:
	s_delay_alu instid0(VALU_DEP_1) | instskip(SKIP_4) | instid1(VALU_DEP_1)
	v_cvt_f32_f64_e32 v8, v[8:9]
	v_max_f32_e32 v9, v106, v106
	v_add_co_u32 v19, vcc_lo, v11, v6
	v_add_co_ci_u32_e32 v20, vcc_lo, v12, v7, vcc_lo
	v_add_nc_u32_e32 v17, 64, v10
	v_mad_i64_i32 v[13:14], null, v17, s3, 0
	s_delay_alu instid0(VALU_DEP_1) | instskip(SKIP_1) | instid1(VALU_DEP_1)
	v_lshlrev_b64 v[13:14], 3, v[13:14]
	v_min_f32_e32 v8, v8, v9
	v_cvt_f64_f32_e32 v[15:16], v8
	v_mad_i64_i32 v[8:9], null, v17, s13, 0
	s_delay_alu instid0(VALU_DEP_1) | instskip(SKIP_1) | instid1(VALU_DEP_2)
	v_lshlrev_b64 v[17:18], 3, v[8:9]
	v_max_f32_e32 v8, v105, v105
	v_add_co_u32 v11, vcc_lo, s4, v17
	s_delay_alu instid0(VALU_DEP_3)
	v_add_co_ci_u32_e32 v12, vcc_lo, s5, v18, vcc_lo
	v_add_co_u32 v13, vcc_lo, s10, v13
	v_add_co_ci_u32_e32 v14, vcc_lo, s11, v14, vcc_lo
	s_mov_b32 vcc_lo, s2
	global_store_b64 v[19:20], v[15:16], off
	s_cbranch_vccz .LBB162_120
; %bb.118:
	v_min_f32_e32 v9, 0, v8
	v_add_co_u32 v17, vcc_lo, v11, v0
	v_add_co_ci_u32_e32 v18, vcc_lo, v12, v1, vcc_lo
	s_delay_alu instid0(VALU_DEP_3)
	v_cvt_f64_f32_e32 v[15:16], v9
	s_mov_b64 s[0:1], 0
	global_store_b64 v[17:18], v[15:16], off
	s_cbranch_execz .LBB162_121
; %bb.119:
	v_dual_mov_b32 v9, s1 :: v_dual_mov_b32 v8, s0
	s_branch .LBB162_122
.LBB162_120:
                                        ; implicit-def: $sgpr0_sgpr1
.LBB162_121:
	v_add_co_u32 v15, vcc_lo, v13, v0
	v_add_co_ci_u32_e32 v16, vcc_lo, v14, v1, vcc_lo
	flat_load_b64 v[15:16], v[15:16]
	s_waitcnt vmcnt(0) lgkmcnt(0)
	v_mul_f64 v[15:16], s[8:9], v[15:16]
	s_delay_alu instid0(VALU_DEP_1)
	v_cvt_f32_f64_e32 v9, v[15:16]
	v_add_co_u32 v15, vcc_lo, v11, v0
	v_add_co_ci_u32_e32 v16, vcc_lo, v12, v1, vcc_lo
	v_add_co_u32 v17, vcc_lo, v13, v2
	v_add_co_ci_u32_e32 v18, vcc_lo, v14, v3, vcc_lo
	v_min_f32_e32 v8, v9, v8
	s_delay_alu instid0(VALU_DEP_1)
	v_cvt_f64_f32_e32 v[8:9], v8
	global_store_b64 v[15:16], v[8:9], off
	flat_load_b64 v[8:9], v[17:18]
	s_waitcnt vmcnt(0) lgkmcnt(0)
	v_mul_f64 v[8:9], s[8:9], v[8:9]
.LBB162_122:
	s_delay_alu instid0(VALU_DEP_1) | instskip(SKIP_4) | instid1(VALU_DEP_3)
	v_cvt_f32_f64_e32 v8, v[8:9]
	v_max_f32_e32 v9, v104, v104
	v_add_co_u32 v17, vcc_lo, v11, v2
	v_add_co_ci_u32_e32 v18, vcc_lo, v12, v3, vcc_lo
	s_mov_b32 vcc_lo, s2
	v_min_f32_e32 v8, v8, v9
	s_delay_alu instid0(VALU_DEP_1)
	v_cvt_f64_f32_e32 v[15:16], v8
	v_max_f32_e32 v8, v103, v103
	global_store_b64 v[17:18], v[15:16], off
	s_cbranch_vccz .LBB162_125
; %bb.123:
	v_min_f32_e32 v9, 0, v8
	v_add_co_u32 v17, vcc_lo, v11, v4
	v_add_co_ci_u32_e32 v18, vcc_lo, v12, v5, vcc_lo
	s_delay_alu instid0(VALU_DEP_3)
	v_cvt_f64_f32_e32 v[15:16], v9
	s_mov_b64 s[0:1], 0
	global_store_b64 v[17:18], v[15:16], off
	s_cbranch_execz .LBB162_126
; %bb.124:
	v_dual_mov_b32 v9, s1 :: v_dual_mov_b32 v8, s0
	s_branch .LBB162_127
.LBB162_125:
                                        ; implicit-def: $sgpr0_sgpr1
.LBB162_126:
	v_add_co_u32 v15, vcc_lo, v13, v4
	v_add_co_ci_u32_e32 v16, vcc_lo, v14, v5, vcc_lo
	flat_load_b64 v[15:16], v[15:16]
	s_waitcnt vmcnt(0) lgkmcnt(0)
	v_mul_f64 v[15:16], s[8:9], v[15:16]
	s_delay_alu instid0(VALU_DEP_1)
	v_cvt_f32_f64_e32 v9, v[15:16]
	v_add_co_u32 v15, vcc_lo, v11, v4
	v_add_co_ci_u32_e32 v16, vcc_lo, v12, v5, vcc_lo
	v_add_co_u32 v13, vcc_lo, v13, v6
	v_add_co_ci_u32_e32 v14, vcc_lo, v14, v7, vcc_lo
	v_min_f32_e32 v8, v9, v8
	s_delay_alu instid0(VALU_DEP_1)
	v_cvt_f64_f32_e32 v[8:9], v8
	global_store_b64 v[15:16], v[8:9], off
	flat_load_b64 v[8:9], v[13:14]
	s_waitcnt vmcnt(0) lgkmcnt(0)
	v_mul_f64 v[8:9], s[8:9], v[8:9]
.LBB162_127:
	s_delay_alu instid0(VALU_DEP_1) | instskip(SKIP_4) | instid1(VALU_DEP_1)
	v_cvt_f32_f64_e32 v8, v[8:9]
	v_max_f32_e32 v9, v102, v102
	v_add_co_u32 v19, vcc_lo, v11, v6
	v_add_co_ci_u32_e32 v20, vcc_lo, v12, v7, vcc_lo
	v_add_nc_u32_e32 v17, 0x48, v10
	v_mad_i64_i32 v[13:14], null, v17, s3, 0
	s_delay_alu instid0(VALU_DEP_1) | instskip(SKIP_1) | instid1(VALU_DEP_1)
	v_lshlrev_b64 v[13:14], 3, v[13:14]
	v_min_f32_e32 v8, v8, v9
	v_cvt_f64_f32_e32 v[15:16], v8
	v_mad_i64_i32 v[8:9], null, v17, s13, 0
	s_delay_alu instid0(VALU_DEP_1) | instskip(SKIP_1) | instid1(VALU_DEP_2)
	v_lshlrev_b64 v[17:18], 3, v[8:9]
	v_max_f32_e32 v8, v101, v101
	v_add_co_u32 v11, vcc_lo, s4, v17
	s_delay_alu instid0(VALU_DEP_3)
	v_add_co_ci_u32_e32 v12, vcc_lo, s5, v18, vcc_lo
	v_add_co_u32 v13, vcc_lo, s10, v13
	v_add_co_ci_u32_e32 v14, vcc_lo, s11, v14, vcc_lo
	s_mov_b32 vcc_lo, s2
	global_store_b64 v[19:20], v[15:16], off
	s_cbranch_vccz .LBB162_130
; %bb.128:
	v_min_f32_e32 v9, 0, v8
	v_add_co_u32 v17, vcc_lo, v11, v0
	v_add_co_ci_u32_e32 v18, vcc_lo, v12, v1, vcc_lo
	s_delay_alu instid0(VALU_DEP_3)
	v_cvt_f64_f32_e32 v[15:16], v9
	s_mov_b64 s[0:1], 0
	global_store_b64 v[17:18], v[15:16], off
	s_cbranch_execz .LBB162_131
; %bb.129:
	v_dual_mov_b32 v9, s1 :: v_dual_mov_b32 v8, s0
	s_branch .LBB162_132
.LBB162_130:
                                        ; implicit-def: $sgpr0_sgpr1
.LBB162_131:
	v_add_co_u32 v15, vcc_lo, v13, v0
	v_add_co_ci_u32_e32 v16, vcc_lo, v14, v1, vcc_lo
	flat_load_b64 v[15:16], v[15:16]
	s_waitcnt vmcnt(0) lgkmcnt(0)
	v_mul_f64 v[15:16], s[8:9], v[15:16]
	s_delay_alu instid0(VALU_DEP_1)
	v_cvt_f32_f64_e32 v9, v[15:16]
	v_add_co_u32 v15, vcc_lo, v11, v0
	v_add_co_ci_u32_e32 v16, vcc_lo, v12, v1, vcc_lo
	v_add_co_u32 v17, vcc_lo, v13, v2
	v_add_co_ci_u32_e32 v18, vcc_lo, v14, v3, vcc_lo
	v_min_f32_e32 v8, v9, v8
	s_delay_alu instid0(VALU_DEP_1)
	v_cvt_f64_f32_e32 v[8:9], v8
	global_store_b64 v[15:16], v[8:9], off
	flat_load_b64 v[8:9], v[17:18]
	s_waitcnt vmcnt(0) lgkmcnt(0)
	v_mul_f64 v[8:9], s[8:9], v[8:9]
.LBB162_132:
	s_delay_alu instid0(VALU_DEP_1) | instskip(SKIP_4) | instid1(VALU_DEP_3)
	v_cvt_f32_f64_e32 v8, v[8:9]
	v_max_f32_e32 v9, v100, v100
	v_add_co_u32 v17, vcc_lo, v11, v2
	v_add_co_ci_u32_e32 v18, vcc_lo, v12, v3, vcc_lo
	s_mov_b32 vcc_lo, s2
	v_min_f32_e32 v8, v8, v9
	s_delay_alu instid0(VALU_DEP_1)
	v_cvt_f64_f32_e32 v[15:16], v8
	v_max_f32_e32 v8, v99, v99
	global_store_b64 v[17:18], v[15:16], off
	s_cbranch_vccz .LBB162_135
; %bb.133:
	v_min_f32_e32 v9, 0, v8
	v_add_co_u32 v17, vcc_lo, v11, v4
	v_add_co_ci_u32_e32 v18, vcc_lo, v12, v5, vcc_lo
	s_delay_alu instid0(VALU_DEP_3)
	v_cvt_f64_f32_e32 v[15:16], v9
	s_mov_b64 s[0:1], 0
	global_store_b64 v[17:18], v[15:16], off
	s_cbranch_execz .LBB162_136
; %bb.134:
	v_dual_mov_b32 v9, s1 :: v_dual_mov_b32 v8, s0
	s_branch .LBB162_137
.LBB162_135:
                                        ; implicit-def: $sgpr0_sgpr1
.LBB162_136:
	v_add_co_u32 v15, vcc_lo, v13, v4
	v_add_co_ci_u32_e32 v16, vcc_lo, v14, v5, vcc_lo
	flat_load_b64 v[15:16], v[15:16]
	s_waitcnt vmcnt(0) lgkmcnt(0)
	v_mul_f64 v[15:16], s[8:9], v[15:16]
	s_delay_alu instid0(VALU_DEP_1)
	v_cvt_f32_f64_e32 v9, v[15:16]
	v_add_co_u32 v15, vcc_lo, v11, v4
	v_add_co_ci_u32_e32 v16, vcc_lo, v12, v5, vcc_lo
	v_add_co_u32 v13, vcc_lo, v13, v6
	v_add_co_ci_u32_e32 v14, vcc_lo, v14, v7, vcc_lo
	v_min_f32_e32 v8, v9, v8
	s_delay_alu instid0(VALU_DEP_1)
	v_cvt_f64_f32_e32 v[8:9], v8
	global_store_b64 v[15:16], v[8:9], off
	flat_load_b64 v[8:9], v[13:14]
	s_waitcnt vmcnt(0) lgkmcnt(0)
	v_mul_f64 v[8:9], s[8:9], v[8:9]
.LBB162_137:
	s_delay_alu instid0(VALU_DEP_1) | instskip(SKIP_4) | instid1(VALU_DEP_1)
	v_cvt_f32_f64_e32 v8, v[8:9]
	v_max_f32_e32 v9, v98, v98
	v_add_co_u32 v19, vcc_lo, v11, v6
	v_add_co_ci_u32_e32 v20, vcc_lo, v12, v7, vcc_lo
	v_add_nc_u32_e32 v17, 0x50, v10
	v_mad_i64_i32 v[13:14], null, v17, s3, 0
	s_delay_alu instid0(VALU_DEP_1) | instskip(SKIP_1) | instid1(VALU_DEP_1)
	v_lshlrev_b64 v[13:14], 3, v[13:14]
	v_min_f32_e32 v8, v8, v9
	v_cvt_f64_f32_e32 v[15:16], v8
	v_mad_i64_i32 v[8:9], null, v17, s13, 0
	s_delay_alu instid0(VALU_DEP_1) | instskip(SKIP_1) | instid1(VALU_DEP_2)
	v_lshlrev_b64 v[17:18], 3, v[8:9]
	v_max_f32_e32 v8, v97, v97
	v_add_co_u32 v11, vcc_lo, s4, v17
	s_delay_alu instid0(VALU_DEP_3)
	v_add_co_ci_u32_e32 v12, vcc_lo, s5, v18, vcc_lo
	v_add_co_u32 v13, vcc_lo, s10, v13
	v_add_co_ci_u32_e32 v14, vcc_lo, s11, v14, vcc_lo
	s_mov_b32 vcc_lo, s2
	global_store_b64 v[19:20], v[15:16], off
	s_cbranch_vccz .LBB162_140
; %bb.138:
	v_min_f32_e32 v9, 0, v8
	v_add_co_u32 v17, vcc_lo, v11, v0
	v_add_co_ci_u32_e32 v18, vcc_lo, v12, v1, vcc_lo
	s_delay_alu instid0(VALU_DEP_3)
	v_cvt_f64_f32_e32 v[15:16], v9
	s_mov_b64 s[0:1], 0
	global_store_b64 v[17:18], v[15:16], off
	s_cbranch_execz .LBB162_141
; %bb.139:
	v_dual_mov_b32 v9, s1 :: v_dual_mov_b32 v8, s0
	s_branch .LBB162_142
.LBB162_140:
                                        ; implicit-def: $sgpr0_sgpr1
.LBB162_141:
	v_add_co_u32 v15, vcc_lo, v13, v0
	v_add_co_ci_u32_e32 v16, vcc_lo, v14, v1, vcc_lo
	flat_load_b64 v[15:16], v[15:16]
	s_waitcnt vmcnt(0) lgkmcnt(0)
	v_mul_f64 v[15:16], s[8:9], v[15:16]
	s_delay_alu instid0(VALU_DEP_1)
	v_cvt_f32_f64_e32 v9, v[15:16]
	v_add_co_u32 v15, vcc_lo, v11, v0
	v_add_co_ci_u32_e32 v16, vcc_lo, v12, v1, vcc_lo
	v_add_co_u32 v17, vcc_lo, v13, v2
	v_add_co_ci_u32_e32 v18, vcc_lo, v14, v3, vcc_lo
	v_min_f32_e32 v8, v9, v8
	s_delay_alu instid0(VALU_DEP_1)
	v_cvt_f64_f32_e32 v[8:9], v8
	global_store_b64 v[15:16], v[8:9], off
	flat_load_b64 v[8:9], v[17:18]
	s_waitcnt vmcnt(0) lgkmcnt(0)
	v_mul_f64 v[8:9], s[8:9], v[8:9]
.LBB162_142:
	s_delay_alu instid0(VALU_DEP_1) | instskip(SKIP_4) | instid1(VALU_DEP_3)
	v_cvt_f32_f64_e32 v8, v[8:9]
	v_max_f32_e32 v9, v96, v96
	v_add_co_u32 v17, vcc_lo, v11, v2
	v_add_co_ci_u32_e32 v18, vcc_lo, v12, v3, vcc_lo
	s_mov_b32 vcc_lo, s2
	v_min_f32_e32 v8, v8, v9
	s_delay_alu instid0(VALU_DEP_1)
	v_cvt_f64_f32_e32 v[15:16], v8
	v_max_f32_e32 v8, v95, v95
	global_store_b64 v[17:18], v[15:16], off
	s_cbranch_vccz .LBB162_145
; %bb.143:
	v_min_f32_e32 v9, 0, v8
	v_add_co_u32 v17, vcc_lo, v11, v4
	v_add_co_ci_u32_e32 v18, vcc_lo, v12, v5, vcc_lo
	s_delay_alu instid0(VALU_DEP_3)
	v_cvt_f64_f32_e32 v[15:16], v9
	s_mov_b32 s0, 0
	global_store_b64 v[17:18], v[15:16], off
	s_cbranch_execz .LBB162_146
; %bb.144:
	v_mov_b32_e32 v8, s0
	s_branch .LBB162_147
.LBB162_145:
	s_mov_b32 s0, -1
.LBB162_146:
	v_add_co_u32 v15, vcc_lo, v13, v4
	v_add_co_ci_u32_e32 v16, vcc_lo, v14, v5, vcc_lo
	flat_load_b64 v[15:16], v[15:16]
	s_waitcnt vmcnt(0) lgkmcnt(0)
	v_mul_f64 v[15:16], s[8:9], v[15:16]
	s_delay_alu instid0(VALU_DEP_1)
	v_cvt_f32_f64_e32 v9, v[15:16]
	v_add_co_u32 v15, vcc_lo, v11, v4
	v_add_co_ci_u32_e32 v16, vcc_lo, v12, v5, vcc_lo
	v_add_co_u32 v13, vcc_lo, v13, v6
	v_add_co_ci_u32_e32 v14, vcc_lo, v14, v7, vcc_lo
	v_min_f32_e32 v8, v9, v8
	s_delay_alu instid0(VALU_DEP_1) | instskip(SKIP_4) | instid1(VALU_DEP_1)
	v_cvt_f64_f32_e32 v[8:9], v8
	global_store_b64 v[15:16], v[8:9], off
	flat_load_b64 v[8:9], v[13:14]
	s_waitcnt vmcnt(0) lgkmcnt(0)
	v_mul_f64 v[8:9], s[8:9], v[8:9]
	v_cvt_f32_f64_e32 v8, v[8:9]
.LBB162_147:
	s_delay_alu instid0(VALU_DEP_1) | instskip(SKIP_2) | instid1(VALU_DEP_3)
	v_dual_max_f32 v9, v94, v94 :: v_dual_max_f32 v8, v8, v8
	v_add_co_u32 v18, vcc_lo, v11, v6
	v_add_co_ci_u32_e32 v19, vcc_lo, v12, v7, vcc_lo
	v_dual_min_f32 v8, v8, v9 :: v_dual_add_nc_u32 v13, 0x58, v10
	s_delay_alu instid0(VALU_DEP_1) | instskip(NEXT) | instid1(VALU_DEP_2)
	v_cvt_f64_f32_e32 v[14:15], v8
	v_mad_i64_i32 v[8:9], null, v13, s13, 0
	v_mad_i64_i32 v[16:17], null, v13, s3, 0
	v_max_f32_e32 v13, v93, v93
	s_delay_alu instid0(VALU_DEP_3) | instskip(NEXT) | instid1(VALU_DEP_3)
	v_lshlrev_b64 v[8:9], 3, v[8:9]
	v_lshlrev_b64 v[11:12], 3, v[16:17]
	s_delay_alu instid0(VALU_DEP_2) | instskip(NEXT) | instid1(VALU_DEP_3)
	v_add_co_u32 v8, vcc_lo, s4, v8
	v_add_co_ci_u32_e32 v9, vcc_lo, s5, v9, vcc_lo
	s_delay_alu instid0(VALU_DEP_3) | instskip(NEXT) | instid1(VALU_DEP_4)
	v_add_co_u32 v11, vcc_lo, s10, v11
	v_add_co_ci_u32_e32 v12, vcc_lo, s11, v12, vcc_lo
	s_mov_b32 vcc_lo, s2
	global_store_b64 v[18:19], v[14:15], off
	s_cbranch_vccz .LBB162_150
; %bb.148:
	v_min_f32_e32 v14, 0, v13
	v_add_co_u32 v16, vcc_lo, v8, v0
	v_add_co_ci_u32_e32 v17, vcc_lo, v9, v1, vcc_lo
	s_delay_alu instid0(VALU_DEP_3)
	v_cvt_f64_f32_e32 v[14:15], v14
	s_mov_b32 s0, 0
	global_store_b64 v[16:17], v[14:15], off
	s_cbranch_execz .LBB162_151
; %bb.149:
	v_mov_b32_e32 v13, s0
	s_branch .LBB162_152
.LBB162_150:
	s_mov_b32 s0, -1
.LBB162_151:
	v_add_co_u32 v14, vcc_lo, v11, v0
	v_add_co_ci_u32_e32 v15, vcc_lo, v12, v1, vcc_lo
	flat_load_b64 v[14:15], v[14:15]
	s_waitcnt vmcnt(0) lgkmcnt(0)
	v_mul_f64 v[14:15], s[8:9], v[14:15]
	s_delay_alu instid0(VALU_DEP_1)
	v_cvt_f32_f64_e32 v14, v[14:15]
	v_add_co_u32 v15, vcc_lo, v8, v0
	v_add_co_ci_u32_e32 v16, vcc_lo, v9, v1, vcc_lo
	v_add_co_u32 v17, vcc_lo, v11, v2
	v_add_co_ci_u32_e32 v18, vcc_lo, v12, v3, vcc_lo
	v_min_f32_e32 v13, v14, v13
	s_delay_alu instid0(VALU_DEP_1) | instskip(SKIP_4) | instid1(VALU_DEP_1)
	v_cvt_f64_f32_e32 v[13:14], v13
	global_store_b64 v[15:16], v[13:14], off
	flat_load_b64 v[13:14], v[17:18]
	s_waitcnt vmcnt(0) lgkmcnt(0)
	v_mul_f64 v[13:14], s[8:9], v[13:14]
	v_cvt_f32_f64_e32 v13, v[13:14]
.LBB162_152:
	s_delay_alu instid0(VALU_DEP_1) | instskip(SKIP_2) | instid1(VALU_DEP_3)
	v_dual_max_f32 v14, v92, v92 :: v_dual_max_f32 v13, v13, v13
	v_add_co_u32 v16, vcc_lo, v8, v2
	v_add_co_ci_u32_e32 v17, vcc_lo, v9, v3, vcc_lo
	v_min_f32_e32 v13, v13, v14
	s_mov_b32 vcc_lo, s2
	s_delay_alu instid0(VALU_DEP_1)
	v_cvt_f64_f32_e32 v[14:15], v13
	v_max_f32_e32 v13, v91, v91
	global_store_b64 v[16:17], v[14:15], off
	s_cbranch_vccz .LBB162_155
; %bb.153:
	v_min_f32_e32 v14, 0, v13
	v_add_co_u32 v16, vcc_lo, v8, v4
	v_add_co_ci_u32_e32 v17, vcc_lo, v9, v5, vcc_lo
	s_delay_alu instid0(VALU_DEP_3)
	v_cvt_f64_f32_e32 v[14:15], v14
	s_mov_b32 s0, 0
	global_store_b64 v[16:17], v[14:15], off
	s_cbranch_execz .LBB162_156
; %bb.154:
	v_mov_b32_e32 v11, s0
	s_branch .LBB162_157
.LBB162_155:
	s_mov_b32 s0, -1
.LBB162_156:
	v_add_co_u32 v14, vcc_lo, v11, v4
	v_add_co_ci_u32_e32 v15, vcc_lo, v12, v5, vcc_lo
	flat_load_b64 v[14:15], v[14:15]
	s_waitcnt vmcnt(0) lgkmcnt(0)
	v_mul_f64 v[14:15], s[8:9], v[14:15]
	s_delay_alu instid0(VALU_DEP_1)
	v_cvt_f32_f64_e32 v14, v[14:15]
	v_add_co_u32 v15, vcc_lo, v8, v4
	v_add_co_ci_u32_e32 v16, vcc_lo, v9, v5, vcc_lo
	v_add_co_u32 v11, vcc_lo, v11, v6
	v_add_co_ci_u32_e32 v12, vcc_lo, v12, v7, vcc_lo
	v_min_f32_e32 v13, v14, v13
	s_delay_alu instid0(VALU_DEP_1) | instskip(SKIP_4) | instid1(VALU_DEP_1)
	v_cvt_f64_f32_e32 v[13:14], v13
	global_store_b64 v[15:16], v[13:14], off
	flat_load_b64 v[11:12], v[11:12]
	s_waitcnt vmcnt(0) lgkmcnt(0)
	v_mul_f64 v[11:12], s[8:9], v[11:12]
	v_cvt_f32_f64_e32 v11, v[11:12]
.LBB162_157:
	s_delay_alu instid0(VALU_DEP_1) | instskip(SKIP_3) | instid1(VALU_DEP_4)
	v_dual_max_f32 v12, v90, v90 :: v_dual_max_f32 v11, v11, v11
	v_add_nc_u32_e32 v13, 0x60, v10
	v_add_co_u32 v18, vcc_lo, v8, v6
	v_add_co_ci_u32_e32 v19, vcc_lo, v9, v7, vcc_lo
	v_min_f32_e32 v11, v11, v12
	s_delay_alu instid0(VALU_DEP_4) | instskip(NEXT) | instid1(VALU_DEP_2)
	v_mad_i64_i32 v[16:17], null, v13, s3, 0
	v_cvt_f64_f32_e32 v[14:15], v11
	v_mad_i64_i32 v[11:12], null, v13, s13, 0
	v_max_f32_e32 v13, v89, v89
	s_delay_alu instid0(VALU_DEP_4) | instskip(NEXT) | instid1(VALU_DEP_3)
	v_lshlrev_b64 v[16:17], 3, v[16:17]
	v_lshlrev_b64 v[11:12], 3, v[11:12]
	s_delay_alu instid0(VALU_DEP_1) | instskip(NEXT) | instid1(VALU_DEP_2)
	v_add_co_u32 v8, vcc_lo, s4, v11
	v_add_co_ci_u32_e32 v9, vcc_lo, s5, v12, vcc_lo
	s_delay_alu instid0(VALU_DEP_4)
	v_add_co_u32 v11, vcc_lo, s10, v16
	v_add_co_ci_u32_e32 v12, vcc_lo, s11, v17, vcc_lo
	s_mov_b32 vcc_lo, s2
	global_store_b64 v[18:19], v[14:15], off
	s_cbranch_vccz .LBB162_160
; %bb.158:
	v_min_f32_e32 v14, 0, v13
	v_add_co_u32 v16, vcc_lo, v8, v0
	v_add_co_ci_u32_e32 v17, vcc_lo, v9, v1, vcc_lo
	s_delay_alu instid0(VALU_DEP_3)
	v_cvt_f64_f32_e32 v[14:15], v14
	s_mov_b32 s0, 0
	global_store_b64 v[16:17], v[14:15], off
	s_cbranch_execz .LBB162_161
; %bb.159:
	v_mov_b32_e32 v13, s0
	s_branch .LBB162_162
.LBB162_160:
	s_mov_b32 s0, -1
.LBB162_161:
	v_add_co_u32 v14, vcc_lo, v11, v0
	v_add_co_ci_u32_e32 v15, vcc_lo, v12, v1, vcc_lo
	flat_load_b64 v[14:15], v[14:15]
	s_waitcnt vmcnt(0) lgkmcnt(0)
	v_mul_f64 v[14:15], s[8:9], v[14:15]
	s_delay_alu instid0(VALU_DEP_1)
	v_cvt_f32_f64_e32 v14, v[14:15]
	v_add_co_u32 v15, vcc_lo, v8, v0
	v_add_co_ci_u32_e32 v16, vcc_lo, v9, v1, vcc_lo
	v_add_co_u32 v17, vcc_lo, v11, v2
	v_add_co_ci_u32_e32 v18, vcc_lo, v12, v3, vcc_lo
	v_min_f32_e32 v13, v14, v13
	s_delay_alu instid0(VALU_DEP_1) | instskip(SKIP_4) | instid1(VALU_DEP_1)
	v_cvt_f64_f32_e32 v[13:14], v13
	global_store_b64 v[15:16], v[13:14], off
	flat_load_b64 v[13:14], v[17:18]
	s_waitcnt vmcnt(0) lgkmcnt(0)
	v_mul_f64 v[13:14], s[8:9], v[13:14]
	v_cvt_f32_f64_e32 v13, v[13:14]
.LBB162_162:
	s_delay_alu instid0(VALU_DEP_1) | instskip(SKIP_2) | instid1(VALU_DEP_3)
	v_dual_max_f32 v14, v88, v88 :: v_dual_max_f32 v13, v13, v13
	v_add_co_u32 v16, vcc_lo, v8, v2
	v_add_co_ci_u32_e32 v17, vcc_lo, v9, v3, vcc_lo
	v_min_f32_e32 v13, v13, v14
	s_mov_b32 vcc_lo, s2
	s_delay_alu instid0(VALU_DEP_1)
	v_cvt_f64_f32_e32 v[14:15], v13
	v_max_f32_e32 v13, v87, v87
	global_store_b64 v[16:17], v[14:15], off
	s_cbranch_vccz .LBB162_165
; %bb.163:
	v_min_f32_e32 v14, 0, v13
	v_add_co_u32 v16, vcc_lo, v8, v4
	v_add_co_ci_u32_e32 v17, vcc_lo, v9, v5, vcc_lo
	s_delay_alu instid0(VALU_DEP_3)
	v_cvt_f64_f32_e32 v[14:15], v14
	s_mov_b32 s0, 0
	global_store_b64 v[16:17], v[14:15], off
	s_cbranch_execz .LBB162_166
; %bb.164:
	v_mov_b32_e32 v11, s0
	s_branch .LBB162_167
.LBB162_165:
	s_mov_b32 s0, -1
.LBB162_166:
	v_add_co_u32 v14, vcc_lo, v11, v4
	v_add_co_ci_u32_e32 v15, vcc_lo, v12, v5, vcc_lo
	flat_load_b64 v[14:15], v[14:15]
	s_waitcnt vmcnt(0) lgkmcnt(0)
	v_mul_f64 v[14:15], s[8:9], v[14:15]
	s_delay_alu instid0(VALU_DEP_1)
	v_cvt_f32_f64_e32 v14, v[14:15]
	v_add_co_u32 v15, vcc_lo, v8, v4
	v_add_co_ci_u32_e32 v16, vcc_lo, v9, v5, vcc_lo
	v_add_co_u32 v11, vcc_lo, v11, v6
	v_add_co_ci_u32_e32 v12, vcc_lo, v12, v7, vcc_lo
	v_min_f32_e32 v13, v14, v13
	s_delay_alu instid0(VALU_DEP_1) | instskip(SKIP_4) | instid1(VALU_DEP_1)
	v_cvt_f64_f32_e32 v[13:14], v13
	global_store_b64 v[15:16], v[13:14], off
	flat_load_b64 v[11:12], v[11:12]
	s_waitcnt vmcnt(0) lgkmcnt(0)
	v_mul_f64 v[11:12], s[8:9], v[11:12]
	v_cvt_f32_f64_e32 v11, v[11:12]
.LBB162_167:
	s_delay_alu instid0(VALU_DEP_1) | instskip(SKIP_3) | instid1(VALU_DEP_4)
	v_dual_max_f32 v12, v86, v86 :: v_dual_max_f32 v11, v11, v11
	v_add_nc_u32_e32 v13, 0x68, v10
	v_add_co_u32 v18, vcc_lo, v8, v6
	v_add_co_ci_u32_e32 v19, vcc_lo, v9, v7, vcc_lo
	v_min_f32_e32 v11, v11, v12
	s_delay_alu instid0(VALU_DEP_4) | instskip(NEXT) | instid1(VALU_DEP_2)
	v_mad_i64_i32 v[16:17], null, v13, s3, 0
	v_cvt_f64_f32_e32 v[14:15], v11
	v_mad_i64_i32 v[11:12], null, v13, s13, 0
	v_max_f32_e32 v13, v85, v85
	s_delay_alu instid0(VALU_DEP_4) | instskip(NEXT) | instid1(VALU_DEP_3)
	v_lshlrev_b64 v[16:17], 3, v[16:17]
	v_lshlrev_b64 v[11:12], 3, v[11:12]
	s_delay_alu instid0(VALU_DEP_1) | instskip(NEXT) | instid1(VALU_DEP_2)
	v_add_co_u32 v8, vcc_lo, s4, v11
	v_add_co_ci_u32_e32 v9, vcc_lo, s5, v12, vcc_lo
	s_delay_alu instid0(VALU_DEP_4)
	v_add_co_u32 v11, vcc_lo, s10, v16
	v_add_co_ci_u32_e32 v12, vcc_lo, s11, v17, vcc_lo
	s_mov_b32 vcc_lo, s2
	global_store_b64 v[18:19], v[14:15], off
	s_cbranch_vccz .LBB162_170
; %bb.168:
	v_min_f32_e32 v14, 0, v13
	v_add_co_u32 v16, vcc_lo, v8, v0
	v_add_co_ci_u32_e32 v17, vcc_lo, v9, v1, vcc_lo
	s_delay_alu instid0(VALU_DEP_3)
	v_cvt_f64_f32_e32 v[14:15], v14
	s_mov_b32 s0, 0
	global_store_b64 v[16:17], v[14:15], off
	s_cbranch_execz .LBB162_171
; %bb.169:
	v_mov_b32_e32 v13, s0
	s_branch .LBB162_172
.LBB162_170:
	s_mov_b32 s0, -1
.LBB162_171:
	v_add_co_u32 v14, vcc_lo, v11, v0
	v_add_co_ci_u32_e32 v15, vcc_lo, v12, v1, vcc_lo
	flat_load_b64 v[14:15], v[14:15]
	s_waitcnt vmcnt(0) lgkmcnt(0)
	v_mul_f64 v[14:15], s[8:9], v[14:15]
	s_delay_alu instid0(VALU_DEP_1)
	v_cvt_f32_f64_e32 v14, v[14:15]
	v_add_co_u32 v15, vcc_lo, v8, v0
	v_add_co_ci_u32_e32 v16, vcc_lo, v9, v1, vcc_lo
	v_add_co_u32 v17, vcc_lo, v11, v2
	v_add_co_ci_u32_e32 v18, vcc_lo, v12, v3, vcc_lo
	v_min_f32_e32 v13, v14, v13
	s_delay_alu instid0(VALU_DEP_1) | instskip(SKIP_4) | instid1(VALU_DEP_1)
	v_cvt_f64_f32_e32 v[13:14], v13
	global_store_b64 v[15:16], v[13:14], off
	flat_load_b64 v[13:14], v[17:18]
	s_waitcnt vmcnt(0) lgkmcnt(0)
	v_mul_f64 v[13:14], s[8:9], v[13:14]
	v_cvt_f32_f64_e32 v13, v[13:14]
.LBB162_172:
	s_delay_alu instid0(VALU_DEP_1) | instskip(SKIP_2) | instid1(VALU_DEP_3)
	v_dual_max_f32 v14, v84, v84 :: v_dual_max_f32 v13, v13, v13
	v_add_co_u32 v16, vcc_lo, v8, v2
	v_add_co_ci_u32_e32 v17, vcc_lo, v9, v3, vcc_lo
	v_min_f32_e32 v13, v13, v14
	s_mov_b32 vcc_lo, s2
	s_delay_alu instid0(VALU_DEP_1)
	v_cvt_f64_f32_e32 v[14:15], v13
	v_max_f32_e32 v13, v83, v83
	global_store_b64 v[16:17], v[14:15], off
	s_cbranch_vccz .LBB162_175
; %bb.173:
	v_min_f32_e32 v14, 0, v13
	v_add_co_u32 v16, vcc_lo, v8, v4
	v_add_co_ci_u32_e32 v17, vcc_lo, v9, v5, vcc_lo
	s_delay_alu instid0(VALU_DEP_3)
	v_cvt_f64_f32_e32 v[14:15], v14
	s_mov_b32 s0, 0
	global_store_b64 v[16:17], v[14:15], off
	s_cbranch_execz .LBB162_176
; %bb.174:
	v_mov_b32_e32 v11, s0
	s_branch .LBB162_177
.LBB162_175:
	s_mov_b32 s0, -1
.LBB162_176:
	v_add_co_u32 v14, vcc_lo, v11, v4
	v_add_co_ci_u32_e32 v15, vcc_lo, v12, v5, vcc_lo
	flat_load_b64 v[14:15], v[14:15]
	s_waitcnt vmcnt(0) lgkmcnt(0)
	v_mul_f64 v[14:15], s[8:9], v[14:15]
	s_delay_alu instid0(VALU_DEP_1)
	v_cvt_f32_f64_e32 v14, v[14:15]
	v_add_co_u32 v15, vcc_lo, v8, v4
	v_add_co_ci_u32_e32 v16, vcc_lo, v9, v5, vcc_lo
	v_add_co_u32 v11, vcc_lo, v11, v6
	v_add_co_ci_u32_e32 v12, vcc_lo, v12, v7, vcc_lo
	v_min_f32_e32 v13, v14, v13
	s_delay_alu instid0(VALU_DEP_1) | instskip(SKIP_4) | instid1(VALU_DEP_1)
	v_cvt_f64_f32_e32 v[13:14], v13
	global_store_b64 v[15:16], v[13:14], off
	flat_load_b64 v[11:12], v[11:12]
	s_waitcnt vmcnt(0) lgkmcnt(0)
	v_mul_f64 v[11:12], s[8:9], v[11:12]
	v_cvt_f32_f64_e32 v11, v[11:12]
.LBB162_177:
	s_delay_alu instid0(VALU_DEP_1) | instskip(SKIP_3) | instid1(VALU_DEP_4)
	v_dual_max_f32 v12, v82, v82 :: v_dual_max_f32 v11, v11, v11
	v_add_nc_u32_e32 v13, 0x70, v10
	v_add_co_u32 v18, vcc_lo, v8, v6
	v_add_co_ci_u32_e32 v19, vcc_lo, v9, v7, vcc_lo
	v_min_f32_e32 v11, v11, v12
	s_delay_alu instid0(VALU_DEP_4) | instskip(NEXT) | instid1(VALU_DEP_2)
	v_mad_i64_i32 v[16:17], null, v13, s3, 0
	v_cvt_f64_f32_e32 v[14:15], v11
	v_mad_i64_i32 v[11:12], null, v13, s13, 0
	v_max_f32_e32 v13, v81, v81
	s_delay_alu instid0(VALU_DEP_4) | instskip(NEXT) | instid1(VALU_DEP_3)
	v_lshlrev_b64 v[16:17], 3, v[16:17]
	v_lshlrev_b64 v[11:12], 3, v[11:12]
	s_delay_alu instid0(VALU_DEP_1) | instskip(NEXT) | instid1(VALU_DEP_2)
	v_add_co_u32 v8, vcc_lo, s4, v11
	v_add_co_ci_u32_e32 v9, vcc_lo, s5, v12, vcc_lo
	s_delay_alu instid0(VALU_DEP_4)
	v_add_co_u32 v11, vcc_lo, s10, v16
	v_add_co_ci_u32_e32 v12, vcc_lo, s11, v17, vcc_lo
	s_mov_b32 vcc_lo, s2
	global_store_b64 v[18:19], v[14:15], off
	s_cbranch_vccz .LBB162_180
; %bb.178:
	v_min_f32_e32 v14, 0, v13
	v_add_co_u32 v16, vcc_lo, v8, v0
	v_add_co_ci_u32_e32 v17, vcc_lo, v9, v1, vcc_lo
	s_delay_alu instid0(VALU_DEP_3)
	v_cvt_f64_f32_e32 v[14:15], v14
	s_mov_b32 s0, 0
	global_store_b64 v[16:17], v[14:15], off
	s_cbranch_execz .LBB162_181
; %bb.179:
	v_mov_b32_e32 v13, s0
	s_branch .LBB162_182
.LBB162_180:
	s_mov_b32 s0, -1
.LBB162_181:
	v_add_co_u32 v14, vcc_lo, v11, v0
	v_add_co_ci_u32_e32 v15, vcc_lo, v12, v1, vcc_lo
	flat_load_b64 v[14:15], v[14:15]
	s_waitcnt vmcnt(0) lgkmcnt(0)
	v_mul_f64 v[14:15], s[8:9], v[14:15]
	s_delay_alu instid0(VALU_DEP_1)
	v_cvt_f32_f64_e32 v14, v[14:15]
	v_add_co_u32 v15, vcc_lo, v8, v0
	v_add_co_ci_u32_e32 v16, vcc_lo, v9, v1, vcc_lo
	v_add_co_u32 v17, vcc_lo, v11, v2
	v_add_co_ci_u32_e32 v18, vcc_lo, v12, v3, vcc_lo
	v_min_f32_e32 v13, v14, v13
	s_delay_alu instid0(VALU_DEP_1) | instskip(SKIP_4) | instid1(VALU_DEP_1)
	v_cvt_f64_f32_e32 v[13:14], v13
	global_store_b64 v[15:16], v[13:14], off
	flat_load_b64 v[13:14], v[17:18]
	s_waitcnt vmcnt(0) lgkmcnt(0)
	v_mul_f64 v[13:14], s[8:9], v[13:14]
	v_cvt_f32_f64_e32 v13, v[13:14]
.LBB162_182:
	s_delay_alu instid0(VALU_DEP_1) | instskip(SKIP_2) | instid1(VALU_DEP_3)
	v_dual_max_f32 v14, v80, v80 :: v_dual_max_f32 v13, v13, v13
	v_add_co_u32 v16, vcc_lo, v8, v2
	v_add_co_ci_u32_e32 v17, vcc_lo, v9, v3, vcc_lo
	v_min_f32_e32 v13, v13, v14
	s_mov_b32 vcc_lo, s2
	s_delay_alu instid0(VALU_DEP_1)
	v_cvt_f64_f32_e32 v[14:15], v13
	v_max_f32_e32 v13, v79, v79
	global_store_b64 v[16:17], v[14:15], off
	s_cbranch_vccz .LBB162_185
; %bb.183:
	v_min_f32_e32 v14, 0, v13
	v_add_co_u32 v16, vcc_lo, v8, v4
	v_add_co_ci_u32_e32 v17, vcc_lo, v9, v5, vcc_lo
	s_delay_alu instid0(VALU_DEP_3)
	v_cvt_f64_f32_e32 v[14:15], v14
	s_mov_b32 s0, 0
	global_store_b64 v[16:17], v[14:15], off
	s_cbranch_execz .LBB162_186
; %bb.184:
	v_mov_b32_e32 v11, s0
	s_branch .LBB162_187
.LBB162_185:
	s_mov_b32 s0, -1
.LBB162_186:
	v_add_co_u32 v14, vcc_lo, v11, v4
	v_add_co_ci_u32_e32 v15, vcc_lo, v12, v5, vcc_lo
	flat_load_b64 v[14:15], v[14:15]
	s_waitcnt vmcnt(0) lgkmcnt(0)
	v_mul_f64 v[14:15], s[8:9], v[14:15]
	s_delay_alu instid0(VALU_DEP_1)
	v_cvt_f32_f64_e32 v14, v[14:15]
	v_add_co_u32 v15, vcc_lo, v8, v4
	v_add_co_ci_u32_e32 v16, vcc_lo, v9, v5, vcc_lo
	v_add_co_u32 v11, vcc_lo, v11, v6
	v_add_co_ci_u32_e32 v12, vcc_lo, v12, v7, vcc_lo
	v_min_f32_e32 v13, v14, v13
	s_delay_alu instid0(VALU_DEP_1) | instskip(SKIP_4) | instid1(VALU_DEP_1)
	v_cvt_f64_f32_e32 v[13:14], v13
	global_store_b64 v[15:16], v[13:14], off
	flat_load_b64 v[11:12], v[11:12]
	s_waitcnt vmcnt(0) lgkmcnt(0)
	v_mul_f64 v[11:12], s[8:9], v[11:12]
	v_cvt_f32_f64_e32 v11, v[11:12]
.LBB162_187:
	s_delay_alu instid0(VALU_DEP_1) | instskip(SKIP_2) | instid1(VALU_DEP_3)
	v_dual_max_f32 v12, v78, v78 :: v_dual_max_f32 v11, v11, v11
	v_add_co_u32 v17, vcc_lo, v8, v6
	v_add_co_ci_u32_e32 v18, vcc_lo, v9, v7, vcc_lo
	v_dual_min_f32 v11, v11, v12 :: v_dual_add_nc_u32 v12, 0x78, v10
	s_delay_alu instid0(VALU_DEP_1) | instskip(NEXT) | instid1(VALU_DEP_2)
	v_cvt_f64_f32_e32 v[13:14], v11
	v_mad_i64_i32 v[10:11], null, v12, s13, 0
	v_mad_i64_i32 v[15:16], null, v12, s3, 0
	v_max_f32_e32 v12, v77, v77
	s_delay_alu instid0(VALU_DEP_3) | instskip(NEXT) | instid1(VALU_DEP_3)
	v_lshlrev_b64 v[10:11], 3, v[10:11]
	v_lshlrev_b64 v[15:16], 3, v[15:16]
	s_delay_alu instid0(VALU_DEP_2) | instskip(NEXT) | instid1(VALU_DEP_3)
	v_add_co_u32 v8, vcc_lo, s4, v10
	v_add_co_ci_u32_e32 v9, vcc_lo, s5, v11, vcc_lo
	s_delay_alu instid0(VALU_DEP_3) | instskip(NEXT) | instid1(VALU_DEP_4)
	v_add_co_u32 v10, vcc_lo, s10, v15
	v_add_co_ci_u32_e32 v11, vcc_lo, s11, v16, vcc_lo
	s_mov_b32 vcc_lo, s2
	global_store_b64 v[17:18], v[13:14], off
	s_cbranch_vccz .LBB162_190
; %bb.188:
	v_min_f32_e32 v13, 0, v12
	v_add_co_u32 v15, vcc_lo, v8, v0
	v_add_co_ci_u32_e32 v16, vcc_lo, v9, v1, vcc_lo
	s_delay_alu instid0(VALU_DEP_3)
	v_cvt_f64_f32_e32 v[13:14], v13
	s_mov_b32 s0, 0
	global_store_b64 v[15:16], v[13:14], off
	s_cbranch_execz .LBB162_191
; %bb.189:
	v_mov_b32_e32 v0, s0
	s_branch .LBB162_192
.LBB162_190:
	s_mov_b32 s0, -1
.LBB162_191:
	v_add_co_u32 v13, vcc_lo, v10, v0
	v_add_co_ci_u32_e32 v14, vcc_lo, v11, v1, vcc_lo
	v_add_co_u32 v0, vcc_lo, v8, v0
	v_add_co_ci_u32_e32 v1, vcc_lo, v9, v1, vcc_lo
	flat_load_b64 v[13:14], v[13:14]
	s_waitcnt vmcnt(0) lgkmcnt(0)
	v_mul_f64 v[13:14], s[8:9], v[13:14]
	s_delay_alu instid0(VALU_DEP_1) | instskip(SKIP_2) | instid1(VALU_DEP_3)
	v_cvt_f32_f64_e32 v13, v[13:14]
	v_add_co_u32 v14, vcc_lo, v10, v2
	v_add_co_ci_u32_e32 v15, vcc_lo, v11, v3, vcc_lo
	v_min_f32_e32 v12, v13, v12
	s_delay_alu instid0(VALU_DEP_1) | instskip(SKIP_4) | instid1(VALU_DEP_1)
	v_cvt_f64_f32_e32 v[12:13], v12
	global_store_b64 v[0:1], v[12:13], off
	flat_load_b64 v[0:1], v[14:15]
	s_waitcnt vmcnt(0) lgkmcnt(0)
	v_mul_f64 v[0:1], s[8:9], v[0:1]
	v_cvt_f32_f64_e32 v0, v[0:1]
.LBB162_192:
	v_max_f32_e32 v1, v76, v76
	s_delay_alu instid0(VALU_DEP_2) | instskip(NEXT) | instid1(VALU_DEP_1)
	v_max_f32_e32 v0, v0, v0
	v_min_f32_e32 v0, v0, v1
	v_add_co_u32 v1, vcc_lo, v8, v2
	v_add_co_ci_u32_e32 v2, vcc_lo, v9, v3, vcc_lo
	s_delay_alu instid0(VALU_DEP_3)
	v_cvt_f64_f32_e32 v[12:13], v0
	v_max_f32_e32 v0, v75, v75
	s_mov_b32 vcc_lo, s2
	global_store_b64 v[1:2], v[12:13], off
	s_cbranch_vccz .LBB162_195
; %bb.193:
	v_min_f32_e32 v1, 0, v0
	v_add_co_u32 v12, vcc_lo, v8, v4
	v_add_co_ci_u32_e32 v13, vcc_lo, v9, v5, vcc_lo
	s_delay_alu instid0(VALU_DEP_3)
	v_cvt_f64_f32_e32 v[1:2], v1
	s_mov_b32 s0, 0
	global_store_b64 v[12:13], v[1:2], off
	s_cbranch_execz .LBB162_196
; %bb.194:
	v_mov_b32_e32 v0, s0
	s_branch .LBB162_197
.LBB162_195:
	s_mov_b32 s0, -1
.LBB162_196:
	v_add_co_u32 v1, vcc_lo, v10, v4
	v_add_co_ci_u32_e32 v2, vcc_lo, v11, v5, vcc_lo
	flat_load_b64 v[1:2], v[1:2]
	s_waitcnt vmcnt(0) lgkmcnt(0)
	v_mul_f64 v[1:2], s[8:9], v[1:2]
	s_delay_alu instid0(VALU_DEP_1)
	v_cvt_f32_f64_e32 v1, v[1:2]
	v_add_co_u32 v2, vcc_lo, v8, v4
	v_add_co_ci_u32_e32 v3, vcc_lo, v9, v5, vcc_lo
	v_add_co_u32 v4, vcc_lo, v10, v6
	v_add_co_ci_u32_e32 v5, vcc_lo, v11, v7, vcc_lo
	v_min_f32_e32 v0, v1, v0
	s_delay_alu instid0(VALU_DEP_1) | instskip(SKIP_4) | instid1(VALU_DEP_1)
	v_cvt_f64_f32_e32 v[0:1], v0
	global_store_b64 v[2:3], v[0:1], off
	flat_load_b64 v[0:1], v[4:5]
	s_waitcnt vmcnt(0) lgkmcnt(0)
	v_mul_f64 v[0:1], s[8:9], v[0:1]
	v_cvt_f32_f64_e32 v0, v[0:1]
.LBB162_197:
	s_delay_alu instid0(VALU_DEP_1) | instskip(SKIP_2) | instid1(VALU_DEP_3)
	v_dual_max_f32 v1, v74, v74 :: v_dual_max_f32 v0, v0, v0
	v_add_co_u32 v2, vcc_lo, v8, v6
	v_add_co_ci_u32_e32 v3, vcc_lo, v9, v7, vcc_lo
	v_min_f32_e32 v0, v0, v1
	s_delay_alu instid0(VALU_DEP_1)
	v_cvt_f64_f32_e32 v[0:1], v0
	global_store_b64 v[2:3], v[0:1], off
	s_nop 0
	s_sendmsg sendmsg(MSG_DEALLOC_VGPRS)
	s_endpgm
	.section	.rodata,"a",@progbits
	.p2align	6, 0x0
	.amdhsa_kernel _ZN12_GLOBAL__N_120geam_min_plus_kernelId15HIP_vector_typeIdLj2EEdLi32ELi8ELi128ELi128ELi4ELi4ELi64ELi4ELi64ELc84ELc78ELb0ELb0ELb1EPKdS3_dEEviiiT16_PT17_ilS7_ilS5_S7_ilPT18_ili26rocblas_geam_ex_operation_
		.amdhsa_group_segment_fixed_size 16384
		.amdhsa_private_segment_fixed_size 0
		.amdhsa_kernarg_size 136
		.amdhsa_user_sgpr_count 14
		.amdhsa_user_sgpr_dispatch_ptr 0
		.amdhsa_user_sgpr_queue_ptr 0
		.amdhsa_user_sgpr_kernarg_segment_ptr 1
		.amdhsa_user_sgpr_dispatch_id 0
		.amdhsa_user_sgpr_private_segment_size 0
		.amdhsa_wavefront_size32 1
		.amdhsa_uses_dynamic_stack 0
		.amdhsa_enable_private_segment 0
		.amdhsa_system_sgpr_workgroup_id_x 1
		.amdhsa_system_sgpr_workgroup_id_y 0
		.amdhsa_system_sgpr_workgroup_id_z 1
		.amdhsa_system_sgpr_workgroup_info 0
		.amdhsa_system_vgpr_workitem_id 1
		.amdhsa_next_free_vgpr 173
		.amdhsa_next_free_sgpr 26
		.amdhsa_reserve_vcc 1
		.amdhsa_float_round_mode_32 0
		.amdhsa_float_round_mode_16_64 0
		.amdhsa_float_denorm_mode_32 3
		.amdhsa_float_denorm_mode_16_64 3
		.amdhsa_dx10_clamp 1
		.amdhsa_ieee_mode 1
		.amdhsa_fp16_overflow 0
		.amdhsa_workgroup_processor_mode 1
		.amdhsa_memory_ordered 1
		.amdhsa_forward_progress 0
		.amdhsa_shared_vgpr_count 0
		.amdhsa_exception_fp_ieee_invalid_op 0
		.amdhsa_exception_fp_denorm_src 0
		.amdhsa_exception_fp_ieee_div_zero 0
		.amdhsa_exception_fp_ieee_overflow 0
		.amdhsa_exception_fp_ieee_underflow 0
		.amdhsa_exception_fp_ieee_inexact 0
		.amdhsa_exception_int_div_zero 0
	.end_amdhsa_kernel
	.section	.text._ZN12_GLOBAL__N_120geam_min_plus_kernelId15HIP_vector_typeIdLj2EEdLi32ELi8ELi128ELi128ELi4ELi4ELi64ELi4ELi64ELc84ELc78ELb0ELb0ELb1EPKdS3_dEEviiiT16_PT17_ilS7_ilS5_S7_ilPT18_ili26rocblas_geam_ex_operation_,"axG",@progbits,_ZN12_GLOBAL__N_120geam_min_plus_kernelId15HIP_vector_typeIdLj2EEdLi32ELi8ELi128ELi128ELi4ELi4ELi64ELi4ELi64ELc84ELc78ELb0ELb0ELb1EPKdS3_dEEviiiT16_PT17_ilS7_ilS5_S7_ilPT18_ili26rocblas_geam_ex_operation_,comdat
.Lfunc_end162:
	.size	_ZN12_GLOBAL__N_120geam_min_plus_kernelId15HIP_vector_typeIdLj2EEdLi32ELi8ELi128ELi128ELi4ELi4ELi64ELi4ELi64ELc84ELc78ELb0ELb0ELb1EPKdS3_dEEviiiT16_PT17_ilS7_ilS5_S7_ilPT18_ili26rocblas_geam_ex_operation_, .Lfunc_end162-_ZN12_GLOBAL__N_120geam_min_plus_kernelId15HIP_vector_typeIdLj2EEdLi32ELi8ELi128ELi128ELi4ELi4ELi64ELi4ELi64ELc84ELc78ELb0ELb0ELb1EPKdS3_dEEviiiT16_PT17_ilS7_ilS5_S7_ilPT18_ili26rocblas_geam_ex_operation_
                                        ; -- End function
	.section	.AMDGPU.csdata,"",@progbits
; Kernel info:
; codeLenInByte = 21120
; NumSgprs: 28
; NumVgprs: 173
; ScratchSize: 0
; MemoryBound: 0
; FloatMode: 240
; IeeeMode: 1
; LDSByteSize: 16384 bytes/workgroup (compile time only)
; SGPRBlocks: 3
; VGPRBlocks: 21
; NumSGPRsForWavesPerEU: 28
; NumVGPRsForWavesPerEU: 173
; Occupancy: 8
; WaveLimiterHint : 0
; COMPUTE_PGM_RSRC2:SCRATCH_EN: 0
; COMPUTE_PGM_RSRC2:USER_SGPR: 14
; COMPUTE_PGM_RSRC2:TRAP_HANDLER: 0
; COMPUTE_PGM_RSRC2:TGID_X_EN: 1
; COMPUTE_PGM_RSRC2:TGID_Y_EN: 0
; COMPUTE_PGM_RSRC2:TGID_Z_EN: 1
; COMPUTE_PGM_RSRC2:TIDIG_COMP_CNT: 1
	.section	.text._ZN12_GLOBAL__N_120geam_min_plus_kernelId15HIP_vector_typeIdLj2EEdLi32ELi8ELi128ELi128ELi4ELi4ELi64ELi4ELi64ELc84ELc78ELb1ELb0ELb1EdKddEEviiiT16_PT17_ilS6_ilS4_S6_ilPT18_ili26rocblas_geam_ex_operation_,"axG",@progbits,_ZN12_GLOBAL__N_120geam_min_plus_kernelId15HIP_vector_typeIdLj2EEdLi32ELi8ELi128ELi128ELi4ELi4ELi64ELi4ELi64ELc84ELc78ELb1ELb0ELb1EdKddEEviiiT16_PT17_ilS6_ilS4_S6_ilPT18_ili26rocblas_geam_ex_operation_,comdat
	.globl	_ZN12_GLOBAL__N_120geam_min_plus_kernelId15HIP_vector_typeIdLj2EEdLi32ELi8ELi128ELi128ELi4ELi4ELi64ELi4ELi64ELc84ELc78ELb1ELb0ELb1EdKddEEviiiT16_PT17_ilS6_ilS4_S6_ilPT18_ili26rocblas_geam_ex_operation_ ; -- Begin function _ZN12_GLOBAL__N_120geam_min_plus_kernelId15HIP_vector_typeIdLj2EEdLi32ELi8ELi128ELi128ELi4ELi4ELi64ELi4ELi64ELc84ELc78ELb1ELb0ELb1EdKddEEviiiT16_PT17_ilS6_ilS4_S6_ilPT18_ili26rocblas_geam_ex_operation_
	.p2align	8
	.type	_ZN12_GLOBAL__N_120geam_min_plus_kernelId15HIP_vector_typeIdLj2EEdLi32ELi8ELi128ELi128ELi4ELi4ELi64ELi4ELi64ELc84ELc78ELb1ELb0ELb1EdKddEEviiiT16_PT17_ilS6_ilS4_S6_ilPT18_ili26rocblas_geam_ex_operation_,@function
_ZN12_GLOBAL__N_120geam_min_plus_kernelId15HIP_vector_typeIdLj2EEdLi32ELi8ELi128ELi128ELi4ELi4ELi64ELi4ELi64ELc84ELc78ELb1ELb0ELb1EdKddEEviiiT16_PT17_ilS6_ilS4_S6_ilPT18_ili26rocblas_geam_ex_operation_: ; @_ZN12_GLOBAL__N_120geam_min_plus_kernelId15HIP_vector_typeIdLj2EEdLi32ELi8ELi128ELi128ELi4ELi4ELi64ELi4ELi64ELc84ELc78ELb1ELb0ELb1EdKddEEviiiT16_PT17_ilS6_ilS4_S6_ilPT18_ili26rocblas_geam_ex_operation_
; %bb.0:
	s_clause 0x1
	s_load_b128 s[4:7], s[0:1], 0x10
	s_load_b128 s[8:11], s[0:1], 0x28
	s_mov_b64 s[12:13], 0
	s_waitcnt lgkmcnt(0)
	v_cmp_eq_f64_e64 s2, s[4:5], 0
	s_delay_alu instid0(VALU_DEP_1)
	s_and_b32 vcc_lo, exec_lo, s2
	s_cbranch_vccnz .LBB163_2
; %bb.1:
	s_mul_i32 s3, s15, s9
	s_mul_hi_u32 s4, s15, s8
	s_delay_alu instid0(SALU_CYCLE_1) | instskip(SKIP_1) | instid1(SALU_CYCLE_1)
	s_add_i32 s5, s4, s3
	s_mul_i32 s4, s15, s8
	s_lshl_b64 s[4:5], s[4:5], 3
	s_delay_alu instid0(SALU_CYCLE_1)
	s_add_u32 s12, s6, s4
	s_addc_u32 s13, s7, s5
.LBB163_2:
	s_clause 0x1
	s_load_b128 s[4:7], s[0:1], 0x40
	s_load_b64 s[18:19], s[0:1], 0x50
	s_and_not1_b32 vcc_lo, exec_lo, s2
	s_cbranch_vccnz .LBB163_4
; %bb.3:
	s_mov_b32 s3, 0
	s_mov_b64 s[16:17], 0
	s_cbranch_execz .LBB163_5
	s_branch .LBB163_6
.LBB163_4:
	s_mov_b32 s3, -1
                                        ; implicit-def: $sgpr16_sgpr17
.LBB163_5:
	s_waitcnt lgkmcnt(0)
	s_mul_i32 s2, s15, s5
	s_mul_hi_u32 s3, s15, s4
	s_delay_alu instid0(SALU_CYCLE_1) | instskip(SKIP_1) | instid1(SALU_CYCLE_1)
	s_add_i32 s3, s3, s2
	s_mul_i32 s2, s15, s4
	s_lshl_b64 s[4:5], s[2:3], 3
	s_mov_b32 s3, 0
	s_add_u32 s16, s10, s4
	s_addc_u32 s17, s11, s5
.LBB163_6:
	s_waitcnt lgkmcnt(0)
	v_cmp_eq_f64_e64 s2, s[6:7], 0
	s_load_b128 s[8:11], s[0:1], 0x60
	s_mov_b64 s[4:5], 0
	s_delay_alu instid0(VALU_DEP_1) | instskip(NEXT) | instid1(SALU_CYCLE_1)
	s_and_b32 s2, exec_lo, s2
	s_mov_b32 vcc_lo, s2
	s_cbranch_vccnz .LBB163_8
; %bb.7:
	s_waitcnt lgkmcnt(0)
	s_mul_i32 s4, s15, s9
	s_mul_hi_u32 s5, s15, s8
	s_mul_i32 s9, s3, s8
	s_add_i32 s4, s5, s4
	s_delay_alu instid0(SALU_CYCLE_1) | instskip(SKIP_1) | instid1(SALU_CYCLE_1)
	s_add_i32 s5, s4, s9
	s_mul_i32 s4, s15, s8
	s_lshl_b64 s[4:5], s[4:5], 3
	s_delay_alu instid0(SALU_CYCLE_1)
	s_add_u32 s4, s18, s4
	s_addc_u32 s5, s19, s5
.LBB163_8:
	s_waitcnt lgkmcnt(0)
	s_clause 0x2
	s_load_b32 s8, s[0:1], 0x0
	s_load_b32 s18, s[0:1], 0x20
	;; [unrolled: 1-line block ×3, first 2 shown]
	v_and_b32_e32 v143, 0x3ff, v0
	v_bfe_u32 v144, v0, 10, 10
	v_dual_mov_b32 v86, 0x7f800000 :: v_dual_mov_b32 v89, 0x7f800000
	v_dual_mov_b32 v88, 0x7f800000 :: v_dual_mov_b32 v91, 0x7f800000
	s_delay_alu instid0(VALU_DEP_3) | instskip(SKIP_2) | instid1(VALU_DEP_3)
	v_lshl_add_u32 v0, v144, 5, v143
	v_dual_mov_b32 v90, 0x7f800000 :: v_dual_mov_b32 v93, 0x7f800000
	v_dual_mov_b32 v92, 0x7f800000 :: v_dual_mov_b32 v95, 0x7f800000
	v_lshrrev_b32_e32 v16, 2, v0
	v_dual_mov_b32 v94, 0x7f800000 :: v_dual_mov_b32 v97, 0x7f800000
	v_dual_mov_b32 v96, 0x7f800000 :: v_dual_mov_b32 v99, 0x7f800000
	;; [unrolled: 1-line block ×3, first 2 shown]
	s_waitcnt lgkmcnt(0)
	s_add_i32 s8, s8, -1
	v_dual_mov_b32 v100, 0x7f800000 :: v_dual_mov_b32 v103, 0x7f800000
	s_ashr_i32 s9, s8, 31
	v_dual_mov_b32 v102, 0x7f800000 :: v_dual_mov_b32 v105, 0x7f800000
	s_lshr_b32 s9, s9, 25
	v_dual_mov_b32 v104, 0x7f800000 :: v_dual_mov_b32 v107, 0x7f800000
	s_add_i32 s8, s8, s9
	v_dual_mov_b32 v106, 0x7f800000 :: v_dual_mov_b32 v109, 0x7f800000
	s_ashr_i32 s8, s8, 7
	v_dual_mov_b32 v108, 0x7f800000 :: v_dual_mov_b32 v111, 0x7f800000
	s_add_i32 s9, s8, 1
	s_not_b32 s8, s8
	v_cvt_f32_u32_e32 v1, s9
	v_dual_mov_b32 v110, 0x7f800000 :: v_dual_mov_b32 v113, 0x7f800000
	v_dual_mov_b32 v112, 0x7f800000 :: v_dual_mov_b32 v115, 0x7f800000
	s_delay_alu instid0(VALU_DEP_3)
	v_rcp_iflag_f32_e32 v1, v1
	v_dual_mov_b32 v114, 0x7f800000 :: v_dual_mov_b32 v117, 0x7f800000
	v_dual_mov_b32 v116, 0x7f800000 :: v_dual_mov_b32 v119, 0x7f800000
	v_and_b32_e32 v148, 3, v143
	v_dual_mov_b32 v118, 0x7f800000 :: v_dual_mov_b32 v121, 0x7f800000
	v_dual_mov_b32 v120, 0x7f800000 :: v_dual_mov_b32 v123, 0x7f800000
	s_waitcnt_depctr 0xfff
	v_mul_f32_e32 v1, 0x4f7ffffe, v1
	v_dual_mov_b32 v82, 0x7f800000 :: v_dual_lshlrev_b32 v17, 3, v148
	v_dual_mov_b32 v122, 0x7f800000 :: v_dual_mov_b32 v125, 0x7f800000
	s_delay_alu instid0(VALU_DEP_3) | instskip(NEXT) | instid1(VALU_DEP_3)
	v_cvt_u32_f32_e32 v1, v1
	v_lshl_or_b32 v149, v16, 5, v17
	v_dual_mov_b32 v124, 0x7f800000 :: v_dual_mov_b32 v127, 0x7f800000
	v_dual_mov_b32 v126, 0x7f800000 :: v_dual_mov_b32 v129, 0x7f800000
	s_delay_alu instid0(VALU_DEP_4) | instskip(SKIP_2) | instid1(VALU_DEP_3)
	v_readfirstlane_b32 s20, v1
	v_dual_mov_b32 v128, 0x7f800000 :: v_dual_mov_b32 v131, 0x7f800000
	v_dual_mov_b32 v130, 0x7f800000 :: v_dual_mov_b32 v133, 0x7f800000
	s_mul_i32 s8, s8, s20
	v_dual_mov_b32 v132, 0x7f800000 :: v_dual_mov_b32 v135, 0x7f800000
	s_mul_hi_u32 s8, s20, s8
	v_dual_mov_b32 v134, 0x7f800000 :: v_dual_mov_b32 v137, 0x7f800000
	s_add_i32 s20, s20, s8
	v_dual_mov_b32 v136, 0x7f800000 :: v_dual_mov_b32 v139, 0x7f800000
	s_mul_hi_u32 s8, s14, s20
	v_dual_mov_b32 v138, 0x7f800000 :: v_dual_mov_b32 v141, 0x7f800000
	s_mul_i32 s20, s8, s9
	s_add_i32 s21, s8, 1
	s_sub_i32 s20, s14, s20
	v_dual_mov_b32 v140, 0x7f800000 :: v_dual_mov_b32 v145, 0x7f800000
	s_sub_i32 s22, s20, s9
	s_cmp_ge_u32 s20, s9
	v_mov_b32_e32 v83, 0x7f800000
	s_cselect_b32 s8, s21, s8
	s_cselect_b32 s20, s22, s20
	s_add_i32 s21, s8, 1
	s_cmp_ge_u32 s20, s9
	v_mov_b32_e32 v85, 0x7f800000
	s_cselect_b32 s8, s21, s8
	v_mov_b32_e32 v87, 0x7f800000
	s_mul_i32 s9, s8, s9
	s_lshl_b32 s8, s8, 7
	s_sub_i32 s9, s14, s9
	v_add_nc_u32_e32 v2, s8, v16
	s_lshl_b32 s9, s9, 7
	v_add_co_u32 v6, s14, s12, v17
	v_add_nc_u32_e32 v4, s9, v16
	s_delay_alu instid0(VALU_DEP_3) | instskip(SKIP_2) | instid1(VALU_DEP_4)
	v_mad_i64_i32 v[0:1], null, v2, s19, 0
	v_add_nc_u32_e32 v8, 64, v2
	v_add_co_ci_u32_e64 v7, null, s13, 0, s14
	v_mad_i64_i32 v[2:3], null, v4, s18, 0
	v_dual_mov_b32 v84, 0x7f800000 :: v_dual_add_nc_u32 v9, 64, v4
	s_delay_alu instid0(VALU_DEP_4) | instskip(SKIP_1) | instid1(VALU_DEP_3)
	v_mad_i64_i32 v[4:5], null, v8, s19, 0
	v_lshlrev_b64 v[56:57], 3, v[0:1]
	v_mad_i64_i32 v[0:1], null, v9, s18, 0
	v_add_co_u32 v8, s14, s16, v17
	s_delay_alu instid0(VALU_DEP_1) | instskip(SKIP_2) | instid1(VALU_DEP_4)
	v_add_co_ci_u32_e64 v9, null, s17, 0, s14
	v_lshlrev_b64 v[58:59], 3, v[2:3]
	v_lshlrev_b64 v[60:61], 3, v[4:5]
	v_add_co_u32 v2, vcc_lo, v8, v56
	s_delay_alu instid0(VALU_DEP_4)
	v_add_co_ci_u32_e32 v3, vcc_lo, v9, v57, vcc_lo
	v_lshlrev_b64 v[62:63], 3, v[0:1]
	v_add_co_u32 v0, vcc_lo, v6, v58
	v_add_co_ci_u32_e32 v1, vcc_lo, v7, v59, vcc_lo
	v_add_co_u32 v4, vcc_lo, v8, v60
	v_add_co_ci_u32_e32 v5, vcc_lo, v9, v61, vcc_lo
	;; [unrolled: 2-line block ×3, first 2 shown]
	flat_load_b64 v[8:9], v[2:3]
	flat_load_b64 v[10:11], v[0:1]
	;; [unrolled: 1-line block ×4, first 2 shown]
	s_clause 0x1
	flat_load_b64 v[64:65], v[4:5] offset:32
	flat_load_b64 v[66:67], v[2:3] offset:32
	s_clause 0x1
	flat_load_b64 v[68:69], v[6:7] offset:32
	flat_load_b64 v[70:71], v[0:1] offset:32
	v_dual_mov_b32 v142, 0x7f800000 :: v_dual_mov_b32 v147, 0x7f800000
	v_mov_b32_e32 v146, 0x7f800000
	v_add_nc_u32_e32 v150, 0x2000, v149
	s_mov_b32 s14, -1
	s_mov_b32 s18, 0
	s_waitcnt vmcnt(5) lgkmcnt(5)
	ds_store_2addr_stride64_b64 v149, v[8:9], v[12:13] offset0:16 offset1:20
	s_waitcnt vmcnt(4) lgkmcnt(5)
	ds_store_2addr_stride64_b64 v149, v[10:11], v[14:15] offset1:4
	s_waitcnt vmcnt(0) lgkmcnt(0)
	s_barrier
	buffer_gl0_inv
.LBB163_9:                              ; =>This Inner Loop Header: Depth=1
	s_lshl_b32 s18, s18, 3
	s_and_not1_b32 vcc_lo, exec_lo, s14
	v_lshl_add_u32 v0, v143, 5, s18
	v_lshl_add_u32 v16, v144, 5, s18
	s_mov_b32 s14, 0
	s_mov_b32 s18, 2
	ds_load_b128 v[12:15], v0
	ds_load_b128 v[8:11], v0 offset:1024
	ds_load_b128 v[4:7], v0 offset:2048
	;; [unrolled: 1-line block ×19, first 2 shown]
	s_waitcnt lgkmcnt(15)
	v_add_f64 v[80:81], v[14:15], v[74:75]
	v_add_f64 v[167:168], v[12:13], v[72:73]
	s_delay_alu instid0(VALU_DEP_2) | instskip(NEXT) | instid1(VALU_DEP_2)
	v_cvt_f32_f64_e32 v80, v[80:81]
	v_cvt_f32_f64_e32 v167, v[167:168]
	s_delay_alu instid0(VALU_DEP_1) | instskip(SKIP_2) | instid1(VALU_DEP_2)
	v_min3_f32 v147, v167, v80, v147
	v_add_f64 v[80:81], v[10:11], v[74:75]
	v_add_f64 v[167:168], v[8:9], v[72:73]
	v_cvt_f32_f64_e32 v80, v[80:81]
	s_delay_alu instid0(VALU_DEP_2) | instskip(NEXT) | instid1(VALU_DEP_1)
	v_cvt_f32_f64_e32 v167, v[167:168]
	v_min3_f32 v146, v167, v80, v146
	v_add_f64 v[80:81], v[6:7], v[74:75]
	v_add_f64 v[167:168], v[4:5], v[72:73]
	;; [unrolled: 1-line block ×4, first 2 shown]
	s_delay_alu instid0(VALU_DEP_4) | instskip(NEXT) | instid1(VALU_DEP_4)
	v_cvt_f32_f64_e32 v80, v[80:81]
	v_cvt_f32_f64_e32 v167, v[167:168]
	s_delay_alu instid0(VALU_DEP_3) | instskip(SKIP_3) | instid1(VALU_DEP_4)
	v_cvt_f32_f64_e32 v72, v[72:73]
	v_cvt_f32_f64_e32 v73, v[74:75]
	s_waitcnt lgkmcnt(14)
	v_add_f64 v[74:75], v[12:13], v[76:77]
	v_min3_f32 v145, v167, v80, v145
	s_delay_alu instid0(VALU_DEP_3) | instskip(SKIP_1) | instid1(VALU_DEP_4)
	v_min3_f32 v142, v72, v73, v142
	v_add_f64 v[72:73], v[14:15], v[78:79]
	v_cvt_f32_f64_e32 v74, v[74:75]
	s_delay_alu instid0(VALU_DEP_2) | instskip(NEXT) | instid1(VALU_DEP_1)
	v_cvt_f32_f64_e32 v72, v[72:73]
	v_min3_f32 v141, v74, v72, v141
	v_add_f64 v[72:73], v[10:11], v[78:79]
	v_add_f64 v[74:75], v[8:9], v[76:77]
	s_delay_alu instid0(VALU_DEP_2) | instskip(NEXT) | instid1(VALU_DEP_2)
	v_cvt_f32_f64_e32 v72, v[72:73]
	v_cvt_f32_f64_e32 v74, v[74:75]
	s_delay_alu instid0(VALU_DEP_1) | instskip(SKIP_2) | instid1(VALU_DEP_2)
	v_min3_f32 v140, v74, v72, v140
	v_add_f64 v[72:73], v[6:7], v[78:79]
	v_add_f64 v[74:75], v[4:5], v[76:77]
	v_cvt_f32_f64_e32 v72, v[72:73]
	s_delay_alu instid0(VALU_DEP_2) | instskip(NEXT) | instid1(VALU_DEP_1)
	v_cvt_f32_f64_e32 v74, v[74:75]
	v_min3_f32 v139, v74, v72, v139
	v_add_f64 v[72:73], v[2:3], v[78:79]
	v_add_f64 v[74:75], v[0:1], v[76:77]
	s_delay_alu instid0(VALU_DEP_2) | instskip(NEXT) | instid1(VALU_DEP_2)
	v_cvt_f32_f64_e32 v72, v[72:73]
	v_cvt_f32_f64_e32 v74, v[74:75]
	s_delay_alu instid0(VALU_DEP_1) | instskip(SKIP_3) | instid1(VALU_DEP_2)
	v_min3_f32 v138, v74, v72, v138
	s_waitcnt lgkmcnt(13)
	v_add_f64 v[72:73], v[14:15], v[153:154]
	v_add_f64 v[74:75], v[12:13], v[151:152]
	v_cvt_f32_f64_e32 v72, v[72:73]
	s_delay_alu instid0(VALU_DEP_2) | instskip(NEXT) | instid1(VALU_DEP_1)
	v_cvt_f32_f64_e32 v74, v[74:75]
	v_min3_f32 v137, v74, v72, v137
	v_add_f64 v[72:73], v[10:11], v[153:154]
	v_add_f64 v[74:75], v[8:9], v[151:152]
	s_delay_alu instid0(VALU_DEP_2) | instskip(NEXT) | instid1(VALU_DEP_2)
	v_cvt_f32_f64_e32 v72, v[72:73]
	v_cvt_f32_f64_e32 v74, v[74:75]
	s_delay_alu instid0(VALU_DEP_1) | instskip(SKIP_2) | instid1(VALU_DEP_2)
	v_min3_f32 v136, v74, v72, v136
	v_add_f64 v[72:73], v[6:7], v[153:154]
	v_add_f64 v[74:75], v[4:5], v[151:152]
	v_cvt_f32_f64_e32 v72, v[72:73]
	s_delay_alu instid0(VALU_DEP_2) | instskip(NEXT) | instid1(VALU_DEP_1)
	v_cvt_f32_f64_e32 v74, v[74:75]
	v_min3_f32 v135, v74, v72, v135
	v_add_f64 v[72:73], v[2:3], v[153:154]
	v_add_f64 v[74:75], v[0:1], v[151:152]
	s_delay_alu instid0(VALU_DEP_2) | instskip(NEXT) | instid1(VALU_DEP_2)
	v_cvt_f32_f64_e32 v72, v[72:73]
	v_cvt_f32_f64_e32 v74, v[74:75]
	s_delay_alu instid0(VALU_DEP_1) | instskip(SKIP_3) | instid1(VALU_DEP_2)
	v_min3_f32 v134, v74, v72, v134
	s_waitcnt lgkmcnt(12)
	v_add_f64 v[72:73], v[14:15], v[157:158]
	;; [unrolled: 27-line block ×5, first 2 shown]
	v_add_f64 v[74:75], v[12:13], v[52:53]
	v_cvt_f32_f64_e32 v72, v[72:73]
	s_delay_alu instid0(VALU_DEP_2) | instskip(NEXT) | instid1(VALU_DEP_1)
	v_cvt_f32_f64_e32 v74, v[74:75]
	v_min3_f32 v121, v74, v72, v121
	v_add_f64 v[72:73], v[10:11], v[54:55]
	v_add_f64 v[74:75], v[8:9], v[52:53]
	s_delay_alu instid0(VALU_DEP_2) | instskip(NEXT) | instid1(VALU_DEP_2)
	v_cvt_f32_f64_e32 v72, v[72:73]
	v_cvt_f32_f64_e32 v74, v[74:75]
	s_delay_alu instid0(VALU_DEP_1) | instskip(SKIP_4) | instid1(VALU_DEP_4)
	v_min3_f32 v120, v74, v72, v120
	v_add_f64 v[72:73], v[6:7], v[54:55]
	v_add_f64 v[74:75], v[4:5], v[52:53]
	v_add_f64 v[54:55], v[2:3], v[54:55]
	v_add_f64 v[52:53], v[0:1], v[52:53]
	v_cvt_f32_f64_e32 v72, v[72:73]
	s_delay_alu instid0(VALU_DEP_4) | instskip(NEXT) | instid1(VALU_DEP_3)
	v_cvt_f32_f64_e32 v74, v[74:75]
	v_cvt_f32_f64_e32 v52, v[52:53]
	v_cvt_f32_f64_e32 v53, v[54:55]
	s_waitcnt lgkmcnt(8)
	v_add_f64 v[54:55], v[12:13], v[48:49]
	s_delay_alu instid0(VALU_DEP_4) | instskip(NEXT) | instid1(VALU_DEP_3)
	v_min3_f32 v119, v74, v72, v119
	v_min3_f32 v118, v52, v53, v118
	v_add_f64 v[52:53], v[14:15], v[50:51]
	s_delay_alu instid0(VALU_DEP_4) | instskip(NEXT) | instid1(VALU_DEP_2)
	v_cvt_f32_f64_e32 v54, v[54:55]
	v_cvt_f32_f64_e32 v52, v[52:53]
	s_delay_alu instid0(VALU_DEP_1) | instskip(SKIP_2) | instid1(VALU_DEP_2)
	v_min3_f32 v117, v54, v52, v117
	v_add_f64 v[52:53], v[10:11], v[50:51]
	v_add_f64 v[54:55], v[8:9], v[48:49]
	v_cvt_f32_f64_e32 v52, v[52:53]
	s_delay_alu instid0(VALU_DEP_2) | instskip(NEXT) | instid1(VALU_DEP_1)
	v_cvt_f32_f64_e32 v54, v[54:55]
	v_min3_f32 v116, v54, v52, v116
	v_add_f64 v[52:53], v[6:7], v[50:51]
	v_add_f64 v[54:55], v[4:5], v[48:49]
	v_add_f64 v[50:51], v[2:3], v[50:51]
	v_add_f64 v[48:49], v[0:1], v[48:49]
	s_delay_alu instid0(VALU_DEP_4) | instskip(NEXT) | instid1(VALU_DEP_4)
	v_cvt_f32_f64_e32 v52, v[52:53]
	v_cvt_f32_f64_e32 v54, v[54:55]
	s_delay_alu instid0(VALU_DEP_3) | instskip(SKIP_3) | instid1(VALU_DEP_4)
	v_cvt_f32_f64_e32 v48, v[48:49]
	v_cvt_f32_f64_e32 v49, v[50:51]
	s_waitcnt lgkmcnt(7)
	v_add_f64 v[50:51], v[12:13], v[44:45]
	v_min3_f32 v115, v54, v52, v115
	s_delay_alu instid0(VALU_DEP_3) | instskip(SKIP_1) | instid1(VALU_DEP_4)
	v_min3_f32 v114, v48, v49, v114
	v_add_f64 v[48:49], v[14:15], v[46:47]
	v_cvt_f32_f64_e32 v50, v[50:51]
	s_delay_alu instid0(VALU_DEP_2) | instskip(NEXT) | instid1(VALU_DEP_1)
	v_cvt_f32_f64_e32 v48, v[48:49]
	v_min3_f32 v113, v50, v48, v113
	v_add_f64 v[48:49], v[10:11], v[46:47]
	v_add_f64 v[50:51], v[8:9], v[44:45]
	s_delay_alu instid0(VALU_DEP_2) | instskip(NEXT) | instid1(VALU_DEP_2)
	v_cvt_f32_f64_e32 v48, v[48:49]
	v_cvt_f32_f64_e32 v50, v[50:51]
	s_delay_alu instid0(VALU_DEP_1) | instskip(SKIP_4) | instid1(VALU_DEP_4)
	v_min3_f32 v112, v50, v48, v112
	v_add_f64 v[48:49], v[6:7], v[46:47]
	v_add_f64 v[50:51], v[4:5], v[44:45]
	v_add_f64 v[46:47], v[2:3], v[46:47]
	v_add_f64 v[44:45], v[0:1], v[44:45]
	v_cvt_f32_f64_e32 v48, v[48:49]
	s_delay_alu instid0(VALU_DEP_4) | instskip(NEXT) | instid1(VALU_DEP_3)
	v_cvt_f32_f64_e32 v50, v[50:51]
	v_cvt_f32_f64_e32 v44, v[44:45]
	v_cvt_f32_f64_e32 v45, v[46:47]
	s_waitcnt lgkmcnt(6)
	v_add_f64 v[46:47], v[12:13], v[40:41]
	s_delay_alu instid0(VALU_DEP_4) | instskip(NEXT) | instid1(VALU_DEP_3)
	v_min3_f32 v111, v50, v48, v111
	v_min3_f32 v110, v44, v45, v110
	v_add_f64 v[44:45], v[14:15], v[42:43]
	s_delay_alu instid0(VALU_DEP_4) | instskip(NEXT) | instid1(VALU_DEP_2)
	v_cvt_f32_f64_e32 v46, v[46:47]
	v_cvt_f32_f64_e32 v44, v[44:45]
	s_delay_alu instid0(VALU_DEP_1) | instskip(SKIP_2) | instid1(VALU_DEP_2)
	v_min3_f32 v109, v46, v44, v109
	v_add_f64 v[44:45], v[10:11], v[42:43]
	v_add_f64 v[46:47], v[8:9], v[40:41]
	v_cvt_f32_f64_e32 v44, v[44:45]
	s_delay_alu instid0(VALU_DEP_2) | instskip(NEXT) | instid1(VALU_DEP_1)
	v_cvt_f32_f64_e32 v46, v[46:47]
	v_min3_f32 v108, v46, v44, v108
	v_add_f64 v[44:45], v[6:7], v[42:43]
	v_add_f64 v[46:47], v[4:5], v[40:41]
	v_add_f64 v[42:43], v[2:3], v[42:43]
	v_add_f64 v[40:41], v[0:1], v[40:41]
	s_delay_alu instid0(VALU_DEP_4) | instskip(NEXT) | instid1(VALU_DEP_4)
	v_cvt_f32_f64_e32 v44, v[44:45]
	v_cvt_f32_f64_e32 v46, v[46:47]
	s_delay_alu instid0(VALU_DEP_3) | instskip(SKIP_3) | instid1(VALU_DEP_4)
	v_cvt_f32_f64_e32 v40, v[40:41]
	v_cvt_f32_f64_e32 v41, v[42:43]
	s_waitcnt lgkmcnt(5)
	v_add_f64 v[42:43], v[12:13], v[36:37]
	v_min3_f32 v107, v46, v44, v107
	s_delay_alu instid0(VALU_DEP_3) | instskip(SKIP_1) | instid1(VALU_DEP_4)
	v_min3_f32 v106, v40, v41, v106
	;; [unrolled: 53-line block ×3, first 2 shown]
	v_add_f64 v[32:33], v[14:15], v[30:31]
	v_cvt_f32_f64_e32 v34, v[34:35]
	s_delay_alu instid0(VALU_DEP_2) | instskip(NEXT) | instid1(VALU_DEP_1)
	v_cvt_f32_f64_e32 v32, v[32:33]
	v_min3_f32 v97, v34, v32, v97
	v_add_f64 v[32:33], v[10:11], v[30:31]
	v_add_f64 v[34:35], v[8:9], v[28:29]
	s_delay_alu instid0(VALU_DEP_2) | instskip(NEXT) | instid1(VALU_DEP_2)
	v_cvt_f32_f64_e32 v32, v[32:33]
	v_cvt_f32_f64_e32 v34, v[34:35]
	s_delay_alu instid0(VALU_DEP_1) | instskip(SKIP_4) | instid1(VALU_DEP_4)
	v_min3_f32 v96, v34, v32, v96
	v_add_f64 v[32:33], v[6:7], v[30:31]
	v_add_f64 v[34:35], v[4:5], v[28:29]
	;; [unrolled: 1-line block ×4, first 2 shown]
	v_cvt_f32_f64_e32 v32, v[32:33]
	s_delay_alu instid0(VALU_DEP_4) | instskip(NEXT) | instid1(VALU_DEP_3)
	v_cvt_f32_f64_e32 v34, v[34:35]
	v_cvt_f32_f64_e32 v28, v[28:29]
	;; [unrolled: 1-line block ×3, first 2 shown]
	s_waitcnt lgkmcnt(2)
	v_add_f64 v[30:31], v[12:13], v[24:25]
	s_delay_alu instid0(VALU_DEP_4) | instskip(NEXT) | instid1(VALU_DEP_3)
	v_min3_f32 v95, v34, v32, v95
	v_min3_f32 v94, v28, v29, v94
	v_add_f64 v[28:29], v[14:15], v[26:27]
	s_delay_alu instid0(VALU_DEP_4) | instskip(NEXT) | instid1(VALU_DEP_2)
	v_cvt_f32_f64_e32 v30, v[30:31]
	v_cvt_f32_f64_e32 v28, v[28:29]
	s_delay_alu instid0(VALU_DEP_1) | instskip(SKIP_2) | instid1(VALU_DEP_2)
	v_min3_f32 v93, v30, v28, v93
	v_add_f64 v[28:29], v[10:11], v[26:27]
	v_add_f64 v[30:31], v[8:9], v[24:25]
	v_cvt_f32_f64_e32 v28, v[28:29]
	s_delay_alu instid0(VALU_DEP_2) | instskip(NEXT) | instid1(VALU_DEP_1)
	v_cvt_f32_f64_e32 v30, v[30:31]
	v_min3_f32 v92, v30, v28, v92
	v_add_f64 v[28:29], v[6:7], v[26:27]
	v_add_f64 v[30:31], v[4:5], v[24:25]
	;; [unrolled: 1-line block ×4, first 2 shown]
	s_delay_alu instid0(VALU_DEP_4) | instskip(NEXT) | instid1(VALU_DEP_4)
	v_cvt_f32_f64_e32 v28, v[28:29]
	v_cvt_f32_f64_e32 v30, v[30:31]
	s_delay_alu instid0(VALU_DEP_3)
	v_cvt_f32_f64_e32 v24, v[24:25]
	v_cvt_f32_f64_e32 v25, v[26:27]
	s_waitcnt lgkmcnt(1)
	v_add_f64 v[26:27], v[12:13], v[20:21]
	s_waitcnt lgkmcnt(0)
	v_add_f64 v[12:13], v[12:13], v[16:17]
	v_min3_f32 v91, v30, v28, v91
	s_delay_alu instid0(VALU_DEP_4) | instskip(SKIP_4) | instid1(VALU_DEP_4)
	v_min3_f32 v90, v24, v25, v90
	v_add_f64 v[24:25], v[14:15], v[22:23]
	v_cvt_f32_f64_e32 v26, v[26:27]
	v_add_f64 v[14:15], v[14:15], v[18:19]
	v_cvt_f32_f64_e32 v12, v[12:13]
	v_cvt_f32_f64_e32 v24, v[24:25]
	s_delay_alu instid0(VALU_DEP_3) | instskip(NEXT) | instid1(VALU_DEP_2)
	v_cvt_f32_f64_e32 v13, v[14:15]
	v_min3_f32 v89, v26, v24, v89
	v_add_f64 v[24:25], v[10:11], v[22:23]
	v_add_f64 v[26:27], v[8:9], v[20:21]
	;; [unrolled: 1-line block ×4, first 2 shown]
	v_min3_f32 v85, v12, v13, v85
	v_cvt_f32_f64_e32 v24, v[24:25]
	v_cvt_f32_f64_e32 v26, v[26:27]
	s_delay_alu instid0(VALU_DEP_4) | instskip(SKIP_1) | instid1(VALU_DEP_3)
	v_cvt_f32_f64_e32 v8, v[8:9]
	v_cvt_f32_f64_e32 v9, v[10:11]
	v_min3_f32 v88, v26, v24, v88
	v_add_f64 v[24:25], v[6:7], v[22:23]
	v_add_f64 v[26:27], v[4:5], v[20:21]
	;; [unrolled: 1-line block ×8, first 2 shown]
	v_min3_f32 v84, v8, v9, v84
	v_cvt_f32_f64_e32 v24, v[24:25]
	v_cvt_f32_f64_e32 v26, v[26:27]
	v_cvt_f32_f64_e32 v20, v[20:21]
	v_cvt_f32_f64_e32 v21, v[22:23]
	v_cvt_f32_f64_e32 v4, v[4:5]
	v_cvt_f32_f64_e32 v5, v[6:7]
	v_cvt_f32_f64_e32 v0, v[0:1]
	v_cvt_f32_f64_e32 v1, v[2:3]
	v_min3_f32 v87, v26, v24, v87
	v_min3_f32 v86, v20, v21, v86
	;; [unrolled: 1-line block ×3, first 2 shown]
	s_delay_alu instid0(VALU_DEP_4)
	v_min3_f32 v82, v0, v1, v82
	s_cbranch_vccz .LBB163_9
; %bb.10:
	s_load_b32 s14, s[0:1], 0x8
	ds_store_2addr_stride64_b64 v149, v[70:71], v[68:69] offset0:8 offset1:12
	ds_store_2addr_stride64_b64 v149, v[66:67], v[64:65] offset0:24 offset1:28
	s_waitcnt lgkmcnt(0)
	s_barrier
	buffer_gl0_inv
	s_cmp_lt_i32 s14, 9
	s_cbranch_scc1 .LBB163_17
; %bb.11:
	v_add_nc_u32_e32 v151, 0x1000, v149
	v_dual_mov_b32 v65, 0 :: v_dual_add_nc_u32 v152, 0x3000, v149
	s_add_i32 s14, s14, -8
	s_mov_b32 s18, 8
	s_mov_b32 s19, 0
.LBB163_12:                             ; =>This Loop Header: Depth=1
                                        ;     Child Loop BB163_13 Depth 2
                                        ;     Child Loop BB163_15 Depth 2
	v_or_b32_e32 v64, s18, v148
	s_mov_b32 s21, -1
	s_mov_b32 s20, 0
	s_delay_alu instid0(VALU_DEP_1) | instskip(NEXT) | instid1(VALU_DEP_1)
	v_lshlrev_b64 v[0:1], 3, v[64:65]
	v_add_co_u32 v2, vcc_lo, s12, v0
	s_delay_alu instid0(VALU_DEP_2) | instskip(SKIP_2) | instid1(VALU_DEP_4)
	v_add_co_ci_u32_e32 v3, vcc_lo, s13, v1, vcc_lo
	v_add_co_u32 v0, vcc_lo, s16, v0
	v_add_co_ci_u32_e32 v1, vcc_lo, s17, v1, vcc_lo
	v_add_co_u32 v66, vcc_lo, v2, v58
	s_delay_alu instid0(VALU_DEP_4)
	v_add_co_ci_u32_e32 v67, vcc_lo, v3, v59, vcc_lo
	v_add_co_u32 v68, vcc_lo, v2, v62
	v_add_co_ci_u32_e32 v69, vcc_lo, v3, v63, vcc_lo
	v_add_co_u32 v70, vcc_lo, v0, v56
	v_add_co_ci_u32_e32 v71, vcc_lo, v1, v57, vcc_lo
	v_add_co_u32 v72, vcc_lo, v0, v60
	v_add_co_ci_u32_e32 v73, vcc_lo, v1, v61, vcc_lo
	s_clause 0x1
	flat_load_b64 v[74:75], v[66:67]
	flat_load_b64 v[76:77], v[68:69]
	s_clause 0x1
	flat_load_b64 v[78:79], v[70:71]
	flat_load_b64 v[80:81], v[72:73]
.LBB163_13:                             ;   Parent Loop BB163_12 Depth=1
                                        ; =>  This Inner Loop Header: Depth=2
	v_cndmask_b32_e64 v0, 0, 1, s21
	s_lshl_b32 s20, s20, 3
	s_mov_b32 s21, 0
	v_lshl_add_u32 v16, v144, 5, s20
	s_delay_alu instid0(VALU_DEP_2)
	v_cmp_ne_u32_e32 vcc_lo, 1, v0
	v_lshl_add_u32 v0, v143, 5, s20
	s_mov_b32 s20, 2
	ds_load_b128 v[12:15], v0 offset:4096
	ds_load_b128 v[8:11], v0 offset:5120
	;; [unrolled: 1-line block ×20, first 2 shown]
	s_and_b32 vcc_lo, exec_lo, vcc_lo
	s_waitcnt lgkmcnt(15)
	v_add_f64 v[177:178], v[14:15], v[155:156]
	v_add_f64 v[179:180], v[12:13], v[153:154]
	s_delay_alu instid0(VALU_DEP_2) | instskip(NEXT) | instid1(VALU_DEP_2)
	v_cvt_f32_f64_e32 v177, v[177:178]
	v_cvt_f32_f64_e32 v64, v[179:180]
	v_add_f64 v[179:180], v[8:9], v[153:154]
	s_delay_alu instid0(VALU_DEP_2) | instskip(SKIP_1) | instid1(VALU_DEP_3)
	v_min3_f32 v147, v64, v177, v147
	v_add_f64 v[177:178], v[10:11], v[155:156]
	v_cvt_f32_f64_e32 v64, v[179:180]
	v_add_f64 v[179:180], v[4:5], v[153:154]
	v_add_f64 v[153:154], v[0:1], v[153:154]
	s_delay_alu instid0(VALU_DEP_4) | instskip(NEXT) | instid1(VALU_DEP_1)
	v_cvt_f32_f64_e32 v177, v[177:178]
	v_min3_f32 v146, v64, v177, v146
	v_add_f64 v[177:178], v[6:7], v[155:156]
	v_cvt_f32_f64_e32 v64, v[179:180]
	v_add_f64 v[155:156], v[2:3], v[155:156]
	s_delay_alu instid0(VALU_DEP_3) | instskip(NEXT) | instid1(VALU_DEP_1)
	v_cvt_f32_f64_e32 v177, v[177:178]
	v_min3_f32 v145, v64, v177, v145
	v_cvt_f32_f64_e32 v64, v[153:154]
	s_delay_alu instid0(VALU_DEP_4) | instskip(SKIP_2) | instid1(VALU_DEP_2)
	v_cvt_f32_f64_e32 v153, v[155:156]
	s_waitcnt lgkmcnt(14)
	v_add_f64 v[155:156], v[12:13], v[157:158]
	v_min3_f32 v142, v64, v153, v142
	v_add_f64 v[153:154], v[14:15], v[159:160]
	s_delay_alu instid0(VALU_DEP_3) | instskip(SKIP_1) | instid1(VALU_DEP_3)
	v_cvt_f32_f64_e32 v64, v[155:156]
	v_add_f64 v[155:156], v[8:9], v[157:158]
	v_cvt_f32_f64_e32 v153, v[153:154]
	s_delay_alu instid0(VALU_DEP_1) | instskip(SKIP_1) | instid1(VALU_DEP_4)
	v_min3_f32 v141, v64, v153, v141
	v_add_f64 v[153:154], v[10:11], v[159:160]
	v_cvt_f32_f64_e32 v64, v[155:156]
	v_add_f64 v[155:156], v[4:5], v[157:158]
	s_delay_alu instid0(VALU_DEP_3) | instskip(NEXT) | instid1(VALU_DEP_1)
	v_cvt_f32_f64_e32 v153, v[153:154]
	v_min3_f32 v140, v64, v153, v140
	v_add_f64 v[153:154], v[6:7], v[159:160]
	s_delay_alu instid0(VALU_DEP_4) | instskip(SKIP_1) | instid1(VALU_DEP_3)
	v_cvt_f32_f64_e32 v64, v[155:156]
	v_add_f64 v[155:156], v[0:1], v[157:158]
	v_cvt_f32_f64_e32 v153, v[153:154]
	s_delay_alu instid0(VALU_DEP_1) | instskip(SKIP_1) | instid1(VALU_DEP_4)
	v_min3_f32 v139, v64, v153, v139
	v_add_f64 v[153:154], v[2:3], v[159:160]
	v_cvt_f32_f64_e32 v64, v[155:156]
	s_waitcnt lgkmcnt(13)
	v_add_f64 v[155:156], v[12:13], v[161:162]
	s_delay_alu instid0(VALU_DEP_3) | instskip(NEXT) | instid1(VALU_DEP_1)
	v_cvt_f32_f64_e32 v153, v[153:154]
	v_min3_f32 v138, v64, v153, v138
	v_add_f64 v[153:154], v[14:15], v[163:164]
	s_delay_alu instid0(VALU_DEP_4) | instskip(SKIP_1) | instid1(VALU_DEP_3)
	v_cvt_f32_f64_e32 v64, v[155:156]
	v_add_f64 v[155:156], v[8:9], v[161:162]
	v_cvt_f32_f64_e32 v153, v[153:154]
	s_delay_alu instid0(VALU_DEP_1) | instskip(SKIP_1) | instid1(VALU_DEP_4)
	v_min3_f32 v137, v64, v153, v137
	v_add_f64 v[153:154], v[10:11], v[163:164]
	v_cvt_f32_f64_e32 v64, v[155:156]
	v_add_f64 v[155:156], v[4:5], v[161:162]
	s_delay_alu instid0(VALU_DEP_3) | instskip(NEXT) | instid1(VALU_DEP_1)
	v_cvt_f32_f64_e32 v153, v[153:154]
	v_min3_f32 v136, v64, v153, v136
	v_add_f64 v[153:154], v[6:7], v[163:164]
	s_delay_alu instid0(VALU_DEP_4) | instskip(SKIP_1) | instid1(VALU_DEP_3)
	v_cvt_f32_f64_e32 v64, v[155:156]
	v_add_f64 v[155:156], v[0:1], v[161:162]
	v_cvt_f32_f64_e32 v153, v[153:154]
	s_delay_alu instid0(VALU_DEP_1) | instskip(SKIP_1) | instid1(VALU_DEP_4)
	v_min3_f32 v135, v64, v153, v135
	v_add_f64 v[153:154], v[2:3], v[163:164]
	v_cvt_f32_f64_e32 v64, v[155:156]
	s_waitcnt lgkmcnt(12)
	v_add_f64 v[155:156], v[12:13], v[165:166]
	s_delay_alu instid0(VALU_DEP_3) | instskip(NEXT) | instid1(VALU_DEP_1)
	v_cvt_f32_f64_e32 v153, v[153:154]
	v_min3_f32 v134, v64, v153, v134
	v_add_f64 v[153:154], v[14:15], v[167:168]
	s_delay_alu instid0(VALU_DEP_4) | instskip(SKIP_1) | instid1(VALU_DEP_3)
	;; [unrolled: 27-line block ×5, first 2 shown]
	v_cvt_f32_f64_e32 v64, v[155:156]
	v_add_f64 v[155:156], v[8:9], v[52:53]
	v_cvt_f32_f64_e32 v153, v[153:154]
	s_delay_alu instid0(VALU_DEP_1) | instskip(SKIP_1) | instid1(VALU_DEP_4)
	v_min3_f32 v121, v64, v153, v121
	v_add_f64 v[153:154], v[10:11], v[54:55]
	v_cvt_f32_f64_e32 v64, v[155:156]
	v_add_f64 v[155:156], v[4:5], v[52:53]
	v_add_f64 v[52:53], v[0:1], v[52:53]
	s_delay_alu instid0(VALU_DEP_4) | instskip(NEXT) | instid1(VALU_DEP_2)
	v_cvt_f32_f64_e32 v153, v[153:154]
	v_cvt_f32_f64_e32 v52, v[52:53]
	s_delay_alu instid0(VALU_DEP_2) | instskip(SKIP_3) | instid1(VALU_DEP_3)
	v_min3_f32 v120, v64, v153, v120
	v_add_f64 v[153:154], v[6:7], v[54:55]
	v_add_f64 v[54:55], v[2:3], v[54:55]
	v_cvt_f32_f64_e32 v64, v[155:156]
	v_cvt_f32_f64_e32 v153, v[153:154]
	s_delay_alu instid0(VALU_DEP_3) | instskip(SKIP_2) | instid1(VALU_DEP_3)
	v_cvt_f32_f64_e32 v53, v[54:55]
	s_waitcnt lgkmcnt(8)
	v_add_f64 v[54:55], v[12:13], v[48:49]
	v_min3_f32 v119, v64, v153, v119
	s_delay_alu instid0(VALU_DEP_3) | instskip(SKIP_1) | instid1(VALU_DEP_4)
	v_min3_f32 v118, v52, v53, v118
	v_add_f64 v[52:53], v[14:15], v[50:51]
	v_cvt_f32_f64_e32 v54, v[54:55]
	s_delay_alu instid0(VALU_DEP_2) | instskip(NEXT) | instid1(VALU_DEP_1)
	v_cvt_f32_f64_e32 v52, v[52:53]
	v_min3_f32 v117, v54, v52, v117
	v_add_f64 v[52:53], v[10:11], v[50:51]
	v_add_f64 v[54:55], v[8:9], v[48:49]
	s_delay_alu instid0(VALU_DEP_2) | instskip(NEXT) | instid1(VALU_DEP_2)
	v_cvt_f32_f64_e32 v52, v[52:53]
	v_cvt_f32_f64_e32 v54, v[54:55]
	s_delay_alu instid0(VALU_DEP_1) | instskip(SKIP_4) | instid1(VALU_DEP_4)
	v_min3_f32 v116, v54, v52, v116
	v_add_f64 v[52:53], v[6:7], v[50:51]
	v_add_f64 v[54:55], v[4:5], v[48:49]
	v_add_f64 v[50:51], v[2:3], v[50:51]
	v_add_f64 v[48:49], v[0:1], v[48:49]
	v_cvt_f32_f64_e32 v52, v[52:53]
	s_delay_alu instid0(VALU_DEP_4) | instskip(NEXT) | instid1(VALU_DEP_3)
	v_cvt_f32_f64_e32 v54, v[54:55]
	v_cvt_f32_f64_e32 v48, v[48:49]
	v_cvt_f32_f64_e32 v49, v[50:51]
	s_waitcnt lgkmcnt(7)
	v_add_f64 v[50:51], v[12:13], v[44:45]
	s_delay_alu instid0(VALU_DEP_4) | instskip(NEXT) | instid1(VALU_DEP_3)
	v_min3_f32 v115, v54, v52, v115
	v_min3_f32 v114, v48, v49, v114
	v_add_f64 v[48:49], v[14:15], v[46:47]
	s_delay_alu instid0(VALU_DEP_4) | instskip(NEXT) | instid1(VALU_DEP_2)
	v_cvt_f32_f64_e32 v50, v[50:51]
	v_cvt_f32_f64_e32 v48, v[48:49]
	s_delay_alu instid0(VALU_DEP_1) | instskip(SKIP_2) | instid1(VALU_DEP_2)
	v_min3_f32 v113, v50, v48, v113
	v_add_f64 v[48:49], v[10:11], v[46:47]
	v_add_f64 v[50:51], v[8:9], v[44:45]
	v_cvt_f32_f64_e32 v48, v[48:49]
	s_delay_alu instid0(VALU_DEP_2) | instskip(NEXT) | instid1(VALU_DEP_1)
	v_cvt_f32_f64_e32 v50, v[50:51]
	v_min3_f32 v112, v50, v48, v112
	v_add_f64 v[48:49], v[6:7], v[46:47]
	v_add_f64 v[50:51], v[4:5], v[44:45]
	v_add_f64 v[46:47], v[2:3], v[46:47]
	v_add_f64 v[44:45], v[0:1], v[44:45]
	s_delay_alu instid0(VALU_DEP_4) | instskip(NEXT) | instid1(VALU_DEP_4)
	v_cvt_f32_f64_e32 v48, v[48:49]
	v_cvt_f32_f64_e32 v50, v[50:51]
	s_delay_alu instid0(VALU_DEP_3) | instskip(SKIP_3) | instid1(VALU_DEP_4)
	v_cvt_f32_f64_e32 v44, v[44:45]
	v_cvt_f32_f64_e32 v45, v[46:47]
	s_waitcnt lgkmcnt(6)
	v_add_f64 v[46:47], v[12:13], v[40:41]
	v_min3_f32 v111, v50, v48, v111
	s_delay_alu instid0(VALU_DEP_3) | instskip(SKIP_1) | instid1(VALU_DEP_4)
	v_min3_f32 v110, v44, v45, v110
	v_add_f64 v[44:45], v[14:15], v[42:43]
	v_cvt_f32_f64_e32 v46, v[46:47]
	s_delay_alu instid0(VALU_DEP_2) | instskip(NEXT) | instid1(VALU_DEP_1)
	v_cvt_f32_f64_e32 v44, v[44:45]
	v_min3_f32 v109, v46, v44, v109
	v_add_f64 v[44:45], v[10:11], v[42:43]
	v_add_f64 v[46:47], v[8:9], v[40:41]
	s_delay_alu instid0(VALU_DEP_2) | instskip(NEXT) | instid1(VALU_DEP_2)
	v_cvt_f32_f64_e32 v44, v[44:45]
	v_cvt_f32_f64_e32 v46, v[46:47]
	s_delay_alu instid0(VALU_DEP_1) | instskip(SKIP_4) | instid1(VALU_DEP_4)
	v_min3_f32 v108, v46, v44, v108
	v_add_f64 v[44:45], v[6:7], v[42:43]
	v_add_f64 v[46:47], v[4:5], v[40:41]
	v_add_f64 v[42:43], v[2:3], v[42:43]
	v_add_f64 v[40:41], v[0:1], v[40:41]
	v_cvt_f32_f64_e32 v44, v[44:45]
	s_delay_alu instid0(VALU_DEP_4) | instskip(NEXT) | instid1(VALU_DEP_3)
	v_cvt_f32_f64_e32 v46, v[46:47]
	v_cvt_f32_f64_e32 v40, v[40:41]
	v_cvt_f32_f64_e32 v41, v[42:43]
	s_waitcnt lgkmcnt(5)
	v_add_f64 v[42:43], v[12:13], v[36:37]
	s_delay_alu instid0(VALU_DEP_4) | instskip(NEXT) | instid1(VALU_DEP_3)
	v_min3_f32 v107, v46, v44, v107
	v_min3_f32 v106, v40, v41, v106
	v_add_f64 v[40:41], v[14:15], v[38:39]
	s_delay_alu instid0(VALU_DEP_4) | instskip(NEXT) | instid1(VALU_DEP_2)
	v_cvt_f32_f64_e32 v42, v[42:43]
	v_cvt_f32_f64_e32 v40, v[40:41]
	s_delay_alu instid0(VALU_DEP_1) | instskip(SKIP_2) | instid1(VALU_DEP_2)
	v_min3_f32 v105, v42, v40, v105
	v_add_f64 v[40:41], v[10:11], v[38:39]
	v_add_f64 v[42:43], v[8:9], v[36:37]
	v_cvt_f32_f64_e32 v40, v[40:41]
	s_delay_alu instid0(VALU_DEP_2) | instskip(NEXT) | instid1(VALU_DEP_1)
	v_cvt_f32_f64_e32 v42, v[42:43]
	v_min3_f32 v104, v42, v40, v104
	v_add_f64 v[40:41], v[6:7], v[38:39]
	v_add_f64 v[42:43], v[4:5], v[36:37]
	v_add_f64 v[38:39], v[2:3], v[38:39]
	v_add_f64 v[36:37], v[0:1], v[36:37]
	s_delay_alu instid0(VALU_DEP_4) | instskip(NEXT) | instid1(VALU_DEP_4)
	v_cvt_f32_f64_e32 v40, v[40:41]
	v_cvt_f32_f64_e32 v42, v[42:43]
	s_delay_alu instid0(VALU_DEP_3) | instskip(SKIP_3) | instid1(VALU_DEP_4)
	v_cvt_f32_f64_e32 v36, v[36:37]
	;; [unrolled: 53-line block ×3, first 2 shown]
	v_cvt_f32_f64_e32 v29, v[30:31]
	s_waitcnt lgkmcnt(2)
	v_add_f64 v[30:31], v[12:13], v[24:25]
	v_min3_f32 v95, v34, v32, v95
	s_delay_alu instid0(VALU_DEP_3) | instskip(SKIP_1) | instid1(VALU_DEP_4)
	v_min3_f32 v94, v28, v29, v94
	v_add_f64 v[28:29], v[14:15], v[26:27]
	v_cvt_f32_f64_e32 v30, v[30:31]
	s_delay_alu instid0(VALU_DEP_2) | instskip(NEXT) | instid1(VALU_DEP_1)
	v_cvt_f32_f64_e32 v28, v[28:29]
	v_min3_f32 v93, v30, v28, v93
	v_add_f64 v[28:29], v[10:11], v[26:27]
	v_add_f64 v[30:31], v[8:9], v[24:25]
	s_delay_alu instid0(VALU_DEP_2) | instskip(NEXT) | instid1(VALU_DEP_2)
	v_cvt_f32_f64_e32 v28, v[28:29]
	v_cvt_f32_f64_e32 v30, v[30:31]
	s_delay_alu instid0(VALU_DEP_1) | instskip(SKIP_4) | instid1(VALU_DEP_4)
	v_min3_f32 v92, v30, v28, v92
	v_add_f64 v[28:29], v[6:7], v[26:27]
	v_add_f64 v[30:31], v[4:5], v[24:25]
	;; [unrolled: 1-line block ×4, first 2 shown]
	v_cvt_f32_f64_e32 v28, v[28:29]
	s_delay_alu instid0(VALU_DEP_4) | instskip(NEXT) | instid1(VALU_DEP_3)
	v_cvt_f32_f64_e32 v30, v[30:31]
	v_cvt_f32_f64_e32 v24, v[24:25]
	v_cvt_f32_f64_e32 v25, v[26:27]
	s_waitcnt lgkmcnt(1)
	v_add_f64 v[26:27], v[12:13], v[20:21]
	s_waitcnt lgkmcnt(0)
	v_add_f64 v[12:13], v[12:13], v[16:17]
	v_min3_f32 v91, v30, v28, v91
	s_delay_alu instid0(VALU_DEP_4) | instskip(SKIP_4) | instid1(VALU_DEP_4)
	v_min3_f32 v90, v24, v25, v90
	v_add_f64 v[24:25], v[14:15], v[22:23]
	v_cvt_f32_f64_e32 v26, v[26:27]
	v_add_f64 v[14:15], v[14:15], v[18:19]
	v_cvt_f32_f64_e32 v12, v[12:13]
	v_cvt_f32_f64_e32 v24, v[24:25]
	s_delay_alu instid0(VALU_DEP_3) | instskip(NEXT) | instid1(VALU_DEP_2)
	v_cvt_f32_f64_e32 v13, v[14:15]
	v_min3_f32 v89, v26, v24, v89
	v_add_f64 v[24:25], v[10:11], v[22:23]
	v_add_f64 v[26:27], v[8:9], v[20:21]
	;; [unrolled: 1-line block ×4, first 2 shown]
	v_min3_f32 v85, v12, v13, v85
	v_cvt_f32_f64_e32 v24, v[24:25]
	v_cvt_f32_f64_e32 v26, v[26:27]
	s_delay_alu instid0(VALU_DEP_4) | instskip(SKIP_1) | instid1(VALU_DEP_3)
	v_cvt_f32_f64_e32 v8, v[8:9]
	v_cvt_f32_f64_e32 v9, v[10:11]
	v_min3_f32 v88, v26, v24, v88
	v_add_f64 v[24:25], v[6:7], v[22:23]
	v_add_f64 v[26:27], v[4:5], v[20:21]
	;; [unrolled: 1-line block ×8, first 2 shown]
	v_min3_f32 v84, v8, v9, v84
	v_cvt_f32_f64_e32 v24, v[24:25]
	v_cvt_f32_f64_e32 v26, v[26:27]
	;; [unrolled: 1-line block ×8, first 2 shown]
	v_min3_f32 v87, v26, v24, v87
	v_min3_f32 v86, v20, v21, v86
	;; [unrolled: 1-line block ×3, first 2 shown]
	s_delay_alu instid0(VALU_DEP_4)
	v_min3_f32 v82, v0, v1, v82
	s_cbranch_vccz .LBB163_13
; %bb.14:                               ;   in Loop: Header=BB163_12 Depth=1
	s_waitcnt vmcnt(2)
	ds_store_2addr_stride64_b64 v149, v[74:75], v[76:77] offset1:4
	s_waitcnt vmcnt(0)
	ds_store_2addr_stride64_b64 v150, v[78:79], v[80:81] offset1:4
	s_waitcnt lgkmcnt(0)
	s_barrier
	buffer_gl0_inv
	s_clause 0x1
	flat_load_b64 v[66:67], v[66:67] offset:32
	flat_load_b64 v[68:69], v[68:69] offset:32
	s_clause 0x1
	flat_load_b64 v[70:71], v[70:71] offset:32
	flat_load_b64 v[72:73], v[72:73] offset:32
	s_mov_b32 s20, -1
.LBB163_15:                             ;   Parent Loop BB163_12 Depth=1
                                        ; =>  This Inner Loop Header: Depth=2
	s_lshl_b32 s21, s21, 3
	s_and_not1_b32 vcc_lo, exec_lo, s20
	v_lshl_add_u32 v0, v143, 5, s21
	v_lshl_add_u32 v16, v144, 5, s21
	s_mov_b32 s21, 2
	s_mov_b32 s20, 0
	ds_load_b128 v[12:15], v0
	ds_load_b128 v[8:11], v0 offset:1024
	ds_load_b128 v[4:7], v0 offset:2048
	;; [unrolled: 1-line block ×19, first 2 shown]
	s_waitcnt lgkmcnt(15)
	v_add_f64 v[169:170], v[14:15], v[76:77]
	v_add_f64 v[171:172], v[12:13], v[74:75]
	s_delay_alu instid0(VALU_DEP_2) | instskip(NEXT) | instid1(VALU_DEP_2)
	v_cvt_f32_f64_e32 v169, v[169:170]
	v_cvt_f32_f64_e32 v64, v[171:172]
	v_add_f64 v[171:172], v[8:9], v[74:75]
	s_delay_alu instid0(VALU_DEP_2) | instskip(SKIP_1) | instid1(VALU_DEP_3)
	v_min3_f32 v147, v64, v169, v147
	v_add_f64 v[169:170], v[10:11], v[76:77]
	v_cvt_f32_f64_e32 v64, v[171:172]
	v_add_f64 v[171:172], v[4:5], v[74:75]
	v_add_f64 v[74:75], v[0:1], v[74:75]
	s_delay_alu instid0(VALU_DEP_4) | instskip(NEXT) | instid1(VALU_DEP_1)
	v_cvt_f32_f64_e32 v169, v[169:170]
	v_min3_f32 v146, v64, v169, v146
	v_add_f64 v[169:170], v[6:7], v[76:77]
	v_cvt_f32_f64_e32 v64, v[171:172]
	v_add_f64 v[76:77], v[2:3], v[76:77]
	s_delay_alu instid0(VALU_DEP_3) | instskip(NEXT) | instid1(VALU_DEP_1)
	v_cvt_f32_f64_e32 v169, v[169:170]
	v_min3_f32 v145, v64, v169, v145
	v_cvt_f32_f64_e32 v64, v[74:75]
	s_delay_alu instid0(VALU_DEP_4) | instskip(SKIP_2) | instid1(VALU_DEP_2)
	v_cvt_f32_f64_e32 v74, v[76:77]
	s_waitcnt lgkmcnt(14)
	v_add_f64 v[76:77], v[12:13], v[78:79]
	v_min3_f32 v142, v64, v74, v142
	v_add_f64 v[74:75], v[14:15], v[80:81]
	s_delay_alu instid0(VALU_DEP_3) | instskip(SKIP_1) | instid1(VALU_DEP_3)
	v_cvt_f32_f64_e32 v64, v[76:77]
	v_add_f64 v[76:77], v[8:9], v[78:79]
	v_cvt_f32_f64_e32 v74, v[74:75]
	s_delay_alu instid0(VALU_DEP_1) | instskip(SKIP_1) | instid1(VALU_DEP_4)
	v_min3_f32 v141, v64, v74, v141
	v_add_f64 v[74:75], v[10:11], v[80:81]
	v_cvt_f32_f64_e32 v64, v[76:77]
	v_add_f64 v[76:77], v[4:5], v[78:79]
	s_delay_alu instid0(VALU_DEP_3) | instskip(NEXT) | instid1(VALU_DEP_1)
	v_cvt_f32_f64_e32 v74, v[74:75]
	v_min3_f32 v140, v64, v74, v140
	v_add_f64 v[74:75], v[6:7], v[80:81]
	s_delay_alu instid0(VALU_DEP_4) | instskip(SKIP_1) | instid1(VALU_DEP_3)
	v_cvt_f32_f64_e32 v64, v[76:77]
	v_add_f64 v[76:77], v[0:1], v[78:79]
	v_cvt_f32_f64_e32 v74, v[74:75]
	s_delay_alu instid0(VALU_DEP_1) | instskip(SKIP_1) | instid1(VALU_DEP_4)
	v_min3_f32 v139, v64, v74, v139
	v_add_f64 v[74:75], v[2:3], v[80:81]
	v_cvt_f32_f64_e32 v64, v[76:77]
	s_waitcnt lgkmcnt(13)
	v_add_f64 v[76:77], v[12:13], v[153:154]
	s_delay_alu instid0(VALU_DEP_3) | instskip(NEXT) | instid1(VALU_DEP_1)
	v_cvt_f32_f64_e32 v74, v[74:75]
	v_min3_f32 v138, v64, v74, v138
	v_add_f64 v[74:75], v[14:15], v[155:156]
	s_delay_alu instid0(VALU_DEP_4) | instskip(SKIP_1) | instid1(VALU_DEP_3)
	v_cvt_f32_f64_e32 v64, v[76:77]
	v_add_f64 v[76:77], v[8:9], v[153:154]
	v_cvt_f32_f64_e32 v74, v[74:75]
	s_delay_alu instid0(VALU_DEP_1) | instskip(SKIP_1) | instid1(VALU_DEP_4)
	v_min3_f32 v137, v64, v74, v137
	v_add_f64 v[74:75], v[10:11], v[155:156]
	v_cvt_f32_f64_e32 v64, v[76:77]
	v_add_f64 v[76:77], v[4:5], v[153:154]
	s_delay_alu instid0(VALU_DEP_3) | instskip(NEXT) | instid1(VALU_DEP_1)
	v_cvt_f32_f64_e32 v74, v[74:75]
	v_min3_f32 v136, v64, v74, v136
	v_add_f64 v[74:75], v[6:7], v[155:156]
	s_delay_alu instid0(VALU_DEP_4) | instskip(SKIP_1) | instid1(VALU_DEP_3)
	v_cvt_f32_f64_e32 v64, v[76:77]
	v_add_f64 v[76:77], v[0:1], v[153:154]
	v_cvt_f32_f64_e32 v74, v[74:75]
	s_delay_alu instid0(VALU_DEP_1) | instskip(SKIP_1) | instid1(VALU_DEP_4)
	v_min3_f32 v135, v64, v74, v135
	v_add_f64 v[74:75], v[2:3], v[155:156]
	v_cvt_f32_f64_e32 v64, v[76:77]
	s_waitcnt lgkmcnt(12)
	v_add_f64 v[76:77], v[12:13], v[157:158]
	s_delay_alu instid0(VALU_DEP_3) | instskip(NEXT) | instid1(VALU_DEP_1)
	v_cvt_f32_f64_e32 v74, v[74:75]
	v_min3_f32 v134, v64, v74, v134
	v_add_f64 v[74:75], v[14:15], v[159:160]
	s_delay_alu instid0(VALU_DEP_4) | instskip(SKIP_1) | instid1(VALU_DEP_3)
	;; [unrolled: 27-line block ×5, first 2 shown]
	v_cvt_f32_f64_e32 v64, v[76:77]
	v_add_f64 v[76:77], v[8:9], v[52:53]
	v_cvt_f32_f64_e32 v74, v[74:75]
	s_delay_alu instid0(VALU_DEP_1) | instskip(SKIP_1) | instid1(VALU_DEP_4)
	v_min3_f32 v121, v64, v74, v121
	v_add_f64 v[74:75], v[10:11], v[54:55]
	v_cvt_f32_f64_e32 v64, v[76:77]
	v_add_f64 v[76:77], v[4:5], v[52:53]
	v_add_f64 v[52:53], v[0:1], v[52:53]
	s_delay_alu instid0(VALU_DEP_4) | instskip(NEXT) | instid1(VALU_DEP_2)
	v_cvt_f32_f64_e32 v74, v[74:75]
	v_cvt_f32_f64_e32 v52, v[52:53]
	s_delay_alu instid0(VALU_DEP_2) | instskip(SKIP_3) | instid1(VALU_DEP_3)
	v_min3_f32 v120, v64, v74, v120
	v_add_f64 v[74:75], v[6:7], v[54:55]
	v_add_f64 v[54:55], v[2:3], v[54:55]
	v_cvt_f32_f64_e32 v64, v[76:77]
	v_cvt_f32_f64_e32 v74, v[74:75]
	s_delay_alu instid0(VALU_DEP_3) | instskip(SKIP_2) | instid1(VALU_DEP_3)
	v_cvt_f32_f64_e32 v53, v[54:55]
	s_waitcnt lgkmcnt(8)
	v_add_f64 v[54:55], v[12:13], v[48:49]
	v_min3_f32 v119, v64, v74, v119
	s_delay_alu instid0(VALU_DEP_3) | instskip(SKIP_1) | instid1(VALU_DEP_4)
	v_min3_f32 v118, v52, v53, v118
	v_add_f64 v[52:53], v[14:15], v[50:51]
	v_cvt_f32_f64_e32 v54, v[54:55]
	s_delay_alu instid0(VALU_DEP_2) | instskip(NEXT) | instid1(VALU_DEP_1)
	v_cvt_f32_f64_e32 v52, v[52:53]
	v_min3_f32 v117, v54, v52, v117
	v_add_f64 v[52:53], v[10:11], v[50:51]
	v_add_f64 v[54:55], v[8:9], v[48:49]
	s_delay_alu instid0(VALU_DEP_2) | instskip(NEXT) | instid1(VALU_DEP_2)
	v_cvt_f32_f64_e32 v52, v[52:53]
	v_cvt_f32_f64_e32 v54, v[54:55]
	s_delay_alu instid0(VALU_DEP_1) | instskip(SKIP_4) | instid1(VALU_DEP_4)
	v_min3_f32 v116, v54, v52, v116
	v_add_f64 v[52:53], v[6:7], v[50:51]
	v_add_f64 v[54:55], v[4:5], v[48:49]
	v_add_f64 v[50:51], v[2:3], v[50:51]
	v_add_f64 v[48:49], v[0:1], v[48:49]
	v_cvt_f32_f64_e32 v52, v[52:53]
	s_delay_alu instid0(VALU_DEP_4) | instskip(NEXT) | instid1(VALU_DEP_3)
	v_cvt_f32_f64_e32 v54, v[54:55]
	v_cvt_f32_f64_e32 v48, v[48:49]
	v_cvt_f32_f64_e32 v49, v[50:51]
	s_waitcnt lgkmcnt(7)
	v_add_f64 v[50:51], v[12:13], v[44:45]
	s_delay_alu instid0(VALU_DEP_4) | instskip(NEXT) | instid1(VALU_DEP_3)
	v_min3_f32 v115, v54, v52, v115
	v_min3_f32 v114, v48, v49, v114
	v_add_f64 v[48:49], v[14:15], v[46:47]
	s_delay_alu instid0(VALU_DEP_4) | instskip(NEXT) | instid1(VALU_DEP_2)
	v_cvt_f32_f64_e32 v50, v[50:51]
	v_cvt_f32_f64_e32 v48, v[48:49]
	s_delay_alu instid0(VALU_DEP_1) | instskip(SKIP_2) | instid1(VALU_DEP_2)
	v_min3_f32 v113, v50, v48, v113
	v_add_f64 v[48:49], v[10:11], v[46:47]
	v_add_f64 v[50:51], v[8:9], v[44:45]
	v_cvt_f32_f64_e32 v48, v[48:49]
	s_delay_alu instid0(VALU_DEP_2) | instskip(NEXT) | instid1(VALU_DEP_1)
	v_cvt_f32_f64_e32 v50, v[50:51]
	v_min3_f32 v112, v50, v48, v112
	v_add_f64 v[48:49], v[6:7], v[46:47]
	v_add_f64 v[50:51], v[4:5], v[44:45]
	v_add_f64 v[46:47], v[2:3], v[46:47]
	v_add_f64 v[44:45], v[0:1], v[44:45]
	s_delay_alu instid0(VALU_DEP_4) | instskip(NEXT) | instid1(VALU_DEP_4)
	v_cvt_f32_f64_e32 v48, v[48:49]
	v_cvt_f32_f64_e32 v50, v[50:51]
	s_delay_alu instid0(VALU_DEP_3) | instskip(SKIP_3) | instid1(VALU_DEP_4)
	v_cvt_f32_f64_e32 v44, v[44:45]
	v_cvt_f32_f64_e32 v45, v[46:47]
	s_waitcnt lgkmcnt(6)
	v_add_f64 v[46:47], v[12:13], v[40:41]
	v_min3_f32 v111, v50, v48, v111
	s_delay_alu instid0(VALU_DEP_3) | instskip(SKIP_1) | instid1(VALU_DEP_4)
	v_min3_f32 v110, v44, v45, v110
	v_add_f64 v[44:45], v[14:15], v[42:43]
	v_cvt_f32_f64_e32 v46, v[46:47]
	s_delay_alu instid0(VALU_DEP_2) | instskip(NEXT) | instid1(VALU_DEP_1)
	v_cvt_f32_f64_e32 v44, v[44:45]
	v_min3_f32 v109, v46, v44, v109
	v_add_f64 v[44:45], v[10:11], v[42:43]
	v_add_f64 v[46:47], v[8:9], v[40:41]
	s_delay_alu instid0(VALU_DEP_2) | instskip(NEXT) | instid1(VALU_DEP_2)
	v_cvt_f32_f64_e32 v44, v[44:45]
	v_cvt_f32_f64_e32 v46, v[46:47]
	s_delay_alu instid0(VALU_DEP_1) | instskip(SKIP_4) | instid1(VALU_DEP_4)
	v_min3_f32 v108, v46, v44, v108
	v_add_f64 v[44:45], v[6:7], v[42:43]
	v_add_f64 v[46:47], v[4:5], v[40:41]
	v_add_f64 v[42:43], v[2:3], v[42:43]
	v_add_f64 v[40:41], v[0:1], v[40:41]
	v_cvt_f32_f64_e32 v44, v[44:45]
	s_delay_alu instid0(VALU_DEP_4) | instskip(NEXT) | instid1(VALU_DEP_3)
	v_cvt_f32_f64_e32 v46, v[46:47]
	v_cvt_f32_f64_e32 v40, v[40:41]
	v_cvt_f32_f64_e32 v41, v[42:43]
	s_waitcnt lgkmcnt(5)
	v_add_f64 v[42:43], v[12:13], v[36:37]
	s_delay_alu instid0(VALU_DEP_4) | instskip(NEXT) | instid1(VALU_DEP_3)
	v_min3_f32 v107, v46, v44, v107
	v_min3_f32 v106, v40, v41, v106
	v_add_f64 v[40:41], v[14:15], v[38:39]
	s_delay_alu instid0(VALU_DEP_4) | instskip(NEXT) | instid1(VALU_DEP_2)
	v_cvt_f32_f64_e32 v42, v[42:43]
	v_cvt_f32_f64_e32 v40, v[40:41]
	s_delay_alu instid0(VALU_DEP_1) | instskip(SKIP_2) | instid1(VALU_DEP_2)
	v_min3_f32 v105, v42, v40, v105
	v_add_f64 v[40:41], v[10:11], v[38:39]
	v_add_f64 v[42:43], v[8:9], v[36:37]
	v_cvt_f32_f64_e32 v40, v[40:41]
	s_delay_alu instid0(VALU_DEP_2) | instskip(NEXT) | instid1(VALU_DEP_1)
	v_cvt_f32_f64_e32 v42, v[42:43]
	v_min3_f32 v104, v42, v40, v104
	v_add_f64 v[40:41], v[6:7], v[38:39]
	v_add_f64 v[42:43], v[4:5], v[36:37]
	v_add_f64 v[38:39], v[2:3], v[38:39]
	v_add_f64 v[36:37], v[0:1], v[36:37]
	s_delay_alu instid0(VALU_DEP_4) | instskip(NEXT) | instid1(VALU_DEP_4)
	v_cvt_f32_f64_e32 v40, v[40:41]
	v_cvt_f32_f64_e32 v42, v[42:43]
	s_delay_alu instid0(VALU_DEP_3) | instskip(SKIP_3) | instid1(VALU_DEP_4)
	v_cvt_f32_f64_e32 v36, v[36:37]
	;; [unrolled: 53-line block ×3, first 2 shown]
	v_cvt_f32_f64_e32 v29, v[30:31]
	s_waitcnt lgkmcnt(2)
	v_add_f64 v[30:31], v[12:13], v[24:25]
	v_min3_f32 v95, v34, v32, v95
	s_delay_alu instid0(VALU_DEP_3) | instskip(SKIP_1) | instid1(VALU_DEP_4)
	v_min3_f32 v94, v28, v29, v94
	v_add_f64 v[28:29], v[14:15], v[26:27]
	v_cvt_f32_f64_e32 v30, v[30:31]
	s_delay_alu instid0(VALU_DEP_2) | instskip(NEXT) | instid1(VALU_DEP_1)
	v_cvt_f32_f64_e32 v28, v[28:29]
	v_min3_f32 v93, v30, v28, v93
	v_add_f64 v[28:29], v[10:11], v[26:27]
	v_add_f64 v[30:31], v[8:9], v[24:25]
	s_delay_alu instid0(VALU_DEP_2) | instskip(NEXT) | instid1(VALU_DEP_2)
	v_cvt_f32_f64_e32 v28, v[28:29]
	v_cvt_f32_f64_e32 v30, v[30:31]
	s_delay_alu instid0(VALU_DEP_1) | instskip(SKIP_4) | instid1(VALU_DEP_4)
	v_min3_f32 v92, v30, v28, v92
	v_add_f64 v[28:29], v[6:7], v[26:27]
	v_add_f64 v[30:31], v[4:5], v[24:25]
	;; [unrolled: 1-line block ×4, first 2 shown]
	v_cvt_f32_f64_e32 v28, v[28:29]
	s_delay_alu instid0(VALU_DEP_4) | instskip(NEXT) | instid1(VALU_DEP_3)
	v_cvt_f32_f64_e32 v30, v[30:31]
	v_cvt_f32_f64_e32 v24, v[24:25]
	;; [unrolled: 1-line block ×3, first 2 shown]
	s_waitcnt lgkmcnt(1)
	v_add_f64 v[26:27], v[12:13], v[20:21]
	s_waitcnt lgkmcnt(0)
	v_add_f64 v[12:13], v[12:13], v[16:17]
	v_min3_f32 v91, v30, v28, v91
	s_delay_alu instid0(VALU_DEP_4) | instskip(SKIP_4) | instid1(VALU_DEP_4)
	v_min3_f32 v90, v24, v25, v90
	v_add_f64 v[24:25], v[14:15], v[22:23]
	v_cvt_f32_f64_e32 v26, v[26:27]
	v_add_f64 v[14:15], v[14:15], v[18:19]
	v_cvt_f32_f64_e32 v12, v[12:13]
	v_cvt_f32_f64_e32 v24, v[24:25]
	s_delay_alu instid0(VALU_DEP_3) | instskip(NEXT) | instid1(VALU_DEP_2)
	v_cvt_f32_f64_e32 v13, v[14:15]
	v_min3_f32 v89, v26, v24, v89
	v_add_f64 v[24:25], v[10:11], v[22:23]
	v_add_f64 v[26:27], v[8:9], v[20:21]
	;; [unrolled: 1-line block ×4, first 2 shown]
	v_min3_f32 v85, v12, v13, v85
	v_cvt_f32_f64_e32 v24, v[24:25]
	v_cvt_f32_f64_e32 v26, v[26:27]
	s_delay_alu instid0(VALU_DEP_4) | instskip(SKIP_1) | instid1(VALU_DEP_3)
	v_cvt_f32_f64_e32 v8, v[8:9]
	v_cvt_f32_f64_e32 v9, v[10:11]
	v_min3_f32 v88, v26, v24, v88
	v_add_f64 v[24:25], v[6:7], v[22:23]
	v_add_f64 v[26:27], v[4:5], v[20:21]
	;; [unrolled: 1-line block ×8, first 2 shown]
	v_min3_f32 v84, v8, v9, v84
	v_cvt_f32_f64_e32 v24, v[24:25]
	v_cvt_f32_f64_e32 v26, v[26:27]
	;; [unrolled: 1-line block ×8, first 2 shown]
	v_min3_f32 v87, v26, v24, v87
	v_min3_f32 v86, v20, v21, v86
	v_min3_f32 v83, v4, v5, v83
	s_delay_alu instid0(VALU_DEP_4)
	v_min3_f32 v82, v0, v1, v82
	s_cbranch_vccz .LBB163_15
; %bb.16:                               ;   in Loop: Header=BB163_12 Depth=1
	s_add_i32 s19, s19, 8
	s_add_i32 s18, s18, 8
	s_cmp_ge_i32 s19, s14
	s_waitcnt vmcnt(2)
	ds_store_2addr_stride64_b64 v151, v[66:67], v[68:69] offset1:4
	s_waitcnt vmcnt(0)
	ds_store_2addr_stride64_b64 v152, v[70:71], v[72:73] offset1:4
	s_waitcnt lgkmcnt(0)
	s_barrier
	buffer_gl0_inv
	s_cbranch_scc0 .LBB163_12
.LBB163_17:
	s_mov_b32 s13, 0
	s_mov_b32 s12, -1
.LBB163_18:                             ; =>This Inner Loop Header: Depth=1
	s_lshl_b32 s13, s13, 3
	s_and_not1_b32 vcc_lo, exec_lo, s12
	v_lshl_add_u32 v0, v143, 5, s13
	v_lshl_add_u32 v16, v144, 5, s13
	s_mov_b32 s13, 2
	s_mov_b32 s12, 0
	ds_load_b128 v[12:15], v0 offset:4096
	ds_load_b128 v[8:11], v0 offset:5120
	;; [unrolled: 1-line block ×20, first 2 shown]
	s_waitcnt lgkmcnt(15)
	v_add_f64 v[80:81], v[14:15], v[58:59]
	v_add_f64 v[148:149], v[12:13], v[56:57]
	s_delay_alu instid0(VALU_DEP_2) | instskip(NEXT) | instid1(VALU_DEP_2)
	v_cvt_f32_f64_e32 v80, v[80:81]
	v_cvt_f32_f64_e32 v148, v[148:149]
	s_delay_alu instid0(VALU_DEP_1) | instskip(SKIP_2) | instid1(VALU_DEP_2)
	v_min3_f32 v147, v148, v80, v147
	v_add_f64 v[80:81], v[10:11], v[58:59]
	v_add_f64 v[148:149], v[8:9], v[56:57]
	v_cvt_f32_f64_e32 v80, v[80:81]
	s_delay_alu instid0(VALU_DEP_2) | instskip(NEXT) | instid1(VALU_DEP_1)
	v_cvt_f32_f64_e32 v148, v[148:149]
	v_min3_f32 v146, v148, v80, v146
	v_add_f64 v[80:81], v[6:7], v[58:59]
	v_add_f64 v[148:149], v[4:5], v[56:57]
	;; [unrolled: 1-line block ×4, first 2 shown]
	s_delay_alu instid0(VALU_DEP_4) | instskip(NEXT) | instid1(VALU_DEP_4)
	v_cvt_f32_f64_e32 v80, v[80:81]
	v_cvt_f32_f64_e32 v148, v[148:149]
	s_delay_alu instid0(VALU_DEP_3) | instskip(SKIP_3) | instid1(VALU_DEP_4)
	v_cvt_f32_f64_e32 v56, v[56:57]
	v_cvt_f32_f64_e32 v57, v[58:59]
	s_waitcnt lgkmcnt(14)
	v_add_f64 v[58:59], v[12:13], v[60:61]
	v_min3_f32 v145, v148, v80, v145
	s_delay_alu instid0(VALU_DEP_3) | instskip(SKIP_1) | instid1(VALU_DEP_4)
	v_min3_f32 v142, v56, v57, v142
	v_add_f64 v[56:57], v[14:15], v[62:63]
	v_cvt_f32_f64_e32 v58, v[58:59]
	s_delay_alu instid0(VALU_DEP_2) | instskip(NEXT) | instid1(VALU_DEP_1)
	v_cvt_f32_f64_e32 v56, v[56:57]
	v_min3_f32 v141, v58, v56, v141
	v_add_f64 v[56:57], v[10:11], v[62:63]
	v_add_f64 v[58:59], v[8:9], v[60:61]
	s_delay_alu instid0(VALU_DEP_2) | instskip(NEXT) | instid1(VALU_DEP_2)
	v_cvt_f32_f64_e32 v56, v[56:57]
	v_cvt_f32_f64_e32 v58, v[58:59]
	s_delay_alu instid0(VALU_DEP_1) | instskip(SKIP_2) | instid1(VALU_DEP_2)
	v_min3_f32 v140, v58, v56, v140
	v_add_f64 v[56:57], v[6:7], v[62:63]
	v_add_f64 v[58:59], v[4:5], v[60:61]
	v_cvt_f32_f64_e32 v56, v[56:57]
	s_delay_alu instid0(VALU_DEP_2) | instskip(NEXT) | instid1(VALU_DEP_1)
	v_cvt_f32_f64_e32 v58, v[58:59]
	v_min3_f32 v139, v58, v56, v139
	v_add_f64 v[56:57], v[2:3], v[62:63]
	v_add_f64 v[58:59], v[0:1], v[60:61]
	s_delay_alu instid0(VALU_DEP_2) | instskip(NEXT) | instid1(VALU_DEP_2)
	v_cvt_f32_f64_e32 v56, v[56:57]
	v_cvt_f32_f64_e32 v58, v[58:59]
	s_delay_alu instid0(VALU_DEP_1) | instskip(SKIP_3) | instid1(VALU_DEP_2)
	v_min3_f32 v138, v58, v56, v138
	s_waitcnt lgkmcnt(13)
	v_add_f64 v[56:57], v[14:15], v[66:67]
	v_add_f64 v[58:59], v[12:13], v[64:65]
	v_cvt_f32_f64_e32 v56, v[56:57]
	s_delay_alu instid0(VALU_DEP_2) | instskip(NEXT) | instid1(VALU_DEP_1)
	v_cvt_f32_f64_e32 v58, v[58:59]
	v_min3_f32 v137, v58, v56, v137
	v_add_f64 v[56:57], v[10:11], v[66:67]
	v_add_f64 v[58:59], v[8:9], v[64:65]
	s_delay_alu instid0(VALU_DEP_2) | instskip(NEXT) | instid1(VALU_DEP_2)
	v_cvt_f32_f64_e32 v56, v[56:57]
	v_cvt_f32_f64_e32 v58, v[58:59]
	s_delay_alu instid0(VALU_DEP_1) | instskip(SKIP_2) | instid1(VALU_DEP_2)
	v_min3_f32 v136, v58, v56, v136
	v_add_f64 v[56:57], v[6:7], v[66:67]
	v_add_f64 v[58:59], v[4:5], v[64:65]
	v_cvt_f32_f64_e32 v56, v[56:57]
	s_delay_alu instid0(VALU_DEP_2) | instskip(NEXT) | instid1(VALU_DEP_1)
	v_cvt_f32_f64_e32 v58, v[58:59]
	v_min3_f32 v135, v58, v56, v135
	v_add_f64 v[56:57], v[2:3], v[66:67]
	v_add_f64 v[58:59], v[0:1], v[64:65]
	s_delay_alu instid0(VALU_DEP_2) | instskip(NEXT) | instid1(VALU_DEP_2)
	v_cvt_f32_f64_e32 v56, v[56:57]
	v_cvt_f32_f64_e32 v58, v[58:59]
	s_delay_alu instid0(VALU_DEP_1) | instskip(SKIP_3) | instid1(VALU_DEP_2)
	v_min3_f32 v134, v58, v56, v134
	s_waitcnt lgkmcnt(12)
	v_add_f64 v[56:57], v[14:15], v[70:71]
	;; [unrolled: 27-line block ×5, first 2 shown]
	v_add_f64 v[58:59], v[12:13], v[52:53]
	v_cvt_f32_f64_e32 v56, v[56:57]
	s_delay_alu instid0(VALU_DEP_2) | instskip(NEXT) | instid1(VALU_DEP_1)
	v_cvt_f32_f64_e32 v58, v[58:59]
	v_min3_f32 v121, v58, v56, v121
	v_add_f64 v[56:57], v[10:11], v[54:55]
	v_add_f64 v[58:59], v[8:9], v[52:53]
	s_delay_alu instid0(VALU_DEP_2) | instskip(NEXT) | instid1(VALU_DEP_2)
	v_cvt_f32_f64_e32 v56, v[56:57]
	v_cvt_f32_f64_e32 v58, v[58:59]
	s_delay_alu instid0(VALU_DEP_1) | instskip(SKIP_4) | instid1(VALU_DEP_4)
	v_min3_f32 v120, v58, v56, v120
	v_add_f64 v[56:57], v[6:7], v[54:55]
	v_add_f64 v[58:59], v[4:5], v[52:53]
	v_add_f64 v[54:55], v[2:3], v[54:55]
	v_add_f64 v[52:53], v[0:1], v[52:53]
	v_cvt_f32_f64_e32 v56, v[56:57]
	s_delay_alu instid0(VALU_DEP_4) | instskip(NEXT) | instid1(VALU_DEP_3)
	v_cvt_f32_f64_e32 v58, v[58:59]
	v_cvt_f32_f64_e32 v52, v[52:53]
	v_cvt_f32_f64_e32 v53, v[54:55]
	s_waitcnt lgkmcnt(8)
	v_add_f64 v[54:55], v[12:13], v[48:49]
	s_delay_alu instid0(VALU_DEP_4) | instskip(NEXT) | instid1(VALU_DEP_3)
	v_min3_f32 v119, v58, v56, v119
	v_min3_f32 v118, v52, v53, v118
	v_add_f64 v[52:53], v[14:15], v[50:51]
	s_delay_alu instid0(VALU_DEP_4) | instskip(NEXT) | instid1(VALU_DEP_2)
	v_cvt_f32_f64_e32 v54, v[54:55]
	v_cvt_f32_f64_e32 v52, v[52:53]
	s_delay_alu instid0(VALU_DEP_1) | instskip(SKIP_2) | instid1(VALU_DEP_2)
	v_min3_f32 v117, v54, v52, v117
	v_add_f64 v[52:53], v[10:11], v[50:51]
	v_add_f64 v[54:55], v[8:9], v[48:49]
	v_cvt_f32_f64_e32 v52, v[52:53]
	s_delay_alu instid0(VALU_DEP_2) | instskip(NEXT) | instid1(VALU_DEP_1)
	v_cvt_f32_f64_e32 v54, v[54:55]
	v_min3_f32 v116, v54, v52, v116
	v_add_f64 v[52:53], v[6:7], v[50:51]
	v_add_f64 v[54:55], v[4:5], v[48:49]
	v_add_f64 v[50:51], v[2:3], v[50:51]
	v_add_f64 v[48:49], v[0:1], v[48:49]
	s_delay_alu instid0(VALU_DEP_4) | instskip(NEXT) | instid1(VALU_DEP_4)
	v_cvt_f32_f64_e32 v52, v[52:53]
	v_cvt_f32_f64_e32 v54, v[54:55]
	s_delay_alu instid0(VALU_DEP_3) | instskip(SKIP_3) | instid1(VALU_DEP_4)
	v_cvt_f32_f64_e32 v48, v[48:49]
	v_cvt_f32_f64_e32 v49, v[50:51]
	s_waitcnt lgkmcnt(7)
	v_add_f64 v[50:51], v[12:13], v[44:45]
	v_min3_f32 v115, v54, v52, v115
	s_delay_alu instid0(VALU_DEP_3) | instskip(SKIP_1) | instid1(VALU_DEP_4)
	v_min3_f32 v114, v48, v49, v114
	v_add_f64 v[48:49], v[14:15], v[46:47]
	v_cvt_f32_f64_e32 v50, v[50:51]
	s_delay_alu instid0(VALU_DEP_2) | instskip(NEXT) | instid1(VALU_DEP_1)
	v_cvt_f32_f64_e32 v48, v[48:49]
	v_min3_f32 v113, v50, v48, v113
	v_add_f64 v[48:49], v[10:11], v[46:47]
	v_add_f64 v[50:51], v[8:9], v[44:45]
	s_delay_alu instid0(VALU_DEP_2) | instskip(NEXT) | instid1(VALU_DEP_2)
	v_cvt_f32_f64_e32 v48, v[48:49]
	v_cvt_f32_f64_e32 v50, v[50:51]
	s_delay_alu instid0(VALU_DEP_1) | instskip(SKIP_4) | instid1(VALU_DEP_4)
	v_min3_f32 v112, v50, v48, v112
	v_add_f64 v[48:49], v[6:7], v[46:47]
	v_add_f64 v[50:51], v[4:5], v[44:45]
	v_add_f64 v[46:47], v[2:3], v[46:47]
	v_add_f64 v[44:45], v[0:1], v[44:45]
	v_cvt_f32_f64_e32 v48, v[48:49]
	s_delay_alu instid0(VALU_DEP_4) | instskip(NEXT) | instid1(VALU_DEP_3)
	v_cvt_f32_f64_e32 v50, v[50:51]
	v_cvt_f32_f64_e32 v44, v[44:45]
	v_cvt_f32_f64_e32 v45, v[46:47]
	s_waitcnt lgkmcnt(6)
	v_add_f64 v[46:47], v[12:13], v[40:41]
	s_delay_alu instid0(VALU_DEP_4) | instskip(NEXT) | instid1(VALU_DEP_3)
	v_min3_f32 v111, v50, v48, v111
	v_min3_f32 v110, v44, v45, v110
	v_add_f64 v[44:45], v[14:15], v[42:43]
	s_delay_alu instid0(VALU_DEP_4) | instskip(NEXT) | instid1(VALU_DEP_2)
	v_cvt_f32_f64_e32 v46, v[46:47]
	v_cvt_f32_f64_e32 v44, v[44:45]
	s_delay_alu instid0(VALU_DEP_1) | instskip(SKIP_2) | instid1(VALU_DEP_2)
	v_min3_f32 v109, v46, v44, v109
	v_add_f64 v[44:45], v[10:11], v[42:43]
	v_add_f64 v[46:47], v[8:9], v[40:41]
	v_cvt_f32_f64_e32 v44, v[44:45]
	s_delay_alu instid0(VALU_DEP_2) | instskip(NEXT) | instid1(VALU_DEP_1)
	v_cvt_f32_f64_e32 v46, v[46:47]
	v_min3_f32 v108, v46, v44, v108
	v_add_f64 v[44:45], v[6:7], v[42:43]
	v_add_f64 v[46:47], v[4:5], v[40:41]
	v_add_f64 v[42:43], v[2:3], v[42:43]
	v_add_f64 v[40:41], v[0:1], v[40:41]
	s_delay_alu instid0(VALU_DEP_4) | instskip(NEXT) | instid1(VALU_DEP_4)
	v_cvt_f32_f64_e32 v44, v[44:45]
	v_cvt_f32_f64_e32 v46, v[46:47]
	s_delay_alu instid0(VALU_DEP_3) | instskip(SKIP_3) | instid1(VALU_DEP_4)
	v_cvt_f32_f64_e32 v40, v[40:41]
	v_cvt_f32_f64_e32 v41, v[42:43]
	s_waitcnt lgkmcnt(5)
	v_add_f64 v[42:43], v[12:13], v[36:37]
	v_min3_f32 v107, v46, v44, v107
	s_delay_alu instid0(VALU_DEP_3) | instskip(SKIP_1) | instid1(VALU_DEP_4)
	v_min3_f32 v106, v40, v41, v106
	;; [unrolled: 53-line block ×3, first 2 shown]
	v_add_f64 v[32:33], v[14:15], v[30:31]
	v_cvt_f32_f64_e32 v34, v[34:35]
	s_delay_alu instid0(VALU_DEP_2) | instskip(NEXT) | instid1(VALU_DEP_1)
	v_cvt_f32_f64_e32 v32, v[32:33]
	v_min3_f32 v97, v34, v32, v97
	v_add_f64 v[32:33], v[10:11], v[30:31]
	v_add_f64 v[34:35], v[8:9], v[28:29]
	s_delay_alu instid0(VALU_DEP_2) | instskip(NEXT) | instid1(VALU_DEP_2)
	v_cvt_f32_f64_e32 v32, v[32:33]
	v_cvt_f32_f64_e32 v34, v[34:35]
	s_delay_alu instid0(VALU_DEP_1) | instskip(SKIP_4) | instid1(VALU_DEP_4)
	v_min3_f32 v96, v34, v32, v96
	v_add_f64 v[32:33], v[6:7], v[30:31]
	v_add_f64 v[34:35], v[4:5], v[28:29]
	;; [unrolled: 1-line block ×4, first 2 shown]
	v_cvt_f32_f64_e32 v32, v[32:33]
	s_delay_alu instid0(VALU_DEP_4) | instskip(NEXT) | instid1(VALU_DEP_3)
	v_cvt_f32_f64_e32 v34, v[34:35]
	v_cvt_f32_f64_e32 v28, v[28:29]
	;; [unrolled: 1-line block ×3, first 2 shown]
	s_waitcnt lgkmcnt(2)
	v_add_f64 v[30:31], v[12:13], v[24:25]
	s_delay_alu instid0(VALU_DEP_4) | instskip(NEXT) | instid1(VALU_DEP_3)
	v_min3_f32 v95, v34, v32, v95
	v_min3_f32 v94, v28, v29, v94
	v_add_f64 v[28:29], v[14:15], v[26:27]
	s_delay_alu instid0(VALU_DEP_4) | instskip(NEXT) | instid1(VALU_DEP_2)
	v_cvt_f32_f64_e32 v30, v[30:31]
	v_cvt_f32_f64_e32 v28, v[28:29]
	s_delay_alu instid0(VALU_DEP_1) | instskip(SKIP_2) | instid1(VALU_DEP_2)
	v_min3_f32 v93, v30, v28, v93
	v_add_f64 v[28:29], v[10:11], v[26:27]
	v_add_f64 v[30:31], v[8:9], v[24:25]
	v_cvt_f32_f64_e32 v28, v[28:29]
	s_delay_alu instid0(VALU_DEP_2) | instskip(NEXT) | instid1(VALU_DEP_1)
	v_cvt_f32_f64_e32 v30, v[30:31]
	v_min3_f32 v92, v30, v28, v92
	v_add_f64 v[28:29], v[6:7], v[26:27]
	v_add_f64 v[30:31], v[4:5], v[24:25]
	;; [unrolled: 1-line block ×4, first 2 shown]
	s_delay_alu instid0(VALU_DEP_4) | instskip(NEXT) | instid1(VALU_DEP_4)
	v_cvt_f32_f64_e32 v28, v[28:29]
	v_cvt_f32_f64_e32 v30, v[30:31]
	s_delay_alu instid0(VALU_DEP_3)
	v_cvt_f32_f64_e32 v24, v[24:25]
	v_cvt_f32_f64_e32 v25, v[26:27]
	s_waitcnt lgkmcnt(1)
	v_add_f64 v[26:27], v[12:13], v[20:21]
	s_waitcnt lgkmcnt(0)
	v_add_f64 v[12:13], v[12:13], v[16:17]
	v_min3_f32 v91, v30, v28, v91
	s_delay_alu instid0(VALU_DEP_4) | instskip(SKIP_4) | instid1(VALU_DEP_4)
	v_min3_f32 v90, v24, v25, v90
	v_add_f64 v[24:25], v[14:15], v[22:23]
	v_cvt_f32_f64_e32 v26, v[26:27]
	v_add_f64 v[14:15], v[14:15], v[18:19]
	v_cvt_f32_f64_e32 v12, v[12:13]
	v_cvt_f32_f64_e32 v24, v[24:25]
	s_delay_alu instid0(VALU_DEP_3) | instskip(NEXT) | instid1(VALU_DEP_2)
	v_cvt_f32_f64_e32 v13, v[14:15]
	v_min3_f32 v89, v26, v24, v89
	v_add_f64 v[24:25], v[10:11], v[22:23]
	v_add_f64 v[26:27], v[8:9], v[20:21]
	v_add_f64 v[10:11], v[10:11], v[18:19]
	v_add_f64 v[8:9], v[8:9], v[16:17]
	v_min3_f32 v85, v12, v13, v85
	v_cvt_f32_f64_e32 v24, v[24:25]
	v_cvt_f32_f64_e32 v26, v[26:27]
	s_delay_alu instid0(VALU_DEP_4) | instskip(SKIP_1) | instid1(VALU_DEP_3)
	v_cvt_f32_f64_e32 v8, v[8:9]
	v_cvt_f32_f64_e32 v9, v[10:11]
	v_min3_f32 v88, v26, v24, v88
	v_add_f64 v[24:25], v[6:7], v[22:23]
	v_add_f64 v[26:27], v[4:5], v[20:21]
	;; [unrolled: 1-line block ×8, first 2 shown]
	v_min3_f32 v84, v8, v9, v84
	v_cvt_f32_f64_e32 v24, v[24:25]
	v_cvt_f32_f64_e32 v26, v[26:27]
	;; [unrolled: 1-line block ×8, first 2 shown]
	v_min3_f32 v87, v26, v24, v87
	v_min3_f32 v86, v20, v21, v86
	;; [unrolled: 1-line block ×3, first 2 shown]
	s_delay_alu instid0(VALU_DEP_4)
	v_min3_f32 v82, v0, v1, v82
	s_cbranch_vccz .LBB163_18
; %bb.19:
	s_clause 0x2
	s_load_b64 s[16:17], s[0:1], 0x78
	s_load_b32 s13, s[0:1], 0x70
	s_load_b32 s12, s[0:1], 0x58
	v_add_nc_u32_e32 v10, s8, v144
	v_add_nc_u32_e32 v4, s9, v143
	s_delay_alu instid0(VALU_DEP_1) | instskip(SKIP_1) | instid1(VALU_DEP_1)
	v_ashrrev_i32_e32 v5, 31, v4
	v_add_nc_u32_e32 v2, 32, v4
	v_ashrrev_i32_e32 v3, 31, v2
	s_waitcnt lgkmcnt(0)
	s_mul_i32 s0, s15, s17
	v_mad_i64_i32 v[0:1], null, v10, s13, 0
	v_mad_i64_i32 v[6:7], null, v10, s12, 0
	s_mul_hi_u32 s1, s15, s16
	s_mul_i32 s3, s3, s16
	s_add_i32 s1, s1, s0
	s_mul_i32 s0, s15, s16
	s_add_i32 s1, s1, s3
	s_delay_alu instid0(VALU_DEP_2)
	v_lshlrev_b64 v[8:9], 3, v[0:1]
	s_lshl_b64 s[0:1], s[0:1], 3
	v_lshlrev_b64 v[0:1], 3, v[4:5]
	v_lshlrev_b64 v[5:6], 3, v[6:7]
	s_add_u32 s3, s10, s0
	s_addc_u32 s8, s11, s1
	v_add_co_u32 v11, vcc_lo, s3, v8
	v_add_co_ci_u32_e32 v12, vcc_lo, s8, v9, vcc_lo
	s_delay_alu instid0(VALU_DEP_3)
	v_add_co_u32 v8, vcc_lo, s4, v5
	v_max_f32_e32 v5, v147, v147
	v_add_co_ci_u32_e32 v9, vcc_lo, s5, v6, vcc_lo
	s_mov_b32 vcc_lo, s2
	s_cbranch_vccz .LBB163_22
; %bb.20:
	s_delay_alu instid0(VALU_DEP_2) | instskip(SKIP_2) | instid1(VALU_DEP_3)
	v_min_f32_e32 v6, 0, v5
	v_add_co_u32 v13, vcc_lo, v11, v0
	v_add_co_ci_u32_e32 v14, vcc_lo, v12, v1, vcc_lo
	v_cvt_f64_f32_e32 v[6:7], v6
	s_mov_b64 s[0:1], 0
	global_store_b64 v[13:14], v[6:7], off
	v_lshlrev_b64 v[2:3], 3, v[2:3]
	s_cbranch_execz .LBB163_23
; %bb.21:
	v_dual_mov_b32 v6, s1 :: v_dual_mov_b32 v5, s0
	s_branch .LBB163_24
.LBB163_22:
                                        ; implicit-def: $sgpr0_sgpr1
	v_lshlrev_b64 v[2:3], 3, v[2:3]
.LBB163_23:
	v_add_co_u32 v6, vcc_lo, v8, v0
	v_add_co_ci_u32_e32 v7, vcc_lo, v9, v1, vcc_lo
	v_add_co_u32 v13, vcc_lo, v11, v0
	v_add_co_ci_u32_e32 v14, vcc_lo, v12, v1, vcc_lo
	flat_load_b64 v[6:7], v[6:7]
	v_add_co_u32 v15, vcc_lo, v8, v2
	v_add_co_ci_u32_e32 v16, vcc_lo, v9, v3, vcc_lo
	s_waitcnt vmcnt(0) lgkmcnt(0)
	v_mul_f64 v[6:7], v[6:7], s[6:7]
	s_delay_alu instid0(VALU_DEP_1) | instskip(NEXT) | instid1(VALU_DEP_1)
	v_cvt_f32_f64_e32 v6, v[6:7]
	v_min_f32_e32 v5, v6, v5
	s_delay_alu instid0(VALU_DEP_1)
	v_cvt_f64_f32_e32 v[5:6], v5
	global_store_b64 v[13:14], v[5:6], off
	flat_load_b64 v[5:6], v[15:16]
	s_waitcnt vmcnt(0) lgkmcnt(0)
	v_mul_f64 v[5:6], v[5:6], s[6:7]
.LBB163_24:
	s_delay_alu instid0(VALU_DEP_1)
	v_cvt_f32_f64_e32 v5, v[5:6]
	v_dual_max_f32 v6, v146, v146 :: v_dual_max_f32 v13, v145, v145
	v_add_co_u32 v18, vcc_lo, v11, v2
	v_add_co_ci_u32_e32 v19, vcc_lo, v12, v3, vcc_lo
	s_mov_b32 vcc_lo, s2
	v_add_nc_u32_e32 v16, 64, v4
	s_delay_alu instid0(VALU_DEP_1) | instskip(SKIP_1) | instid1(VALU_DEP_1)
	v_ashrrev_i32_e32 v17, 31, v16
	v_dual_min_f32 v5, v5, v6 :: v_dual_add_nc_u32 v6, 0x60, v4
	v_cvt_f64_f32_e32 v[14:15], v5
	s_delay_alu instid0(VALU_DEP_2) | instskip(NEXT) | instid1(VALU_DEP_4)
	v_ashrrev_i32_e32 v7, 31, v6
	v_lshlrev_b64 v[4:5], 3, v[16:17]
	global_store_b64 v[18:19], v[14:15], off
	s_cbranch_vccz .LBB163_27
; %bb.25:
	v_min_f32_e32 v14, 0, v13
	v_add_co_u32 v16, vcc_lo, v11, v4
	v_add_co_ci_u32_e32 v17, vcc_lo, v12, v5, vcc_lo
	s_delay_alu instid0(VALU_DEP_3)
	v_cvt_f64_f32_e32 v[14:15], v14
	s_mov_b64 s[0:1], 0
	global_store_b64 v[16:17], v[14:15], off
	v_lshlrev_b64 v[6:7], 3, v[6:7]
	s_cbranch_execz .LBB163_28
; %bb.26:
	v_dual_mov_b32 v9, s1 :: v_dual_mov_b32 v8, s0
	s_branch .LBB163_29
.LBB163_27:
                                        ; implicit-def: $sgpr0_sgpr1
	v_lshlrev_b64 v[6:7], 3, v[6:7]
.LBB163_28:
	v_add_co_u32 v14, vcc_lo, v8, v4
	v_add_co_ci_u32_e32 v15, vcc_lo, v9, v5, vcc_lo
	flat_load_b64 v[14:15], v[14:15]
	s_waitcnt vmcnt(0) lgkmcnt(0)
	v_mul_f64 v[14:15], v[14:15], s[6:7]
	s_delay_alu instid0(VALU_DEP_1)
	v_cvt_f32_f64_e32 v14, v[14:15]
	v_add_co_u32 v15, vcc_lo, v11, v4
	v_add_co_ci_u32_e32 v16, vcc_lo, v12, v5, vcc_lo
	v_add_co_u32 v8, vcc_lo, v8, v6
	v_add_co_ci_u32_e32 v9, vcc_lo, v9, v7, vcc_lo
	v_min_f32_e32 v13, v14, v13
	s_delay_alu instid0(VALU_DEP_1)
	v_cvt_f64_f32_e32 v[13:14], v13
	global_store_b64 v[15:16], v[13:14], off
	flat_load_b64 v[8:9], v[8:9]
	s_waitcnt vmcnt(0) lgkmcnt(0)
	v_mul_f64 v[8:9], v[8:9], s[6:7]
.LBB163_29:
	s_delay_alu instid0(VALU_DEP_1) | instskip(SKIP_4) | instid1(VALU_DEP_1)
	v_cvt_f32_f64_e32 v8, v[8:9]
	v_max_f32_e32 v9, v142, v142
	v_add_co_u32 v19, vcc_lo, v11, v6
	v_add_co_ci_u32_e32 v20, vcc_lo, v12, v7, vcc_lo
	v_add_nc_u32_e32 v17, 8, v10
	v_mad_i64_i32 v[13:14], null, v17, s12, 0
	s_delay_alu instid0(VALU_DEP_1) | instskip(SKIP_1) | instid1(VALU_DEP_1)
	v_lshlrev_b64 v[13:14], 3, v[13:14]
	v_min_f32_e32 v8, v8, v9
	v_cvt_f64_f32_e32 v[15:16], v8
	v_mad_i64_i32 v[8:9], null, v17, s13, 0
	s_delay_alu instid0(VALU_DEP_1) | instskip(SKIP_1) | instid1(VALU_DEP_2)
	v_lshlrev_b64 v[17:18], 3, v[8:9]
	v_max_f32_e32 v8, v141, v141
	v_add_co_u32 v11, vcc_lo, s3, v17
	s_delay_alu instid0(VALU_DEP_3)
	v_add_co_ci_u32_e32 v12, vcc_lo, s8, v18, vcc_lo
	v_add_co_u32 v13, vcc_lo, s4, v13
	v_add_co_ci_u32_e32 v14, vcc_lo, s5, v14, vcc_lo
	s_mov_b32 vcc_lo, s2
	global_store_b64 v[19:20], v[15:16], off
	s_cbranch_vccz .LBB163_32
; %bb.30:
	v_min_f32_e32 v9, 0, v8
	v_add_co_u32 v17, vcc_lo, v11, v0
	v_add_co_ci_u32_e32 v18, vcc_lo, v12, v1, vcc_lo
	s_delay_alu instid0(VALU_DEP_3)
	v_cvt_f64_f32_e32 v[15:16], v9
	s_mov_b64 s[0:1], 0
	global_store_b64 v[17:18], v[15:16], off
	s_cbranch_execz .LBB163_33
; %bb.31:
	v_dual_mov_b32 v9, s1 :: v_dual_mov_b32 v8, s0
	s_branch .LBB163_34
.LBB163_32:
                                        ; implicit-def: $sgpr0_sgpr1
.LBB163_33:
	v_add_co_u32 v15, vcc_lo, v13, v0
	v_add_co_ci_u32_e32 v16, vcc_lo, v14, v1, vcc_lo
	flat_load_b64 v[15:16], v[15:16]
	s_waitcnt vmcnt(0) lgkmcnt(0)
	v_mul_f64 v[15:16], v[15:16], s[6:7]
	s_delay_alu instid0(VALU_DEP_1)
	v_cvt_f32_f64_e32 v9, v[15:16]
	v_add_co_u32 v15, vcc_lo, v11, v0
	v_add_co_ci_u32_e32 v16, vcc_lo, v12, v1, vcc_lo
	v_add_co_u32 v17, vcc_lo, v13, v2
	v_add_co_ci_u32_e32 v18, vcc_lo, v14, v3, vcc_lo
	v_min_f32_e32 v8, v9, v8
	s_delay_alu instid0(VALU_DEP_1)
	v_cvt_f64_f32_e32 v[8:9], v8
	global_store_b64 v[15:16], v[8:9], off
	flat_load_b64 v[8:9], v[17:18]
	s_waitcnt vmcnt(0) lgkmcnt(0)
	v_mul_f64 v[8:9], v[8:9], s[6:7]
.LBB163_34:
	s_delay_alu instid0(VALU_DEP_1) | instskip(SKIP_4) | instid1(VALU_DEP_3)
	v_cvt_f32_f64_e32 v8, v[8:9]
	v_max_f32_e32 v9, v140, v140
	v_add_co_u32 v17, vcc_lo, v11, v2
	v_add_co_ci_u32_e32 v18, vcc_lo, v12, v3, vcc_lo
	s_mov_b32 vcc_lo, s2
	v_min_f32_e32 v8, v8, v9
	s_delay_alu instid0(VALU_DEP_1)
	v_cvt_f64_f32_e32 v[15:16], v8
	v_max_f32_e32 v8, v139, v139
	global_store_b64 v[17:18], v[15:16], off
	s_cbranch_vccz .LBB163_37
; %bb.35:
	v_min_f32_e32 v9, 0, v8
	v_add_co_u32 v17, vcc_lo, v11, v4
	v_add_co_ci_u32_e32 v18, vcc_lo, v12, v5, vcc_lo
	s_delay_alu instid0(VALU_DEP_3)
	v_cvt_f64_f32_e32 v[15:16], v9
	s_mov_b64 s[0:1], 0
	global_store_b64 v[17:18], v[15:16], off
	s_cbranch_execz .LBB163_38
; %bb.36:
	v_dual_mov_b32 v9, s1 :: v_dual_mov_b32 v8, s0
	s_branch .LBB163_39
.LBB163_37:
                                        ; implicit-def: $sgpr0_sgpr1
.LBB163_38:
	v_add_co_u32 v15, vcc_lo, v13, v4
	v_add_co_ci_u32_e32 v16, vcc_lo, v14, v5, vcc_lo
	flat_load_b64 v[15:16], v[15:16]
	s_waitcnt vmcnt(0) lgkmcnt(0)
	v_mul_f64 v[15:16], v[15:16], s[6:7]
	s_delay_alu instid0(VALU_DEP_1)
	v_cvt_f32_f64_e32 v9, v[15:16]
	v_add_co_u32 v15, vcc_lo, v11, v4
	v_add_co_ci_u32_e32 v16, vcc_lo, v12, v5, vcc_lo
	v_add_co_u32 v13, vcc_lo, v13, v6
	v_add_co_ci_u32_e32 v14, vcc_lo, v14, v7, vcc_lo
	v_min_f32_e32 v8, v9, v8
	s_delay_alu instid0(VALU_DEP_1)
	v_cvt_f64_f32_e32 v[8:9], v8
	global_store_b64 v[15:16], v[8:9], off
	flat_load_b64 v[8:9], v[13:14]
	s_waitcnt vmcnt(0) lgkmcnt(0)
	v_mul_f64 v[8:9], v[8:9], s[6:7]
.LBB163_39:
	s_delay_alu instid0(VALU_DEP_1) | instskip(SKIP_4) | instid1(VALU_DEP_1)
	v_cvt_f32_f64_e32 v8, v[8:9]
	v_max_f32_e32 v9, v138, v138
	v_add_co_u32 v19, vcc_lo, v11, v6
	v_add_co_ci_u32_e32 v20, vcc_lo, v12, v7, vcc_lo
	v_add_nc_u32_e32 v17, 16, v10
	v_mad_i64_i32 v[13:14], null, v17, s12, 0
	s_delay_alu instid0(VALU_DEP_1) | instskip(SKIP_1) | instid1(VALU_DEP_1)
	v_lshlrev_b64 v[13:14], 3, v[13:14]
	v_min_f32_e32 v8, v8, v9
	v_cvt_f64_f32_e32 v[15:16], v8
	v_mad_i64_i32 v[8:9], null, v17, s13, 0
	s_delay_alu instid0(VALU_DEP_1) | instskip(SKIP_1) | instid1(VALU_DEP_2)
	v_lshlrev_b64 v[17:18], 3, v[8:9]
	v_max_f32_e32 v8, v137, v137
	v_add_co_u32 v11, vcc_lo, s3, v17
	s_delay_alu instid0(VALU_DEP_3)
	v_add_co_ci_u32_e32 v12, vcc_lo, s8, v18, vcc_lo
	v_add_co_u32 v13, vcc_lo, s4, v13
	v_add_co_ci_u32_e32 v14, vcc_lo, s5, v14, vcc_lo
	s_mov_b32 vcc_lo, s2
	global_store_b64 v[19:20], v[15:16], off
	s_cbranch_vccz .LBB163_42
; %bb.40:
	v_min_f32_e32 v9, 0, v8
	v_add_co_u32 v17, vcc_lo, v11, v0
	v_add_co_ci_u32_e32 v18, vcc_lo, v12, v1, vcc_lo
	s_delay_alu instid0(VALU_DEP_3)
	v_cvt_f64_f32_e32 v[15:16], v9
	s_mov_b64 s[0:1], 0
	global_store_b64 v[17:18], v[15:16], off
	s_cbranch_execz .LBB163_43
; %bb.41:
	v_dual_mov_b32 v9, s1 :: v_dual_mov_b32 v8, s0
	s_branch .LBB163_44
.LBB163_42:
                                        ; implicit-def: $sgpr0_sgpr1
.LBB163_43:
	v_add_co_u32 v15, vcc_lo, v13, v0
	v_add_co_ci_u32_e32 v16, vcc_lo, v14, v1, vcc_lo
	flat_load_b64 v[15:16], v[15:16]
	s_waitcnt vmcnt(0) lgkmcnt(0)
	v_mul_f64 v[15:16], v[15:16], s[6:7]
	s_delay_alu instid0(VALU_DEP_1)
	v_cvt_f32_f64_e32 v9, v[15:16]
	v_add_co_u32 v15, vcc_lo, v11, v0
	v_add_co_ci_u32_e32 v16, vcc_lo, v12, v1, vcc_lo
	v_add_co_u32 v17, vcc_lo, v13, v2
	v_add_co_ci_u32_e32 v18, vcc_lo, v14, v3, vcc_lo
	v_min_f32_e32 v8, v9, v8
	s_delay_alu instid0(VALU_DEP_1)
	v_cvt_f64_f32_e32 v[8:9], v8
	global_store_b64 v[15:16], v[8:9], off
	flat_load_b64 v[8:9], v[17:18]
	s_waitcnt vmcnt(0) lgkmcnt(0)
	v_mul_f64 v[8:9], v[8:9], s[6:7]
.LBB163_44:
	s_delay_alu instid0(VALU_DEP_1) | instskip(SKIP_4) | instid1(VALU_DEP_3)
	v_cvt_f32_f64_e32 v8, v[8:9]
	v_max_f32_e32 v9, v136, v136
	v_add_co_u32 v17, vcc_lo, v11, v2
	v_add_co_ci_u32_e32 v18, vcc_lo, v12, v3, vcc_lo
	s_mov_b32 vcc_lo, s2
	v_min_f32_e32 v8, v8, v9
	s_delay_alu instid0(VALU_DEP_1)
	v_cvt_f64_f32_e32 v[15:16], v8
	v_max_f32_e32 v8, v135, v135
	global_store_b64 v[17:18], v[15:16], off
	s_cbranch_vccz .LBB163_47
; %bb.45:
	v_min_f32_e32 v9, 0, v8
	v_add_co_u32 v17, vcc_lo, v11, v4
	v_add_co_ci_u32_e32 v18, vcc_lo, v12, v5, vcc_lo
	s_delay_alu instid0(VALU_DEP_3)
	v_cvt_f64_f32_e32 v[15:16], v9
	s_mov_b64 s[0:1], 0
	global_store_b64 v[17:18], v[15:16], off
	s_cbranch_execz .LBB163_48
; %bb.46:
	v_dual_mov_b32 v9, s1 :: v_dual_mov_b32 v8, s0
	s_branch .LBB163_49
.LBB163_47:
                                        ; implicit-def: $sgpr0_sgpr1
.LBB163_48:
	v_add_co_u32 v15, vcc_lo, v13, v4
	v_add_co_ci_u32_e32 v16, vcc_lo, v14, v5, vcc_lo
	flat_load_b64 v[15:16], v[15:16]
	s_waitcnt vmcnt(0) lgkmcnt(0)
	v_mul_f64 v[15:16], v[15:16], s[6:7]
	s_delay_alu instid0(VALU_DEP_1)
	v_cvt_f32_f64_e32 v9, v[15:16]
	v_add_co_u32 v15, vcc_lo, v11, v4
	v_add_co_ci_u32_e32 v16, vcc_lo, v12, v5, vcc_lo
	v_add_co_u32 v13, vcc_lo, v13, v6
	v_add_co_ci_u32_e32 v14, vcc_lo, v14, v7, vcc_lo
	v_min_f32_e32 v8, v9, v8
	s_delay_alu instid0(VALU_DEP_1)
	v_cvt_f64_f32_e32 v[8:9], v8
	global_store_b64 v[15:16], v[8:9], off
	flat_load_b64 v[8:9], v[13:14]
	s_waitcnt vmcnt(0) lgkmcnt(0)
	v_mul_f64 v[8:9], v[8:9], s[6:7]
.LBB163_49:
	s_delay_alu instid0(VALU_DEP_1) | instskip(SKIP_4) | instid1(VALU_DEP_1)
	v_cvt_f32_f64_e32 v8, v[8:9]
	v_max_f32_e32 v9, v134, v134
	v_add_co_u32 v19, vcc_lo, v11, v6
	v_add_co_ci_u32_e32 v20, vcc_lo, v12, v7, vcc_lo
	v_add_nc_u32_e32 v17, 24, v10
	v_mad_i64_i32 v[13:14], null, v17, s12, 0
	s_delay_alu instid0(VALU_DEP_1) | instskip(SKIP_1) | instid1(VALU_DEP_1)
	v_lshlrev_b64 v[13:14], 3, v[13:14]
	v_min_f32_e32 v8, v8, v9
	v_cvt_f64_f32_e32 v[15:16], v8
	v_mad_i64_i32 v[8:9], null, v17, s13, 0
	s_delay_alu instid0(VALU_DEP_1) | instskip(SKIP_1) | instid1(VALU_DEP_2)
	v_lshlrev_b64 v[17:18], 3, v[8:9]
	v_max_f32_e32 v8, v133, v133
	v_add_co_u32 v11, vcc_lo, s3, v17
	s_delay_alu instid0(VALU_DEP_3)
	v_add_co_ci_u32_e32 v12, vcc_lo, s8, v18, vcc_lo
	v_add_co_u32 v13, vcc_lo, s4, v13
	v_add_co_ci_u32_e32 v14, vcc_lo, s5, v14, vcc_lo
	s_mov_b32 vcc_lo, s2
	global_store_b64 v[19:20], v[15:16], off
	s_cbranch_vccz .LBB163_52
; %bb.50:
	v_min_f32_e32 v9, 0, v8
	v_add_co_u32 v17, vcc_lo, v11, v0
	v_add_co_ci_u32_e32 v18, vcc_lo, v12, v1, vcc_lo
	s_delay_alu instid0(VALU_DEP_3)
	v_cvt_f64_f32_e32 v[15:16], v9
	s_mov_b64 s[0:1], 0
	global_store_b64 v[17:18], v[15:16], off
	s_cbranch_execz .LBB163_53
; %bb.51:
	v_dual_mov_b32 v9, s1 :: v_dual_mov_b32 v8, s0
	s_branch .LBB163_54
.LBB163_52:
                                        ; implicit-def: $sgpr0_sgpr1
.LBB163_53:
	v_add_co_u32 v15, vcc_lo, v13, v0
	v_add_co_ci_u32_e32 v16, vcc_lo, v14, v1, vcc_lo
	flat_load_b64 v[15:16], v[15:16]
	s_waitcnt vmcnt(0) lgkmcnt(0)
	v_mul_f64 v[15:16], v[15:16], s[6:7]
	s_delay_alu instid0(VALU_DEP_1)
	v_cvt_f32_f64_e32 v9, v[15:16]
	v_add_co_u32 v15, vcc_lo, v11, v0
	v_add_co_ci_u32_e32 v16, vcc_lo, v12, v1, vcc_lo
	v_add_co_u32 v17, vcc_lo, v13, v2
	v_add_co_ci_u32_e32 v18, vcc_lo, v14, v3, vcc_lo
	v_min_f32_e32 v8, v9, v8
	s_delay_alu instid0(VALU_DEP_1)
	v_cvt_f64_f32_e32 v[8:9], v8
	global_store_b64 v[15:16], v[8:9], off
	flat_load_b64 v[8:9], v[17:18]
	s_waitcnt vmcnt(0) lgkmcnt(0)
	v_mul_f64 v[8:9], v[8:9], s[6:7]
.LBB163_54:
	s_delay_alu instid0(VALU_DEP_1) | instskip(SKIP_4) | instid1(VALU_DEP_3)
	v_cvt_f32_f64_e32 v8, v[8:9]
	v_max_f32_e32 v9, v132, v132
	v_add_co_u32 v17, vcc_lo, v11, v2
	v_add_co_ci_u32_e32 v18, vcc_lo, v12, v3, vcc_lo
	s_mov_b32 vcc_lo, s2
	v_min_f32_e32 v8, v8, v9
	s_delay_alu instid0(VALU_DEP_1)
	v_cvt_f64_f32_e32 v[15:16], v8
	v_max_f32_e32 v8, v131, v131
	global_store_b64 v[17:18], v[15:16], off
	s_cbranch_vccz .LBB163_57
; %bb.55:
	v_min_f32_e32 v9, 0, v8
	v_add_co_u32 v17, vcc_lo, v11, v4
	v_add_co_ci_u32_e32 v18, vcc_lo, v12, v5, vcc_lo
	s_delay_alu instid0(VALU_DEP_3)
	v_cvt_f64_f32_e32 v[15:16], v9
	s_mov_b64 s[0:1], 0
	global_store_b64 v[17:18], v[15:16], off
	s_cbranch_execz .LBB163_58
; %bb.56:
	v_dual_mov_b32 v9, s1 :: v_dual_mov_b32 v8, s0
	s_branch .LBB163_59
.LBB163_57:
                                        ; implicit-def: $sgpr0_sgpr1
.LBB163_58:
	v_add_co_u32 v15, vcc_lo, v13, v4
	v_add_co_ci_u32_e32 v16, vcc_lo, v14, v5, vcc_lo
	flat_load_b64 v[15:16], v[15:16]
	s_waitcnt vmcnt(0) lgkmcnt(0)
	v_mul_f64 v[15:16], v[15:16], s[6:7]
	s_delay_alu instid0(VALU_DEP_1)
	v_cvt_f32_f64_e32 v9, v[15:16]
	v_add_co_u32 v15, vcc_lo, v11, v4
	v_add_co_ci_u32_e32 v16, vcc_lo, v12, v5, vcc_lo
	v_add_co_u32 v13, vcc_lo, v13, v6
	v_add_co_ci_u32_e32 v14, vcc_lo, v14, v7, vcc_lo
	v_min_f32_e32 v8, v9, v8
	s_delay_alu instid0(VALU_DEP_1)
	v_cvt_f64_f32_e32 v[8:9], v8
	global_store_b64 v[15:16], v[8:9], off
	flat_load_b64 v[8:9], v[13:14]
	s_waitcnt vmcnt(0) lgkmcnt(0)
	v_mul_f64 v[8:9], v[8:9], s[6:7]
.LBB163_59:
	s_delay_alu instid0(VALU_DEP_1) | instskip(SKIP_4) | instid1(VALU_DEP_1)
	v_cvt_f32_f64_e32 v8, v[8:9]
	v_max_f32_e32 v9, v130, v130
	v_add_co_u32 v19, vcc_lo, v11, v6
	v_add_co_ci_u32_e32 v20, vcc_lo, v12, v7, vcc_lo
	v_add_nc_u32_e32 v17, 32, v10
	v_mad_i64_i32 v[13:14], null, v17, s12, 0
	s_delay_alu instid0(VALU_DEP_1) | instskip(SKIP_1) | instid1(VALU_DEP_1)
	v_lshlrev_b64 v[13:14], 3, v[13:14]
	v_min_f32_e32 v8, v8, v9
	v_cvt_f64_f32_e32 v[15:16], v8
	v_mad_i64_i32 v[8:9], null, v17, s13, 0
	s_delay_alu instid0(VALU_DEP_1) | instskip(SKIP_1) | instid1(VALU_DEP_2)
	v_lshlrev_b64 v[17:18], 3, v[8:9]
	v_max_f32_e32 v8, v129, v129
	v_add_co_u32 v11, vcc_lo, s3, v17
	s_delay_alu instid0(VALU_DEP_3)
	v_add_co_ci_u32_e32 v12, vcc_lo, s8, v18, vcc_lo
	v_add_co_u32 v13, vcc_lo, s4, v13
	v_add_co_ci_u32_e32 v14, vcc_lo, s5, v14, vcc_lo
	s_mov_b32 vcc_lo, s2
	global_store_b64 v[19:20], v[15:16], off
	s_cbranch_vccz .LBB163_62
; %bb.60:
	v_min_f32_e32 v9, 0, v8
	v_add_co_u32 v17, vcc_lo, v11, v0
	v_add_co_ci_u32_e32 v18, vcc_lo, v12, v1, vcc_lo
	s_delay_alu instid0(VALU_DEP_3)
	v_cvt_f64_f32_e32 v[15:16], v9
	s_mov_b64 s[0:1], 0
	global_store_b64 v[17:18], v[15:16], off
	s_cbranch_execz .LBB163_63
; %bb.61:
	v_dual_mov_b32 v9, s1 :: v_dual_mov_b32 v8, s0
	s_branch .LBB163_64
.LBB163_62:
                                        ; implicit-def: $sgpr0_sgpr1
.LBB163_63:
	v_add_co_u32 v15, vcc_lo, v13, v0
	v_add_co_ci_u32_e32 v16, vcc_lo, v14, v1, vcc_lo
	flat_load_b64 v[15:16], v[15:16]
	s_waitcnt vmcnt(0) lgkmcnt(0)
	v_mul_f64 v[15:16], v[15:16], s[6:7]
	s_delay_alu instid0(VALU_DEP_1)
	v_cvt_f32_f64_e32 v9, v[15:16]
	v_add_co_u32 v15, vcc_lo, v11, v0
	v_add_co_ci_u32_e32 v16, vcc_lo, v12, v1, vcc_lo
	v_add_co_u32 v17, vcc_lo, v13, v2
	v_add_co_ci_u32_e32 v18, vcc_lo, v14, v3, vcc_lo
	v_min_f32_e32 v8, v9, v8
	s_delay_alu instid0(VALU_DEP_1)
	v_cvt_f64_f32_e32 v[8:9], v8
	global_store_b64 v[15:16], v[8:9], off
	flat_load_b64 v[8:9], v[17:18]
	s_waitcnt vmcnt(0) lgkmcnt(0)
	v_mul_f64 v[8:9], v[8:9], s[6:7]
.LBB163_64:
	s_delay_alu instid0(VALU_DEP_1) | instskip(SKIP_4) | instid1(VALU_DEP_3)
	v_cvt_f32_f64_e32 v8, v[8:9]
	v_max_f32_e32 v9, v128, v128
	v_add_co_u32 v17, vcc_lo, v11, v2
	v_add_co_ci_u32_e32 v18, vcc_lo, v12, v3, vcc_lo
	s_mov_b32 vcc_lo, s2
	v_min_f32_e32 v8, v8, v9
	s_delay_alu instid0(VALU_DEP_1)
	v_cvt_f64_f32_e32 v[15:16], v8
	v_max_f32_e32 v8, v127, v127
	global_store_b64 v[17:18], v[15:16], off
	s_cbranch_vccz .LBB163_67
; %bb.65:
	v_min_f32_e32 v9, 0, v8
	v_add_co_u32 v17, vcc_lo, v11, v4
	v_add_co_ci_u32_e32 v18, vcc_lo, v12, v5, vcc_lo
	s_delay_alu instid0(VALU_DEP_3)
	v_cvt_f64_f32_e32 v[15:16], v9
	s_mov_b64 s[0:1], 0
	global_store_b64 v[17:18], v[15:16], off
	s_cbranch_execz .LBB163_68
; %bb.66:
	v_dual_mov_b32 v9, s1 :: v_dual_mov_b32 v8, s0
	s_branch .LBB163_69
.LBB163_67:
                                        ; implicit-def: $sgpr0_sgpr1
.LBB163_68:
	v_add_co_u32 v15, vcc_lo, v13, v4
	v_add_co_ci_u32_e32 v16, vcc_lo, v14, v5, vcc_lo
	flat_load_b64 v[15:16], v[15:16]
	s_waitcnt vmcnt(0) lgkmcnt(0)
	v_mul_f64 v[15:16], v[15:16], s[6:7]
	s_delay_alu instid0(VALU_DEP_1)
	v_cvt_f32_f64_e32 v9, v[15:16]
	v_add_co_u32 v15, vcc_lo, v11, v4
	v_add_co_ci_u32_e32 v16, vcc_lo, v12, v5, vcc_lo
	v_add_co_u32 v13, vcc_lo, v13, v6
	v_add_co_ci_u32_e32 v14, vcc_lo, v14, v7, vcc_lo
	v_min_f32_e32 v8, v9, v8
	s_delay_alu instid0(VALU_DEP_1)
	v_cvt_f64_f32_e32 v[8:9], v8
	global_store_b64 v[15:16], v[8:9], off
	flat_load_b64 v[8:9], v[13:14]
	s_waitcnt vmcnt(0) lgkmcnt(0)
	v_mul_f64 v[8:9], v[8:9], s[6:7]
.LBB163_69:
	s_delay_alu instid0(VALU_DEP_1) | instskip(SKIP_4) | instid1(VALU_DEP_1)
	v_cvt_f32_f64_e32 v8, v[8:9]
	v_max_f32_e32 v9, v126, v126
	v_add_co_u32 v19, vcc_lo, v11, v6
	v_add_co_ci_u32_e32 v20, vcc_lo, v12, v7, vcc_lo
	v_add_nc_u32_e32 v17, 40, v10
	v_mad_i64_i32 v[13:14], null, v17, s12, 0
	s_delay_alu instid0(VALU_DEP_1) | instskip(SKIP_1) | instid1(VALU_DEP_1)
	v_lshlrev_b64 v[13:14], 3, v[13:14]
	v_min_f32_e32 v8, v8, v9
	v_cvt_f64_f32_e32 v[15:16], v8
	v_mad_i64_i32 v[8:9], null, v17, s13, 0
	s_delay_alu instid0(VALU_DEP_1) | instskip(SKIP_1) | instid1(VALU_DEP_2)
	v_lshlrev_b64 v[17:18], 3, v[8:9]
	v_max_f32_e32 v8, v125, v125
	v_add_co_u32 v11, vcc_lo, s3, v17
	s_delay_alu instid0(VALU_DEP_3)
	v_add_co_ci_u32_e32 v12, vcc_lo, s8, v18, vcc_lo
	v_add_co_u32 v13, vcc_lo, s4, v13
	v_add_co_ci_u32_e32 v14, vcc_lo, s5, v14, vcc_lo
	s_mov_b32 vcc_lo, s2
	global_store_b64 v[19:20], v[15:16], off
	s_cbranch_vccz .LBB163_72
; %bb.70:
	v_min_f32_e32 v9, 0, v8
	v_add_co_u32 v17, vcc_lo, v11, v0
	v_add_co_ci_u32_e32 v18, vcc_lo, v12, v1, vcc_lo
	s_delay_alu instid0(VALU_DEP_3)
	v_cvt_f64_f32_e32 v[15:16], v9
	s_mov_b64 s[0:1], 0
	global_store_b64 v[17:18], v[15:16], off
	s_cbranch_execz .LBB163_73
; %bb.71:
	v_dual_mov_b32 v9, s1 :: v_dual_mov_b32 v8, s0
	s_branch .LBB163_74
.LBB163_72:
                                        ; implicit-def: $sgpr0_sgpr1
.LBB163_73:
	v_add_co_u32 v15, vcc_lo, v13, v0
	v_add_co_ci_u32_e32 v16, vcc_lo, v14, v1, vcc_lo
	flat_load_b64 v[15:16], v[15:16]
	s_waitcnt vmcnt(0) lgkmcnt(0)
	v_mul_f64 v[15:16], v[15:16], s[6:7]
	s_delay_alu instid0(VALU_DEP_1)
	v_cvt_f32_f64_e32 v9, v[15:16]
	v_add_co_u32 v15, vcc_lo, v11, v0
	v_add_co_ci_u32_e32 v16, vcc_lo, v12, v1, vcc_lo
	v_add_co_u32 v17, vcc_lo, v13, v2
	v_add_co_ci_u32_e32 v18, vcc_lo, v14, v3, vcc_lo
	v_min_f32_e32 v8, v9, v8
	s_delay_alu instid0(VALU_DEP_1)
	v_cvt_f64_f32_e32 v[8:9], v8
	global_store_b64 v[15:16], v[8:9], off
	flat_load_b64 v[8:9], v[17:18]
	s_waitcnt vmcnt(0) lgkmcnt(0)
	v_mul_f64 v[8:9], v[8:9], s[6:7]
.LBB163_74:
	s_delay_alu instid0(VALU_DEP_1) | instskip(SKIP_4) | instid1(VALU_DEP_3)
	v_cvt_f32_f64_e32 v8, v[8:9]
	v_max_f32_e32 v9, v124, v124
	v_add_co_u32 v17, vcc_lo, v11, v2
	v_add_co_ci_u32_e32 v18, vcc_lo, v12, v3, vcc_lo
	s_mov_b32 vcc_lo, s2
	v_min_f32_e32 v8, v8, v9
	s_delay_alu instid0(VALU_DEP_1)
	v_cvt_f64_f32_e32 v[15:16], v8
	v_max_f32_e32 v8, v123, v123
	global_store_b64 v[17:18], v[15:16], off
	s_cbranch_vccz .LBB163_77
; %bb.75:
	v_min_f32_e32 v9, 0, v8
	v_add_co_u32 v17, vcc_lo, v11, v4
	v_add_co_ci_u32_e32 v18, vcc_lo, v12, v5, vcc_lo
	s_delay_alu instid0(VALU_DEP_3)
	v_cvt_f64_f32_e32 v[15:16], v9
	s_mov_b64 s[0:1], 0
	global_store_b64 v[17:18], v[15:16], off
	s_cbranch_execz .LBB163_78
; %bb.76:
	v_dual_mov_b32 v9, s1 :: v_dual_mov_b32 v8, s0
	s_branch .LBB163_79
.LBB163_77:
                                        ; implicit-def: $sgpr0_sgpr1
.LBB163_78:
	v_add_co_u32 v15, vcc_lo, v13, v4
	v_add_co_ci_u32_e32 v16, vcc_lo, v14, v5, vcc_lo
	flat_load_b64 v[15:16], v[15:16]
	s_waitcnt vmcnt(0) lgkmcnt(0)
	v_mul_f64 v[15:16], v[15:16], s[6:7]
	s_delay_alu instid0(VALU_DEP_1)
	v_cvt_f32_f64_e32 v9, v[15:16]
	v_add_co_u32 v15, vcc_lo, v11, v4
	v_add_co_ci_u32_e32 v16, vcc_lo, v12, v5, vcc_lo
	v_add_co_u32 v13, vcc_lo, v13, v6
	v_add_co_ci_u32_e32 v14, vcc_lo, v14, v7, vcc_lo
	v_min_f32_e32 v8, v9, v8
	s_delay_alu instid0(VALU_DEP_1)
	v_cvt_f64_f32_e32 v[8:9], v8
	global_store_b64 v[15:16], v[8:9], off
	flat_load_b64 v[8:9], v[13:14]
	s_waitcnt vmcnt(0) lgkmcnt(0)
	v_mul_f64 v[8:9], v[8:9], s[6:7]
.LBB163_79:
	s_delay_alu instid0(VALU_DEP_1) | instskip(SKIP_4) | instid1(VALU_DEP_1)
	v_cvt_f32_f64_e32 v8, v[8:9]
	v_max_f32_e32 v9, v122, v122
	v_add_co_u32 v19, vcc_lo, v11, v6
	v_add_co_ci_u32_e32 v20, vcc_lo, v12, v7, vcc_lo
	v_add_nc_u32_e32 v17, 48, v10
	v_mad_i64_i32 v[13:14], null, v17, s12, 0
	s_delay_alu instid0(VALU_DEP_1) | instskip(SKIP_1) | instid1(VALU_DEP_1)
	v_lshlrev_b64 v[13:14], 3, v[13:14]
	v_min_f32_e32 v8, v8, v9
	v_cvt_f64_f32_e32 v[15:16], v8
	v_mad_i64_i32 v[8:9], null, v17, s13, 0
	s_delay_alu instid0(VALU_DEP_1) | instskip(SKIP_1) | instid1(VALU_DEP_2)
	v_lshlrev_b64 v[17:18], 3, v[8:9]
	v_max_f32_e32 v8, v121, v121
	v_add_co_u32 v11, vcc_lo, s3, v17
	s_delay_alu instid0(VALU_DEP_3)
	v_add_co_ci_u32_e32 v12, vcc_lo, s8, v18, vcc_lo
	v_add_co_u32 v13, vcc_lo, s4, v13
	v_add_co_ci_u32_e32 v14, vcc_lo, s5, v14, vcc_lo
	s_mov_b32 vcc_lo, s2
	global_store_b64 v[19:20], v[15:16], off
	s_cbranch_vccz .LBB163_82
; %bb.80:
	v_min_f32_e32 v9, 0, v8
	v_add_co_u32 v17, vcc_lo, v11, v0
	v_add_co_ci_u32_e32 v18, vcc_lo, v12, v1, vcc_lo
	s_delay_alu instid0(VALU_DEP_3)
	v_cvt_f64_f32_e32 v[15:16], v9
	s_mov_b64 s[0:1], 0
	global_store_b64 v[17:18], v[15:16], off
	s_cbranch_execz .LBB163_83
; %bb.81:
	v_dual_mov_b32 v9, s1 :: v_dual_mov_b32 v8, s0
	s_branch .LBB163_84
.LBB163_82:
                                        ; implicit-def: $sgpr0_sgpr1
.LBB163_83:
	v_add_co_u32 v15, vcc_lo, v13, v0
	v_add_co_ci_u32_e32 v16, vcc_lo, v14, v1, vcc_lo
	flat_load_b64 v[15:16], v[15:16]
	s_waitcnt vmcnt(0) lgkmcnt(0)
	v_mul_f64 v[15:16], v[15:16], s[6:7]
	s_delay_alu instid0(VALU_DEP_1)
	v_cvt_f32_f64_e32 v9, v[15:16]
	v_add_co_u32 v15, vcc_lo, v11, v0
	v_add_co_ci_u32_e32 v16, vcc_lo, v12, v1, vcc_lo
	v_add_co_u32 v17, vcc_lo, v13, v2
	v_add_co_ci_u32_e32 v18, vcc_lo, v14, v3, vcc_lo
	v_min_f32_e32 v8, v9, v8
	s_delay_alu instid0(VALU_DEP_1)
	v_cvt_f64_f32_e32 v[8:9], v8
	global_store_b64 v[15:16], v[8:9], off
	flat_load_b64 v[8:9], v[17:18]
	s_waitcnt vmcnt(0) lgkmcnt(0)
	v_mul_f64 v[8:9], v[8:9], s[6:7]
.LBB163_84:
	s_delay_alu instid0(VALU_DEP_1) | instskip(SKIP_4) | instid1(VALU_DEP_3)
	v_cvt_f32_f64_e32 v8, v[8:9]
	v_max_f32_e32 v9, v120, v120
	v_add_co_u32 v17, vcc_lo, v11, v2
	v_add_co_ci_u32_e32 v18, vcc_lo, v12, v3, vcc_lo
	s_mov_b32 vcc_lo, s2
	v_min_f32_e32 v8, v8, v9
	s_delay_alu instid0(VALU_DEP_1)
	v_cvt_f64_f32_e32 v[15:16], v8
	v_max_f32_e32 v8, v119, v119
	global_store_b64 v[17:18], v[15:16], off
	s_cbranch_vccz .LBB163_87
; %bb.85:
	v_min_f32_e32 v9, 0, v8
	v_add_co_u32 v17, vcc_lo, v11, v4
	v_add_co_ci_u32_e32 v18, vcc_lo, v12, v5, vcc_lo
	s_delay_alu instid0(VALU_DEP_3)
	v_cvt_f64_f32_e32 v[15:16], v9
	s_mov_b64 s[0:1], 0
	global_store_b64 v[17:18], v[15:16], off
	s_cbranch_execz .LBB163_88
; %bb.86:
	v_dual_mov_b32 v9, s1 :: v_dual_mov_b32 v8, s0
	s_branch .LBB163_89
.LBB163_87:
                                        ; implicit-def: $sgpr0_sgpr1
.LBB163_88:
	v_add_co_u32 v15, vcc_lo, v13, v4
	v_add_co_ci_u32_e32 v16, vcc_lo, v14, v5, vcc_lo
	flat_load_b64 v[15:16], v[15:16]
	s_waitcnt vmcnt(0) lgkmcnt(0)
	v_mul_f64 v[15:16], v[15:16], s[6:7]
	s_delay_alu instid0(VALU_DEP_1)
	v_cvt_f32_f64_e32 v9, v[15:16]
	v_add_co_u32 v15, vcc_lo, v11, v4
	v_add_co_ci_u32_e32 v16, vcc_lo, v12, v5, vcc_lo
	v_add_co_u32 v13, vcc_lo, v13, v6
	v_add_co_ci_u32_e32 v14, vcc_lo, v14, v7, vcc_lo
	v_min_f32_e32 v8, v9, v8
	s_delay_alu instid0(VALU_DEP_1)
	v_cvt_f64_f32_e32 v[8:9], v8
	global_store_b64 v[15:16], v[8:9], off
	flat_load_b64 v[8:9], v[13:14]
	s_waitcnt vmcnt(0) lgkmcnt(0)
	v_mul_f64 v[8:9], v[8:9], s[6:7]
.LBB163_89:
	s_delay_alu instid0(VALU_DEP_1) | instskip(SKIP_4) | instid1(VALU_DEP_1)
	v_cvt_f32_f64_e32 v8, v[8:9]
	v_max_f32_e32 v9, v118, v118
	v_add_co_u32 v19, vcc_lo, v11, v6
	v_add_co_ci_u32_e32 v20, vcc_lo, v12, v7, vcc_lo
	v_add_nc_u32_e32 v17, 56, v10
	v_mad_i64_i32 v[13:14], null, v17, s12, 0
	s_delay_alu instid0(VALU_DEP_1) | instskip(SKIP_1) | instid1(VALU_DEP_1)
	v_lshlrev_b64 v[13:14], 3, v[13:14]
	v_min_f32_e32 v8, v8, v9
	v_cvt_f64_f32_e32 v[15:16], v8
	v_mad_i64_i32 v[8:9], null, v17, s13, 0
	s_delay_alu instid0(VALU_DEP_1) | instskip(SKIP_1) | instid1(VALU_DEP_2)
	v_lshlrev_b64 v[17:18], 3, v[8:9]
	v_max_f32_e32 v8, v117, v117
	v_add_co_u32 v11, vcc_lo, s3, v17
	s_delay_alu instid0(VALU_DEP_3)
	v_add_co_ci_u32_e32 v12, vcc_lo, s8, v18, vcc_lo
	v_add_co_u32 v13, vcc_lo, s4, v13
	v_add_co_ci_u32_e32 v14, vcc_lo, s5, v14, vcc_lo
	s_mov_b32 vcc_lo, s2
	global_store_b64 v[19:20], v[15:16], off
	s_cbranch_vccz .LBB163_92
; %bb.90:
	v_min_f32_e32 v9, 0, v8
	v_add_co_u32 v17, vcc_lo, v11, v0
	v_add_co_ci_u32_e32 v18, vcc_lo, v12, v1, vcc_lo
	s_delay_alu instid0(VALU_DEP_3)
	v_cvt_f64_f32_e32 v[15:16], v9
	s_mov_b64 s[0:1], 0
	global_store_b64 v[17:18], v[15:16], off
	s_cbranch_execz .LBB163_93
; %bb.91:
	v_dual_mov_b32 v9, s1 :: v_dual_mov_b32 v8, s0
	s_branch .LBB163_94
.LBB163_92:
                                        ; implicit-def: $sgpr0_sgpr1
.LBB163_93:
	v_add_co_u32 v15, vcc_lo, v13, v0
	v_add_co_ci_u32_e32 v16, vcc_lo, v14, v1, vcc_lo
	flat_load_b64 v[15:16], v[15:16]
	s_waitcnt vmcnt(0) lgkmcnt(0)
	v_mul_f64 v[15:16], v[15:16], s[6:7]
	s_delay_alu instid0(VALU_DEP_1)
	v_cvt_f32_f64_e32 v9, v[15:16]
	v_add_co_u32 v15, vcc_lo, v11, v0
	v_add_co_ci_u32_e32 v16, vcc_lo, v12, v1, vcc_lo
	v_add_co_u32 v17, vcc_lo, v13, v2
	v_add_co_ci_u32_e32 v18, vcc_lo, v14, v3, vcc_lo
	v_min_f32_e32 v8, v9, v8
	s_delay_alu instid0(VALU_DEP_1)
	v_cvt_f64_f32_e32 v[8:9], v8
	global_store_b64 v[15:16], v[8:9], off
	flat_load_b64 v[8:9], v[17:18]
	s_waitcnt vmcnt(0) lgkmcnt(0)
	v_mul_f64 v[8:9], v[8:9], s[6:7]
.LBB163_94:
	s_delay_alu instid0(VALU_DEP_1) | instskip(SKIP_4) | instid1(VALU_DEP_3)
	v_cvt_f32_f64_e32 v8, v[8:9]
	v_max_f32_e32 v9, v116, v116
	v_add_co_u32 v17, vcc_lo, v11, v2
	v_add_co_ci_u32_e32 v18, vcc_lo, v12, v3, vcc_lo
	s_mov_b32 vcc_lo, s2
	v_min_f32_e32 v8, v8, v9
	s_delay_alu instid0(VALU_DEP_1)
	v_cvt_f64_f32_e32 v[15:16], v8
	v_max_f32_e32 v8, v115, v115
	global_store_b64 v[17:18], v[15:16], off
	s_cbranch_vccz .LBB163_97
; %bb.95:
	v_min_f32_e32 v9, 0, v8
	v_add_co_u32 v17, vcc_lo, v11, v4
	v_add_co_ci_u32_e32 v18, vcc_lo, v12, v5, vcc_lo
	s_delay_alu instid0(VALU_DEP_3)
	v_cvt_f64_f32_e32 v[15:16], v9
	s_mov_b64 s[0:1], 0
	global_store_b64 v[17:18], v[15:16], off
	s_cbranch_execz .LBB163_98
; %bb.96:
	v_dual_mov_b32 v9, s1 :: v_dual_mov_b32 v8, s0
	s_branch .LBB163_99
.LBB163_97:
                                        ; implicit-def: $sgpr0_sgpr1
.LBB163_98:
	v_add_co_u32 v15, vcc_lo, v13, v4
	v_add_co_ci_u32_e32 v16, vcc_lo, v14, v5, vcc_lo
	flat_load_b64 v[15:16], v[15:16]
	s_waitcnt vmcnt(0) lgkmcnt(0)
	v_mul_f64 v[15:16], v[15:16], s[6:7]
	s_delay_alu instid0(VALU_DEP_1)
	v_cvt_f32_f64_e32 v9, v[15:16]
	v_add_co_u32 v15, vcc_lo, v11, v4
	v_add_co_ci_u32_e32 v16, vcc_lo, v12, v5, vcc_lo
	v_add_co_u32 v13, vcc_lo, v13, v6
	v_add_co_ci_u32_e32 v14, vcc_lo, v14, v7, vcc_lo
	v_min_f32_e32 v8, v9, v8
	s_delay_alu instid0(VALU_DEP_1)
	v_cvt_f64_f32_e32 v[8:9], v8
	global_store_b64 v[15:16], v[8:9], off
	flat_load_b64 v[8:9], v[13:14]
	s_waitcnt vmcnt(0) lgkmcnt(0)
	v_mul_f64 v[8:9], v[8:9], s[6:7]
.LBB163_99:
	s_delay_alu instid0(VALU_DEP_1) | instskip(SKIP_4) | instid1(VALU_DEP_1)
	v_cvt_f32_f64_e32 v8, v[8:9]
	v_max_f32_e32 v9, v114, v114
	v_add_co_u32 v19, vcc_lo, v11, v6
	v_add_co_ci_u32_e32 v20, vcc_lo, v12, v7, vcc_lo
	v_add_nc_u32_e32 v17, 64, v10
	v_mad_i64_i32 v[13:14], null, v17, s12, 0
	s_delay_alu instid0(VALU_DEP_1) | instskip(SKIP_1) | instid1(VALU_DEP_1)
	v_lshlrev_b64 v[13:14], 3, v[13:14]
	v_min_f32_e32 v8, v8, v9
	v_cvt_f64_f32_e32 v[15:16], v8
	v_mad_i64_i32 v[8:9], null, v17, s13, 0
	s_delay_alu instid0(VALU_DEP_1) | instskip(SKIP_1) | instid1(VALU_DEP_2)
	v_lshlrev_b64 v[17:18], 3, v[8:9]
	v_max_f32_e32 v8, v113, v113
	v_add_co_u32 v11, vcc_lo, s3, v17
	s_delay_alu instid0(VALU_DEP_3)
	v_add_co_ci_u32_e32 v12, vcc_lo, s8, v18, vcc_lo
	v_add_co_u32 v13, vcc_lo, s4, v13
	v_add_co_ci_u32_e32 v14, vcc_lo, s5, v14, vcc_lo
	s_mov_b32 vcc_lo, s2
	global_store_b64 v[19:20], v[15:16], off
	s_cbranch_vccz .LBB163_102
; %bb.100:
	v_min_f32_e32 v9, 0, v8
	v_add_co_u32 v17, vcc_lo, v11, v0
	v_add_co_ci_u32_e32 v18, vcc_lo, v12, v1, vcc_lo
	s_delay_alu instid0(VALU_DEP_3)
	v_cvt_f64_f32_e32 v[15:16], v9
	s_mov_b64 s[0:1], 0
	global_store_b64 v[17:18], v[15:16], off
	s_cbranch_execz .LBB163_103
; %bb.101:
	v_dual_mov_b32 v9, s1 :: v_dual_mov_b32 v8, s0
	s_branch .LBB163_104
.LBB163_102:
                                        ; implicit-def: $sgpr0_sgpr1
.LBB163_103:
	v_add_co_u32 v15, vcc_lo, v13, v0
	v_add_co_ci_u32_e32 v16, vcc_lo, v14, v1, vcc_lo
	flat_load_b64 v[15:16], v[15:16]
	s_waitcnt vmcnt(0) lgkmcnt(0)
	v_mul_f64 v[15:16], v[15:16], s[6:7]
	s_delay_alu instid0(VALU_DEP_1)
	v_cvt_f32_f64_e32 v9, v[15:16]
	v_add_co_u32 v15, vcc_lo, v11, v0
	v_add_co_ci_u32_e32 v16, vcc_lo, v12, v1, vcc_lo
	v_add_co_u32 v17, vcc_lo, v13, v2
	v_add_co_ci_u32_e32 v18, vcc_lo, v14, v3, vcc_lo
	v_min_f32_e32 v8, v9, v8
	s_delay_alu instid0(VALU_DEP_1)
	v_cvt_f64_f32_e32 v[8:9], v8
	global_store_b64 v[15:16], v[8:9], off
	flat_load_b64 v[8:9], v[17:18]
	s_waitcnt vmcnt(0) lgkmcnt(0)
	v_mul_f64 v[8:9], v[8:9], s[6:7]
.LBB163_104:
	s_delay_alu instid0(VALU_DEP_1) | instskip(SKIP_4) | instid1(VALU_DEP_3)
	v_cvt_f32_f64_e32 v8, v[8:9]
	v_max_f32_e32 v9, v112, v112
	v_add_co_u32 v17, vcc_lo, v11, v2
	v_add_co_ci_u32_e32 v18, vcc_lo, v12, v3, vcc_lo
	s_mov_b32 vcc_lo, s2
	v_min_f32_e32 v8, v8, v9
	s_delay_alu instid0(VALU_DEP_1)
	v_cvt_f64_f32_e32 v[15:16], v8
	v_max_f32_e32 v8, v111, v111
	global_store_b64 v[17:18], v[15:16], off
	s_cbranch_vccz .LBB163_107
; %bb.105:
	v_min_f32_e32 v9, 0, v8
	v_add_co_u32 v17, vcc_lo, v11, v4
	v_add_co_ci_u32_e32 v18, vcc_lo, v12, v5, vcc_lo
	s_delay_alu instid0(VALU_DEP_3)
	v_cvt_f64_f32_e32 v[15:16], v9
	s_mov_b64 s[0:1], 0
	global_store_b64 v[17:18], v[15:16], off
	s_cbranch_execz .LBB163_108
; %bb.106:
	v_dual_mov_b32 v9, s1 :: v_dual_mov_b32 v8, s0
	s_branch .LBB163_109
.LBB163_107:
                                        ; implicit-def: $sgpr0_sgpr1
.LBB163_108:
	v_add_co_u32 v15, vcc_lo, v13, v4
	v_add_co_ci_u32_e32 v16, vcc_lo, v14, v5, vcc_lo
	flat_load_b64 v[15:16], v[15:16]
	s_waitcnt vmcnt(0) lgkmcnt(0)
	v_mul_f64 v[15:16], v[15:16], s[6:7]
	s_delay_alu instid0(VALU_DEP_1)
	v_cvt_f32_f64_e32 v9, v[15:16]
	v_add_co_u32 v15, vcc_lo, v11, v4
	v_add_co_ci_u32_e32 v16, vcc_lo, v12, v5, vcc_lo
	v_add_co_u32 v13, vcc_lo, v13, v6
	v_add_co_ci_u32_e32 v14, vcc_lo, v14, v7, vcc_lo
	v_min_f32_e32 v8, v9, v8
	s_delay_alu instid0(VALU_DEP_1)
	v_cvt_f64_f32_e32 v[8:9], v8
	global_store_b64 v[15:16], v[8:9], off
	flat_load_b64 v[8:9], v[13:14]
	s_waitcnt vmcnt(0) lgkmcnt(0)
	v_mul_f64 v[8:9], v[8:9], s[6:7]
.LBB163_109:
	s_delay_alu instid0(VALU_DEP_1) | instskip(SKIP_4) | instid1(VALU_DEP_1)
	v_cvt_f32_f64_e32 v8, v[8:9]
	v_max_f32_e32 v9, v110, v110
	v_add_co_u32 v19, vcc_lo, v11, v6
	v_add_co_ci_u32_e32 v20, vcc_lo, v12, v7, vcc_lo
	v_add_nc_u32_e32 v17, 0x48, v10
	v_mad_i64_i32 v[13:14], null, v17, s12, 0
	s_delay_alu instid0(VALU_DEP_1) | instskip(SKIP_1) | instid1(VALU_DEP_1)
	v_lshlrev_b64 v[13:14], 3, v[13:14]
	v_min_f32_e32 v8, v8, v9
	v_cvt_f64_f32_e32 v[15:16], v8
	v_mad_i64_i32 v[8:9], null, v17, s13, 0
	s_delay_alu instid0(VALU_DEP_1) | instskip(SKIP_1) | instid1(VALU_DEP_2)
	v_lshlrev_b64 v[17:18], 3, v[8:9]
	v_max_f32_e32 v8, v109, v109
	v_add_co_u32 v11, vcc_lo, s3, v17
	s_delay_alu instid0(VALU_DEP_3)
	v_add_co_ci_u32_e32 v12, vcc_lo, s8, v18, vcc_lo
	v_add_co_u32 v13, vcc_lo, s4, v13
	v_add_co_ci_u32_e32 v14, vcc_lo, s5, v14, vcc_lo
	s_mov_b32 vcc_lo, s2
	global_store_b64 v[19:20], v[15:16], off
	s_cbranch_vccz .LBB163_112
; %bb.110:
	v_min_f32_e32 v9, 0, v8
	v_add_co_u32 v17, vcc_lo, v11, v0
	v_add_co_ci_u32_e32 v18, vcc_lo, v12, v1, vcc_lo
	s_delay_alu instid0(VALU_DEP_3)
	v_cvt_f64_f32_e32 v[15:16], v9
	s_mov_b64 s[0:1], 0
	global_store_b64 v[17:18], v[15:16], off
	s_cbranch_execz .LBB163_113
; %bb.111:
	v_dual_mov_b32 v9, s1 :: v_dual_mov_b32 v8, s0
	s_branch .LBB163_114
.LBB163_112:
                                        ; implicit-def: $sgpr0_sgpr1
.LBB163_113:
	v_add_co_u32 v15, vcc_lo, v13, v0
	v_add_co_ci_u32_e32 v16, vcc_lo, v14, v1, vcc_lo
	flat_load_b64 v[15:16], v[15:16]
	s_waitcnt vmcnt(0) lgkmcnt(0)
	v_mul_f64 v[15:16], v[15:16], s[6:7]
	s_delay_alu instid0(VALU_DEP_1)
	v_cvt_f32_f64_e32 v9, v[15:16]
	v_add_co_u32 v15, vcc_lo, v11, v0
	v_add_co_ci_u32_e32 v16, vcc_lo, v12, v1, vcc_lo
	v_add_co_u32 v17, vcc_lo, v13, v2
	v_add_co_ci_u32_e32 v18, vcc_lo, v14, v3, vcc_lo
	v_min_f32_e32 v8, v9, v8
	s_delay_alu instid0(VALU_DEP_1)
	v_cvt_f64_f32_e32 v[8:9], v8
	global_store_b64 v[15:16], v[8:9], off
	flat_load_b64 v[8:9], v[17:18]
	s_waitcnt vmcnt(0) lgkmcnt(0)
	v_mul_f64 v[8:9], v[8:9], s[6:7]
.LBB163_114:
	s_delay_alu instid0(VALU_DEP_1) | instskip(SKIP_4) | instid1(VALU_DEP_3)
	v_cvt_f32_f64_e32 v8, v[8:9]
	v_max_f32_e32 v9, v108, v108
	v_add_co_u32 v17, vcc_lo, v11, v2
	v_add_co_ci_u32_e32 v18, vcc_lo, v12, v3, vcc_lo
	s_mov_b32 vcc_lo, s2
	v_min_f32_e32 v8, v8, v9
	s_delay_alu instid0(VALU_DEP_1)
	v_cvt_f64_f32_e32 v[15:16], v8
	v_max_f32_e32 v8, v107, v107
	global_store_b64 v[17:18], v[15:16], off
	s_cbranch_vccz .LBB163_117
; %bb.115:
	v_min_f32_e32 v9, 0, v8
	v_add_co_u32 v17, vcc_lo, v11, v4
	v_add_co_ci_u32_e32 v18, vcc_lo, v12, v5, vcc_lo
	s_delay_alu instid0(VALU_DEP_3)
	v_cvt_f64_f32_e32 v[15:16], v9
	s_mov_b64 s[0:1], 0
	global_store_b64 v[17:18], v[15:16], off
	s_cbranch_execz .LBB163_118
; %bb.116:
	v_dual_mov_b32 v9, s1 :: v_dual_mov_b32 v8, s0
	s_branch .LBB163_119
.LBB163_117:
                                        ; implicit-def: $sgpr0_sgpr1
.LBB163_118:
	v_add_co_u32 v15, vcc_lo, v13, v4
	v_add_co_ci_u32_e32 v16, vcc_lo, v14, v5, vcc_lo
	flat_load_b64 v[15:16], v[15:16]
	s_waitcnt vmcnt(0) lgkmcnt(0)
	v_mul_f64 v[15:16], v[15:16], s[6:7]
	s_delay_alu instid0(VALU_DEP_1)
	v_cvt_f32_f64_e32 v9, v[15:16]
	v_add_co_u32 v15, vcc_lo, v11, v4
	v_add_co_ci_u32_e32 v16, vcc_lo, v12, v5, vcc_lo
	v_add_co_u32 v13, vcc_lo, v13, v6
	v_add_co_ci_u32_e32 v14, vcc_lo, v14, v7, vcc_lo
	v_min_f32_e32 v8, v9, v8
	s_delay_alu instid0(VALU_DEP_1)
	v_cvt_f64_f32_e32 v[8:9], v8
	global_store_b64 v[15:16], v[8:9], off
	flat_load_b64 v[8:9], v[13:14]
	s_waitcnt vmcnt(0) lgkmcnt(0)
	v_mul_f64 v[8:9], v[8:9], s[6:7]
.LBB163_119:
	s_delay_alu instid0(VALU_DEP_1) | instskip(SKIP_4) | instid1(VALU_DEP_1)
	v_cvt_f32_f64_e32 v8, v[8:9]
	v_max_f32_e32 v9, v106, v106
	v_add_co_u32 v19, vcc_lo, v11, v6
	v_add_co_ci_u32_e32 v20, vcc_lo, v12, v7, vcc_lo
	v_add_nc_u32_e32 v17, 0x50, v10
	v_mad_i64_i32 v[13:14], null, v17, s12, 0
	s_delay_alu instid0(VALU_DEP_1) | instskip(SKIP_1) | instid1(VALU_DEP_1)
	v_lshlrev_b64 v[13:14], 3, v[13:14]
	v_min_f32_e32 v8, v8, v9
	v_cvt_f64_f32_e32 v[15:16], v8
	v_mad_i64_i32 v[8:9], null, v17, s13, 0
	s_delay_alu instid0(VALU_DEP_1) | instskip(SKIP_1) | instid1(VALU_DEP_2)
	v_lshlrev_b64 v[17:18], 3, v[8:9]
	v_max_f32_e32 v8, v105, v105
	v_add_co_u32 v11, vcc_lo, s3, v17
	s_delay_alu instid0(VALU_DEP_3)
	v_add_co_ci_u32_e32 v12, vcc_lo, s8, v18, vcc_lo
	v_add_co_u32 v13, vcc_lo, s4, v13
	v_add_co_ci_u32_e32 v14, vcc_lo, s5, v14, vcc_lo
	s_mov_b32 vcc_lo, s2
	global_store_b64 v[19:20], v[15:16], off
	s_cbranch_vccz .LBB163_122
; %bb.120:
	v_min_f32_e32 v9, 0, v8
	v_add_co_u32 v17, vcc_lo, v11, v0
	v_add_co_ci_u32_e32 v18, vcc_lo, v12, v1, vcc_lo
	s_delay_alu instid0(VALU_DEP_3)
	v_cvt_f64_f32_e32 v[15:16], v9
	s_mov_b64 s[0:1], 0
	global_store_b64 v[17:18], v[15:16], off
	s_cbranch_execz .LBB163_123
; %bb.121:
	v_dual_mov_b32 v9, s1 :: v_dual_mov_b32 v8, s0
	s_branch .LBB163_124
.LBB163_122:
                                        ; implicit-def: $sgpr0_sgpr1
.LBB163_123:
	v_add_co_u32 v15, vcc_lo, v13, v0
	v_add_co_ci_u32_e32 v16, vcc_lo, v14, v1, vcc_lo
	flat_load_b64 v[15:16], v[15:16]
	s_waitcnt vmcnt(0) lgkmcnt(0)
	v_mul_f64 v[15:16], v[15:16], s[6:7]
	s_delay_alu instid0(VALU_DEP_1)
	v_cvt_f32_f64_e32 v9, v[15:16]
	v_add_co_u32 v15, vcc_lo, v11, v0
	v_add_co_ci_u32_e32 v16, vcc_lo, v12, v1, vcc_lo
	v_add_co_u32 v17, vcc_lo, v13, v2
	v_add_co_ci_u32_e32 v18, vcc_lo, v14, v3, vcc_lo
	v_min_f32_e32 v8, v9, v8
	s_delay_alu instid0(VALU_DEP_1)
	v_cvt_f64_f32_e32 v[8:9], v8
	global_store_b64 v[15:16], v[8:9], off
	flat_load_b64 v[8:9], v[17:18]
	s_waitcnt vmcnt(0) lgkmcnt(0)
	v_mul_f64 v[8:9], v[8:9], s[6:7]
.LBB163_124:
	s_delay_alu instid0(VALU_DEP_1) | instskip(SKIP_4) | instid1(VALU_DEP_3)
	v_cvt_f32_f64_e32 v8, v[8:9]
	v_max_f32_e32 v9, v104, v104
	v_add_co_u32 v17, vcc_lo, v11, v2
	v_add_co_ci_u32_e32 v18, vcc_lo, v12, v3, vcc_lo
	s_mov_b32 vcc_lo, s2
	v_min_f32_e32 v8, v8, v9
	s_delay_alu instid0(VALU_DEP_1)
	v_cvt_f64_f32_e32 v[15:16], v8
	v_max_f32_e32 v8, v103, v103
	global_store_b64 v[17:18], v[15:16], off
	s_cbranch_vccz .LBB163_127
; %bb.125:
	v_min_f32_e32 v9, 0, v8
	v_add_co_u32 v17, vcc_lo, v11, v4
	v_add_co_ci_u32_e32 v18, vcc_lo, v12, v5, vcc_lo
	s_delay_alu instid0(VALU_DEP_3)
	v_cvt_f64_f32_e32 v[15:16], v9
	s_mov_b32 s0, 0
	global_store_b64 v[17:18], v[15:16], off
	s_cbranch_execz .LBB163_128
; %bb.126:
	v_mov_b32_e32 v8, s0
	s_branch .LBB163_129
.LBB163_127:
	s_mov_b32 s0, -1
.LBB163_128:
	v_add_co_u32 v15, vcc_lo, v13, v4
	v_add_co_ci_u32_e32 v16, vcc_lo, v14, v5, vcc_lo
	flat_load_b64 v[15:16], v[15:16]
	s_waitcnt vmcnt(0) lgkmcnt(0)
	v_mul_f64 v[15:16], v[15:16], s[6:7]
	s_delay_alu instid0(VALU_DEP_1)
	v_cvt_f32_f64_e32 v9, v[15:16]
	v_add_co_u32 v15, vcc_lo, v11, v4
	v_add_co_ci_u32_e32 v16, vcc_lo, v12, v5, vcc_lo
	v_add_co_u32 v13, vcc_lo, v13, v6
	v_add_co_ci_u32_e32 v14, vcc_lo, v14, v7, vcc_lo
	v_min_f32_e32 v8, v9, v8
	s_delay_alu instid0(VALU_DEP_1) | instskip(SKIP_4) | instid1(VALU_DEP_1)
	v_cvt_f64_f32_e32 v[8:9], v8
	global_store_b64 v[15:16], v[8:9], off
	flat_load_b64 v[8:9], v[13:14]
	s_waitcnt vmcnt(0) lgkmcnt(0)
	v_mul_f64 v[8:9], v[8:9], s[6:7]
	v_cvt_f32_f64_e32 v8, v[8:9]
.LBB163_129:
	s_delay_alu instid0(VALU_DEP_1) | instskip(SKIP_2) | instid1(VALU_DEP_3)
	v_dual_max_f32 v9, v102, v102 :: v_dual_max_f32 v8, v8, v8
	v_add_co_u32 v18, vcc_lo, v11, v6
	v_add_co_ci_u32_e32 v19, vcc_lo, v12, v7, vcc_lo
	v_dual_min_f32 v8, v8, v9 :: v_dual_add_nc_u32 v13, 0x58, v10
	s_delay_alu instid0(VALU_DEP_1) | instskip(NEXT) | instid1(VALU_DEP_2)
	v_cvt_f64_f32_e32 v[14:15], v8
	v_mad_i64_i32 v[8:9], null, v13, s13, 0
	v_mad_i64_i32 v[16:17], null, v13, s12, 0
	v_max_f32_e32 v13, v101, v101
	s_delay_alu instid0(VALU_DEP_3) | instskip(NEXT) | instid1(VALU_DEP_3)
	v_lshlrev_b64 v[8:9], 3, v[8:9]
	v_lshlrev_b64 v[11:12], 3, v[16:17]
	s_delay_alu instid0(VALU_DEP_2) | instskip(NEXT) | instid1(VALU_DEP_3)
	v_add_co_u32 v8, vcc_lo, s3, v8
	v_add_co_ci_u32_e32 v9, vcc_lo, s8, v9, vcc_lo
	s_delay_alu instid0(VALU_DEP_3) | instskip(NEXT) | instid1(VALU_DEP_4)
	v_add_co_u32 v11, vcc_lo, s4, v11
	v_add_co_ci_u32_e32 v12, vcc_lo, s5, v12, vcc_lo
	s_mov_b32 vcc_lo, s2
	global_store_b64 v[18:19], v[14:15], off
	s_cbranch_vccz .LBB163_132
; %bb.130:
	v_min_f32_e32 v14, 0, v13
	v_add_co_u32 v16, vcc_lo, v8, v0
	v_add_co_ci_u32_e32 v17, vcc_lo, v9, v1, vcc_lo
	s_delay_alu instid0(VALU_DEP_3)
	v_cvt_f64_f32_e32 v[14:15], v14
	s_mov_b32 s0, 0
	global_store_b64 v[16:17], v[14:15], off
	s_cbranch_execz .LBB163_133
; %bb.131:
	v_mov_b32_e32 v13, s0
	s_branch .LBB163_134
.LBB163_132:
	s_mov_b32 s0, -1
.LBB163_133:
	v_add_co_u32 v14, vcc_lo, v11, v0
	v_add_co_ci_u32_e32 v15, vcc_lo, v12, v1, vcc_lo
	flat_load_b64 v[14:15], v[14:15]
	s_waitcnt vmcnt(0) lgkmcnt(0)
	v_mul_f64 v[14:15], v[14:15], s[6:7]
	s_delay_alu instid0(VALU_DEP_1)
	v_cvt_f32_f64_e32 v14, v[14:15]
	v_add_co_u32 v15, vcc_lo, v8, v0
	v_add_co_ci_u32_e32 v16, vcc_lo, v9, v1, vcc_lo
	v_add_co_u32 v17, vcc_lo, v11, v2
	v_add_co_ci_u32_e32 v18, vcc_lo, v12, v3, vcc_lo
	v_min_f32_e32 v13, v14, v13
	s_delay_alu instid0(VALU_DEP_1) | instskip(SKIP_4) | instid1(VALU_DEP_1)
	v_cvt_f64_f32_e32 v[13:14], v13
	global_store_b64 v[15:16], v[13:14], off
	flat_load_b64 v[13:14], v[17:18]
	s_waitcnt vmcnt(0) lgkmcnt(0)
	v_mul_f64 v[13:14], v[13:14], s[6:7]
	v_cvt_f32_f64_e32 v13, v[13:14]
.LBB163_134:
	s_delay_alu instid0(VALU_DEP_1) | instskip(SKIP_2) | instid1(VALU_DEP_3)
	v_dual_max_f32 v14, v100, v100 :: v_dual_max_f32 v13, v13, v13
	v_add_co_u32 v16, vcc_lo, v8, v2
	v_add_co_ci_u32_e32 v17, vcc_lo, v9, v3, vcc_lo
	v_min_f32_e32 v13, v13, v14
	s_mov_b32 vcc_lo, s2
	s_delay_alu instid0(VALU_DEP_1)
	v_cvt_f64_f32_e32 v[14:15], v13
	v_max_f32_e32 v13, v99, v99
	global_store_b64 v[16:17], v[14:15], off
	s_cbranch_vccz .LBB163_137
; %bb.135:
	v_min_f32_e32 v14, 0, v13
	v_add_co_u32 v16, vcc_lo, v8, v4
	v_add_co_ci_u32_e32 v17, vcc_lo, v9, v5, vcc_lo
	s_delay_alu instid0(VALU_DEP_3)
	v_cvt_f64_f32_e32 v[14:15], v14
	s_mov_b32 s0, 0
	global_store_b64 v[16:17], v[14:15], off
	s_cbranch_execz .LBB163_138
; %bb.136:
	v_mov_b32_e32 v11, s0
	s_branch .LBB163_139
.LBB163_137:
	s_mov_b32 s0, -1
.LBB163_138:
	v_add_co_u32 v14, vcc_lo, v11, v4
	v_add_co_ci_u32_e32 v15, vcc_lo, v12, v5, vcc_lo
	flat_load_b64 v[14:15], v[14:15]
	s_waitcnt vmcnt(0) lgkmcnt(0)
	v_mul_f64 v[14:15], v[14:15], s[6:7]
	s_delay_alu instid0(VALU_DEP_1)
	v_cvt_f32_f64_e32 v14, v[14:15]
	v_add_co_u32 v15, vcc_lo, v8, v4
	v_add_co_ci_u32_e32 v16, vcc_lo, v9, v5, vcc_lo
	v_add_co_u32 v11, vcc_lo, v11, v6
	v_add_co_ci_u32_e32 v12, vcc_lo, v12, v7, vcc_lo
	v_min_f32_e32 v13, v14, v13
	s_delay_alu instid0(VALU_DEP_1) | instskip(SKIP_4) | instid1(VALU_DEP_1)
	v_cvt_f64_f32_e32 v[13:14], v13
	global_store_b64 v[15:16], v[13:14], off
	flat_load_b64 v[11:12], v[11:12]
	s_waitcnt vmcnt(0) lgkmcnt(0)
	v_mul_f64 v[11:12], v[11:12], s[6:7]
	v_cvt_f32_f64_e32 v11, v[11:12]
.LBB163_139:
	s_delay_alu instid0(VALU_DEP_1) | instskip(SKIP_3) | instid1(VALU_DEP_4)
	v_dual_max_f32 v12, v98, v98 :: v_dual_max_f32 v11, v11, v11
	v_add_nc_u32_e32 v13, 0x60, v10
	v_add_co_u32 v18, vcc_lo, v8, v6
	v_add_co_ci_u32_e32 v19, vcc_lo, v9, v7, vcc_lo
	v_min_f32_e32 v11, v11, v12
	s_delay_alu instid0(VALU_DEP_4) | instskip(NEXT) | instid1(VALU_DEP_2)
	v_mad_i64_i32 v[16:17], null, v13, s12, 0
	v_cvt_f64_f32_e32 v[14:15], v11
	v_mad_i64_i32 v[11:12], null, v13, s13, 0
	v_max_f32_e32 v13, v97, v97
	s_delay_alu instid0(VALU_DEP_4) | instskip(NEXT) | instid1(VALU_DEP_3)
	v_lshlrev_b64 v[16:17], 3, v[16:17]
	v_lshlrev_b64 v[11:12], 3, v[11:12]
	s_delay_alu instid0(VALU_DEP_1) | instskip(NEXT) | instid1(VALU_DEP_2)
	v_add_co_u32 v8, vcc_lo, s3, v11
	v_add_co_ci_u32_e32 v9, vcc_lo, s8, v12, vcc_lo
	s_delay_alu instid0(VALU_DEP_4)
	v_add_co_u32 v11, vcc_lo, s4, v16
	v_add_co_ci_u32_e32 v12, vcc_lo, s5, v17, vcc_lo
	s_mov_b32 vcc_lo, s2
	global_store_b64 v[18:19], v[14:15], off
	s_cbranch_vccz .LBB163_142
; %bb.140:
	v_min_f32_e32 v14, 0, v13
	v_add_co_u32 v16, vcc_lo, v8, v0
	v_add_co_ci_u32_e32 v17, vcc_lo, v9, v1, vcc_lo
	s_delay_alu instid0(VALU_DEP_3)
	v_cvt_f64_f32_e32 v[14:15], v14
	s_mov_b32 s0, 0
	global_store_b64 v[16:17], v[14:15], off
	s_cbranch_execz .LBB163_143
; %bb.141:
	v_mov_b32_e32 v13, s0
	s_branch .LBB163_144
.LBB163_142:
	s_mov_b32 s0, -1
.LBB163_143:
	v_add_co_u32 v14, vcc_lo, v11, v0
	v_add_co_ci_u32_e32 v15, vcc_lo, v12, v1, vcc_lo
	flat_load_b64 v[14:15], v[14:15]
	s_waitcnt vmcnt(0) lgkmcnt(0)
	v_mul_f64 v[14:15], v[14:15], s[6:7]
	s_delay_alu instid0(VALU_DEP_1)
	v_cvt_f32_f64_e32 v14, v[14:15]
	v_add_co_u32 v15, vcc_lo, v8, v0
	v_add_co_ci_u32_e32 v16, vcc_lo, v9, v1, vcc_lo
	v_add_co_u32 v17, vcc_lo, v11, v2
	v_add_co_ci_u32_e32 v18, vcc_lo, v12, v3, vcc_lo
	v_min_f32_e32 v13, v14, v13
	s_delay_alu instid0(VALU_DEP_1) | instskip(SKIP_4) | instid1(VALU_DEP_1)
	v_cvt_f64_f32_e32 v[13:14], v13
	global_store_b64 v[15:16], v[13:14], off
	flat_load_b64 v[13:14], v[17:18]
	s_waitcnt vmcnt(0) lgkmcnt(0)
	v_mul_f64 v[13:14], v[13:14], s[6:7]
	v_cvt_f32_f64_e32 v13, v[13:14]
.LBB163_144:
	s_delay_alu instid0(VALU_DEP_1) | instskip(SKIP_2) | instid1(VALU_DEP_3)
	v_dual_max_f32 v14, v96, v96 :: v_dual_max_f32 v13, v13, v13
	v_add_co_u32 v16, vcc_lo, v8, v2
	v_add_co_ci_u32_e32 v17, vcc_lo, v9, v3, vcc_lo
	v_min_f32_e32 v13, v13, v14
	s_mov_b32 vcc_lo, s2
	s_delay_alu instid0(VALU_DEP_1)
	v_cvt_f64_f32_e32 v[14:15], v13
	v_max_f32_e32 v13, v95, v95
	global_store_b64 v[16:17], v[14:15], off
	s_cbranch_vccz .LBB163_147
; %bb.145:
	v_min_f32_e32 v14, 0, v13
	v_add_co_u32 v16, vcc_lo, v8, v4
	v_add_co_ci_u32_e32 v17, vcc_lo, v9, v5, vcc_lo
	s_delay_alu instid0(VALU_DEP_3)
	v_cvt_f64_f32_e32 v[14:15], v14
	s_mov_b32 s0, 0
	global_store_b64 v[16:17], v[14:15], off
	s_cbranch_execz .LBB163_148
; %bb.146:
	v_mov_b32_e32 v11, s0
	s_branch .LBB163_149
.LBB163_147:
	s_mov_b32 s0, -1
.LBB163_148:
	v_add_co_u32 v14, vcc_lo, v11, v4
	v_add_co_ci_u32_e32 v15, vcc_lo, v12, v5, vcc_lo
	flat_load_b64 v[14:15], v[14:15]
	s_waitcnt vmcnt(0) lgkmcnt(0)
	v_mul_f64 v[14:15], v[14:15], s[6:7]
	s_delay_alu instid0(VALU_DEP_1)
	v_cvt_f32_f64_e32 v14, v[14:15]
	v_add_co_u32 v15, vcc_lo, v8, v4
	v_add_co_ci_u32_e32 v16, vcc_lo, v9, v5, vcc_lo
	v_add_co_u32 v11, vcc_lo, v11, v6
	v_add_co_ci_u32_e32 v12, vcc_lo, v12, v7, vcc_lo
	v_min_f32_e32 v13, v14, v13
	s_delay_alu instid0(VALU_DEP_1) | instskip(SKIP_4) | instid1(VALU_DEP_1)
	v_cvt_f64_f32_e32 v[13:14], v13
	global_store_b64 v[15:16], v[13:14], off
	flat_load_b64 v[11:12], v[11:12]
	s_waitcnt vmcnt(0) lgkmcnt(0)
	v_mul_f64 v[11:12], v[11:12], s[6:7]
	v_cvt_f32_f64_e32 v11, v[11:12]
.LBB163_149:
	s_delay_alu instid0(VALU_DEP_1) | instskip(SKIP_3) | instid1(VALU_DEP_4)
	v_dual_max_f32 v12, v94, v94 :: v_dual_max_f32 v11, v11, v11
	v_add_nc_u32_e32 v13, 0x68, v10
	v_add_co_u32 v18, vcc_lo, v8, v6
	v_add_co_ci_u32_e32 v19, vcc_lo, v9, v7, vcc_lo
	v_min_f32_e32 v11, v11, v12
	s_delay_alu instid0(VALU_DEP_4) | instskip(NEXT) | instid1(VALU_DEP_2)
	v_mad_i64_i32 v[16:17], null, v13, s12, 0
	v_cvt_f64_f32_e32 v[14:15], v11
	v_mad_i64_i32 v[11:12], null, v13, s13, 0
	v_max_f32_e32 v13, v93, v93
	s_delay_alu instid0(VALU_DEP_4) | instskip(NEXT) | instid1(VALU_DEP_3)
	v_lshlrev_b64 v[16:17], 3, v[16:17]
	v_lshlrev_b64 v[11:12], 3, v[11:12]
	s_delay_alu instid0(VALU_DEP_1) | instskip(NEXT) | instid1(VALU_DEP_2)
	v_add_co_u32 v8, vcc_lo, s3, v11
	v_add_co_ci_u32_e32 v9, vcc_lo, s8, v12, vcc_lo
	s_delay_alu instid0(VALU_DEP_4)
	v_add_co_u32 v11, vcc_lo, s4, v16
	v_add_co_ci_u32_e32 v12, vcc_lo, s5, v17, vcc_lo
	s_mov_b32 vcc_lo, s2
	global_store_b64 v[18:19], v[14:15], off
	s_cbranch_vccz .LBB163_152
; %bb.150:
	v_min_f32_e32 v14, 0, v13
	v_add_co_u32 v16, vcc_lo, v8, v0
	v_add_co_ci_u32_e32 v17, vcc_lo, v9, v1, vcc_lo
	s_delay_alu instid0(VALU_DEP_3)
	v_cvt_f64_f32_e32 v[14:15], v14
	s_mov_b32 s0, 0
	global_store_b64 v[16:17], v[14:15], off
	s_cbranch_execz .LBB163_153
; %bb.151:
	v_mov_b32_e32 v13, s0
	s_branch .LBB163_154
.LBB163_152:
	s_mov_b32 s0, -1
.LBB163_153:
	v_add_co_u32 v14, vcc_lo, v11, v0
	v_add_co_ci_u32_e32 v15, vcc_lo, v12, v1, vcc_lo
	flat_load_b64 v[14:15], v[14:15]
	s_waitcnt vmcnt(0) lgkmcnt(0)
	v_mul_f64 v[14:15], v[14:15], s[6:7]
	s_delay_alu instid0(VALU_DEP_1)
	v_cvt_f32_f64_e32 v14, v[14:15]
	v_add_co_u32 v15, vcc_lo, v8, v0
	v_add_co_ci_u32_e32 v16, vcc_lo, v9, v1, vcc_lo
	v_add_co_u32 v17, vcc_lo, v11, v2
	v_add_co_ci_u32_e32 v18, vcc_lo, v12, v3, vcc_lo
	v_min_f32_e32 v13, v14, v13
	s_delay_alu instid0(VALU_DEP_1) | instskip(SKIP_4) | instid1(VALU_DEP_1)
	v_cvt_f64_f32_e32 v[13:14], v13
	global_store_b64 v[15:16], v[13:14], off
	flat_load_b64 v[13:14], v[17:18]
	s_waitcnt vmcnt(0) lgkmcnt(0)
	v_mul_f64 v[13:14], v[13:14], s[6:7]
	v_cvt_f32_f64_e32 v13, v[13:14]
.LBB163_154:
	s_delay_alu instid0(VALU_DEP_1) | instskip(SKIP_2) | instid1(VALU_DEP_3)
	v_dual_max_f32 v14, v92, v92 :: v_dual_max_f32 v13, v13, v13
	v_add_co_u32 v16, vcc_lo, v8, v2
	v_add_co_ci_u32_e32 v17, vcc_lo, v9, v3, vcc_lo
	v_min_f32_e32 v13, v13, v14
	s_mov_b32 vcc_lo, s2
	s_delay_alu instid0(VALU_DEP_1)
	v_cvt_f64_f32_e32 v[14:15], v13
	v_max_f32_e32 v13, v91, v91
	global_store_b64 v[16:17], v[14:15], off
	s_cbranch_vccz .LBB163_157
; %bb.155:
	v_min_f32_e32 v14, 0, v13
	v_add_co_u32 v16, vcc_lo, v8, v4
	v_add_co_ci_u32_e32 v17, vcc_lo, v9, v5, vcc_lo
	s_delay_alu instid0(VALU_DEP_3)
	v_cvt_f64_f32_e32 v[14:15], v14
	s_mov_b32 s0, 0
	global_store_b64 v[16:17], v[14:15], off
	s_cbranch_execz .LBB163_158
; %bb.156:
	v_mov_b32_e32 v11, s0
	s_branch .LBB163_159
.LBB163_157:
	s_mov_b32 s0, -1
.LBB163_158:
	v_add_co_u32 v14, vcc_lo, v11, v4
	v_add_co_ci_u32_e32 v15, vcc_lo, v12, v5, vcc_lo
	flat_load_b64 v[14:15], v[14:15]
	s_waitcnt vmcnt(0) lgkmcnt(0)
	v_mul_f64 v[14:15], v[14:15], s[6:7]
	s_delay_alu instid0(VALU_DEP_1)
	v_cvt_f32_f64_e32 v14, v[14:15]
	v_add_co_u32 v15, vcc_lo, v8, v4
	v_add_co_ci_u32_e32 v16, vcc_lo, v9, v5, vcc_lo
	v_add_co_u32 v11, vcc_lo, v11, v6
	v_add_co_ci_u32_e32 v12, vcc_lo, v12, v7, vcc_lo
	v_min_f32_e32 v13, v14, v13
	s_delay_alu instid0(VALU_DEP_1) | instskip(SKIP_4) | instid1(VALU_DEP_1)
	v_cvt_f64_f32_e32 v[13:14], v13
	global_store_b64 v[15:16], v[13:14], off
	flat_load_b64 v[11:12], v[11:12]
	s_waitcnt vmcnt(0) lgkmcnt(0)
	v_mul_f64 v[11:12], v[11:12], s[6:7]
	v_cvt_f32_f64_e32 v11, v[11:12]
.LBB163_159:
	s_delay_alu instid0(VALU_DEP_1) | instskip(SKIP_3) | instid1(VALU_DEP_4)
	v_dual_max_f32 v12, v90, v90 :: v_dual_max_f32 v11, v11, v11
	v_add_nc_u32_e32 v13, 0x70, v10
	v_add_co_u32 v18, vcc_lo, v8, v6
	v_add_co_ci_u32_e32 v19, vcc_lo, v9, v7, vcc_lo
	v_min_f32_e32 v11, v11, v12
	s_delay_alu instid0(VALU_DEP_4) | instskip(NEXT) | instid1(VALU_DEP_2)
	v_mad_i64_i32 v[16:17], null, v13, s12, 0
	v_cvt_f64_f32_e32 v[14:15], v11
	v_mad_i64_i32 v[11:12], null, v13, s13, 0
	v_max_f32_e32 v13, v89, v89
	s_delay_alu instid0(VALU_DEP_4) | instskip(NEXT) | instid1(VALU_DEP_3)
	v_lshlrev_b64 v[16:17], 3, v[16:17]
	v_lshlrev_b64 v[11:12], 3, v[11:12]
	s_delay_alu instid0(VALU_DEP_1) | instskip(NEXT) | instid1(VALU_DEP_2)
	v_add_co_u32 v8, vcc_lo, s3, v11
	v_add_co_ci_u32_e32 v9, vcc_lo, s8, v12, vcc_lo
	s_delay_alu instid0(VALU_DEP_4)
	v_add_co_u32 v11, vcc_lo, s4, v16
	v_add_co_ci_u32_e32 v12, vcc_lo, s5, v17, vcc_lo
	s_mov_b32 vcc_lo, s2
	global_store_b64 v[18:19], v[14:15], off
	s_cbranch_vccz .LBB163_162
; %bb.160:
	v_min_f32_e32 v14, 0, v13
	v_add_co_u32 v16, vcc_lo, v8, v0
	v_add_co_ci_u32_e32 v17, vcc_lo, v9, v1, vcc_lo
	s_delay_alu instid0(VALU_DEP_3)
	v_cvt_f64_f32_e32 v[14:15], v14
	s_mov_b32 s0, 0
	global_store_b64 v[16:17], v[14:15], off
	s_cbranch_execz .LBB163_163
; %bb.161:
	v_mov_b32_e32 v13, s0
	s_branch .LBB163_164
.LBB163_162:
	s_mov_b32 s0, -1
.LBB163_163:
	v_add_co_u32 v14, vcc_lo, v11, v0
	v_add_co_ci_u32_e32 v15, vcc_lo, v12, v1, vcc_lo
	flat_load_b64 v[14:15], v[14:15]
	s_waitcnt vmcnt(0) lgkmcnt(0)
	v_mul_f64 v[14:15], v[14:15], s[6:7]
	s_delay_alu instid0(VALU_DEP_1)
	v_cvt_f32_f64_e32 v14, v[14:15]
	v_add_co_u32 v15, vcc_lo, v8, v0
	v_add_co_ci_u32_e32 v16, vcc_lo, v9, v1, vcc_lo
	v_add_co_u32 v17, vcc_lo, v11, v2
	v_add_co_ci_u32_e32 v18, vcc_lo, v12, v3, vcc_lo
	v_min_f32_e32 v13, v14, v13
	s_delay_alu instid0(VALU_DEP_1) | instskip(SKIP_4) | instid1(VALU_DEP_1)
	v_cvt_f64_f32_e32 v[13:14], v13
	global_store_b64 v[15:16], v[13:14], off
	flat_load_b64 v[13:14], v[17:18]
	s_waitcnt vmcnt(0) lgkmcnt(0)
	v_mul_f64 v[13:14], v[13:14], s[6:7]
	v_cvt_f32_f64_e32 v13, v[13:14]
.LBB163_164:
	s_delay_alu instid0(VALU_DEP_1) | instskip(SKIP_2) | instid1(VALU_DEP_3)
	v_dual_max_f32 v14, v88, v88 :: v_dual_max_f32 v13, v13, v13
	v_add_co_u32 v16, vcc_lo, v8, v2
	v_add_co_ci_u32_e32 v17, vcc_lo, v9, v3, vcc_lo
	v_min_f32_e32 v13, v13, v14
	s_mov_b32 vcc_lo, s2
	s_delay_alu instid0(VALU_DEP_1)
	v_cvt_f64_f32_e32 v[14:15], v13
	v_max_f32_e32 v13, v87, v87
	global_store_b64 v[16:17], v[14:15], off
	s_cbranch_vccz .LBB163_167
; %bb.165:
	v_min_f32_e32 v14, 0, v13
	v_add_co_u32 v16, vcc_lo, v8, v4
	v_add_co_ci_u32_e32 v17, vcc_lo, v9, v5, vcc_lo
	s_delay_alu instid0(VALU_DEP_3)
	v_cvt_f64_f32_e32 v[14:15], v14
	s_mov_b32 s0, 0
	global_store_b64 v[16:17], v[14:15], off
	s_cbranch_execz .LBB163_168
; %bb.166:
	v_mov_b32_e32 v11, s0
	s_branch .LBB163_169
.LBB163_167:
	s_mov_b32 s0, -1
.LBB163_168:
	v_add_co_u32 v14, vcc_lo, v11, v4
	v_add_co_ci_u32_e32 v15, vcc_lo, v12, v5, vcc_lo
	flat_load_b64 v[14:15], v[14:15]
	s_waitcnt vmcnt(0) lgkmcnt(0)
	v_mul_f64 v[14:15], v[14:15], s[6:7]
	s_delay_alu instid0(VALU_DEP_1)
	v_cvt_f32_f64_e32 v14, v[14:15]
	v_add_co_u32 v15, vcc_lo, v8, v4
	v_add_co_ci_u32_e32 v16, vcc_lo, v9, v5, vcc_lo
	v_add_co_u32 v11, vcc_lo, v11, v6
	v_add_co_ci_u32_e32 v12, vcc_lo, v12, v7, vcc_lo
	v_min_f32_e32 v13, v14, v13
	s_delay_alu instid0(VALU_DEP_1) | instskip(SKIP_4) | instid1(VALU_DEP_1)
	v_cvt_f64_f32_e32 v[13:14], v13
	global_store_b64 v[15:16], v[13:14], off
	flat_load_b64 v[11:12], v[11:12]
	s_waitcnt vmcnt(0) lgkmcnt(0)
	v_mul_f64 v[11:12], v[11:12], s[6:7]
	v_cvt_f32_f64_e32 v11, v[11:12]
.LBB163_169:
	s_delay_alu instid0(VALU_DEP_1) | instskip(SKIP_2) | instid1(VALU_DEP_3)
	v_dual_max_f32 v12, v86, v86 :: v_dual_max_f32 v11, v11, v11
	v_add_co_u32 v17, vcc_lo, v8, v6
	v_add_co_ci_u32_e32 v18, vcc_lo, v9, v7, vcc_lo
	v_dual_min_f32 v11, v11, v12 :: v_dual_add_nc_u32 v12, 0x78, v10
	s_delay_alu instid0(VALU_DEP_1) | instskip(NEXT) | instid1(VALU_DEP_2)
	v_cvt_f64_f32_e32 v[13:14], v11
	v_mad_i64_i32 v[10:11], null, v12, s13, 0
	v_mad_i64_i32 v[15:16], null, v12, s12, 0
	v_max_f32_e32 v12, v85, v85
	s_delay_alu instid0(VALU_DEP_3) | instskip(NEXT) | instid1(VALU_DEP_3)
	v_lshlrev_b64 v[10:11], 3, v[10:11]
	v_lshlrev_b64 v[15:16], 3, v[15:16]
	s_delay_alu instid0(VALU_DEP_2) | instskip(NEXT) | instid1(VALU_DEP_3)
	v_add_co_u32 v8, vcc_lo, s3, v10
	v_add_co_ci_u32_e32 v9, vcc_lo, s8, v11, vcc_lo
	s_delay_alu instid0(VALU_DEP_3) | instskip(NEXT) | instid1(VALU_DEP_4)
	v_add_co_u32 v10, vcc_lo, s4, v15
	v_add_co_ci_u32_e32 v11, vcc_lo, s5, v16, vcc_lo
	s_mov_b32 vcc_lo, s2
	global_store_b64 v[17:18], v[13:14], off
	s_cbranch_vccz .LBB163_172
; %bb.170:
	v_min_f32_e32 v13, 0, v12
	v_add_co_u32 v15, vcc_lo, v8, v0
	v_add_co_ci_u32_e32 v16, vcc_lo, v9, v1, vcc_lo
	s_delay_alu instid0(VALU_DEP_3)
	v_cvt_f64_f32_e32 v[13:14], v13
	s_mov_b32 s0, 0
	global_store_b64 v[15:16], v[13:14], off
	s_cbranch_execz .LBB163_173
; %bb.171:
	v_mov_b32_e32 v0, s0
	s_branch .LBB163_174
.LBB163_172:
	s_mov_b32 s0, -1
.LBB163_173:
	v_add_co_u32 v13, vcc_lo, v10, v0
	v_add_co_ci_u32_e32 v14, vcc_lo, v11, v1, vcc_lo
	v_add_co_u32 v0, vcc_lo, v8, v0
	v_add_co_ci_u32_e32 v1, vcc_lo, v9, v1, vcc_lo
	flat_load_b64 v[13:14], v[13:14]
	s_waitcnt vmcnt(0) lgkmcnt(0)
	v_mul_f64 v[13:14], v[13:14], s[6:7]
	s_delay_alu instid0(VALU_DEP_1) | instskip(SKIP_2) | instid1(VALU_DEP_3)
	v_cvt_f32_f64_e32 v13, v[13:14]
	v_add_co_u32 v14, vcc_lo, v10, v2
	v_add_co_ci_u32_e32 v15, vcc_lo, v11, v3, vcc_lo
	v_min_f32_e32 v12, v13, v12
	s_delay_alu instid0(VALU_DEP_1) | instskip(SKIP_4) | instid1(VALU_DEP_1)
	v_cvt_f64_f32_e32 v[12:13], v12
	global_store_b64 v[0:1], v[12:13], off
	flat_load_b64 v[0:1], v[14:15]
	s_waitcnt vmcnt(0) lgkmcnt(0)
	v_mul_f64 v[0:1], v[0:1], s[6:7]
	v_cvt_f32_f64_e32 v0, v[0:1]
.LBB163_174:
	v_max_f32_e32 v1, v84, v84
	s_delay_alu instid0(VALU_DEP_2) | instskip(NEXT) | instid1(VALU_DEP_1)
	v_max_f32_e32 v0, v0, v0
	v_min_f32_e32 v0, v0, v1
	v_add_co_u32 v1, vcc_lo, v8, v2
	v_add_co_ci_u32_e32 v2, vcc_lo, v9, v3, vcc_lo
	s_delay_alu instid0(VALU_DEP_3)
	v_cvt_f64_f32_e32 v[12:13], v0
	v_max_f32_e32 v0, v83, v83
	s_mov_b32 vcc_lo, s2
	global_store_b64 v[1:2], v[12:13], off
	s_cbranch_vccz .LBB163_177
; %bb.175:
	v_min_f32_e32 v1, 0, v0
	v_add_co_u32 v12, vcc_lo, v8, v4
	v_add_co_ci_u32_e32 v13, vcc_lo, v9, v5, vcc_lo
	s_delay_alu instid0(VALU_DEP_3)
	v_cvt_f64_f32_e32 v[1:2], v1
	s_mov_b32 s0, 0
	global_store_b64 v[12:13], v[1:2], off
	s_cbranch_execz .LBB163_178
; %bb.176:
	v_mov_b32_e32 v0, s0
	s_branch .LBB163_179
.LBB163_177:
	s_mov_b32 s0, -1
.LBB163_178:
	v_add_co_u32 v1, vcc_lo, v10, v4
	v_add_co_ci_u32_e32 v2, vcc_lo, v11, v5, vcc_lo
	flat_load_b64 v[1:2], v[1:2]
	s_waitcnt vmcnt(0) lgkmcnt(0)
	v_mul_f64 v[1:2], v[1:2], s[6:7]
	s_delay_alu instid0(VALU_DEP_1)
	v_cvt_f32_f64_e32 v1, v[1:2]
	v_add_co_u32 v2, vcc_lo, v8, v4
	v_add_co_ci_u32_e32 v3, vcc_lo, v9, v5, vcc_lo
	v_add_co_u32 v4, vcc_lo, v10, v6
	v_add_co_ci_u32_e32 v5, vcc_lo, v11, v7, vcc_lo
	v_min_f32_e32 v0, v1, v0
	s_delay_alu instid0(VALU_DEP_1) | instskip(SKIP_4) | instid1(VALU_DEP_1)
	v_cvt_f64_f32_e32 v[0:1], v0
	global_store_b64 v[2:3], v[0:1], off
	flat_load_b64 v[0:1], v[4:5]
	s_waitcnt vmcnt(0) lgkmcnt(0)
	v_mul_f64 v[0:1], v[0:1], s[6:7]
	v_cvt_f32_f64_e32 v0, v[0:1]
.LBB163_179:
	s_delay_alu instid0(VALU_DEP_1) | instskip(SKIP_2) | instid1(VALU_DEP_3)
	v_dual_max_f32 v1, v82, v82 :: v_dual_max_f32 v0, v0, v0
	v_add_co_u32 v2, vcc_lo, v8, v6
	v_add_co_ci_u32_e32 v3, vcc_lo, v9, v7, vcc_lo
	v_min_f32_e32 v0, v0, v1
	s_delay_alu instid0(VALU_DEP_1)
	v_cvt_f64_f32_e32 v[0:1], v0
	global_store_b64 v[2:3], v[0:1], off
	s_nop 0
	s_sendmsg sendmsg(MSG_DEALLOC_VGPRS)
	s_endpgm
	.section	.rodata,"a",@progbits
	.p2align	6, 0x0
	.amdhsa_kernel _ZN12_GLOBAL__N_120geam_min_plus_kernelId15HIP_vector_typeIdLj2EEdLi32ELi8ELi128ELi128ELi4ELi4ELi64ELi4ELi64ELc84ELc78ELb1ELb0ELb1EdKddEEviiiT16_PT17_ilS6_ilS4_S6_ilPT18_ili26rocblas_geam_ex_operation_
		.amdhsa_group_segment_fixed_size 16384
		.amdhsa_private_segment_fixed_size 0
		.amdhsa_kernarg_size 136
		.amdhsa_user_sgpr_count 14
		.amdhsa_user_sgpr_dispatch_ptr 0
		.amdhsa_user_sgpr_queue_ptr 0
		.amdhsa_user_sgpr_kernarg_segment_ptr 1
		.amdhsa_user_sgpr_dispatch_id 0
		.amdhsa_user_sgpr_private_segment_size 0
		.amdhsa_wavefront_size32 1
		.amdhsa_uses_dynamic_stack 0
		.amdhsa_enable_private_segment 0
		.amdhsa_system_sgpr_workgroup_id_x 1
		.amdhsa_system_sgpr_workgroup_id_y 0
		.amdhsa_system_sgpr_workgroup_id_z 1
		.amdhsa_system_sgpr_workgroup_info 0
		.amdhsa_system_vgpr_workitem_id 1
		.amdhsa_next_free_vgpr 181
		.amdhsa_next_free_sgpr 23
		.amdhsa_reserve_vcc 1
		.amdhsa_float_round_mode_32 0
		.amdhsa_float_round_mode_16_64 0
		.amdhsa_float_denorm_mode_32 3
		.amdhsa_float_denorm_mode_16_64 3
		.amdhsa_dx10_clamp 1
		.amdhsa_ieee_mode 1
		.amdhsa_fp16_overflow 0
		.amdhsa_workgroup_processor_mode 1
		.amdhsa_memory_ordered 1
		.amdhsa_forward_progress 0
		.amdhsa_shared_vgpr_count 0
		.amdhsa_exception_fp_ieee_invalid_op 0
		.amdhsa_exception_fp_denorm_src 0
		.amdhsa_exception_fp_ieee_div_zero 0
		.amdhsa_exception_fp_ieee_overflow 0
		.amdhsa_exception_fp_ieee_underflow 0
		.amdhsa_exception_fp_ieee_inexact 0
		.amdhsa_exception_int_div_zero 0
	.end_amdhsa_kernel
	.section	.text._ZN12_GLOBAL__N_120geam_min_plus_kernelId15HIP_vector_typeIdLj2EEdLi32ELi8ELi128ELi128ELi4ELi4ELi64ELi4ELi64ELc84ELc78ELb1ELb0ELb1EdKddEEviiiT16_PT17_ilS6_ilS4_S6_ilPT18_ili26rocblas_geam_ex_operation_,"axG",@progbits,_ZN12_GLOBAL__N_120geam_min_plus_kernelId15HIP_vector_typeIdLj2EEdLi32ELi8ELi128ELi128ELi4ELi4ELi64ELi4ELi64ELc84ELc78ELb1ELb0ELb1EdKddEEviiiT16_PT17_ilS6_ilS4_S6_ilPT18_ili26rocblas_geam_ex_operation_,comdat
.Lfunc_end163:
	.size	_ZN12_GLOBAL__N_120geam_min_plus_kernelId15HIP_vector_typeIdLj2EEdLi32ELi8ELi128ELi128ELi4ELi4ELi64ELi4ELi64ELc84ELc78ELb1ELb0ELb1EdKddEEviiiT16_PT17_ilS6_ilS4_S6_ilPT18_ili26rocblas_geam_ex_operation_, .Lfunc_end163-_ZN12_GLOBAL__N_120geam_min_plus_kernelId15HIP_vector_typeIdLj2EEdLi32ELi8ELi128ELi128ELi4ELi4ELi64ELi4ELi64ELc84ELc78ELb1ELb0ELb1EdKddEEviiiT16_PT17_ilS6_ilS4_S6_ilPT18_ili26rocblas_geam_ex_operation_
                                        ; -- End function
	.section	.AMDGPU.csdata,"",@progbits
; Kernel info:
; codeLenInByte = 20260
; NumSgprs: 25
; NumVgprs: 181
; ScratchSize: 0
; MemoryBound: 0
; FloatMode: 240
; IeeeMode: 1
; LDSByteSize: 16384 bytes/workgroup (compile time only)
; SGPRBlocks: 3
; VGPRBlocks: 22
; NumSGPRsForWavesPerEU: 25
; NumVGPRsForWavesPerEU: 181
; Occupancy: 8
; WaveLimiterHint : 0
; COMPUTE_PGM_RSRC2:SCRATCH_EN: 0
; COMPUTE_PGM_RSRC2:USER_SGPR: 14
; COMPUTE_PGM_RSRC2:TRAP_HANDLER: 0
; COMPUTE_PGM_RSRC2:TGID_X_EN: 1
; COMPUTE_PGM_RSRC2:TGID_Y_EN: 0
; COMPUTE_PGM_RSRC2:TGID_Z_EN: 1
; COMPUTE_PGM_RSRC2:TIDIG_COMP_CNT: 1
	.section	.text._ZN12_GLOBAL__N_120geam_min_plus_kernelId15HIP_vector_typeIdLj2EEdLi32ELi8ELi128ELi128ELi4ELi4ELi64ELi4ELi64ELc84ELc78ELb0ELb0ELb1EdKddEEviiiT16_PT17_ilS6_ilS4_S6_ilPT18_ili26rocblas_geam_ex_operation_,"axG",@progbits,_ZN12_GLOBAL__N_120geam_min_plus_kernelId15HIP_vector_typeIdLj2EEdLi32ELi8ELi128ELi128ELi4ELi4ELi64ELi4ELi64ELc84ELc78ELb0ELb0ELb1EdKddEEviiiT16_PT17_ilS6_ilS4_S6_ilPT18_ili26rocblas_geam_ex_operation_,comdat
	.globl	_ZN12_GLOBAL__N_120geam_min_plus_kernelId15HIP_vector_typeIdLj2EEdLi32ELi8ELi128ELi128ELi4ELi4ELi64ELi4ELi64ELc84ELc78ELb0ELb0ELb1EdKddEEviiiT16_PT17_ilS6_ilS4_S6_ilPT18_ili26rocblas_geam_ex_operation_ ; -- Begin function _ZN12_GLOBAL__N_120geam_min_plus_kernelId15HIP_vector_typeIdLj2EEdLi32ELi8ELi128ELi128ELi4ELi4ELi64ELi4ELi64ELc84ELc78ELb0ELb0ELb1EdKddEEviiiT16_PT17_ilS6_ilS4_S6_ilPT18_ili26rocblas_geam_ex_operation_
	.p2align	8
	.type	_ZN12_GLOBAL__N_120geam_min_plus_kernelId15HIP_vector_typeIdLj2EEdLi32ELi8ELi128ELi128ELi4ELi4ELi64ELi4ELi64ELc84ELc78ELb0ELb0ELb1EdKddEEviiiT16_PT17_ilS6_ilS4_S6_ilPT18_ili26rocblas_geam_ex_operation_,@function
_ZN12_GLOBAL__N_120geam_min_plus_kernelId15HIP_vector_typeIdLj2EEdLi32ELi8ELi128ELi128ELi4ELi4ELi64ELi4ELi64ELc84ELc78ELb0ELb0ELb1EdKddEEviiiT16_PT17_ilS6_ilS4_S6_ilPT18_ili26rocblas_geam_ex_operation_: ; @_ZN12_GLOBAL__N_120geam_min_plus_kernelId15HIP_vector_typeIdLj2EEdLi32ELi8ELi128ELi128ELi4ELi4ELi64ELi4ELi64ELc84ELc78ELb0ELb0ELb1EdKddEEviiiT16_PT17_ilS6_ilS4_S6_ilPT18_ili26rocblas_geam_ex_operation_
; %bb.0:
	s_clause 0x1
	s_load_b128 s[16:19], s[0:1], 0x10
	s_load_b128 s[8:11], s[0:1], 0x28
	s_mov_b64 s[12:13], 0
	s_waitcnt lgkmcnt(0)
	v_cmp_eq_f64_e64 s2, s[16:17], 0
	s_delay_alu instid0(VALU_DEP_1)
	s_and_b32 vcc_lo, exec_lo, s2
	s_cbranch_vccnz .LBB164_2
; %bb.1:
	s_mul_i32 s3, s15, s9
	s_mul_hi_u32 s4, s15, s8
	s_delay_alu instid0(SALU_CYCLE_1) | instskip(SKIP_1) | instid1(SALU_CYCLE_1)
	s_add_i32 s5, s4, s3
	s_mul_i32 s4, s15, s8
	s_lshl_b64 s[4:5], s[4:5], 3
	s_delay_alu instid0(SALU_CYCLE_1)
	s_add_u32 s12, s18, s4
	s_addc_u32 s13, s19, s5
.LBB164_2:
	s_clause 0x1
	s_load_b128 s[4:7], s[0:1], 0x40
	s_load_b64 s[20:21], s[0:1], 0x50
	s_and_not1_b32 vcc_lo, exec_lo, s2
	s_cbranch_vccnz .LBB164_4
; %bb.3:
	s_mov_b32 s22, 0
	s_mov_b64 s[18:19], 0
	s_cbranch_execz .LBB164_5
	s_branch .LBB164_6
.LBB164_4:
	s_mov_b32 s22, -1
                                        ; implicit-def: $sgpr18_sgpr19
.LBB164_5:
	s_waitcnt lgkmcnt(0)
	s_mul_i32 s2, s15, s5
	s_mul_hi_u32 s3, s15, s4
	s_mov_b32 s22, 0
	s_add_i32 s3, s3, s2
	s_mul_i32 s2, s15, s4
	s_delay_alu instid0(SALU_CYCLE_1) | instskip(NEXT) | instid1(SALU_CYCLE_1)
	s_lshl_b64 s[2:3], s[2:3], 3
	s_add_u32 s18, s10, s2
	s_addc_u32 s19, s11, s3
.LBB164_6:
	s_waitcnt lgkmcnt(0)
	v_cmp_eq_f64_e64 s2, s[6:7], 0
	v_cmp_neq_f64_e64 s23, s[16:17], 0
	s_load_b128 s[8:11], s[0:1], 0x60
	s_mov_b64 s[4:5], 0
	s_delay_alu instid0(VALU_DEP_2) | instskip(NEXT) | instid1(SALU_CYCLE_1)
	s_and_b32 s2, exec_lo, s2
	s_mov_b32 vcc_lo, s2
	s_cbranch_vccnz .LBB164_8
; %bb.7:
	s_waitcnt lgkmcnt(0)
	s_mul_i32 s3, s15, s9
	s_mul_hi_u32 s4, s15, s8
	s_mul_i32 s5, s22, s8
	s_add_i32 s3, s4, s3
	s_mul_i32 s4, s15, s8
	s_add_i32 s5, s3, s5
	s_delay_alu instid0(SALU_CYCLE_1) | instskip(NEXT) | instid1(SALU_CYCLE_1)
	s_lshl_b64 s[4:5], s[4:5], 3
	s_add_u32 s4, s20, s4
	s_addc_u32 s5, s21, s5
.LBB164_8:
	s_clause 0x1
	s_load_b32 s3, s[0:1], 0x0
	s_load_b32 s20, s[0:1], 0x20
	v_and_b32_e32 v133, 0x3ff, v0
	v_bfe_u32 v134, v0, 10, 10
	s_delay_alu instid0(VALU_DEP_2) | instskip(NEXT) | instid1(VALU_DEP_2)
	v_and_b32_e32 v140, 3, v133
	v_lshl_add_u32 v0, v134, 5, v133
	s_delay_alu instid0(VALU_DEP_2) | instskip(NEXT) | instid1(VALU_DEP_2)
	v_lshlrev_b32_e32 v9, 3, v140
	v_lshrrev_b32_e32 v8, 2, v0
	v_cndmask_b32_e64 v0, 0, 1, s23
	s_waitcnt lgkmcnt(0)
	s_add_i32 s3, s3, -1
	s_delay_alu instid0(SALU_CYCLE_1) | instskip(NEXT) | instid1(SALU_CYCLE_1)
	s_ashr_i32 s8, s3, 31
	s_lshr_b32 s8, s8, 25
	s_delay_alu instid0(SALU_CYCLE_1) | instskip(NEXT) | instid1(SALU_CYCLE_1)
	s_add_i32 s3, s3, s8
	s_ashr_i32 s3, s3, 7
	s_delay_alu instid0(SALU_CYCLE_1) | instskip(SKIP_2) | instid1(VALU_DEP_1)
	s_add_i32 s8, s3, 1
	s_not_b32 s3, s3
	v_cvt_f32_u32_e32 v1, s8
	v_rcp_iflag_f32_e32 v1, v1
	s_waitcnt_depctr 0xfff
	v_mul_f32_e32 v1, 0x4f7ffffe, v1
	s_delay_alu instid0(VALU_DEP_1) | instskip(NEXT) | instid1(VALU_DEP_1)
	v_cvt_u32_f32_e32 v1, v1
	v_readfirstlane_b32 s9, v1
	s_delay_alu instid0(VALU_DEP_1) | instskip(NEXT) | instid1(SALU_CYCLE_1)
	s_mul_i32 s3, s3, s9
	s_mul_hi_u32 s3, s9, s3
	s_delay_alu instid0(SALU_CYCLE_1) | instskip(NEXT) | instid1(SALU_CYCLE_1)
	s_add_i32 s9, s9, s3
	s_mul_hi_u32 s3, s14, s9
	s_delay_alu instid0(SALU_CYCLE_1) | instskip(SKIP_2) | instid1(SALU_CYCLE_1)
	s_mul_i32 s9, s3, s8
	s_add_i32 s21, s3, 1
	s_sub_i32 s9, s14, s9
	s_sub_i32 s24, s9, s8
	s_cmp_ge_u32 s9, s8
	s_cselect_b32 s3, s21, s3
	s_cselect_b32 s9, s24, s9
	s_add_i32 s21, s3, 1
	s_cmp_ge_u32 s9, s8
	s_cselect_b32 s9, s21, s3
	s_and_not1_b32 vcc_lo, exec_lo, s23
	s_mul_i32 s3, s9, s8
	s_delay_alu instid0(SALU_CYCLE_1) | instskip(NEXT) | instid1(SALU_CYCLE_1)
	s_sub_i32 s3, s14, s3
	s_lshl_b32 s8, s3, 7
	v_cmp_ne_u32_e64 s3, 1, v0
	v_add_nc_u32_e32 v64, s8, v8
	s_delay_alu instid0(VALU_DEP_1)
	v_add_nc_u32_e32 v65, 64, v64
	s_cbranch_vccnz .LBB164_10
; %bb.9:
	v_mad_i64_i32 v[0:1], null, v64, s20, 0
	s_delay_alu instid0(VALU_DEP_2) | instskip(SKIP_1) | instid1(VALU_DEP_1)
	v_mad_i64_i32 v[2:3], null, v65, s20, 0
	v_add_co_u32 v4, s14, s12, v9
	v_add_co_ci_u32_e64 v5, null, s13, 0, s14
	s_delay_alu instid0(VALU_DEP_4) | instskip(NEXT) | instid1(VALU_DEP_4)
	v_lshlrev_b64 v[0:1], 3, v[0:1]
	v_lshlrev_b64 v[2:3], 3, v[2:3]
	s_delay_alu instid0(VALU_DEP_2) | instskip(NEXT) | instid1(VALU_DEP_3)
	v_add_co_u32 v0, vcc_lo, v4, v0
	v_add_co_ci_u32_e32 v1, vcc_lo, v5, v1, vcc_lo
	s_delay_alu instid0(VALU_DEP_3) | instskip(NEXT) | instid1(VALU_DEP_4)
	v_add_co_u32 v2, vcc_lo, v4, v2
	v_add_co_ci_u32_e32 v3, vcc_lo, v5, v3, vcc_lo
	s_clause 0x1
	flat_load_b64 v[0:1], v[0:1]
	flat_load_b64 v[2:3], v[2:3]
	s_waitcnt vmcnt(1) lgkmcnt(1)
	v_mul_f64 v[0:1], v[0:1], s[16:17]
	s_waitcnt vmcnt(0) lgkmcnt(0)
	v_mul_f64 v[2:3], v[2:3], s[16:17]
	s_branch .LBB164_11
.LBB164_10:
	v_mov_b32_e32 v0, 0
	v_dual_mov_b32 v1, 0 :: v_dual_mov_b32 v2, 0
	v_mov_b32_e32 v3, 0
.LBB164_11:
	s_load_b32 s21, s[0:1], 0x38
	s_lshl_b32 s9, s9, 7
	s_and_b32 vcc_lo, exec_lo, s3
	v_add_nc_u32_e32 v67, s9, v8
	s_delay_alu instid0(VALU_DEP_1)
	v_add_nc_u32_e32 v66, 64, v67
	s_cbranch_vccnz .LBB164_15
; %bb.12:
	s_waitcnt lgkmcnt(0)
	v_mad_i64_i32 v[4:5], null, v67, s21, 0
	s_delay_alu instid0(VALU_DEP_2) | instskip(SKIP_1) | instid1(VALU_DEP_1)
	v_mad_i64_i32 v[6:7], null, v66, s21, 0
	v_add_co_u32 v10, s14, s18, v9
	v_add_co_ci_u32_e64 v11, null, s19, 0, s14
	s_delay_alu instid0(VALU_DEP_4) | instskip(NEXT) | instid1(VALU_DEP_4)
	v_lshlrev_b64 v[4:5], 3, v[4:5]
	v_lshlrev_b64 v[6:7], 3, v[6:7]
	s_delay_alu instid0(VALU_DEP_2) | instskip(NEXT) | instid1(VALU_DEP_3)
	v_add_co_u32 v4, vcc_lo, v10, v4
	v_add_co_ci_u32_e32 v5, vcc_lo, v11, v5, vcc_lo
	s_delay_alu instid0(VALU_DEP_3) | instskip(NEXT) | instid1(VALU_DEP_4)
	v_add_co_u32 v6, vcc_lo, v10, v6
	v_add_co_ci_u32_e32 v7, vcc_lo, v11, v7, vcc_lo
	s_clause 0x1
	flat_load_b64 v[4:5], v[4:5]
	flat_load_b64 v[6:7], v[6:7]
	s_waitcnt vmcnt(1) lgkmcnt(1)
	v_mul_f64 v[4:5], v[4:5], s[16:17]
	s_waitcnt vmcnt(0) lgkmcnt(0)
	v_mul_f64 v[6:7], v[6:7], s[16:17]
	s_and_b32 vcc_lo, exec_lo, s3
	s_cbranch_vccnz .LBB164_16
.LBB164_13:
	v_mad_i64_i32 v[10:11], null, v64, s20, 0
	v_mad_i64_i32 v[12:13], null, v65, s20, 0
	v_add_co_u32 v14, s14, s12, v9
	s_delay_alu instid0(VALU_DEP_1) | instskip(NEXT) | instid1(VALU_DEP_4)
	v_add_co_ci_u32_e64 v15, null, s13, 0, s14
	v_lshlrev_b64 v[10:11], 3, v[10:11]
	s_delay_alu instid0(VALU_DEP_4) | instskip(NEXT) | instid1(VALU_DEP_2)
	v_lshlrev_b64 v[12:13], 3, v[12:13]
	v_add_co_u32 v10, vcc_lo, v14, v10
	s_delay_alu instid0(VALU_DEP_3) | instskip(NEXT) | instid1(VALU_DEP_3)
	v_add_co_ci_u32_e32 v11, vcc_lo, v15, v11, vcc_lo
	v_add_co_u32 v12, vcc_lo, v14, v12
	s_delay_alu instid0(VALU_DEP_4)
	v_add_co_ci_u32_e32 v13, vcc_lo, v15, v13, vcc_lo
	s_clause 0x1
	flat_load_b64 v[10:11], v[10:11] offset:32
	flat_load_b64 v[12:13], v[12:13] offset:32
	s_waitcnt vmcnt(1) lgkmcnt(0)
	v_mul_f64 v[56:57], v[10:11], s[16:17]
	s_waitcnt vmcnt(0)
	v_mul_f64 v[58:59], v[12:13], s[16:17]
	s_and_b32 vcc_lo, exec_lo, s3
	s_cbranch_vccnz .LBB164_17
.LBB164_14:
	s_waitcnt lgkmcnt(0)
	v_mad_i64_i32 v[10:11], null, v67, s21, 0
	v_mad_i64_i32 v[12:13], null, v66, s21, 0
	v_add_co_u32 v14, s14, s18, v9
	s_delay_alu instid0(VALU_DEP_1) | instskip(NEXT) | instid1(VALU_DEP_4)
	v_add_co_ci_u32_e64 v15, null, s19, 0, s14
	v_lshlrev_b64 v[10:11], 3, v[10:11]
	s_delay_alu instid0(VALU_DEP_4) | instskip(NEXT) | instid1(VALU_DEP_2)
	v_lshlrev_b64 v[12:13], 3, v[12:13]
	v_add_co_u32 v10, vcc_lo, v14, v10
	s_delay_alu instid0(VALU_DEP_3) | instskip(NEXT) | instid1(VALU_DEP_3)
	v_add_co_ci_u32_e32 v11, vcc_lo, v15, v11, vcc_lo
	v_add_co_u32 v12, vcc_lo, v14, v12
	s_delay_alu instid0(VALU_DEP_4)
	v_add_co_ci_u32_e32 v13, vcc_lo, v15, v13, vcc_lo
	s_clause 0x1
	flat_load_b64 v[10:11], v[10:11] offset:32
	flat_load_b64 v[12:13], v[12:13] offset:32
	s_waitcnt vmcnt(1) lgkmcnt(1)
	v_mul_f64 v[60:61], v[10:11], s[16:17]
	s_waitcnt vmcnt(0) lgkmcnt(0)
	v_mul_f64 v[62:63], v[12:13], s[16:17]
	s_branch .LBB164_18
.LBB164_15:
	v_mov_b32_e32 v4, 0
	v_dual_mov_b32 v5, 0 :: v_dual_mov_b32 v6, 0
	v_mov_b32_e32 v7, 0
	s_and_b32 vcc_lo, exec_lo, s3
	s_cbranch_vccz .LBB164_13
.LBB164_16:
	v_mov_b32_e32 v56, 0
	v_dual_mov_b32 v57, 0 :: v_dual_mov_b32 v58, 0
	v_mov_b32_e32 v59, 0
	s_and_b32 vcc_lo, exec_lo, s3
	s_cbranch_vccz .LBB164_14
.LBB164_17:
	v_mov_b32_e32 v60, 0
	v_dual_mov_b32 v61, 0 :: v_dual_mov_b32 v62, 0
	v_mov_b32_e32 v63, 0
.LBB164_18:
	v_lshl_or_b32 v141, v8, 5, v9
	v_dual_mov_b32 v74, 0x7f800000 :: v_dual_mov_b32 v75, 0x7f800000
	v_dual_mov_b32 v76, 0x7f800000 :: v_dual_mov_b32 v77, 0x7f800000
	s_delay_alu instid0(VALU_DEP_3)
	v_add_nc_u32_e32 v142, 0x2000, v141
	v_dual_mov_b32 v78, 0x7f800000 :: v_dual_mov_b32 v79, 0x7f800000
	v_dual_mov_b32 v80, 0x7f800000 :: v_dual_mov_b32 v81, 0x7f800000
	;; [unrolled: 1-line block ×30, first 2 shown]
	s_mov_b32 s23, 0
	s_mov_b32 s14, -1
	ds_store_2addr_stride64_b64 v141, v[0:1], v[2:3] offset1:4
	ds_store_2addr_stride64_b64 v141, v[4:5], v[6:7] offset0:16 offset1:20
	s_waitcnt lgkmcnt(0)
	s_barrier
	buffer_gl0_inv
.LBB164_19:                             ; =>This Inner Loop Header: Depth=1
	s_lshl_b32 s23, s23, 3
	s_and_not1_b32 vcc_lo, exec_lo, s14
	v_lshl_add_u32 v0, v133, 5, s23
	v_lshl_add_u32 v16, v134, 5, s23
	s_mov_b32 s23, 2
	s_mov_b32 s14, 0
	ds_load_b128 v[12:15], v0
	ds_load_b128 v[8:11], v0 offset:1024
	ds_load_b128 v[4:7], v0 offset:2048
	;; [unrolled: 1-line block ×19, first 2 shown]
	s_waitcnt lgkmcnt(15)
	v_add_f64 v[72:73], v[14:15], v[70:71]
	v_add_f64 v[163:164], v[12:13], v[68:69]
	s_delay_alu instid0(VALU_DEP_2) | instskip(NEXT) | instid1(VALU_DEP_2)
	v_cvt_f32_f64_e32 v72, v[72:73]
	v_cvt_f32_f64_e32 v163, v[163:164]
	s_delay_alu instid0(VALU_DEP_1) | instskip(SKIP_2) | instid1(VALU_DEP_2)
	v_min3_f32 v139, v163, v72, v139
	v_add_f64 v[72:73], v[10:11], v[70:71]
	v_add_f64 v[163:164], v[8:9], v[68:69]
	v_cvt_f32_f64_e32 v72, v[72:73]
	s_delay_alu instid0(VALU_DEP_2) | instskip(NEXT) | instid1(VALU_DEP_1)
	v_cvt_f32_f64_e32 v163, v[163:164]
	v_min3_f32 v138, v163, v72, v138
	v_add_f64 v[72:73], v[6:7], v[70:71]
	v_add_f64 v[163:164], v[4:5], v[68:69]
	;; [unrolled: 1-line block ×4, first 2 shown]
	s_delay_alu instid0(VALU_DEP_4) | instskip(NEXT) | instid1(VALU_DEP_4)
	v_cvt_f32_f64_e32 v72, v[72:73]
	v_cvt_f32_f64_e32 v163, v[163:164]
	s_delay_alu instid0(VALU_DEP_3) | instskip(SKIP_3) | instid1(VALU_DEP_4)
	v_cvt_f32_f64_e32 v68, v[68:69]
	v_cvt_f32_f64_e32 v69, v[70:71]
	s_waitcnt lgkmcnt(14)
	v_add_f64 v[70:71], v[12:13], v[143:144]
	v_min3_f32 v137, v163, v72, v137
	s_delay_alu instid0(VALU_DEP_3) | instskip(SKIP_1) | instid1(VALU_DEP_4)
	v_min3_f32 v136, v68, v69, v136
	v_add_f64 v[68:69], v[14:15], v[145:146]
	v_cvt_f32_f64_e32 v70, v[70:71]
	s_delay_alu instid0(VALU_DEP_2) | instskip(NEXT) | instid1(VALU_DEP_1)
	v_cvt_f32_f64_e32 v68, v[68:69]
	v_min3_f32 v135, v70, v68, v135
	v_add_f64 v[68:69], v[10:11], v[145:146]
	v_add_f64 v[70:71], v[8:9], v[143:144]
	s_delay_alu instid0(VALU_DEP_2) | instskip(NEXT) | instid1(VALU_DEP_2)
	v_cvt_f32_f64_e32 v68, v[68:69]
	v_cvt_f32_f64_e32 v70, v[70:71]
	s_delay_alu instid0(VALU_DEP_1) | instskip(SKIP_2) | instid1(VALU_DEP_2)
	v_min3_f32 v132, v70, v68, v132
	v_add_f64 v[68:69], v[6:7], v[145:146]
	v_add_f64 v[70:71], v[4:5], v[143:144]
	v_cvt_f32_f64_e32 v68, v[68:69]
	s_delay_alu instid0(VALU_DEP_2) | instskip(NEXT) | instid1(VALU_DEP_1)
	v_cvt_f32_f64_e32 v70, v[70:71]
	v_min3_f32 v131, v70, v68, v131
	v_add_f64 v[68:69], v[2:3], v[145:146]
	v_add_f64 v[70:71], v[0:1], v[143:144]
	s_delay_alu instid0(VALU_DEP_2) | instskip(NEXT) | instid1(VALU_DEP_2)
	v_cvt_f32_f64_e32 v68, v[68:69]
	v_cvt_f32_f64_e32 v70, v[70:71]
	s_delay_alu instid0(VALU_DEP_1) | instskip(SKIP_3) | instid1(VALU_DEP_2)
	v_min3_f32 v130, v70, v68, v130
	s_waitcnt lgkmcnt(13)
	v_add_f64 v[68:69], v[14:15], v[149:150]
	v_add_f64 v[70:71], v[12:13], v[147:148]
	v_cvt_f32_f64_e32 v68, v[68:69]
	s_delay_alu instid0(VALU_DEP_2) | instskip(NEXT) | instid1(VALU_DEP_1)
	v_cvt_f32_f64_e32 v70, v[70:71]
	v_min3_f32 v129, v70, v68, v129
	v_add_f64 v[68:69], v[10:11], v[149:150]
	v_add_f64 v[70:71], v[8:9], v[147:148]
	s_delay_alu instid0(VALU_DEP_2) | instskip(NEXT) | instid1(VALU_DEP_2)
	v_cvt_f32_f64_e32 v68, v[68:69]
	v_cvt_f32_f64_e32 v70, v[70:71]
	s_delay_alu instid0(VALU_DEP_1) | instskip(SKIP_2) | instid1(VALU_DEP_2)
	v_min3_f32 v128, v70, v68, v128
	v_add_f64 v[68:69], v[6:7], v[149:150]
	v_add_f64 v[70:71], v[4:5], v[147:148]
	v_cvt_f32_f64_e32 v68, v[68:69]
	s_delay_alu instid0(VALU_DEP_2) | instskip(NEXT) | instid1(VALU_DEP_1)
	v_cvt_f32_f64_e32 v70, v[70:71]
	v_min3_f32 v127, v70, v68, v127
	v_add_f64 v[68:69], v[2:3], v[149:150]
	v_add_f64 v[70:71], v[0:1], v[147:148]
	s_delay_alu instid0(VALU_DEP_2) | instskip(NEXT) | instid1(VALU_DEP_2)
	v_cvt_f32_f64_e32 v68, v[68:69]
	v_cvt_f32_f64_e32 v70, v[70:71]
	s_delay_alu instid0(VALU_DEP_1) | instskip(SKIP_3) | instid1(VALU_DEP_2)
	v_min3_f32 v126, v70, v68, v126
	s_waitcnt lgkmcnt(12)
	v_add_f64 v[68:69], v[14:15], v[153:154]
	;; [unrolled: 27-line block ×5, first 2 shown]
	v_add_f64 v[70:71], v[12:13], v[52:53]
	v_cvt_f32_f64_e32 v68, v[68:69]
	s_delay_alu instid0(VALU_DEP_2) | instskip(NEXT) | instid1(VALU_DEP_1)
	v_cvt_f32_f64_e32 v70, v[70:71]
	v_min3_f32 v113, v70, v68, v113
	v_add_f64 v[68:69], v[10:11], v[54:55]
	v_add_f64 v[70:71], v[8:9], v[52:53]
	s_delay_alu instid0(VALU_DEP_2) | instskip(NEXT) | instid1(VALU_DEP_2)
	v_cvt_f32_f64_e32 v68, v[68:69]
	v_cvt_f32_f64_e32 v70, v[70:71]
	s_delay_alu instid0(VALU_DEP_1) | instskip(SKIP_4) | instid1(VALU_DEP_4)
	v_min3_f32 v112, v70, v68, v112
	v_add_f64 v[68:69], v[6:7], v[54:55]
	v_add_f64 v[70:71], v[4:5], v[52:53]
	v_add_f64 v[54:55], v[2:3], v[54:55]
	v_add_f64 v[52:53], v[0:1], v[52:53]
	v_cvt_f32_f64_e32 v68, v[68:69]
	s_delay_alu instid0(VALU_DEP_4) | instskip(NEXT) | instid1(VALU_DEP_3)
	v_cvt_f32_f64_e32 v70, v[70:71]
	v_cvt_f32_f64_e32 v52, v[52:53]
	v_cvt_f32_f64_e32 v53, v[54:55]
	s_waitcnt lgkmcnt(8)
	v_add_f64 v[54:55], v[12:13], v[48:49]
	s_delay_alu instid0(VALU_DEP_4) | instskip(NEXT) | instid1(VALU_DEP_3)
	v_min3_f32 v111, v70, v68, v111
	v_min3_f32 v110, v52, v53, v110
	v_add_f64 v[52:53], v[14:15], v[50:51]
	s_delay_alu instid0(VALU_DEP_4) | instskip(NEXT) | instid1(VALU_DEP_2)
	v_cvt_f32_f64_e32 v54, v[54:55]
	v_cvt_f32_f64_e32 v52, v[52:53]
	s_delay_alu instid0(VALU_DEP_1) | instskip(SKIP_2) | instid1(VALU_DEP_2)
	v_min3_f32 v109, v54, v52, v109
	v_add_f64 v[52:53], v[10:11], v[50:51]
	v_add_f64 v[54:55], v[8:9], v[48:49]
	v_cvt_f32_f64_e32 v52, v[52:53]
	s_delay_alu instid0(VALU_DEP_2) | instskip(NEXT) | instid1(VALU_DEP_1)
	v_cvt_f32_f64_e32 v54, v[54:55]
	v_min3_f32 v108, v54, v52, v108
	v_add_f64 v[52:53], v[6:7], v[50:51]
	v_add_f64 v[54:55], v[4:5], v[48:49]
	v_add_f64 v[50:51], v[2:3], v[50:51]
	v_add_f64 v[48:49], v[0:1], v[48:49]
	s_delay_alu instid0(VALU_DEP_4) | instskip(NEXT) | instid1(VALU_DEP_4)
	v_cvt_f32_f64_e32 v52, v[52:53]
	v_cvt_f32_f64_e32 v54, v[54:55]
	s_delay_alu instid0(VALU_DEP_3) | instskip(SKIP_3) | instid1(VALU_DEP_4)
	v_cvt_f32_f64_e32 v48, v[48:49]
	v_cvt_f32_f64_e32 v49, v[50:51]
	s_waitcnt lgkmcnt(7)
	v_add_f64 v[50:51], v[12:13], v[44:45]
	v_min3_f32 v107, v54, v52, v107
	s_delay_alu instid0(VALU_DEP_3) | instskip(SKIP_1) | instid1(VALU_DEP_4)
	v_min3_f32 v106, v48, v49, v106
	v_add_f64 v[48:49], v[14:15], v[46:47]
	v_cvt_f32_f64_e32 v50, v[50:51]
	s_delay_alu instid0(VALU_DEP_2) | instskip(NEXT) | instid1(VALU_DEP_1)
	v_cvt_f32_f64_e32 v48, v[48:49]
	v_min3_f32 v105, v50, v48, v105
	v_add_f64 v[48:49], v[10:11], v[46:47]
	v_add_f64 v[50:51], v[8:9], v[44:45]
	s_delay_alu instid0(VALU_DEP_2) | instskip(NEXT) | instid1(VALU_DEP_2)
	v_cvt_f32_f64_e32 v48, v[48:49]
	v_cvt_f32_f64_e32 v50, v[50:51]
	s_delay_alu instid0(VALU_DEP_1) | instskip(SKIP_4) | instid1(VALU_DEP_4)
	v_min3_f32 v104, v50, v48, v104
	v_add_f64 v[48:49], v[6:7], v[46:47]
	v_add_f64 v[50:51], v[4:5], v[44:45]
	v_add_f64 v[46:47], v[2:3], v[46:47]
	v_add_f64 v[44:45], v[0:1], v[44:45]
	v_cvt_f32_f64_e32 v48, v[48:49]
	s_delay_alu instid0(VALU_DEP_4) | instskip(NEXT) | instid1(VALU_DEP_3)
	v_cvt_f32_f64_e32 v50, v[50:51]
	v_cvt_f32_f64_e32 v44, v[44:45]
	v_cvt_f32_f64_e32 v45, v[46:47]
	s_waitcnt lgkmcnt(6)
	v_add_f64 v[46:47], v[12:13], v[40:41]
	s_delay_alu instid0(VALU_DEP_4) | instskip(NEXT) | instid1(VALU_DEP_3)
	v_min3_f32 v103, v50, v48, v103
	v_min3_f32 v102, v44, v45, v102
	v_add_f64 v[44:45], v[14:15], v[42:43]
	s_delay_alu instid0(VALU_DEP_4) | instskip(NEXT) | instid1(VALU_DEP_2)
	v_cvt_f32_f64_e32 v46, v[46:47]
	v_cvt_f32_f64_e32 v44, v[44:45]
	s_delay_alu instid0(VALU_DEP_1) | instskip(SKIP_2) | instid1(VALU_DEP_2)
	v_min3_f32 v101, v46, v44, v101
	v_add_f64 v[44:45], v[10:11], v[42:43]
	v_add_f64 v[46:47], v[8:9], v[40:41]
	v_cvt_f32_f64_e32 v44, v[44:45]
	s_delay_alu instid0(VALU_DEP_2) | instskip(NEXT) | instid1(VALU_DEP_1)
	v_cvt_f32_f64_e32 v46, v[46:47]
	v_min3_f32 v100, v46, v44, v100
	v_add_f64 v[44:45], v[6:7], v[42:43]
	v_add_f64 v[46:47], v[4:5], v[40:41]
	v_add_f64 v[42:43], v[2:3], v[42:43]
	v_add_f64 v[40:41], v[0:1], v[40:41]
	s_delay_alu instid0(VALU_DEP_4) | instskip(NEXT) | instid1(VALU_DEP_4)
	v_cvt_f32_f64_e32 v44, v[44:45]
	v_cvt_f32_f64_e32 v46, v[46:47]
	s_delay_alu instid0(VALU_DEP_3) | instskip(SKIP_3) | instid1(VALU_DEP_4)
	v_cvt_f32_f64_e32 v40, v[40:41]
	v_cvt_f32_f64_e32 v41, v[42:43]
	s_waitcnt lgkmcnt(5)
	v_add_f64 v[42:43], v[12:13], v[36:37]
	v_min3_f32 v99, v46, v44, v99
	s_delay_alu instid0(VALU_DEP_3) | instskip(SKIP_1) | instid1(VALU_DEP_4)
	v_min3_f32 v98, v40, v41, v98
	;; [unrolled: 53-line block ×3, first 2 shown]
	v_add_f64 v[32:33], v[14:15], v[30:31]
	v_cvt_f32_f64_e32 v34, v[34:35]
	s_delay_alu instid0(VALU_DEP_2) | instskip(NEXT) | instid1(VALU_DEP_1)
	v_cvt_f32_f64_e32 v32, v[32:33]
	v_min3_f32 v89, v34, v32, v89
	v_add_f64 v[32:33], v[10:11], v[30:31]
	v_add_f64 v[34:35], v[8:9], v[28:29]
	s_delay_alu instid0(VALU_DEP_2) | instskip(NEXT) | instid1(VALU_DEP_2)
	v_cvt_f32_f64_e32 v32, v[32:33]
	v_cvt_f32_f64_e32 v34, v[34:35]
	s_delay_alu instid0(VALU_DEP_1) | instskip(SKIP_4) | instid1(VALU_DEP_4)
	v_min3_f32 v88, v34, v32, v88
	v_add_f64 v[32:33], v[6:7], v[30:31]
	v_add_f64 v[34:35], v[4:5], v[28:29]
	;; [unrolled: 1-line block ×4, first 2 shown]
	v_cvt_f32_f64_e32 v32, v[32:33]
	s_delay_alu instid0(VALU_DEP_4) | instskip(NEXT) | instid1(VALU_DEP_3)
	v_cvt_f32_f64_e32 v34, v[34:35]
	v_cvt_f32_f64_e32 v28, v[28:29]
	;; [unrolled: 1-line block ×3, first 2 shown]
	s_waitcnt lgkmcnt(2)
	v_add_f64 v[30:31], v[12:13], v[24:25]
	s_delay_alu instid0(VALU_DEP_4) | instskip(NEXT) | instid1(VALU_DEP_3)
	v_min3_f32 v87, v34, v32, v87
	v_min3_f32 v86, v28, v29, v86
	v_add_f64 v[28:29], v[14:15], v[26:27]
	s_delay_alu instid0(VALU_DEP_4) | instskip(NEXT) | instid1(VALU_DEP_2)
	v_cvt_f32_f64_e32 v30, v[30:31]
	v_cvt_f32_f64_e32 v28, v[28:29]
	s_delay_alu instid0(VALU_DEP_1) | instskip(SKIP_2) | instid1(VALU_DEP_2)
	v_min3_f32 v85, v30, v28, v85
	v_add_f64 v[28:29], v[10:11], v[26:27]
	v_add_f64 v[30:31], v[8:9], v[24:25]
	v_cvt_f32_f64_e32 v28, v[28:29]
	s_delay_alu instid0(VALU_DEP_2) | instskip(NEXT) | instid1(VALU_DEP_1)
	v_cvt_f32_f64_e32 v30, v[30:31]
	v_min3_f32 v84, v30, v28, v84
	v_add_f64 v[28:29], v[6:7], v[26:27]
	v_add_f64 v[30:31], v[4:5], v[24:25]
	;; [unrolled: 1-line block ×4, first 2 shown]
	s_delay_alu instid0(VALU_DEP_4) | instskip(NEXT) | instid1(VALU_DEP_4)
	v_cvt_f32_f64_e32 v28, v[28:29]
	v_cvt_f32_f64_e32 v30, v[30:31]
	s_delay_alu instid0(VALU_DEP_3)
	v_cvt_f32_f64_e32 v24, v[24:25]
	v_cvt_f32_f64_e32 v25, v[26:27]
	s_waitcnt lgkmcnt(1)
	v_add_f64 v[26:27], v[12:13], v[20:21]
	s_waitcnt lgkmcnt(0)
	v_add_f64 v[12:13], v[12:13], v[16:17]
	v_min3_f32 v83, v30, v28, v83
	s_delay_alu instid0(VALU_DEP_4) | instskip(SKIP_4) | instid1(VALU_DEP_4)
	v_min3_f32 v82, v24, v25, v82
	v_add_f64 v[24:25], v[14:15], v[22:23]
	v_cvt_f32_f64_e32 v26, v[26:27]
	v_add_f64 v[14:15], v[14:15], v[18:19]
	v_cvt_f32_f64_e32 v12, v[12:13]
	v_cvt_f32_f64_e32 v24, v[24:25]
	s_delay_alu instid0(VALU_DEP_3) | instskip(NEXT) | instid1(VALU_DEP_2)
	v_cvt_f32_f64_e32 v13, v[14:15]
	v_min3_f32 v81, v26, v24, v81
	v_add_f64 v[24:25], v[10:11], v[22:23]
	v_add_f64 v[26:27], v[8:9], v[20:21]
	;; [unrolled: 1-line block ×4, first 2 shown]
	v_min3_f32 v77, v12, v13, v77
	v_cvt_f32_f64_e32 v24, v[24:25]
	v_cvt_f32_f64_e32 v26, v[26:27]
	s_delay_alu instid0(VALU_DEP_4) | instskip(SKIP_1) | instid1(VALU_DEP_3)
	v_cvt_f32_f64_e32 v8, v[8:9]
	v_cvt_f32_f64_e32 v9, v[10:11]
	v_min3_f32 v80, v26, v24, v80
	v_add_f64 v[24:25], v[6:7], v[22:23]
	v_add_f64 v[26:27], v[4:5], v[20:21]
	;; [unrolled: 1-line block ×8, first 2 shown]
	v_min3_f32 v76, v8, v9, v76
	v_cvt_f32_f64_e32 v24, v[24:25]
	v_cvt_f32_f64_e32 v26, v[26:27]
	;; [unrolled: 1-line block ×8, first 2 shown]
	v_min3_f32 v79, v26, v24, v79
	v_min3_f32 v78, v20, v21, v78
	;; [unrolled: 1-line block ×3, first 2 shown]
	s_delay_alu instid0(VALU_DEP_4)
	v_min3_f32 v74, v0, v1, v74
	s_cbranch_vccz .LBB164_19
; %bb.20:
	s_load_b32 s23, s[0:1], 0x8
	s_mov_b32 s14, 8
	ds_store_2addr_stride64_b64 v141, v[56:57], v[58:59] offset0:8 offset1:12
	ds_store_2addr_stride64_b64 v141, v[60:61], v[62:63] offset0:24 offset1:28
	s_waitcnt lgkmcnt(0)
	s_barrier
	buffer_gl0_inv
	s_cmp_gt_i32 s23, 8
	s_cbranch_scc0 .LBB164_37
; %bb.21:
	v_mad_i64_i32 v[0:1], null, v64, s20, 0
	v_mad_i64_i32 v[2:3], null, v65, s20, 0
	;; [unrolled: 1-line block ×4, first 2 shown]
	s_delay_alu instid0(VALU_DEP_4)
	v_lshlrev_b64 v[56:57], 3, v[0:1]
	v_add_nc_u32_e32 v143, 0x1000, v141
	v_lshlrev_b64 v[58:59], 3, v[2:3]
	v_dual_mov_b32 v65, 0 :: v_dual_add_nc_u32 v144, 0x3000, v141
	v_lshlrev_b64 v[60:61], 3, v[4:5]
	v_lshlrev_b64 v[62:63], 3, v[6:7]
	s_add_i32 s20, s23, -8
	s_mov_b32 s21, 0
.LBB164_22:                             ; =>This Loop Header: Depth=1
                                        ;     Child Loop BB164_28 Depth 2
                                        ;     Child Loop BB164_35 Depth 2
	v_or_b32_e32 v64, s14, v140
	s_and_b32 vcc_lo, exec_lo, s3
	s_cbranch_vccnz .LBB164_25
; %bb.23:                               ;   in Loop: Header=BB164_22 Depth=1
	s_delay_alu instid0(VALU_DEP_1) | instskip(NEXT) | instid1(VALU_DEP_1)
	v_lshlrev_b64 v[0:1], 3, v[64:65]
	v_add_co_u32 v2, vcc_lo, s12, v0
	s_delay_alu instid0(VALU_DEP_2) | instskip(NEXT) | instid1(VALU_DEP_2)
	v_add_co_ci_u32_e32 v3, vcc_lo, s13, v1, vcc_lo
	v_add_co_u32 v0, vcc_lo, v2, v56
	s_delay_alu instid0(VALU_DEP_2)
	v_add_co_ci_u32_e32 v1, vcc_lo, v3, v57, vcc_lo
	v_add_co_u32 v2, vcc_lo, v2, v58
	v_add_co_ci_u32_e32 v3, vcc_lo, v3, v59, vcc_lo
	s_clause 0x1
	flat_load_b64 v[0:1], v[0:1]
	flat_load_b64 v[2:3], v[2:3]
	s_waitcnt vmcnt(1) lgkmcnt(1)
	v_mul_f64 v[66:67], v[0:1], s[16:17]
	s_waitcnt vmcnt(0) lgkmcnt(0)
	v_mul_f64 v[68:69], v[2:3], s[16:17]
	s_and_b32 vcc_lo, exec_lo, s3
	s_cbranch_vccnz .LBB164_26
.LBB164_24:                             ;   in Loop: Header=BB164_22 Depth=1
	v_lshlrev_b64 v[0:1], 3, v[64:65]
	s_delay_alu instid0(VALU_DEP_1) | instskip(NEXT) | instid1(VALU_DEP_2)
	v_add_co_u32 v2, vcc_lo, s18, v0
	v_add_co_ci_u32_e32 v3, vcc_lo, s19, v1, vcc_lo
	s_delay_alu instid0(VALU_DEP_2) | instskip(NEXT) | instid1(VALU_DEP_2)
	v_add_co_u32 v0, vcc_lo, v2, v60
	v_add_co_ci_u32_e32 v1, vcc_lo, v3, v61, vcc_lo
	v_add_co_u32 v2, vcc_lo, v2, v62
	v_add_co_ci_u32_e32 v3, vcc_lo, v3, v63, vcc_lo
	s_clause 0x1
	flat_load_b64 v[0:1], v[0:1]
	flat_load_b64 v[2:3], v[2:3]
	s_waitcnt vmcnt(1) lgkmcnt(1)
	v_mul_f64 v[70:71], v[0:1], s[16:17]
	s_waitcnt vmcnt(0) lgkmcnt(0)
	v_mul_f64 v[72:73], v[2:3], s[16:17]
	s_branch .LBB164_27
.LBB164_25:                             ;   in Loop: Header=BB164_22 Depth=1
	v_mov_b32_e32 v66, 0
	v_dual_mov_b32 v67, 0 :: v_dual_mov_b32 v68, 0
	v_mov_b32_e32 v69, 0
	s_and_b32 vcc_lo, exec_lo, s3
	s_cbranch_vccz .LBB164_24
.LBB164_26:                             ;   in Loop: Header=BB164_22 Depth=1
	v_mov_b32_e32 v70, 0
	v_dual_mov_b32 v71, 0 :: v_dual_mov_b32 v72, 0
	v_mov_b32_e32 v73, 0
.LBB164_27:                             ;   in Loop: Header=BB164_22 Depth=1
	s_mov_b32 s24, 0
	s_mov_b32 s23, -1
.LBB164_28:                             ;   Parent Loop BB164_22 Depth=1
                                        ; =>  This Inner Loop Header: Depth=2
	s_lshl_b32 s24, s24, 3
	s_and_not1_b32 vcc_lo, exec_lo, s23
	v_lshl_add_u32 v0, v133, 5, s24
	v_lshl_add_u32 v16, v134, 5, s24
	s_mov_b32 s24, 2
	s_mov_b32 s23, 0
	ds_load_b128 v[12:15], v0 offset:4096
	ds_load_b128 v[8:11], v0 offset:5120
	;; [unrolled: 1-line block ×20, first 2 shown]
	s_waitcnt lgkmcnt(15)
	v_add_f64 v[169:170], v[14:15], v[147:148]
	v_add_f64 v[171:172], v[12:13], v[145:146]
	s_delay_alu instid0(VALU_DEP_2) | instskip(NEXT) | instid1(VALU_DEP_2)
	v_cvt_f32_f64_e32 v169, v[169:170]
	v_cvt_f32_f64_e32 v171, v[171:172]
	s_delay_alu instid0(VALU_DEP_1) | instskip(SKIP_2) | instid1(VALU_DEP_2)
	v_min3_f32 v139, v171, v169, v139
	v_add_f64 v[169:170], v[10:11], v[147:148]
	v_add_f64 v[171:172], v[8:9], v[145:146]
	v_cvt_f32_f64_e32 v169, v[169:170]
	s_delay_alu instid0(VALU_DEP_2) | instskip(NEXT) | instid1(VALU_DEP_1)
	v_cvt_f32_f64_e32 v171, v[171:172]
	v_min3_f32 v138, v171, v169, v138
	v_add_f64 v[169:170], v[6:7], v[147:148]
	v_add_f64 v[171:172], v[4:5], v[145:146]
	;; [unrolled: 1-line block ×4, first 2 shown]
	s_delay_alu instid0(VALU_DEP_4) | instskip(NEXT) | instid1(VALU_DEP_4)
	v_cvt_f32_f64_e32 v169, v[169:170]
	v_cvt_f32_f64_e32 v171, v[171:172]
	s_delay_alu instid0(VALU_DEP_3) | instskip(SKIP_3) | instid1(VALU_DEP_4)
	v_cvt_f32_f64_e32 v145, v[145:146]
	v_cvt_f32_f64_e32 v146, v[147:148]
	s_waitcnt lgkmcnt(14)
	v_add_f64 v[147:148], v[12:13], v[149:150]
	v_min3_f32 v137, v171, v169, v137
	s_delay_alu instid0(VALU_DEP_3) | instskip(SKIP_1) | instid1(VALU_DEP_4)
	v_min3_f32 v136, v145, v146, v136
	v_add_f64 v[145:146], v[14:15], v[151:152]
	v_cvt_f32_f64_e32 v147, v[147:148]
	s_delay_alu instid0(VALU_DEP_2) | instskip(NEXT) | instid1(VALU_DEP_1)
	v_cvt_f32_f64_e32 v145, v[145:146]
	v_min3_f32 v135, v147, v145, v135
	v_add_f64 v[145:146], v[10:11], v[151:152]
	v_add_f64 v[147:148], v[8:9], v[149:150]
	s_delay_alu instid0(VALU_DEP_2) | instskip(NEXT) | instid1(VALU_DEP_2)
	v_cvt_f32_f64_e32 v145, v[145:146]
	v_cvt_f32_f64_e32 v147, v[147:148]
	s_delay_alu instid0(VALU_DEP_1) | instskip(SKIP_2) | instid1(VALU_DEP_2)
	v_min3_f32 v132, v147, v145, v132
	v_add_f64 v[145:146], v[6:7], v[151:152]
	v_add_f64 v[147:148], v[4:5], v[149:150]
	v_cvt_f32_f64_e32 v145, v[145:146]
	s_delay_alu instid0(VALU_DEP_2) | instskip(NEXT) | instid1(VALU_DEP_1)
	v_cvt_f32_f64_e32 v147, v[147:148]
	v_min3_f32 v131, v147, v145, v131
	v_add_f64 v[145:146], v[2:3], v[151:152]
	v_add_f64 v[147:148], v[0:1], v[149:150]
	s_delay_alu instid0(VALU_DEP_2) | instskip(NEXT) | instid1(VALU_DEP_2)
	v_cvt_f32_f64_e32 v145, v[145:146]
	v_cvt_f32_f64_e32 v147, v[147:148]
	s_delay_alu instid0(VALU_DEP_1) | instskip(SKIP_3) | instid1(VALU_DEP_2)
	v_min3_f32 v130, v147, v145, v130
	s_waitcnt lgkmcnt(13)
	v_add_f64 v[145:146], v[14:15], v[155:156]
	v_add_f64 v[147:148], v[12:13], v[153:154]
	v_cvt_f32_f64_e32 v145, v[145:146]
	s_delay_alu instid0(VALU_DEP_2) | instskip(NEXT) | instid1(VALU_DEP_1)
	v_cvt_f32_f64_e32 v147, v[147:148]
	v_min3_f32 v129, v147, v145, v129
	v_add_f64 v[145:146], v[10:11], v[155:156]
	v_add_f64 v[147:148], v[8:9], v[153:154]
	s_delay_alu instid0(VALU_DEP_2) | instskip(NEXT) | instid1(VALU_DEP_2)
	v_cvt_f32_f64_e32 v145, v[145:146]
	v_cvt_f32_f64_e32 v147, v[147:148]
	s_delay_alu instid0(VALU_DEP_1) | instskip(SKIP_2) | instid1(VALU_DEP_2)
	v_min3_f32 v128, v147, v145, v128
	v_add_f64 v[145:146], v[6:7], v[155:156]
	v_add_f64 v[147:148], v[4:5], v[153:154]
	v_cvt_f32_f64_e32 v145, v[145:146]
	s_delay_alu instid0(VALU_DEP_2) | instskip(NEXT) | instid1(VALU_DEP_1)
	v_cvt_f32_f64_e32 v147, v[147:148]
	v_min3_f32 v127, v147, v145, v127
	v_add_f64 v[145:146], v[2:3], v[155:156]
	v_add_f64 v[147:148], v[0:1], v[153:154]
	s_delay_alu instid0(VALU_DEP_2) | instskip(NEXT) | instid1(VALU_DEP_2)
	v_cvt_f32_f64_e32 v145, v[145:146]
	v_cvt_f32_f64_e32 v147, v[147:148]
	s_delay_alu instid0(VALU_DEP_1) | instskip(SKIP_3) | instid1(VALU_DEP_2)
	v_min3_f32 v126, v147, v145, v126
	s_waitcnt lgkmcnt(12)
	v_add_f64 v[145:146], v[14:15], v[159:160]
	;; [unrolled: 27-line block ×5, first 2 shown]
	v_add_f64 v[147:148], v[12:13], v[52:53]
	v_cvt_f32_f64_e32 v145, v[145:146]
	s_delay_alu instid0(VALU_DEP_2) | instskip(NEXT) | instid1(VALU_DEP_1)
	v_cvt_f32_f64_e32 v147, v[147:148]
	v_min3_f32 v113, v147, v145, v113
	v_add_f64 v[145:146], v[10:11], v[54:55]
	v_add_f64 v[147:148], v[8:9], v[52:53]
	s_delay_alu instid0(VALU_DEP_2) | instskip(NEXT) | instid1(VALU_DEP_2)
	v_cvt_f32_f64_e32 v145, v[145:146]
	v_cvt_f32_f64_e32 v147, v[147:148]
	s_delay_alu instid0(VALU_DEP_1) | instskip(SKIP_4) | instid1(VALU_DEP_4)
	v_min3_f32 v112, v147, v145, v112
	v_add_f64 v[145:146], v[6:7], v[54:55]
	v_add_f64 v[147:148], v[4:5], v[52:53]
	v_add_f64 v[54:55], v[2:3], v[54:55]
	v_add_f64 v[52:53], v[0:1], v[52:53]
	v_cvt_f32_f64_e32 v145, v[145:146]
	s_delay_alu instid0(VALU_DEP_4) | instskip(NEXT) | instid1(VALU_DEP_3)
	v_cvt_f32_f64_e32 v147, v[147:148]
	v_cvt_f32_f64_e32 v52, v[52:53]
	v_cvt_f32_f64_e32 v53, v[54:55]
	s_waitcnt lgkmcnt(8)
	v_add_f64 v[54:55], v[12:13], v[48:49]
	s_delay_alu instid0(VALU_DEP_4) | instskip(NEXT) | instid1(VALU_DEP_3)
	v_min3_f32 v111, v147, v145, v111
	v_min3_f32 v110, v52, v53, v110
	v_add_f64 v[52:53], v[14:15], v[50:51]
	s_delay_alu instid0(VALU_DEP_4) | instskip(NEXT) | instid1(VALU_DEP_2)
	v_cvt_f32_f64_e32 v54, v[54:55]
	v_cvt_f32_f64_e32 v52, v[52:53]
	s_delay_alu instid0(VALU_DEP_1) | instskip(SKIP_2) | instid1(VALU_DEP_2)
	v_min3_f32 v109, v54, v52, v109
	v_add_f64 v[52:53], v[10:11], v[50:51]
	v_add_f64 v[54:55], v[8:9], v[48:49]
	v_cvt_f32_f64_e32 v52, v[52:53]
	s_delay_alu instid0(VALU_DEP_2) | instskip(NEXT) | instid1(VALU_DEP_1)
	v_cvt_f32_f64_e32 v54, v[54:55]
	v_min3_f32 v108, v54, v52, v108
	v_add_f64 v[52:53], v[6:7], v[50:51]
	v_add_f64 v[54:55], v[4:5], v[48:49]
	v_add_f64 v[50:51], v[2:3], v[50:51]
	v_add_f64 v[48:49], v[0:1], v[48:49]
	s_delay_alu instid0(VALU_DEP_4) | instskip(NEXT) | instid1(VALU_DEP_4)
	v_cvt_f32_f64_e32 v52, v[52:53]
	v_cvt_f32_f64_e32 v54, v[54:55]
	s_delay_alu instid0(VALU_DEP_3) | instskip(SKIP_3) | instid1(VALU_DEP_4)
	v_cvt_f32_f64_e32 v48, v[48:49]
	v_cvt_f32_f64_e32 v49, v[50:51]
	s_waitcnt lgkmcnt(7)
	v_add_f64 v[50:51], v[12:13], v[44:45]
	v_min3_f32 v107, v54, v52, v107
	s_delay_alu instid0(VALU_DEP_3) | instskip(SKIP_1) | instid1(VALU_DEP_4)
	v_min3_f32 v106, v48, v49, v106
	v_add_f64 v[48:49], v[14:15], v[46:47]
	v_cvt_f32_f64_e32 v50, v[50:51]
	s_delay_alu instid0(VALU_DEP_2) | instskip(NEXT) | instid1(VALU_DEP_1)
	v_cvt_f32_f64_e32 v48, v[48:49]
	v_min3_f32 v105, v50, v48, v105
	v_add_f64 v[48:49], v[10:11], v[46:47]
	v_add_f64 v[50:51], v[8:9], v[44:45]
	s_delay_alu instid0(VALU_DEP_2) | instskip(NEXT) | instid1(VALU_DEP_2)
	v_cvt_f32_f64_e32 v48, v[48:49]
	v_cvt_f32_f64_e32 v50, v[50:51]
	s_delay_alu instid0(VALU_DEP_1) | instskip(SKIP_4) | instid1(VALU_DEP_4)
	v_min3_f32 v104, v50, v48, v104
	v_add_f64 v[48:49], v[6:7], v[46:47]
	v_add_f64 v[50:51], v[4:5], v[44:45]
	v_add_f64 v[46:47], v[2:3], v[46:47]
	v_add_f64 v[44:45], v[0:1], v[44:45]
	v_cvt_f32_f64_e32 v48, v[48:49]
	s_delay_alu instid0(VALU_DEP_4) | instskip(NEXT) | instid1(VALU_DEP_3)
	v_cvt_f32_f64_e32 v50, v[50:51]
	v_cvt_f32_f64_e32 v44, v[44:45]
	v_cvt_f32_f64_e32 v45, v[46:47]
	s_waitcnt lgkmcnt(6)
	v_add_f64 v[46:47], v[12:13], v[40:41]
	s_delay_alu instid0(VALU_DEP_4) | instskip(NEXT) | instid1(VALU_DEP_3)
	v_min3_f32 v103, v50, v48, v103
	v_min3_f32 v102, v44, v45, v102
	v_add_f64 v[44:45], v[14:15], v[42:43]
	s_delay_alu instid0(VALU_DEP_4) | instskip(NEXT) | instid1(VALU_DEP_2)
	v_cvt_f32_f64_e32 v46, v[46:47]
	v_cvt_f32_f64_e32 v44, v[44:45]
	s_delay_alu instid0(VALU_DEP_1) | instskip(SKIP_2) | instid1(VALU_DEP_2)
	v_min3_f32 v101, v46, v44, v101
	v_add_f64 v[44:45], v[10:11], v[42:43]
	v_add_f64 v[46:47], v[8:9], v[40:41]
	v_cvt_f32_f64_e32 v44, v[44:45]
	s_delay_alu instid0(VALU_DEP_2) | instskip(NEXT) | instid1(VALU_DEP_1)
	v_cvt_f32_f64_e32 v46, v[46:47]
	v_min3_f32 v100, v46, v44, v100
	v_add_f64 v[44:45], v[6:7], v[42:43]
	v_add_f64 v[46:47], v[4:5], v[40:41]
	v_add_f64 v[42:43], v[2:3], v[42:43]
	v_add_f64 v[40:41], v[0:1], v[40:41]
	s_delay_alu instid0(VALU_DEP_4) | instskip(NEXT) | instid1(VALU_DEP_4)
	v_cvt_f32_f64_e32 v44, v[44:45]
	v_cvt_f32_f64_e32 v46, v[46:47]
	s_delay_alu instid0(VALU_DEP_3) | instskip(SKIP_3) | instid1(VALU_DEP_4)
	v_cvt_f32_f64_e32 v40, v[40:41]
	v_cvt_f32_f64_e32 v41, v[42:43]
	s_waitcnt lgkmcnt(5)
	v_add_f64 v[42:43], v[12:13], v[36:37]
	v_min3_f32 v99, v46, v44, v99
	s_delay_alu instid0(VALU_DEP_3) | instskip(SKIP_1) | instid1(VALU_DEP_4)
	v_min3_f32 v98, v40, v41, v98
	;; [unrolled: 53-line block ×3, first 2 shown]
	v_add_f64 v[32:33], v[14:15], v[30:31]
	v_cvt_f32_f64_e32 v34, v[34:35]
	s_delay_alu instid0(VALU_DEP_2) | instskip(NEXT) | instid1(VALU_DEP_1)
	v_cvt_f32_f64_e32 v32, v[32:33]
	v_min3_f32 v89, v34, v32, v89
	v_add_f64 v[32:33], v[10:11], v[30:31]
	v_add_f64 v[34:35], v[8:9], v[28:29]
	s_delay_alu instid0(VALU_DEP_2) | instskip(NEXT) | instid1(VALU_DEP_2)
	v_cvt_f32_f64_e32 v32, v[32:33]
	v_cvt_f32_f64_e32 v34, v[34:35]
	s_delay_alu instid0(VALU_DEP_1) | instskip(SKIP_4) | instid1(VALU_DEP_4)
	v_min3_f32 v88, v34, v32, v88
	v_add_f64 v[32:33], v[6:7], v[30:31]
	v_add_f64 v[34:35], v[4:5], v[28:29]
	;; [unrolled: 1-line block ×4, first 2 shown]
	v_cvt_f32_f64_e32 v32, v[32:33]
	s_delay_alu instid0(VALU_DEP_4) | instskip(NEXT) | instid1(VALU_DEP_3)
	v_cvt_f32_f64_e32 v34, v[34:35]
	v_cvt_f32_f64_e32 v28, v[28:29]
	;; [unrolled: 1-line block ×3, first 2 shown]
	s_waitcnt lgkmcnt(2)
	v_add_f64 v[30:31], v[12:13], v[24:25]
	s_delay_alu instid0(VALU_DEP_4) | instskip(NEXT) | instid1(VALU_DEP_3)
	v_min3_f32 v87, v34, v32, v87
	v_min3_f32 v86, v28, v29, v86
	v_add_f64 v[28:29], v[14:15], v[26:27]
	s_delay_alu instid0(VALU_DEP_4) | instskip(NEXT) | instid1(VALU_DEP_2)
	v_cvt_f32_f64_e32 v30, v[30:31]
	v_cvt_f32_f64_e32 v28, v[28:29]
	s_delay_alu instid0(VALU_DEP_1) | instskip(SKIP_2) | instid1(VALU_DEP_2)
	v_min3_f32 v85, v30, v28, v85
	v_add_f64 v[28:29], v[10:11], v[26:27]
	v_add_f64 v[30:31], v[8:9], v[24:25]
	v_cvt_f32_f64_e32 v28, v[28:29]
	s_delay_alu instid0(VALU_DEP_2) | instskip(NEXT) | instid1(VALU_DEP_1)
	v_cvt_f32_f64_e32 v30, v[30:31]
	v_min3_f32 v84, v30, v28, v84
	v_add_f64 v[28:29], v[6:7], v[26:27]
	v_add_f64 v[30:31], v[4:5], v[24:25]
	;; [unrolled: 1-line block ×4, first 2 shown]
	s_delay_alu instid0(VALU_DEP_4) | instskip(NEXT) | instid1(VALU_DEP_4)
	v_cvt_f32_f64_e32 v28, v[28:29]
	v_cvt_f32_f64_e32 v30, v[30:31]
	s_delay_alu instid0(VALU_DEP_3)
	v_cvt_f32_f64_e32 v24, v[24:25]
	v_cvt_f32_f64_e32 v25, v[26:27]
	s_waitcnt lgkmcnt(1)
	v_add_f64 v[26:27], v[12:13], v[20:21]
	s_waitcnt lgkmcnt(0)
	v_add_f64 v[12:13], v[12:13], v[16:17]
	v_min3_f32 v83, v30, v28, v83
	s_delay_alu instid0(VALU_DEP_4) | instskip(SKIP_4) | instid1(VALU_DEP_4)
	v_min3_f32 v82, v24, v25, v82
	v_add_f64 v[24:25], v[14:15], v[22:23]
	v_cvt_f32_f64_e32 v26, v[26:27]
	v_add_f64 v[14:15], v[14:15], v[18:19]
	v_cvt_f32_f64_e32 v12, v[12:13]
	v_cvt_f32_f64_e32 v24, v[24:25]
	s_delay_alu instid0(VALU_DEP_3) | instskip(NEXT) | instid1(VALU_DEP_2)
	v_cvt_f32_f64_e32 v13, v[14:15]
	v_min3_f32 v81, v26, v24, v81
	v_add_f64 v[24:25], v[10:11], v[22:23]
	v_add_f64 v[26:27], v[8:9], v[20:21]
	;; [unrolled: 1-line block ×4, first 2 shown]
	v_min3_f32 v77, v12, v13, v77
	v_cvt_f32_f64_e32 v24, v[24:25]
	v_cvt_f32_f64_e32 v26, v[26:27]
	s_delay_alu instid0(VALU_DEP_4) | instskip(SKIP_1) | instid1(VALU_DEP_3)
	v_cvt_f32_f64_e32 v8, v[8:9]
	v_cvt_f32_f64_e32 v9, v[10:11]
	v_min3_f32 v80, v26, v24, v80
	v_add_f64 v[24:25], v[6:7], v[22:23]
	v_add_f64 v[26:27], v[4:5], v[20:21]
	;; [unrolled: 1-line block ×8, first 2 shown]
	v_min3_f32 v76, v8, v9, v76
	v_cvt_f32_f64_e32 v24, v[24:25]
	v_cvt_f32_f64_e32 v26, v[26:27]
	;; [unrolled: 1-line block ×8, first 2 shown]
	v_min3_f32 v79, v26, v24, v79
	v_min3_f32 v78, v20, v21, v78
	;; [unrolled: 1-line block ×3, first 2 shown]
	s_delay_alu instid0(VALU_DEP_4)
	v_min3_f32 v74, v0, v1, v74
	s_cbranch_vccz .LBB164_28
; %bb.29:                               ;   in Loop: Header=BB164_22 Depth=1
	s_and_b32 vcc_lo, exec_lo, s3
	ds_store_2addr_stride64_b64 v141, v[66:67], v[68:69] offset1:4
	ds_store_2addr_stride64_b64 v142, v[70:71], v[72:73] offset1:4
	s_waitcnt lgkmcnt(0)
	s_barrier
	buffer_gl0_inv
	s_cbranch_vccnz .LBB164_32
; %bb.30:                               ;   in Loop: Header=BB164_22 Depth=1
	v_lshlrev_b64 v[0:1], 3, v[64:65]
	s_delay_alu instid0(VALU_DEP_1) | instskip(NEXT) | instid1(VALU_DEP_2)
	v_add_co_u32 v2, vcc_lo, s12, v0
	v_add_co_ci_u32_e32 v3, vcc_lo, s13, v1, vcc_lo
	s_delay_alu instid0(VALU_DEP_2) | instskip(NEXT) | instid1(VALU_DEP_2)
	v_add_co_u32 v0, vcc_lo, v2, v56
	v_add_co_ci_u32_e32 v1, vcc_lo, v3, v57, vcc_lo
	v_add_co_u32 v2, vcc_lo, v2, v58
	v_add_co_ci_u32_e32 v3, vcc_lo, v3, v59, vcc_lo
	s_clause 0x1
	flat_load_b64 v[0:1], v[0:1] offset:32
	flat_load_b64 v[2:3], v[2:3] offset:32
	s_waitcnt vmcnt(1) lgkmcnt(1)
	v_mul_f64 v[66:67], v[0:1], s[16:17]
	s_waitcnt vmcnt(0) lgkmcnt(0)
	v_mul_f64 v[68:69], v[2:3], s[16:17]
	s_and_b32 vcc_lo, exec_lo, s3
	s_cbranch_vccnz .LBB164_33
.LBB164_31:                             ;   in Loop: Header=BB164_22 Depth=1
	v_lshlrev_b64 v[0:1], 3, v[64:65]
	s_delay_alu instid0(VALU_DEP_1) | instskip(NEXT) | instid1(VALU_DEP_2)
	v_add_co_u32 v2, vcc_lo, s18, v0
	v_add_co_ci_u32_e32 v3, vcc_lo, s19, v1, vcc_lo
	s_delay_alu instid0(VALU_DEP_2) | instskip(NEXT) | instid1(VALU_DEP_2)
	v_add_co_u32 v0, vcc_lo, v2, v60
	v_add_co_ci_u32_e32 v1, vcc_lo, v3, v61, vcc_lo
	v_add_co_u32 v2, vcc_lo, v2, v62
	v_add_co_ci_u32_e32 v3, vcc_lo, v3, v63, vcc_lo
	s_clause 0x1
	flat_load_b64 v[0:1], v[0:1] offset:32
	flat_load_b64 v[2:3], v[2:3] offset:32
	s_waitcnt vmcnt(1) lgkmcnt(1)
	v_mul_f64 v[70:71], v[0:1], s[16:17]
	s_waitcnt vmcnt(0) lgkmcnt(0)
	v_mul_f64 v[72:73], v[2:3], s[16:17]
	s_branch .LBB164_34
.LBB164_32:                             ;   in Loop: Header=BB164_22 Depth=1
	v_mov_b32_e32 v66, 0
	v_dual_mov_b32 v67, 0 :: v_dual_mov_b32 v68, 0
	v_mov_b32_e32 v69, 0
	s_and_b32 vcc_lo, exec_lo, s3
	s_cbranch_vccz .LBB164_31
.LBB164_33:                             ;   in Loop: Header=BB164_22 Depth=1
	v_mov_b32_e32 v70, 0
	v_dual_mov_b32 v71, 0 :: v_dual_mov_b32 v72, 0
	v_mov_b32_e32 v73, 0
.LBB164_34:                             ;   in Loop: Header=BB164_22 Depth=1
	s_mov_b32 s24, 0
	s_mov_b32 s23, -1
.LBB164_35:                             ;   Parent Loop BB164_22 Depth=1
                                        ; =>  This Inner Loop Header: Depth=2
	s_lshl_b32 s24, s24, 3
	s_and_not1_b32 vcc_lo, exec_lo, s23
	v_lshl_add_u32 v0, v133, 5, s24
	v_lshl_add_u32 v16, v134, 5, s24
	s_mov_b32 s24, 2
	s_mov_b32 s23, 0
	ds_load_b128 v[12:15], v0
	ds_load_b128 v[8:11], v0 offset:1024
	ds_load_b128 v[4:7], v0 offset:2048
	;; [unrolled: 1-line block ×19, first 2 shown]
	s_waitcnt lgkmcnt(15)
	v_add_f64 v[169:170], v[14:15], v[147:148]
	v_add_f64 v[171:172], v[12:13], v[145:146]
	s_delay_alu instid0(VALU_DEP_2) | instskip(NEXT) | instid1(VALU_DEP_2)
	v_cvt_f32_f64_e32 v169, v[169:170]
	v_cvt_f32_f64_e32 v64, v[171:172]
	v_add_f64 v[171:172], v[8:9], v[145:146]
	s_delay_alu instid0(VALU_DEP_2) | instskip(SKIP_1) | instid1(VALU_DEP_3)
	v_min3_f32 v139, v64, v169, v139
	v_add_f64 v[169:170], v[10:11], v[147:148]
	v_cvt_f32_f64_e32 v64, v[171:172]
	v_add_f64 v[171:172], v[4:5], v[145:146]
	v_add_f64 v[145:146], v[0:1], v[145:146]
	s_delay_alu instid0(VALU_DEP_4) | instskip(NEXT) | instid1(VALU_DEP_1)
	v_cvt_f32_f64_e32 v169, v[169:170]
	v_min3_f32 v138, v64, v169, v138
	v_add_f64 v[169:170], v[6:7], v[147:148]
	v_cvt_f32_f64_e32 v64, v[171:172]
	v_add_f64 v[147:148], v[2:3], v[147:148]
	s_delay_alu instid0(VALU_DEP_3) | instskip(NEXT) | instid1(VALU_DEP_1)
	v_cvt_f32_f64_e32 v169, v[169:170]
	v_min3_f32 v137, v64, v169, v137
	v_cvt_f32_f64_e32 v64, v[145:146]
	s_delay_alu instid0(VALU_DEP_4) | instskip(SKIP_2) | instid1(VALU_DEP_2)
	v_cvt_f32_f64_e32 v145, v[147:148]
	s_waitcnt lgkmcnt(14)
	v_add_f64 v[147:148], v[12:13], v[149:150]
	v_min3_f32 v136, v64, v145, v136
	v_add_f64 v[145:146], v[14:15], v[151:152]
	s_delay_alu instid0(VALU_DEP_3) | instskip(SKIP_1) | instid1(VALU_DEP_3)
	v_cvt_f32_f64_e32 v64, v[147:148]
	v_add_f64 v[147:148], v[8:9], v[149:150]
	v_cvt_f32_f64_e32 v145, v[145:146]
	s_delay_alu instid0(VALU_DEP_1) | instskip(SKIP_1) | instid1(VALU_DEP_4)
	v_min3_f32 v135, v64, v145, v135
	v_add_f64 v[145:146], v[10:11], v[151:152]
	v_cvt_f32_f64_e32 v64, v[147:148]
	v_add_f64 v[147:148], v[4:5], v[149:150]
	s_delay_alu instid0(VALU_DEP_3) | instskip(NEXT) | instid1(VALU_DEP_1)
	v_cvt_f32_f64_e32 v145, v[145:146]
	v_min3_f32 v132, v64, v145, v132
	v_add_f64 v[145:146], v[6:7], v[151:152]
	s_delay_alu instid0(VALU_DEP_4) | instskip(SKIP_1) | instid1(VALU_DEP_3)
	v_cvt_f32_f64_e32 v64, v[147:148]
	v_add_f64 v[147:148], v[0:1], v[149:150]
	v_cvt_f32_f64_e32 v145, v[145:146]
	s_delay_alu instid0(VALU_DEP_1) | instskip(SKIP_1) | instid1(VALU_DEP_4)
	v_min3_f32 v131, v64, v145, v131
	v_add_f64 v[145:146], v[2:3], v[151:152]
	v_cvt_f32_f64_e32 v64, v[147:148]
	s_waitcnt lgkmcnt(13)
	v_add_f64 v[147:148], v[12:13], v[153:154]
	s_delay_alu instid0(VALU_DEP_3) | instskip(NEXT) | instid1(VALU_DEP_1)
	v_cvt_f32_f64_e32 v145, v[145:146]
	v_min3_f32 v130, v64, v145, v130
	v_add_f64 v[145:146], v[14:15], v[155:156]
	s_delay_alu instid0(VALU_DEP_4) | instskip(SKIP_1) | instid1(VALU_DEP_3)
	v_cvt_f32_f64_e32 v64, v[147:148]
	v_add_f64 v[147:148], v[8:9], v[153:154]
	v_cvt_f32_f64_e32 v145, v[145:146]
	s_delay_alu instid0(VALU_DEP_1) | instskip(SKIP_1) | instid1(VALU_DEP_4)
	v_min3_f32 v129, v64, v145, v129
	v_add_f64 v[145:146], v[10:11], v[155:156]
	v_cvt_f32_f64_e32 v64, v[147:148]
	v_add_f64 v[147:148], v[4:5], v[153:154]
	s_delay_alu instid0(VALU_DEP_3) | instskip(NEXT) | instid1(VALU_DEP_1)
	v_cvt_f32_f64_e32 v145, v[145:146]
	v_min3_f32 v128, v64, v145, v128
	v_add_f64 v[145:146], v[6:7], v[155:156]
	s_delay_alu instid0(VALU_DEP_4) | instskip(SKIP_1) | instid1(VALU_DEP_3)
	v_cvt_f32_f64_e32 v64, v[147:148]
	v_add_f64 v[147:148], v[0:1], v[153:154]
	v_cvt_f32_f64_e32 v145, v[145:146]
	s_delay_alu instid0(VALU_DEP_1) | instskip(SKIP_1) | instid1(VALU_DEP_4)
	v_min3_f32 v127, v64, v145, v127
	v_add_f64 v[145:146], v[2:3], v[155:156]
	v_cvt_f32_f64_e32 v64, v[147:148]
	s_waitcnt lgkmcnt(12)
	v_add_f64 v[147:148], v[12:13], v[157:158]
	s_delay_alu instid0(VALU_DEP_3) | instskip(NEXT) | instid1(VALU_DEP_1)
	v_cvt_f32_f64_e32 v145, v[145:146]
	v_min3_f32 v126, v64, v145, v126
	v_add_f64 v[145:146], v[14:15], v[159:160]
	s_delay_alu instid0(VALU_DEP_4) | instskip(SKIP_1) | instid1(VALU_DEP_3)
	;; [unrolled: 27-line block ×5, first 2 shown]
	v_cvt_f32_f64_e32 v64, v[147:148]
	v_add_f64 v[147:148], v[8:9], v[52:53]
	v_cvt_f32_f64_e32 v145, v[145:146]
	s_delay_alu instid0(VALU_DEP_1) | instskip(SKIP_1) | instid1(VALU_DEP_4)
	v_min3_f32 v113, v64, v145, v113
	v_add_f64 v[145:146], v[10:11], v[54:55]
	v_cvt_f32_f64_e32 v64, v[147:148]
	v_add_f64 v[147:148], v[4:5], v[52:53]
	v_add_f64 v[52:53], v[0:1], v[52:53]
	s_delay_alu instid0(VALU_DEP_4) | instskip(NEXT) | instid1(VALU_DEP_2)
	v_cvt_f32_f64_e32 v145, v[145:146]
	v_cvt_f32_f64_e32 v52, v[52:53]
	s_delay_alu instid0(VALU_DEP_2) | instskip(SKIP_3) | instid1(VALU_DEP_3)
	v_min3_f32 v112, v64, v145, v112
	v_add_f64 v[145:146], v[6:7], v[54:55]
	v_add_f64 v[54:55], v[2:3], v[54:55]
	v_cvt_f32_f64_e32 v64, v[147:148]
	v_cvt_f32_f64_e32 v145, v[145:146]
	s_delay_alu instid0(VALU_DEP_3) | instskip(SKIP_2) | instid1(VALU_DEP_3)
	v_cvt_f32_f64_e32 v53, v[54:55]
	s_waitcnt lgkmcnt(8)
	v_add_f64 v[54:55], v[12:13], v[48:49]
	v_min3_f32 v111, v64, v145, v111
	s_delay_alu instid0(VALU_DEP_3) | instskip(SKIP_1) | instid1(VALU_DEP_4)
	v_min3_f32 v110, v52, v53, v110
	v_add_f64 v[52:53], v[14:15], v[50:51]
	v_cvt_f32_f64_e32 v54, v[54:55]
	s_delay_alu instid0(VALU_DEP_2) | instskip(NEXT) | instid1(VALU_DEP_1)
	v_cvt_f32_f64_e32 v52, v[52:53]
	v_min3_f32 v109, v54, v52, v109
	v_add_f64 v[52:53], v[10:11], v[50:51]
	v_add_f64 v[54:55], v[8:9], v[48:49]
	s_delay_alu instid0(VALU_DEP_2) | instskip(NEXT) | instid1(VALU_DEP_2)
	v_cvt_f32_f64_e32 v52, v[52:53]
	v_cvt_f32_f64_e32 v54, v[54:55]
	s_delay_alu instid0(VALU_DEP_1) | instskip(SKIP_4) | instid1(VALU_DEP_4)
	v_min3_f32 v108, v54, v52, v108
	v_add_f64 v[52:53], v[6:7], v[50:51]
	v_add_f64 v[54:55], v[4:5], v[48:49]
	v_add_f64 v[50:51], v[2:3], v[50:51]
	v_add_f64 v[48:49], v[0:1], v[48:49]
	v_cvt_f32_f64_e32 v52, v[52:53]
	s_delay_alu instid0(VALU_DEP_4) | instskip(NEXT) | instid1(VALU_DEP_3)
	v_cvt_f32_f64_e32 v54, v[54:55]
	v_cvt_f32_f64_e32 v48, v[48:49]
	v_cvt_f32_f64_e32 v49, v[50:51]
	s_waitcnt lgkmcnt(7)
	v_add_f64 v[50:51], v[12:13], v[44:45]
	s_delay_alu instid0(VALU_DEP_4) | instskip(NEXT) | instid1(VALU_DEP_3)
	v_min3_f32 v107, v54, v52, v107
	v_min3_f32 v106, v48, v49, v106
	v_add_f64 v[48:49], v[14:15], v[46:47]
	s_delay_alu instid0(VALU_DEP_4) | instskip(NEXT) | instid1(VALU_DEP_2)
	v_cvt_f32_f64_e32 v50, v[50:51]
	v_cvt_f32_f64_e32 v48, v[48:49]
	s_delay_alu instid0(VALU_DEP_1) | instskip(SKIP_2) | instid1(VALU_DEP_2)
	v_min3_f32 v105, v50, v48, v105
	v_add_f64 v[48:49], v[10:11], v[46:47]
	v_add_f64 v[50:51], v[8:9], v[44:45]
	v_cvt_f32_f64_e32 v48, v[48:49]
	s_delay_alu instid0(VALU_DEP_2) | instskip(NEXT) | instid1(VALU_DEP_1)
	v_cvt_f32_f64_e32 v50, v[50:51]
	v_min3_f32 v104, v50, v48, v104
	v_add_f64 v[48:49], v[6:7], v[46:47]
	v_add_f64 v[50:51], v[4:5], v[44:45]
	v_add_f64 v[46:47], v[2:3], v[46:47]
	v_add_f64 v[44:45], v[0:1], v[44:45]
	s_delay_alu instid0(VALU_DEP_4) | instskip(NEXT) | instid1(VALU_DEP_4)
	v_cvt_f32_f64_e32 v48, v[48:49]
	v_cvt_f32_f64_e32 v50, v[50:51]
	s_delay_alu instid0(VALU_DEP_3) | instskip(SKIP_3) | instid1(VALU_DEP_4)
	v_cvt_f32_f64_e32 v44, v[44:45]
	v_cvt_f32_f64_e32 v45, v[46:47]
	s_waitcnt lgkmcnt(6)
	v_add_f64 v[46:47], v[12:13], v[40:41]
	v_min3_f32 v103, v50, v48, v103
	s_delay_alu instid0(VALU_DEP_3) | instskip(SKIP_1) | instid1(VALU_DEP_4)
	v_min3_f32 v102, v44, v45, v102
	v_add_f64 v[44:45], v[14:15], v[42:43]
	v_cvt_f32_f64_e32 v46, v[46:47]
	s_delay_alu instid0(VALU_DEP_2) | instskip(NEXT) | instid1(VALU_DEP_1)
	v_cvt_f32_f64_e32 v44, v[44:45]
	v_min3_f32 v101, v46, v44, v101
	v_add_f64 v[44:45], v[10:11], v[42:43]
	v_add_f64 v[46:47], v[8:9], v[40:41]
	s_delay_alu instid0(VALU_DEP_2) | instskip(NEXT) | instid1(VALU_DEP_2)
	v_cvt_f32_f64_e32 v44, v[44:45]
	v_cvt_f32_f64_e32 v46, v[46:47]
	s_delay_alu instid0(VALU_DEP_1) | instskip(SKIP_4) | instid1(VALU_DEP_4)
	v_min3_f32 v100, v46, v44, v100
	v_add_f64 v[44:45], v[6:7], v[42:43]
	v_add_f64 v[46:47], v[4:5], v[40:41]
	v_add_f64 v[42:43], v[2:3], v[42:43]
	v_add_f64 v[40:41], v[0:1], v[40:41]
	v_cvt_f32_f64_e32 v44, v[44:45]
	s_delay_alu instid0(VALU_DEP_4) | instskip(NEXT) | instid1(VALU_DEP_3)
	v_cvt_f32_f64_e32 v46, v[46:47]
	v_cvt_f32_f64_e32 v40, v[40:41]
	v_cvt_f32_f64_e32 v41, v[42:43]
	s_waitcnt lgkmcnt(5)
	v_add_f64 v[42:43], v[12:13], v[36:37]
	s_delay_alu instid0(VALU_DEP_4) | instskip(NEXT) | instid1(VALU_DEP_3)
	v_min3_f32 v99, v46, v44, v99
	v_min3_f32 v98, v40, v41, v98
	v_add_f64 v[40:41], v[14:15], v[38:39]
	s_delay_alu instid0(VALU_DEP_4) | instskip(NEXT) | instid1(VALU_DEP_2)
	v_cvt_f32_f64_e32 v42, v[42:43]
	v_cvt_f32_f64_e32 v40, v[40:41]
	s_delay_alu instid0(VALU_DEP_1) | instskip(SKIP_2) | instid1(VALU_DEP_2)
	v_min3_f32 v97, v42, v40, v97
	v_add_f64 v[40:41], v[10:11], v[38:39]
	v_add_f64 v[42:43], v[8:9], v[36:37]
	v_cvt_f32_f64_e32 v40, v[40:41]
	s_delay_alu instid0(VALU_DEP_2) | instskip(NEXT) | instid1(VALU_DEP_1)
	v_cvt_f32_f64_e32 v42, v[42:43]
	v_min3_f32 v96, v42, v40, v96
	v_add_f64 v[40:41], v[6:7], v[38:39]
	v_add_f64 v[42:43], v[4:5], v[36:37]
	v_add_f64 v[38:39], v[2:3], v[38:39]
	v_add_f64 v[36:37], v[0:1], v[36:37]
	s_delay_alu instid0(VALU_DEP_4) | instskip(NEXT) | instid1(VALU_DEP_4)
	v_cvt_f32_f64_e32 v40, v[40:41]
	v_cvt_f32_f64_e32 v42, v[42:43]
	s_delay_alu instid0(VALU_DEP_3) | instskip(SKIP_3) | instid1(VALU_DEP_4)
	v_cvt_f32_f64_e32 v36, v[36:37]
	;; [unrolled: 53-line block ×3, first 2 shown]
	v_cvt_f32_f64_e32 v29, v[30:31]
	s_waitcnt lgkmcnt(2)
	v_add_f64 v[30:31], v[12:13], v[24:25]
	v_min3_f32 v87, v34, v32, v87
	s_delay_alu instid0(VALU_DEP_3) | instskip(SKIP_1) | instid1(VALU_DEP_4)
	v_min3_f32 v86, v28, v29, v86
	v_add_f64 v[28:29], v[14:15], v[26:27]
	v_cvt_f32_f64_e32 v30, v[30:31]
	s_delay_alu instid0(VALU_DEP_2) | instskip(NEXT) | instid1(VALU_DEP_1)
	v_cvt_f32_f64_e32 v28, v[28:29]
	v_min3_f32 v85, v30, v28, v85
	v_add_f64 v[28:29], v[10:11], v[26:27]
	v_add_f64 v[30:31], v[8:9], v[24:25]
	s_delay_alu instid0(VALU_DEP_2) | instskip(NEXT) | instid1(VALU_DEP_2)
	v_cvt_f32_f64_e32 v28, v[28:29]
	v_cvt_f32_f64_e32 v30, v[30:31]
	s_delay_alu instid0(VALU_DEP_1) | instskip(SKIP_4) | instid1(VALU_DEP_4)
	v_min3_f32 v84, v30, v28, v84
	v_add_f64 v[28:29], v[6:7], v[26:27]
	v_add_f64 v[30:31], v[4:5], v[24:25]
	;; [unrolled: 1-line block ×4, first 2 shown]
	v_cvt_f32_f64_e32 v28, v[28:29]
	s_delay_alu instid0(VALU_DEP_4) | instskip(NEXT) | instid1(VALU_DEP_3)
	v_cvt_f32_f64_e32 v30, v[30:31]
	v_cvt_f32_f64_e32 v24, v[24:25]
	;; [unrolled: 1-line block ×3, first 2 shown]
	s_waitcnt lgkmcnt(1)
	v_add_f64 v[26:27], v[12:13], v[20:21]
	s_waitcnt lgkmcnt(0)
	v_add_f64 v[12:13], v[12:13], v[16:17]
	v_min3_f32 v83, v30, v28, v83
	s_delay_alu instid0(VALU_DEP_4) | instskip(SKIP_4) | instid1(VALU_DEP_4)
	v_min3_f32 v82, v24, v25, v82
	v_add_f64 v[24:25], v[14:15], v[22:23]
	v_cvt_f32_f64_e32 v26, v[26:27]
	v_add_f64 v[14:15], v[14:15], v[18:19]
	v_cvt_f32_f64_e32 v12, v[12:13]
	v_cvt_f32_f64_e32 v24, v[24:25]
	s_delay_alu instid0(VALU_DEP_3) | instskip(NEXT) | instid1(VALU_DEP_2)
	v_cvt_f32_f64_e32 v13, v[14:15]
	v_min3_f32 v81, v26, v24, v81
	v_add_f64 v[24:25], v[10:11], v[22:23]
	v_add_f64 v[26:27], v[8:9], v[20:21]
	v_add_f64 v[10:11], v[10:11], v[18:19]
	v_add_f64 v[8:9], v[8:9], v[16:17]
	v_min3_f32 v77, v12, v13, v77
	v_cvt_f32_f64_e32 v24, v[24:25]
	v_cvt_f32_f64_e32 v26, v[26:27]
	s_delay_alu instid0(VALU_DEP_4) | instskip(SKIP_1) | instid1(VALU_DEP_3)
	v_cvt_f32_f64_e32 v8, v[8:9]
	v_cvt_f32_f64_e32 v9, v[10:11]
	v_min3_f32 v80, v26, v24, v80
	v_add_f64 v[24:25], v[6:7], v[22:23]
	v_add_f64 v[26:27], v[4:5], v[20:21]
	;; [unrolled: 1-line block ×8, first 2 shown]
	v_min3_f32 v76, v8, v9, v76
	v_cvt_f32_f64_e32 v24, v[24:25]
	v_cvt_f32_f64_e32 v26, v[26:27]
	;; [unrolled: 1-line block ×8, first 2 shown]
	v_min3_f32 v79, v26, v24, v79
	v_min3_f32 v78, v20, v21, v78
	;; [unrolled: 1-line block ×3, first 2 shown]
	s_delay_alu instid0(VALU_DEP_4)
	v_min3_f32 v74, v0, v1, v74
	s_cbranch_vccz .LBB164_35
; %bb.36:                               ;   in Loop: Header=BB164_22 Depth=1
	s_add_i32 s21, s21, 8
	s_add_i32 s14, s14, 8
	s_cmp_ge_i32 s21, s20
	ds_store_2addr_stride64_b64 v143, v[66:67], v[68:69] offset1:4
	ds_store_2addr_stride64_b64 v144, v[70:71], v[72:73] offset1:4
	s_waitcnt lgkmcnt(0)
	s_barrier
	buffer_gl0_inv
	s_cbranch_scc0 .LBB164_22
.LBB164_37:
	s_mov_b32 s12, 0
	s_mov_b32 s3, -1
.LBB164_38:                             ; =>This Inner Loop Header: Depth=1
	s_lshl_b32 s12, s12, 3
	s_and_not1_b32 vcc_lo, exec_lo, s3
	v_lshl_add_u32 v0, v133, 5, s12
	v_lshl_add_u32 v16, v134, 5, s12
	s_mov_b32 s12, 2
	s_mov_b32 s3, 0
	ds_load_b128 v[12:15], v0 offset:4096
	ds_load_b128 v[8:11], v0 offset:5120
	ds_load_b128 v[4:7], v0 offset:6144
	ds_load_b128 v[0:3], v0 offset:7168
	ds_load_b128 v[56:59], v16 offset:12288
	ds_load_b128 v[60:63], v16 offset:12544
	ds_load_b128 v[64:67], v16 offset:12800
	ds_load_b128 v[68:71], v16 offset:13056
	ds_load_b128 v[140:143], v16 offset:13312
	ds_load_b128 v[144:147], v16 offset:13568
	ds_load_b128 v[52:55], v16 offset:13824
	ds_load_b128 v[48:51], v16 offset:14080
	ds_load_b128 v[44:47], v16 offset:14336
	ds_load_b128 v[40:43], v16 offset:14592
	ds_load_b128 v[36:39], v16 offset:14848
	ds_load_b128 v[32:35], v16 offset:15104
	ds_load_b128 v[28:31], v16 offset:15360
	ds_load_b128 v[24:27], v16 offset:15616
	ds_load_b128 v[20:23], v16 offset:15872
	ds_load_b128 v[16:19], v16 offset:16128
	s_waitcnt lgkmcnt(15)
	v_add_f64 v[72:73], v[14:15], v[58:59]
	v_add_f64 v[148:149], v[12:13], v[56:57]
	s_delay_alu instid0(VALU_DEP_2) | instskip(NEXT) | instid1(VALU_DEP_2)
	v_cvt_f32_f64_e32 v72, v[72:73]
	v_cvt_f32_f64_e32 v148, v[148:149]
	s_delay_alu instid0(VALU_DEP_1) | instskip(SKIP_2) | instid1(VALU_DEP_2)
	v_min3_f32 v139, v148, v72, v139
	v_add_f64 v[72:73], v[10:11], v[58:59]
	v_add_f64 v[148:149], v[8:9], v[56:57]
	v_cvt_f32_f64_e32 v72, v[72:73]
	s_delay_alu instid0(VALU_DEP_2) | instskip(NEXT) | instid1(VALU_DEP_1)
	v_cvt_f32_f64_e32 v148, v[148:149]
	v_min3_f32 v138, v148, v72, v138
	v_add_f64 v[72:73], v[6:7], v[58:59]
	v_add_f64 v[148:149], v[4:5], v[56:57]
	;; [unrolled: 1-line block ×4, first 2 shown]
	s_delay_alu instid0(VALU_DEP_4) | instskip(NEXT) | instid1(VALU_DEP_4)
	v_cvt_f32_f64_e32 v72, v[72:73]
	v_cvt_f32_f64_e32 v148, v[148:149]
	s_delay_alu instid0(VALU_DEP_3) | instskip(SKIP_3) | instid1(VALU_DEP_4)
	v_cvt_f32_f64_e32 v56, v[56:57]
	v_cvt_f32_f64_e32 v57, v[58:59]
	s_waitcnt lgkmcnt(14)
	v_add_f64 v[58:59], v[12:13], v[60:61]
	v_min3_f32 v137, v148, v72, v137
	s_delay_alu instid0(VALU_DEP_3) | instskip(SKIP_1) | instid1(VALU_DEP_4)
	v_min3_f32 v136, v56, v57, v136
	v_add_f64 v[56:57], v[14:15], v[62:63]
	v_cvt_f32_f64_e32 v58, v[58:59]
	s_delay_alu instid0(VALU_DEP_2) | instskip(NEXT) | instid1(VALU_DEP_1)
	v_cvt_f32_f64_e32 v56, v[56:57]
	v_min3_f32 v135, v58, v56, v135
	v_add_f64 v[56:57], v[10:11], v[62:63]
	v_add_f64 v[58:59], v[8:9], v[60:61]
	s_delay_alu instid0(VALU_DEP_2) | instskip(NEXT) | instid1(VALU_DEP_2)
	v_cvt_f32_f64_e32 v56, v[56:57]
	v_cvt_f32_f64_e32 v58, v[58:59]
	s_delay_alu instid0(VALU_DEP_1) | instskip(SKIP_2) | instid1(VALU_DEP_2)
	v_min3_f32 v132, v58, v56, v132
	v_add_f64 v[56:57], v[6:7], v[62:63]
	v_add_f64 v[58:59], v[4:5], v[60:61]
	v_cvt_f32_f64_e32 v56, v[56:57]
	s_delay_alu instid0(VALU_DEP_2) | instskip(NEXT) | instid1(VALU_DEP_1)
	v_cvt_f32_f64_e32 v58, v[58:59]
	v_min3_f32 v131, v58, v56, v131
	v_add_f64 v[56:57], v[2:3], v[62:63]
	v_add_f64 v[58:59], v[0:1], v[60:61]
	s_delay_alu instid0(VALU_DEP_2) | instskip(NEXT) | instid1(VALU_DEP_2)
	v_cvt_f32_f64_e32 v56, v[56:57]
	v_cvt_f32_f64_e32 v58, v[58:59]
	s_delay_alu instid0(VALU_DEP_1) | instskip(SKIP_3) | instid1(VALU_DEP_2)
	v_min3_f32 v130, v58, v56, v130
	s_waitcnt lgkmcnt(13)
	v_add_f64 v[56:57], v[14:15], v[66:67]
	v_add_f64 v[58:59], v[12:13], v[64:65]
	v_cvt_f32_f64_e32 v56, v[56:57]
	s_delay_alu instid0(VALU_DEP_2) | instskip(NEXT) | instid1(VALU_DEP_1)
	v_cvt_f32_f64_e32 v58, v[58:59]
	v_min3_f32 v129, v58, v56, v129
	v_add_f64 v[56:57], v[10:11], v[66:67]
	v_add_f64 v[58:59], v[8:9], v[64:65]
	s_delay_alu instid0(VALU_DEP_2) | instskip(NEXT) | instid1(VALU_DEP_2)
	v_cvt_f32_f64_e32 v56, v[56:57]
	v_cvt_f32_f64_e32 v58, v[58:59]
	s_delay_alu instid0(VALU_DEP_1) | instskip(SKIP_2) | instid1(VALU_DEP_2)
	v_min3_f32 v128, v58, v56, v128
	v_add_f64 v[56:57], v[6:7], v[66:67]
	v_add_f64 v[58:59], v[4:5], v[64:65]
	v_cvt_f32_f64_e32 v56, v[56:57]
	s_delay_alu instid0(VALU_DEP_2) | instskip(NEXT) | instid1(VALU_DEP_1)
	v_cvt_f32_f64_e32 v58, v[58:59]
	v_min3_f32 v127, v58, v56, v127
	v_add_f64 v[56:57], v[2:3], v[66:67]
	v_add_f64 v[58:59], v[0:1], v[64:65]
	s_delay_alu instid0(VALU_DEP_2) | instskip(NEXT) | instid1(VALU_DEP_2)
	v_cvt_f32_f64_e32 v56, v[56:57]
	v_cvt_f32_f64_e32 v58, v[58:59]
	s_delay_alu instid0(VALU_DEP_1) | instskip(SKIP_3) | instid1(VALU_DEP_2)
	v_min3_f32 v126, v58, v56, v126
	s_waitcnt lgkmcnt(12)
	v_add_f64 v[56:57], v[14:15], v[70:71]
	;; [unrolled: 27-line block ×5, first 2 shown]
	v_add_f64 v[58:59], v[12:13], v[52:53]
	v_cvt_f32_f64_e32 v56, v[56:57]
	s_delay_alu instid0(VALU_DEP_2) | instskip(NEXT) | instid1(VALU_DEP_1)
	v_cvt_f32_f64_e32 v58, v[58:59]
	v_min3_f32 v113, v58, v56, v113
	v_add_f64 v[56:57], v[10:11], v[54:55]
	v_add_f64 v[58:59], v[8:9], v[52:53]
	s_delay_alu instid0(VALU_DEP_2) | instskip(NEXT) | instid1(VALU_DEP_2)
	v_cvt_f32_f64_e32 v56, v[56:57]
	v_cvt_f32_f64_e32 v58, v[58:59]
	s_delay_alu instid0(VALU_DEP_1) | instskip(SKIP_4) | instid1(VALU_DEP_4)
	v_min3_f32 v112, v58, v56, v112
	v_add_f64 v[56:57], v[6:7], v[54:55]
	v_add_f64 v[58:59], v[4:5], v[52:53]
	v_add_f64 v[54:55], v[2:3], v[54:55]
	v_add_f64 v[52:53], v[0:1], v[52:53]
	v_cvt_f32_f64_e32 v56, v[56:57]
	s_delay_alu instid0(VALU_DEP_4) | instskip(NEXT) | instid1(VALU_DEP_3)
	v_cvt_f32_f64_e32 v58, v[58:59]
	v_cvt_f32_f64_e32 v52, v[52:53]
	v_cvt_f32_f64_e32 v53, v[54:55]
	s_waitcnt lgkmcnt(8)
	v_add_f64 v[54:55], v[12:13], v[48:49]
	s_delay_alu instid0(VALU_DEP_4) | instskip(NEXT) | instid1(VALU_DEP_3)
	v_min3_f32 v111, v58, v56, v111
	v_min3_f32 v110, v52, v53, v110
	v_add_f64 v[52:53], v[14:15], v[50:51]
	s_delay_alu instid0(VALU_DEP_4) | instskip(NEXT) | instid1(VALU_DEP_2)
	v_cvt_f32_f64_e32 v54, v[54:55]
	v_cvt_f32_f64_e32 v52, v[52:53]
	s_delay_alu instid0(VALU_DEP_1) | instskip(SKIP_2) | instid1(VALU_DEP_2)
	v_min3_f32 v109, v54, v52, v109
	v_add_f64 v[52:53], v[10:11], v[50:51]
	v_add_f64 v[54:55], v[8:9], v[48:49]
	v_cvt_f32_f64_e32 v52, v[52:53]
	s_delay_alu instid0(VALU_DEP_2) | instskip(NEXT) | instid1(VALU_DEP_1)
	v_cvt_f32_f64_e32 v54, v[54:55]
	v_min3_f32 v108, v54, v52, v108
	v_add_f64 v[52:53], v[6:7], v[50:51]
	v_add_f64 v[54:55], v[4:5], v[48:49]
	v_add_f64 v[50:51], v[2:3], v[50:51]
	v_add_f64 v[48:49], v[0:1], v[48:49]
	s_delay_alu instid0(VALU_DEP_4) | instskip(NEXT) | instid1(VALU_DEP_4)
	v_cvt_f32_f64_e32 v52, v[52:53]
	v_cvt_f32_f64_e32 v54, v[54:55]
	s_delay_alu instid0(VALU_DEP_3) | instskip(SKIP_3) | instid1(VALU_DEP_4)
	v_cvt_f32_f64_e32 v48, v[48:49]
	v_cvt_f32_f64_e32 v49, v[50:51]
	s_waitcnt lgkmcnt(7)
	v_add_f64 v[50:51], v[12:13], v[44:45]
	v_min3_f32 v107, v54, v52, v107
	s_delay_alu instid0(VALU_DEP_3) | instskip(SKIP_1) | instid1(VALU_DEP_4)
	v_min3_f32 v106, v48, v49, v106
	v_add_f64 v[48:49], v[14:15], v[46:47]
	v_cvt_f32_f64_e32 v50, v[50:51]
	s_delay_alu instid0(VALU_DEP_2) | instskip(NEXT) | instid1(VALU_DEP_1)
	v_cvt_f32_f64_e32 v48, v[48:49]
	v_min3_f32 v105, v50, v48, v105
	v_add_f64 v[48:49], v[10:11], v[46:47]
	v_add_f64 v[50:51], v[8:9], v[44:45]
	s_delay_alu instid0(VALU_DEP_2) | instskip(NEXT) | instid1(VALU_DEP_2)
	v_cvt_f32_f64_e32 v48, v[48:49]
	v_cvt_f32_f64_e32 v50, v[50:51]
	s_delay_alu instid0(VALU_DEP_1) | instskip(SKIP_4) | instid1(VALU_DEP_4)
	v_min3_f32 v104, v50, v48, v104
	v_add_f64 v[48:49], v[6:7], v[46:47]
	v_add_f64 v[50:51], v[4:5], v[44:45]
	v_add_f64 v[46:47], v[2:3], v[46:47]
	v_add_f64 v[44:45], v[0:1], v[44:45]
	v_cvt_f32_f64_e32 v48, v[48:49]
	s_delay_alu instid0(VALU_DEP_4) | instskip(NEXT) | instid1(VALU_DEP_3)
	v_cvt_f32_f64_e32 v50, v[50:51]
	v_cvt_f32_f64_e32 v44, v[44:45]
	v_cvt_f32_f64_e32 v45, v[46:47]
	s_waitcnt lgkmcnt(6)
	v_add_f64 v[46:47], v[12:13], v[40:41]
	s_delay_alu instid0(VALU_DEP_4) | instskip(NEXT) | instid1(VALU_DEP_3)
	v_min3_f32 v103, v50, v48, v103
	v_min3_f32 v102, v44, v45, v102
	v_add_f64 v[44:45], v[14:15], v[42:43]
	s_delay_alu instid0(VALU_DEP_4) | instskip(NEXT) | instid1(VALU_DEP_2)
	v_cvt_f32_f64_e32 v46, v[46:47]
	v_cvt_f32_f64_e32 v44, v[44:45]
	s_delay_alu instid0(VALU_DEP_1) | instskip(SKIP_2) | instid1(VALU_DEP_2)
	v_min3_f32 v101, v46, v44, v101
	v_add_f64 v[44:45], v[10:11], v[42:43]
	v_add_f64 v[46:47], v[8:9], v[40:41]
	v_cvt_f32_f64_e32 v44, v[44:45]
	s_delay_alu instid0(VALU_DEP_2) | instskip(NEXT) | instid1(VALU_DEP_1)
	v_cvt_f32_f64_e32 v46, v[46:47]
	v_min3_f32 v100, v46, v44, v100
	v_add_f64 v[44:45], v[6:7], v[42:43]
	v_add_f64 v[46:47], v[4:5], v[40:41]
	v_add_f64 v[42:43], v[2:3], v[42:43]
	v_add_f64 v[40:41], v[0:1], v[40:41]
	s_delay_alu instid0(VALU_DEP_4) | instskip(NEXT) | instid1(VALU_DEP_4)
	v_cvt_f32_f64_e32 v44, v[44:45]
	v_cvt_f32_f64_e32 v46, v[46:47]
	s_delay_alu instid0(VALU_DEP_3) | instskip(SKIP_3) | instid1(VALU_DEP_4)
	v_cvt_f32_f64_e32 v40, v[40:41]
	v_cvt_f32_f64_e32 v41, v[42:43]
	s_waitcnt lgkmcnt(5)
	v_add_f64 v[42:43], v[12:13], v[36:37]
	v_min3_f32 v99, v46, v44, v99
	s_delay_alu instid0(VALU_DEP_3) | instskip(SKIP_1) | instid1(VALU_DEP_4)
	v_min3_f32 v98, v40, v41, v98
	;; [unrolled: 53-line block ×3, first 2 shown]
	v_add_f64 v[32:33], v[14:15], v[30:31]
	v_cvt_f32_f64_e32 v34, v[34:35]
	s_delay_alu instid0(VALU_DEP_2) | instskip(NEXT) | instid1(VALU_DEP_1)
	v_cvt_f32_f64_e32 v32, v[32:33]
	v_min3_f32 v89, v34, v32, v89
	v_add_f64 v[32:33], v[10:11], v[30:31]
	v_add_f64 v[34:35], v[8:9], v[28:29]
	s_delay_alu instid0(VALU_DEP_2) | instskip(NEXT) | instid1(VALU_DEP_2)
	v_cvt_f32_f64_e32 v32, v[32:33]
	v_cvt_f32_f64_e32 v34, v[34:35]
	s_delay_alu instid0(VALU_DEP_1) | instskip(SKIP_4) | instid1(VALU_DEP_4)
	v_min3_f32 v88, v34, v32, v88
	v_add_f64 v[32:33], v[6:7], v[30:31]
	v_add_f64 v[34:35], v[4:5], v[28:29]
	;; [unrolled: 1-line block ×4, first 2 shown]
	v_cvt_f32_f64_e32 v32, v[32:33]
	s_delay_alu instid0(VALU_DEP_4) | instskip(NEXT) | instid1(VALU_DEP_3)
	v_cvt_f32_f64_e32 v34, v[34:35]
	v_cvt_f32_f64_e32 v28, v[28:29]
	;; [unrolled: 1-line block ×3, first 2 shown]
	s_waitcnt lgkmcnt(2)
	v_add_f64 v[30:31], v[12:13], v[24:25]
	s_delay_alu instid0(VALU_DEP_4) | instskip(NEXT) | instid1(VALU_DEP_3)
	v_min3_f32 v87, v34, v32, v87
	v_min3_f32 v86, v28, v29, v86
	v_add_f64 v[28:29], v[14:15], v[26:27]
	s_delay_alu instid0(VALU_DEP_4) | instskip(NEXT) | instid1(VALU_DEP_2)
	v_cvt_f32_f64_e32 v30, v[30:31]
	v_cvt_f32_f64_e32 v28, v[28:29]
	s_delay_alu instid0(VALU_DEP_1) | instskip(SKIP_2) | instid1(VALU_DEP_2)
	v_min3_f32 v85, v30, v28, v85
	v_add_f64 v[28:29], v[10:11], v[26:27]
	v_add_f64 v[30:31], v[8:9], v[24:25]
	v_cvt_f32_f64_e32 v28, v[28:29]
	s_delay_alu instid0(VALU_DEP_2) | instskip(NEXT) | instid1(VALU_DEP_1)
	v_cvt_f32_f64_e32 v30, v[30:31]
	v_min3_f32 v84, v30, v28, v84
	v_add_f64 v[28:29], v[6:7], v[26:27]
	v_add_f64 v[30:31], v[4:5], v[24:25]
	;; [unrolled: 1-line block ×4, first 2 shown]
	s_delay_alu instid0(VALU_DEP_4) | instskip(NEXT) | instid1(VALU_DEP_4)
	v_cvt_f32_f64_e32 v28, v[28:29]
	v_cvt_f32_f64_e32 v30, v[30:31]
	s_delay_alu instid0(VALU_DEP_3)
	v_cvt_f32_f64_e32 v24, v[24:25]
	v_cvt_f32_f64_e32 v25, v[26:27]
	s_waitcnt lgkmcnt(1)
	v_add_f64 v[26:27], v[12:13], v[20:21]
	s_waitcnt lgkmcnt(0)
	v_add_f64 v[12:13], v[12:13], v[16:17]
	v_min3_f32 v83, v30, v28, v83
	s_delay_alu instid0(VALU_DEP_4) | instskip(SKIP_4) | instid1(VALU_DEP_4)
	v_min3_f32 v82, v24, v25, v82
	v_add_f64 v[24:25], v[14:15], v[22:23]
	v_cvt_f32_f64_e32 v26, v[26:27]
	v_add_f64 v[14:15], v[14:15], v[18:19]
	v_cvt_f32_f64_e32 v12, v[12:13]
	v_cvt_f32_f64_e32 v24, v[24:25]
	s_delay_alu instid0(VALU_DEP_3) | instskip(NEXT) | instid1(VALU_DEP_2)
	v_cvt_f32_f64_e32 v13, v[14:15]
	v_min3_f32 v81, v26, v24, v81
	v_add_f64 v[24:25], v[10:11], v[22:23]
	v_add_f64 v[26:27], v[8:9], v[20:21]
	;; [unrolled: 1-line block ×4, first 2 shown]
	v_min3_f32 v77, v12, v13, v77
	v_cvt_f32_f64_e32 v24, v[24:25]
	v_cvt_f32_f64_e32 v26, v[26:27]
	s_delay_alu instid0(VALU_DEP_4) | instskip(SKIP_1) | instid1(VALU_DEP_3)
	v_cvt_f32_f64_e32 v8, v[8:9]
	v_cvt_f32_f64_e32 v9, v[10:11]
	v_min3_f32 v80, v26, v24, v80
	v_add_f64 v[24:25], v[6:7], v[22:23]
	v_add_f64 v[26:27], v[4:5], v[20:21]
	;; [unrolled: 1-line block ×8, first 2 shown]
	v_min3_f32 v76, v8, v9, v76
	v_cvt_f32_f64_e32 v24, v[24:25]
	v_cvt_f32_f64_e32 v26, v[26:27]
	;; [unrolled: 1-line block ×8, first 2 shown]
	v_min3_f32 v79, v26, v24, v79
	v_min3_f32 v78, v20, v21, v78
	;; [unrolled: 1-line block ×3, first 2 shown]
	s_delay_alu instid0(VALU_DEP_4)
	v_min3_f32 v74, v0, v1, v74
	s_cbranch_vccz .LBB164_38
; %bb.39:
	s_clause 0x2
	s_load_b64 s[16:17], s[0:1], 0x78
	s_load_b32 s12, s[0:1], 0x70
	s_load_b32 s3, s[0:1], 0x58
	v_add_nc_u32_e32 v10, s9, v134
	v_add_nc_u32_e32 v4, s8, v133
	s_delay_alu instid0(VALU_DEP_1)
	v_ashrrev_i32_e32 v5, 31, v4
	s_waitcnt lgkmcnt(0)
	s_mul_i32 s0, s15, s17
	v_mad_i64_i32 v[0:1], null, v10, s12, 0
	v_mad_i64_i32 v[6:7], null, v10, s3, 0
	s_mul_hi_u32 s1, s15, s16
	s_mul_i32 s8, s22, s16
	s_add_i32 s1, s1, s0
	s_mul_i32 s0, s15, s16
	s_add_i32 s1, s1, s8
	s_delay_alu instid0(VALU_DEP_2)
	v_lshlrev_b64 v[8:9], 3, v[0:1]
	s_lshl_b64 s[0:1], s[0:1], 3
	v_lshlrev_b64 v[0:1], 3, v[4:5]
	v_lshlrev_b64 v[5:6], 3, v[6:7]
	s_add_u32 s8, s10, s0
	s_addc_u32 s9, s11, s1
	v_add_co_u32 v11, vcc_lo, s8, v8
	v_add_co_ci_u32_e32 v12, vcc_lo, s9, v9, vcc_lo
	s_delay_alu instid0(VALU_DEP_3) | instskip(SKIP_3) | instid1(VALU_DEP_2)
	v_add_co_u32 v8, vcc_lo, s4, v5
	v_dual_max_f32 v5, v139, v139 :: v_dual_add_nc_u32 v2, 32, v4
	v_add_co_ci_u32_e32 v9, vcc_lo, s5, v6, vcc_lo
	s_mov_b32 vcc_lo, s2
	v_ashrrev_i32_e32 v3, 31, v2
	s_cbranch_vccz .LBB164_42
; %bb.40:
	v_min_f32_e32 v6, 0, v5
	v_add_co_u32 v13, vcc_lo, v11, v0
	v_add_co_ci_u32_e32 v14, vcc_lo, v12, v1, vcc_lo
	s_delay_alu instid0(VALU_DEP_3)
	v_cvt_f64_f32_e32 v[6:7], v6
	s_mov_b64 s[0:1], 0
	global_store_b64 v[13:14], v[6:7], off
	v_lshlrev_b64 v[2:3], 3, v[2:3]
	s_cbranch_execz .LBB164_43
; %bb.41:
	v_dual_mov_b32 v6, s1 :: v_dual_mov_b32 v5, s0
	s_branch .LBB164_44
.LBB164_42:
                                        ; implicit-def: $sgpr0_sgpr1
	s_delay_alu instid0(VALU_DEP_1)
	v_lshlrev_b64 v[2:3], 3, v[2:3]
.LBB164_43:
	v_add_co_u32 v6, vcc_lo, v8, v0
	v_add_co_ci_u32_e32 v7, vcc_lo, v9, v1, vcc_lo
	v_add_co_u32 v13, vcc_lo, v11, v0
	v_add_co_ci_u32_e32 v14, vcc_lo, v12, v1, vcc_lo
	flat_load_b64 v[6:7], v[6:7]
	v_add_co_u32 v15, vcc_lo, v8, v2
	v_add_co_ci_u32_e32 v16, vcc_lo, v9, v3, vcc_lo
	s_waitcnt vmcnt(0) lgkmcnt(0)
	v_mul_f64 v[6:7], v[6:7], s[6:7]
	s_delay_alu instid0(VALU_DEP_1) | instskip(NEXT) | instid1(VALU_DEP_1)
	v_cvt_f32_f64_e32 v6, v[6:7]
	v_min_f32_e32 v5, v6, v5
	s_delay_alu instid0(VALU_DEP_1)
	v_cvt_f64_f32_e32 v[5:6], v5
	global_store_b64 v[13:14], v[5:6], off
	flat_load_b64 v[5:6], v[15:16]
	s_waitcnt vmcnt(0) lgkmcnt(0)
	v_mul_f64 v[5:6], v[5:6], s[6:7]
.LBB164_44:
	s_delay_alu instid0(VALU_DEP_1)
	v_cvt_f32_f64_e32 v5, v[5:6]
	v_dual_max_f32 v6, v138, v138 :: v_dual_max_f32 v13, v137, v137
	v_add_co_u32 v18, vcc_lo, v11, v2
	v_add_co_ci_u32_e32 v19, vcc_lo, v12, v3, vcc_lo
	s_mov_b32 vcc_lo, s2
	v_add_nc_u32_e32 v16, 64, v4
	s_delay_alu instid0(VALU_DEP_1) | instskip(SKIP_1) | instid1(VALU_DEP_1)
	v_ashrrev_i32_e32 v17, 31, v16
	v_dual_min_f32 v5, v5, v6 :: v_dual_add_nc_u32 v6, 0x60, v4
	v_cvt_f64_f32_e32 v[14:15], v5
	s_delay_alu instid0(VALU_DEP_2) | instskip(NEXT) | instid1(VALU_DEP_4)
	v_ashrrev_i32_e32 v7, 31, v6
	v_lshlrev_b64 v[4:5], 3, v[16:17]
	global_store_b64 v[18:19], v[14:15], off
	s_cbranch_vccz .LBB164_47
; %bb.45:
	v_min_f32_e32 v14, 0, v13
	v_add_co_u32 v16, vcc_lo, v11, v4
	v_add_co_ci_u32_e32 v17, vcc_lo, v12, v5, vcc_lo
	s_delay_alu instid0(VALU_DEP_3)
	v_cvt_f64_f32_e32 v[14:15], v14
	s_mov_b64 s[0:1], 0
	global_store_b64 v[16:17], v[14:15], off
	v_lshlrev_b64 v[6:7], 3, v[6:7]
	s_cbranch_execz .LBB164_48
; %bb.46:
	v_dual_mov_b32 v9, s1 :: v_dual_mov_b32 v8, s0
	s_branch .LBB164_49
.LBB164_47:
                                        ; implicit-def: $sgpr0_sgpr1
	v_lshlrev_b64 v[6:7], 3, v[6:7]
.LBB164_48:
	v_add_co_u32 v14, vcc_lo, v8, v4
	v_add_co_ci_u32_e32 v15, vcc_lo, v9, v5, vcc_lo
	flat_load_b64 v[14:15], v[14:15]
	s_waitcnt vmcnt(0) lgkmcnt(0)
	v_mul_f64 v[14:15], v[14:15], s[6:7]
	s_delay_alu instid0(VALU_DEP_1)
	v_cvt_f32_f64_e32 v14, v[14:15]
	v_add_co_u32 v15, vcc_lo, v11, v4
	v_add_co_ci_u32_e32 v16, vcc_lo, v12, v5, vcc_lo
	v_add_co_u32 v8, vcc_lo, v8, v6
	v_add_co_ci_u32_e32 v9, vcc_lo, v9, v7, vcc_lo
	v_min_f32_e32 v13, v14, v13
	s_delay_alu instid0(VALU_DEP_1)
	v_cvt_f64_f32_e32 v[13:14], v13
	global_store_b64 v[15:16], v[13:14], off
	flat_load_b64 v[8:9], v[8:9]
	s_waitcnt vmcnt(0) lgkmcnt(0)
	v_mul_f64 v[8:9], v[8:9], s[6:7]
.LBB164_49:
	s_delay_alu instid0(VALU_DEP_1) | instskip(SKIP_4) | instid1(VALU_DEP_1)
	v_cvt_f32_f64_e32 v8, v[8:9]
	v_max_f32_e32 v9, v136, v136
	v_add_co_u32 v19, vcc_lo, v11, v6
	v_add_co_ci_u32_e32 v20, vcc_lo, v12, v7, vcc_lo
	v_add_nc_u32_e32 v17, 8, v10
	v_mad_i64_i32 v[13:14], null, v17, s3, 0
	s_delay_alu instid0(VALU_DEP_1) | instskip(SKIP_1) | instid1(VALU_DEP_1)
	v_lshlrev_b64 v[13:14], 3, v[13:14]
	v_min_f32_e32 v8, v8, v9
	v_cvt_f64_f32_e32 v[15:16], v8
	v_mad_i64_i32 v[8:9], null, v17, s12, 0
	s_delay_alu instid0(VALU_DEP_1) | instskip(SKIP_1) | instid1(VALU_DEP_2)
	v_lshlrev_b64 v[17:18], 3, v[8:9]
	v_max_f32_e32 v8, v135, v135
	v_add_co_u32 v11, vcc_lo, s8, v17
	s_delay_alu instid0(VALU_DEP_3)
	v_add_co_ci_u32_e32 v12, vcc_lo, s9, v18, vcc_lo
	v_add_co_u32 v13, vcc_lo, s4, v13
	v_add_co_ci_u32_e32 v14, vcc_lo, s5, v14, vcc_lo
	s_mov_b32 vcc_lo, s2
	global_store_b64 v[19:20], v[15:16], off
	s_cbranch_vccz .LBB164_52
; %bb.50:
	v_min_f32_e32 v9, 0, v8
	v_add_co_u32 v17, vcc_lo, v11, v0
	v_add_co_ci_u32_e32 v18, vcc_lo, v12, v1, vcc_lo
	s_delay_alu instid0(VALU_DEP_3)
	v_cvt_f64_f32_e32 v[15:16], v9
	s_mov_b64 s[0:1], 0
	global_store_b64 v[17:18], v[15:16], off
	s_cbranch_execz .LBB164_53
; %bb.51:
	v_dual_mov_b32 v9, s1 :: v_dual_mov_b32 v8, s0
	s_branch .LBB164_54
.LBB164_52:
                                        ; implicit-def: $sgpr0_sgpr1
.LBB164_53:
	v_add_co_u32 v15, vcc_lo, v13, v0
	v_add_co_ci_u32_e32 v16, vcc_lo, v14, v1, vcc_lo
	flat_load_b64 v[15:16], v[15:16]
	s_waitcnt vmcnt(0) lgkmcnt(0)
	v_mul_f64 v[15:16], v[15:16], s[6:7]
	s_delay_alu instid0(VALU_DEP_1)
	v_cvt_f32_f64_e32 v9, v[15:16]
	v_add_co_u32 v15, vcc_lo, v11, v0
	v_add_co_ci_u32_e32 v16, vcc_lo, v12, v1, vcc_lo
	v_add_co_u32 v17, vcc_lo, v13, v2
	v_add_co_ci_u32_e32 v18, vcc_lo, v14, v3, vcc_lo
	v_min_f32_e32 v8, v9, v8
	s_delay_alu instid0(VALU_DEP_1)
	v_cvt_f64_f32_e32 v[8:9], v8
	global_store_b64 v[15:16], v[8:9], off
	flat_load_b64 v[8:9], v[17:18]
	s_waitcnt vmcnt(0) lgkmcnt(0)
	v_mul_f64 v[8:9], v[8:9], s[6:7]
.LBB164_54:
	s_delay_alu instid0(VALU_DEP_1) | instskip(SKIP_4) | instid1(VALU_DEP_3)
	v_cvt_f32_f64_e32 v8, v[8:9]
	v_max_f32_e32 v9, v132, v132
	v_add_co_u32 v17, vcc_lo, v11, v2
	v_add_co_ci_u32_e32 v18, vcc_lo, v12, v3, vcc_lo
	s_mov_b32 vcc_lo, s2
	v_min_f32_e32 v8, v8, v9
	s_delay_alu instid0(VALU_DEP_1)
	v_cvt_f64_f32_e32 v[15:16], v8
	v_max_f32_e32 v8, v131, v131
	global_store_b64 v[17:18], v[15:16], off
	s_cbranch_vccz .LBB164_57
; %bb.55:
	v_min_f32_e32 v9, 0, v8
	v_add_co_u32 v17, vcc_lo, v11, v4
	v_add_co_ci_u32_e32 v18, vcc_lo, v12, v5, vcc_lo
	s_delay_alu instid0(VALU_DEP_3)
	v_cvt_f64_f32_e32 v[15:16], v9
	s_mov_b64 s[0:1], 0
	global_store_b64 v[17:18], v[15:16], off
	s_cbranch_execz .LBB164_58
; %bb.56:
	v_dual_mov_b32 v9, s1 :: v_dual_mov_b32 v8, s0
	s_branch .LBB164_59
.LBB164_57:
                                        ; implicit-def: $sgpr0_sgpr1
.LBB164_58:
	v_add_co_u32 v15, vcc_lo, v13, v4
	v_add_co_ci_u32_e32 v16, vcc_lo, v14, v5, vcc_lo
	flat_load_b64 v[15:16], v[15:16]
	s_waitcnt vmcnt(0) lgkmcnt(0)
	v_mul_f64 v[15:16], v[15:16], s[6:7]
	s_delay_alu instid0(VALU_DEP_1)
	v_cvt_f32_f64_e32 v9, v[15:16]
	v_add_co_u32 v15, vcc_lo, v11, v4
	v_add_co_ci_u32_e32 v16, vcc_lo, v12, v5, vcc_lo
	v_add_co_u32 v13, vcc_lo, v13, v6
	v_add_co_ci_u32_e32 v14, vcc_lo, v14, v7, vcc_lo
	v_min_f32_e32 v8, v9, v8
	s_delay_alu instid0(VALU_DEP_1)
	v_cvt_f64_f32_e32 v[8:9], v8
	global_store_b64 v[15:16], v[8:9], off
	flat_load_b64 v[8:9], v[13:14]
	s_waitcnt vmcnt(0) lgkmcnt(0)
	v_mul_f64 v[8:9], v[8:9], s[6:7]
.LBB164_59:
	s_delay_alu instid0(VALU_DEP_1) | instskip(SKIP_4) | instid1(VALU_DEP_1)
	v_cvt_f32_f64_e32 v8, v[8:9]
	v_max_f32_e32 v9, v130, v130
	v_add_co_u32 v19, vcc_lo, v11, v6
	v_add_co_ci_u32_e32 v20, vcc_lo, v12, v7, vcc_lo
	v_add_nc_u32_e32 v17, 16, v10
	v_mad_i64_i32 v[13:14], null, v17, s3, 0
	s_delay_alu instid0(VALU_DEP_1) | instskip(SKIP_1) | instid1(VALU_DEP_1)
	v_lshlrev_b64 v[13:14], 3, v[13:14]
	v_min_f32_e32 v8, v8, v9
	v_cvt_f64_f32_e32 v[15:16], v8
	v_mad_i64_i32 v[8:9], null, v17, s12, 0
	s_delay_alu instid0(VALU_DEP_1) | instskip(SKIP_1) | instid1(VALU_DEP_2)
	v_lshlrev_b64 v[17:18], 3, v[8:9]
	v_max_f32_e32 v8, v129, v129
	v_add_co_u32 v11, vcc_lo, s8, v17
	s_delay_alu instid0(VALU_DEP_3)
	v_add_co_ci_u32_e32 v12, vcc_lo, s9, v18, vcc_lo
	v_add_co_u32 v13, vcc_lo, s4, v13
	v_add_co_ci_u32_e32 v14, vcc_lo, s5, v14, vcc_lo
	s_mov_b32 vcc_lo, s2
	global_store_b64 v[19:20], v[15:16], off
	s_cbranch_vccz .LBB164_62
; %bb.60:
	v_min_f32_e32 v9, 0, v8
	v_add_co_u32 v17, vcc_lo, v11, v0
	v_add_co_ci_u32_e32 v18, vcc_lo, v12, v1, vcc_lo
	s_delay_alu instid0(VALU_DEP_3)
	v_cvt_f64_f32_e32 v[15:16], v9
	s_mov_b64 s[0:1], 0
	global_store_b64 v[17:18], v[15:16], off
	s_cbranch_execz .LBB164_63
; %bb.61:
	v_dual_mov_b32 v9, s1 :: v_dual_mov_b32 v8, s0
	s_branch .LBB164_64
.LBB164_62:
                                        ; implicit-def: $sgpr0_sgpr1
.LBB164_63:
	v_add_co_u32 v15, vcc_lo, v13, v0
	v_add_co_ci_u32_e32 v16, vcc_lo, v14, v1, vcc_lo
	flat_load_b64 v[15:16], v[15:16]
	s_waitcnt vmcnt(0) lgkmcnt(0)
	v_mul_f64 v[15:16], v[15:16], s[6:7]
	s_delay_alu instid0(VALU_DEP_1)
	v_cvt_f32_f64_e32 v9, v[15:16]
	v_add_co_u32 v15, vcc_lo, v11, v0
	v_add_co_ci_u32_e32 v16, vcc_lo, v12, v1, vcc_lo
	v_add_co_u32 v17, vcc_lo, v13, v2
	v_add_co_ci_u32_e32 v18, vcc_lo, v14, v3, vcc_lo
	v_min_f32_e32 v8, v9, v8
	s_delay_alu instid0(VALU_DEP_1)
	v_cvt_f64_f32_e32 v[8:9], v8
	global_store_b64 v[15:16], v[8:9], off
	flat_load_b64 v[8:9], v[17:18]
	s_waitcnt vmcnt(0) lgkmcnt(0)
	v_mul_f64 v[8:9], v[8:9], s[6:7]
.LBB164_64:
	s_delay_alu instid0(VALU_DEP_1) | instskip(SKIP_4) | instid1(VALU_DEP_3)
	v_cvt_f32_f64_e32 v8, v[8:9]
	v_max_f32_e32 v9, v128, v128
	v_add_co_u32 v17, vcc_lo, v11, v2
	v_add_co_ci_u32_e32 v18, vcc_lo, v12, v3, vcc_lo
	s_mov_b32 vcc_lo, s2
	v_min_f32_e32 v8, v8, v9
	s_delay_alu instid0(VALU_DEP_1)
	v_cvt_f64_f32_e32 v[15:16], v8
	v_max_f32_e32 v8, v127, v127
	global_store_b64 v[17:18], v[15:16], off
	s_cbranch_vccz .LBB164_67
; %bb.65:
	v_min_f32_e32 v9, 0, v8
	v_add_co_u32 v17, vcc_lo, v11, v4
	v_add_co_ci_u32_e32 v18, vcc_lo, v12, v5, vcc_lo
	s_delay_alu instid0(VALU_DEP_3)
	v_cvt_f64_f32_e32 v[15:16], v9
	s_mov_b64 s[0:1], 0
	global_store_b64 v[17:18], v[15:16], off
	s_cbranch_execz .LBB164_68
; %bb.66:
	v_dual_mov_b32 v9, s1 :: v_dual_mov_b32 v8, s0
	s_branch .LBB164_69
.LBB164_67:
                                        ; implicit-def: $sgpr0_sgpr1
.LBB164_68:
	v_add_co_u32 v15, vcc_lo, v13, v4
	v_add_co_ci_u32_e32 v16, vcc_lo, v14, v5, vcc_lo
	flat_load_b64 v[15:16], v[15:16]
	s_waitcnt vmcnt(0) lgkmcnt(0)
	v_mul_f64 v[15:16], v[15:16], s[6:7]
	s_delay_alu instid0(VALU_DEP_1)
	v_cvt_f32_f64_e32 v9, v[15:16]
	v_add_co_u32 v15, vcc_lo, v11, v4
	v_add_co_ci_u32_e32 v16, vcc_lo, v12, v5, vcc_lo
	v_add_co_u32 v13, vcc_lo, v13, v6
	v_add_co_ci_u32_e32 v14, vcc_lo, v14, v7, vcc_lo
	v_min_f32_e32 v8, v9, v8
	s_delay_alu instid0(VALU_DEP_1)
	v_cvt_f64_f32_e32 v[8:9], v8
	global_store_b64 v[15:16], v[8:9], off
	flat_load_b64 v[8:9], v[13:14]
	s_waitcnt vmcnt(0) lgkmcnt(0)
	v_mul_f64 v[8:9], v[8:9], s[6:7]
.LBB164_69:
	s_delay_alu instid0(VALU_DEP_1) | instskip(SKIP_4) | instid1(VALU_DEP_1)
	v_cvt_f32_f64_e32 v8, v[8:9]
	v_max_f32_e32 v9, v126, v126
	v_add_co_u32 v19, vcc_lo, v11, v6
	v_add_co_ci_u32_e32 v20, vcc_lo, v12, v7, vcc_lo
	v_add_nc_u32_e32 v17, 24, v10
	v_mad_i64_i32 v[13:14], null, v17, s3, 0
	s_delay_alu instid0(VALU_DEP_1) | instskip(SKIP_1) | instid1(VALU_DEP_1)
	v_lshlrev_b64 v[13:14], 3, v[13:14]
	v_min_f32_e32 v8, v8, v9
	v_cvt_f64_f32_e32 v[15:16], v8
	v_mad_i64_i32 v[8:9], null, v17, s12, 0
	s_delay_alu instid0(VALU_DEP_1) | instskip(SKIP_1) | instid1(VALU_DEP_2)
	v_lshlrev_b64 v[17:18], 3, v[8:9]
	v_max_f32_e32 v8, v125, v125
	v_add_co_u32 v11, vcc_lo, s8, v17
	s_delay_alu instid0(VALU_DEP_3)
	v_add_co_ci_u32_e32 v12, vcc_lo, s9, v18, vcc_lo
	v_add_co_u32 v13, vcc_lo, s4, v13
	v_add_co_ci_u32_e32 v14, vcc_lo, s5, v14, vcc_lo
	s_mov_b32 vcc_lo, s2
	global_store_b64 v[19:20], v[15:16], off
	s_cbranch_vccz .LBB164_72
; %bb.70:
	v_min_f32_e32 v9, 0, v8
	v_add_co_u32 v17, vcc_lo, v11, v0
	v_add_co_ci_u32_e32 v18, vcc_lo, v12, v1, vcc_lo
	s_delay_alu instid0(VALU_DEP_3)
	v_cvt_f64_f32_e32 v[15:16], v9
	s_mov_b64 s[0:1], 0
	global_store_b64 v[17:18], v[15:16], off
	s_cbranch_execz .LBB164_73
; %bb.71:
	v_dual_mov_b32 v9, s1 :: v_dual_mov_b32 v8, s0
	s_branch .LBB164_74
.LBB164_72:
                                        ; implicit-def: $sgpr0_sgpr1
.LBB164_73:
	v_add_co_u32 v15, vcc_lo, v13, v0
	v_add_co_ci_u32_e32 v16, vcc_lo, v14, v1, vcc_lo
	flat_load_b64 v[15:16], v[15:16]
	s_waitcnt vmcnt(0) lgkmcnt(0)
	v_mul_f64 v[15:16], v[15:16], s[6:7]
	s_delay_alu instid0(VALU_DEP_1)
	v_cvt_f32_f64_e32 v9, v[15:16]
	v_add_co_u32 v15, vcc_lo, v11, v0
	v_add_co_ci_u32_e32 v16, vcc_lo, v12, v1, vcc_lo
	v_add_co_u32 v17, vcc_lo, v13, v2
	v_add_co_ci_u32_e32 v18, vcc_lo, v14, v3, vcc_lo
	v_min_f32_e32 v8, v9, v8
	s_delay_alu instid0(VALU_DEP_1)
	v_cvt_f64_f32_e32 v[8:9], v8
	global_store_b64 v[15:16], v[8:9], off
	flat_load_b64 v[8:9], v[17:18]
	s_waitcnt vmcnt(0) lgkmcnt(0)
	v_mul_f64 v[8:9], v[8:9], s[6:7]
.LBB164_74:
	s_delay_alu instid0(VALU_DEP_1) | instskip(SKIP_4) | instid1(VALU_DEP_3)
	v_cvt_f32_f64_e32 v8, v[8:9]
	v_max_f32_e32 v9, v124, v124
	v_add_co_u32 v17, vcc_lo, v11, v2
	v_add_co_ci_u32_e32 v18, vcc_lo, v12, v3, vcc_lo
	s_mov_b32 vcc_lo, s2
	v_min_f32_e32 v8, v8, v9
	s_delay_alu instid0(VALU_DEP_1)
	v_cvt_f64_f32_e32 v[15:16], v8
	v_max_f32_e32 v8, v123, v123
	global_store_b64 v[17:18], v[15:16], off
	s_cbranch_vccz .LBB164_77
; %bb.75:
	v_min_f32_e32 v9, 0, v8
	v_add_co_u32 v17, vcc_lo, v11, v4
	v_add_co_ci_u32_e32 v18, vcc_lo, v12, v5, vcc_lo
	s_delay_alu instid0(VALU_DEP_3)
	v_cvt_f64_f32_e32 v[15:16], v9
	s_mov_b64 s[0:1], 0
	global_store_b64 v[17:18], v[15:16], off
	s_cbranch_execz .LBB164_78
; %bb.76:
	v_dual_mov_b32 v9, s1 :: v_dual_mov_b32 v8, s0
	s_branch .LBB164_79
.LBB164_77:
                                        ; implicit-def: $sgpr0_sgpr1
.LBB164_78:
	v_add_co_u32 v15, vcc_lo, v13, v4
	v_add_co_ci_u32_e32 v16, vcc_lo, v14, v5, vcc_lo
	flat_load_b64 v[15:16], v[15:16]
	s_waitcnt vmcnt(0) lgkmcnt(0)
	v_mul_f64 v[15:16], v[15:16], s[6:7]
	s_delay_alu instid0(VALU_DEP_1)
	v_cvt_f32_f64_e32 v9, v[15:16]
	v_add_co_u32 v15, vcc_lo, v11, v4
	v_add_co_ci_u32_e32 v16, vcc_lo, v12, v5, vcc_lo
	v_add_co_u32 v13, vcc_lo, v13, v6
	v_add_co_ci_u32_e32 v14, vcc_lo, v14, v7, vcc_lo
	v_min_f32_e32 v8, v9, v8
	s_delay_alu instid0(VALU_DEP_1)
	v_cvt_f64_f32_e32 v[8:9], v8
	global_store_b64 v[15:16], v[8:9], off
	flat_load_b64 v[8:9], v[13:14]
	s_waitcnt vmcnt(0) lgkmcnt(0)
	v_mul_f64 v[8:9], v[8:9], s[6:7]
.LBB164_79:
	s_delay_alu instid0(VALU_DEP_1) | instskip(SKIP_4) | instid1(VALU_DEP_1)
	v_cvt_f32_f64_e32 v8, v[8:9]
	v_max_f32_e32 v9, v122, v122
	v_add_co_u32 v19, vcc_lo, v11, v6
	v_add_co_ci_u32_e32 v20, vcc_lo, v12, v7, vcc_lo
	v_add_nc_u32_e32 v17, 32, v10
	v_mad_i64_i32 v[13:14], null, v17, s3, 0
	s_delay_alu instid0(VALU_DEP_1) | instskip(SKIP_1) | instid1(VALU_DEP_1)
	v_lshlrev_b64 v[13:14], 3, v[13:14]
	v_min_f32_e32 v8, v8, v9
	v_cvt_f64_f32_e32 v[15:16], v8
	v_mad_i64_i32 v[8:9], null, v17, s12, 0
	s_delay_alu instid0(VALU_DEP_1) | instskip(SKIP_1) | instid1(VALU_DEP_2)
	v_lshlrev_b64 v[17:18], 3, v[8:9]
	v_max_f32_e32 v8, v121, v121
	v_add_co_u32 v11, vcc_lo, s8, v17
	s_delay_alu instid0(VALU_DEP_3)
	v_add_co_ci_u32_e32 v12, vcc_lo, s9, v18, vcc_lo
	v_add_co_u32 v13, vcc_lo, s4, v13
	v_add_co_ci_u32_e32 v14, vcc_lo, s5, v14, vcc_lo
	s_mov_b32 vcc_lo, s2
	global_store_b64 v[19:20], v[15:16], off
	s_cbranch_vccz .LBB164_82
; %bb.80:
	v_min_f32_e32 v9, 0, v8
	v_add_co_u32 v17, vcc_lo, v11, v0
	v_add_co_ci_u32_e32 v18, vcc_lo, v12, v1, vcc_lo
	s_delay_alu instid0(VALU_DEP_3)
	v_cvt_f64_f32_e32 v[15:16], v9
	s_mov_b64 s[0:1], 0
	global_store_b64 v[17:18], v[15:16], off
	s_cbranch_execz .LBB164_83
; %bb.81:
	v_dual_mov_b32 v9, s1 :: v_dual_mov_b32 v8, s0
	s_branch .LBB164_84
.LBB164_82:
                                        ; implicit-def: $sgpr0_sgpr1
.LBB164_83:
	v_add_co_u32 v15, vcc_lo, v13, v0
	v_add_co_ci_u32_e32 v16, vcc_lo, v14, v1, vcc_lo
	flat_load_b64 v[15:16], v[15:16]
	s_waitcnt vmcnt(0) lgkmcnt(0)
	v_mul_f64 v[15:16], v[15:16], s[6:7]
	s_delay_alu instid0(VALU_DEP_1)
	v_cvt_f32_f64_e32 v9, v[15:16]
	v_add_co_u32 v15, vcc_lo, v11, v0
	v_add_co_ci_u32_e32 v16, vcc_lo, v12, v1, vcc_lo
	v_add_co_u32 v17, vcc_lo, v13, v2
	v_add_co_ci_u32_e32 v18, vcc_lo, v14, v3, vcc_lo
	v_min_f32_e32 v8, v9, v8
	s_delay_alu instid0(VALU_DEP_1)
	v_cvt_f64_f32_e32 v[8:9], v8
	global_store_b64 v[15:16], v[8:9], off
	flat_load_b64 v[8:9], v[17:18]
	s_waitcnt vmcnt(0) lgkmcnt(0)
	v_mul_f64 v[8:9], v[8:9], s[6:7]
.LBB164_84:
	s_delay_alu instid0(VALU_DEP_1) | instskip(SKIP_4) | instid1(VALU_DEP_3)
	v_cvt_f32_f64_e32 v8, v[8:9]
	v_max_f32_e32 v9, v120, v120
	v_add_co_u32 v17, vcc_lo, v11, v2
	v_add_co_ci_u32_e32 v18, vcc_lo, v12, v3, vcc_lo
	s_mov_b32 vcc_lo, s2
	v_min_f32_e32 v8, v8, v9
	s_delay_alu instid0(VALU_DEP_1)
	v_cvt_f64_f32_e32 v[15:16], v8
	v_max_f32_e32 v8, v119, v119
	global_store_b64 v[17:18], v[15:16], off
	s_cbranch_vccz .LBB164_87
; %bb.85:
	v_min_f32_e32 v9, 0, v8
	v_add_co_u32 v17, vcc_lo, v11, v4
	v_add_co_ci_u32_e32 v18, vcc_lo, v12, v5, vcc_lo
	s_delay_alu instid0(VALU_DEP_3)
	v_cvt_f64_f32_e32 v[15:16], v9
	s_mov_b64 s[0:1], 0
	global_store_b64 v[17:18], v[15:16], off
	s_cbranch_execz .LBB164_88
; %bb.86:
	v_dual_mov_b32 v9, s1 :: v_dual_mov_b32 v8, s0
	s_branch .LBB164_89
.LBB164_87:
                                        ; implicit-def: $sgpr0_sgpr1
.LBB164_88:
	v_add_co_u32 v15, vcc_lo, v13, v4
	v_add_co_ci_u32_e32 v16, vcc_lo, v14, v5, vcc_lo
	flat_load_b64 v[15:16], v[15:16]
	s_waitcnt vmcnt(0) lgkmcnt(0)
	v_mul_f64 v[15:16], v[15:16], s[6:7]
	s_delay_alu instid0(VALU_DEP_1)
	v_cvt_f32_f64_e32 v9, v[15:16]
	v_add_co_u32 v15, vcc_lo, v11, v4
	v_add_co_ci_u32_e32 v16, vcc_lo, v12, v5, vcc_lo
	v_add_co_u32 v13, vcc_lo, v13, v6
	v_add_co_ci_u32_e32 v14, vcc_lo, v14, v7, vcc_lo
	v_min_f32_e32 v8, v9, v8
	s_delay_alu instid0(VALU_DEP_1)
	v_cvt_f64_f32_e32 v[8:9], v8
	global_store_b64 v[15:16], v[8:9], off
	flat_load_b64 v[8:9], v[13:14]
	s_waitcnt vmcnt(0) lgkmcnt(0)
	v_mul_f64 v[8:9], v[8:9], s[6:7]
.LBB164_89:
	s_delay_alu instid0(VALU_DEP_1) | instskip(SKIP_4) | instid1(VALU_DEP_1)
	v_cvt_f32_f64_e32 v8, v[8:9]
	v_max_f32_e32 v9, v118, v118
	v_add_co_u32 v19, vcc_lo, v11, v6
	v_add_co_ci_u32_e32 v20, vcc_lo, v12, v7, vcc_lo
	v_add_nc_u32_e32 v17, 40, v10
	v_mad_i64_i32 v[13:14], null, v17, s3, 0
	s_delay_alu instid0(VALU_DEP_1) | instskip(SKIP_1) | instid1(VALU_DEP_1)
	v_lshlrev_b64 v[13:14], 3, v[13:14]
	v_min_f32_e32 v8, v8, v9
	v_cvt_f64_f32_e32 v[15:16], v8
	v_mad_i64_i32 v[8:9], null, v17, s12, 0
	s_delay_alu instid0(VALU_DEP_1) | instskip(SKIP_1) | instid1(VALU_DEP_2)
	v_lshlrev_b64 v[17:18], 3, v[8:9]
	v_max_f32_e32 v8, v117, v117
	v_add_co_u32 v11, vcc_lo, s8, v17
	s_delay_alu instid0(VALU_DEP_3)
	v_add_co_ci_u32_e32 v12, vcc_lo, s9, v18, vcc_lo
	v_add_co_u32 v13, vcc_lo, s4, v13
	v_add_co_ci_u32_e32 v14, vcc_lo, s5, v14, vcc_lo
	s_mov_b32 vcc_lo, s2
	global_store_b64 v[19:20], v[15:16], off
	s_cbranch_vccz .LBB164_92
; %bb.90:
	v_min_f32_e32 v9, 0, v8
	v_add_co_u32 v17, vcc_lo, v11, v0
	v_add_co_ci_u32_e32 v18, vcc_lo, v12, v1, vcc_lo
	s_delay_alu instid0(VALU_DEP_3)
	v_cvt_f64_f32_e32 v[15:16], v9
	s_mov_b64 s[0:1], 0
	global_store_b64 v[17:18], v[15:16], off
	s_cbranch_execz .LBB164_93
; %bb.91:
	v_dual_mov_b32 v9, s1 :: v_dual_mov_b32 v8, s0
	s_branch .LBB164_94
.LBB164_92:
                                        ; implicit-def: $sgpr0_sgpr1
.LBB164_93:
	v_add_co_u32 v15, vcc_lo, v13, v0
	v_add_co_ci_u32_e32 v16, vcc_lo, v14, v1, vcc_lo
	flat_load_b64 v[15:16], v[15:16]
	s_waitcnt vmcnt(0) lgkmcnt(0)
	v_mul_f64 v[15:16], v[15:16], s[6:7]
	s_delay_alu instid0(VALU_DEP_1)
	v_cvt_f32_f64_e32 v9, v[15:16]
	v_add_co_u32 v15, vcc_lo, v11, v0
	v_add_co_ci_u32_e32 v16, vcc_lo, v12, v1, vcc_lo
	v_add_co_u32 v17, vcc_lo, v13, v2
	v_add_co_ci_u32_e32 v18, vcc_lo, v14, v3, vcc_lo
	v_min_f32_e32 v8, v9, v8
	s_delay_alu instid0(VALU_DEP_1)
	v_cvt_f64_f32_e32 v[8:9], v8
	global_store_b64 v[15:16], v[8:9], off
	flat_load_b64 v[8:9], v[17:18]
	s_waitcnt vmcnt(0) lgkmcnt(0)
	v_mul_f64 v[8:9], v[8:9], s[6:7]
.LBB164_94:
	s_delay_alu instid0(VALU_DEP_1) | instskip(SKIP_4) | instid1(VALU_DEP_3)
	v_cvt_f32_f64_e32 v8, v[8:9]
	v_max_f32_e32 v9, v116, v116
	v_add_co_u32 v17, vcc_lo, v11, v2
	v_add_co_ci_u32_e32 v18, vcc_lo, v12, v3, vcc_lo
	s_mov_b32 vcc_lo, s2
	v_min_f32_e32 v8, v8, v9
	s_delay_alu instid0(VALU_DEP_1)
	v_cvt_f64_f32_e32 v[15:16], v8
	v_max_f32_e32 v8, v115, v115
	global_store_b64 v[17:18], v[15:16], off
	s_cbranch_vccz .LBB164_97
; %bb.95:
	v_min_f32_e32 v9, 0, v8
	v_add_co_u32 v17, vcc_lo, v11, v4
	v_add_co_ci_u32_e32 v18, vcc_lo, v12, v5, vcc_lo
	s_delay_alu instid0(VALU_DEP_3)
	v_cvt_f64_f32_e32 v[15:16], v9
	s_mov_b64 s[0:1], 0
	global_store_b64 v[17:18], v[15:16], off
	s_cbranch_execz .LBB164_98
; %bb.96:
	v_dual_mov_b32 v9, s1 :: v_dual_mov_b32 v8, s0
	s_branch .LBB164_99
.LBB164_97:
                                        ; implicit-def: $sgpr0_sgpr1
.LBB164_98:
	v_add_co_u32 v15, vcc_lo, v13, v4
	v_add_co_ci_u32_e32 v16, vcc_lo, v14, v5, vcc_lo
	flat_load_b64 v[15:16], v[15:16]
	s_waitcnt vmcnt(0) lgkmcnt(0)
	v_mul_f64 v[15:16], v[15:16], s[6:7]
	s_delay_alu instid0(VALU_DEP_1)
	v_cvt_f32_f64_e32 v9, v[15:16]
	v_add_co_u32 v15, vcc_lo, v11, v4
	v_add_co_ci_u32_e32 v16, vcc_lo, v12, v5, vcc_lo
	v_add_co_u32 v13, vcc_lo, v13, v6
	v_add_co_ci_u32_e32 v14, vcc_lo, v14, v7, vcc_lo
	v_min_f32_e32 v8, v9, v8
	s_delay_alu instid0(VALU_DEP_1)
	v_cvt_f64_f32_e32 v[8:9], v8
	global_store_b64 v[15:16], v[8:9], off
	flat_load_b64 v[8:9], v[13:14]
	s_waitcnt vmcnt(0) lgkmcnt(0)
	v_mul_f64 v[8:9], v[8:9], s[6:7]
.LBB164_99:
	s_delay_alu instid0(VALU_DEP_1) | instskip(SKIP_4) | instid1(VALU_DEP_1)
	v_cvt_f32_f64_e32 v8, v[8:9]
	v_max_f32_e32 v9, v114, v114
	v_add_co_u32 v19, vcc_lo, v11, v6
	v_add_co_ci_u32_e32 v20, vcc_lo, v12, v7, vcc_lo
	v_add_nc_u32_e32 v17, 48, v10
	v_mad_i64_i32 v[13:14], null, v17, s3, 0
	s_delay_alu instid0(VALU_DEP_1) | instskip(SKIP_1) | instid1(VALU_DEP_1)
	v_lshlrev_b64 v[13:14], 3, v[13:14]
	v_min_f32_e32 v8, v8, v9
	v_cvt_f64_f32_e32 v[15:16], v8
	v_mad_i64_i32 v[8:9], null, v17, s12, 0
	s_delay_alu instid0(VALU_DEP_1) | instskip(SKIP_1) | instid1(VALU_DEP_2)
	v_lshlrev_b64 v[17:18], 3, v[8:9]
	v_max_f32_e32 v8, v113, v113
	v_add_co_u32 v11, vcc_lo, s8, v17
	s_delay_alu instid0(VALU_DEP_3)
	v_add_co_ci_u32_e32 v12, vcc_lo, s9, v18, vcc_lo
	v_add_co_u32 v13, vcc_lo, s4, v13
	v_add_co_ci_u32_e32 v14, vcc_lo, s5, v14, vcc_lo
	s_mov_b32 vcc_lo, s2
	global_store_b64 v[19:20], v[15:16], off
	s_cbranch_vccz .LBB164_102
; %bb.100:
	v_min_f32_e32 v9, 0, v8
	v_add_co_u32 v17, vcc_lo, v11, v0
	v_add_co_ci_u32_e32 v18, vcc_lo, v12, v1, vcc_lo
	s_delay_alu instid0(VALU_DEP_3)
	v_cvt_f64_f32_e32 v[15:16], v9
	s_mov_b64 s[0:1], 0
	global_store_b64 v[17:18], v[15:16], off
	s_cbranch_execz .LBB164_103
; %bb.101:
	v_dual_mov_b32 v9, s1 :: v_dual_mov_b32 v8, s0
	s_branch .LBB164_104
.LBB164_102:
                                        ; implicit-def: $sgpr0_sgpr1
.LBB164_103:
	v_add_co_u32 v15, vcc_lo, v13, v0
	v_add_co_ci_u32_e32 v16, vcc_lo, v14, v1, vcc_lo
	flat_load_b64 v[15:16], v[15:16]
	s_waitcnt vmcnt(0) lgkmcnt(0)
	v_mul_f64 v[15:16], v[15:16], s[6:7]
	s_delay_alu instid0(VALU_DEP_1)
	v_cvt_f32_f64_e32 v9, v[15:16]
	v_add_co_u32 v15, vcc_lo, v11, v0
	v_add_co_ci_u32_e32 v16, vcc_lo, v12, v1, vcc_lo
	v_add_co_u32 v17, vcc_lo, v13, v2
	v_add_co_ci_u32_e32 v18, vcc_lo, v14, v3, vcc_lo
	v_min_f32_e32 v8, v9, v8
	s_delay_alu instid0(VALU_DEP_1)
	v_cvt_f64_f32_e32 v[8:9], v8
	global_store_b64 v[15:16], v[8:9], off
	flat_load_b64 v[8:9], v[17:18]
	s_waitcnt vmcnt(0) lgkmcnt(0)
	v_mul_f64 v[8:9], v[8:9], s[6:7]
.LBB164_104:
	s_delay_alu instid0(VALU_DEP_1) | instskip(SKIP_4) | instid1(VALU_DEP_3)
	v_cvt_f32_f64_e32 v8, v[8:9]
	v_max_f32_e32 v9, v112, v112
	v_add_co_u32 v17, vcc_lo, v11, v2
	v_add_co_ci_u32_e32 v18, vcc_lo, v12, v3, vcc_lo
	s_mov_b32 vcc_lo, s2
	v_min_f32_e32 v8, v8, v9
	s_delay_alu instid0(VALU_DEP_1)
	v_cvt_f64_f32_e32 v[15:16], v8
	v_max_f32_e32 v8, v111, v111
	global_store_b64 v[17:18], v[15:16], off
	s_cbranch_vccz .LBB164_107
; %bb.105:
	v_min_f32_e32 v9, 0, v8
	v_add_co_u32 v17, vcc_lo, v11, v4
	v_add_co_ci_u32_e32 v18, vcc_lo, v12, v5, vcc_lo
	s_delay_alu instid0(VALU_DEP_3)
	v_cvt_f64_f32_e32 v[15:16], v9
	s_mov_b64 s[0:1], 0
	global_store_b64 v[17:18], v[15:16], off
	s_cbranch_execz .LBB164_108
; %bb.106:
	v_dual_mov_b32 v9, s1 :: v_dual_mov_b32 v8, s0
	s_branch .LBB164_109
.LBB164_107:
                                        ; implicit-def: $sgpr0_sgpr1
.LBB164_108:
	v_add_co_u32 v15, vcc_lo, v13, v4
	v_add_co_ci_u32_e32 v16, vcc_lo, v14, v5, vcc_lo
	flat_load_b64 v[15:16], v[15:16]
	s_waitcnt vmcnt(0) lgkmcnt(0)
	v_mul_f64 v[15:16], v[15:16], s[6:7]
	s_delay_alu instid0(VALU_DEP_1)
	v_cvt_f32_f64_e32 v9, v[15:16]
	v_add_co_u32 v15, vcc_lo, v11, v4
	v_add_co_ci_u32_e32 v16, vcc_lo, v12, v5, vcc_lo
	v_add_co_u32 v13, vcc_lo, v13, v6
	v_add_co_ci_u32_e32 v14, vcc_lo, v14, v7, vcc_lo
	v_min_f32_e32 v8, v9, v8
	s_delay_alu instid0(VALU_DEP_1)
	v_cvt_f64_f32_e32 v[8:9], v8
	global_store_b64 v[15:16], v[8:9], off
	flat_load_b64 v[8:9], v[13:14]
	s_waitcnt vmcnt(0) lgkmcnt(0)
	v_mul_f64 v[8:9], v[8:9], s[6:7]
.LBB164_109:
	s_delay_alu instid0(VALU_DEP_1) | instskip(SKIP_4) | instid1(VALU_DEP_1)
	v_cvt_f32_f64_e32 v8, v[8:9]
	v_max_f32_e32 v9, v110, v110
	v_add_co_u32 v19, vcc_lo, v11, v6
	v_add_co_ci_u32_e32 v20, vcc_lo, v12, v7, vcc_lo
	v_add_nc_u32_e32 v17, 56, v10
	v_mad_i64_i32 v[13:14], null, v17, s3, 0
	s_delay_alu instid0(VALU_DEP_1) | instskip(SKIP_1) | instid1(VALU_DEP_1)
	v_lshlrev_b64 v[13:14], 3, v[13:14]
	v_min_f32_e32 v8, v8, v9
	v_cvt_f64_f32_e32 v[15:16], v8
	v_mad_i64_i32 v[8:9], null, v17, s12, 0
	s_delay_alu instid0(VALU_DEP_1) | instskip(SKIP_1) | instid1(VALU_DEP_2)
	v_lshlrev_b64 v[17:18], 3, v[8:9]
	v_max_f32_e32 v8, v109, v109
	v_add_co_u32 v11, vcc_lo, s8, v17
	s_delay_alu instid0(VALU_DEP_3)
	v_add_co_ci_u32_e32 v12, vcc_lo, s9, v18, vcc_lo
	v_add_co_u32 v13, vcc_lo, s4, v13
	v_add_co_ci_u32_e32 v14, vcc_lo, s5, v14, vcc_lo
	s_mov_b32 vcc_lo, s2
	global_store_b64 v[19:20], v[15:16], off
	s_cbranch_vccz .LBB164_112
; %bb.110:
	v_min_f32_e32 v9, 0, v8
	v_add_co_u32 v17, vcc_lo, v11, v0
	v_add_co_ci_u32_e32 v18, vcc_lo, v12, v1, vcc_lo
	s_delay_alu instid0(VALU_DEP_3)
	v_cvt_f64_f32_e32 v[15:16], v9
	s_mov_b64 s[0:1], 0
	global_store_b64 v[17:18], v[15:16], off
	s_cbranch_execz .LBB164_113
; %bb.111:
	v_dual_mov_b32 v9, s1 :: v_dual_mov_b32 v8, s0
	s_branch .LBB164_114
.LBB164_112:
                                        ; implicit-def: $sgpr0_sgpr1
.LBB164_113:
	v_add_co_u32 v15, vcc_lo, v13, v0
	v_add_co_ci_u32_e32 v16, vcc_lo, v14, v1, vcc_lo
	flat_load_b64 v[15:16], v[15:16]
	s_waitcnt vmcnt(0) lgkmcnt(0)
	v_mul_f64 v[15:16], v[15:16], s[6:7]
	s_delay_alu instid0(VALU_DEP_1)
	v_cvt_f32_f64_e32 v9, v[15:16]
	v_add_co_u32 v15, vcc_lo, v11, v0
	v_add_co_ci_u32_e32 v16, vcc_lo, v12, v1, vcc_lo
	v_add_co_u32 v17, vcc_lo, v13, v2
	v_add_co_ci_u32_e32 v18, vcc_lo, v14, v3, vcc_lo
	v_min_f32_e32 v8, v9, v8
	s_delay_alu instid0(VALU_DEP_1)
	v_cvt_f64_f32_e32 v[8:9], v8
	global_store_b64 v[15:16], v[8:9], off
	flat_load_b64 v[8:9], v[17:18]
	s_waitcnt vmcnt(0) lgkmcnt(0)
	v_mul_f64 v[8:9], v[8:9], s[6:7]
.LBB164_114:
	s_delay_alu instid0(VALU_DEP_1) | instskip(SKIP_4) | instid1(VALU_DEP_3)
	v_cvt_f32_f64_e32 v8, v[8:9]
	v_max_f32_e32 v9, v108, v108
	v_add_co_u32 v17, vcc_lo, v11, v2
	v_add_co_ci_u32_e32 v18, vcc_lo, v12, v3, vcc_lo
	s_mov_b32 vcc_lo, s2
	v_min_f32_e32 v8, v8, v9
	s_delay_alu instid0(VALU_DEP_1)
	v_cvt_f64_f32_e32 v[15:16], v8
	v_max_f32_e32 v8, v107, v107
	global_store_b64 v[17:18], v[15:16], off
	s_cbranch_vccz .LBB164_117
; %bb.115:
	v_min_f32_e32 v9, 0, v8
	v_add_co_u32 v17, vcc_lo, v11, v4
	v_add_co_ci_u32_e32 v18, vcc_lo, v12, v5, vcc_lo
	s_delay_alu instid0(VALU_DEP_3)
	v_cvt_f64_f32_e32 v[15:16], v9
	s_mov_b64 s[0:1], 0
	global_store_b64 v[17:18], v[15:16], off
	s_cbranch_execz .LBB164_118
; %bb.116:
	v_dual_mov_b32 v9, s1 :: v_dual_mov_b32 v8, s0
	s_branch .LBB164_119
.LBB164_117:
                                        ; implicit-def: $sgpr0_sgpr1
.LBB164_118:
	v_add_co_u32 v15, vcc_lo, v13, v4
	v_add_co_ci_u32_e32 v16, vcc_lo, v14, v5, vcc_lo
	flat_load_b64 v[15:16], v[15:16]
	s_waitcnt vmcnt(0) lgkmcnt(0)
	v_mul_f64 v[15:16], v[15:16], s[6:7]
	s_delay_alu instid0(VALU_DEP_1)
	v_cvt_f32_f64_e32 v9, v[15:16]
	v_add_co_u32 v15, vcc_lo, v11, v4
	v_add_co_ci_u32_e32 v16, vcc_lo, v12, v5, vcc_lo
	v_add_co_u32 v13, vcc_lo, v13, v6
	v_add_co_ci_u32_e32 v14, vcc_lo, v14, v7, vcc_lo
	v_min_f32_e32 v8, v9, v8
	s_delay_alu instid0(VALU_DEP_1)
	v_cvt_f64_f32_e32 v[8:9], v8
	global_store_b64 v[15:16], v[8:9], off
	flat_load_b64 v[8:9], v[13:14]
	s_waitcnt vmcnt(0) lgkmcnt(0)
	v_mul_f64 v[8:9], v[8:9], s[6:7]
.LBB164_119:
	s_delay_alu instid0(VALU_DEP_1) | instskip(SKIP_4) | instid1(VALU_DEP_1)
	v_cvt_f32_f64_e32 v8, v[8:9]
	v_max_f32_e32 v9, v106, v106
	v_add_co_u32 v19, vcc_lo, v11, v6
	v_add_co_ci_u32_e32 v20, vcc_lo, v12, v7, vcc_lo
	v_add_nc_u32_e32 v17, 64, v10
	v_mad_i64_i32 v[13:14], null, v17, s3, 0
	s_delay_alu instid0(VALU_DEP_1) | instskip(SKIP_1) | instid1(VALU_DEP_1)
	v_lshlrev_b64 v[13:14], 3, v[13:14]
	v_min_f32_e32 v8, v8, v9
	v_cvt_f64_f32_e32 v[15:16], v8
	v_mad_i64_i32 v[8:9], null, v17, s12, 0
	s_delay_alu instid0(VALU_DEP_1) | instskip(SKIP_1) | instid1(VALU_DEP_2)
	v_lshlrev_b64 v[17:18], 3, v[8:9]
	v_max_f32_e32 v8, v105, v105
	v_add_co_u32 v11, vcc_lo, s8, v17
	s_delay_alu instid0(VALU_DEP_3)
	v_add_co_ci_u32_e32 v12, vcc_lo, s9, v18, vcc_lo
	v_add_co_u32 v13, vcc_lo, s4, v13
	v_add_co_ci_u32_e32 v14, vcc_lo, s5, v14, vcc_lo
	s_mov_b32 vcc_lo, s2
	global_store_b64 v[19:20], v[15:16], off
	s_cbranch_vccz .LBB164_122
; %bb.120:
	v_min_f32_e32 v9, 0, v8
	v_add_co_u32 v17, vcc_lo, v11, v0
	v_add_co_ci_u32_e32 v18, vcc_lo, v12, v1, vcc_lo
	s_delay_alu instid0(VALU_DEP_3)
	v_cvt_f64_f32_e32 v[15:16], v9
	s_mov_b64 s[0:1], 0
	global_store_b64 v[17:18], v[15:16], off
	s_cbranch_execz .LBB164_123
; %bb.121:
	v_dual_mov_b32 v9, s1 :: v_dual_mov_b32 v8, s0
	s_branch .LBB164_124
.LBB164_122:
                                        ; implicit-def: $sgpr0_sgpr1
.LBB164_123:
	v_add_co_u32 v15, vcc_lo, v13, v0
	v_add_co_ci_u32_e32 v16, vcc_lo, v14, v1, vcc_lo
	flat_load_b64 v[15:16], v[15:16]
	s_waitcnt vmcnt(0) lgkmcnt(0)
	v_mul_f64 v[15:16], v[15:16], s[6:7]
	s_delay_alu instid0(VALU_DEP_1)
	v_cvt_f32_f64_e32 v9, v[15:16]
	v_add_co_u32 v15, vcc_lo, v11, v0
	v_add_co_ci_u32_e32 v16, vcc_lo, v12, v1, vcc_lo
	v_add_co_u32 v17, vcc_lo, v13, v2
	v_add_co_ci_u32_e32 v18, vcc_lo, v14, v3, vcc_lo
	v_min_f32_e32 v8, v9, v8
	s_delay_alu instid0(VALU_DEP_1)
	v_cvt_f64_f32_e32 v[8:9], v8
	global_store_b64 v[15:16], v[8:9], off
	flat_load_b64 v[8:9], v[17:18]
	s_waitcnt vmcnt(0) lgkmcnt(0)
	v_mul_f64 v[8:9], v[8:9], s[6:7]
.LBB164_124:
	s_delay_alu instid0(VALU_DEP_1) | instskip(SKIP_4) | instid1(VALU_DEP_3)
	v_cvt_f32_f64_e32 v8, v[8:9]
	v_max_f32_e32 v9, v104, v104
	v_add_co_u32 v17, vcc_lo, v11, v2
	v_add_co_ci_u32_e32 v18, vcc_lo, v12, v3, vcc_lo
	s_mov_b32 vcc_lo, s2
	v_min_f32_e32 v8, v8, v9
	s_delay_alu instid0(VALU_DEP_1)
	v_cvt_f64_f32_e32 v[15:16], v8
	v_max_f32_e32 v8, v103, v103
	global_store_b64 v[17:18], v[15:16], off
	s_cbranch_vccz .LBB164_127
; %bb.125:
	v_min_f32_e32 v9, 0, v8
	v_add_co_u32 v17, vcc_lo, v11, v4
	v_add_co_ci_u32_e32 v18, vcc_lo, v12, v5, vcc_lo
	s_delay_alu instid0(VALU_DEP_3)
	v_cvt_f64_f32_e32 v[15:16], v9
	s_mov_b64 s[0:1], 0
	global_store_b64 v[17:18], v[15:16], off
	s_cbranch_execz .LBB164_128
; %bb.126:
	v_dual_mov_b32 v9, s1 :: v_dual_mov_b32 v8, s0
	s_branch .LBB164_129
.LBB164_127:
                                        ; implicit-def: $sgpr0_sgpr1
.LBB164_128:
	v_add_co_u32 v15, vcc_lo, v13, v4
	v_add_co_ci_u32_e32 v16, vcc_lo, v14, v5, vcc_lo
	flat_load_b64 v[15:16], v[15:16]
	s_waitcnt vmcnt(0) lgkmcnt(0)
	v_mul_f64 v[15:16], v[15:16], s[6:7]
	s_delay_alu instid0(VALU_DEP_1)
	v_cvt_f32_f64_e32 v9, v[15:16]
	v_add_co_u32 v15, vcc_lo, v11, v4
	v_add_co_ci_u32_e32 v16, vcc_lo, v12, v5, vcc_lo
	v_add_co_u32 v13, vcc_lo, v13, v6
	v_add_co_ci_u32_e32 v14, vcc_lo, v14, v7, vcc_lo
	v_min_f32_e32 v8, v9, v8
	s_delay_alu instid0(VALU_DEP_1)
	v_cvt_f64_f32_e32 v[8:9], v8
	global_store_b64 v[15:16], v[8:9], off
	flat_load_b64 v[8:9], v[13:14]
	s_waitcnt vmcnt(0) lgkmcnt(0)
	v_mul_f64 v[8:9], v[8:9], s[6:7]
.LBB164_129:
	s_delay_alu instid0(VALU_DEP_1) | instskip(SKIP_4) | instid1(VALU_DEP_1)
	v_cvt_f32_f64_e32 v8, v[8:9]
	v_max_f32_e32 v9, v102, v102
	v_add_co_u32 v19, vcc_lo, v11, v6
	v_add_co_ci_u32_e32 v20, vcc_lo, v12, v7, vcc_lo
	v_add_nc_u32_e32 v17, 0x48, v10
	v_mad_i64_i32 v[13:14], null, v17, s3, 0
	s_delay_alu instid0(VALU_DEP_1) | instskip(SKIP_1) | instid1(VALU_DEP_1)
	v_lshlrev_b64 v[13:14], 3, v[13:14]
	v_min_f32_e32 v8, v8, v9
	v_cvt_f64_f32_e32 v[15:16], v8
	v_mad_i64_i32 v[8:9], null, v17, s12, 0
	s_delay_alu instid0(VALU_DEP_1) | instskip(SKIP_1) | instid1(VALU_DEP_2)
	v_lshlrev_b64 v[17:18], 3, v[8:9]
	v_max_f32_e32 v8, v101, v101
	v_add_co_u32 v11, vcc_lo, s8, v17
	s_delay_alu instid0(VALU_DEP_3)
	v_add_co_ci_u32_e32 v12, vcc_lo, s9, v18, vcc_lo
	v_add_co_u32 v13, vcc_lo, s4, v13
	v_add_co_ci_u32_e32 v14, vcc_lo, s5, v14, vcc_lo
	s_mov_b32 vcc_lo, s2
	global_store_b64 v[19:20], v[15:16], off
	s_cbranch_vccz .LBB164_132
; %bb.130:
	v_min_f32_e32 v9, 0, v8
	v_add_co_u32 v17, vcc_lo, v11, v0
	v_add_co_ci_u32_e32 v18, vcc_lo, v12, v1, vcc_lo
	s_delay_alu instid0(VALU_DEP_3)
	v_cvt_f64_f32_e32 v[15:16], v9
	s_mov_b64 s[0:1], 0
	global_store_b64 v[17:18], v[15:16], off
	s_cbranch_execz .LBB164_133
; %bb.131:
	v_dual_mov_b32 v9, s1 :: v_dual_mov_b32 v8, s0
	s_branch .LBB164_134
.LBB164_132:
                                        ; implicit-def: $sgpr0_sgpr1
.LBB164_133:
	v_add_co_u32 v15, vcc_lo, v13, v0
	v_add_co_ci_u32_e32 v16, vcc_lo, v14, v1, vcc_lo
	flat_load_b64 v[15:16], v[15:16]
	s_waitcnt vmcnt(0) lgkmcnt(0)
	v_mul_f64 v[15:16], v[15:16], s[6:7]
	s_delay_alu instid0(VALU_DEP_1)
	v_cvt_f32_f64_e32 v9, v[15:16]
	v_add_co_u32 v15, vcc_lo, v11, v0
	v_add_co_ci_u32_e32 v16, vcc_lo, v12, v1, vcc_lo
	v_add_co_u32 v17, vcc_lo, v13, v2
	v_add_co_ci_u32_e32 v18, vcc_lo, v14, v3, vcc_lo
	v_min_f32_e32 v8, v9, v8
	s_delay_alu instid0(VALU_DEP_1)
	v_cvt_f64_f32_e32 v[8:9], v8
	global_store_b64 v[15:16], v[8:9], off
	flat_load_b64 v[8:9], v[17:18]
	s_waitcnt vmcnt(0) lgkmcnt(0)
	v_mul_f64 v[8:9], v[8:9], s[6:7]
.LBB164_134:
	s_delay_alu instid0(VALU_DEP_1) | instskip(SKIP_4) | instid1(VALU_DEP_3)
	v_cvt_f32_f64_e32 v8, v[8:9]
	v_max_f32_e32 v9, v100, v100
	v_add_co_u32 v17, vcc_lo, v11, v2
	v_add_co_ci_u32_e32 v18, vcc_lo, v12, v3, vcc_lo
	s_mov_b32 vcc_lo, s2
	v_min_f32_e32 v8, v8, v9
	s_delay_alu instid0(VALU_DEP_1)
	v_cvt_f64_f32_e32 v[15:16], v8
	v_max_f32_e32 v8, v99, v99
	global_store_b64 v[17:18], v[15:16], off
	s_cbranch_vccz .LBB164_137
; %bb.135:
	v_min_f32_e32 v9, 0, v8
	v_add_co_u32 v17, vcc_lo, v11, v4
	v_add_co_ci_u32_e32 v18, vcc_lo, v12, v5, vcc_lo
	s_delay_alu instid0(VALU_DEP_3)
	v_cvt_f64_f32_e32 v[15:16], v9
	s_mov_b64 s[0:1], 0
	global_store_b64 v[17:18], v[15:16], off
	s_cbranch_execz .LBB164_138
; %bb.136:
	v_dual_mov_b32 v9, s1 :: v_dual_mov_b32 v8, s0
	s_branch .LBB164_139
.LBB164_137:
                                        ; implicit-def: $sgpr0_sgpr1
.LBB164_138:
	v_add_co_u32 v15, vcc_lo, v13, v4
	v_add_co_ci_u32_e32 v16, vcc_lo, v14, v5, vcc_lo
	flat_load_b64 v[15:16], v[15:16]
	s_waitcnt vmcnt(0) lgkmcnt(0)
	v_mul_f64 v[15:16], v[15:16], s[6:7]
	s_delay_alu instid0(VALU_DEP_1)
	v_cvt_f32_f64_e32 v9, v[15:16]
	v_add_co_u32 v15, vcc_lo, v11, v4
	v_add_co_ci_u32_e32 v16, vcc_lo, v12, v5, vcc_lo
	v_add_co_u32 v13, vcc_lo, v13, v6
	v_add_co_ci_u32_e32 v14, vcc_lo, v14, v7, vcc_lo
	v_min_f32_e32 v8, v9, v8
	s_delay_alu instid0(VALU_DEP_1)
	v_cvt_f64_f32_e32 v[8:9], v8
	global_store_b64 v[15:16], v[8:9], off
	flat_load_b64 v[8:9], v[13:14]
	s_waitcnt vmcnt(0) lgkmcnt(0)
	v_mul_f64 v[8:9], v[8:9], s[6:7]
.LBB164_139:
	s_delay_alu instid0(VALU_DEP_1) | instskip(SKIP_4) | instid1(VALU_DEP_1)
	v_cvt_f32_f64_e32 v8, v[8:9]
	v_max_f32_e32 v9, v98, v98
	v_add_co_u32 v19, vcc_lo, v11, v6
	v_add_co_ci_u32_e32 v20, vcc_lo, v12, v7, vcc_lo
	v_add_nc_u32_e32 v17, 0x50, v10
	v_mad_i64_i32 v[13:14], null, v17, s3, 0
	s_delay_alu instid0(VALU_DEP_1) | instskip(SKIP_1) | instid1(VALU_DEP_1)
	v_lshlrev_b64 v[13:14], 3, v[13:14]
	v_min_f32_e32 v8, v8, v9
	v_cvt_f64_f32_e32 v[15:16], v8
	v_mad_i64_i32 v[8:9], null, v17, s12, 0
	s_delay_alu instid0(VALU_DEP_1) | instskip(SKIP_1) | instid1(VALU_DEP_2)
	v_lshlrev_b64 v[17:18], 3, v[8:9]
	v_max_f32_e32 v8, v97, v97
	v_add_co_u32 v11, vcc_lo, s8, v17
	s_delay_alu instid0(VALU_DEP_3)
	v_add_co_ci_u32_e32 v12, vcc_lo, s9, v18, vcc_lo
	v_add_co_u32 v13, vcc_lo, s4, v13
	v_add_co_ci_u32_e32 v14, vcc_lo, s5, v14, vcc_lo
	s_mov_b32 vcc_lo, s2
	global_store_b64 v[19:20], v[15:16], off
	s_cbranch_vccz .LBB164_142
; %bb.140:
	v_min_f32_e32 v9, 0, v8
	v_add_co_u32 v17, vcc_lo, v11, v0
	v_add_co_ci_u32_e32 v18, vcc_lo, v12, v1, vcc_lo
	s_delay_alu instid0(VALU_DEP_3)
	v_cvt_f64_f32_e32 v[15:16], v9
	s_mov_b64 s[0:1], 0
	global_store_b64 v[17:18], v[15:16], off
	s_cbranch_execz .LBB164_143
; %bb.141:
	v_dual_mov_b32 v9, s1 :: v_dual_mov_b32 v8, s0
	s_branch .LBB164_144
.LBB164_142:
                                        ; implicit-def: $sgpr0_sgpr1
.LBB164_143:
	v_add_co_u32 v15, vcc_lo, v13, v0
	v_add_co_ci_u32_e32 v16, vcc_lo, v14, v1, vcc_lo
	flat_load_b64 v[15:16], v[15:16]
	s_waitcnt vmcnt(0) lgkmcnt(0)
	v_mul_f64 v[15:16], v[15:16], s[6:7]
	s_delay_alu instid0(VALU_DEP_1)
	v_cvt_f32_f64_e32 v9, v[15:16]
	v_add_co_u32 v15, vcc_lo, v11, v0
	v_add_co_ci_u32_e32 v16, vcc_lo, v12, v1, vcc_lo
	v_add_co_u32 v17, vcc_lo, v13, v2
	v_add_co_ci_u32_e32 v18, vcc_lo, v14, v3, vcc_lo
	v_min_f32_e32 v8, v9, v8
	s_delay_alu instid0(VALU_DEP_1)
	v_cvt_f64_f32_e32 v[8:9], v8
	global_store_b64 v[15:16], v[8:9], off
	flat_load_b64 v[8:9], v[17:18]
	s_waitcnt vmcnt(0) lgkmcnt(0)
	v_mul_f64 v[8:9], v[8:9], s[6:7]
.LBB164_144:
	s_delay_alu instid0(VALU_DEP_1) | instskip(SKIP_4) | instid1(VALU_DEP_3)
	v_cvt_f32_f64_e32 v8, v[8:9]
	v_max_f32_e32 v9, v96, v96
	v_add_co_u32 v17, vcc_lo, v11, v2
	v_add_co_ci_u32_e32 v18, vcc_lo, v12, v3, vcc_lo
	s_mov_b32 vcc_lo, s2
	v_min_f32_e32 v8, v8, v9
	s_delay_alu instid0(VALU_DEP_1)
	v_cvt_f64_f32_e32 v[15:16], v8
	v_max_f32_e32 v8, v95, v95
	global_store_b64 v[17:18], v[15:16], off
	s_cbranch_vccz .LBB164_147
; %bb.145:
	v_min_f32_e32 v9, 0, v8
	v_add_co_u32 v17, vcc_lo, v11, v4
	v_add_co_ci_u32_e32 v18, vcc_lo, v12, v5, vcc_lo
	s_delay_alu instid0(VALU_DEP_3)
	v_cvt_f64_f32_e32 v[15:16], v9
	s_mov_b32 s0, 0
	global_store_b64 v[17:18], v[15:16], off
	s_cbranch_execz .LBB164_148
; %bb.146:
	v_mov_b32_e32 v8, s0
	s_branch .LBB164_149
.LBB164_147:
	s_mov_b32 s0, -1
.LBB164_148:
	v_add_co_u32 v15, vcc_lo, v13, v4
	v_add_co_ci_u32_e32 v16, vcc_lo, v14, v5, vcc_lo
	flat_load_b64 v[15:16], v[15:16]
	s_waitcnt vmcnt(0) lgkmcnt(0)
	v_mul_f64 v[15:16], v[15:16], s[6:7]
	s_delay_alu instid0(VALU_DEP_1)
	v_cvt_f32_f64_e32 v9, v[15:16]
	v_add_co_u32 v15, vcc_lo, v11, v4
	v_add_co_ci_u32_e32 v16, vcc_lo, v12, v5, vcc_lo
	v_add_co_u32 v13, vcc_lo, v13, v6
	v_add_co_ci_u32_e32 v14, vcc_lo, v14, v7, vcc_lo
	v_min_f32_e32 v8, v9, v8
	s_delay_alu instid0(VALU_DEP_1) | instskip(SKIP_4) | instid1(VALU_DEP_1)
	v_cvt_f64_f32_e32 v[8:9], v8
	global_store_b64 v[15:16], v[8:9], off
	flat_load_b64 v[8:9], v[13:14]
	s_waitcnt vmcnt(0) lgkmcnt(0)
	v_mul_f64 v[8:9], v[8:9], s[6:7]
	v_cvt_f32_f64_e32 v8, v[8:9]
.LBB164_149:
	s_delay_alu instid0(VALU_DEP_1) | instskip(SKIP_2) | instid1(VALU_DEP_3)
	v_dual_max_f32 v9, v94, v94 :: v_dual_max_f32 v8, v8, v8
	v_add_co_u32 v18, vcc_lo, v11, v6
	v_add_co_ci_u32_e32 v19, vcc_lo, v12, v7, vcc_lo
	v_dual_min_f32 v8, v8, v9 :: v_dual_add_nc_u32 v13, 0x58, v10
	s_delay_alu instid0(VALU_DEP_1) | instskip(NEXT) | instid1(VALU_DEP_2)
	v_cvt_f64_f32_e32 v[14:15], v8
	v_mad_i64_i32 v[8:9], null, v13, s12, 0
	v_mad_i64_i32 v[16:17], null, v13, s3, 0
	v_max_f32_e32 v13, v93, v93
	s_delay_alu instid0(VALU_DEP_3) | instskip(NEXT) | instid1(VALU_DEP_3)
	v_lshlrev_b64 v[8:9], 3, v[8:9]
	v_lshlrev_b64 v[11:12], 3, v[16:17]
	s_delay_alu instid0(VALU_DEP_2) | instskip(NEXT) | instid1(VALU_DEP_3)
	v_add_co_u32 v8, vcc_lo, s8, v8
	v_add_co_ci_u32_e32 v9, vcc_lo, s9, v9, vcc_lo
	s_delay_alu instid0(VALU_DEP_3) | instskip(NEXT) | instid1(VALU_DEP_4)
	v_add_co_u32 v11, vcc_lo, s4, v11
	v_add_co_ci_u32_e32 v12, vcc_lo, s5, v12, vcc_lo
	s_mov_b32 vcc_lo, s2
	global_store_b64 v[18:19], v[14:15], off
	s_cbranch_vccz .LBB164_152
; %bb.150:
	v_min_f32_e32 v14, 0, v13
	v_add_co_u32 v16, vcc_lo, v8, v0
	v_add_co_ci_u32_e32 v17, vcc_lo, v9, v1, vcc_lo
	s_delay_alu instid0(VALU_DEP_3)
	v_cvt_f64_f32_e32 v[14:15], v14
	s_mov_b32 s0, 0
	global_store_b64 v[16:17], v[14:15], off
	s_cbranch_execz .LBB164_153
; %bb.151:
	v_mov_b32_e32 v13, s0
	s_branch .LBB164_154
.LBB164_152:
	s_mov_b32 s0, -1
.LBB164_153:
	v_add_co_u32 v14, vcc_lo, v11, v0
	v_add_co_ci_u32_e32 v15, vcc_lo, v12, v1, vcc_lo
	flat_load_b64 v[14:15], v[14:15]
	s_waitcnt vmcnt(0) lgkmcnt(0)
	v_mul_f64 v[14:15], v[14:15], s[6:7]
	s_delay_alu instid0(VALU_DEP_1)
	v_cvt_f32_f64_e32 v14, v[14:15]
	v_add_co_u32 v15, vcc_lo, v8, v0
	v_add_co_ci_u32_e32 v16, vcc_lo, v9, v1, vcc_lo
	v_add_co_u32 v17, vcc_lo, v11, v2
	v_add_co_ci_u32_e32 v18, vcc_lo, v12, v3, vcc_lo
	v_min_f32_e32 v13, v14, v13
	s_delay_alu instid0(VALU_DEP_1) | instskip(SKIP_4) | instid1(VALU_DEP_1)
	v_cvt_f64_f32_e32 v[13:14], v13
	global_store_b64 v[15:16], v[13:14], off
	flat_load_b64 v[13:14], v[17:18]
	s_waitcnt vmcnt(0) lgkmcnt(0)
	v_mul_f64 v[13:14], v[13:14], s[6:7]
	v_cvt_f32_f64_e32 v13, v[13:14]
.LBB164_154:
	s_delay_alu instid0(VALU_DEP_1) | instskip(SKIP_2) | instid1(VALU_DEP_3)
	v_dual_max_f32 v14, v92, v92 :: v_dual_max_f32 v13, v13, v13
	v_add_co_u32 v16, vcc_lo, v8, v2
	v_add_co_ci_u32_e32 v17, vcc_lo, v9, v3, vcc_lo
	v_min_f32_e32 v13, v13, v14
	s_mov_b32 vcc_lo, s2
	s_delay_alu instid0(VALU_DEP_1)
	v_cvt_f64_f32_e32 v[14:15], v13
	v_max_f32_e32 v13, v91, v91
	global_store_b64 v[16:17], v[14:15], off
	s_cbranch_vccz .LBB164_157
; %bb.155:
	v_min_f32_e32 v14, 0, v13
	v_add_co_u32 v16, vcc_lo, v8, v4
	v_add_co_ci_u32_e32 v17, vcc_lo, v9, v5, vcc_lo
	s_delay_alu instid0(VALU_DEP_3)
	v_cvt_f64_f32_e32 v[14:15], v14
	s_mov_b32 s0, 0
	global_store_b64 v[16:17], v[14:15], off
	s_cbranch_execz .LBB164_158
; %bb.156:
	v_mov_b32_e32 v11, s0
	s_branch .LBB164_159
.LBB164_157:
	s_mov_b32 s0, -1
.LBB164_158:
	v_add_co_u32 v14, vcc_lo, v11, v4
	v_add_co_ci_u32_e32 v15, vcc_lo, v12, v5, vcc_lo
	flat_load_b64 v[14:15], v[14:15]
	s_waitcnt vmcnt(0) lgkmcnt(0)
	v_mul_f64 v[14:15], v[14:15], s[6:7]
	s_delay_alu instid0(VALU_DEP_1)
	v_cvt_f32_f64_e32 v14, v[14:15]
	v_add_co_u32 v15, vcc_lo, v8, v4
	v_add_co_ci_u32_e32 v16, vcc_lo, v9, v5, vcc_lo
	v_add_co_u32 v11, vcc_lo, v11, v6
	v_add_co_ci_u32_e32 v12, vcc_lo, v12, v7, vcc_lo
	v_min_f32_e32 v13, v14, v13
	s_delay_alu instid0(VALU_DEP_1) | instskip(SKIP_4) | instid1(VALU_DEP_1)
	v_cvt_f64_f32_e32 v[13:14], v13
	global_store_b64 v[15:16], v[13:14], off
	flat_load_b64 v[11:12], v[11:12]
	s_waitcnt vmcnt(0) lgkmcnt(0)
	v_mul_f64 v[11:12], v[11:12], s[6:7]
	v_cvt_f32_f64_e32 v11, v[11:12]
.LBB164_159:
	s_delay_alu instid0(VALU_DEP_1) | instskip(SKIP_3) | instid1(VALU_DEP_4)
	v_dual_max_f32 v12, v90, v90 :: v_dual_max_f32 v11, v11, v11
	v_add_nc_u32_e32 v13, 0x60, v10
	v_add_co_u32 v18, vcc_lo, v8, v6
	v_add_co_ci_u32_e32 v19, vcc_lo, v9, v7, vcc_lo
	v_min_f32_e32 v11, v11, v12
	s_delay_alu instid0(VALU_DEP_4) | instskip(NEXT) | instid1(VALU_DEP_2)
	v_mad_i64_i32 v[16:17], null, v13, s3, 0
	v_cvt_f64_f32_e32 v[14:15], v11
	v_mad_i64_i32 v[11:12], null, v13, s12, 0
	v_max_f32_e32 v13, v89, v89
	s_delay_alu instid0(VALU_DEP_4) | instskip(NEXT) | instid1(VALU_DEP_3)
	v_lshlrev_b64 v[16:17], 3, v[16:17]
	v_lshlrev_b64 v[11:12], 3, v[11:12]
	s_delay_alu instid0(VALU_DEP_1) | instskip(NEXT) | instid1(VALU_DEP_2)
	v_add_co_u32 v8, vcc_lo, s8, v11
	v_add_co_ci_u32_e32 v9, vcc_lo, s9, v12, vcc_lo
	s_delay_alu instid0(VALU_DEP_4)
	v_add_co_u32 v11, vcc_lo, s4, v16
	v_add_co_ci_u32_e32 v12, vcc_lo, s5, v17, vcc_lo
	s_mov_b32 vcc_lo, s2
	global_store_b64 v[18:19], v[14:15], off
	s_cbranch_vccz .LBB164_162
; %bb.160:
	v_min_f32_e32 v14, 0, v13
	v_add_co_u32 v16, vcc_lo, v8, v0
	v_add_co_ci_u32_e32 v17, vcc_lo, v9, v1, vcc_lo
	s_delay_alu instid0(VALU_DEP_3)
	v_cvt_f64_f32_e32 v[14:15], v14
	s_mov_b32 s0, 0
	global_store_b64 v[16:17], v[14:15], off
	s_cbranch_execz .LBB164_163
; %bb.161:
	v_mov_b32_e32 v13, s0
	s_branch .LBB164_164
.LBB164_162:
	s_mov_b32 s0, -1
.LBB164_163:
	v_add_co_u32 v14, vcc_lo, v11, v0
	v_add_co_ci_u32_e32 v15, vcc_lo, v12, v1, vcc_lo
	flat_load_b64 v[14:15], v[14:15]
	s_waitcnt vmcnt(0) lgkmcnt(0)
	v_mul_f64 v[14:15], v[14:15], s[6:7]
	s_delay_alu instid0(VALU_DEP_1)
	v_cvt_f32_f64_e32 v14, v[14:15]
	v_add_co_u32 v15, vcc_lo, v8, v0
	v_add_co_ci_u32_e32 v16, vcc_lo, v9, v1, vcc_lo
	v_add_co_u32 v17, vcc_lo, v11, v2
	v_add_co_ci_u32_e32 v18, vcc_lo, v12, v3, vcc_lo
	v_min_f32_e32 v13, v14, v13
	s_delay_alu instid0(VALU_DEP_1) | instskip(SKIP_4) | instid1(VALU_DEP_1)
	v_cvt_f64_f32_e32 v[13:14], v13
	global_store_b64 v[15:16], v[13:14], off
	flat_load_b64 v[13:14], v[17:18]
	s_waitcnt vmcnt(0) lgkmcnt(0)
	v_mul_f64 v[13:14], v[13:14], s[6:7]
	v_cvt_f32_f64_e32 v13, v[13:14]
.LBB164_164:
	s_delay_alu instid0(VALU_DEP_1) | instskip(SKIP_2) | instid1(VALU_DEP_3)
	v_dual_max_f32 v14, v88, v88 :: v_dual_max_f32 v13, v13, v13
	v_add_co_u32 v16, vcc_lo, v8, v2
	v_add_co_ci_u32_e32 v17, vcc_lo, v9, v3, vcc_lo
	v_min_f32_e32 v13, v13, v14
	s_mov_b32 vcc_lo, s2
	s_delay_alu instid0(VALU_DEP_1)
	v_cvt_f64_f32_e32 v[14:15], v13
	v_max_f32_e32 v13, v87, v87
	global_store_b64 v[16:17], v[14:15], off
	s_cbranch_vccz .LBB164_167
; %bb.165:
	v_min_f32_e32 v14, 0, v13
	v_add_co_u32 v16, vcc_lo, v8, v4
	v_add_co_ci_u32_e32 v17, vcc_lo, v9, v5, vcc_lo
	s_delay_alu instid0(VALU_DEP_3)
	v_cvt_f64_f32_e32 v[14:15], v14
	s_mov_b32 s0, 0
	global_store_b64 v[16:17], v[14:15], off
	s_cbranch_execz .LBB164_168
; %bb.166:
	v_mov_b32_e32 v11, s0
	s_branch .LBB164_169
.LBB164_167:
	s_mov_b32 s0, -1
.LBB164_168:
	v_add_co_u32 v14, vcc_lo, v11, v4
	v_add_co_ci_u32_e32 v15, vcc_lo, v12, v5, vcc_lo
	flat_load_b64 v[14:15], v[14:15]
	s_waitcnt vmcnt(0) lgkmcnt(0)
	v_mul_f64 v[14:15], v[14:15], s[6:7]
	s_delay_alu instid0(VALU_DEP_1)
	v_cvt_f32_f64_e32 v14, v[14:15]
	v_add_co_u32 v15, vcc_lo, v8, v4
	v_add_co_ci_u32_e32 v16, vcc_lo, v9, v5, vcc_lo
	v_add_co_u32 v11, vcc_lo, v11, v6
	v_add_co_ci_u32_e32 v12, vcc_lo, v12, v7, vcc_lo
	v_min_f32_e32 v13, v14, v13
	s_delay_alu instid0(VALU_DEP_1) | instskip(SKIP_4) | instid1(VALU_DEP_1)
	v_cvt_f64_f32_e32 v[13:14], v13
	global_store_b64 v[15:16], v[13:14], off
	flat_load_b64 v[11:12], v[11:12]
	s_waitcnt vmcnt(0) lgkmcnt(0)
	v_mul_f64 v[11:12], v[11:12], s[6:7]
	v_cvt_f32_f64_e32 v11, v[11:12]
.LBB164_169:
	s_delay_alu instid0(VALU_DEP_1) | instskip(SKIP_3) | instid1(VALU_DEP_4)
	v_dual_max_f32 v12, v86, v86 :: v_dual_max_f32 v11, v11, v11
	v_add_nc_u32_e32 v13, 0x68, v10
	v_add_co_u32 v18, vcc_lo, v8, v6
	v_add_co_ci_u32_e32 v19, vcc_lo, v9, v7, vcc_lo
	v_min_f32_e32 v11, v11, v12
	s_delay_alu instid0(VALU_DEP_4) | instskip(NEXT) | instid1(VALU_DEP_2)
	v_mad_i64_i32 v[16:17], null, v13, s3, 0
	v_cvt_f64_f32_e32 v[14:15], v11
	v_mad_i64_i32 v[11:12], null, v13, s12, 0
	v_max_f32_e32 v13, v85, v85
	s_delay_alu instid0(VALU_DEP_4) | instskip(NEXT) | instid1(VALU_DEP_3)
	v_lshlrev_b64 v[16:17], 3, v[16:17]
	v_lshlrev_b64 v[11:12], 3, v[11:12]
	s_delay_alu instid0(VALU_DEP_1) | instskip(NEXT) | instid1(VALU_DEP_2)
	v_add_co_u32 v8, vcc_lo, s8, v11
	v_add_co_ci_u32_e32 v9, vcc_lo, s9, v12, vcc_lo
	s_delay_alu instid0(VALU_DEP_4)
	v_add_co_u32 v11, vcc_lo, s4, v16
	v_add_co_ci_u32_e32 v12, vcc_lo, s5, v17, vcc_lo
	s_mov_b32 vcc_lo, s2
	global_store_b64 v[18:19], v[14:15], off
	s_cbranch_vccz .LBB164_172
; %bb.170:
	v_min_f32_e32 v14, 0, v13
	v_add_co_u32 v16, vcc_lo, v8, v0
	v_add_co_ci_u32_e32 v17, vcc_lo, v9, v1, vcc_lo
	s_delay_alu instid0(VALU_DEP_3)
	v_cvt_f64_f32_e32 v[14:15], v14
	s_mov_b32 s0, 0
	global_store_b64 v[16:17], v[14:15], off
	s_cbranch_execz .LBB164_173
; %bb.171:
	v_mov_b32_e32 v13, s0
	s_branch .LBB164_174
.LBB164_172:
	s_mov_b32 s0, -1
.LBB164_173:
	v_add_co_u32 v14, vcc_lo, v11, v0
	v_add_co_ci_u32_e32 v15, vcc_lo, v12, v1, vcc_lo
	flat_load_b64 v[14:15], v[14:15]
	s_waitcnt vmcnt(0) lgkmcnt(0)
	v_mul_f64 v[14:15], v[14:15], s[6:7]
	s_delay_alu instid0(VALU_DEP_1)
	v_cvt_f32_f64_e32 v14, v[14:15]
	v_add_co_u32 v15, vcc_lo, v8, v0
	v_add_co_ci_u32_e32 v16, vcc_lo, v9, v1, vcc_lo
	v_add_co_u32 v17, vcc_lo, v11, v2
	v_add_co_ci_u32_e32 v18, vcc_lo, v12, v3, vcc_lo
	v_min_f32_e32 v13, v14, v13
	s_delay_alu instid0(VALU_DEP_1) | instskip(SKIP_4) | instid1(VALU_DEP_1)
	v_cvt_f64_f32_e32 v[13:14], v13
	global_store_b64 v[15:16], v[13:14], off
	flat_load_b64 v[13:14], v[17:18]
	s_waitcnt vmcnt(0) lgkmcnt(0)
	v_mul_f64 v[13:14], v[13:14], s[6:7]
	v_cvt_f32_f64_e32 v13, v[13:14]
.LBB164_174:
	s_delay_alu instid0(VALU_DEP_1) | instskip(SKIP_2) | instid1(VALU_DEP_3)
	v_dual_max_f32 v14, v84, v84 :: v_dual_max_f32 v13, v13, v13
	v_add_co_u32 v16, vcc_lo, v8, v2
	v_add_co_ci_u32_e32 v17, vcc_lo, v9, v3, vcc_lo
	v_min_f32_e32 v13, v13, v14
	s_mov_b32 vcc_lo, s2
	s_delay_alu instid0(VALU_DEP_1)
	v_cvt_f64_f32_e32 v[14:15], v13
	v_max_f32_e32 v13, v83, v83
	global_store_b64 v[16:17], v[14:15], off
	s_cbranch_vccz .LBB164_177
; %bb.175:
	v_min_f32_e32 v14, 0, v13
	v_add_co_u32 v16, vcc_lo, v8, v4
	v_add_co_ci_u32_e32 v17, vcc_lo, v9, v5, vcc_lo
	s_delay_alu instid0(VALU_DEP_3)
	v_cvt_f64_f32_e32 v[14:15], v14
	s_mov_b32 s0, 0
	global_store_b64 v[16:17], v[14:15], off
	s_cbranch_execz .LBB164_178
; %bb.176:
	v_mov_b32_e32 v11, s0
	s_branch .LBB164_179
.LBB164_177:
	s_mov_b32 s0, -1
.LBB164_178:
	v_add_co_u32 v14, vcc_lo, v11, v4
	v_add_co_ci_u32_e32 v15, vcc_lo, v12, v5, vcc_lo
	flat_load_b64 v[14:15], v[14:15]
	s_waitcnt vmcnt(0) lgkmcnt(0)
	v_mul_f64 v[14:15], v[14:15], s[6:7]
	s_delay_alu instid0(VALU_DEP_1)
	v_cvt_f32_f64_e32 v14, v[14:15]
	v_add_co_u32 v15, vcc_lo, v8, v4
	v_add_co_ci_u32_e32 v16, vcc_lo, v9, v5, vcc_lo
	v_add_co_u32 v11, vcc_lo, v11, v6
	v_add_co_ci_u32_e32 v12, vcc_lo, v12, v7, vcc_lo
	v_min_f32_e32 v13, v14, v13
	s_delay_alu instid0(VALU_DEP_1) | instskip(SKIP_4) | instid1(VALU_DEP_1)
	v_cvt_f64_f32_e32 v[13:14], v13
	global_store_b64 v[15:16], v[13:14], off
	flat_load_b64 v[11:12], v[11:12]
	s_waitcnt vmcnt(0) lgkmcnt(0)
	v_mul_f64 v[11:12], v[11:12], s[6:7]
	v_cvt_f32_f64_e32 v11, v[11:12]
.LBB164_179:
	s_delay_alu instid0(VALU_DEP_1) | instskip(SKIP_3) | instid1(VALU_DEP_4)
	v_dual_max_f32 v12, v82, v82 :: v_dual_max_f32 v11, v11, v11
	v_add_nc_u32_e32 v13, 0x70, v10
	v_add_co_u32 v18, vcc_lo, v8, v6
	v_add_co_ci_u32_e32 v19, vcc_lo, v9, v7, vcc_lo
	v_min_f32_e32 v11, v11, v12
	s_delay_alu instid0(VALU_DEP_4) | instskip(NEXT) | instid1(VALU_DEP_2)
	v_mad_i64_i32 v[16:17], null, v13, s3, 0
	v_cvt_f64_f32_e32 v[14:15], v11
	v_mad_i64_i32 v[11:12], null, v13, s12, 0
	v_max_f32_e32 v13, v81, v81
	s_delay_alu instid0(VALU_DEP_4) | instskip(NEXT) | instid1(VALU_DEP_3)
	v_lshlrev_b64 v[16:17], 3, v[16:17]
	v_lshlrev_b64 v[11:12], 3, v[11:12]
	s_delay_alu instid0(VALU_DEP_1) | instskip(NEXT) | instid1(VALU_DEP_2)
	v_add_co_u32 v8, vcc_lo, s8, v11
	v_add_co_ci_u32_e32 v9, vcc_lo, s9, v12, vcc_lo
	s_delay_alu instid0(VALU_DEP_4)
	v_add_co_u32 v11, vcc_lo, s4, v16
	v_add_co_ci_u32_e32 v12, vcc_lo, s5, v17, vcc_lo
	s_mov_b32 vcc_lo, s2
	global_store_b64 v[18:19], v[14:15], off
	s_cbranch_vccz .LBB164_182
; %bb.180:
	v_min_f32_e32 v14, 0, v13
	v_add_co_u32 v16, vcc_lo, v8, v0
	v_add_co_ci_u32_e32 v17, vcc_lo, v9, v1, vcc_lo
	s_delay_alu instid0(VALU_DEP_3)
	v_cvt_f64_f32_e32 v[14:15], v14
	s_mov_b32 s0, 0
	global_store_b64 v[16:17], v[14:15], off
	s_cbranch_execz .LBB164_183
; %bb.181:
	v_mov_b32_e32 v13, s0
	s_branch .LBB164_184
.LBB164_182:
	s_mov_b32 s0, -1
.LBB164_183:
	v_add_co_u32 v14, vcc_lo, v11, v0
	v_add_co_ci_u32_e32 v15, vcc_lo, v12, v1, vcc_lo
	flat_load_b64 v[14:15], v[14:15]
	s_waitcnt vmcnt(0) lgkmcnt(0)
	v_mul_f64 v[14:15], v[14:15], s[6:7]
	s_delay_alu instid0(VALU_DEP_1)
	v_cvt_f32_f64_e32 v14, v[14:15]
	v_add_co_u32 v15, vcc_lo, v8, v0
	v_add_co_ci_u32_e32 v16, vcc_lo, v9, v1, vcc_lo
	v_add_co_u32 v17, vcc_lo, v11, v2
	v_add_co_ci_u32_e32 v18, vcc_lo, v12, v3, vcc_lo
	v_min_f32_e32 v13, v14, v13
	s_delay_alu instid0(VALU_DEP_1) | instskip(SKIP_4) | instid1(VALU_DEP_1)
	v_cvt_f64_f32_e32 v[13:14], v13
	global_store_b64 v[15:16], v[13:14], off
	flat_load_b64 v[13:14], v[17:18]
	s_waitcnt vmcnt(0) lgkmcnt(0)
	v_mul_f64 v[13:14], v[13:14], s[6:7]
	v_cvt_f32_f64_e32 v13, v[13:14]
.LBB164_184:
	s_delay_alu instid0(VALU_DEP_1) | instskip(SKIP_2) | instid1(VALU_DEP_3)
	v_dual_max_f32 v14, v80, v80 :: v_dual_max_f32 v13, v13, v13
	v_add_co_u32 v16, vcc_lo, v8, v2
	v_add_co_ci_u32_e32 v17, vcc_lo, v9, v3, vcc_lo
	v_min_f32_e32 v13, v13, v14
	s_mov_b32 vcc_lo, s2
	s_delay_alu instid0(VALU_DEP_1)
	v_cvt_f64_f32_e32 v[14:15], v13
	v_max_f32_e32 v13, v79, v79
	global_store_b64 v[16:17], v[14:15], off
	s_cbranch_vccz .LBB164_187
; %bb.185:
	v_min_f32_e32 v14, 0, v13
	v_add_co_u32 v16, vcc_lo, v8, v4
	v_add_co_ci_u32_e32 v17, vcc_lo, v9, v5, vcc_lo
	s_delay_alu instid0(VALU_DEP_3)
	v_cvt_f64_f32_e32 v[14:15], v14
	s_mov_b32 s0, 0
	global_store_b64 v[16:17], v[14:15], off
	s_cbranch_execz .LBB164_188
; %bb.186:
	v_mov_b32_e32 v11, s0
	s_branch .LBB164_189
.LBB164_187:
	s_mov_b32 s0, -1
.LBB164_188:
	v_add_co_u32 v14, vcc_lo, v11, v4
	v_add_co_ci_u32_e32 v15, vcc_lo, v12, v5, vcc_lo
	flat_load_b64 v[14:15], v[14:15]
	s_waitcnt vmcnt(0) lgkmcnt(0)
	v_mul_f64 v[14:15], v[14:15], s[6:7]
	s_delay_alu instid0(VALU_DEP_1)
	v_cvt_f32_f64_e32 v14, v[14:15]
	v_add_co_u32 v15, vcc_lo, v8, v4
	v_add_co_ci_u32_e32 v16, vcc_lo, v9, v5, vcc_lo
	v_add_co_u32 v11, vcc_lo, v11, v6
	v_add_co_ci_u32_e32 v12, vcc_lo, v12, v7, vcc_lo
	v_min_f32_e32 v13, v14, v13
	s_delay_alu instid0(VALU_DEP_1) | instskip(SKIP_4) | instid1(VALU_DEP_1)
	v_cvt_f64_f32_e32 v[13:14], v13
	global_store_b64 v[15:16], v[13:14], off
	flat_load_b64 v[11:12], v[11:12]
	s_waitcnt vmcnt(0) lgkmcnt(0)
	v_mul_f64 v[11:12], v[11:12], s[6:7]
	v_cvt_f32_f64_e32 v11, v[11:12]
.LBB164_189:
	s_delay_alu instid0(VALU_DEP_1) | instskip(SKIP_2) | instid1(VALU_DEP_3)
	v_dual_max_f32 v12, v78, v78 :: v_dual_max_f32 v11, v11, v11
	v_add_co_u32 v17, vcc_lo, v8, v6
	v_add_co_ci_u32_e32 v18, vcc_lo, v9, v7, vcc_lo
	v_dual_min_f32 v11, v11, v12 :: v_dual_add_nc_u32 v12, 0x78, v10
	s_delay_alu instid0(VALU_DEP_1) | instskip(NEXT) | instid1(VALU_DEP_2)
	v_cvt_f64_f32_e32 v[13:14], v11
	v_mad_i64_i32 v[10:11], null, v12, s12, 0
	v_mad_i64_i32 v[15:16], null, v12, s3, 0
	v_max_f32_e32 v12, v77, v77
	s_delay_alu instid0(VALU_DEP_3) | instskip(NEXT) | instid1(VALU_DEP_3)
	v_lshlrev_b64 v[10:11], 3, v[10:11]
	v_lshlrev_b64 v[15:16], 3, v[15:16]
	s_delay_alu instid0(VALU_DEP_2) | instskip(NEXT) | instid1(VALU_DEP_3)
	v_add_co_u32 v8, vcc_lo, s8, v10
	v_add_co_ci_u32_e32 v9, vcc_lo, s9, v11, vcc_lo
	s_delay_alu instid0(VALU_DEP_3) | instskip(NEXT) | instid1(VALU_DEP_4)
	v_add_co_u32 v10, vcc_lo, s4, v15
	v_add_co_ci_u32_e32 v11, vcc_lo, s5, v16, vcc_lo
	s_mov_b32 vcc_lo, s2
	global_store_b64 v[17:18], v[13:14], off
	s_cbranch_vccz .LBB164_192
; %bb.190:
	v_min_f32_e32 v13, 0, v12
	v_add_co_u32 v15, vcc_lo, v8, v0
	v_add_co_ci_u32_e32 v16, vcc_lo, v9, v1, vcc_lo
	s_delay_alu instid0(VALU_DEP_3)
	v_cvt_f64_f32_e32 v[13:14], v13
	s_mov_b32 s0, 0
	global_store_b64 v[15:16], v[13:14], off
	s_cbranch_execz .LBB164_193
; %bb.191:
	v_mov_b32_e32 v0, s0
	s_branch .LBB164_194
.LBB164_192:
	s_mov_b32 s0, -1
.LBB164_193:
	v_add_co_u32 v13, vcc_lo, v10, v0
	v_add_co_ci_u32_e32 v14, vcc_lo, v11, v1, vcc_lo
	v_add_co_u32 v0, vcc_lo, v8, v0
	v_add_co_ci_u32_e32 v1, vcc_lo, v9, v1, vcc_lo
	flat_load_b64 v[13:14], v[13:14]
	s_waitcnt vmcnt(0) lgkmcnt(0)
	v_mul_f64 v[13:14], v[13:14], s[6:7]
	s_delay_alu instid0(VALU_DEP_1) | instskip(SKIP_2) | instid1(VALU_DEP_3)
	v_cvt_f32_f64_e32 v13, v[13:14]
	v_add_co_u32 v14, vcc_lo, v10, v2
	v_add_co_ci_u32_e32 v15, vcc_lo, v11, v3, vcc_lo
	v_min_f32_e32 v12, v13, v12
	s_delay_alu instid0(VALU_DEP_1) | instskip(SKIP_4) | instid1(VALU_DEP_1)
	v_cvt_f64_f32_e32 v[12:13], v12
	global_store_b64 v[0:1], v[12:13], off
	flat_load_b64 v[0:1], v[14:15]
	s_waitcnt vmcnt(0) lgkmcnt(0)
	v_mul_f64 v[0:1], v[0:1], s[6:7]
	v_cvt_f32_f64_e32 v0, v[0:1]
.LBB164_194:
	v_max_f32_e32 v1, v76, v76
	s_delay_alu instid0(VALU_DEP_2) | instskip(NEXT) | instid1(VALU_DEP_1)
	v_max_f32_e32 v0, v0, v0
	v_min_f32_e32 v0, v0, v1
	v_add_co_u32 v1, vcc_lo, v8, v2
	v_add_co_ci_u32_e32 v2, vcc_lo, v9, v3, vcc_lo
	s_delay_alu instid0(VALU_DEP_3)
	v_cvt_f64_f32_e32 v[12:13], v0
	v_max_f32_e32 v0, v75, v75
	s_mov_b32 vcc_lo, s2
	global_store_b64 v[1:2], v[12:13], off
	s_cbranch_vccz .LBB164_197
; %bb.195:
	v_min_f32_e32 v1, 0, v0
	v_add_co_u32 v12, vcc_lo, v8, v4
	v_add_co_ci_u32_e32 v13, vcc_lo, v9, v5, vcc_lo
	s_delay_alu instid0(VALU_DEP_3)
	v_cvt_f64_f32_e32 v[1:2], v1
	s_mov_b32 s0, 0
	global_store_b64 v[12:13], v[1:2], off
	s_cbranch_execz .LBB164_198
; %bb.196:
	v_mov_b32_e32 v0, s0
	s_branch .LBB164_199
.LBB164_197:
	s_mov_b32 s0, -1
.LBB164_198:
	v_add_co_u32 v1, vcc_lo, v10, v4
	v_add_co_ci_u32_e32 v2, vcc_lo, v11, v5, vcc_lo
	flat_load_b64 v[1:2], v[1:2]
	s_waitcnt vmcnt(0) lgkmcnt(0)
	v_mul_f64 v[1:2], v[1:2], s[6:7]
	s_delay_alu instid0(VALU_DEP_1)
	v_cvt_f32_f64_e32 v1, v[1:2]
	v_add_co_u32 v2, vcc_lo, v8, v4
	v_add_co_ci_u32_e32 v3, vcc_lo, v9, v5, vcc_lo
	v_add_co_u32 v4, vcc_lo, v10, v6
	v_add_co_ci_u32_e32 v5, vcc_lo, v11, v7, vcc_lo
	v_min_f32_e32 v0, v1, v0
	s_delay_alu instid0(VALU_DEP_1) | instskip(SKIP_4) | instid1(VALU_DEP_1)
	v_cvt_f64_f32_e32 v[0:1], v0
	global_store_b64 v[2:3], v[0:1], off
	flat_load_b64 v[0:1], v[4:5]
	s_waitcnt vmcnt(0) lgkmcnt(0)
	v_mul_f64 v[0:1], v[0:1], s[6:7]
	v_cvt_f32_f64_e32 v0, v[0:1]
.LBB164_199:
	s_delay_alu instid0(VALU_DEP_1) | instskip(SKIP_2) | instid1(VALU_DEP_3)
	v_dual_max_f32 v1, v74, v74 :: v_dual_max_f32 v0, v0, v0
	v_add_co_u32 v2, vcc_lo, v8, v6
	v_add_co_ci_u32_e32 v3, vcc_lo, v9, v7, vcc_lo
	v_min_f32_e32 v0, v0, v1
	s_delay_alu instid0(VALU_DEP_1)
	v_cvt_f64_f32_e32 v[0:1], v0
	global_store_b64 v[2:3], v[0:1], off
	s_nop 0
	s_sendmsg sendmsg(MSG_DEALLOC_VGPRS)
	s_endpgm
	.section	.rodata,"a",@progbits
	.p2align	6, 0x0
	.amdhsa_kernel _ZN12_GLOBAL__N_120geam_min_plus_kernelId15HIP_vector_typeIdLj2EEdLi32ELi8ELi128ELi128ELi4ELi4ELi64ELi4ELi64ELc84ELc78ELb0ELb0ELb1EdKddEEviiiT16_PT17_ilS6_ilS4_S6_ilPT18_ili26rocblas_geam_ex_operation_
		.amdhsa_group_segment_fixed_size 16384
		.amdhsa_private_segment_fixed_size 0
		.amdhsa_kernarg_size 136
		.amdhsa_user_sgpr_count 14
		.amdhsa_user_sgpr_dispatch_ptr 0
		.amdhsa_user_sgpr_queue_ptr 0
		.amdhsa_user_sgpr_kernarg_segment_ptr 1
		.amdhsa_user_sgpr_dispatch_id 0
		.amdhsa_user_sgpr_private_segment_size 0
		.amdhsa_wavefront_size32 1
		.amdhsa_uses_dynamic_stack 0
		.amdhsa_enable_private_segment 0
		.amdhsa_system_sgpr_workgroup_id_x 1
		.amdhsa_system_sgpr_workgroup_id_y 0
		.amdhsa_system_sgpr_workgroup_id_z 1
		.amdhsa_system_sgpr_workgroup_info 0
		.amdhsa_system_vgpr_workitem_id 1
		.amdhsa_next_free_vgpr 173
		.amdhsa_next_free_sgpr 25
		.amdhsa_reserve_vcc 1
		.amdhsa_float_round_mode_32 0
		.amdhsa_float_round_mode_16_64 0
		.amdhsa_float_denorm_mode_32 3
		.amdhsa_float_denorm_mode_16_64 3
		.amdhsa_dx10_clamp 1
		.amdhsa_ieee_mode 1
		.amdhsa_fp16_overflow 0
		.amdhsa_workgroup_processor_mode 1
		.amdhsa_memory_ordered 1
		.amdhsa_forward_progress 0
		.amdhsa_shared_vgpr_count 0
		.amdhsa_exception_fp_ieee_invalid_op 0
		.amdhsa_exception_fp_denorm_src 0
		.amdhsa_exception_fp_ieee_div_zero 0
		.amdhsa_exception_fp_ieee_overflow 0
		.amdhsa_exception_fp_ieee_underflow 0
		.amdhsa_exception_fp_ieee_inexact 0
		.amdhsa_exception_int_div_zero 0
	.end_amdhsa_kernel
	.section	.text._ZN12_GLOBAL__N_120geam_min_plus_kernelId15HIP_vector_typeIdLj2EEdLi32ELi8ELi128ELi128ELi4ELi4ELi64ELi4ELi64ELc84ELc78ELb0ELb0ELb1EdKddEEviiiT16_PT17_ilS6_ilS4_S6_ilPT18_ili26rocblas_geam_ex_operation_,"axG",@progbits,_ZN12_GLOBAL__N_120geam_min_plus_kernelId15HIP_vector_typeIdLj2EEdLi32ELi8ELi128ELi128ELi4ELi4ELi64ELi4ELi64ELc84ELc78ELb0ELb0ELb1EdKddEEviiiT16_PT17_ilS6_ilS4_S6_ilPT18_ili26rocblas_geam_ex_operation_,comdat
.Lfunc_end164:
	.size	_ZN12_GLOBAL__N_120geam_min_plus_kernelId15HIP_vector_typeIdLj2EEdLi32ELi8ELi128ELi128ELi4ELi4ELi64ELi4ELi64ELc84ELc78ELb0ELb0ELb1EdKddEEviiiT16_PT17_ilS6_ilS4_S6_ilPT18_ili26rocblas_geam_ex_operation_, .Lfunc_end164-_ZN12_GLOBAL__N_120geam_min_plus_kernelId15HIP_vector_typeIdLj2EEdLi32ELi8ELi128ELi128ELi4ELi4ELi64ELi4ELi64ELc84ELc78ELb0ELb0ELb1EdKddEEviiiT16_PT17_ilS6_ilS4_S6_ilPT18_ili26rocblas_geam_ex_operation_
                                        ; -- End function
	.section	.AMDGPU.csdata,"",@progbits
; Kernel info:
; codeLenInByte = 21100
; NumSgprs: 27
; NumVgprs: 173
; ScratchSize: 0
; MemoryBound: 0
; FloatMode: 240
; IeeeMode: 1
; LDSByteSize: 16384 bytes/workgroup (compile time only)
; SGPRBlocks: 3
; VGPRBlocks: 21
; NumSGPRsForWavesPerEU: 27
; NumVGPRsForWavesPerEU: 173
; Occupancy: 8
; WaveLimiterHint : 0
; COMPUTE_PGM_RSRC2:SCRATCH_EN: 0
; COMPUTE_PGM_RSRC2:USER_SGPR: 14
; COMPUTE_PGM_RSRC2:TRAP_HANDLER: 0
; COMPUTE_PGM_RSRC2:TGID_X_EN: 1
; COMPUTE_PGM_RSRC2:TGID_Y_EN: 0
; COMPUTE_PGM_RSRC2:TGID_Z_EN: 1
; COMPUTE_PGM_RSRC2:TIDIG_COMP_CNT: 1
	.section	.text._ZN12_GLOBAL__N_120geam_min_plus_kernelId15HIP_vector_typeIdLj2EEdLi32ELi8ELi128ELi128ELi4ELi4ELi64ELi4ELi64ELc84ELc78ELb0ELb1ELb1EPKdS3_dEEviiiT16_PT17_ilS7_ilS5_S7_ilPT18_ili26rocblas_geam_ex_operation_,"axG",@progbits,_ZN12_GLOBAL__N_120geam_min_plus_kernelId15HIP_vector_typeIdLj2EEdLi32ELi8ELi128ELi128ELi4ELi4ELi64ELi4ELi64ELc84ELc78ELb0ELb1ELb1EPKdS3_dEEviiiT16_PT17_ilS7_ilS5_S7_ilPT18_ili26rocblas_geam_ex_operation_,comdat
	.globl	_ZN12_GLOBAL__N_120geam_min_plus_kernelId15HIP_vector_typeIdLj2EEdLi32ELi8ELi128ELi128ELi4ELi4ELi64ELi4ELi64ELc84ELc78ELb0ELb1ELb1EPKdS3_dEEviiiT16_PT17_ilS7_ilS5_S7_ilPT18_ili26rocblas_geam_ex_operation_ ; -- Begin function _ZN12_GLOBAL__N_120geam_min_plus_kernelId15HIP_vector_typeIdLj2EEdLi32ELi8ELi128ELi128ELi4ELi4ELi64ELi4ELi64ELc84ELc78ELb0ELb1ELb1EPKdS3_dEEviiiT16_PT17_ilS7_ilS5_S7_ilPT18_ili26rocblas_geam_ex_operation_
	.p2align	8
	.type	_ZN12_GLOBAL__N_120geam_min_plus_kernelId15HIP_vector_typeIdLj2EEdLi32ELi8ELi128ELi128ELi4ELi4ELi64ELi4ELi64ELc84ELc78ELb0ELb1ELb1EPKdS3_dEEviiiT16_PT17_ilS7_ilS5_S7_ilPT18_ili26rocblas_geam_ex_operation_,@function
_ZN12_GLOBAL__N_120geam_min_plus_kernelId15HIP_vector_typeIdLj2EEdLi32ELi8ELi128ELi128ELi4ELi4ELi64ELi4ELi64ELc84ELc78ELb0ELb1ELb1EPKdS3_dEEviiiT16_PT17_ilS7_ilS5_S7_ilPT18_ili26rocblas_geam_ex_operation_: ; @_ZN12_GLOBAL__N_120geam_min_plus_kernelId15HIP_vector_typeIdLj2EEdLi32ELi8ELi128ELi128ELi4ELi4ELi64ELi4ELi64ELc84ELc78ELb0ELb1ELb1EPKdS3_dEEviiiT16_PT17_ilS7_ilS5_S7_ilPT18_ili26rocblas_geam_ex_operation_
; %bb.0:
	s_clause 0x1
	s_load_b128 s[8:11], s[0:1], 0x10
	s_load_b128 s[4:7], s[0:1], 0x28
	s_mov_b32 s22, s15
	s_mov_b32 s23, 0
	s_mov_b64 s[26:27], 0
	s_lshl_b64 s[12:13], s[22:23], 3
	s_mov_b64 s[28:29], 0
	s_waitcnt lgkmcnt(0)
	s_add_u32 s2, s8, s12
	s_addc_u32 s3, s9, s13
	s_load_b64 s[24:25], s[2:3], 0x0
	s_clause 0x1
	s_load_b128 s[16:19], s[0:1], 0x40
	s_load_b64 s[2:3], s[0:1], 0x50
	s_waitcnt lgkmcnt(0)
	s_add_u32 s8, s18, s12
	v_cmp_eq_f64_e64 s20, s[24:25], 0
	v_cmp_neq_f64_e64 s15, s[24:25], 0
	s_addc_u32 s9, s19, s13
	s_delay_alu instid0(VALU_DEP_2)
	s_and_b32 vcc_lo, exec_lo, s20
	s_cbranch_vccnz .LBB165_2
; %bb.1:
	s_mul_i32 s5, s22, s5
	s_mul_hi_u32 s12, s22, s4
	s_mul_i32 s4, s22, s4
	s_add_i32 s5, s12, s5
	s_delay_alu instid0(SALU_CYCLE_1) | instskip(NEXT) | instid1(SALU_CYCLE_1)
	s_lshl_b64 s[4:5], s[4:5], 3
	s_add_u32 s28, s10, s4
	s_addc_u32 s29, s11, s5
.LBB165_2:
	s_load_b64 s[12:13], s[8:9], 0x0
	s_delay_alu instid0(VALU_DEP_1)
	s_and_not1_b32 vcc_lo, exec_lo, s15
	s_cbranch_vccnz .LBB165_4
; %bb.3:
	s_mul_i32 s4, s22, s17
	s_mul_hi_u32 s5, s22, s16
	s_delay_alu instid0(SALU_CYCLE_1) | instskip(SKIP_1) | instid1(SALU_CYCLE_1)
	s_add_i32 s5, s5, s4
	s_mul_i32 s4, s22, s16
	s_lshl_b64 s[4:5], s[4:5], 3
	s_delay_alu instid0(SALU_CYCLE_1)
	s_add_u32 s26, s6, s4
	s_addc_u32 s27, s7, s5
.LBB165_4:
	s_waitcnt lgkmcnt(0)
	v_cmp_eq_f64_e64 s4, s[12:13], 0
	v_cmp_neq_f64_e64 s7, s[12:13], 0
	s_load_b128 s[16:19], s[0:1], 0x60
	s_mov_b64 s[20:21], 0
	s_delay_alu instid0(VALU_DEP_2)
	s_and_b32 vcc_lo, exec_lo, s4
	s_cbranch_vccnz .LBB165_6
; %bb.5:
	s_waitcnt lgkmcnt(0)
	s_mul_i32 s4, s22, s17
	s_mul_hi_u32 s5, s22, s16
	s_delay_alu instid0(SALU_CYCLE_1) | instskip(SKIP_1) | instid1(SALU_CYCLE_1)
	s_add_i32 s5, s5, s4
	s_mul_i32 s4, s22, s16
	s_lshl_b64 s[4:5], s[4:5], 3
	s_delay_alu instid0(SALU_CYCLE_1)
	s_add_u32 s20, s2, s4
	s_addc_u32 s21, s3, s5
.LBB165_6:
	s_clause 0x1
	s_load_b128 s[8:11], s[0:1], 0x0
	s_load_b32 s23, s[0:1], 0x20
	v_and_b32_e32 v128, 0x3ff, v0
	v_cmp_eq_f64_e64 s15, s[24:25], 0
	v_bfe_u32 v130, v0, 10, 10
	s_delay_alu instid0(VALU_DEP_3) | instskip(SKIP_2) | instid1(VALU_DEP_1)
	v_and_b32_e32 v138, 3, v128
	s_waitcnt lgkmcnt(0)
	s_add_i32 s2, s8, -1
	v_cmp_le_i32_e32 vcc_lo, s10, v138
	s_ashr_i32 s3, s2, 31
	s_delay_alu instid0(SALU_CYCLE_1) | instskip(NEXT) | instid1(SALU_CYCLE_1)
	s_lshr_b32 s3, s3, 25
	s_add_i32 s2, s2, s3
	s_delay_alu instid0(SALU_CYCLE_1) | instskip(NEXT) | instid1(SALU_CYCLE_1)
	s_ashr_i32 s2, s2, 7
	s_add_i32 s3, s2, 1
	s_not_b32 s2, s2
	v_cvt_f32_u32_e32 v1, s3
	s_delay_alu instid0(VALU_DEP_1) | instskip(SKIP_2) | instid1(VALU_DEP_1)
	v_rcp_iflag_f32_e32 v1, v1
	s_waitcnt_depctr 0xfff
	v_mul_f32_e32 v1, 0x4f7ffffe, v1
	v_cvt_u32_f32_e32 v1, v1
	s_delay_alu instid0(VALU_DEP_1) | instskip(SKIP_1) | instid1(VALU_DEP_2)
	v_readfirstlane_b32 s4, v1
	v_lshl_add_u32 v1, v130, 5, v128
	s_mul_i32 s2, s2, s4
	s_delay_alu instid0(VALU_DEP_1) | instskip(SKIP_1) | instid1(SALU_CYCLE_1)
	v_lshrrev_b32_e32 v10, 2, v1
	s_mul_hi_u32 s2, s4, s2
	s_add_i32 s4, s4, s2
	s_delay_alu instid0(SALU_CYCLE_1) | instskip(NEXT) | instid1(SALU_CYCLE_1)
	s_mul_hi_u32 s2, s14, s4
	s_mul_i32 s4, s2, s3
	s_add_i32 s5, s2, 1
	s_sub_i32 s4, s14, s4
	s_delay_alu instid0(SALU_CYCLE_1)
	s_sub_i32 s6, s4, s3
	s_cmp_ge_u32 s4, s3
	s_cselect_b32 s2, s5, s2
	s_cselect_b32 s4, s6, s4
	s_add_i32 s5, s2, 1
	s_cmp_ge_u32 s4, s3
	s_cselect_b32 s5, s5, s2
	s_add_i32 s16, s10, -1
	s_mul_i32 s2, s5, s3
	v_min_i32_e32 v0, s16, v138
	s_sub_i32 s2, s14, s2
	s_delay_alu instid0(SALU_CYCLE_1) | instskip(NEXT) | instid1(VALU_DEP_1)
	s_lshl_b32 s11, s2, 7
	v_ashrrev_i32_e32 v1, 31, v0
	v_add_nc_u32_e32 v64, s11, v10
	s_delay_alu instid0(VALU_DEP_2) | instskip(NEXT) | instid1(VALU_DEP_2)
	v_lshlrev_b64 v[4:5], 3, v[0:1]
	v_cmp_le_i32_e64 s2, s8, v64
	s_delay_alu instid0(VALU_DEP_2) | instskip(NEXT) | instid1(VALU_DEP_1)
	v_add_co_u32 v6, s3, s28, v4
	v_add_co_ci_u32_e64 v7, s3, s29, v5, s3
	s_delay_alu instid0(VALU_DEP_3) | instskip(NEXT) | instid1(SALU_CYCLE_1)
	s_or_b32 s3, vcc_lo, s2
	v_cndmask_b32_e64 v1, 0, 0x7fefffff, s3
	v_cndmask_b32_e64 v0, 0, -1, s3
	s_or_b32 s3, s15, s3
	s_delay_alu instid0(SALU_CYCLE_1) | instskip(NEXT) | instid1(SALU_CYCLE_1)
	s_xor_b32 s3, s3, -1
	s_and_saveexec_b32 s4, s3
	s_cbranch_execz .LBB165_8
; %bb.7:
	v_mad_i64_i32 v[0:1], null, v64, s23, 0
	s_delay_alu instid0(VALU_DEP_1) | instskip(NEXT) | instid1(VALU_DEP_1)
	v_lshlrev_b64 v[0:1], 3, v[0:1]
	v_add_co_u32 v0, s3, v6, v0
	s_delay_alu instid0(VALU_DEP_1)
	v_add_co_ci_u32_e64 v1, s3, v7, v1, s3
	flat_load_b64 v[0:1], v[0:1]
	s_waitcnt vmcnt(0) lgkmcnt(0)
	v_mul_f64 v[0:1], s[24:25], v[0:1]
.LBB165_8:
	s_or_b32 exec_lo, exec_lo, s4
	v_add_nc_u32_e32 v65, 64, v64
	s_delay_alu instid0(VALU_DEP_1) | instskip(NEXT) | instid1(VALU_DEP_1)
	v_cmp_le_i32_e64 s3, s8, v65
	s_or_b32 s4, vcc_lo, s3
	s_delay_alu instid0(SALU_CYCLE_1) | instskip(SKIP_2) | instid1(SALU_CYCLE_1)
	v_cndmask_b32_e64 v3, 0, 0x7fefffff, s4
	v_cndmask_b32_e64 v2, 0, -1, s4
	s_or_b32 s4, s15, s4
	s_xor_b32 s4, s4, -1
	s_delay_alu instid0(SALU_CYCLE_1)
	s_and_saveexec_b32 s6, s4
	s_cbranch_execz .LBB165_10
; %bb.9:
	v_mad_i64_i32 v[2:3], null, v65, s23, 0
	s_delay_alu instid0(VALU_DEP_1) | instskip(NEXT) | instid1(VALU_DEP_1)
	v_lshlrev_b64 v[2:3], 3, v[2:3]
	v_add_co_u32 v2, s4, v6, v2
	s_delay_alu instid0(VALU_DEP_1)
	v_add_co_ci_u32_e64 v3, s4, v7, v3, s4
	flat_load_b64 v[2:3], v[2:3]
	s_waitcnt vmcnt(0) lgkmcnt(0)
	v_mul_f64 v[2:3], s[24:25], v[2:3]
.LBB165_10:
	s_or_b32 exec_lo, exec_lo, s6
	s_load_b32 s30, s[0:1], 0x38
	s_lshl_b32 s14, s5, 7
	v_add_co_u32 v8, s5, s26, v4
	v_add_nc_u32_e32 v66, s14, v10
	v_add_co_ci_u32_e64 v9, s5, s27, v5, s5
	s_delay_alu instid0(VALU_DEP_2) | instskip(NEXT) | instid1(VALU_DEP_1)
	v_cmp_le_i32_e64 s4, s9, v66
	s_or_b32 s5, vcc_lo, s4
	s_delay_alu instid0(SALU_CYCLE_1) | instskip(SKIP_2) | instid1(SALU_CYCLE_1)
	v_cndmask_b32_e64 v5, 0, 0x7fefffff, s5
	v_cndmask_b32_e64 v4, 0, -1, s5
	s_or_b32 s5, s15, s5
	s_xor_b32 s5, s5, -1
	s_delay_alu instid0(SALU_CYCLE_1)
	s_and_saveexec_b32 s6, s5
	s_cbranch_execz .LBB165_12
; %bb.11:
	s_waitcnt lgkmcnt(0)
	v_mad_i64_i32 v[4:5], null, v66, s30, 0
	s_delay_alu instid0(VALU_DEP_1) | instskip(NEXT) | instid1(VALU_DEP_1)
	v_lshlrev_b64 v[4:5], 3, v[4:5]
	v_add_co_u32 v4, s5, v8, v4
	s_delay_alu instid0(VALU_DEP_1)
	v_add_co_ci_u32_e64 v5, s5, v9, v5, s5
	flat_load_b64 v[4:5], v[4:5]
	s_waitcnt vmcnt(0) lgkmcnt(0)
	v_mul_f64 v[4:5], s[24:25], v[4:5]
.LBB165_12:
	s_or_b32 exec_lo, exec_lo, s6
	v_add_nc_u32_e32 v67, 64, v66
	s_delay_alu instid0(VALU_DEP_1) | instskip(NEXT) | instid1(VALU_DEP_1)
	v_cmp_le_i32_e64 s5, s9, v67
	s_or_b32 s6, vcc_lo, s5
	s_delay_alu instid0(SALU_CYCLE_1) | instskip(SKIP_2) | instid1(SALU_CYCLE_1)
	v_cndmask_b32_e64 v7, 0, 0x7fefffff, s6
	v_cndmask_b32_e64 v6, 0, -1, s6
	s_or_b32 s6, s15, s6
	s_xor_b32 s17, s6, -1
	s_delay_alu instid0(SALU_CYCLE_1)
	s_and_saveexec_b32 s6, s17
	s_cbranch_execz .LBB165_14
; %bb.13:
	s_waitcnt lgkmcnt(0)
	v_mad_i64_i32 v[6:7], null, v67, s30, 0
	s_delay_alu instid0(VALU_DEP_1) | instskip(NEXT) | instid1(VALU_DEP_1)
	v_lshlrev_b64 v[6:7], 3, v[6:7]
	v_add_co_u32 v6, vcc_lo, v8, v6
	s_delay_alu instid0(VALU_DEP_2)
	v_add_co_ci_u32_e32 v7, vcc_lo, v9, v7, vcc_lo
	flat_load_b64 v[6:7], v[6:7]
	s_waitcnt vmcnt(0) lgkmcnt(0)
	v_mul_f64 v[6:7], s[24:25], v[6:7]
.LBB165_14:
	s_or_b32 exec_lo, exec_lo, s6
	v_or_b32_e32 v11, 4, v138
	s_delay_alu instid0(VALU_DEP_1) | instskip(SKIP_1) | instid1(VALU_DEP_2)
	v_min_i32_e32 v8, s16, v11
	v_cmp_le_i32_e32 vcc_lo, s10, v11
	v_ashrrev_i32_e32 v9, 31, v8
	s_or_b32 s17, vcc_lo, s2
	s_delay_alu instid0(SALU_CYCLE_1) | instskip(SKIP_1) | instid1(VALU_DEP_3)
	v_cndmask_b32_e64 v57, 0, 0x7fefffff, s17
	v_cndmask_b32_e64 v56, 0, -1, s17
	v_lshlrev_b64 v[8:9], 3, v[8:9]
	s_delay_alu instid0(VALU_DEP_1) | instskip(NEXT) | instid1(VALU_DEP_1)
	v_add_co_u32 v11, s6, s28, v8
	v_add_co_ci_u32_e64 v12, s6, s29, v9, s6
	s_or_b32 s6, s15, s17
	s_delay_alu instid0(SALU_CYCLE_1) | instskip(NEXT) | instid1(SALU_CYCLE_1)
	s_xor_b32 s6, s6, -1
	s_and_saveexec_b32 s17, s6
	s_cbranch_execz .LBB165_16
; %bb.15:
	v_mad_i64_i32 v[13:14], null, v64, s23, 0
	s_delay_alu instid0(VALU_DEP_1) | instskip(NEXT) | instid1(VALU_DEP_1)
	v_lshlrev_b64 v[13:14], 3, v[13:14]
	v_add_co_u32 v13, s6, v11, v13
	s_delay_alu instid0(VALU_DEP_1)
	v_add_co_ci_u32_e64 v14, s6, v12, v14, s6
	flat_load_b64 v[13:14], v[13:14]
	s_waitcnt vmcnt(0) lgkmcnt(0)
	v_mul_f64 v[56:57], s[24:25], v[13:14]
.LBB165_16:
	s_or_b32 exec_lo, exec_lo, s17
	s_or_b32 s6, vcc_lo, s3
	s_delay_alu instid0(SALU_CYCLE_1) | instskip(SKIP_2) | instid1(SALU_CYCLE_1)
	v_cndmask_b32_e64 v59, 0, 0x7fefffff, s6
	v_cndmask_b32_e64 v58, 0, -1, s6
	s_or_b32 s6, s15, s6
	s_xor_b32 s6, s6, -1
	s_delay_alu instid0(SALU_CYCLE_1)
	s_and_saveexec_b32 s17, s6
	s_cbranch_execz .LBB165_18
; %bb.17:
	v_mad_i64_i32 v[13:14], null, v65, s23, 0
	s_delay_alu instid0(VALU_DEP_1) | instskip(NEXT) | instid1(VALU_DEP_1)
	v_lshlrev_b64 v[13:14], 3, v[13:14]
	v_add_co_u32 v11, s6, v11, v13
	s_delay_alu instid0(VALU_DEP_1)
	v_add_co_ci_u32_e64 v12, s6, v12, v14, s6
	flat_load_b64 v[11:12], v[11:12]
	s_waitcnt vmcnt(0) lgkmcnt(0)
	v_mul_f64 v[58:59], s[24:25], v[11:12]
.LBB165_18:
	s_or_b32 exec_lo, exec_lo, s17
	v_add_co_u32 v8, s6, s26, v8
	s_delay_alu instid0(VALU_DEP_1) | instskip(SKIP_1) | instid1(SALU_CYCLE_1)
	v_add_co_ci_u32_e64 v9, s6, s27, v9, s6
	s_or_b32 s6, vcc_lo, s4
	v_cndmask_b32_e64 v61, 0, 0x7fefffff, s6
	v_cndmask_b32_e64 v60, 0, -1, s6
	s_or_b32 s6, s15, s6
	s_delay_alu instid0(SALU_CYCLE_1) | instskip(NEXT) | instid1(SALU_CYCLE_1)
	s_xor_b32 s6, s6, -1
	s_and_saveexec_b32 s17, s6
	s_cbranch_execz .LBB165_20
; %bb.19:
	s_waitcnt lgkmcnt(0)
	v_mad_i64_i32 v[11:12], null, v66, s30, 0
	s_delay_alu instid0(VALU_DEP_1) | instskip(NEXT) | instid1(VALU_DEP_1)
	v_lshlrev_b64 v[11:12], 3, v[11:12]
	v_add_co_u32 v11, s6, v8, v11
	s_delay_alu instid0(VALU_DEP_1)
	v_add_co_ci_u32_e64 v12, s6, v9, v12, s6
	flat_load_b64 v[11:12], v[11:12]
	s_waitcnt vmcnt(0) lgkmcnt(0)
	v_mul_f64 v[60:61], s[24:25], v[11:12]
.LBB165_20:
	s_or_b32 exec_lo, exec_lo, s17
	s_or_b32 s6, vcc_lo, s5
	s_delay_alu instid0(SALU_CYCLE_1) | instskip(SKIP_4) | instid1(SALU_CYCLE_1)
	v_cndmask_b32_e64 v63, 0, 0x7fefffff, s6
	v_cndmask_b32_e64 v62, 0, -1, s6
	s_or_b32 s17, s15, s6
	s_mov_b32 s6, -1
	s_xor_b32 s31, s17, -1
	s_and_saveexec_b32 s17, s31
	s_cbranch_execz .LBB165_22
; %bb.21:
	s_waitcnt lgkmcnt(0)
	v_mad_i64_i32 v[11:12], null, v67, s30, 0
	s_delay_alu instid0(VALU_DEP_1) | instskip(NEXT) | instid1(VALU_DEP_1)
	v_lshlrev_b64 v[11:12], 3, v[11:12]
	v_add_co_u32 v8, vcc_lo, v8, v11
	s_delay_alu instid0(VALU_DEP_2)
	v_add_co_ci_u32_e32 v9, vcc_lo, v9, v12, vcc_lo
	flat_load_b64 v[8:9], v[8:9]
	s_waitcnt vmcnt(0) lgkmcnt(0)
	v_mul_f64 v[62:63], s[24:25], v[8:9]
.LBB165_22:
	s_or_b32 exec_lo, exec_lo, s17
	v_dual_mov_b32 v73, 0x7f800000 :: v_dual_lshlrev_b32 v8, 3, v138
	v_dual_mov_b32 v72, 0x7f800000 :: v_dual_mov_b32 v75, 0x7f800000
	v_dual_mov_b32 v74, 0x7f800000 :: v_dual_mov_b32 v77, 0x7f800000
	s_delay_alu instid0(VALU_DEP_3) | instskip(SKIP_2) | instid1(VALU_DEP_3)
	v_lshl_or_b32 v139, v10, 5, v8
	v_dual_mov_b32 v76, 0x7f800000 :: v_dual_mov_b32 v79, 0x7f800000
	v_dual_mov_b32 v78, 0x7f800000 :: v_dual_mov_b32 v81, 0x7f800000
	v_add_nc_u32_e32 v140, 0x2000, v139
	v_dual_mov_b32 v80, 0x7f800000 :: v_dual_mov_b32 v83, 0x7f800000
	v_dual_mov_b32 v82, 0x7f800000 :: v_dual_mov_b32 v85, 0x7f800000
	;; [unrolled: 1-line block ×27, first 2 shown]
	v_mov_b32_e32 v137, 0x7f800000
	s_mov_b32 s17, 0
	ds_store_2addr_stride64_b64 v139, v[0:1], v[2:3] offset1:4
	ds_store_2addr_stride64_b64 v139, v[4:5], v[6:7] offset0:16 offset1:20
	s_waitcnt lgkmcnt(0)
	s_barrier
	buffer_gl0_inv
.LBB165_23:                             ; =>This Inner Loop Header: Depth=1
	s_lshl_b32 s17, s17, 3
	s_and_not1_b32 vcc_lo, exec_lo, s6
	v_lshl_add_u32 v0, v128, 5, s17
	v_lshl_add_u32 v16, v130, 5, s17
	s_mov_b32 s17, 2
	s_mov_b32 s6, 0
	ds_load_b128 v[12:15], v0
	ds_load_b128 v[8:11], v0 offset:1024
	ds_load_b128 v[4:7], v0 offset:2048
	;; [unrolled: 1-line block ×19, first 2 shown]
	s_waitcnt lgkmcnt(15)
	v_add_f64 v[161:162], v[14:15], v[70:71]
	v_add_f64 v[163:164], v[12:13], v[68:69]
	s_delay_alu instid0(VALU_DEP_2) | instskip(NEXT) | instid1(VALU_DEP_2)
	v_cvt_f32_f64_e32 v161, v[161:162]
	v_cvt_f32_f64_e32 v163, v[163:164]
	s_delay_alu instid0(VALU_DEP_1) | instskip(SKIP_2) | instid1(VALU_DEP_2)
	v_min3_f32 v137, v163, v161, v137
	v_add_f64 v[161:162], v[10:11], v[70:71]
	v_add_f64 v[163:164], v[8:9], v[68:69]
	v_cvt_f32_f64_e32 v161, v[161:162]
	s_delay_alu instid0(VALU_DEP_2) | instskip(NEXT) | instid1(VALU_DEP_1)
	v_cvt_f32_f64_e32 v163, v[163:164]
	v_min3_f32 v136, v163, v161, v136
	v_add_f64 v[161:162], v[6:7], v[70:71]
	v_add_f64 v[163:164], v[4:5], v[68:69]
	v_add_f64 v[70:71], v[2:3], v[70:71]
	v_add_f64 v[68:69], v[0:1], v[68:69]
	s_delay_alu instid0(VALU_DEP_4) | instskip(NEXT) | instid1(VALU_DEP_4)
	v_cvt_f32_f64_e32 v161, v[161:162]
	v_cvt_f32_f64_e32 v163, v[163:164]
	s_delay_alu instid0(VALU_DEP_3) | instskip(SKIP_3) | instid1(VALU_DEP_4)
	v_cvt_f32_f64_e32 v68, v[68:69]
	v_cvt_f32_f64_e32 v69, v[70:71]
	s_waitcnt lgkmcnt(14)
	v_add_f64 v[70:71], v[12:13], v[141:142]
	v_min3_f32 v135, v163, v161, v135
	s_delay_alu instid0(VALU_DEP_3) | instskip(SKIP_1) | instid1(VALU_DEP_4)
	v_min3_f32 v134, v68, v69, v134
	v_add_f64 v[68:69], v[14:15], v[143:144]
	v_cvt_f32_f64_e32 v70, v[70:71]
	s_delay_alu instid0(VALU_DEP_2) | instskip(NEXT) | instid1(VALU_DEP_1)
	v_cvt_f32_f64_e32 v68, v[68:69]
	v_min3_f32 v133, v70, v68, v133
	v_add_f64 v[68:69], v[10:11], v[143:144]
	v_add_f64 v[70:71], v[8:9], v[141:142]
	s_delay_alu instid0(VALU_DEP_2) | instskip(NEXT) | instid1(VALU_DEP_2)
	v_cvt_f32_f64_e32 v68, v[68:69]
	v_cvt_f32_f64_e32 v70, v[70:71]
	s_delay_alu instid0(VALU_DEP_1) | instskip(SKIP_2) | instid1(VALU_DEP_2)
	v_min3_f32 v132, v70, v68, v132
	v_add_f64 v[68:69], v[6:7], v[143:144]
	v_add_f64 v[70:71], v[4:5], v[141:142]
	v_cvt_f32_f64_e32 v68, v[68:69]
	s_delay_alu instid0(VALU_DEP_2) | instskip(NEXT) | instid1(VALU_DEP_1)
	v_cvt_f32_f64_e32 v70, v[70:71]
	v_min3_f32 v131, v70, v68, v131
	v_add_f64 v[68:69], v[2:3], v[143:144]
	v_add_f64 v[70:71], v[0:1], v[141:142]
	s_delay_alu instid0(VALU_DEP_2) | instskip(NEXT) | instid1(VALU_DEP_2)
	v_cvt_f32_f64_e32 v68, v[68:69]
	v_cvt_f32_f64_e32 v70, v[70:71]
	s_delay_alu instid0(VALU_DEP_1) | instskip(SKIP_3) | instid1(VALU_DEP_2)
	v_min3_f32 v129, v70, v68, v129
	s_waitcnt lgkmcnt(13)
	v_add_f64 v[68:69], v[14:15], v[147:148]
	v_add_f64 v[70:71], v[12:13], v[145:146]
	v_cvt_f32_f64_e32 v68, v[68:69]
	s_delay_alu instid0(VALU_DEP_2) | instskip(NEXT) | instid1(VALU_DEP_1)
	v_cvt_f32_f64_e32 v70, v[70:71]
	v_min3_f32 v127, v70, v68, v127
	v_add_f64 v[68:69], v[10:11], v[147:148]
	v_add_f64 v[70:71], v[8:9], v[145:146]
	s_delay_alu instid0(VALU_DEP_2) | instskip(NEXT) | instid1(VALU_DEP_2)
	v_cvt_f32_f64_e32 v68, v[68:69]
	v_cvt_f32_f64_e32 v70, v[70:71]
	s_delay_alu instid0(VALU_DEP_1) | instskip(SKIP_2) | instid1(VALU_DEP_2)
	v_min3_f32 v126, v70, v68, v126
	v_add_f64 v[68:69], v[6:7], v[147:148]
	v_add_f64 v[70:71], v[4:5], v[145:146]
	v_cvt_f32_f64_e32 v68, v[68:69]
	s_delay_alu instid0(VALU_DEP_2) | instskip(NEXT) | instid1(VALU_DEP_1)
	v_cvt_f32_f64_e32 v70, v[70:71]
	v_min3_f32 v125, v70, v68, v125
	v_add_f64 v[68:69], v[2:3], v[147:148]
	v_add_f64 v[70:71], v[0:1], v[145:146]
	s_delay_alu instid0(VALU_DEP_2) | instskip(NEXT) | instid1(VALU_DEP_2)
	v_cvt_f32_f64_e32 v68, v[68:69]
	v_cvt_f32_f64_e32 v70, v[70:71]
	s_delay_alu instid0(VALU_DEP_1) | instskip(SKIP_3) | instid1(VALU_DEP_2)
	v_min3_f32 v124, v70, v68, v124
	s_waitcnt lgkmcnt(12)
	v_add_f64 v[68:69], v[14:15], v[151:152]
	;; [unrolled: 27-line block ×5, first 2 shown]
	v_add_f64 v[70:71], v[12:13], v[52:53]
	v_cvt_f32_f64_e32 v68, v[68:69]
	s_delay_alu instid0(VALU_DEP_2) | instskip(NEXT) | instid1(VALU_DEP_1)
	v_cvt_f32_f64_e32 v70, v[70:71]
	v_min3_f32 v111, v70, v68, v111
	v_add_f64 v[68:69], v[10:11], v[54:55]
	v_add_f64 v[70:71], v[8:9], v[52:53]
	s_delay_alu instid0(VALU_DEP_2) | instskip(NEXT) | instid1(VALU_DEP_2)
	v_cvt_f32_f64_e32 v68, v[68:69]
	v_cvt_f32_f64_e32 v70, v[70:71]
	s_delay_alu instid0(VALU_DEP_1) | instskip(SKIP_4) | instid1(VALU_DEP_4)
	v_min3_f32 v110, v70, v68, v110
	v_add_f64 v[68:69], v[6:7], v[54:55]
	v_add_f64 v[70:71], v[4:5], v[52:53]
	v_add_f64 v[54:55], v[2:3], v[54:55]
	v_add_f64 v[52:53], v[0:1], v[52:53]
	v_cvt_f32_f64_e32 v68, v[68:69]
	s_delay_alu instid0(VALU_DEP_4) | instskip(NEXT) | instid1(VALU_DEP_3)
	v_cvt_f32_f64_e32 v70, v[70:71]
	v_cvt_f32_f64_e32 v52, v[52:53]
	v_cvt_f32_f64_e32 v53, v[54:55]
	s_waitcnt lgkmcnt(8)
	v_add_f64 v[54:55], v[12:13], v[48:49]
	s_delay_alu instid0(VALU_DEP_4) | instskip(NEXT) | instid1(VALU_DEP_3)
	v_min3_f32 v109, v70, v68, v109
	v_min3_f32 v108, v52, v53, v108
	v_add_f64 v[52:53], v[14:15], v[50:51]
	s_delay_alu instid0(VALU_DEP_4) | instskip(NEXT) | instid1(VALU_DEP_2)
	v_cvt_f32_f64_e32 v54, v[54:55]
	v_cvt_f32_f64_e32 v52, v[52:53]
	s_delay_alu instid0(VALU_DEP_1) | instskip(SKIP_2) | instid1(VALU_DEP_2)
	v_min3_f32 v107, v54, v52, v107
	v_add_f64 v[52:53], v[10:11], v[50:51]
	v_add_f64 v[54:55], v[8:9], v[48:49]
	v_cvt_f32_f64_e32 v52, v[52:53]
	s_delay_alu instid0(VALU_DEP_2) | instskip(NEXT) | instid1(VALU_DEP_1)
	v_cvt_f32_f64_e32 v54, v[54:55]
	v_min3_f32 v106, v54, v52, v106
	v_add_f64 v[52:53], v[6:7], v[50:51]
	v_add_f64 v[54:55], v[4:5], v[48:49]
	v_add_f64 v[50:51], v[2:3], v[50:51]
	v_add_f64 v[48:49], v[0:1], v[48:49]
	s_delay_alu instid0(VALU_DEP_4) | instskip(NEXT) | instid1(VALU_DEP_4)
	v_cvt_f32_f64_e32 v52, v[52:53]
	v_cvt_f32_f64_e32 v54, v[54:55]
	s_delay_alu instid0(VALU_DEP_3) | instskip(SKIP_3) | instid1(VALU_DEP_4)
	v_cvt_f32_f64_e32 v48, v[48:49]
	v_cvt_f32_f64_e32 v49, v[50:51]
	s_waitcnt lgkmcnt(7)
	v_add_f64 v[50:51], v[12:13], v[44:45]
	v_min3_f32 v105, v54, v52, v105
	s_delay_alu instid0(VALU_DEP_3) | instskip(SKIP_1) | instid1(VALU_DEP_4)
	v_min3_f32 v104, v48, v49, v104
	v_add_f64 v[48:49], v[14:15], v[46:47]
	v_cvt_f32_f64_e32 v50, v[50:51]
	s_delay_alu instid0(VALU_DEP_2) | instskip(NEXT) | instid1(VALU_DEP_1)
	v_cvt_f32_f64_e32 v48, v[48:49]
	v_min3_f32 v103, v50, v48, v103
	v_add_f64 v[48:49], v[10:11], v[46:47]
	v_add_f64 v[50:51], v[8:9], v[44:45]
	s_delay_alu instid0(VALU_DEP_2) | instskip(NEXT) | instid1(VALU_DEP_2)
	v_cvt_f32_f64_e32 v48, v[48:49]
	v_cvt_f32_f64_e32 v50, v[50:51]
	s_delay_alu instid0(VALU_DEP_1) | instskip(SKIP_4) | instid1(VALU_DEP_4)
	v_min3_f32 v102, v50, v48, v102
	v_add_f64 v[48:49], v[6:7], v[46:47]
	v_add_f64 v[50:51], v[4:5], v[44:45]
	v_add_f64 v[46:47], v[2:3], v[46:47]
	v_add_f64 v[44:45], v[0:1], v[44:45]
	v_cvt_f32_f64_e32 v48, v[48:49]
	s_delay_alu instid0(VALU_DEP_4) | instskip(NEXT) | instid1(VALU_DEP_3)
	v_cvt_f32_f64_e32 v50, v[50:51]
	v_cvt_f32_f64_e32 v44, v[44:45]
	v_cvt_f32_f64_e32 v45, v[46:47]
	s_waitcnt lgkmcnt(6)
	v_add_f64 v[46:47], v[12:13], v[40:41]
	s_delay_alu instid0(VALU_DEP_4) | instskip(NEXT) | instid1(VALU_DEP_3)
	v_min3_f32 v101, v50, v48, v101
	v_min3_f32 v100, v44, v45, v100
	v_add_f64 v[44:45], v[14:15], v[42:43]
	s_delay_alu instid0(VALU_DEP_4) | instskip(NEXT) | instid1(VALU_DEP_2)
	v_cvt_f32_f64_e32 v46, v[46:47]
	v_cvt_f32_f64_e32 v44, v[44:45]
	s_delay_alu instid0(VALU_DEP_1) | instskip(SKIP_2) | instid1(VALU_DEP_2)
	v_min3_f32 v99, v46, v44, v99
	v_add_f64 v[44:45], v[10:11], v[42:43]
	v_add_f64 v[46:47], v[8:9], v[40:41]
	v_cvt_f32_f64_e32 v44, v[44:45]
	s_delay_alu instid0(VALU_DEP_2) | instskip(NEXT) | instid1(VALU_DEP_1)
	v_cvt_f32_f64_e32 v46, v[46:47]
	v_min3_f32 v98, v46, v44, v98
	v_add_f64 v[44:45], v[6:7], v[42:43]
	v_add_f64 v[46:47], v[4:5], v[40:41]
	v_add_f64 v[42:43], v[2:3], v[42:43]
	v_add_f64 v[40:41], v[0:1], v[40:41]
	s_delay_alu instid0(VALU_DEP_4) | instskip(NEXT) | instid1(VALU_DEP_4)
	v_cvt_f32_f64_e32 v44, v[44:45]
	v_cvt_f32_f64_e32 v46, v[46:47]
	s_delay_alu instid0(VALU_DEP_3) | instskip(SKIP_3) | instid1(VALU_DEP_4)
	v_cvt_f32_f64_e32 v40, v[40:41]
	v_cvt_f32_f64_e32 v41, v[42:43]
	s_waitcnt lgkmcnt(5)
	v_add_f64 v[42:43], v[12:13], v[36:37]
	v_min3_f32 v97, v46, v44, v97
	s_delay_alu instid0(VALU_DEP_3) | instskip(SKIP_1) | instid1(VALU_DEP_4)
	v_min3_f32 v96, v40, v41, v96
	;; [unrolled: 53-line block ×3, first 2 shown]
	v_add_f64 v[32:33], v[14:15], v[30:31]
	v_cvt_f32_f64_e32 v34, v[34:35]
	s_delay_alu instid0(VALU_DEP_2) | instskip(NEXT) | instid1(VALU_DEP_1)
	v_cvt_f32_f64_e32 v32, v[32:33]
	v_min3_f32 v87, v34, v32, v87
	v_add_f64 v[32:33], v[10:11], v[30:31]
	v_add_f64 v[34:35], v[8:9], v[28:29]
	s_delay_alu instid0(VALU_DEP_2) | instskip(NEXT) | instid1(VALU_DEP_2)
	v_cvt_f32_f64_e32 v32, v[32:33]
	v_cvt_f32_f64_e32 v34, v[34:35]
	s_delay_alu instid0(VALU_DEP_1) | instskip(SKIP_4) | instid1(VALU_DEP_4)
	v_min3_f32 v86, v34, v32, v86
	v_add_f64 v[32:33], v[6:7], v[30:31]
	v_add_f64 v[34:35], v[4:5], v[28:29]
	v_add_f64 v[30:31], v[2:3], v[30:31]
	v_add_f64 v[28:29], v[0:1], v[28:29]
	v_cvt_f32_f64_e32 v32, v[32:33]
	s_delay_alu instid0(VALU_DEP_4) | instskip(NEXT) | instid1(VALU_DEP_3)
	v_cvt_f32_f64_e32 v34, v[34:35]
	v_cvt_f32_f64_e32 v28, v[28:29]
	;; [unrolled: 1-line block ×3, first 2 shown]
	s_waitcnt lgkmcnt(2)
	v_add_f64 v[30:31], v[12:13], v[24:25]
	s_delay_alu instid0(VALU_DEP_4) | instskip(NEXT) | instid1(VALU_DEP_3)
	v_min3_f32 v85, v34, v32, v85
	v_min3_f32 v84, v28, v29, v84
	v_add_f64 v[28:29], v[14:15], v[26:27]
	s_delay_alu instid0(VALU_DEP_4) | instskip(NEXT) | instid1(VALU_DEP_2)
	v_cvt_f32_f64_e32 v30, v[30:31]
	v_cvt_f32_f64_e32 v28, v[28:29]
	s_delay_alu instid0(VALU_DEP_1) | instskip(SKIP_2) | instid1(VALU_DEP_2)
	v_min3_f32 v83, v30, v28, v83
	v_add_f64 v[28:29], v[10:11], v[26:27]
	v_add_f64 v[30:31], v[8:9], v[24:25]
	v_cvt_f32_f64_e32 v28, v[28:29]
	s_delay_alu instid0(VALU_DEP_2) | instskip(NEXT) | instid1(VALU_DEP_1)
	v_cvt_f32_f64_e32 v30, v[30:31]
	v_min3_f32 v82, v30, v28, v82
	v_add_f64 v[28:29], v[6:7], v[26:27]
	v_add_f64 v[30:31], v[4:5], v[24:25]
	;; [unrolled: 1-line block ×4, first 2 shown]
	s_delay_alu instid0(VALU_DEP_4) | instskip(NEXT) | instid1(VALU_DEP_4)
	v_cvt_f32_f64_e32 v28, v[28:29]
	v_cvt_f32_f64_e32 v30, v[30:31]
	s_delay_alu instid0(VALU_DEP_3)
	v_cvt_f32_f64_e32 v24, v[24:25]
	v_cvt_f32_f64_e32 v25, v[26:27]
	s_waitcnt lgkmcnt(1)
	v_add_f64 v[26:27], v[12:13], v[20:21]
	s_waitcnt lgkmcnt(0)
	v_add_f64 v[12:13], v[12:13], v[16:17]
	v_min3_f32 v81, v30, v28, v81
	s_delay_alu instid0(VALU_DEP_4) | instskip(SKIP_4) | instid1(VALU_DEP_4)
	v_min3_f32 v80, v24, v25, v80
	v_add_f64 v[24:25], v[14:15], v[22:23]
	v_cvt_f32_f64_e32 v26, v[26:27]
	v_add_f64 v[14:15], v[14:15], v[18:19]
	v_cvt_f32_f64_e32 v12, v[12:13]
	v_cvt_f32_f64_e32 v24, v[24:25]
	s_delay_alu instid0(VALU_DEP_3) | instskip(NEXT) | instid1(VALU_DEP_2)
	v_cvt_f32_f64_e32 v13, v[14:15]
	v_min3_f32 v79, v26, v24, v79
	v_add_f64 v[24:25], v[10:11], v[22:23]
	v_add_f64 v[26:27], v[8:9], v[20:21]
	;; [unrolled: 1-line block ×4, first 2 shown]
	v_min3_f32 v75, v12, v13, v75
	v_cvt_f32_f64_e32 v24, v[24:25]
	v_cvt_f32_f64_e32 v26, v[26:27]
	s_delay_alu instid0(VALU_DEP_4) | instskip(SKIP_1) | instid1(VALU_DEP_3)
	v_cvt_f32_f64_e32 v8, v[8:9]
	v_cvt_f32_f64_e32 v9, v[10:11]
	v_min3_f32 v78, v26, v24, v78
	v_add_f64 v[24:25], v[6:7], v[22:23]
	v_add_f64 v[26:27], v[4:5], v[20:21]
	;; [unrolled: 1-line block ×8, first 2 shown]
	v_min3_f32 v74, v8, v9, v74
	v_cvt_f32_f64_e32 v24, v[24:25]
	v_cvt_f32_f64_e32 v26, v[26:27]
	;; [unrolled: 1-line block ×8, first 2 shown]
	v_min3_f32 v77, v26, v24, v77
	v_min3_f32 v76, v20, v21, v76
	v_min3_f32 v73, v4, v5, v73
	s_delay_alu instid0(VALU_DEP_4)
	v_min3_f32 v72, v0, v1, v72
	s_cbranch_vccz .LBB165_23
; %bb.24:
	s_cmp_gt_i32 s10, 8
	s_mov_b32 s17, 8
	ds_store_2addr_stride64_b64 v139, v[56:57], v[58:59] offset0:8 offset1:12
	ds_store_2addr_stride64_b64 v139, v[60:61], v[62:63] offset0:24 offset1:28
	s_waitcnt lgkmcnt(0)
	s_barrier
	buffer_gl0_inv
	s_cbranch_scc0 .LBB165_47
; %bb.25:
	v_mad_i64_i32 v[0:1], null, v64, s23, 0
	v_mad_i64_i32 v[2:3], null, v65, s23, 0
	v_mad_i64_i32 v[4:5], null, v66, s30, 0
	v_mad_i64_i32 v[6:7], null, v67, s30, 0
	s_delay_alu instid0(VALU_DEP_4)
	v_lshlrev_b64 v[56:57], 3, v[0:1]
	v_add_nc_u32_e32 v141, 0x1000, v139
	v_lshlrev_b64 v[58:59], 3, v[2:3]
	v_add_nc_u32_e32 v142, 0x3000, v139
	v_lshlrev_b64 v[60:61], 3, v[4:5]
	s_add_i32 s23, s10, -8
	v_lshlrev_b64 v[62:63], 3, v[6:7]
	s_mov_b32 s30, 0
.LBB165_26:                             ; =>This Loop Header: Depth=1
                                        ;     Child Loop BB165_35 Depth 2
                                        ;     Child Loop BB165_45 Depth 2
	v_or_b32_e32 v143, s17, v138
	s_delay_alu instid0(VALU_DEP_1) | instskip(SKIP_1) | instid1(VALU_DEP_2)
	v_min_i32_e32 v0, s16, v143
	v_cmp_le_i32_e32 vcc_lo, s10, v143
	v_ashrrev_i32_e32 v1, 31, v0
	s_or_b32 s31, s2, vcc_lo
	s_delay_alu instid0(SALU_CYCLE_1) | instskip(SKIP_1) | instid1(VALU_DEP_3)
	v_cndmask_b32_e64 v65, 0, 0x7fefffff, s31
	v_cndmask_b32_e64 v64, 0, -1, s31
	v_lshlrev_b64 v[0:1], 3, v[0:1]
	s_delay_alu instid0(VALU_DEP_1) | instskip(NEXT) | instid1(VALU_DEP_1)
	v_add_co_u32 v2, s6, s28, v0
	v_add_co_ci_u32_e64 v3, s6, s29, v1, s6
	s_or_b32 s6, s15, s31
	s_delay_alu instid0(SALU_CYCLE_1) | instskip(NEXT) | instid1(SALU_CYCLE_1)
	s_xor_b32 s6, s6, -1
	s_and_saveexec_b32 s31, s6
	s_cbranch_execz .LBB165_28
; %bb.27:                               ;   in Loop: Header=BB165_26 Depth=1
	v_add_co_u32 v4, s6, v2, v56
	s_delay_alu instid0(VALU_DEP_1)
	v_add_co_ci_u32_e64 v5, s6, v3, v57, s6
	flat_load_b64 v[4:5], v[4:5]
	s_waitcnt vmcnt(0) lgkmcnt(0)
	v_mul_f64 v[64:65], s[24:25], v[4:5]
.LBB165_28:                             ;   in Loop: Header=BB165_26 Depth=1
	s_or_b32 exec_lo, exec_lo, s31
	s_or_b32 s6, s3, vcc_lo
	s_delay_alu instid0(SALU_CYCLE_1) | instskip(SKIP_2) | instid1(SALU_CYCLE_1)
	v_cndmask_b32_e64 v67, 0, 0x7fefffff, s6
	v_cndmask_b32_e64 v66, 0, -1, s6
	s_or_b32 s6, s15, s6
	s_xor_b32 s6, s6, -1
	s_delay_alu instid0(SALU_CYCLE_1)
	s_and_saveexec_b32 s31, s6
	s_cbranch_execz .LBB165_30
; %bb.29:                               ;   in Loop: Header=BB165_26 Depth=1
	v_add_co_u32 v2, s6, v2, v58
	s_delay_alu instid0(VALU_DEP_1)
	v_add_co_ci_u32_e64 v3, s6, v3, v59, s6
	flat_load_b64 v[2:3], v[2:3]
	s_waitcnt vmcnt(0) lgkmcnt(0)
	v_mul_f64 v[66:67], s[24:25], v[2:3]
.LBB165_30:                             ;   in Loop: Header=BB165_26 Depth=1
	s_or_b32 exec_lo, exec_lo, s31
	v_add_co_u32 v0, s6, s26, v0
	s_delay_alu instid0(VALU_DEP_1) | instskip(SKIP_1) | instid1(SALU_CYCLE_1)
	v_add_co_ci_u32_e64 v1, s6, s27, v1, s6
	s_or_b32 s6, s4, vcc_lo
	v_cndmask_b32_e64 v69, 0, 0x7fefffff, s6
	v_cndmask_b32_e64 v68, 0, -1, s6
	s_or_b32 s6, s15, s6
	s_delay_alu instid0(SALU_CYCLE_1) | instskip(NEXT) | instid1(SALU_CYCLE_1)
	s_xor_b32 s6, s6, -1
	s_and_saveexec_b32 s31, s6
	s_cbranch_execz .LBB165_32
; %bb.31:                               ;   in Loop: Header=BB165_26 Depth=1
	v_add_co_u32 v2, s6, v0, v60
	s_delay_alu instid0(VALU_DEP_1)
	v_add_co_ci_u32_e64 v3, s6, v1, v61, s6
	flat_load_b64 v[2:3], v[2:3]
	s_waitcnt vmcnt(0) lgkmcnt(0)
	v_mul_f64 v[68:69], s[24:25], v[2:3]
.LBB165_32:                             ;   in Loop: Header=BB165_26 Depth=1
	s_or_b32 exec_lo, exec_lo, s31
	s_or_b32 s6, s5, vcc_lo
	s_delay_alu instid0(SALU_CYCLE_1) | instskip(SKIP_2) | instid1(SALU_CYCLE_1)
	v_cndmask_b32_e64 v71, 0, 0x7fefffff, s6
	v_cndmask_b32_e64 v70, 0, -1, s6
	s_or_b32 s6, s15, s6
	s_xor_b32 s31, s6, -1
	s_delay_alu instid0(SALU_CYCLE_1)
	s_and_saveexec_b32 s6, s31
	s_cbranch_execz .LBB165_34
; %bb.33:                               ;   in Loop: Header=BB165_26 Depth=1
	v_add_co_u32 v0, vcc_lo, v0, v62
	v_add_co_ci_u32_e32 v1, vcc_lo, v1, v63, vcc_lo
	flat_load_b64 v[0:1], v[0:1]
	s_waitcnt vmcnt(0) lgkmcnt(0)
	v_mul_f64 v[70:71], s[24:25], v[0:1]
.LBB165_34:                             ;   in Loop: Header=BB165_26 Depth=1
	s_or_b32 exec_lo, exec_lo, s6
	s_mov_b32 s31, 0
	s_mov_b32 s6, -1
.LBB165_35:                             ;   Parent Loop BB165_26 Depth=1
                                        ; =>  This Inner Loop Header: Depth=2
	s_lshl_b32 s31, s31, 3
	s_and_not1_b32 vcc_lo, exec_lo, s6
	v_lshl_add_u32 v0, v128, 5, s31
	v_lshl_add_u32 v16, v130, 5, s31
	s_mov_b32 s31, 2
	s_mov_b32 s6, 0
	ds_load_b128 v[12:15], v0 offset:4096
	ds_load_b128 v[8:11], v0 offset:5120
	;; [unrolled: 1-line block ×20, first 2 shown]
	s_waitcnt lgkmcnt(15)
	v_add_f64 v[168:169], v[14:15], v[146:147]
	v_add_f64 v[170:171], v[12:13], v[144:145]
	s_delay_alu instid0(VALU_DEP_2) | instskip(NEXT) | instid1(VALU_DEP_2)
	v_cvt_f32_f64_e32 v168, v[168:169]
	v_cvt_f32_f64_e32 v170, v[170:171]
	s_delay_alu instid0(VALU_DEP_1) | instskip(SKIP_2) | instid1(VALU_DEP_2)
	v_min3_f32 v137, v170, v168, v137
	v_add_f64 v[168:169], v[10:11], v[146:147]
	v_add_f64 v[170:171], v[8:9], v[144:145]
	v_cvt_f32_f64_e32 v168, v[168:169]
	s_delay_alu instid0(VALU_DEP_2) | instskip(NEXT) | instid1(VALU_DEP_1)
	v_cvt_f32_f64_e32 v170, v[170:171]
	v_min3_f32 v136, v170, v168, v136
	v_add_f64 v[168:169], v[6:7], v[146:147]
	v_add_f64 v[170:171], v[4:5], v[144:145]
	;; [unrolled: 1-line block ×4, first 2 shown]
	s_delay_alu instid0(VALU_DEP_4) | instskip(NEXT) | instid1(VALU_DEP_4)
	v_cvt_f32_f64_e32 v168, v[168:169]
	v_cvt_f32_f64_e32 v170, v[170:171]
	s_delay_alu instid0(VALU_DEP_3) | instskip(SKIP_3) | instid1(VALU_DEP_4)
	v_cvt_f32_f64_e32 v144, v[144:145]
	v_cvt_f32_f64_e32 v145, v[146:147]
	s_waitcnt lgkmcnt(14)
	v_add_f64 v[146:147], v[12:13], v[148:149]
	v_min3_f32 v135, v170, v168, v135
	s_delay_alu instid0(VALU_DEP_3) | instskip(SKIP_1) | instid1(VALU_DEP_4)
	v_min3_f32 v134, v144, v145, v134
	v_add_f64 v[144:145], v[14:15], v[150:151]
	v_cvt_f32_f64_e32 v146, v[146:147]
	s_delay_alu instid0(VALU_DEP_2) | instskip(NEXT) | instid1(VALU_DEP_1)
	v_cvt_f32_f64_e32 v144, v[144:145]
	v_min3_f32 v133, v146, v144, v133
	v_add_f64 v[144:145], v[10:11], v[150:151]
	v_add_f64 v[146:147], v[8:9], v[148:149]
	s_delay_alu instid0(VALU_DEP_2) | instskip(NEXT) | instid1(VALU_DEP_2)
	v_cvt_f32_f64_e32 v144, v[144:145]
	v_cvt_f32_f64_e32 v146, v[146:147]
	s_delay_alu instid0(VALU_DEP_1) | instskip(SKIP_2) | instid1(VALU_DEP_2)
	v_min3_f32 v132, v146, v144, v132
	v_add_f64 v[144:145], v[6:7], v[150:151]
	v_add_f64 v[146:147], v[4:5], v[148:149]
	v_cvt_f32_f64_e32 v144, v[144:145]
	s_delay_alu instid0(VALU_DEP_2) | instskip(NEXT) | instid1(VALU_DEP_1)
	v_cvt_f32_f64_e32 v146, v[146:147]
	v_min3_f32 v131, v146, v144, v131
	v_add_f64 v[144:145], v[2:3], v[150:151]
	v_add_f64 v[146:147], v[0:1], v[148:149]
	s_delay_alu instid0(VALU_DEP_2) | instskip(NEXT) | instid1(VALU_DEP_2)
	v_cvt_f32_f64_e32 v144, v[144:145]
	v_cvt_f32_f64_e32 v146, v[146:147]
	s_delay_alu instid0(VALU_DEP_1) | instskip(SKIP_3) | instid1(VALU_DEP_2)
	v_min3_f32 v129, v146, v144, v129
	s_waitcnt lgkmcnt(13)
	v_add_f64 v[144:145], v[14:15], v[154:155]
	v_add_f64 v[146:147], v[12:13], v[152:153]
	v_cvt_f32_f64_e32 v144, v[144:145]
	s_delay_alu instid0(VALU_DEP_2) | instskip(NEXT) | instid1(VALU_DEP_1)
	v_cvt_f32_f64_e32 v146, v[146:147]
	v_min3_f32 v127, v146, v144, v127
	v_add_f64 v[144:145], v[10:11], v[154:155]
	v_add_f64 v[146:147], v[8:9], v[152:153]
	s_delay_alu instid0(VALU_DEP_2) | instskip(NEXT) | instid1(VALU_DEP_2)
	v_cvt_f32_f64_e32 v144, v[144:145]
	v_cvt_f32_f64_e32 v146, v[146:147]
	s_delay_alu instid0(VALU_DEP_1) | instskip(SKIP_2) | instid1(VALU_DEP_2)
	v_min3_f32 v126, v146, v144, v126
	v_add_f64 v[144:145], v[6:7], v[154:155]
	v_add_f64 v[146:147], v[4:5], v[152:153]
	v_cvt_f32_f64_e32 v144, v[144:145]
	s_delay_alu instid0(VALU_DEP_2) | instskip(NEXT) | instid1(VALU_DEP_1)
	v_cvt_f32_f64_e32 v146, v[146:147]
	v_min3_f32 v125, v146, v144, v125
	v_add_f64 v[144:145], v[2:3], v[154:155]
	v_add_f64 v[146:147], v[0:1], v[152:153]
	s_delay_alu instid0(VALU_DEP_2) | instskip(NEXT) | instid1(VALU_DEP_2)
	v_cvt_f32_f64_e32 v144, v[144:145]
	v_cvt_f32_f64_e32 v146, v[146:147]
	s_delay_alu instid0(VALU_DEP_1) | instskip(SKIP_3) | instid1(VALU_DEP_2)
	v_min3_f32 v124, v146, v144, v124
	s_waitcnt lgkmcnt(12)
	v_add_f64 v[144:145], v[14:15], v[158:159]
	;; [unrolled: 27-line block ×5, first 2 shown]
	v_add_f64 v[146:147], v[12:13], v[52:53]
	v_cvt_f32_f64_e32 v144, v[144:145]
	s_delay_alu instid0(VALU_DEP_2) | instskip(NEXT) | instid1(VALU_DEP_1)
	v_cvt_f32_f64_e32 v146, v[146:147]
	v_min3_f32 v111, v146, v144, v111
	v_add_f64 v[144:145], v[10:11], v[54:55]
	v_add_f64 v[146:147], v[8:9], v[52:53]
	s_delay_alu instid0(VALU_DEP_2) | instskip(NEXT) | instid1(VALU_DEP_2)
	v_cvt_f32_f64_e32 v144, v[144:145]
	v_cvt_f32_f64_e32 v146, v[146:147]
	s_delay_alu instid0(VALU_DEP_1) | instskip(SKIP_4) | instid1(VALU_DEP_4)
	v_min3_f32 v110, v146, v144, v110
	v_add_f64 v[144:145], v[6:7], v[54:55]
	v_add_f64 v[146:147], v[4:5], v[52:53]
	v_add_f64 v[54:55], v[2:3], v[54:55]
	v_add_f64 v[52:53], v[0:1], v[52:53]
	v_cvt_f32_f64_e32 v144, v[144:145]
	s_delay_alu instid0(VALU_DEP_4) | instskip(NEXT) | instid1(VALU_DEP_3)
	v_cvt_f32_f64_e32 v146, v[146:147]
	v_cvt_f32_f64_e32 v52, v[52:53]
	v_cvt_f32_f64_e32 v53, v[54:55]
	s_waitcnt lgkmcnt(8)
	v_add_f64 v[54:55], v[12:13], v[48:49]
	s_delay_alu instid0(VALU_DEP_4) | instskip(NEXT) | instid1(VALU_DEP_3)
	v_min3_f32 v109, v146, v144, v109
	v_min3_f32 v108, v52, v53, v108
	v_add_f64 v[52:53], v[14:15], v[50:51]
	s_delay_alu instid0(VALU_DEP_4) | instskip(NEXT) | instid1(VALU_DEP_2)
	v_cvt_f32_f64_e32 v54, v[54:55]
	v_cvt_f32_f64_e32 v52, v[52:53]
	s_delay_alu instid0(VALU_DEP_1) | instskip(SKIP_2) | instid1(VALU_DEP_2)
	v_min3_f32 v107, v54, v52, v107
	v_add_f64 v[52:53], v[10:11], v[50:51]
	v_add_f64 v[54:55], v[8:9], v[48:49]
	v_cvt_f32_f64_e32 v52, v[52:53]
	s_delay_alu instid0(VALU_DEP_2) | instskip(NEXT) | instid1(VALU_DEP_1)
	v_cvt_f32_f64_e32 v54, v[54:55]
	v_min3_f32 v106, v54, v52, v106
	v_add_f64 v[52:53], v[6:7], v[50:51]
	v_add_f64 v[54:55], v[4:5], v[48:49]
	v_add_f64 v[50:51], v[2:3], v[50:51]
	v_add_f64 v[48:49], v[0:1], v[48:49]
	s_delay_alu instid0(VALU_DEP_4) | instskip(NEXT) | instid1(VALU_DEP_4)
	v_cvt_f32_f64_e32 v52, v[52:53]
	v_cvt_f32_f64_e32 v54, v[54:55]
	s_delay_alu instid0(VALU_DEP_3) | instskip(SKIP_3) | instid1(VALU_DEP_4)
	v_cvt_f32_f64_e32 v48, v[48:49]
	v_cvt_f32_f64_e32 v49, v[50:51]
	s_waitcnt lgkmcnt(7)
	v_add_f64 v[50:51], v[12:13], v[44:45]
	v_min3_f32 v105, v54, v52, v105
	s_delay_alu instid0(VALU_DEP_3) | instskip(SKIP_1) | instid1(VALU_DEP_4)
	v_min3_f32 v104, v48, v49, v104
	v_add_f64 v[48:49], v[14:15], v[46:47]
	v_cvt_f32_f64_e32 v50, v[50:51]
	s_delay_alu instid0(VALU_DEP_2) | instskip(NEXT) | instid1(VALU_DEP_1)
	v_cvt_f32_f64_e32 v48, v[48:49]
	v_min3_f32 v103, v50, v48, v103
	v_add_f64 v[48:49], v[10:11], v[46:47]
	v_add_f64 v[50:51], v[8:9], v[44:45]
	s_delay_alu instid0(VALU_DEP_2) | instskip(NEXT) | instid1(VALU_DEP_2)
	v_cvt_f32_f64_e32 v48, v[48:49]
	v_cvt_f32_f64_e32 v50, v[50:51]
	s_delay_alu instid0(VALU_DEP_1) | instskip(SKIP_4) | instid1(VALU_DEP_4)
	v_min3_f32 v102, v50, v48, v102
	v_add_f64 v[48:49], v[6:7], v[46:47]
	v_add_f64 v[50:51], v[4:5], v[44:45]
	v_add_f64 v[46:47], v[2:3], v[46:47]
	v_add_f64 v[44:45], v[0:1], v[44:45]
	v_cvt_f32_f64_e32 v48, v[48:49]
	s_delay_alu instid0(VALU_DEP_4) | instskip(NEXT) | instid1(VALU_DEP_3)
	v_cvt_f32_f64_e32 v50, v[50:51]
	v_cvt_f32_f64_e32 v44, v[44:45]
	v_cvt_f32_f64_e32 v45, v[46:47]
	s_waitcnt lgkmcnt(6)
	v_add_f64 v[46:47], v[12:13], v[40:41]
	s_delay_alu instid0(VALU_DEP_4) | instskip(NEXT) | instid1(VALU_DEP_3)
	v_min3_f32 v101, v50, v48, v101
	v_min3_f32 v100, v44, v45, v100
	v_add_f64 v[44:45], v[14:15], v[42:43]
	s_delay_alu instid0(VALU_DEP_4) | instskip(NEXT) | instid1(VALU_DEP_2)
	v_cvt_f32_f64_e32 v46, v[46:47]
	v_cvt_f32_f64_e32 v44, v[44:45]
	s_delay_alu instid0(VALU_DEP_1) | instskip(SKIP_2) | instid1(VALU_DEP_2)
	v_min3_f32 v99, v46, v44, v99
	v_add_f64 v[44:45], v[10:11], v[42:43]
	v_add_f64 v[46:47], v[8:9], v[40:41]
	v_cvt_f32_f64_e32 v44, v[44:45]
	s_delay_alu instid0(VALU_DEP_2) | instskip(NEXT) | instid1(VALU_DEP_1)
	v_cvt_f32_f64_e32 v46, v[46:47]
	v_min3_f32 v98, v46, v44, v98
	v_add_f64 v[44:45], v[6:7], v[42:43]
	v_add_f64 v[46:47], v[4:5], v[40:41]
	v_add_f64 v[42:43], v[2:3], v[42:43]
	v_add_f64 v[40:41], v[0:1], v[40:41]
	s_delay_alu instid0(VALU_DEP_4) | instskip(NEXT) | instid1(VALU_DEP_4)
	v_cvt_f32_f64_e32 v44, v[44:45]
	v_cvt_f32_f64_e32 v46, v[46:47]
	s_delay_alu instid0(VALU_DEP_3) | instskip(SKIP_3) | instid1(VALU_DEP_4)
	v_cvt_f32_f64_e32 v40, v[40:41]
	v_cvt_f32_f64_e32 v41, v[42:43]
	s_waitcnt lgkmcnt(5)
	v_add_f64 v[42:43], v[12:13], v[36:37]
	v_min3_f32 v97, v46, v44, v97
	s_delay_alu instid0(VALU_DEP_3) | instskip(SKIP_1) | instid1(VALU_DEP_4)
	v_min3_f32 v96, v40, v41, v96
	;; [unrolled: 53-line block ×3, first 2 shown]
	v_add_f64 v[32:33], v[14:15], v[30:31]
	v_cvt_f32_f64_e32 v34, v[34:35]
	s_delay_alu instid0(VALU_DEP_2) | instskip(NEXT) | instid1(VALU_DEP_1)
	v_cvt_f32_f64_e32 v32, v[32:33]
	v_min3_f32 v87, v34, v32, v87
	v_add_f64 v[32:33], v[10:11], v[30:31]
	v_add_f64 v[34:35], v[8:9], v[28:29]
	s_delay_alu instid0(VALU_DEP_2) | instskip(NEXT) | instid1(VALU_DEP_2)
	v_cvt_f32_f64_e32 v32, v[32:33]
	v_cvt_f32_f64_e32 v34, v[34:35]
	s_delay_alu instid0(VALU_DEP_1) | instskip(SKIP_4) | instid1(VALU_DEP_4)
	v_min3_f32 v86, v34, v32, v86
	v_add_f64 v[32:33], v[6:7], v[30:31]
	v_add_f64 v[34:35], v[4:5], v[28:29]
	;; [unrolled: 1-line block ×4, first 2 shown]
	v_cvt_f32_f64_e32 v32, v[32:33]
	s_delay_alu instid0(VALU_DEP_4) | instskip(NEXT) | instid1(VALU_DEP_3)
	v_cvt_f32_f64_e32 v34, v[34:35]
	v_cvt_f32_f64_e32 v28, v[28:29]
	;; [unrolled: 1-line block ×3, first 2 shown]
	s_waitcnt lgkmcnt(2)
	v_add_f64 v[30:31], v[12:13], v[24:25]
	s_delay_alu instid0(VALU_DEP_4) | instskip(NEXT) | instid1(VALU_DEP_3)
	v_min3_f32 v85, v34, v32, v85
	v_min3_f32 v84, v28, v29, v84
	v_add_f64 v[28:29], v[14:15], v[26:27]
	s_delay_alu instid0(VALU_DEP_4) | instskip(NEXT) | instid1(VALU_DEP_2)
	v_cvt_f32_f64_e32 v30, v[30:31]
	v_cvt_f32_f64_e32 v28, v[28:29]
	s_delay_alu instid0(VALU_DEP_1) | instskip(SKIP_2) | instid1(VALU_DEP_2)
	v_min3_f32 v83, v30, v28, v83
	v_add_f64 v[28:29], v[10:11], v[26:27]
	v_add_f64 v[30:31], v[8:9], v[24:25]
	v_cvt_f32_f64_e32 v28, v[28:29]
	s_delay_alu instid0(VALU_DEP_2) | instskip(NEXT) | instid1(VALU_DEP_1)
	v_cvt_f32_f64_e32 v30, v[30:31]
	v_min3_f32 v82, v30, v28, v82
	v_add_f64 v[28:29], v[6:7], v[26:27]
	v_add_f64 v[30:31], v[4:5], v[24:25]
	;; [unrolled: 1-line block ×4, first 2 shown]
	s_delay_alu instid0(VALU_DEP_4) | instskip(NEXT) | instid1(VALU_DEP_4)
	v_cvt_f32_f64_e32 v28, v[28:29]
	v_cvt_f32_f64_e32 v30, v[30:31]
	s_delay_alu instid0(VALU_DEP_3)
	v_cvt_f32_f64_e32 v24, v[24:25]
	v_cvt_f32_f64_e32 v25, v[26:27]
	s_waitcnt lgkmcnt(1)
	v_add_f64 v[26:27], v[12:13], v[20:21]
	s_waitcnt lgkmcnt(0)
	v_add_f64 v[12:13], v[12:13], v[16:17]
	v_min3_f32 v81, v30, v28, v81
	s_delay_alu instid0(VALU_DEP_4) | instskip(SKIP_4) | instid1(VALU_DEP_4)
	v_min3_f32 v80, v24, v25, v80
	v_add_f64 v[24:25], v[14:15], v[22:23]
	v_cvt_f32_f64_e32 v26, v[26:27]
	v_add_f64 v[14:15], v[14:15], v[18:19]
	v_cvt_f32_f64_e32 v12, v[12:13]
	v_cvt_f32_f64_e32 v24, v[24:25]
	s_delay_alu instid0(VALU_DEP_3) | instskip(NEXT) | instid1(VALU_DEP_2)
	v_cvt_f32_f64_e32 v13, v[14:15]
	v_min3_f32 v79, v26, v24, v79
	v_add_f64 v[24:25], v[10:11], v[22:23]
	v_add_f64 v[26:27], v[8:9], v[20:21]
	v_add_f64 v[10:11], v[10:11], v[18:19]
	v_add_f64 v[8:9], v[8:9], v[16:17]
	v_min3_f32 v75, v12, v13, v75
	v_cvt_f32_f64_e32 v24, v[24:25]
	v_cvt_f32_f64_e32 v26, v[26:27]
	s_delay_alu instid0(VALU_DEP_4) | instskip(SKIP_1) | instid1(VALU_DEP_3)
	v_cvt_f32_f64_e32 v8, v[8:9]
	v_cvt_f32_f64_e32 v9, v[10:11]
	v_min3_f32 v78, v26, v24, v78
	v_add_f64 v[24:25], v[6:7], v[22:23]
	v_add_f64 v[26:27], v[4:5], v[20:21]
	;; [unrolled: 1-line block ×8, first 2 shown]
	v_min3_f32 v74, v8, v9, v74
	v_cvt_f32_f64_e32 v24, v[24:25]
	v_cvt_f32_f64_e32 v26, v[26:27]
	;; [unrolled: 1-line block ×8, first 2 shown]
	v_min3_f32 v77, v26, v24, v77
	v_min3_f32 v76, v20, v21, v76
	;; [unrolled: 1-line block ×3, first 2 shown]
	s_delay_alu instid0(VALU_DEP_4)
	v_min3_f32 v72, v0, v1, v72
	s_cbranch_vccz .LBB165_35
; %bb.36:                               ;   in Loop: Header=BB165_26 Depth=1
	v_or_b32_e32 v2, 4, v143
	ds_store_2addr_stride64_b64 v139, v[64:65], v[66:67] offset1:4
	ds_store_2addr_stride64_b64 v140, v[68:69], v[70:71] offset1:4
	s_waitcnt lgkmcnt(0)
	s_barrier
	v_min_i32_e32 v0, s16, v2
	v_cmp_le_i32_e32 vcc_lo, s10, v2
	buffer_gl0_inv
	v_ashrrev_i32_e32 v1, 31, v0
	s_or_b32 s31, s2, vcc_lo
	s_delay_alu instid0(SALU_CYCLE_1) | instskip(SKIP_1) | instid1(VALU_DEP_3)
	v_cndmask_b32_e64 v65, 0, 0x7fefffff, s31
	v_cndmask_b32_e64 v64, 0, -1, s31
	v_lshlrev_b64 v[0:1], 3, v[0:1]
	s_delay_alu instid0(VALU_DEP_1) | instskip(NEXT) | instid1(VALU_DEP_1)
	v_add_co_u32 v2, s6, s28, v0
	v_add_co_ci_u32_e64 v3, s6, s29, v1, s6
	s_or_b32 s6, s15, s31
	s_delay_alu instid0(SALU_CYCLE_1) | instskip(NEXT) | instid1(SALU_CYCLE_1)
	s_xor_b32 s6, s6, -1
	s_and_saveexec_b32 s31, s6
	s_cbranch_execz .LBB165_38
; %bb.37:                               ;   in Loop: Header=BB165_26 Depth=1
	v_add_co_u32 v4, s6, v2, v56
	s_delay_alu instid0(VALU_DEP_1)
	v_add_co_ci_u32_e64 v5, s6, v3, v57, s6
	flat_load_b64 v[4:5], v[4:5]
	s_waitcnt vmcnt(0) lgkmcnt(0)
	v_mul_f64 v[64:65], s[24:25], v[4:5]
.LBB165_38:                             ;   in Loop: Header=BB165_26 Depth=1
	s_or_b32 exec_lo, exec_lo, s31
	s_or_b32 s6, s3, vcc_lo
	s_delay_alu instid0(SALU_CYCLE_1) | instskip(SKIP_2) | instid1(SALU_CYCLE_1)
	v_cndmask_b32_e64 v67, 0, 0x7fefffff, s6
	v_cndmask_b32_e64 v66, 0, -1, s6
	s_or_b32 s6, s15, s6
	s_xor_b32 s6, s6, -1
	s_delay_alu instid0(SALU_CYCLE_1)
	s_and_saveexec_b32 s31, s6
	s_cbranch_execz .LBB165_40
; %bb.39:                               ;   in Loop: Header=BB165_26 Depth=1
	v_add_co_u32 v2, s6, v2, v58
	s_delay_alu instid0(VALU_DEP_1)
	v_add_co_ci_u32_e64 v3, s6, v3, v59, s6
	flat_load_b64 v[2:3], v[2:3]
	s_waitcnt vmcnt(0) lgkmcnt(0)
	v_mul_f64 v[66:67], s[24:25], v[2:3]
.LBB165_40:                             ;   in Loop: Header=BB165_26 Depth=1
	s_or_b32 exec_lo, exec_lo, s31
	v_add_co_u32 v0, s6, s26, v0
	s_delay_alu instid0(VALU_DEP_1) | instskip(SKIP_1) | instid1(SALU_CYCLE_1)
	v_add_co_ci_u32_e64 v1, s6, s27, v1, s6
	s_or_b32 s6, s4, vcc_lo
	v_cndmask_b32_e64 v69, 0, 0x7fefffff, s6
	v_cndmask_b32_e64 v68, 0, -1, s6
	s_or_b32 s6, s15, s6
	s_delay_alu instid0(SALU_CYCLE_1) | instskip(NEXT) | instid1(SALU_CYCLE_1)
	s_xor_b32 s6, s6, -1
	s_and_saveexec_b32 s31, s6
	s_cbranch_execz .LBB165_42
; %bb.41:                               ;   in Loop: Header=BB165_26 Depth=1
	v_add_co_u32 v2, s6, v0, v60
	s_delay_alu instid0(VALU_DEP_1)
	v_add_co_ci_u32_e64 v3, s6, v1, v61, s6
	flat_load_b64 v[2:3], v[2:3]
	s_waitcnt vmcnt(0) lgkmcnt(0)
	v_mul_f64 v[68:69], s[24:25], v[2:3]
.LBB165_42:                             ;   in Loop: Header=BB165_26 Depth=1
	s_or_b32 exec_lo, exec_lo, s31
	s_or_b32 s6, s5, vcc_lo
	s_delay_alu instid0(SALU_CYCLE_1) | instskip(SKIP_2) | instid1(SALU_CYCLE_1)
	v_cndmask_b32_e64 v71, 0, 0x7fefffff, s6
	v_cndmask_b32_e64 v70, 0, -1, s6
	s_or_b32 s6, s15, s6
	s_xor_b32 s31, s6, -1
	s_delay_alu instid0(SALU_CYCLE_1)
	s_and_saveexec_b32 s6, s31
	s_cbranch_execz .LBB165_44
; %bb.43:                               ;   in Loop: Header=BB165_26 Depth=1
	v_add_co_u32 v0, vcc_lo, v0, v62
	v_add_co_ci_u32_e32 v1, vcc_lo, v1, v63, vcc_lo
	flat_load_b64 v[0:1], v[0:1]
	s_waitcnt vmcnt(0) lgkmcnt(0)
	v_mul_f64 v[70:71], s[24:25], v[0:1]
.LBB165_44:                             ;   in Loop: Header=BB165_26 Depth=1
	s_or_b32 exec_lo, exec_lo, s6
	s_mov_b32 s31, 0
	s_mov_b32 s6, -1
.LBB165_45:                             ;   Parent Loop BB165_26 Depth=1
                                        ; =>  This Inner Loop Header: Depth=2
	s_lshl_b32 s31, s31, 3
	s_and_not1_b32 vcc_lo, exec_lo, s6
	v_lshl_add_u32 v0, v128, 5, s31
	v_lshl_add_u32 v16, v130, 5, s31
	s_mov_b32 s31, 2
	s_mov_b32 s6, 0
	ds_load_b128 v[12:15], v0
	ds_load_b128 v[8:11], v0 offset:1024
	ds_load_b128 v[4:7], v0 offset:2048
	;; [unrolled: 1-line block ×19, first 2 shown]
	s_waitcnt lgkmcnt(15)
	v_add_f64 v[167:168], v[14:15], v[145:146]
	v_add_f64 v[169:170], v[12:13], v[143:144]
	s_delay_alu instid0(VALU_DEP_2) | instskip(NEXT) | instid1(VALU_DEP_2)
	v_cvt_f32_f64_e32 v167, v[167:168]
	v_cvt_f32_f64_e32 v169, v[169:170]
	s_delay_alu instid0(VALU_DEP_1) | instskip(SKIP_2) | instid1(VALU_DEP_2)
	v_min3_f32 v137, v169, v167, v137
	v_add_f64 v[167:168], v[10:11], v[145:146]
	v_add_f64 v[169:170], v[8:9], v[143:144]
	v_cvt_f32_f64_e32 v167, v[167:168]
	s_delay_alu instid0(VALU_DEP_2) | instskip(NEXT) | instid1(VALU_DEP_1)
	v_cvt_f32_f64_e32 v169, v[169:170]
	v_min3_f32 v136, v169, v167, v136
	v_add_f64 v[167:168], v[6:7], v[145:146]
	v_add_f64 v[169:170], v[4:5], v[143:144]
	;; [unrolled: 1-line block ×4, first 2 shown]
	s_delay_alu instid0(VALU_DEP_4) | instskip(NEXT) | instid1(VALU_DEP_4)
	v_cvt_f32_f64_e32 v167, v[167:168]
	v_cvt_f32_f64_e32 v169, v[169:170]
	s_delay_alu instid0(VALU_DEP_3) | instskip(SKIP_3) | instid1(VALU_DEP_4)
	v_cvt_f32_f64_e32 v143, v[143:144]
	v_cvt_f32_f64_e32 v144, v[145:146]
	s_waitcnt lgkmcnt(14)
	v_add_f64 v[145:146], v[12:13], v[147:148]
	v_min3_f32 v135, v169, v167, v135
	s_delay_alu instid0(VALU_DEP_3) | instskip(SKIP_1) | instid1(VALU_DEP_4)
	v_min3_f32 v134, v143, v144, v134
	v_add_f64 v[143:144], v[14:15], v[149:150]
	v_cvt_f32_f64_e32 v145, v[145:146]
	s_delay_alu instid0(VALU_DEP_2) | instskip(NEXT) | instid1(VALU_DEP_1)
	v_cvt_f32_f64_e32 v143, v[143:144]
	v_min3_f32 v133, v145, v143, v133
	v_add_f64 v[143:144], v[10:11], v[149:150]
	v_add_f64 v[145:146], v[8:9], v[147:148]
	s_delay_alu instid0(VALU_DEP_2) | instskip(NEXT) | instid1(VALU_DEP_2)
	v_cvt_f32_f64_e32 v143, v[143:144]
	v_cvt_f32_f64_e32 v145, v[145:146]
	s_delay_alu instid0(VALU_DEP_1) | instskip(SKIP_2) | instid1(VALU_DEP_2)
	v_min3_f32 v132, v145, v143, v132
	v_add_f64 v[143:144], v[6:7], v[149:150]
	v_add_f64 v[145:146], v[4:5], v[147:148]
	v_cvt_f32_f64_e32 v143, v[143:144]
	s_delay_alu instid0(VALU_DEP_2) | instskip(NEXT) | instid1(VALU_DEP_1)
	v_cvt_f32_f64_e32 v145, v[145:146]
	v_min3_f32 v131, v145, v143, v131
	v_add_f64 v[143:144], v[2:3], v[149:150]
	v_add_f64 v[145:146], v[0:1], v[147:148]
	s_delay_alu instid0(VALU_DEP_2) | instskip(NEXT) | instid1(VALU_DEP_2)
	v_cvt_f32_f64_e32 v143, v[143:144]
	v_cvt_f32_f64_e32 v145, v[145:146]
	s_delay_alu instid0(VALU_DEP_1) | instskip(SKIP_3) | instid1(VALU_DEP_2)
	v_min3_f32 v129, v145, v143, v129
	s_waitcnt lgkmcnt(13)
	v_add_f64 v[143:144], v[14:15], v[153:154]
	v_add_f64 v[145:146], v[12:13], v[151:152]
	v_cvt_f32_f64_e32 v143, v[143:144]
	s_delay_alu instid0(VALU_DEP_2) | instskip(NEXT) | instid1(VALU_DEP_1)
	v_cvt_f32_f64_e32 v145, v[145:146]
	v_min3_f32 v127, v145, v143, v127
	v_add_f64 v[143:144], v[10:11], v[153:154]
	v_add_f64 v[145:146], v[8:9], v[151:152]
	s_delay_alu instid0(VALU_DEP_2) | instskip(NEXT) | instid1(VALU_DEP_2)
	v_cvt_f32_f64_e32 v143, v[143:144]
	v_cvt_f32_f64_e32 v145, v[145:146]
	s_delay_alu instid0(VALU_DEP_1) | instskip(SKIP_2) | instid1(VALU_DEP_2)
	v_min3_f32 v126, v145, v143, v126
	v_add_f64 v[143:144], v[6:7], v[153:154]
	v_add_f64 v[145:146], v[4:5], v[151:152]
	v_cvt_f32_f64_e32 v143, v[143:144]
	s_delay_alu instid0(VALU_DEP_2) | instskip(NEXT) | instid1(VALU_DEP_1)
	v_cvt_f32_f64_e32 v145, v[145:146]
	v_min3_f32 v125, v145, v143, v125
	v_add_f64 v[143:144], v[2:3], v[153:154]
	v_add_f64 v[145:146], v[0:1], v[151:152]
	s_delay_alu instid0(VALU_DEP_2) | instskip(NEXT) | instid1(VALU_DEP_2)
	v_cvt_f32_f64_e32 v143, v[143:144]
	v_cvt_f32_f64_e32 v145, v[145:146]
	s_delay_alu instid0(VALU_DEP_1) | instskip(SKIP_3) | instid1(VALU_DEP_2)
	v_min3_f32 v124, v145, v143, v124
	s_waitcnt lgkmcnt(12)
	v_add_f64 v[143:144], v[14:15], v[157:158]
	;; [unrolled: 27-line block ×5, first 2 shown]
	v_add_f64 v[145:146], v[12:13], v[52:53]
	v_cvt_f32_f64_e32 v143, v[143:144]
	s_delay_alu instid0(VALU_DEP_2) | instskip(NEXT) | instid1(VALU_DEP_1)
	v_cvt_f32_f64_e32 v145, v[145:146]
	v_min3_f32 v111, v145, v143, v111
	v_add_f64 v[143:144], v[10:11], v[54:55]
	v_add_f64 v[145:146], v[8:9], v[52:53]
	s_delay_alu instid0(VALU_DEP_2) | instskip(NEXT) | instid1(VALU_DEP_2)
	v_cvt_f32_f64_e32 v143, v[143:144]
	v_cvt_f32_f64_e32 v145, v[145:146]
	s_delay_alu instid0(VALU_DEP_1) | instskip(SKIP_4) | instid1(VALU_DEP_4)
	v_min3_f32 v110, v145, v143, v110
	v_add_f64 v[143:144], v[6:7], v[54:55]
	v_add_f64 v[145:146], v[4:5], v[52:53]
	v_add_f64 v[54:55], v[2:3], v[54:55]
	v_add_f64 v[52:53], v[0:1], v[52:53]
	v_cvt_f32_f64_e32 v143, v[143:144]
	s_delay_alu instid0(VALU_DEP_4) | instskip(NEXT) | instid1(VALU_DEP_3)
	v_cvt_f32_f64_e32 v145, v[145:146]
	v_cvt_f32_f64_e32 v52, v[52:53]
	v_cvt_f32_f64_e32 v53, v[54:55]
	s_waitcnt lgkmcnt(8)
	v_add_f64 v[54:55], v[12:13], v[48:49]
	s_delay_alu instid0(VALU_DEP_4) | instskip(NEXT) | instid1(VALU_DEP_3)
	v_min3_f32 v109, v145, v143, v109
	v_min3_f32 v108, v52, v53, v108
	v_add_f64 v[52:53], v[14:15], v[50:51]
	s_delay_alu instid0(VALU_DEP_4) | instskip(NEXT) | instid1(VALU_DEP_2)
	v_cvt_f32_f64_e32 v54, v[54:55]
	v_cvt_f32_f64_e32 v52, v[52:53]
	s_delay_alu instid0(VALU_DEP_1) | instskip(SKIP_2) | instid1(VALU_DEP_2)
	v_min3_f32 v107, v54, v52, v107
	v_add_f64 v[52:53], v[10:11], v[50:51]
	v_add_f64 v[54:55], v[8:9], v[48:49]
	v_cvt_f32_f64_e32 v52, v[52:53]
	s_delay_alu instid0(VALU_DEP_2) | instskip(NEXT) | instid1(VALU_DEP_1)
	v_cvt_f32_f64_e32 v54, v[54:55]
	v_min3_f32 v106, v54, v52, v106
	v_add_f64 v[52:53], v[6:7], v[50:51]
	v_add_f64 v[54:55], v[4:5], v[48:49]
	v_add_f64 v[50:51], v[2:3], v[50:51]
	v_add_f64 v[48:49], v[0:1], v[48:49]
	s_delay_alu instid0(VALU_DEP_4) | instskip(NEXT) | instid1(VALU_DEP_4)
	v_cvt_f32_f64_e32 v52, v[52:53]
	v_cvt_f32_f64_e32 v54, v[54:55]
	s_delay_alu instid0(VALU_DEP_3) | instskip(SKIP_3) | instid1(VALU_DEP_4)
	v_cvt_f32_f64_e32 v48, v[48:49]
	v_cvt_f32_f64_e32 v49, v[50:51]
	s_waitcnt lgkmcnt(7)
	v_add_f64 v[50:51], v[12:13], v[44:45]
	v_min3_f32 v105, v54, v52, v105
	s_delay_alu instid0(VALU_DEP_3) | instskip(SKIP_1) | instid1(VALU_DEP_4)
	v_min3_f32 v104, v48, v49, v104
	v_add_f64 v[48:49], v[14:15], v[46:47]
	v_cvt_f32_f64_e32 v50, v[50:51]
	s_delay_alu instid0(VALU_DEP_2) | instskip(NEXT) | instid1(VALU_DEP_1)
	v_cvt_f32_f64_e32 v48, v[48:49]
	v_min3_f32 v103, v50, v48, v103
	v_add_f64 v[48:49], v[10:11], v[46:47]
	v_add_f64 v[50:51], v[8:9], v[44:45]
	s_delay_alu instid0(VALU_DEP_2) | instskip(NEXT) | instid1(VALU_DEP_2)
	v_cvt_f32_f64_e32 v48, v[48:49]
	v_cvt_f32_f64_e32 v50, v[50:51]
	s_delay_alu instid0(VALU_DEP_1) | instskip(SKIP_4) | instid1(VALU_DEP_4)
	v_min3_f32 v102, v50, v48, v102
	v_add_f64 v[48:49], v[6:7], v[46:47]
	v_add_f64 v[50:51], v[4:5], v[44:45]
	v_add_f64 v[46:47], v[2:3], v[46:47]
	v_add_f64 v[44:45], v[0:1], v[44:45]
	v_cvt_f32_f64_e32 v48, v[48:49]
	s_delay_alu instid0(VALU_DEP_4) | instskip(NEXT) | instid1(VALU_DEP_3)
	v_cvt_f32_f64_e32 v50, v[50:51]
	v_cvt_f32_f64_e32 v44, v[44:45]
	v_cvt_f32_f64_e32 v45, v[46:47]
	s_waitcnt lgkmcnt(6)
	v_add_f64 v[46:47], v[12:13], v[40:41]
	s_delay_alu instid0(VALU_DEP_4) | instskip(NEXT) | instid1(VALU_DEP_3)
	v_min3_f32 v101, v50, v48, v101
	v_min3_f32 v100, v44, v45, v100
	v_add_f64 v[44:45], v[14:15], v[42:43]
	s_delay_alu instid0(VALU_DEP_4) | instskip(NEXT) | instid1(VALU_DEP_2)
	v_cvt_f32_f64_e32 v46, v[46:47]
	v_cvt_f32_f64_e32 v44, v[44:45]
	s_delay_alu instid0(VALU_DEP_1) | instskip(SKIP_2) | instid1(VALU_DEP_2)
	v_min3_f32 v99, v46, v44, v99
	v_add_f64 v[44:45], v[10:11], v[42:43]
	v_add_f64 v[46:47], v[8:9], v[40:41]
	v_cvt_f32_f64_e32 v44, v[44:45]
	s_delay_alu instid0(VALU_DEP_2) | instskip(NEXT) | instid1(VALU_DEP_1)
	v_cvt_f32_f64_e32 v46, v[46:47]
	v_min3_f32 v98, v46, v44, v98
	v_add_f64 v[44:45], v[6:7], v[42:43]
	v_add_f64 v[46:47], v[4:5], v[40:41]
	v_add_f64 v[42:43], v[2:3], v[42:43]
	v_add_f64 v[40:41], v[0:1], v[40:41]
	s_delay_alu instid0(VALU_DEP_4) | instskip(NEXT) | instid1(VALU_DEP_4)
	v_cvt_f32_f64_e32 v44, v[44:45]
	v_cvt_f32_f64_e32 v46, v[46:47]
	s_delay_alu instid0(VALU_DEP_3) | instskip(SKIP_3) | instid1(VALU_DEP_4)
	v_cvt_f32_f64_e32 v40, v[40:41]
	v_cvt_f32_f64_e32 v41, v[42:43]
	s_waitcnt lgkmcnt(5)
	v_add_f64 v[42:43], v[12:13], v[36:37]
	v_min3_f32 v97, v46, v44, v97
	s_delay_alu instid0(VALU_DEP_3) | instskip(SKIP_1) | instid1(VALU_DEP_4)
	v_min3_f32 v96, v40, v41, v96
	;; [unrolled: 53-line block ×3, first 2 shown]
	v_add_f64 v[32:33], v[14:15], v[30:31]
	v_cvt_f32_f64_e32 v34, v[34:35]
	s_delay_alu instid0(VALU_DEP_2) | instskip(NEXT) | instid1(VALU_DEP_1)
	v_cvt_f32_f64_e32 v32, v[32:33]
	v_min3_f32 v87, v34, v32, v87
	v_add_f64 v[32:33], v[10:11], v[30:31]
	v_add_f64 v[34:35], v[8:9], v[28:29]
	s_delay_alu instid0(VALU_DEP_2) | instskip(NEXT) | instid1(VALU_DEP_2)
	v_cvt_f32_f64_e32 v32, v[32:33]
	v_cvt_f32_f64_e32 v34, v[34:35]
	s_delay_alu instid0(VALU_DEP_1) | instskip(SKIP_4) | instid1(VALU_DEP_4)
	v_min3_f32 v86, v34, v32, v86
	v_add_f64 v[32:33], v[6:7], v[30:31]
	v_add_f64 v[34:35], v[4:5], v[28:29]
	;; [unrolled: 1-line block ×4, first 2 shown]
	v_cvt_f32_f64_e32 v32, v[32:33]
	s_delay_alu instid0(VALU_DEP_4) | instskip(NEXT) | instid1(VALU_DEP_3)
	v_cvt_f32_f64_e32 v34, v[34:35]
	v_cvt_f32_f64_e32 v28, v[28:29]
	;; [unrolled: 1-line block ×3, first 2 shown]
	s_waitcnt lgkmcnt(2)
	v_add_f64 v[30:31], v[12:13], v[24:25]
	s_delay_alu instid0(VALU_DEP_4) | instskip(NEXT) | instid1(VALU_DEP_3)
	v_min3_f32 v85, v34, v32, v85
	v_min3_f32 v84, v28, v29, v84
	v_add_f64 v[28:29], v[14:15], v[26:27]
	s_delay_alu instid0(VALU_DEP_4) | instskip(NEXT) | instid1(VALU_DEP_2)
	v_cvt_f32_f64_e32 v30, v[30:31]
	v_cvt_f32_f64_e32 v28, v[28:29]
	s_delay_alu instid0(VALU_DEP_1) | instskip(SKIP_2) | instid1(VALU_DEP_2)
	v_min3_f32 v83, v30, v28, v83
	v_add_f64 v[28:29], v[10:11], v[26:27]
	v_add_f64 v[30:31], v[8:9], v[24:25]
	v_cvt_f32_f64_e32 v28, v[28:29]
	s_delay_alu instid0(VALU_DEP_2) | instskip(NEXT) | instid1(VALU_DEP_1)
	v_cvt_f32_f64_e32 v30, v[30:31]
	v_min3_f32 v82, v30, v28, v82
	v_add_f64 v[28:29], v[6:7], v[26:27]
	v_add_f64 v[30:31], v[4:5], v[24:25]
	;; [unrolled: 1-line block ×4, first 2 shown]
	s_delay_alu instid0(VALU_DEP_4) | instskip(NEXT) | instid1(VALU_DEP_4)
	v_cvt_f32_f64_e32 v28, v[28:29]
	v_cvt_f32_f64_e32 v30, v[30:31]
	s_delay_alu instid0(VALU_DEP_3)
	v_cvt_f32_f64_e32 v24, v[24:25]
	v_cvt_f32_f64_e32 v25, v[26:27]
	s_waitcnt lgkmcnt(1)
	v_add_f64 v[26:27], v[12:13], v[20:21]
	s_waitcnt lgkmcnt(0)
	v_add_f64 v[12:13], v[12:13], v[16:17]
	v_min3_f32 v81, v30, v28, v81
	s_delay_alu instid0(VALU_DEP_4) | instskip(SKIP_4) | instid1(VALU_DEP_4)
	v_min3_f32 v80, v24, v25, v80
	v_add_f64 v[24:25], v[14:15], v[22:23]
	v_cvt_f32_f64_e32 v26, v[26:27]
	v_add_f64 v[14:15], v[14:15], v[18:19]
	v_cvt_f32_f64_e32 v12, v[12:13]
	v_cvt_f32_f64_e32 v24, v[24:25]
	s_delay_alu instid0(VALU_DEP_3) | instskip(NEXT) | instid1(VALU_DEP_2)
	v_cvt_f32_f64_e32 v13, v[14:15]
	v_min3_f32 v79, v26, v24, v79
	v_add_f64 v[24:25], v[10:11], v[22:23]
	v_add_f64 v[26:27], v[8:9], v[20:21]
	;; [unrolled: 1-line block ×4, first 2 shown]
	v_min3_f32 v75, v12, v13, v75
	v_cvt_f32_f64_e32 v24, v[24:25]
	v_cvt_f32_f64_e32 v26, v[26:27]
	s_delay_alu instid0(VALU_DEP_4) | instskip(SKIP_1) | instid1(VALU_DEP_3)
	v_cvt_f32_f64_e32 v8, v[8:9]
	v_cvt_f32_f64_e32 v9, v[10:11]
	v_min3_f32 v78, v26, v24, v78
	v_add_f64 v[24:25], v[6:7], v[22:23]
	v_add_f64 v[26:27], v[4:5], v[20:21]
	;; [unrolled: 1-line block ×8, first 2 shown]
	v_min3_f32 v74, v8, v9, v74
	v_cvt_f32_f64_e32 v24, v[24:25]
	v_cvt_f32_f64_e32 v26, v[26:27]
	;; [unrolled: 1-line block ×8, first 2 shown]
	v_min3_f32 v77, v26, v24, v77
	v_min3_f32 v76, v20, v21, v76
	;; [unrolled: 1-line block ×3, first 2 shown]
	s_delay_alu instid0(VALU_DEP_4)
	v_min3_f32 v72, v0, v1, v72
	s_cbranch_vccz .LBB165_45
; %bb.46:                               ;   in Loop: Header=BB165_26 Depth=1
	s_add_i32 s30, s30, 8
	s_add_i32 s17, s17, 8
	s_cmp_ge_i32 s30, s23
	ds_store_2addr_stride64_b64 v141, v[64:65], v[66:67] offset1:4
	ds_store_2addr_stride64_b64 v142, v[68:69], v[70:71] offset1:4
	s_waitcnt lgkmcnt(0)
	s_barrier
	buffer_gl0_inv
	s_cbranch_scc0 .LBB165_26
.LBB165_47:
	s_mov_b32 s3, 0
	s_mov_b32 s2, -1
.LBB165_48:                             ; =>This Inner Loop Header: Depth=1
	s_lshl_b32 s3, s3, 3
	s_and_not1_b32 vcc_lo, exec_lo, s2
	v_lshl_add_u32 v0, v128, 5, s3
	v_lshl_add_u32 v16, v130, 5, s3
	s_mov_b32 s3, 2
	s_mov_b32 s2, 0
	ds_load_b128 v[12:15], v0 offset:4096
	ds_load_b128 v[8:11], v0 offset:5120
	;; [unrolled: 1-line block ×20, first 2 shown]
	s_waitcnt lgkmcnt(15)
	v_add_f64 v[146:147], v[14:15], v[58:59]
	v_add_f64 v[148:149], v[12:13], v[56:57]
	s_delay_alu instid0(VALU_DEP_2) | instskip(NEXT) | instid1(VALU_DEP_2)
	v_cvt_f32_f64_e32 v146, v[146:147]
	v_cvt_f32_f64_e32 v148, v[148:149]
	s_delay_alu instid0(VALU_DEP_1) | instskip(SKIP_2) | instid1(VALU_DEP_2)
	v_min3_f32 v137, v148, v146, v137
	v_add_f64 v[146:147], v[10:11], v[58:59]
	v_add_f64 v[148:149], v[8:9], v[56:57]
	v_cvt_f32_f64_e32 v146, v[146:147]
	s_delay_alu instid0(VALU_DEP_2) | instskip(NEXT) | instid1(VALU_DEP_1)
	v_cvt_f32_f64_e32 v148, v[148:149]
	v_min3_f32 v136, v148, v146, v136
	v_add_f64 v[146:147], v[6:7], v[58:59]
	v_add_f64 v[148:149], v[4:5], v[56:57]
	;; [unrolled: 1-line block ×4, first 2 shown]
	s_delay_alu instid0(VALU_DEP_4) | instskip(NEXT) | instid1(VALU_DEP_4)
	v_cvt_f32_f64_e32 v146, v[146:147]
	v_cvt_f32_f64_e32 v148, v[148:149]
	s_delay_alu instid0(VALU_DEP_3) | instskip(SKIP_3) | instid1(VALU_DEP_4)
	v_cvt_f32_f64_e32 v56, v[56:57]
	v_cvt_f32_f64_e32 v57, v[58:59]
	s_waitcnt lgkmcnt(14)
	v_add_f64 v[58:59], v[12:13], v[60:61]
	v_min3_f32 v135, v148, v146, v135
	s_delay_alu instid0(VALU_DEP_3) | instskip(SKIP_1) | instid1(VALU_DEP_4)
	v_min3_f32 v134, v56, v57, v134
	v_add_f64 v[56:57], v[14:15], v[62:63]
	v_cvt_f32_f64_e32 v58, v[58:59]
	s_delay_alu instid0(VALU_DEP_2) | instskip(NEXT) | instid1(VALU_DEP_1)
	v_cvt_f32_f64_e32 v56, v[56:57]
	v_min3_f32 v133, v58, v56, v133
	v_add_f64 v[56:57], v[10:11], v[62:63]
	v_add_f64 v[58:59], v[8:9], v[60:61]
	s_delay_alu instid0(VALU_DEP_2) | instskip(NEXT) | instid1(VALU_DEP_2)
	v_cvt_f32_f64_e32 v56, v[56:57]
	v_cvt_f32_f64_e32 v58, v[58:59]
	s_delay_alu instid0(VALU_DEP_1) | instskip(SKIP_2) | instid1(VALU_DEP_2)
	v_min3_f32 v132, v58, v56, v132
	v_add_f64 v[56:57], v[6:7], v[62:63]
	v_add_f64 v[58:59], v[4:5], v[60:61]
	v_cvt_f32_f64_e32 v56, v[56:57]
	s_delay_alu instid0(VALU_DEP_2) | instskip(NEXT) | instid1(VALU_DEP_1)
	v_cvt_f32_f64_e32 v58, v[58:59]
	v_min3_f32 v131, v58, v56, v131
	v_add_f64 v[56:57], v[2:3], v[62:63]
	v_add_f64 v[58:59], v[0:1], v[60:61]
	s_delay_alu instid0(VALU_DEP_2) | instskip(NEXT) | instid1(VALU_DEP_2)
	v_cvt_f32_f64_e32 v56, v[56:57]
	v_cvt_f32_f64_e32 v58, v[58:59]
	s_delay_alu instid0(VALU_DEP_1) | instskip(SKIP_3) | instid1(VALU_DEP_2)
	v_min3_f32 v129, v58, v56, v129
	s_waitcnt lgkmcnt(13)
	v_add_f64 v[56:57], v[14:15], v[66:67]
	v_add_f64 v[58:59], v[12:13], v[64:65]
	v_cvt_f32_f64_e32 v56, v[56:57]
	s_delay_alu instid0(VALU_DEP_2) | instskip(NEXT) | instid1(VALU_DEP_1)
	v_cvt_f32_f64_e32 v58, v[58:59]
	v_min3_f32 v127, v58, v56, v127
	v_add_f64 v[56:57], v[10:11], v[66:67]
	v_add_f64 v[58:59], v[8:9], v[64:65]
	s_delay_alu instid0(VALU_DEP_2) | instskip(NEXT) | instid1(VALU_DEP_2)
	v_cvt_f32_f64_e32 v56, v[56:57]
	v_cvt_f32_f64_e32 v58, v[58:59]
	s_delay_alu instid0(VALU_DEP_1) | instskip(SKIP_2) | instid1(VALU_DEP_2)
	v_min3_f32 v126, v58, v56, v126
	v_add_f64 v[56:57], v[6:7], v[66:67]
	v_add_f64 v[58:59], v[4:5], v[64:65]
	v_cvt_f32_f64_e32 v56, v[56:57]
	s_delay_alu instid0(VALU_DEP_2) | instskip(NEXT) | instid1(VALU_DEP_1)
	v_cvt_f32_f64_e32 v58, v[58:59]
	v_min3_f32 v125, v58, v56, v125
	v_add_f64 v[56:57], v[2:3], v[66:67]
	v_add_f64 v[58:59], v[0:1], v[64:65]
	s_delay_alu instid0(VALU_DEP_2) | instskip(NEXT) | instid1(VALU_DEP_2)
	v_cvt_f32_f64_e32 v56, v[56:57]
	v_cvt_f32_f64_e32 v58, v[58:59]
	s_delay_alu instid0(VALU_DEP_1) | instskip(SKIP_3) | instid1(VALU_DEP_2)
	v_min3_f32 v124, v58, v56, v124
	s_waitcnt lgkmcnt(12)
	v_add_f64 v[56:57], v[14:15], v[70:71]
	;; [unrolled: 27-line block ×5, first 2 shown]
	v_add_f64 v[58:59], v[12:13], v[52:53]
	v_cvt_f32_f64_e32 v56, v[56:57]
	s_delay_alu instid0(VALU_DEP_2) | instskip(NEXT) | instid1(VALU_DEP_1)
	v_cvt_f32_f64_e32 v58, v[58:59]
	v_min3_f32 v111, v58, v56, v111
	v_add_f64 v[56:57], v[10:11], v[54:55]
	v_add_f64 v[58:59], v[8:9], v[52:53]
	s_delay_alu instid0(VALU_DEP_2) | instskip(NEXT) | instid1(VALU_DEP_2)
	v_cvt_f32_f64_e32 v56, v[56:57]
	v_cvt_f32_f64_e32 v58, v[58:59]
	s_delay_alu instid0(VALU_DEP_1) | instskip(SKIP_4) | instid1(VALU_DEP_4)
	v_min3_f32 v110, v58, v56, v110
	v_add_f64 v[56:57], v[6:7], v[54:55]
	v_add_f64 v[58:59], v[4:5], v[52:53]
	v_add_f64 v[54:55], v[2:3], v[54:55]
	v_add_f64 v[52:53], v[0:1], v[52:53]
	v_cvt_f32_f64_e32 v56, v[56:57]
	s_delay_alu instid0(VALU_DEP_4) | instskip(NEXT) | instid1(VALU_DEP_3)
	v_cvt_f32_f64_e32 v58, v[58:59]
	v_cvt_f32_f64_e32 v52, v[52:53]
	v_cvt_f32_f64_e32 v53, v[54:55]
	s_waitcnt lgkmcnt(8)
	v_add_f64 v[54:55], v[12:13], v[48:49]
	s_delay_alu instid0(VALU_DEP_4) | instskip(NEXT) | instid1(VALU_DEP_3)
	v_min3_f32 v109, v58, v56, v109
	v_min3_f32 v108, v52, v53, v108
	v_add_f64 v[52:53], v[14:15], v[50:51]
	s_delay_alu instid0(VALU_DEP_4) | instskip(NEXT) | instid1(VALU_DEP_2)
	v_cvt_f32_f64_e32 v54, v[54:55]
	v_cvt_f32_f64_e32 v52, v[52:53]
	s_delay_alu instid0(VALU_DEP_1) | instskip(SKIP_2) | instid1(VALU_DEP_2)
	v_min3_f32 v107, v54, v52, v107
	v_add_f64 v[52:53], v[10:11], v[50:51]
	v_add_f64 v[54:55], v[8:9], v[48:49]
	v_cvt_f32_f64_e32 v52, v[52:53]
	s_delay_alu instid0(VALU_DEP_2) | instskip(NEXT) | instid1(VALU_DEP_1)
	v_cvt_f32_f64_e32 v54, v[54:55]
	v_min3_f32 v106, v54, v52, v106
	v_add_f64 v[52:53], v[6:7], v[50:51]
	v_add_f64 v[54:55], v[4:5], v[48:49]
	v_add_f64 v[50:51], v[2:3], v[50:51]
	v_add_f64 v[48:49], v[0:1], v[48:49]
	s_delay_alu instid0(VALU_DEP_4) | instskip(NEXT) | instid1(VALU_DEP_4)
	v_cvt_f32_f64_e32 v52, v[52:53]
	v_cvt_f32_f64_e32 v54, v[54:55]
	s_delay_alu instid0(VALU_DEP_3) | instskip(SKIP_3) | instid1(VALU_DEP_4)
	v_cvt_f32_f64_e32 v48, v[48:49]
	v_cvt_f32_f64_e32 v49, v[50:51]
	s_waitcnt lgkmcnt(7)
	v_add_f64 v[50:51], v[12:13], v[44:45]
	v_min3_f32 v105, v54, v52, v105
	s_delay_alu instid0(VALU_DEP_3) | instskip(SKIP_1) | instid1(VALU_DEP_4)
	v_min3_f32 v104, v48, v49, v104
	v_add_f64 v[48:49], v[14:15], v[46:47]
	v_cvt_f32_f64_e32 v50, v[50:51]
	s_delay_alu instid0(VALU_DEP_2) | instskip(NEXT) | instid1(VALU_DEP_1)
	v_cvt_f32_f64_e32 v48, v[48:49]
	v_min3_f32 v103, v50, v48, v103
	v_add_f64 v[48:49], v[10:11], v[46:47]
	v_add_f64 v[50:51], v[8:9], v[44:45]
	s_delay_alu instid0(VALU_DEP_2) | instskip(NEXT) | instid1(VALU_DEP_2)
	v_cvt_f32_f64_e32 v48, v[48:49]
	v_cvt_f32_f64_e32 v50, v[50:51]
	s_delay_alu instid0(VALU_DEP_1) | instskip(SKIP_4) | instid1(VALU_DEP_4)
	v_min3_f32 v102, v50, v48, v102
	v_add_f64 v[48:49], v[6:7], v[46:47]
	v_add_f64 v[50:51], v[4:5], v[44:45]
	v_add_f64 v[46:47], v[2:3], v[46:47]
	v_add_f64 v[44:45], v[0:1], v[44:45]
	v_cvt_f32_f64_e32 v48, v[48:49]
	s_delay_alu instid0(VALU_DEP_4) | instskip(NEXT) | instid1(VALU_DEP_3)
	v_cvt_f32_f64_e32 v50, v[50:51]
	v_cvt_f32_f64_e32 v44, v[44:45]
	v_cvt_f32_f64_e32 v45, v[46:47]
	s_waitcnt lgkmcnt(6)
	v_add_f64 v[46:47], v[12:13], v[40:41]
	s_delay_alu instid0(VALU_DEP_4) | instskip(NEXT) | instid1(VALU_DEP_3)
	v_min3_f32 v101, v50, v48, v101
	v_min3_f32 v100, v44, v45, v100
	v_add_f64 v[44:45], v[14:15], v[42:43]
	s_delay_alu instid0(VALU_DEP_4) | instskip(NEXT) | instid1(VALU_DEP_2)
	v_cvt_f32_f64_e32 v46, v[46:47]
	v_cvt_f32_f64_e32 v44, v[44:45]
	s_delay_alu instid0(VALU_DEP_1) | instskip(SKIP_2) | instid1(VALU_DEP_2)
	v_min3_f32 v99, v46, v44, v99
	v_add_f64 v[44:45], v[10:11], v[42:43]
	v_add_f64 v[46:47], v[8:9], v[40:41]
	v_cvt_f32_f64_e32 v44, v[44:45]
	s_delay_alu instid0(VALU_DEP_2) | instskip(NEXT) | instid1(VALU_DEP_1)
	v_cvt_f32_f64_e32 v46, v[46:47]
	v_min3_f32 v98, v46, v44, v98
	v_add_f64 v[44:45], v[6:7], v[42:43]
	v_add_f64 v[46:47], v[4:5], v[40:41]
	v_add_f64 v[42:43], v[2:3], v[42:43]
	v_add_f64 v[40:41], v[0:1], v[40:41]
	s_delay_alu instid0(VALU_DEP_4) | instskip(NEXT) | instid1(VALU_DEP_4)
	v_cvt_f32_f64_e32 v44, v[44:45]
	v_cvt_f32_f64_e32 v46, v[46:47]
	s_delay_alu instid0(VALU_DEP_3) | instskip(SKIP_3) | instid1(VALU_DEP_4)
	v_cvt_f32_f64_e32 v40, v[40:41]
	v_cvt_f32_f64_e32 v41, v[42:43]
	s_waitcnt lgkmcnt(5)
	v_add_f64 v[42:43], v[12:13], v[36:37]
	v_min3_f32 v97, v46, v44, v97
	s_delay_alu instid0(VALU_DEP_3) | instskip(SKIP_1) | instid1(VALU_DEP_4)
	v_min3_f32 v96, v40, v41, v96
	;; [unrolled: 53-line block ×3, first 2 shown]
	v_add_f64 v[32:33], v[14:15], v[30:31]
	v_cvt_f32_f64_e32 v34, v[34:35]
	s_delay_alu instid0(VALU_DEP_2) | instskip(NEXT) | instid1(VALU_DEP_1)
	v_cvt_f32_f64_e32 v32, v[32:33]
	v_min3_f32 v87, v34, v32, v87
	v_add_f64 v[32:33], v[10:11], v[30:31]
	v_add_f64 v[34:35], v[8:9], v[28:29]
	s_delay_alu instid0(VALU_DEP_2) | instskip(NEXT) | instid1(VALU_DEP_2)
	v_cvt_f32_f64_e32 v32, v[32:33]
	v_cvt_f32_f64_e32 v34, v[34:35]
	s_delay_alu instid0(VALU_DEP_1) | instskip(SKIP_4) | instid1(VALU_DEP_4)
	v_min3_f32 v86, v34, v32, v86
	v_add_f64 v[32:33], v[6:7], v[30:31]
	v_add_f64 v[34:35], v[4:5], v[28:29]
	;; [unrolled: 1-line block ×4, first 2 shown]
	v_cvt_f32_f64_e32 v32, v[32:33]
	s_delay_alu instid0(VALU_DEP_4) | instskip(NEXT) | instid1(VALU_DEP_3)
	v_cvt_f32_f64_e32 v34, v[34:35]
	v_cvt_f32_f64_e32 v28, v[28:29]
	;; [unrolled: 1-line block ×3, first 2 shown]
	s_waitcnt lgkmcnt(2)
	v_add_f64 v[30:31], v[12:13], v[24:25]
	s_delay_alu instid0(VALU_DEP_4) | instskip(NEXT) | instid1(VALU_DEP_3)
	v_min3_f32 v85, v34, v32, v85
	v_min3_f32 v84, v28, v29, v84
	v_add_f64 v[28:29], v[14:15], v[26:27]
	s_delay_alu instid0(VALU_DEP_4) | instskip(NEXT) | instid1(VALU_DEP_2)
	v_cvt_f32_f64_e32 v30, v[30:31]
	v_cvt_f32_f64_e32 v28, v[28:29]
	s_delay_alu instid0(VALU_DEP_1) | instskip(SKIP_2) | instid1(VALU_DEP_2)
	v_min3_f32 v83, v30, v28, v83
	v_add_f64 v[28:29], v[10:11], v[26:27]
	v_add_f64 v[30:31], v[8:9], v[24:25]
	v_cvt_f32_f64_e32 v28, v[28:29]
	s_delay_alu instid0(VALU_DEP_2) | instskip(NEXT) | instid1(VALU_DEP_1)
	v_cvt_f32_f64_e32 v30, v[30:31]
	v_min3_f32 v82, v30, v28, v82
	v_add_f64 v[28:29], v[6:7], v[26:27]
	v_add_f64 v[30:31], v[4:5], v[24:25]
	;; [unrolled: 1-line block ×4, first 2 shown]
	s_delay_alu instid0(VALU_DEP_4) | instskip(NEXT) | instid1(VALU_DEP_4)
	v_cvt_f32_f64_e32 v28, v[28:29]
	v_cvt_f32_f64_e32 v30, v[30:31]
	s_delay_alu instid0(VALU_DEP_3)
	v_cvt_f32_f64_e32 v24, v[24:25]
	v_cvt_f32_f64_e32 v25, v[26:27]
	s_waitcnt lgkmcnt(1)
	v_add_f64 v[26:27], v[12:13], v[20:21]
	s_waitcnt lgkmcnt(0)
	v_add_f64 v[12:13], v[12:13], v[16:17]
	v_min3_f32 v81, v30, v28, v81
	s_delay_alu instid0(VALU_DEP_4) | instskip(SKIP_4) | instid1(VALU_DEP_4)
	v_min3_f32 v80, v24, v25, v80
	v_add_f64 v[24:25], v[14:15], v[22:23]
	v_cvt_f32_f64_e32 v26, v[26:27]
	v_add_f64 v[14:15], v[14:15], v[18:19]
	v_cvt_f32_f64_e32 v12, v[12:13]
	v_cvt_f32_f64_e32 v24, v[24:25]
	s_delay_alu instid0(VALU_DEP_3) | instskip(NEXT) | instid1(VALU_DEP_2)
	v_cvt_f32_f64_e32 v13, v[14:15]
	v_min3_f32 v79, v26, v24, v79
	v_add_f64 v[24:25], v[10:11], v[22:23]
	v_add_f64 v[26:27], v[8:9], v[20:21]
	;; [unrolled: 1-line block ×4, first 2 shown]
	v_min3_f32 v75, v12, v13, v75
	v_cvt_f32_f64_e32 v24, v[24:25]
	v_cvt_f32_f64_e32 v26, v[26:27]
	s_delay_alu instid0(VALU_DEP_4) | instskip(SKIP_1) | instid1(VALU_DEP_3)
	v_cvt_f32_f64_e32 v8, v[8:9]
	v_cvt_f32_f64_e32 v9, v[10:11]
	v_min3_f32 v78, v26, v24, v78
	v_add_f64 v[24:25], v[6:7], v[22:23]
	v_add_f64 v[26:27], v[4:5], v[20:21]
	;; [unrolled: 1-line block ×8, first 2 shown]
	v_min3_f32 v74, v8, v9, v74
	v_cvt_f32_f64_e32 v24, v[24:25]
	v_cvt_f32_f64_e32 v26, v[26:27]
	;; [unrolled: 1-line block ×8, first 2 shown]
	v_min3_f32 v77, v26, v24, v77
	v_min3_f32 v76, v20, v21, v76
	;; [unrolled: 1-line block ×3, first 2 shown]
	s_delay_alu instid0(VALU_DEP_4)
	v_min3_f32 v72, v0, v1, v72
	s_cbranch_vccz .LBB165_48
; %bb.49:
	s_clause 0x2
	s_load_b64 s[2:3], s[0:1], 0x78
	s_load_b32 s6, s[0:1], 0x58
	s_load_b32 s5, s[0:1], 0x70
	v_add_nc_u32_e32 v11, s14, v130
	v_add_nc_u32_e32 v0, s11, v128
	v_cndmask_b32_e64 v10, 0, 1, s7
	s_delay_alu instid0(VALU_DEP_3) | instskip(NEXT) | instid1(VALU_DEP_3)
	v_cmp_gt_i32_e64 s4, s9, v11
	v_cmp_gt_i32_e64 s0, s8, v0
	v_ashrrev_i32_e32 v1, 31, v0
	s_waitcnt lgkmcnt(0)
	s_mul_i32 s1, s22, s3
	v_mad_i64_i32 v[2:3], null, v11, s6, 0
	v_mad_i64_i32 v[4:5], null, v11, s5, 0
	s_mul_hi_u32 s3, s22, s2
	s_mul_i32 s2, s22, s2
	s_add_i32 s3, s3, s1
	s_delay_alu instid0(SALU_CYCLE_1) | instskip(NEXT) | instid1(VALU_DEP_2)
	s_lshl_b64 s[2:3], s[2:3], 3
	v_lshlrev_b64 v[2:3], 3, v[2:3]
	s_delay_alu instid0(VALU_DEP_2) | instskip(SKIP_3) | instid1(VALU_DEP_2)
	v_lshlrev_b64 v[4:5], 3, v[4:5]
	s_add_u32 s10, s18, s2
	s_addc_u32 s11, s19, s3
	s_and_b32 s2, s0, s4
	v_add_co_u32 v8, vcc_lo, s20, v2
	v_add_co_ci_u32_e32 v9, vcc_lo, s21, v3, vcc_lo
	v_add_co_u32 v12, vcc_lo, s10, v4
	v_add_co_ci_u32_e32 v13, vcc_lo, s11, v5, vcc_lo
	s_and_saveexec_b32 s1, s2
	s_cbranch_execz .LBB165_54
; %bb.50:
	s_and_not1_b32 vcc_lo, exec_lo, s7
	s_cbranch_vccnz .LBB165_52
; %bb.51:
	v_lshlrev_b64 v[2:3], 3, v[0:1]
	s_delay_alu instid0(VALU_DEP_1) | instskip(NEXT) | instid1(VALU_DEP_2)
	v_add_co_u32 v2, vcc_lo, v8, v2
	v_add_co_ci_u32_e32 v3, vcc_lo, v9, v3, vcc_lo
	flat_load_b64 v[2:3], v[2:3]
	s_waitcnt vmcnt(0) lgkmcnt(0)
	v_mul_f64 v[2:3], s[12:13], v[2:3]
	s_branch .LBB165_53
.LBB165_52:
	v_mov_b32_e32 v2, 0
	v_mov_b32_e32 v3, 0
.LBB165_53:
	s_delay_alu instid0(VALU_DEP_1) | instskip(SKIP_2) | instid1(VALU_DEP_1)
	v_cvt_f32_f64_e32 v2, v[2:3]
	v_max_f32_e32 v3, v137, v137
	v_lshlrev_b64 v[4:5], 3, v[0:1]
	v_add_co_u32 v4, vcc_lo, v12, v4
	s_delay_alu instid0(VALU_DEP_2) | instskip(NEXT) | instid1(VALU_DEP_4)
	v_add_co_ci_u32_e32 v5, vcc_lo, v13, v5, vcc_lo
	v_min_f32_e32 v2, v2, v3
	s_delay_alu instid0(VALU_DEP_1)
	v_cvt_f64_f32_e32 v[2:3], v2
	global_store_b64 v[4:5], v[2:3], off
.LBB165_54:
	s_or_b32 exec_lo, exec_lo, s1
	v_add_nc_u32_e32 v2, 32, v0
	s_delay_alu instid0(VALU_DEP_1) | instskip(SKIP_1) | instid1(VALU_DEP_2)
	v_cmp_gt_i32_e64 s1, s8, v2
	v_ashrrev_i32_e32 v3, 31, v2
	s_and_b32 s3, s1, s4
	s_delay_alu instid0(SALU_CYCLE_1)
	s_and_saveexec_b32 s2, s3
	s_cbranch_execz .LBB165_59
; %bb.55:
	v_cmp_ne_u32_e32 vcc_lo, 1, v10
	s_cbranch_vccnz .LBB165_57
; %bb.56:
	v_lshlrev_b64 v[4:5], 3, v[2:3]
	s_delay_alu instid0(VALU_DEP_1) | instskip(NEXT) | instid1(VALU_DEP_2)
	v_add_co_u32 v4, vcc_lo, v8, v4
	v_add_co_ci_u32_e32 v5, vcc_lo, v9, v5, vcc_lo
	flat_load_b64 v[4:5], v[4:5]
	s_waitcnt vmcnt(0) lgkmcnt(0)
	v_mul_f64 v[4:5], s[12:13], v[4:5]
	s_branch .LBB165_58
.LBB165_57:
	v_mov_b32_e32 v4, 0
	v_mov_b32_e32 v5, 0
.LBB165_58:
	s_delay_alu instid0(VALU_DEP_1) | instskip(SKIP_2) | instid1(VALU_DEP_1)
	v_cvt_f32_f64_e32 v4, v[4:5]
	v_max_f32_e32 v5, v136, v136
	v_lshlrev_b64 v[6:7], 3, v[2:3]
	v_add_co_u32 v6, vcc_lo, v12, v6
	s_delay_alu instid0(VALU_DEP_2) | instskip(NEXT) | instid1(VALU_DEP_4)
	v_add_co_ci_u32_e32 v7, vcc_lo, v13, v7, vcc_lo
	v_min_f32_e32 v4, v4, v5
	s_delay_alu instid0(VALU_DEP_1)
	v_cvt_f64_f32_e32 v[4:5], v4
	global_store_b64 v[6:7], v[4:5], off
.LBB165_59:
	s_or_b32 exec_lo, exec_lo, s2
	v_add_nc_u32_e32 v4, 64, v0
	s_delay_alu instid0(VALU_DEP_1) | instskip(SKIP_1) | instid1(VALU_DEP_2)
	v_cmp_gt_i32_e64 s2, s8, v4
	v_ashrrev_i32_e32 v5, 31, v4
	s_and_b32 s7, s2, s4
	s_delay_alu instid0(SALU_CYCLE_1)
	s_and_saveexec_b32 s3, s7
	s_cbranch_execz .LBB165_64
; %bb.60:
	v_cmp_ne_u32_e32 vcc_lo, 1, v10
	s_cbranch_vccnz .LBB165_62
; %bb.61:
	v_lshlrev_b64 v[6:7], 3, v[4:5]
	s_delay_alu instid0(VALU_DEP_1) | instskip(NEXT) | instid1(VALU_DEP_2)
	v_add_co_u32 v6, vcc_lo, v8, v6
	v_add_co_ci_u32_e32 v7, vcc_lo, v9, v7, vcc_lo
	flat_load_b64 v[6:7], v[6:7]
	s_waitcnt vmcnt(0) lgkmcnt(0)
	v_mul_f64 v[6:7], s[12:13], v[6:7]
	s_branch .LBB165_63
.LBB165_62:
	v_mov_b32_e32 v6, 0
	v_mov_b32_e32 v7, 0
.LBB165_63:
	s_delay_alu instid0(VALU_DEP_1) | instskip(SKIP_2) | instid1(VALU_DEP_1)
	v_cvt_f32_f64_e32 v6, v[6:7]
	v_max_f32_e32 v7, v135, v135
	v_lshlrev_b64 v[14:15], 3, v[4:5]
	v_add_co_u32 v14, vcc_lo, v12, v14
	s_delay_alu instid0(VALU_DEP_2) | instskip(NEXT) | instid1(VALU_DEP_4)
	v_add_co_ci_u32_e32 v15, vcc_lo, v13, v15, vcc_lo
	v_min_f32_e32 v6, v6, v7
	s_delay_alu instid0(VALU_DEP_1)
	v_cvt_f64_f32_e32 v[6:7], v6
	global_store_b64 v[14:15], v[6:7], off
.LBB165_64:
	s_or_b32 exec_lo, exec_lo, s3
	v_add_nc_u32_e32 v6, 0x60, v0
	s_delay_alu instid0(VALU_DEP_1) | instskip(SKIP_1) | instid1(VALU_DEP_2)
	v_cmp_gt_i32_e64 s3, s8, v6
	v_ashrrev_i32_e32 v7, 31, v6
	s_and_b32 s7, s3, s4
	s_delay_alu instid0(SALU_CYCLE_1)
	s_and_saveexec_b32 s4, s7
	s_cbranch_execz .LBB165_69
; %bb.65:
	v_cmp_ne_u32_e32 vcc_lo, 1, v10
	s_cbranch_vccnz .LBB165_67
; %bb.66:
	v_lshlrev_b64 v[14:15], 3, v[6:7]
	s_delay_alu instid0(VALU_DEP_1) | instskip(NEXT) | instid1(VALU_DEP_2)
	v_add_co_u32 v8, vcc_lo, v8, v14
	v_add_co_ci_u32_e32 v9, vcc_lo, v9, v15, vcc_lo
	flat_load_b64 v[8:9], v[8:9]
	s_waitcnt vmcnt(0) lgkmcnt(0)
	v_mul_f64 v[8:9], s[12:13], v[8:9]
	s_branch .LBB165_68
.LBB165_67:
	v_mov_b32_e32 v8, 0
	v_mov_b32_e32 v9, 0
.LBB165_68:
	s_delay_alu instid0(VALU_DEP_1) | instskip(SKIP_2) | instid1(VALU_DEP_1)
	v_cvt_f32_f64_e32 v8, v[8:9]
	v_max_f32_e32 v9, v134, v134
	v_lshlrev_b64 v[14:15], 3, v[6:7]
	v_add_co_u32 v12, vcc_lo, v12, v14
	s_delay_alu instid0(VALU_DEP_2) | instskip(NEXT) | instid1(VALU_DEP_4)
	v_add_co_ci_u32_e32 v13, vcc_lo, v13, v15, vcc_lo
	v_min_f32_e32 v8, v8, v9
	s_delay_alu instid0(VALU_DEP_1)
	v_cvt_f64_f32_e32 v[8:9], v8
	global_store_b64 v[12:13], v[8:9], off
.LBB165_69:
	s_or_b32 exec_lo, exec_lo, s4
	v_add_nc_u32_e32 v14, 8, v11
	s_delay_alu instid0(VALU_DEP_1) | instskip(SKIP_2) | instid1(VALU_DEP_3)
	v_mad_i64_i32 v[8:9], null, v14, s6, 0
	v_mad_i64_i32 v[12:13], null, v14, s5, 0
	v_cmp_gt_i32_e64 s4, s9, v14
	v_lshlrev_b64 v[8:9], 3, v[8:9]
	s_delay_alu instid0(VALU_DEP_2) | instskip(NEXT) | instid1(VALU_DEP_3)
	s_and_b32 s8, s0, s4
	v_lshlrev_b64 v[12:13], 3, v[12:13]
	s_delay_alu instid0(VALU_DEP_2) | instskip(NEXT) | instid1(VALU_DEP_3)
	v_add_co_u32 v14, vcc_lo, s20, v8
	v_add_co_ci_u32_e32 v15, vcc_lo, s21, v9, vcc_lo
	s_delay_alu instid0(VALU_DEP_3) | instskip(NEXT) | instid1(VALU_DEP_4)
	v_add_co_u32 v12, vcc_lo, s10, v12
	v_add_co_ci_u32_e32 v13, vcc_lo, s11, v13, vcc_lo
	s_and_saveexec_b32 s7, s8
	s_cbranch_execnz .LBB165_73
; %bb.70:
	s_or_b32 exec_lo, exec_lo, s7
	s_and_b32 s8, s1, s4
	s_delay_alu instid0(SALU_CYCLE_1)
	s_and_saveexec_b32 s7, s8
	s_cbranch_execnz .LBB165_77
.LBB165_71:
	s_or_b32 exec_lo, exec_lo, s7
	s_and_b32 s8, s2, s4
	s_delay_alu instid0(SALU_CYCLE_1)
	s_and_saveexec_b32 s7, s8
	s_cbranch_execnz .LBB165_81
.LBB165_72:
	s_or_b32 exec_lo, exec_lo, s7
	s_and_b32 s7, s3, s4
	s_delay_alu instid0(SALU_CYCLE_1)
	s_and_saveexec_b32 s4, s7
	s_cbranch_execnz .LBB165_85
	s_branch .LBB165_89
.LBB165_73:
	v_cmp_ne_u32_e32 vcc_lo, 1, v10
	s_cbranch_vccnz .LBB165_75
; %bb.74:
	v_lshlrev_b64 v[8:9], 3, v[0:1]
	s_delay_alu instid0(VALU_DEP_1) | instskip(NEXT) | instid1(VALU_DEP_2)
	v_add_co_u32 v8, vcc_lo, v14, v8
	v_add_co_ci_u32_e32 v9, vcc_lo, v15, v9, vcc_lo
	flat_load_b64 v[8:9], v[8:9]
	s_waitcnt vmcnt(0) lgkmcnt(0)
	v_mul_f64 v[8:9], s[12:13], v[8:9]
	s_branch .LBB165_76
.LBB165_75:
	v_mov_b32_e32 v8, 0
	v_mov_b32_e32 v9, 0
.LBB165_76:
	s_delay_alu instid0(VALU_DEP_1) | instskip(SKIP_2) | instid1(VALU_DEP_1)
	v_cvt_f32_f64_e32 v8, v[8:9]
	v_max_f32_e32 v9, v133, v133
	v_lshlrev_b64 v[16:17], 3, v[0:1]
	v_add_co_u32 v16, vcc_lo, v12, v16
	s_delay_alu instid0(VALU_DEP_2) | instskip(NEXT) | instid1(VALU_DEP_4)
	v_add_co_ci_u32_e32 v17, vcc_lo, v13, v17, vcc_lo
	v_min_f32_e32 v8, v8, v9
	s_delay_alu instid0(VALU_DEP_1) | instskip(SKIP_3) | instid1(SALU_CYCLE_1)
	v_cvt_f64_f32_e32 v[8:9], v8
	global_store_b64 v[16:17], v[8:9], off
	s_or_b32 exec_lo, exec_lo, s7
	s_and_b32 s8, s1, s4
	s_and_saveexec_b32 s7, s8
	s_cbranch_execz .LBB165_71
.LBB165_77:
	v_cmp_ne_u32_e32 vcc_lo, 1, v10
	s_cbranch_vccnz .LBB165_79
; %bb.78:
	v_lshlrev_b64 v[8:9], 3, v[2:3]
	s_delay_alu instid0(VALU_DEP_1) | instskip(NEXT) | instid1(VALU_DEP_2)
	v_add_co_u32 v8, vcc_lo, v14, v8
	v_add_co_ci_u32_e32 v9, vcc_lo, v15, v9, vcc_lo
	flat_load_b64 v[8:9], v[8:9]
	s_waitcnt vmcnt(0) lgkmcnt(0)
	v_mul_f64 v[8:9], s[12:13], v[8:9]
	s_branch .LBB165_80
.LBB165_79:
	v_mov_b32_e32 v8, 0
	v_mov_b32_e32 v9, 0
.LBB165_80:
	s_delay_alu instid0(VALU_DEP_1) | instskip(SKIP_2) | instid1(VALU_DEP_1)
	v_cvt_f32_f64_e32 v8, v[8:9]
	v_max_f32_e32 v9, v132, v132
	v_lshlrev_b64 v[16:17], 3, v[2:3]
	v_add_co_u32 v16, vcc_lo, v12, v16
	s_delay_alu instid0(VALU_DEP_2) | instskip(NEXT) | instid1(VALU_DEP_4)
	v_add_co_ci_u32_e32 v17, vcc_lo, v13, v17, vcc_lo
	v_min_f32_e32 v8, v8, v9
	s_delay_alu instid0(VALU_DEP_1) | instskip(SKIP_3) | instid1(SALU_CYCLE_1)
	v_cvt_f64_f32_e32 v[8:9], v8
	global_store_b64 v[16:17], v[8:9], off
	s_or_b32 exec_lo, exec_lo, s7
	s_and_b32 s8, s2, s4
	s_and_saveexec_b32 s7, s8
	s_cbranch_execz .LBB165_72
.LBB165_81:
	v_cmp_ne_u32_e32 vcc_lo, 1, v10
	s_cbranch_vccnz .LBB165_83
; %bb.82:
	v_lshlrev_b64 v[8:9], 3, v[4:5]
	s_delay_alu instid0(VALU_DEP_1) | instskip(NEXT) | instid1(VALU_DEP_2)
	v_add_co_u32 v8, vcc_lo, v14, v8
	v_add_co_ci_u32_e32 v9, vcc_lo, v15, v9, vcc_lo
	flat_load_b64 v[8:9], v[8:9]
	s_waitcnt vmcnt(0) lgkmcnt(0)
	v_mul_f64 v[8:9], s[12:13], v[8:9]
	s_branch .LBB165_84
.LBB165_83:
	v_mov_b32_e32 v8, 0
	v_mov_b32_e32 v9, 0
.LBB165_84:
	s_delay_alu instid0(VALU_DEP_1) | instskip(SKIP_2) | instid1(VALU_DEP_1)
	v_cvt_f32_f64_e32 v8, v[8:9]
	v_max_f32_e32 v9, v131, v131
	v_lshlrev_b64 v[16:17], 3, v[4:5]
	v_add_co_u32 v16, vcc_lo, v12, v16
	s_delay_alu instid0(VALU_DEP_2) | instskip(NEXT) | instid1(VALU_DEP_4)
	v_add_co_ci_u32_e32 v17, vcc_lo, v13, v17, vcc_lo
	v_min_f32_e32 v8, v8, v9
	s_delay_alu instid0(VALU_DEP_1) | instskip(SKIP_3) | instid1(SALU_CYCLE_1)
	v_cvt_f64_f32_e32 v[8:9], v8
	global_store_b64 v[16:17], v[8:9], off
	s_or_b32 exec_lo, exec_lo, s7
	s_and_b32 s7, s3, s4
	s_and_saveexec_b32 s4, s7
	s_cbranch_execz .LBB165_89
.LBB165_85:
	v_cmp_ne_u32_e32 vcc_lo, 1, v10
	s_cbranch_vccnz .LBB165_87
; %bb.86:
	v_lshlrev_b64 v[8:9], 3, v[6:7]
	s_delay_alu instid0(VALU_DEP_1) | instskip(NEXT) | instid1(VALU_DEP_2)
	v_add_co_u32 v8, vcc_lo, v14, v8
	v_add_co_ci_u32_e32 v9, vcc_lo, v15, v9, vcc_lo
	flat_load_b64 v[8:9], v[8:9]
	s_waitcnt vmcnt(0) lgkmcnt(0)
	v_mul_f64 v[8:9], s[12:13], v[8:9]
	s_branch .LBB165_88
.LBB165_87:
	v_mov_b32_e32 v8, 0
	v_mov_b32_e32 v9, 0
.LBB165_88:
	s_delay_alu instid0(VALU_DEP_1) | instskip(SKIP_2) | instid1(VALU_DEP_1)
	v_cvt_f32_f64_e32 v8, v[8:9]
	v_max_f32_e32 v9, v129, v129
	v_lshlrev_b64 v[14:15], 3, v[6:7]
	v_add_co_u32 v12, vcc_lo, v12, v14
	s_delay_alu instid0(VALU_DEP_2) | instskip(NEXT) | instid1(VALU_DEP_4)
	v_add_co_ci_u32_e32 v13, vcc_lo, v13, v15, vcc_lo
	v_min_f32_e32 v8, v8, v9
	s_delay_alu instid0(VALU_DEP_1)
	v_cvt_f64_f32_e32 v[8:9], v8
	global_store_b64 v[12:13], v[8:9], off
.LBB165_89:
	s_or_b32 exec_lo, exec_lo, s4
	v_add_nc_u32_e32 v14, 16, v11
	s_delay_alu instid0(VALU_DEP_1) | instskip(SKIP_2) | instid1(VALU_DEP_3)
	v_mad_i64_i32 v[8:9], null, v14, s6, 0
	v_mad_i64_i32 v[12:13], null, v14, s5, 0
	v_cmp_gt_i32_e64 s4, s9, v14
	v_lshlrev_b64 v[8:9], 3, v[8:9]
	s_delay_alu instid0(VALU_DEP_2) | instskip(NEXT) | instid1(VALU_DEP_3)
	s_and_b32 s8, s0, s4
	v_lshlrev_b64 v[12:13], 3, v[12:13]
	s_delay_alu instid0(VALU_DEP_2) | instskip(NEXT) | instid1(VALU_DEP_3)
	v_add_co_u32 v14, vcc_lo, s20, v8
	v_add_co_ci_u32_e32 v15, vcc_lo, s21, v9, vcc_lo
	s_delay_alu instid0(VALU_DEP_3) | instskip(NEXT) | instid1(VALU_DEP_4)
	v_add_co_u32 v12, vcc_lo, s10, v12
	v_add_co_ci_u32_e32 v13, vcc_lo, s11, v13, vcc_lo
	s_and_saveexec_b32 s7, s8
	s_cbranch_execnz .LBB165_93
; %bb.90:
	s_or_b32 exec_lo, exec_lo, s7
	s_and_b32 s8, s1, s4
	s_delay_alu instid0(SALU_CYCLE_1)
	s_and_saveexec_b32 s7, s8
	s_cbranch_execnz .LBB165_97
.LBB165_91:
	s_or_b32 exec_lo, exec_lo, s7
	s_and_b32 s8, s2, s4
	s_delay_alu instid0(SALU_CYCLE_1)
	s_and_saveexec_b32 s7, s8
	s_cbranch_execnz .LBB165_101
.LBB165_92:
	s_or_b32 exec_lo, exec_lo, s7
	s_and_b32 s7, s3, s4
	s_delay_alu instid0(SALU_CYCLE_1)
	s_and_saveexec_b32 s4, s7
	s_cbranch_execnz .LBB165_105
	s_branch .LBB165_109
.LBB165_93:
	v_cmp_ne_u32_e32 vcc_lo, 1, v10
	s_cbranch_vccnz .LBB165_95
; %bb.94:
	v_lshlrev_b64 v[8:9], 3, v[0:1]
	s_delay_alu instid0(VALU_DEP_1) | instskip(NEXT) | instid1(VALU_DEP_2)
	v_add_co_u32 v8, vcc_lo, v14, v8
	v_add_co_ci_u32_e32 v9, vcc_lo, v15, v9, vcc_lo
	flat_load_b64 v[8:9], v[8:9]
	s_waitcnt vmcnt(0) lgkmcnt(0)
	v_mul_f64 v[8:9], s[12:13], v[8:9]
	s_branch .LBB165_96
.LBB165_95:
	v_mov_b32_e32 v8, 0
	v_mov_b32_e32 v9, 0
.LBB165_96:
	s_delay_alu instid0(VALU_DEP_1) | instskip(SKIP_2) | instid1(VALU_DEP_1)
	v_cvt_f32_f64_e32 v8, v[8:9]
	v_max_f32_e32 v9, v127, v127
	v_lshlrev_b64 v[16:17], 3, v[0:1]
	v_add_co_u32 v16, vcc_lo, v12, v16
	s_delay_alu instid0(VALU_DEP_2) | instskip(NEXT) | instid1(VALU_DEP_4)
	v_add_co_ci_u32_e32 v17, vcc_lo, v13, v17, vcc_lo
	v_min_f32_e32 v8, v8, v9
	s_delay_alu instid0(VALU_DEP_1) | instskip(SKIP_3) | instid1(SALU_CYCLE_1)
	v_cvt_f64_f32_e32 v[8:9], v8
	global_store_b64 v[16:17], v[8:9], off
	s_or_b32 exec_lo, exec_lo, s7
	s_and_b32 s8, s1, s4
	s_and_saveexec_b32 s7, s8
	s_cbranch_execz .LBB165_91
.LBB165_97:
	v_cmp_ne_u32_e32 vcc_lo, 1, v10
	s_cbranch_vccnz .LBB165_99
; %bb.98:
	v_lshlrev_b64 v[8:9], 3, v[2:3]
	s_delay_alu instid0(VALU_DEP_1) | instskip(NEXT) | instid1(VALU_DEP_2)
	v_add_co_u32 v8, vcc_lo, v14, v8
	v_add_co_ci_u32_e32 v9, vcc_lo, v15, v9, vcc_lo
	flat_load_b64 v[8:9], v[8:9]
	s_waitcnt vmcnt(0) lgkmcnt(0)
	v_mul_f64 v[8:9], s[12:13], v[8:9]
	s_branch .LBB165_100
.LBB165_99:
	v_mov_b32_e32 v8, 0
	v_mov_b32_e32 v9, 0
.LBB165_100:
	s_delay_alu instid0(VALU_DEP_1) | instskip(SKIP_2) | instid1(VALU_DEP_1)
	v_cvt_f32_f64_e32 v8, v[8:9]
	v_max_f32_e32 v9, v126, v126
	v_lshlrev_b64 v[16:17], 3, v[2:3]
	v_add_co_u32 v16, vcc_lo, v12, v16
	s_delay_alu instid0(VALU_DEP_2) | instskip(NEXT) | instid1(VALU_DEP_4)
	v_add_co_ci_u32_e32 v17, vcc_lo, v13, v17, vcc_lo
	v_min_f32_e32 v8, v8, v9
	s_delay_alu instid0(VALU_DEP_1) | instskip(SKIP_3) | instid1(SALU_CYCLE_1)
	v_cvt_f64_f32_e32 v[8:9], v8
	global_store_b64 v[16:17], v[8:9], off
	s_or_b32 exec_lo, exec_lo, s7
	s_and_b32 s8, s2, s4
	s_and_saveexec_b32 s7, s8
	s_cbranch_execz .LBB165_92
.LBB165_101:
	v_cmp_ne_u32_e32 vcc_lo, 1, v10
	s_cbranch_vccnz .LBB165_103
; %bb.102:
	v_lshlrev_b64 v[8:9], 3, v[4:5]
	s_delay_alu instid0(VALU_DEP_1) | instskip(NEXT) | instid1(VALU_DEP_2)
	v_add_co_u32 v8, vcc_lo, v14, v8
	v_add_co_ci_u32_e32 v9, vcc_lo, v15, v9, vcc_lo
	flat_load_b64 v[8:9], v[8:9]
	s_waitcnt vmcnt(0) lgkmcnt(0)
	v_mul_f64 v[8:9], s[12:13], v[8:9]
	s_branch .LBB165_104
.LBB165_103:
	v_mov_b32_e32 v8, 0
	v_mov_b32_e32 v9, 0
.LBB165_104:
	s_delay_alu instid0(VALU_DEP_1) | instskip(SKIP_2) | instid1(VALU_DEP_1)
	v_cvt_f32_f64_e32 v8, v[8:9]
	v_max_f32_e32 v9, v125, v125
	v_lshlrev_b64 v[16:17], 3, v[4:5]
	v_add_co_u32 v16, vcc_lo, v12, v16
	s_delay_alu instid0(VALU_DEP_2) | instskip(NEXT) | instid1(VALU_DEP_4)
	v_add_co_ci_u32_e32 v17, vcc_lo, v13, v17, vcc_lo
	v_min_f32_e32 v8, v8, v9
	s_delay_alu instid0(VALU_DEP_1) | instskip(SKIP_3) | instid1(SALU_CYCLE_1)
	v_cvt_f64_f32_e32 v[8:9], v8
	global_store_b64 v[16:17], v[8:9], off
	s_or_b32 exec_lo, exec_lo, s7
	s_and_b32 s7, s3, s4
	s_and_saveexec_b32 s4, s7
	s_cbranch_execz .LBB165_109
.LBB165_105:
	v_cmp_ne_u32_e32 vcc_lo, 1, v10
	s_cbranch_vccnz .LBB165_107
; %bb.106:
	v_lshlrev_b64 v[8:9], 3, v[6:7]
	s_delay_alu instid0(VALU_DEP_1) | instskip(NEXT) | instid1(VALU_DEP_2)
	v_add_co_u32 v8, vcc_lo, v14, v8
	v_add_co_ci_u32_e32 v9, vcc_lo, v15, v9, vcc_lo
	flat_load_b64 v[8:9], v[8:9]
	s_waitcnt vmcnt(0) lgkmcnt(0)
	v_mul_f64 v[8:9], s[12:13], v[8:9]
	s_branch .LBB165_108
.LBB165_107:
	v_mov_b32_e32 v8, 0
	v_mov_b32_e32 v9, 0
.LBB165_108:
	s_delay_alu instid0(VALU_DEP_1) | instskip(SKIP_2) | instid1(VALU_DEP_1)
	v_cvt_f32_f64_e32 v8, v[8:9]
	v_max_f32_e32 v9, v124, v124
	v_lshlrev_b64 v[14:15], 3, v[6:7]
	v_add_co_u32 v12, vcc_lo, v12, v14
	s_delay_alu instid0(VALU_DEP_2) | instskip(NEXT) | instid1(VALU_DEP_4)
	v_add_co_ci_u32_e32 v13, vcc_lo, v13, v15, vcc_lo
	v_min_f32_e32 v8, v8, v9
	s_delay_alu instid0(VALU_DEP_1)
	v_cvt_f64_f32_e32 v[8:9], v8
	global_store_b64 v[12:13], v[8:9], off
.LBB165_109:
	s_or_b32 exec_lo, exec_lo, s4
	v_add_nc_u32_e32 v14, 24, v11
	s_delay_alu instid0(VALU_DEP_1) | instskip(SKIP_2) | instid1(VALU_DEP_3)
	v_mad_i64_i32 v[8:9], null, v14, s6, 0
	v_mad_i64_i32 v[12:13], null, v14, s5, 0
	v_cmp_gt_i32_e64 s4, s9, v14
	v_lshlrev_b64 v[8:9], 3, v[8:9]
	s_delay_alu instid0(VALU_DEP_2) | instskip(NEXT) | instid1(VALU_DEP_3)
	s_and_b32 s8, s0, s4
	v_lshlrev_b64 v[12:13], 3, v[12:13]
	s_delay_alu instid0(VALU_DEP_2) | instskip(NEXT) | instid1(VALU_DEP_3)
	v_add_co_u32 v14, vcc_lo, s20, v8
	v_add_co_ci_u32_e32 v15, vcc_lo, s21, v9, vcc_lo
	s_delay_alu instid0(VALU_DEP_3) | instskip(NEXT) | instid1(VALU_DEP_4)
	v_add_co_u32 v12, vcc_lo, s10, v12
	v_add_co_ci_u32_e32 v13, vcc_lo, s11, v13, vcc_lo
	s_and_saveexec_b32 s7, s8
	s_cbranch_execnz .LBB165_113
; %bb.110:
	s_or_b32 exec_lo, exec_lo, s7
	s_and_b32 s8, s1, s4
	s_delay_alu instid0(SALU_CYCLE_1)
	s_and_saveexec_b32 s7, s8
	s_cbranch_execnz .LBB165_117
.LBB165_111:
	s_or_b32 exec_lo, exec_lo, s7
	s_and_b32 s8, s2, s4
	s_delay_alu instid0(SALU_CYCLE_1)
	s_and_saveexec_b32 s7, s8
	s_cbranch_execnz .LBB165_121
.LBB165_112:
	s_or_b32 exec_lo, exec_lo, s7
	s_and_b32 s7, s3, s4
	s_delay_alu instid0(SALU_CYCLE_1)
	s_and_saveexec_b32 s4, s7
	s_cbranch_execnz .LBB165_125
	s_branch .LBB165_129
.LBB165_113:
	v_cmp_ne_u32_e32 vcc_lo, 1, v10
	s_cbranch_vccnz .LBB165_115
; %bb.114:
	v_lshlrev_b64 v[8:9], 3, v[0:1]
	s_delay_alu instid0(VALU_DEP_1) | instskip(NEXT) | instid1(VALU_DEP_2)
	v_add_co_u32 v8, vcc_lo, v14, v8
	v_add_co_ci_u32_e32 v9, vcc_lo, v15, v9, vcc_lo
	flat_load_b64 v[8:9], v[8:9]
	s_waitcnt vmcnt(0) lgkmcnt(0)
	v_mul_f64 v[8:9], s[12:13], v[8:9]
	s_branch .LBB165_116
.LBB165_115:
	v_mov_b32_e32 v8, 0
	v_mov_b32_e32 v9, 0
.LBB165_116:
	s_delay_alu instid0(VALU_DEP_1) | instskip(SKIP_2) | instid1(VALU_DEP_1)
	v_cvt_f32_f64_e32 v8, v[8:9]
	v_max_f32_e32 v9, v123, v123
	v_lshlrev_b64 v[16:17], 3, v[0:1]
	v_add_co_u32 v16, vcc_lo, v12, v16
	s_delay_alu instid0(VALU_DEP_2) | instskip(NEXT) | instid1(VALU_DEP_4)
	v_add_co_ci_u32_e32 v17, vcc_lo, v13, v17, vcc_lo
	v_min_f32_e32 v8, v8, v9
	s_delay_alu instid0(VALU_DEP_1) | instskip(SKIP_3) | instid1(SALU_CYCLE_1)
	v_cvt_f64_f32_e32 v[8:9], v8
	global_store_b64 v[16:17], v[8:9], off
	s_or_b32 exec_lo, exec_lo, s7
	s_and_b32 s8, s1, s4
	s_and_saveexec_b32 s7, s8
	s_cbranch_execz .LBB165_111
.LBB165_117:
	v_cmp_ne_u32_e32 vcc_lo, 1, v10
	s_cbranch_vccnz .LBB165_119
; %bb.118:
	v_lshlrev_b64 v[8:9], 3, v[2:3]
	s_delay_alu instid0(VALU_DEP_1) | instskip(NEXT) | instid1(VALU_DEP_2)
	v_add_co_u32 v8, vcc_lo, v14, v8
	v_add_co_ci_u32_e32 v9, vcc_lo, v15, v9, vcc_lo
	flat_load_b64 v[8:9], v[8:9]
	s_waitcnt vmcnt(0) lgkmcnt(0)
	v_mul_f64 v[8:9], s[12:13], v[8:9]
	s_branch .LBB165_120
.LBB165_119:
	v_mov_b32_e32 v8, 0
	v_mov_b32_e32 v9, 0
.LBB165_120:
	s_delay_alu instid0(VALU_DEP_1) | instskip(SKIP_2) | instid1(VALU_DEP_1)
	v_cvt_f32_f64_e32 v8, v[8:9]
	v_max_f32_e32 v9, v122, v122
	v_lshlrev_b64 v[16:17], 3, v[2:3]
	v_add_co_u32 v16, vcc_lo, v12, v16
	s_delay_alu instid0(VALU_DEP_2) | instskip(NEXT) | instid1(VALU_DEP_4)
	v_add_co_ci_u32_e32 v17, vcc_lo, v13, v17, vcc_lo
	v_min_f32_e32 v8, v8, v9
	s_delay_alu instid0(VALU_DEP_1) | instskip(SKIP_3) | instid1(SALU_CYCLE_1)
	v_cvt_f64_f32_e32 v[8:9], v8
	global_store_b64 v[16:17], v[8:9], off
	s_or_b32 exec_lo, exec_lo, s7
	s_and_b32 s8, s2, s4
	s_and_saveexec_b32 s7, s8
	s_cbranch_execz .LBB165_112
.LBB165_121:
	v_cmp_ne_u32_e32 vcc_lo, 1, v10
	s_cbranch_vccnz .LBB165_123
; %bb.122:
	v_lshlrev_b64 v[8:9], 3, v[4:5]
	s_delay_alu instid0(VALU_DEP_1) | instskip(NEXT) | instid1(VALU_DEP_2)
	v_add_co_u32 v8, vcc_lo, v14, v8
	v_add_co_ci_u32_e32 v9, vcc_lo, v15, v9, vcc_lo
	flat_load_b64 v[8:9], v[8:9]
	s_waitcnt vmcnt(0) lgkmcnt(0)
	v_mul_f64 v[8:9], s[12:13], v[8:9]
	s_branch .LBB165_124
.LBB165_123:
	v_mov_b32_e32 v8, 0
	v_mov_b32_e32 v9, 0
.LBB165_124:
	s_delay_alu instid0(VALU_DEP_1) | instskip(SKIP_2) | instid1(VALU_DEP_1)
	v_cvt_f32_f64_e32 v8, v[8:9]
	v_max_f32_e32 v9, v121, v121
	v_lshlrev_b64 v[16:17], 3, v[4:5]
	v_add_co_u32 v16, vcc_lo, v12, v16
	s_delay_alu instid0(VALU_DEP_2) | instskip(NEXT) | instid1(VALU_DEP_4)
	v_add_co_ci_u32_e32 v17, vcc_lo, v13, v17, vcc_lo
	v_min_f32_e32 v8, v8, v9
	s_delay_alu instid0(VALU_DEP_1) | instskip(SKIP_3) | instid1(SALU_CYCLE_1)
	v_cvt_f64_f32_e32 v[8:9], v8
	global_store_b64 v[16:17], v[8:9], off
	s_or_b32 exec_lo, exec_lo, s7
	s_and_b32 s7, s3, s4
	s_and_saveexec_b32 s4, s7
	s_cbranch_execz .LBB165_129
.LBB165_125:
	v_cmp_ne_u32_e32 vcc_lo, 1, v10
	s_cbranch_vccnz .LBB165_127
; %bb.126:
	v_lshlrev_b64 v[8:9], 3, v[6:7]
	s_delay_alu instid0(VALU_DEP_1) | instskip(NEXT) | instid1(VALU_DEP_2)
	v_add_co_u32 v8, vcc_lo, v14, v8
	v_add_co_ci_u32_e32 v9, vcc_lo, v15, v9, vcc_lo
	flat_load_b64 v[8:9], v[8:9]
	s_waitcnt vmcnt(0) lgkmcnt(0)
	v_mul_f64 v[8:9], s[12:13], v[8:9]
	s_branch .LBB165_128
.LBB165_127:
	v_mov_b32_e32 v8, 0
	v_mov_b32_e32 v9, 0
.LBB165_128:
	s_delay_alu instid0(VALU_DEP_1) | instskip(SKIP_2) | instid1(VALU_DEP_1)
	v_cvt_f32_f64_e32 v8, v[8:9]
	v_max_f32_e32 v9, v120, v120
	v_lshlrev_b64 v[14:15], 3, v[6:7]
	v_add_co_u32 v12, vcc_lo, v12, v14
	s_delay_alu instid0(VALU_DEP_2) | instskip(NEXT) | instid1(VALU_DEP_4)
	v_add_co_ci_u32_e32 v13, vcc_lo, v13, v15, vcc_lo
	v_min_f32_e32 v8, v8, v9
	s_delay_alu instid0(VALU_DEP_1)
	v_cvt_f64_f32_e32 v[8:9], v8
	global_store_b64 v[12:13], v[8:9], off
.LBB165_129:
	s_or_b32 exec_lo, exec_lo, s4
	v_add_nc_u32_e32 v14, 32, v11
	s_delay_alu instid0(VALU_DEP_1) | instskip(SKIP_2) | instid1(VALU_DEP_3)
	v_mad_i64_i32 v[8:9], null, v14, s6, 0
	v_mad_i64_i32 v[12:13], null, v14, s5, 0
	v_cmp_gt_i32_e64 s4, s9, v14
	v_lshlrev_b64 v[8:9], 3, v[8:9]
	s_delay_alu instid0(VALU_DEP_2) | instskip(NEXT) | instid1(VALU_DEP_3)
	s_and_b32 s8, s0, s4
	v_lshlrev_b64 v[12:13], 3, v[12:13]
	s_delay_alu instid0(VALU_DEP_2) | instskip(NEXT) | instid1(VALU_DEP_3)
	v_add_co_u32 v14, vcc_lo, s20, v8
	v_add_co_ci_u32_e32 v15, vcc_lo, s21, v9, vcc_lo
	s_delay_alu instid0(VALU_DEP_3) | instskip(NEXT) | instid1(VALU_DEP_4)
	v_add_co_u32 v12, vcc_lo, s10, v12
	v_add_co_ci_u32_e32 v13, vcc_lo, s11, v13, vcc_lo
	s_and_saveexec_b32 s7, s8
	s_cbranch_execnz .LBB165_133
; %bb.130:
	s_or_b32 exec_lo, exec_lo, s7
	s_and_b32 s8, s1, s4
	s_delay_alu instid0(SALU_CYCLE_1)
	s_and_saveexec_b32 s7, s8
	s_cbranch_execnz .LBB165_137
.LBB165_131:
	s_or_b32 exec_lo, exec_lo, s7
	s_and_b32 s8, s2, s4
	s_delay_alu instid0(SALU_CYCLE_1)
	s_and_saveexec_b32 s7, s8
	s_cbranch_execnz .LBB165_141
.LBB165_132:
	s_or_b32 exec_lo, exec_lo, s7
	s_and_b32 s7, s3, s4
	s_delay_alu instid0(SALU_CYCLE_1)
	s_and_saveexec_b32 s4, s7
	s_cbranch_execnz .LBB165_145
	s_branch .LBB165_149
.LBB165_133:
	v_cmp_ne_u32_e32 vcc_lo, 1, v10
	s_cbranch_vccnz .LBB165_135
; %bb.134:
	v_lshlrev_b64 v[8:9], 3, v[0:1]
	s_delay_alu instid0(VALU_DEP_1) | instskip(NEXT) | instid1(VALU_DEP_2)
	v_add_co_u32 v8, vcc_lo, v14, v8
	v_add_co_ci_u32_e32 v9, vcc_lo, v15, v9, vcc_lo
	flat_load_b64 v[8:9], v[8:9]
	s_waitcnt vmcnt(0) lgkmcnt(0)
	v_mul_f64 v[8:9], s[12:13], v[8:9]
	s_branch .LBB165_136
.LBB165_135:
	v_mov_b32_e32 v8, 0
	v_mov_b32_e32 v9, 0
.LBB165_136:
	s_delay_alu instid0(VALU_DEP_1) | instskip(SKIP_2) | instid1(VALU_DEP_1)
	v_cvt_f32_f64_e32 v8, v[8:9]
	v_max_f32_e32 v9, v119, v119
	v_lshlrev_b64 v[16:17], 3, v[0:1]
	v_add_co_u32 v16, vcc_lo, v12, v16
	s_delay_alu instid0(VALU_DEP_2) | instskip(NEXT) | instid1(VALU_DEP_4)
	v_add_co_ci_u32_e32 v17, vcc_lo, v13, v17, vcc_lo
	v_min_f32_e32 v8, v8, v9
	s_delay_alu instid0(VALU_DEP_1) | instskip(SKIP_3) | instid1(SALU_CYCLE_1)
	v_cvt_f64_f32_e32 v[8:9], v8
	global_store_b64 v[16:17], v[8:9], off
	s_or_b32 exec_lo, exec_lo, s7
	s_and_b32 s8, s1, s4
	s_and_saveexec_b32 s7, s8
	s_cbranch_execz .LBB165_131
.LBB165_137:
	v_cmp_ne_u32_e32 vcc_lo, 1, v10
	s_cbranch_vccnz .LBB165_139
; %bb.138:
	v_lshlrev_b64 v[8:9], 3, v[2:3]
	s_delay_alu instid0(VALU_DEP_1) | instskip(NEXT) | instid1(VALU_DEP_2)
	v_add_co_u32 v8, vcc_lo, v14, v8
	v_add_co_ci_u32_e32 v9, vcc_lo, v15, v9, vcc_lo
	flat_load_b64 v[8:9], v[8:9]
	s_waitcnt vmcnt(0) lgkmcnt(0)
	v_mul_f64 v[8:9], s[12:13], v[8:9]
	s_branch .LBB165_140
.LBB165_139:
	v_mov_b32_e32 v8, 0
	v_mov_b32_e32 v9, 0
.LBB165_140:
	s_delay_alu instid0(VALU_DEP_1) | instskip(SKIP_2) | instid1(VALU_DEP_1)
	v_cvt_f32_f64_e32 v8, v[8:9]
	v_max_f32_e32 v9, v118, v118
	v_lshlrev_b64 v[16:17], 3, v[2:3]
	v_add_co_u32 v16, vcc_lo, v12, v16
	s_delay_alu instid0(VALU_DEP_2) | instskip(NEXT) | instid1(VALU_DEP_4)
	v_add_co_ci_u32_e32 v17, vcc_lo, v13, v17, vcc_lo
	v_min_f32_e32 v8, v8, v9
	s_delay_alu instid0(VALU_DEP_1) | instskip(SKIP_3) | instid1(SALU_CYCLE_1)
	v_cvt_f64_f32_e32 v[8:9], v8
	global_store_b64 v[16:17], v[8:9], off
	s_or_b32 exec_lo, exec_lo, s7
	s_and_b32 s8, s2, s4
	s_and_saveexec_b32 s7, s8
	s_cbranch_execz .LBB165_132
.LBB165_141:
	v_cmp_ne_u32_e32 vcc_lo, 1, v10
	s_cbranch_vccnz .LBB165_143
; %bb.142:
	v_lshlrev_b64 v[8:9], 3, v[4:5]
	s_delay_alu instid0(VALU_DEP_1) | instskip(NEXT) | instid1(VALU_DEP_2)
	v_add_co_u32 v8, vcc_lo, v14, v8
	v_add_co_ci_u32_e32 v9, vcc_lo, v15, v9, vcc_lo
	flat_load_b64 v[8:9], v[8:9]
	s_waitcnt vmcnt(0) lgkmcnt(0)
	v_mul_f64 v[8:9], s[12:13], v[8:9]
	s_branch .LBB165_144
.LBB165_143:
	v_mov_b32_e32 v8, 0
	v_mov_b32_e32 v9, 0
.LBB165_144:
	s_delay_alu instid0(VALU_DEP_1) | instskip(SKIP_2) | instid1(VALU_DEP_1)
	v_cvt_f32_f64_e32 v8, v[8:9]
	v_max_f32_e32 v9, v117, v117
	v_lshlrev_b64 v[16:17], 3, v[4:5]
	v_add_co_u32 v16, vcc_lo, v12, v16
	s_delay_alu instid0(VALU_DEP_2) | instskip(NEXT) | instid1(VALU_DEP_4)
	v_add_co_ci_u32_e32 v17, vcc_lo, v13, v17, vcc_lo
	v_min_f32_e32 v8, v8, v9
	s_delay_alu instid0(VALU_DEP_1) | instskip(SKIP_3) | instid1(SALU_CYCLE_1)
	v_cvt_f64_f32_e32 v[8:9], v8
	global_store_b64 v[16:17], v[8:9], off
	s_or_b32 exec_lo, exec_lo, s7
	s_and_b32 s7, s3, s4
	s_and_saveexec_b32 s4, s7
	s_cbranch_execz .LBB165_149
.LBB165_145:
	v_cmp_ne_u32_e32 vcc_lo, 1, v10
	s_cbranch_vccnz .LBB165_147
; %bb.146:
	v_lshlrev_b64 v[8:9], 3, v[6:7]
	s_delay_alu instid0(VALU_DEP_1) | instskip(NEXT) | instid1(VALU_DEP_2)
	v_add_co_u32 v8, vcc_lo, v14, v8
	v_add_co_ci_u32_e32 v9, vcc_lo, v15, v9, vcc_lo
	flat_load_b64 v[8:9], v[8:9]
	s_waitcnt vmcnt(0) lgkmcnt(0)
	v_mul_f64 v[8:9], s[12:13], v[8:9]
	s_branch .LBB165_148
.LBB165_147:
	v_mov_b32_e32 v8, 0
	v_mov_b32_e32 v9, 0
.LBB165_148:
	s_delay_alu instid0(VALU_DEP_1) | instskip(SKIP_2) | instid1(VALU_DEP_1)
	v_cvt_f32_f64_e32 v8, v[8:9]
	v_max_f32_e32 v9, v116, v116
	v_lshlrev_b64 v[14:15], 3, v[6:7]
	v_add_co_u32 v12, vcc_lo, v12, v14
	s_delay_alu instid0(VALU_DEP_2) | instskip(NEXT) | instid1(VALU_DEP_4)
	v_add_co_ci_u32_e32 v13, vcc_lo, v13, v15, vcc_lo
	v_min_f32_e32 v8, v8, v9
	s_delay_alu instid0(VALU_DEP_1)
	v_cvt_f64_f32_e32 v[8:9], v8
	global_store_b64 v[12:13], v[8:9], off
.LBB165_149:
	s_or_b32 exec_lo, exec_lo, s4
	v_add_nc_u32_e32 v14, 40, v11
	s_delay_alu instid0(VALU_DEP_1) | instskip(SKIP_2) | instid1(VALU_DEP_3)
	v_mad_i64_i32 v[8:9], null, v14, s6, 0
	v_mad_i64_i32 v[12:13], null, v14, s5, 0
	v_cmp_gt_i32_e64 s4, s9, v14
	v_lshlrev_b64 v[8:9], 3, v[8:9]
	s_delay_alu instid0(VALU_DEP_2) | instskip(NEXT) | instid1(VALU_DEP_3)
	s_and_b32 s8, s0, s4
	v_lshlrev_b64 v[12:13], 3, v[12:13]
	s_delay_alu instid0(VALU_DEP_2) | instskip(NEXT) | instid1(VALU_DEP_3)
	v_add_co_u32 v14, vcc_lo, s20, v8
	v_add_co_ci_u32_e32 v15, vcc_lo, s21, v9, vcc_lo
	s_delay_alu instid0(VALU_DEP_3) | instskip(NEXT) | instid1(VALU_DEP_4)
	v_add_co_u32 v12, vcc_lo, s10, v12
	v_add_co_ci_u32_e32 v13, vcc_lo, s11, v13, vcc_lo
	s_and_saveexec_b32 s7, s8
	s_cbranch_execnz .LBB165_153
; %bb.150:
	s_or_b32 exec_lo, exec_lo, s7
	s_and_b32 s8, s1, s4
	s_delay_alu instid0(SALU_CYCLE_1)
	s_and_saveexec_b32 s7, s8
	s_cbranch_execnz .LBB165_157
.LBB165_151:
	s_or_b32 exec_lo, exec_lo, s7
	s_and_b32 s8, s2, s4
	s_delay_alu instid0(SALU_CYCLE_1)
	s_and_saveexec_b32 s7, s8
	s_cbranch_execnz .LBB165_161
.LBB165_152:
	s_or_b32 exec_lo, exec_lo, s7
	s_and_b32 s7, s3, s4
	s_delay_alu instid0(SALU_CYCLE_1)
	s_and_saveexec_b32 s4, s7
	s_cbranch_execnz .LBB165_165
	s_branch .LBB165_169
.LBB165_153:
	v_cmp_ne_u32_e32 vcc_lo, 1, v10
	s_cbranch_vccnz .LBB165_155
; %bb.154:
	v_lshlrev_b64 v[8:9], 3, v[0:1]
	s_delay_alu instid0(VALU_DEP_1) | instskip(NEXT) | instid1(VALU_DEP_2)
	v_add_co_u32 v8, vcc_lo, v14, v8
	v_add_co_ci_u32_e32 v9, vcc_lo, v15, v9, vcc_lo
	flat_load_b64 v[8:9], v[8:9]
	s_waitcnt vmcnt(0) lgkmcnt(0)
	v_mul_f64 v[8:9], s[12:13], v[8:9]
	s_branch .LBB165_156
.LBB165_155:
	v_mov_b32_e32 v8, 0
	v_mov_b32_e32 v9, 0
.LBB165_156:
	s_delay_alu instid0(VALU_DEP_1) | instskip(SKIP_2) | instid1(VALU_DEP_1)
	v_cvt_f32_f64_e32 v8, v[8:9]
	v_max_f32_e32 v9, v115, v115
	v_lshlrev_b64 v[16:17], 3, v[0:1]
	v_add_co_u32 v16, vcc_lo, v12, v16
	s_delay_alu instid0(VALU_DEP_2) | instskip(NEXT) | instid1(VALU_DEP_4)
	v_add_co_ci_u32_e32 v17, vcc_lo, v13, v17, vcc_lo
	v_min_f32_e32 v8, v8, v9
	s_delay_alu instid0(VALU_DEP_1) | instskip(SKIP_3) | instid1(SALU_CYCLE_1)
	v_cvt_f64_f32_e32 v[8:9], v8
	global_store_b64 v[16:17], v[8:9], off
	s_or_b32 exec_lo, exec_lo, s7
	s_and_b32 s8, s1, s4
	s_and_saveexec_b32 s7, s8
	s_cbranch_execz .LBB165_151
.LBB165_157:
	v_cmp_ne_u32_e32 vcc_lo, 1, v10
	s_cbranch_vccnz .LBB165_159
; %bb.158:
	v_lshlrev_b64 v[8:9], 3, v[2:3]
	s_delay_alu instid0(VALU_DEP_1) | instskip(NEXT) | instid1(VALU_DEP_2)
	v_add_co_u32 v8, vcc_lo, v14, v8
	v_add_co_ci_u32_e32 v9, vcc_lo, v15, v9, vcc_lo
	flat_load_b64 v[8:9], v[8:9]
	s_waitcnt vmcnt(0) lgkmcnt(0)
	v_mul_f64 v[8:9], s[12:13], v[8:9]
	s_branch .LBB165_160
.LBB165_159:
	v_mov_b32_e32 v8, 0
	v_mov_b32_e32 v9, 0
.LBB165_160:
	s_delay_alu instid0(VALU_DEP_1) | instskip(SKIP_2) | instid1(VALU_DEP_1)
	v_cvt_f32_f64_e32 v8, v[8:9]
	v_max_f32_e32 v9, v114, v114
	v_lshlrev_b64 v[16:17], 3, v[2:3]
	v_add_co_u32 v16, vcc_lo, v12, v16
	s_delay_alu instid0(VALU_DEP_2) | instskip(NEXT) | instid1(VALU_DEP_4)
	v_add_co_ci_u32_e32 v17, vcc_lo, v13, v17, vcc_lo
	v_min_f32_e32 v8, v8, v9
	s_delay_alu instid0(VALU_DEP_1) | instskip(SKIP_3) | instid1(SALU_CYCLE_1)
	v_cvt_f64_f32_e32 v[8:9], v8
	global_store_b64 v[16:17], v[8:9], off
	s_or_b32 exec_lo, exec_lo, s7
	s_and_b32 s8, s2, s4
	s_and_saveexec_b32 s7, s8
	s_cbranch_execz .LBB165_152
.LBB165_161:
	v_cmp_ne_u32_e32 vcc_lo, 1, v10
	s_cbranch_vccnz .LBB165_163
; %bb.162:
	v_lshlrev_b64 v[8:9], 3, v[4:5]
	s_delay_alu instid0(VALU_DEP_1) | instskip(NEXT) | instid1(VALU_DEP_2)
	v_add_co_u32 v8, vcc_lo, v14, v8
	v_add_co_ci_u32_e32 v9, vcc_lo, v15, v9, vcc_lo
	flat_load_b64 v[8:9], v[8:9]
	s_waitcnt vmcnt(0) lgkmcnt(0)
	v_mul_f64 v[8:9], s[12:13], v[8:9]
	s_branch .LBB165_164
.LBB165_163:
	v_mov_b32_e32 v8, 0
	v_mov_b32_e32 v9, 0
.LBB165_164:
	s_delay_alu instid0(VALU_DEP_1) | instskip(SKIP_2) | instid1(VALU_DEP_1)
	v_cvt_f32_f64_e32 v8, v[8:9]
	v_max_f32_e32 v9, v113, v113
	v_lshlrev_b64 v[16:17], 3, v[4:5]
	v_add_co_u32 v16, vcc_lo, v12, v16
	s_delay_alu instid0(VALU_DEP_2) | instskip(NEXT) | instid1(VALU_DEP_4)
	v_add_co_ci_u32_e32 v17, vcc_lo, v13, v17, vcc_lo
	v_min_f32_e32 v8, v8, v9
	s_delay_alu instid0(VALU_DEP_1) | instskip(SKIP_3) | instid1(SALU_CYCLE_1)
	v_cvt_f64_f32_e32 v[8:9], v8
	global_store_b64 v[16:17], v[8:9], off
	s_or_b32 exec_lo, exec_lo, s7
	s_and_b32 s7, s3, s4
	s_and_saveexec_b32 s4, s7
	s_cbranch_execz .LBB165_169
.LBB165_165:
	v_cmp_ne_u32_e32 vcc_lo, 1, v10
	s_cbranch_vccnz .LBB165_167
; %bb.166:
	v_lshlrev_b64 v[8:9], 3, v[6:7]
	s_delay_alu instid0(VALU_DEP_1) | instskip(NEXT) | instid1(VALU_DEP_2)
	v_add_co_u32 v8, vcc_lo, v14, v8
	v_add_co_ci_u32_e32 v9, vcc_lo, v15, v9, vcc_lo
	flat_load_b64 v[8:9], v[8:9]
	s_waitcnt vmcnt(0) lgkmcnt(0)
	v_mul_f64 v[8:9], s[12:13], v[8:9]
	s_branch .LBB165_168
.LBB165_167:
	v_mov_b32_e32 v8, 0
	v_mov_b32_e32 v9, 0
.LBB165_168:
	s_delay_alu instid0(VALU_DEP_1) | instskip(SKIP_2) | instid1(VALU_DEP_1)
	v_cvt_f32_f64_e32 v8, v[8:9]
	v_max_f32_e32 v9, v112, v112
	v_lshlrev_b64 v[14:15], 3, v[6:7]
	v_add_co_u32 v12, vcc_lo, v12, v14
	s_delay_alu instid0(VALU_DEP_2) | instskip(NEXT) | instid1(VALU_DEP_4)
	v_add_co_ci_u32_e32 v13, vcc_lo, v13, v15, vcc_lo
	v_min_f32_e32 v8, v8, v9
	s_delay_alu instid0(VALU_DEP_1)
	v_cvt_f64_f32_e32 v[8:9], v8
	global_store_b64 v[12:13], v[8:9], off
.LBB165_169:
	s_or_b32 exec_lo, exec_lo, s4
	v_add_nc_u32_e32 v14, 48, v11
	s_delay_alu instid0(VALU_DEP_1) | instskip(SKIP_2) | instid1(VALU_DEP_3)
	v_mad_i64_i32 v[8:9], null, v14, s6, 0
	v_mad_i64_i32 v[12:13], null, v14, s5, 0
	v_cmp_gt_i32_e64 s4, s9, v14
	v_lshlrev_b64 v[8:9], 3, v[8:9]
	s_delay_alu instid0(VALU_DEP_2) | instskip(NEXT) | instid1(VALU_DEP_3)
	s_and_b32 s8, s0, s4
	v_lshlrev_b64 v[12:13], 3, v[12:13]
	s_delay_alu instid0(VALU_DEP_2) | instskip(NEXT) | instid1(VALU_DEP_3)
	v_add_co_u32 v14, vcc_lo, s20, v8
	v_add_co_ci_u32_e32 v15, vcc_lo, s21, v9, vcc_lo
	s_delay_alu instid0(VALU_DEP_3) | instskip(NEXT) | instid1(VALU_DEP_4)
	v_add_co_u32 v12, vcc_lo, s10, v12
	v_add_co_ci_u32_e32 v13, vcc_lo, s11, v13, vcc_lo
	s_and_saveexec_b32 s7, s8
	s_cbranch_execnz .LBB165_173
; %bb.170:
	s_or_b32 exec_lo, exec_lo, s7
	s_and_b32 s8, s1, s4
	s_delay_alu instid0(SALU_CYCLE_1)
	s_and_saveexec_b32 s7, s8
	s_cbranch_execnz .LBB165_177
.LBB165_171:
	s_or_b32 exec_lo, exec_lo, s7
	s_and_b32 s8, s2, s4
	s_delay_alu instid0(SALU_CYCLE_1)
	s_and_saveexec_b32 s7, s8
	s_cbranch_execnz .LBB165_181
.LBB165_172:
	s_or_b32 exec_lo, exec_lo, s7
	s_and_b32 s7, s3, s4
	s_delay_alu instid0(SALU_CYCLE_1)
	s_and_saveexec_b32 s4, s7
	s_cbranch_execnz .LBB165_185
	s_branch .LBB165_189
.LBB165_173:
	v_cmp_ne_u32_e32 vcc_lo, 1, v10
	s_cbranch_vccnz .LBB165_175
; %bb.174:
	v_lshlrev_b64 v[8:9], 3, v[0:1]
	s_delay_alu instid0(VALU_DEP_1) | instskip(NEXT) | instid1(VALU_DEP_2)
	v_add_co_u32 v8, vcc_lo, v14, v8
	v_add_co_ci_u32_e32 v9, vcc_lo, v15, v9, vcc_lo
	flat_load_b64 v[8:9], v[8:9]
	s_waitcnt vmcnt(0) lgkmcnt(0)
	v_mul_f64 v[8:9], s[12:13], v[8:9]
	s_branch .LBB165_176
.LBB165_175:
	v_mov_b32_e32 v8, 0
	v_mov_b32_e32 v9, 0
.LBB165_176:
	s_delay_alu instid0(VALU_DEP_1) | instskip(SKIP_2) | instid1(VALU_DEP_1)
	v_cvt_f32_f64_e32 v8, v[8:9]
	v_max_f32_e32 v9, v111, v111
	v_lshlrev_b64 v[16:17], 3, v[0:1]
	v_add_co_u32 v16, vcc_lo, v12, v16
	s_delay_alu instid0(VALU_DEP_2) | instskip(NEXT) | instid1(VALU_DEP_4)
	v_add_co_ci_u32_e32 v17, vcc_lo, v13, v17, vcc_lo
	v_min_f32_e32 v8, v8, v9
	s_delay_alu instid0(VALU_DEP_1) | instskip(SKIP_3) | instid1(SALU_CYCLE_1)
	v_cvt_f64_f32_e32 v[8:9], v8
	global_store_b64 v[16:17], v[8:9], off
	s_or_b32 exec_lo, exec_lo, s7
	s_and_b32 s8, s1, s4
	s_and_saveexec_b32 s7, s8
	s_cbranch_execz .LBB165_171
.LBB165_177:
	v_cmp_ne_u32_e32 vcc_lo, 1, v10
	s_cbranch_vccnz .LBB165_179
; %bb.178:
	v_lshlrev_b64 v[8:9], 3, v[2:3]
	s_delay_alu instid0(VALU_DEP_1) | instskip(NEXT) | instid1(VALU_DEP_2)
	v_add_co_u32 v8, vcc_lo, v14, v8
	v_add_co_ci_u32_e32 v9, vcc_lo, v15, v9, vcc_lo
	flat_load_b64 v[8:9], v[8:9]
	s_waitcnt vmcnt(0) lgkmcnt(0)
	v_mul_f64 v[8:9], s[12:13], v[8:9]
	s_branch .LBB165_180
.LBB165_179:
	v_mov_b32_e32 v8, 0
	v_mov_b32_e32 v9, 0
.LBB165_180:
	s_delay_alu instid0(VALU_DEP_1) | instskip(SKIP_2) | instid1(VALU_DEP_1)
	v_cvt_f32_f64_e32 v8, v[8:9]
	v_max_f32_e32 v9, v110, v110
	v_lshlrev_b64 v[16:17], 3, v[2:3]
	v_add_co_u32 v16, vcc_lo, v12, v16
	s_delay_alu instid0(VALU_DEP_2) | instskip(NEXT) | instid1(VALU_DEP_4)
	v_add_co_ci_u32_e32 v17, vcc_lo, v13, v17, vcc_lo
	v_min_f32_e32 v8, v8, v9
	s_delay_alu instid0(VALU_DEP_1) | instskip(SKIP_3) | instid1(SALU_CYCLE_1)
	v_cvt_f64_f32_e32 v[8:9], v8
	global_store_b64 v[16:17], v[8:9], off
	s_or_b32 exec_lo, exec_lo, s7
	s_and_b32 s8, s2, s4
	s_and_saveexec_b32 s7, s8
	s_cbranch_execz .LBB165_172
.LBB165_181:
	v_cmp_ne_u32_e32 vcc_lo, 1, v10
	s_cbranch_vccnz .LBB165_183
; %bb.182:
	v_lshlrev_b64 v[8:9], 3, v[4:5]
	s_delay_alu instid0(VALU_DEP_1) | instskip(NEXT) | instid1(VALU_DEP_2)
	v_add_co_u32 v8, vcc_lo, v14, v8
	v_add_co_ci_u32_e32 v9, vcc_lo, v15, v9, vcc_lo
	flat_load_b64 v[8:9], v[8:9]
	s_waitcnt vmcnt(0) lgkmcnt(0)
	v_mul_f64 v[8:9], s[12:13], v[8:9]
	s_branch .LBB165_184
.LBB165_183:
	v_mov_b32_e32 v8, 0
	v_mov_b32_e32 v9, 0
.LBB165_184:
	s_delay_alu instid0(VALU_DEP_1) | instskip(SKIP_2) | instid1(VALU_DEP_1)
	v_cvt_f32_f64_e32 v8, v[8:9]
	v_max_f32_e32 v9, v109, v109
	v_lshlrev_b64 v[16:17], 3, v[4:5]
	v_add_co_u32 v16, vcc_lo, v12, v16
	s_delay_alu instid0(VALU_DEP_2) | instskip(NEXT) | instid1(VALU_DEP_4)
	v_add_co_ci_u32_e32 v17, vcc_lo, v13, v17, vcc_lo
	v_min_f32_e32 v8, v8, v9
	s_delay_alu instid0(VALU_DEP_1) | instskip(SKIP_3) | instid1(SALU_CYCLE_1)
	v_cvt_f64_f32_e32 v[8:9], v8
	global_store_b64 v[16:17], v[8:9], off
	s_or_b32 exec_lo, exec_lo, s7
	s_and_b32 s7, s3, s4
	s_and_saveexec_b32 s4, s7
	s_cbranch_execz .LBB165_189
.LBB165_185:
	v_cmp_ne_u32_e32 vcc_lo, 1, v10
	s_cbranch_vccnz .LBB165_187
; %bb.186:
	v_lshlrev_b64 v[8:9], 3, v[6:7]
	s_delay_alu instid0(VALU_DEP_1) | instskip(NEXT) | instid1(VALU_DEP_2)
	v_add_co_u32 v8, vcc_lo, v14, v8
	v_add_co_ci_u32_e32 v9, vcc_lo, v15, v9, vcc_lo
	flat_load_b64 v[8:9], v[8:9]
	s_waitcnt vmcnt(0) lgkmcnt(0)
	v_mul_f64 v[8:9], s[12:13], v[8:9]
	s_branch .LBB165_188
.LBB165_187:
	v_mov_b32_e32 v8, 0
	v_mov_b32_e32 v9, 0
.LBB165_188:
	s_delay_alu instid0(VALU_DEP_1) | instskip(SKIP_2) | instid1(VALU_DEP_1)
	v_cvt_f32_f64_e32 v8, v[8:9]
	v_max_f32_e32 v9, v108, v108
	v_lshlrev_b64 v[14:15], 3, v[6:7]
	v_add_co_u32 v12, vcc_lo, v12, v14
	s_delay_alu instid0(VALU_DEP_2) | instskip(NEXT) | instid1(VALU_DEP_4)
	v_add_co_ci_u32_e32 v13, vcc_lo, v13, v15, vcc_lo
	v_min_f32_e32 v8, v8, v9
	s_delay_alu instid0(VALU_DEP_1)
	v_cvt_f64_f32_e32 v[8:9], v8
	global_store_b64 v[12:13], v[8:9], off
.LBB165_189:
	s_or_b32 exec_lo, exec_lo, s4
	v_add_nc_u32_e32 v14, 56, v11
	s_delay_alu instid0(VALU_DEP_1) | instskip(SKIP_2) | instid1(VALU_DEP_3)
	v_mad_i64_i32 v[8:9], null, v14, s6, 0
	v_mad_i64_i32 v[12:13], null, v14, s5, 0
	v_cmp_gt_i32_e64 s4, s9, v14
	v_lshlrev_b64 v[8:9], 3, v[8:9]
	s_delay_alu instid0(VALU_DEP_2) | instskip(NEXT) | instid1(VALU_DEP_3)
	s_and_b32 s8, s0, s4
	v_lshlrev_b64 v[12:13], 3, v[12:13]
	s_delay_alu instid0(VALU_DEP_2) | instskip(NEXT) | instid1(VALU_DEP_3)
	v_add_co_u32 v14, vcc_lo, s20, v8
	v_add_co_ci_u32_e32 v15, vcc_lo, s21, v9, vcc_lo
	s_delay_alu instid0(VALU_DEP_3) | instskip(NEXT) | instid1(VALU_DEP_4)
	v_add_co_u32 v12, vcc_lo, s10, v12
	v_add_co_ci_u32_e32 v13, vcc_lo, s11, v13, vcc_lo
	s_and_saveexec_b32 s7, s8
	s_cbranch_execnz .LBB165_193
; %bb.190:
	s_or_b32 exec_lo, exec_lo, s7
	s_and_b32 s8, s1, s4
	s_delay_alu instid0(SALU_CYCLE_1)
	s_and_saveexec_b32 s7, s8
	s_cbranch_execnz .LBB165_197
.LBB165_191:
	s_or_b32 exec_lo, exec_lo, s7
	s_and_b32 s8, s2, s4
	s_delay_alu instid0(SALU_CYCLE_1)
	s_and_saveexec_b32 s7, s8
	s_cbranch_execnz .LBB165_201
.LBB165_192:
	s_or_b32 exec_lo, exec_lo, s7
	s_and_b32 s7, s3, s4
	s_delay_alu instid0(SALU_CYCLE_1)
	s_and_saveexec_b32 s4, s7
	s_cbranch_execnz .LBB165_205
	s_branch .LBB165_209
.LBB165_193:
	v_cmp_ne_u32_e32 vcc_lo, 1, v10
	s_cbranch_vccnz .LBB165_195
; %bb.194:
	v_lshlrev_b64 v[8:9], 3, v[0:1]
	s_delay_alu instid0(VALU_DEP_1) | instskip(NEXT) | instid1(VALU_DEP_2)
	v_add_co_u32 v8, vcc_lo, v14, v8
	v_add_co_ci_u32_e32 v9, vcc_lo, v15, v9, vcc_lo
	flat_load_b64 v[8:9], v[8:9]
	s_waitcnt vmcnt(0) lgkmcnt(0)
	v_mul_f64 v[8:9], s[12:13], v[8:9]
	s_branch .LBB165_196
.LBB165_195:
	v_mov_b32_e32 v8, 0
	v_mov_b32_e32 v9, 0
.LBB165_196:
	s_delay_alu instid0(VALU_DEP_1) | instskip(SKIP_2) | instid1(VALU_DEP_1)
	v_cvt_f32_f64_e32 v8, v[8:9]
	v_max_f32_e32 v9, v107, v107
	v_lshlrev_b64 v[16:17], 3, v[0:1]
	v_add_co_u32 v16, vcc_lo, v12, v16
	s_delay_alu instid0(VALU_DEP_2) | instskip(NEXT) | instid1(VALU_DEP_4)
	v_add_co_ci_u32_e32 v17, vcc_lo, v13, v17, vcc_lo
	v_min_f32_e32 v8, v8, v9
	s_delay_alu instid0(VALU_DEP_1) | instskip(SKIP_3) | instid1(SALU_CYCLE_1)
	v_cvt_f64_f32_e32 v[8:9], v8
	global_store_b64 v[16:17], v[8:9], off
	s_or_b32 exec_lo, exec_lo, s7
	s_and_b32 s8, s1, s4
	s_and_saveexec_b32 s7, s8
	s_cbranch_execz .LBB165_191
.LBB165_197:
	v_cmp_ne_u32_e32 vcc_lo, 1, v10
	s_cbranch_vccnz .LBB165_199
; %bb.198:
	v_lshlrev_b64 v[8:9], 3, v[2:3]
	s_delay_alu instid0(VALU_DEP_1) | instskip(NEXT) | instid1(VALU_DEP_2)
	v_add_co_u32 v8, vcc_lo, v14, v8
	v_add_co_ci_u32_e32 v9, vcc_lo, v15, v9, vcc_lo
	flat_load_b64 v[8:9], v[8:9]
	s_waitcnt vmcnt(0) lgkmcnt(0)
	v_mul_f64 v[8:9], s[12:13], v[8:9]
	s_branch .LBB165_200
.LBB165_199:
	v_mov_b32_e32 v8, 0
	v_mov_b32_e32 v9, 0
.LBB165_200:
	s_delay_alu instid0(VALU_DEP_1) | instskip(SKIP_2) | instid1(VALU_DEP_1)
	v_cvt_f32_f64_e32 v8, v[8:9]
	v_max_f32_e32 v9, v106, v106
	v_lshlrev_b64 v[16:17], 3, v[2:3]
	v_add_co_u32 v16, vcc_lo, v12, v16
	s_delay_alu instid0(VALU_DEP_2) | instskip(NEXT) | instid1(VALU_DEP_4)
	v_add_co_ci_u32_e32 v17, vcc_lo, v13, v17, vcc_lo
	v_min_f32_e32 v8, v8, v9
	s_delay_alu instid0(VALU_DEP_1) | instskip(SKIP_3) | instid1(SALU_CYCLE_1)
	v_cvt_f64_f32_e32 v[8:9], v8
	global_store_b64 v[16:17], v[8:9], off
	s_or_b32 exec_lo, exec_lo, s7
	s_and_b32 s8, s2, s4
	s_and_saveexec_b32 s7, s8
	s_cbranch_execz .LBB165_192
.LBB165_201:
	v_cmp_ne_u32_e32 vcc_lo, 1, v10
	s_cbranch_vccnz .LBB165_203
; %bb.202:
	v_lshlrev_b64 v[8:9], 3, v[4:5]
	s_delay_alu instid0(VALU_DEP_1) | instskip(NEXT) | instid1(VALU_DEP_2)
	v_add_co_u32 v8, vcc_lo, v14, v8
	v_add_co_ci_u32_e32 v9, vcc_lo, v15, v9, vcc_lo
	flat_load_b64 v[8:9], v[8:9]
	s_waitcnt vmcnt(0) lgkmcnt(0)
	v_mul_f64 v[8:9], s[12:13], v[8:9]
	s_branch .LBB165_204
.LBB165_203:
	v_mov_b32_e32 v8, 0
	v_mov_b32_e32 v9, 0
.LBB165_204:
	s_delay_alu instid0(VALU_DEP_1) | instskip(SKIP_2) | instid1(VALU_DEP_1)
	v_cvt_f32_f64_e32 v8, v[8:9]
	v_max_f32_e32 v9, v105, v105
	v_lshlrev_b64 v[16:17], 3, v[4:5]
	v_add_co_u32 v16, vcc_lo, v12, v16
	s_delay_alu instid0(VALU_DEP_2) | instskip(NEXT) | instid1(VALU_DEP_4)
	v_add_co_ci_u32_e32 v17, vcc_lo, v13, v17, vcc_lo
	v_min_f32_e32 v8, v8, v9
	s_delay_alu instid0(VALU_DEP_1) | instskip(SKIP_3) | instid1(SALU_CYCLE_1)
	v_cvt_f64_f32_e32 v[8:9], v8
	global_store_b64 v[16:17], v[8:9], off
	s_or_b32 exec_lo, exec_lo, s7
	s_and_b32 s7, s3, s4
	s_and_saveexec_b32 s4, s7
	s_cbranch_execz .LBB165_209
.LBB165_205:
	v_cmp_ne_u32_e32 vcc_lo, 1, v10
	s_cbranch_vccnz .LBB165_207
; %bb.206:
	v_lshlrev_b64 v[8:9], 3, v[6:7]
	s_delay_alu instid0(VALU_DEP_1) | instskip(NEXT) | instid1(VALU_DEP_2)
	v_add_co_u32 v8, vcc_lo, v14, v8
	v_add_co_ci_u32_e32 v9, vcc_lo, v15, v9, vcc_lo
	flat_load_b64 v[8:9], v[8:9]
	s_waitcnt vmcnt(0) lgkmcnt(0)
	v_mul_f64 v[8:9], s[12:13], v[8:9]
	s_branch .LBB165_208
.LBB165_207:
	v_mov_b32_e32 v8, 0
	v_mov_b32_e32 v9, 0
.LBB165_208:
	s_delay_alu instid0(VALU_DEP_1) | instskip(SKIP_2) | instid1(VALU_DEP_1)
	v_cvt_f32_f64_e32 v8, v[8:9]
	v_max_f32_e32 v9, v104, v104
	v_lshlrev_b64 v[14:15], 3, v[6:7]
	v_add_co_u32 v12, vcc_lo, v12, v14
	s_delay_alu instid0(VALU_DEP_2) | instskip(NEXT) | instid1(VALU_DEP_4)
	v_add_co_ci_u32_e32 v13, vcc_lo, v13, v15, vcc_lo
	v_min_f32_e32 v8, v8, v9
	s_delay_alu instid0(VALU_DEP_1)
	v_cvt_f64_f32_e32 v[8:9], v8
	global_store_b64 v[12:13], v[8:9], off
.LBB165_209:
	s_or_b32 exec_lo, exec_lo, s4
	v_add_nc_u32_e32 v14, 64, v11
	s_delay_alu instid0(VALU_DEP_1) | instskip(SKIP_2) | instid1(VALU_DEP_3)
	v_mad_i64_i32 v[8:9], null, v14, s6, 0
	v_mad_i64_i32 v[12:13], null, v14, s5, 0
	v_cmp_gt_i32_e64 s4, s9, v14
	v_lshlrev_b64 v[8:9], 3, v[8:9]
	s_delay_alu instid0(VALU_DEP_2) | instskip(NEXT) | instid1(VALU_DEP_3)
	s_and_b32 s8, s0, s4
	v_lshlrev_b64 v[12:13], 3, v[12:13]
	s_delay_alu instid0(VALU_DEP_2) | instskip(NEXT) | instid1(VALU_DEP_3)
	v_add_co_u32 v14, vcc_lo, s20, v8
	v_add_co_ci_u32_e32 v15, vcc_lo, s21, v9, vcc_lo
	s_delay_alu instid0(VALU_DEP_3) | instskip(NEXT) | instid1(VALU_DEP_4)
	v_add_co_u32 v12, vcc_lo, s10, v12
	v_add_co_ci_u32_e32 v13, vcc_lo, s11, v13, vcc_lo
	s_and_saveexec_b32 s7, s8
	s_cbranch_execnz .LBB165_213
; %bb.210:
	s_or_b32 exec_lo, exec_lo, s7
	s_and_b32 s8, s1, s4
	s_delay_alu instid0(SALU_CYCLE_1)
	s_and_saveexec_b32 s7, s8
	s_cbranch_execnz .LBB165_217
.LBB165_211:
	s_or_b32 exec_lo, exec_lo, s7
	s_and_b32 s8, s2, s4
	s_delay_alu instid0(SALU_CYCLE_1)
	s_and_saveexec_b32 s7, s8
	s_cbranch_execnz .LBB165_221
.LBB165_212:
	s_or_b32 exec_lo, exec_lo, s7
	s_and_b32 s7, s3, s4
	s_delay_alu instid0(SALU_CYCLE_1)
	s_and_saveexec_b32 s4, s7
	s_cbranch_execnz .LBB165_225
	s_branch .LBB165_229
.LBB165_213:
	v_cmp_ne_u32_e32 vcc_lo, 1, v10
	s_cbranch_vccnz .LBB165_215
; %bb.214:
	v_lshlrev_b64 v[8:9], 3, v[0:1]
	s_delay_alu instid0(VALU_DEP_1) | instskip(NEXT) | instid1(VALU_DEP_2)
	v_add_co_u32 v8, vcc_lo, v14, v8
	v_add_co_ci_u32_e32 v9, vcc_lo, v15, v9, vcc_lo
	flat_load_b64 v[8:9], v[8:9]
	s_waitcnt vmcnt(0) lgkmcnt(0)
	v_mul_f64 v[8:9], s[12:13], v[8:9]
	s_branch .LBB165_216
.LBB165_215:
	v_mov_b32_e32 v8, 0
	v_mov_b32_e32 v9, 0
.LBB165_216:
	s_delay_alu instid0(VALU_DEP_1) | instskip(SKIP_2) | instid1(VALU_DEP_1)
	v_cvt_f32_f64_e32 v8, v[8:9]
	v_max_f32_e32 v9, v103, v103
	v_lshlrev_b64 v[16:17], 3, v[0:1]
	v_add_co_u32 v16, vcc_lo, v12, v16
	s_delay_alu instid0(VALU_DEP_2) | instskip(NEXT) | instid1(VALU_DEP_4)
	v_add_co_ci_u32_e32 v17, vcc_lo, v13, v17, vcc_lo
	v_min_f32_e32 v8, v8, v9
	s_delay_alu instid0(VALU_DEP_1) | instskip(SKIP_3) | instid1(SALU_CYCLE_1)
	v_cvt_f64_f32_e32 v[8:9], v8
	global_store_b64 v[16:17], v[8:9], off
	s_or_b32 exec_lo, exec_lo, s7
	s_and_b32 s8, s1, s4
	s_and_saveexec_b32 s7, s8
	s_cbranch_execz .LBB165_211
.LBB165_217:
	v_cmp_ne_u32_e32 vcc_lo, 1, v10
	s_cbranch_vccnz .LBB165_219
; %bb.218:
	v_lshlrev_b64 v[8:9], 3, v[2:3]
	s_delay_alu instid0(VALU_DEP_1) | instskip(NEXT) | instid1(VALU_DEP_2)
	v_add_co_u32 v8, vcc_lo, v14, v8
	v_add_co_ci_u32_e32 v9, vcc_lo, v15, v9, vcc_lo
	flat_load_b64 v[8:9], v[8:9]
	s_waitcnt vmcnt(0) lgkmcnt(0)
	v_mul_f64 v[8:9], s[12:13], v[8:9]
	s_branch .LBB165_220
.LBB165_219:
	v_mov_b32_e32 v8, 0
	v_mov_b32_e32 v9, 0
.LBB165_220:
	s_delay_alu instid0(VALU_DEP_1) | instskip(SKIP_2) | instid1(VALU_DEP_1)
	v_cvt_f32_f64_e32 v8, v[8:9]
	v_max_f32_e32 v9, v102, v102
	v_lshlrev_b64 v[16:17], 3, v[2:3]
	v_add_co_u32 v16, vcc_lo, v12, v16
	s_delay_alu instid0(VALU_DEP_2) | instskip(NEXT) | instid1(VALU_DEP_4)
	v_add_co_ci_u32_e32 v17, vcc_lo, v13, v17, vcc_lo
	v_min_f32_e32 v8, v8, v9
	s_delay_alu instid0(VALU_DEP_1) | instskip(SKIP_3) | instid1(SALU_CYCLE_1)
	v_cvt_f64_f32_e32 v[8:9], v8
	global_store_b64 v[16:17], v[8:9], off
	s_or_b32 exec_lo, exec_lo, s7
	s_and_b32 s8, s2, s4
	s_and_saveexec_b32 s7, s8
	s_cbranch_execz .LBB165_212
.LBB165_221:
	v_cmp_ne_u32_e32 vcc_lo, 1, v10
	s_cbranch_vccnz .LBB165_223
; %bb.222:
	v_lshlrev_b64 v[8:9], 3, v[4:5]
	s_delay_alu instid0(VALU_DEP_1) | instskip(NEXT) | instid1(VALU_DEP_2)
	v_add_co_u32 v8, vcc_lo, v14, v8
	v_add_co_ci_u32_e32 v9, vcc_lo, v15, v9, vcc_lo
	flat_load_b64 v[8:9], v[8:9]
	s_waitcnt vmcnt(0) lgkmcnt(0)
	v_mul_f64 v[8:9], s[12:13], v[8:9]
	s_branch .LBB165_224
.LBB165_223:
	v_mov_b32_e32 v8, 0
	v_mov_b32_e32 v9, 0
.LBB165_224:
	s_delay_alu instid0(VALU_DEP_1) | instskip(SKIP_2) | instid1(VALU_DEP_1)
	v_cvt_f32_f64_e32 v8, v[8:9]
	v_max_f32_e32 v9, v101, v101
	v_lshlrev_b64 v[16:17], 3, v[4:5]
	v_add_co_u32 v16, vcc_lo, v12, v16
	s_delay_alu instid0(VALU_DEP_2) | instskip(NEXT) | instid1(VALU_DEP_4)
	v_add_co_ci_u32_e32 v17, vcc_lo, v13, v17, vcc_lo
	v_min_f32_e32 v8, v8, v9
	s_delay_alu instid0(VALU_DEP_1) | instskip(SKIP_3) | instid1(SALU_CYCLE_1)
	v_cvt_f64_f32_e32 v[8:9], v8
	global_store_b64 v[16:17], v[8:9], off
	s_or_b32 exec_lo, exec_lo, s7
	s_and_b32 s7, s3, s4
	s_and_saveexec_b32 s4, s7
	s_cbranch_execz .LBB165_229
.LBB165_225:
	v_cmp_ne_u32_e32 vcc_lo, 1, v10
	s_cbranch_vccnz .LBB165_227
; %bb.226:
	v_lshlrev_b64 v[8:9], 3, v[6:7]
	s_delay_alu instid0(VALU_DEP_1) | instskip(NEXT) | instid1(VALU_DEP_2)
	v_add_co_u32 v8, vcc_lo, v14, v8
	v_add_co_ci_u32_e32 v9, vcc_lo, v15, v9, vcc_lo
	flat_load_b64 v[8:9], v[8:9]
	s_waitcnt vmcnt(0) lgkmcnt(0)
	v_mul_f64 v[8:9], s[12:13], v[8:9]
	s_branch .LBB165_228
.LBB165_227:
	v_mov_b32_e32 v8, 0
	v_mov_b32_e32 v9, 0
.LBB165_228:
	s_delay_alu instid0(VALU_DEP_1) | instskip(SKIP_2) | instid1(VALU_DEP_1)
	v_cvt_f32_f64_e32 v8, v[8:9]
	v_max_f32_e32 v9, v100, v100
	v_lshlrev_b64 v[14:15], 3, v[6:7]
	v_add_co_u32 v12, vcc_lo, v12, v14
	s_delay_alu instid0(VALU_DEP_2) | instskip(NEXT) | instid1(VALU_DEP_4)
	v_add_co_ci_u32_e32 v13, vcc_lo, v13, v15, vcc_lo
	v_min_f32_e32 v8, v8, v9
	s_delay_alu instid0(VALU_DEP_1)
	v_cvt_f64_f32_e32 v[8:9], v8
	global_store_b64 v[12:13], v[8:9], off
.LBB165_229:
	s_or_b32 exec_lo, exec_lo, s4
	v_add_nc_u32_e32 v14, 0x48, v11
	s_delay_alu instid0(VALU_DEP_1) | instskip(SKIP_2) | instid1(VALU_DEP_3)
	v_mad_i64_i32 v[8:9], null, v14, s6, 0
	v_mad_i64_i32 v[12:13], null, v14, s5, 0
	v_cmp_gt_i32_e64 s4, s9, v14
	v_lshlrev_b64 v[8:9], 3, v[8:9]
	s_delay_alu instid0(VALU_DEP_2) | instskip(NEXT) | instid1(VALU_DEP_3)
	s_and_b32 s8, s0, s4
	v_lshlrev_b64 v[12:13], 3, v[12:13]
	s_delay_alu instid0(VALU_DEP_2) | instskip(NEXT) | instid1(VALU_DEP_3)
	v_add_co_u32 v14, vcc_lo, s20, v8
	v_add_co_ci_u32_e32 v15, vcc_lo, s21, v9, vcc_lo
	s_delay_alu instid0(VALU_DEP_3) | instskip(NEXT) | instid1(VALU_DEP_4)
	v_add_co_u32 v12, vcc_lo, s10, v12
	v_add_co_ci_u32_e32 v13, vcc_lo, s11, v13, vcc_lo
	s_and_saveexec_b32 s7, s8
	s_cbranch_execnz .LBB165_233
; %bb.230:
	s_or_b32 exec_lo, exec_lo, s7
	s_and_b32 s8, s1, s4
	s_delay_alu instid0(SALU_CYCLE_1)
	s_and_saveexec_b32 s7, s8
	s_cbranch_execnz .LBB165_237
.LBB165_231:
	s_or_b32 exec_lo, exec_lo, s7
	s_and_b32 s8, s2, s4
	s_delay_alu instid0(SALU_CYCLE_1)
	s_and_saveexec_b32 s7, s8
	s_cbranch_execnz .LBB165_241
.LBB165_232:
	s_or_b32 exec_lo, exec_lo, s7
	s_and_b32 s7, s3, s4
	s_delay_alu instid0(SALU_CYCLE_1)
	s_and_saveexec_b32 s4, s7
	s_cbranch_execnz .LBB165_245
	s_branch .LBB165_249
.LBB165_233:
	v_cmp_ne_u32_e32 vcc_lo, 1, v10
	s_cbranch_vccnz .LBB165_235
; %bb.234:
	v_lshlrev_b64 v[8:9], 3, v[0:1]
	s_delay_alu instid0(VALU_DEP_1) | instskip(NEXT) | instid1(VALU_DEP_2)
	v_add_co_u32 v8, vcc_lo, v14, v8
	v_add_co_ci_u32_e32 v9, vcc_lo, v15, v9, vcc_lo
	flat_load_b64 v[8:9], v[8:9]
	s_waitcnt vmcnt(0) lgkmcnt(0)
	v_mul_f64 v[8:9], s[12:13], v[8:9]
	s_branch .LBB165_236
.LBB165_235:
	v_mov_b32_e32 v8, 0
	v_mov_b32_e32 v9, 0
.LBB165_236:
	s_delay_alu instid0(VALU_DEP_1) | instskip(SKIP_2) | instid1(VALU_DEP_1)
	v_cvt_f32_f64_e32 v8, v[8:9]
	v_max_f32_e32 v9, v99, v99
	v_lshlrev_b64 v[16:17], 3, v[0:1]
	v_add_co_u32 v16, vcc_lo, v12, v16
	s_delay_alu instid0(VALU_DEP_2) | instskip(NEXT) | instid1(VALU_DEP_4)
	v_add_co_ci_u32_e32 v17, vcc_lo, v13, v17, vcc_lo
	v_min_f32_e32 v8, v8, v9
	s_delay_alu instid0(VALU_DEP_1) | instskip(SKIP_3) | instid1(SALU_CYCLE_1)
	v_cvt_f64_f32_e32 v[8:9], v8
	global_store_b64 v[16:17], v[8:9], off
	s_or_b32 exec_lo, exec_lo, s7
	s_and_b32 s8, s1, s4
	s_and_saveexec_b32 s7, s8
	s_cbranch_execz .LBB165_231
.LBB165_237:
	v_cmp_ne_u32_e32 vcc_lo, 1, v10
	s_cbranch_vccnz .LBB165_239
; %bb.238:
	v_lshlrev_b64 v[8:9], 3, v[2:3]
	s_delay_alu instid0(VALU_DEP_1) | instskip(NEXT) | instid1(VALU_DEP_2)
	v_add_co_u32 v8, vcc_lo, v14, v8
	v_add_co_ci_u32_e32 v9, vcc_lo, v15, v9, vcc_lo
	flat_load_b64 v[8:9], v[8:9]
	s_waitcnt vmcnt(0) lgkmcnt(0)
	v_mul_f64 v[8:9], s[12:13], v[8:9]
	s_branch .LBB165_240
.LBB165_239:
	v_mov_b32_e32 v8, 0
	v_mov_b32_e32 v9, 0
.LBB165_240:
	s_delay_alu instid0(VALU_DEP_1) | instskip(SKIP_2) | instid1(VALU_DEP_1)
	v_cvt_f32_f64_e32 v8, v[8:9]
	v_max_f32_e32 v9, v98, v98
	v_lshlrev_b64 v[16:17], 3, v[2:3]
	v_add_co_u32 v16, vcc_lo, v12, v16
	s_delay_alu instid0(VALU_DEP_2) | instskip(NEXT) | instid1(VALU_DEP_4)
	v_add_co_ci_u32_e32 v17, vcc_lo, v13, v17, vcc_lo
	v_min_f32_e32 v8, v8, v9
	s_delay_alu instid0(VALU_DEP_1) | instskip(SKIP_3) | instid1(SALU_CYCLE_1)
	v_cvt_f64_f32_e32 v[8:9], v8
	global_store_b64 v[16:17], v[8:9], off
	s_or_b32 exec_lo, exec_lo, s7
	s_and_b32 s8, s2, s4
	s_and_saveexec_b32 s7, s8
	s_cbranch_execz .LBB165_232
.LBB165_241:
	v_cmp_ne_u32_e32 vcc_lo, 1, v10
	s_cbranch_vccnz .LBB165_243
; %bb.242:
	v_lshlrev_b64 v[8:9], 3, v[4:5]
	s_delay_alu instid0(VALU_DEP_1) | instskip(NEXT) | instid1(VALU_DEP_2)
	v_add_co_u32 v8, vcc_lo, v14, v8
	v_add_co_ci_u32_e32 v9, vcc_lo, v15, v9, vcc_lo
	flat_load_b64 v[8:9], v[8:9]
	s_waitcnt vmcnt(0) lgkmcnt(0)
	v_mul_f64 v[8:9], s[12:13], v[8:9]
	s_branch .LBB165_244
.LBB165_243:
	v_mov_b32_e32 v8, 0
	v_mov_b32_e32 v9, 0
.LBB165_244:
	s_delay_alu instid0(VALU_DEP_1) | instskip(SKIP_2) | instid1(VALU_DEP_1)
	v_cvt_f32_f64_e32 v8, v[8:9]
	v_max_f32_e32 v9, v97, v97
	v_lshlrev_b64 v[16:17], 3, v[4:5]
	v_add_co_u32 v16, vcc_lo, v12, v16
	s_delay_alu instid0(VALU_DEP_2) | instskip(NEXT) | instid1(VALU_DEP_4)
	v_add_co_ci_u32_e32 v17, vcc_lo, v13, v17, vcc_lo
	v_min_f32_e32 v8, v8, v9
	s_delay_alu instid0(VALU_DEP_1) | instskip(SKIP_3) | instid1(SALU_CYCLE_1)
	v_cvt_f64_f32_e32 v[8:9], v8
	global_store_b64 v[16:17], v[8:9], off
	s_or_b32 exec_lo, exec_lo, s7
	s_and_b32 s7, s3, s4
	s_and_saveexec_b32 s4, s7
	s_cbranch_execz .LBB165_249
.LBB165_245:
	v_cmp_ne_u32_e32 vcc_lo, 1, v10
	s_cbranch_vccnz .LBB165_247
; %bb.246:
	v_lshlrev_b64 v[8:9], 3, v[6:7]
	s_delay_alu instid0(VALU_DEP_1) | instskip(NEXT) | instid1(VALU_DEP_2)
	v_add_co_u32 v8, vcc_lo, v14, v8
	v_add_co_ci_u32_e32 v9, vcc_lo, v15, v9, vcc_lo
	flat_load_b64 v[8:9], v[8:9]
	s_waitcnt vmcnt(0) lgkmcnt(0)
	v_mul_f64 v[8:9], s[12:13], v[8:9]
	s_branch .LBB165_248
.LBB165_247:
	v_mov_b32_e32 v8, 0
	v_mov_b32_e32 v9, 0
.LBB165_248:
	s_delay_alu instid0(VALU_DEP_1) | instskip(SKIP_2) | instid1(VALU_DEP_1)
	v_cvt_f32_f64_e32 v8, v[8:9]
	v_max_f32_e32 v9, v96, v96
	v_lshlrev_b64 v[14:15], 3, v[6:7]
	v_add_co_u32 v12, vcc_lo, v12, v14
	s_delay_alu instid0(VALU_DEP_2) | instskip(NEXT) | instid1(VALU_DEP_4)
	v_add_co_ci_u32_e32 v13, vcc_lo, v13, v15, vcc_lo
	v_min_f32_e32 v8, v8, v9
	s_delay_alu instid0(VALU_DEP_1)
	v_cvt_f64_f32_e32 v[8:9], v8
	global_store_b64 v[12:13], v[8:9], off
.LBB165_249:
	s_or_b32 exec_lo, exec_lo, s4
	v_add_nc_u32_e32 v14, 0x50, v11
	s_delay_alu instid0(VALU_DEP_1) | instskip(SKIP_2) | instid1(VALU_DEP_3)
	v_mad_i64_i32 v[8:9], null, v14, s6, 0
	v_mad_i64_i32 v[12:13], null, v14, s5, 0
	v_cmp_gt_i32_e64 s4, s9, v14
	v_lshlrev_b64 v[8:9], 3, v[8:9]
	s_delay_alu instid0(VALU_DEP_2) | instskip(NEXT) | instid1(VALU_DEP_3)
	s_and_b32 s8, s0, s4
	v_lshlrev_b64 v[12:13], 3, v[12:13]
	s_delay_alu instid0(VALU_DEP_2) | instskip(NEXT) | instid1(VALU_DEP_3)
	v_add_co_u32 v14, vcc_lo, s20, v8
	v_add_co_ci_u32_e32 v15, vcc_lo, s21, v9, vcc_lo
	s_delay_alu instid0(VALU_DEP_3) | instskip(NEXT) | instid1(VALU_DEP_4)
	v_add_co_u32 v12, vcc_lo, s10, v12
	v_add_co_ci_u32_e32 v13, vcc_lo, s11, v13, vcc_lo
	s_and_saveexec_b32 s7, s8
	s_cbranch_execnz .LBB165_253
; %bb.250:
	s_or_b32 exec_lo, exec_lo, s7
	s_and_b32 s8, s1, s4
	s_delay_alu instid0(SALU_CYCLE_1)
	s_and_saveexec_b32 s7, s8
	s_cbranch_execnz .LBB165_257
.LBB165_251:
	s_or_b32 exec_lo, exec_lo, s7
	s_and_b32 s8, s2, s4
	s_delay_alu instid0(SALU_CYCLE_1)
	s_and_saveexec_b32 s7, s8
	s_cbranch_execnz .LBB165_261
.LBB165_252:
	s_or_b32 exec_lo, exec_lo, s7
	s_and_b32 s7, s3, s4
	s_delay_alu instid0(SALU_CYCLE_1)
	s_and_saveexec_b32 s4, s7
	s_cbranch_execnz .LBB165_265
	s_branch .LBB165_269
.LBB165_253:
	v_cmp_ne_u32_e32 vcc_lo, 1, v10
	s_cbranch_vccnz .LBB165_255
; %bb.254:
	v_lshlrev_b64 v[8:9], 3, v[0:1]
	s_delay_alu instid0(VALU_DEP_1) | instskip(NEXT) | instid1(VALU_DEP_2)
	v_add_co_u32 v8, vcc_lo, v14, v8
	v_add_co_ci_u32_e32 v9, vcc_lo, v15, v9, vcc_lo
	flat_load_b64 v[8:9], v[8:9]
	s_waitcnt vmcnt(0) lgkmcnt(0)
	v_mul_f64 v[8:9], s[12:13], v[8:9]
	s_branch .LBB165_256
.LBB165_255:
	v_mov_b32_e32 v8, 0
	v_mov_b32_e32 v9, 0
.LBB165_256:
	s_delay_alu instid0(VALU_DEP_1) | instskip(SKIP_2) | instid1(VALU_DEP_1)
	v_cvt_f32_f64_e32 v8, v[8:9]
	v_max_f32_e32 v9, v95, v95
	v_lshlrev_b64 v[16:17], 3, v[0:1]
	v_add_co_u32 v16, vcc_lo, v12, v16
	s_delay_alu instid0(VALU_DEP_2) | instskip(NEXT) | instid1(VALU_DEP_4)
	v_add_co_ci_u32_e32 v17, vcc_lo, v13, v17, vcc_lo
	v_min_f32_e32 v8, v8, v9
	s_delay_alu instid0(VALU_DEP_1) | instskip(SKIP_3) | instid1(SALU_CYCLE_1)
	v_cvt_f64_f32_e32 v[8:9], v8
	global_store_b64 v[16:17], v[8:9], off
	s_or_b32 exec_lo, exec_lo, s7
	s_and_b32 s8, s1, s4
	s_and_saveexec_b32 s7, s8
	s_cbranch_execz .LBB165_251
.LBB165_257:
	v_cmp_ne_u32_e32 vcc_lo, 1, v10
	s_cbranch_vccnz .LBB165_259
; %bb.258:
	v_lshlrev_b64 v[8:9], 3, v[2:3]
	s_delay_alu instid0(VALU_DEP_1) | instskip(NEXT) | instid1(VALU_DEP_2)
	v_add_co_u32 v8, vcc_lo, v14, v8
	v_add_co_ci_u32_e32 v9, vcc_lo, v15, v9, vcc_lo
	flat_load_b64 v[8:9], v[8:9]
	s_waitcnt vmcnt(0) lgkmcnt(0)
	v_mul_f64 v[8:9], s[12:13], v[8:9]
	s_branch .LBB165_260
.LBB165_259:
	v_mov_b32_e32 v8, 0
	v_mov_b32_e32 v9, 0
.LBB165_260:
	s_delay_alu instid0(VALU_DEP_1) | instskip(SKIP_2) | instid1(VALU_DEP_1)
	v_cvt_f32_f64_e32 v8, v[8:9]
	v_max_f32_e32 v9, v94, v94
	v_lshlrev_b64 v[16:17], 3, v[2:3]
	v_add_co_u32 v16, vcc_lo, v12, v16
	s_delay_alu instid0(VALU_DEP_2) | instskip(NEXT) | instid1(VALU_DEP_4)
	v_add_co_ci_u32_e32 v17, vcc_lo, v13, v17, vcc_lo
	v_min_f32_e32 v8, v8, v9
	s_delay_alu instid0(VALU_DEP_1) | instskip(SKIP_3) | instid1(SALU_CYCLE_1)
	v_cvt_f64_f32_e32 v[8:9], v8
	global_store_b64 v[16:17], v[8:9], off
	s_or_b32 exec_lo, exec_lo, s7
	s_and_b32 s8, s2, s4
	s_and_saveexec_b32 s7, s8
	s_cbranch_execz .LBB165_252
.LBB165_261:
	v_cmp_ne_u32_e32 vcc_lo, 1, v10
	s_cbranch_vccnz .LBB165_263
; %bb.262:
	v_lshlrev_b64 v[8:9], 3, v[4:5]
	s_delay_alu instid0(VALU_DEP_1) | instskip(NEXT) | instid1(VALU_DEP_2)
	v_add_co_u32 v8, vcc_lo, v14, v8
	v_add_co_ci_u32_e32 v9, vcc_lo, v15, v9, vcc_lo
	flat_load_b64 v[8:9], v[8:9]
	s_waitcnt vmcnt(0) lgkmcnt(0)
	v_mul_f64 v[8:9], s[12:13], v[8:9]
	s_branch .LBB165_264
.LBB165_263:
	v_mov_b32_e32 v8, 0
	v_mov_b32_e32 v9, 0
.LBB165_264:
	s_delay_alu instid0(VALU_DEP_1) | instskip(SKIP_2) | instid1(VALU_DEP_1)
	v_cvt_f32_f64_e32 v8, v[8:9]
	v_max_f32_e32 v9, v93, v93
	v_lshlrev_b64 v[16:17], 3, v[4:5]
	v_add_co_u32 v16, vcc_lo, v12, v16
	s_delay_alu instid0(VALU_DEP_2) | instskip(NEXT) | instid1(VALU_DEP_4)
	v_add_co_ci_u32_e32 v17, vcc_lo, v13, v17, vcc_lo
	v_min_f32_e32 v8, v8, v9
	s_delay_alu instid0(VALU_DEP_1) | instskip(SKIP_3) | instid1(SALU_CYCLE_1)
	v_cvt_f64_f32_e32 v[8:9], v8
	global_store_b64 v[16:17], v[8:9], off
	s_or_b32 exec_lo, exec_lo, s7
	s_and_b32 s7, s3, s4
	s_and_saveexec_b32 s4, s7
	s_cbranch_execz .LBB165_269
.LBB165_265:
	v_cmp_ne_u32_e32 vcc_lo, 1, v10
	s_cbranch_vccnz .LBB165_267
; %bb.266:
	v_lshlrev_b64 v[8:9], 3, v[6:7]
	s_delay_alu instid0(VALU_DEP_1) | instskip(NEXT) | instid1(VALU_DEP_2)
	v_add_co_u32 v8, vcc_lo, v14, v8
	v_add_co_ci_u32_e32 v9, vcc_lo, v15, v9, vcc_lo
	flat_load_b64 v[8:9], v[8:9]
	s_waitcnt vmcnt(0) lgkmcnt(0)
	v_mul_f64 v[8:9], s[12:13], v[8:9]
	s_branch .LBB165_268
.LBB165_267:
	v_mov_b32_e32 v8, 0
	v_mov_b32_e32 v9, 0
.LBB165_268:
	s_delay_alu instid0(VALU_DEP_1) | instskip(SKIP_2) | instid1(VALU_DEP_1)
	v_cvt_f32_f64_e32 v8, v[8:9]
	v_max_f32_e32 v9, v92, v92
	v_lshlrev_b64 v[14:15], 3, v[6:7]
	v_add_co_u32 v12, vcc_lo, v12, v14
	s_delay_alu instid0(VALU_DEP_2) | instskip(NEXT) | instid1(VALU_DEP_4)
	v_add_co_ci_u32_e32 v13, vcc_lo, v13, v15, vcc_lo
	v_min_f32_e32 v8, v8, v9
	s_delay_alu instid0(VALU_DEP_1)
	v_cvt_f64_f32_e32 v[8:9], v8
	global_store_b64 v[12:13], v[8:9], off
.LBB165_269:
	s_or_b32 exec_lo, exec_lo, s4
	v_add_nc_u32_e32 v14, 0x58, v11
	s_delay_alu instid0(VALU_DEP_1) | instskip(SKIP_2) | instid1(VALU_DEP_3)
	v_mad_i64_i32 v[8:9], null, v14, s6, 0
	v_mad_i64_i32 v[12:13], null, v14, s5, 0
	v_cmp_gt_i32_e64 s4, s9, v14
	v_lshlrev_b64 v[8:9], 3, v[8:9]
	s_delay_alu instid0(VALU_DEP_2) | instskip(NEXT) | instid1(VALU_DEP_3)
	s_and_b32 s8, s0, s4
	v_lshlrev_b64 v[12:13], 3, v[12:13]
	s_delay_alu instid0(VALU_DEP_2) | instskip(NEXT) | instid1(VALU_DEP_3)
	v_add_co_u32 v14, vcc_lo, s20, v8
	v_add_co_ci_u32_e32 v15, vcc_lo, s21, v9, vcc_lo
	s_delay_alu instid0(VALU_DEP_3) | instskip(NEXT) | instid1(VALU_DEP_4)
	v_add_co_u32 v12, vcc_lo, s10, v12
	v_add_co_ci_u32_e32 v13, vcc_lo, s11, v13, vcc_lo
	s_and_saveexec_b32 s7, s8
	s_cbranch_execnz .LBB165_273
; %bb.270:
	s_or_b32 exec_lo, exec_lo, s7
	s_and_b32 s8, s1, s4
	s_delay_alu instid0(SALU_CYCLE_1)
	s_and_saveexec_b32 s7, s8
	s_cbranch_execnz .LBB165_277
.LBB165_271:
	s_or_b32 exec_lo, exec_lo, s7
	s_and_b32 s8, s2, s4
	s_delay_alu instid0(SALU_CYCLE_1)
	s_and_saveexec_b32 s7, s8
	s_cbranch_execnz .LBB165_281
.LBB165_272:
	s_or_b32 exec_lo, exec_lo, s7
	s_and_b32 s7, s3, s4
	s_delay_alu instid0(SALU_CYCLE_1)
	s_and_saveexec_b32 s4, s7
	s_cbranch_execnz .LBB165_285
	s_branch .LBB165_289
.LBB165_273:
	v_cmp_ne_u32_e32 vcc_lo, 1, v10
	s_cbranch_vccnz .LBB165_275
; %bb.274:
	v_lshlrev_b64 v[8:9], 3, v[0:1]
	s_delay_alu instid0(VALU_DEP_1) | instskip(NEXT) | instid1(VALU_DEP_2)
	v_add_co_u32 v8, vcc_lo, v14, v8
	v_add_co_ci_u32_e32 v9, vcc_lo, v15, v9, vcc_lo
	flat_load_b64 v[8:9], v[8:9]
	s_waitcnt vmcnt(0) lgkmcnt(0)
	v_mul_f64 v[8:9], s[12:13], v[8:9]
	s_branch .LBB165_276
.LBB165_275:
	v_mov_b32_e32 v8, 0
	v_mov_b32_e32 v9, 0
.LBB165_276:
	s_delay_alu instid0(VALU_DEP_1) | instskip(SKIP_2) | instid1(VALU_DEP_1)
	v_cvt_f32_f64_e32 v8, v[8:9]
	v_max_f32_e32 v9, v91, v91
	v_lshlrev_b64 v[16:17], 3, v[0:1]
	v_add_co_u32 v16, vcc_lo, v12, v16
	s_delay_alu instid0(VALU_DEP_2) | instskip(NEXT) | instid1(VALU_DEP_4)
	v_add_co_ci_u32_e32 v17, vcc_lo, v13, v17, vcc_lo
	v_min_f32_e32 v8, v8, v9
	s_delay_alu instid0(VALU_DEP_1) | instskip(SKIP_3) | instid1(SALU_CYCLE_1)
	v_cvt_f64_f32_e32 v[8:9], v8
	global_store_b64 v[16:17], v[8:9], off
	s_or_b32 exec_lo, exec_lo, s7
	s_and_b32 s8, s1, s4
	s_and_saveexec_b32 s7, s8
	s_cbranch_execz .LBB165_271
.LBB165_277:
	v_cmp_ne_u32_e32 vcc_lo, 1, v10
	s_cbranch_vccnz .LBB165_279
; %bb.278:
	v_lshlrev_b64 v[8:9], 3, v[2:3]
	s_delay_alu instid0(VALU_DEP_1) | instskip(NEXT) | instid1(VALU_DEP_2)
	v_add_co_u32 v8, vcc_lo, v14, v8
	v_add_co_ci_u32_e32 v9, vcc_lo, v15, v9, vcc_lo
	flat_load_b64 v[8:9], v[8:9]
	s_waitcnt vmcnt(0) lgkmcnt(0)
	v_mul_f64 v[8:9], s[12:13], v[8:9]
	s_branch .LBB165_280
.LBB165_279:
	v_mov_b32_e32 v8, 0
	v_mov_b32_e32 v9, 0
.LBB165_280:
	s_delay_alu instid0(VALU_DEP_1) | instskip(SKIP_2) | instid1(VALU_DEP_1)
	v_cvt_f32_f64_e32 v8, v[8:9]
	v_max_f32_e32 v9, v90, v90
	v_lshlrev_b64 v[16:17], 3, v[2:3]
	v_add_co_u32 v16, vcc_lo, v12, v16
	s_delay_alu instid0(VALU_DEP_2) | instskip(NEXT) | instid1(VALU_DEP_4)
	v_add_co_ci_u32_e32 v17, vcc_lo, v13, v17, vcc_lo
	v_min_f32_e32 v8, v8, v9
	s_delay_alu instid0(VALU_DEP_1) | instskip(SKIP_3) | instid1(SALU_CYCLE_1)
	v_cvt_f64_f32_e32 v[8:9], v8
	global_store_b64 v[16:17], v[8:9], off
	s_or_b32 exec_lo, exec_lo, s7
	s_and_b32 s8, s2, s4
	s_and_saveexec_b32 s7, s8
	s_cbranch_execz .LBB165_272
.LBB165_281:
	v_cmp_ne_u32_e32 vcc_lo, 1, v10
	s_cbranch_vccnz .LBB165_283
; %bb.282:
	v_lshlrev_b64 v[8:9], 3, v[4:5]
	s_delay_alu instid0(VALU_DEP_1) | instskip(NEXT) | instid1(VALU_DEP_2)
	v_add_co_u32 v8, vcc_lo, v14, v8
	v_add_co_ci_u32_e32 v9, vcc_lo, v15, v9, vcc_lo
	flat_load_b64 v[8:9], v[8:9]
	s_waitcnt vmcnt(0) lgkmcnt(0)
	v_mul_f64 v[8:9], s[12:13], v[8:9]
	s_branch .LBB165_284
.LBB165_283:
	v_mov_b32_e32 v8, 0
	v_mov_b32_e32 v9, 0
.LBB165_284:
	s_delay_alu instid0(VALU_DEP_1) | instskip(SKIP_2) | instid1(VALU_DEP_1)
	v_cvt_f32_f64_e32 v8, v[8:9]
	v_max_f32_e32 v9, v89, v89
	v_lshlrev_b64 v[16:17], 3, v[4:5]
	v_add_co_u32 v16, vcc_lo, v12, v16
	s_delay_alu instid0(VALU_DEP_2) | instskip(NEXT) | instid1(VALU_DEP_4)
	v_add_co_ci_u32_e32 v17, vcc_lo, v13, v17, vcc_lo
	v_min_f32_e32 v8, v8, v9
	s_delay_alu instid0(VALU_DEP_1) | instskip(SKIP_3) | instid1(SALU_CYCLE_1)
	v_cvt_f64_f32_e32 v[8:9], v8
	global_store_b64 v[16:17], v[8:9], off
	s_or_b32 exec_lo, exec_lo, s7
	s_and_b32 s7, s3, s4
	s_and_saveexec_b32 s4, s7
	s_cbranch_execz .LBB165_289
.LBB165_285:
	v_cmp_ne_u32_e32 vcc_lo, 1, v10
	s_cbranch_vccnz .LBB165_287
; %bb.286:
	v_lshlrev_b64 v[8:9], 3, v[6:7]
	s_delay_alu instid0(VALU_DEP_1) | instskip(NEXT) | instid1(VALU_DEP_2)
	v_add_co_u32 v8, vcc_lo, v14, v8
	v_add_co_ci_u32_e32 v9, vcc_lo, v15, v9, vcc_lo
	flat_load_b64 v[8:9], v[8:9]
	s_waitcnt vmcnt(0) lgkmcnt(0)
	v_mul_f64 v[8:9], s[12:13], v[8:9]
	s_branch .LBB165_288
.LBB165_287:
	v_mov_b32_e32 v8, 0
	v_mov_b32_e32 v9, 0
.LBB165_288:
	s_delay_alu instid0(VALU_DEP_1) | instskip(SKIP_2) | instid1(VALU_DEP_1)
	v_cvt_f32_f64_e32 v8, v[8:9]
	v_max_f32_e32 v9, v88, v88
	v_lshlrev_b64 v[14:15], 3, v[6:7]
	v_add_co_u32 v12, vcc_lo, v12, v14
	s_delay_alu instid0(VALU_DEP_2) | instskip(NEXT) | instid1(VALU_DEP_4)
	v_add_co_ci_u32_e32 v13, vcc_lo, v13, v15, vcc_lo
	v_min_f32_e32 v8, v8, v9
	s_delay_alu instid0(VALU_DEP_1)
	v_cvt_f64_f32_e32 v[8:9], v8
	global_store_b64 v[12:13], v[8:9], off
.LBB165_289:
	s_or_b32 exec_lo, exec_lo, s4
	v_add_nc_u32_e32 v14, 0x60, v11
	s_delay_alu instid0(VALU_DEP_1) | instskip(SKIP_2) | instid1(VALU_DEP_3)
	v_mad_i64_i32 v[8:9], null, v14, s6, 0
	v_mad_i64_i32 v[12:13], null, v14, s5, 0
	v_cmp_gt_i32_e64 s4, s9, v14
	v_lshlrev_b64 v[8:9], 3, v[8:9]
	s_delay_alu instid0(VALU_DEP_2) | instskip(NEXT) | instid1(VALU_DEP_3)
	s_and_b32 s8, s0, s4
	v_lshlrev_b64 v[12:13], 3, v[12:13]
	s_delay_alu instid0(VALU_DEP_2) | instskip(NEXT) | instid1(VALU_DEP_3)
	v_add_co_u32 v14, vcc_lo, s20, v8
	v_add_co_ci_u32_e32 v15, vcc_lo, s21, v9, vcc_lo
	s_delay_alu instid0(VALU_DEP_3) | instskip(NEXT) | instid1(VALU_DEP_4)
	v_add_co_u32 v12, vcc_lo, s10, v12
	v_add_co_ci_u32_e32 v13, vcc_lo, s11, v13, vcc_lo
	s_and_saveexec_b32 s7, s8
	s_cbranch_execnz .LBB165_293
; %bb.290:
	s_or_b32 exec_lo, exec_lo, s7
	s_and_b32 s8, s1, s4
	s_delay_alu instid0(SALU_CYCLE_1)
	s_and_saveexec_b32 s7, s8
	s_cbranch_execnz .LBB165_297
.LBB165_291:
	s_or_b32 exec_lo, exec_lo, s7
	s_and_b32 s8, s2, s4
	s_delay_alu instid0(SALU_CYCLE_1)
	s_and_saveexec_b32 s7, s8
	s_cbranch_execnz .LBB165_301
.LBB165_292:
	s_or_b32 exec_lo, exec_lo, s7
	s_and_b32 s7, s3, s4
	s_delay_alu instid0(SALU_CYCLE_1)
	s_and_saveexec_b32 s4, s7
	s_cbranch_execnz .LBB165_305
	s_branch .LBB165_309
.LBB165_293:
	v_cmp_ne_u32_e32 vcc_lo, 1, v10
	s_cbranch_vccnz .LBB165_295
; %bb.294:
	v_lshlrev_b64 v[8:9], 3, v[0:1]
	s_delay_alu instid0(VALU_DEP_1) | instskip(NEXT) | instid1(VALU_DEP_2)
	v_add_co_u32 v8, vcc_lo, v14, v8
	v_add_co_ci_u32_e32 v9, vcc_lo, v15, v9, vcc_lo
	flat_load_b64 v[8:9], v[8:9]
	s_waitcnt vmcnt(0) lgkmcnt(0)
	v_mul_f64 v[8:9], s[12:13], v[8:9]
	s_branch .LBB165_296
.LBB165_295:
	v_mov_b32_e32 v8, 0
	v_mov_b32_e32 v9, 0
.LBB165_296:
	s_delay_alu instid0(VALU_DEP_1) | instskip(SKIP_2) | instid1(VALU_DEP_1)
	v_cvt_f32_f64_e32 v8, v[8:9]
	v_max_f32_e32 v9, v87, v87
	v_lshlrev_b64 v[16:17], 3, v[0:1]
	v_add_co_u32 v16, vcc_lo, v12, v16
	s_delay_alu instid0(VALU_DEP_2) | instskip(NEXT) | instid1(VALU_DEP_4)
	v_add_co_ci_u32_e32 v17, vcc_lo, v13, v17, vcc_lo
	v_min_f32_e32 v8, v8, v9
	s_delay_alu instid0(VALU_DEP_1) | instskip(SKIP_3) | instid1(SALU_CYCLE_1)
	v_cvt_f64_f32_e32 v[8:9], v8
	global_store_b64 v[16:17], v[8:9], off
	s_or_b32 exec_lo, exec_lo, s7
	s_and_b32 s8, s1, s4
	s_and_saveexec_b32 s7, s8
	s_cbranch_execz .LBB165_291
.LBB165_297:
	v_cmp_ne_u32_e32 vcc_lo, 1, v10
	s_cbranch_vccnz .LBB165_299
; %bb.298:
	v_lshlrev_b64 v[8:9], 3, v[2:3]
	s_delay_alu instid0(VALU_DEP_1) | instskip(NEXT) | instid1(VALU_DEP_2)
	v_add_co_u32 v8, vcc_lo, v14, v8
	v_add_co_ci_u32_e32 v9, vcc_lo, v15, v9, vcc_lo
	flat_load_b64 v[8:9], v[8:9]
	s_waitcnt vmcnt(0) lgkmcnt(0)
	v_mul_f64 v[8:9], s[12:13], v[8:9]
	s_branch .LBB165_300
.LBB165_299:
	v_mov_b32_e32 v8, 0
	v_mov_b32_e32 v9, 0
.LBB165_300:
	s_delay_alu instid0(VALU_DEP_1) | instskip(SKIP_2) | instid1(VALU_DEP_1)
	v_cvt_f32_f64_e32 v8, v[8:9]
	v_max_f32_e32 v9, v86, v86
	v_lshlrev_b64 v[16:17], 3, v[2:3]
	v_add_co_u32 v16, vcc_lo, v12, v16
	s_delay_alu instid0(VALU_DEP_2) | instskip(NEXT) | instid1(VALU_DEP_4)
	v_add_co_ci_u32_e32 v17, vcc_lo, v13, v17, vcc_lo
	v_min_f32_e32 v8, v8, v9
	s_delay_alu instid0(VALU_DEP_1) | instskip(SKIP_3) | instid1(SALU_CYCLE_1)
	v_cvt_f64_f32_e32 v[8:9], v8
	global_store_b64 v[16:17], v[8:9], off
	s_or_b32 exec_lo, exec_lo, s7
	s_and_b32 s8, s2, s4
	s_and_saveexec_b32 s7, s8
	s_cbranch_execz .LBB165_292
.LBB165_301:
	v_cmp_ne_u32_e32 vcc_lo, 1, v10
	s_cbranch_vccnz .LBB165_303
; %bb.302:
	v_lshlrev_b64 v[8:9], 3, v[4:5]
	s_delay_alu instid0(VALU_DEP_1) | instskip(NEXT) | instid1(VALU_DEP_2)
	v_add_co_u32 v8, vcc_lo, v14, v8
	v_add_co_ci_u32_e32 v9, vcc_lo, v15, v9, vcc_lo
	flat_load_b64 v[8:9], v[8:9]
	s_waitcnt vmcnt(0) lgkmcnt(0)
	v_mul_f64 v[8:9], s[12:13], v[8:9]
	s_branch .LBB165_304
.LBB165_303:
	v_mov_b32_e32 v8, 0
	v_mov_b32_e32 v9, 0
.LBB165_304:
	s_delay_alu instid0(VALU_DEP_1) | instskip(SKIP_2) | instid1(VALU_DEP_1)
	v_cvt_f32_f64_e32 v8, v[8:9]
	v_max_f32_e32 v9, v85, v85
	v_lshlrev_b64 v[16:17], 3, v[4:5]
	v_add_co_u32 v16, vcc_lo, v12, v16
	s_delay_alu instid0(VALU_DEP_2) | instskip(NEXT) | instid1(VALU_DEP_4)
	v_add_co_ci_u32_e32 v17, vcc_lo, v13, v17, vcc_lo
	v_min_f32_e32 v8, v8, v9
	s_delay_alu instid0(VALU_DEP_1) | instskip(SKIP_3) | instid1(SALU_CYCLE_1)
	v_cvt_f64_f32_e32 v[8:9], v8
	global_store_b64 v[16:17], v[8:9], off
	s_or_b32 exec_lo, exec_lo, s7
	s_and_b32 s7, s3, s4
	s_and_saveexec_b32 s4, s7
	s_cbranch_execz .LBB165_309
.LBB165_305:
	v_cmp_ne_u32_e32 vcc_lo, 1, v10
	s_cbranch_vccnz .LBB165_307
; %bb.306:
	v_lshlrev_b64 v[8:9], 3, v[6:7]
	s_delay_alu instid0(VALU_DEP_1) | instskip(NEXT) | instid1(VALU_DEP_2)
	v_add_co_u32 v8, vcc_lo, v14, v8
	v_add_co_ci_u32_e32 v9, vcc_lo, v15, v9, vcc_lo
	flat_load_b64 v[8:9], v[8:9]
	s_waitcnt vmcnt(0) lgkmcnt(0)
	v_mul_f64 v[8:9], s[12:13], v[8:9]
	s_branch .LBB165_308
.LBB165_307:
	v_mov_b32_e32 v8, 0
	v_mov_b32_e32 v9, 0
.LBB165_308:
	s_delay_alu instid0(VALU_DEP_1) | instskip(SKIP_2) | instid1(VALU_DEP_1)
	v_cvt_f32_f64_e32 v8, v[8:9]
	v_max_f32_e32 v9, v84, v84
	v_lshlrev_b64 v[14:15], 3, v[6:7]
	v_add_co_u32 v12, vcc_lo, v12, v14
	s_delay_alu instid0(VALU_DEP_2) | instskip(NEXT) | instid1(VALU_DEP_4)
	v_add_co_ci_u32_e32 v13, vcc_lo, v13, v15, vcc_lo
	v_min_f32_e32 v8, v8, v9
	s_delay_alu instid0(VALU_DEP_1)
	v_cvt_f64_f32_e32 v[8:9], v8
	global_store_b64 v[12:13], v[8:9], off
.LBB165_309:
	s_or_b32 exec_lo, exec_lo, s4
	v_add_nc_u32_e32 v14, 0x68, v11
	s_delay_alu instid0(VALU_DEP_1) | instskip(SKIP_2) | instid1(VALU_DEP_3)
	v_mad_i64_i32 v[8:9], null, v14, s6, 0
	v_mad_i64_i32 v[12:13], null, v14, s5, 0
	v_cmp_gt_i32_e64 s4, s9, v14
	v_lshlrev_b64 v[8:9], 3, v[8:9]
	s_delay_alu instid0(VALU_DEP_2) | instskip(NEXT) | instid1(VALU_DEP_3)
	s_and_b32 s8, s0, s4
	v_lshlrev_b64 v[12:13], 3, v[12:13]
	s_delay_alu instid0(VALU_DEP_2) | instskip(NEXT) | instid1(VALU_DEP_3)
	v_add_co_u32 v14, vcc_lo, s20, v8
	v_add_co_ci_u32_e32 v15, vcc_lo, s21, v9, vcc_lo
	s_delay_alu instid0(VALU_DEP_3) | instskip(NEXT) | instid1(VALU_DEP_4)
	v_add_co_u32 v12, vcc_lo, s10, v12
	v_add_co_ci_u32_e32 v13, vcc_lo, s11, v13, vcc_lo
	s_and_saveexec_b32 s7, s8
	s_cbranch_execnz .LBB165_313
; %bb.310:
	s_or_b32 exec_lo, exec_lo, s7
	s_and_b32 s8, s1, s4
	s_delay_alu instid0(SALU_CYCLE_1)
	s_and_saveexec_b32 s7, s8
	s_cbranch_execnz .LBB165_317
.LBB165_311:
	s_or_b32 exec_lo, exec_lo, s7
	s_and_b32 s8, s2, s4
	s_delay_alu instid0(SALU_CYCLE_1)
	s_and_saveexec_b32 s7, s8
	s_cbranch_execnz .LBB165_321
.LBB165_312:
	s_or_b32 exec_lo, exec_lo, s7
	s_and_b32 s7, s3, s4
	s_delay_alu instid0(SALU_CYCLE_1)
	s_and_saveexec_b32 s4, s7
	s_cbranch_execnz .LBB165_325
	s_branch .LBB165_329
.LBB165_313:
	v_cmp_ne_u32_e32 vcc_lo, 1, v10
	s_cbranch_vccnz .LBB165_315
; %bb.314:
	v_lshlrev_b64 v[8:9], 3, v[0:1]
	s_delay_alu instid0(VALU_DEP_1) | instskip(NEXT) | instid1(VALU_DEP_2)
	v_add_co_u32 v8, vcc_lo, v14, v8
	v_add_co_ci_u32_e32 v9, vcc_lo, v15, v9, vcc_lo
	flat_load_b64 v[8:9], v[8:9]
	s_waitcnt vmcnt(0) lgkmcnt(0)
	v_mul_f64 v[8:9], s[12:13], v[8:9]
	s_branch .LBB165_316
.LBB165_315:
	v_mov_b32_e32 v8, 0
	v_mov_b32_e32 v9, 0
.LBB165_316:
	s_delay_alu instid0(VALU_DEP_1) | instskip(SKIP_2) | instid1(VALU_DEP_1)
	v_cvt_f32_f64_e32 v8, v[8:9]
	v_max_f32_e32 v9, v83, v83
	v_lshlrev_b64 v[16:17], 3, v[0:1]
	v_add_co_u32 v16, vcc_lo, v12, v16
	s_delay_alu instid0(VALU_DEP_2) | instskip(NEXT) | instid1(VALU_DEP_4)
	v_add_co_ci_u32_e32 v17, vcc_lo, v13, v17, vcc_lo
	v_min_f32_e32 v8, v8, v9
	s_delay_alu instid0(VALU_DEP_1) | instskip(SKIP_3) | instid1(SALU_CYCLE_1)
	v_cvt_f64_f32_e32 v[8:9], v8
	global_store_b64 v[16:17], v[8:9], off
	s_or_b32 exec_lo, exec_lo, s7
	s_and_b32 s8, s1, s4
	s_and_saveexec_b32 s7, s8
	s_cbranch_execz .LBB165_311
.LBB165_317:
	v_cmp_ne_u32_e32 vcc_lo, 1, v10
	s_cbranch_vccnz .LBB165_319
; %bb.318:
	v_lshlrev_b64 v[8:9], 3, v[2:3]
	s_delay_alu instid0(VALU_DEP_1) | instskip(NEXT) | instid1(VALU_DEP_2)
	v_add_co_u32 v8, vcc_lo, v14, v8
	v_add_co_ci_u32_e32 v9, vcc_lo, v15, v9, vcc_lo
	flat_load_b64 v[8:9], v[8:9]
	s_waitcnt vmcnt(0) lgkmcnt(0)
	v_mul_f64 v[8:9], s[12:13], v[8:9]
	s_branch .LBB165_320
.LBB165_319:
	v_mov_b32_e32 v8, 0
	v_mov_b32_e32 v9, 0
.LBB165_320:
	s_delay_alu instid0(VALU_DEP_1) | instskip(SKIP_2) | instid1(VALU_DEP_1)
	v_cvt_f32_f64_e32 v8, v[8:9]
	v_max_f32_e32 v9, v82, v82
	v_lshlrev_b64 v[16:17], 3, v[2:3]
	v_add_co_u32 v16, vcc_lo, v12, v16
	s_delay_alu instid0(VALU_DEP_2) | instskip(NEXT) | instid1(VALU_DEP_4)
	v_add_co_ci_u32_e32 v17, vcc_lo, v13, v17, vcc_lo
	v_min_f32_e32 v8, v8, v9
	s_delay_alu instid0(VALU_DEP_1) | instskip(SKIP_3) | instid1(SALU_CYCLE_1)
	v_cvt_f64_f32_e32 v[8:9], v8
	global_store_b64 v[16:17], v[8:9], off
	s_or_b32 exec_lo, exec_lo, s7
	s_and_b32 s8, s2, s4
	s_and_saveexec_b32 s7, s8
	s_cbranch_execz .LBB165_312
.LBB165_321:
	v_cmp_ne_u32_e32 vcc_lo, 1, v10
	s_cbranch_vccnz .LBB165_323
; %bb.322:
	v_lshlrev_b64 v[8:9], 3, v[4:5]
	s_delay_alu instid0(VALU_DEP_1) | instskip(NEXT) | instid1(VALU_DEP_2)
	v_add_co_u32 v8, vcc_lo, v14, v8
	v_add_co_ci_u32_e32 v9, vcc_lo, v15, v9, vcc_lo
	flat_load_b64 v[8:9], v[8:9]
	s_waitcnt vmcnt(0) lgkmcnt(0)
	v_mul_f64 v[8:9], s[12:13], v[8:9]
	s_branch .LBB165_324
.LBB165_323:
	v_mov_b32_e32 v8, 0
	v_mov_b32_e32 v9, 0
.LBB165_324:
	s_delay_alu instid0(VALU_DEP_1) | instskip(SKIP_2) | instid1(VALU_DEP_1)
	v_cvt_f32_f64_e32 v8, v[8:9]
	v_max_f32_e32 v9, v81, v81
	v_lshlrev_b64 v[16:17], 3, v[4:5]
	v_add_co_u32 v16, vcc_lo, v12, v16
	s_delay_alu instid0(VALU_DEP_2) | instskip(NEXT) | instid1(VALU_DEP_4)
	v_add_co_ci_u32_e32 v17, vcc_lo, v13, v17, vcc_lo
	v_min_f32_e32 v8, v8, v9
	s_delay_alu instid0(VALU_DEP_1) | instskip(SKIP_3) | instid1(SALU_CYCLE_1)
	v_cvt_f64_f32_e32 v[8:9], v8
	global_store_b64 v[16:17], v[8:9], off
	s_or_b32 exec_lo, exec_lo, s7
	s_and_b32 s7, s3, s4
	s_and_saveexec_b32 s4, s7
	s_cbranch_execz .LBB165_329
.LBB165_325:
	v_cmp_ne_u32_e32 vcc_lo, 1, v10
	s_cbranch_vccnz .LBB165_327
; %bb.326:
	v_lshlrev_b64 v[8:9], 3, v[6:7]
	s_delay_alu instid0(VALU_DEP_1) | instskip(NEXT) | instid1(VALU_DEP_2)
	v_add_co_u32 v8, vcc_lo, v14, v8
	v_add_co_ci_u32_e32 v9, vcc_lo, v15, v9, vcc_lo
	flat_load_b64 v[8:9], v[8:9]
	s_waitcnt vmcnt(0) lgkmcnt(0)
	v_mul_f64 v[8:9], s[12:13], v[8:9]
	s_branch .LBB165_328
.LBB165_327:
	v_mov_b32_e32 v8, 0
	v_mov_b32_e32 v9, 0
.LBB165_328:
	s_delay_alu instid0(VALU_DEP_1) | instskip(SKIP_2) | instid1(VALU_DEP_1)
	v_cvt_f32_f64_e32 v8, v[8:9]
	v_max_f32_e32 v9, v80, v80
	v_lshlrev_b64 v[14:15], 3, v[6:7]
	v_add_co_u32 v12, vcc_lo, v12, v14
	s_delay_alu instid0(VALU_DEP_2) | instskip(NEXT) | instid1(VALU_DEP_4)
	v_add_co_ci_u32_e32 v13, vcc_lo, v13, v15, vcc_lo
	v_min_f32_e32 v8, v8, v9
	s_delay_alu instid0(VALU_DEP_1)
	v_cvt_f64_f32_e32 v[8:9], v8
	global_store_b64 v[12:13], v[8:9], off
.LBB165_329:
	s_or_b32 exec_lo, exec_lo, s4
	v_add_nc_u32_e32 v14, 0x70, v11
	s_delay_alu instid0(VALU_DEP_1) | instskip(SKIP_2) | instid1(VALU_DEP_3)
	v_mad_i64_i32 v[8:9], null, v14, s6, 0
	v_mad_i64_i32 v[12:13], null, v14, s5, 0
	v_cmp_gt_i32_e64 s4, s9, v14
	v_lshlrev_b64 v[8:9], 3, v[8:9]
	s_delay_alu instid0(VALU_DEP_2) | instskip(NEXT) | instid1(VALU_DEP_3)
	s_and_b32 s8, s0, s4
	v_lshlrev_b64 v[14:15], 3, v[12:13]
	s_delay_alu instid0(VALU_DEP_2) | instskip(NEXT) | instid1(VALU_DEP_3)
	v_add_co_u32 v12, vcc_lo, s20, v8
	v_add_co_ci_u32_e32 v13, vcc_lo, s21, v9, vcc_lo
	s_delay_alu instid0(VALU_DEP_3) | instskip(NEXT) | instid1(VALU_DEP_4)
	v_add_co_u32 v8, vcc_lo, s10, v14
	v_add_co_ci_u32_e32 v9, vcc_lo, s11, v15, vcc_lo
	s_and_saveexec_b32 s7, s8
	s_cbranch_execnz .LBB165_333
; %bb.330:
	s_or_b32 exec_lo, exec_lo, s7
	s_and_b32 s8, s1, s4
	s_delay_alu instid0(SALU_CYCLE_1)
	s_and_saveexec_b32 s7, s8
	s_cbranch_execnz .LBB165_337
.LBB165_331:
	s_or_b32 exec_lo, exec_lo, s7
	s_and_b32 s8, s2, s4
	s_delay_alu instid0(SALU_CYCLE_1)
	s_and_saveexec_b32 s7, s8
	s_cbranch_execnz .LBB165_341
.LBB165_332:
	s_or_b32 exec_lo, exec_lo, s7
	s_and_b32 s7, s3, s4
	s_delay_alu instid0(SALU_CYCLE_1)
	s_and_saveexec_b32 s4, s7
	s_cbranch_execnz .LBB165_345
	s_branch .LBB165_349
.LBB165_333:
	v_cmp_ne_u32_e32 vcc_lo, 1, v10
	s_cbranch_vccnz .LBB165_335
; %bb.334:
	v_lshlrev_b64 v[14:15], 3, v[0:1]
	s_delay_alu instid0(VALU_DEP_1) | instskip(NEXT) | instid1(VALU_DEP_2)
	v_add_co_u32 v14, vcc_lo, v12, v14
	v_add_co_ci_u32_e32 v15, vcc_lo, v13, v15, vcc_lo
	flat_load_b64 v[14:15], v[14:15]
	s_waitcnt vmcnt(0) lgkmcnt(0)
	v_mul_f64 v[14:15], s[12:13], v[14:15]
	s_delay_alu instid0(VALU_DEP_1)
	v_cvt_f32_f64_e32 v14, v[14:15]
	s_branch .LBB165_336
.LBB165_335:
	v_mov_b32_e32 v14, 0
.LBB165_336:
	s_delay_alu instid0(VALU_DEP_1) | instskip(SKIP_1) | instid1(VALU_DEP_2)
	v_dual_max_f32 v15, v79, v79 :: v_dual_max_f32 v14, v14, v14
	v_lshlrev_b64 v[16:17], 3, v[0:1]
	v_min_f32_e32 v14, v14, v15
	s_delay_alu instid0(VALU_DEP_2) | instskip(NEXT) | instid1(VALU_DEP_3)
	v_add_co_u32 v16, vcc_lo, v8, v16
	v_add_co_ci_u32_e32 v17, vcc_lo, v9, v17, vcc_lo
	s_delay_alu instid0(VALU_DEP_3) | instskip(SKIP_3) | instid1(SALU_CYCLE_1)
	v_cvt_f64_f32_e32 v[14:15], v14
	global_store_b64 v[16:17], v[14:15], off
	s_or_b32 exec_lo, exec_lo, s7
	s_and_b32 s8, s1, s4
	s_and_saveexec_b32 s7, s8
	s_cbranch_execz .LBB165_331
.LBB165_337:
	v_cmp_ne_u32_e32 vcc_lo, 1, v10
	s_cbranch_vccnz .LBB165_339
; %bb.338:
	v_lshlrev_b64 v[14:15], 3, v[2:3]
	s_delay_alu instid0(VALU_DEP_1) | instskip(NEXT) | instid1(VALU_DEP_2)
	v_add_co_u32 v14, vcc_lo, v12, v14
	v_add_co_ci_u32_e32 v15, vcc_lo, v13, v15, vcc_lo
	flat_load_b64 v[14:15], v[14:15]
	s_waitcnt vmcnt(0) lgkmcnt(0)
	v_mul_f64 v[14:15], s[12:13], v[14:15]
	s_delay_alu instid0(VALU_DEP_1)
	v_cvt_f32_f64_e32 v14, v[14:15]
	s_branch .LBB165_340
.LBB165_339:
	v_mov_b32_e32 v14, 0
.LBB165_340:
	v_max_f32_e32 v15, v78, v78
	s_delay_alu instid0(VALU_DEP_2) | instskip(SKIP_1) | instid1(VALU_DEP_2)
	v_max_f32_e32 v14, v14, v14
	v_lshlrev_b64 v[16:17], 3, v[2:3]
	v_min_f32_e32 v14, v14, v15
	s_delay_alu instid0(VALU_DEP_2) | instskip(NEXT) | instid1(VALU_DEP_3)
	v_add_co_u32 v16, vcc_lo, v8, v16
	v_add_co_ci_u32_e32 v17, vcc_lo, v9, v17, vcc_lo
	s_delay_alu instid0(VALU_DEP_3) | instskip(SKIP_3) | instid1(SALU_CYCLE_1)
	v_cvt_f64_f32_e32 v[14:15], v14
	global_store_b64 v[16:17], v[14:15], off
	s_or_b32 exec_lo, exec_lo, s7
	s_and_b32 s8, s2, s4
	s_and_saveexec_b32 s7, s8
	s_cbranch_execz .LBB165_332
.LBB165_341:
	v_cmp_ne_u32_e32 vcc_lo, 1, v10
	s_cbranch_vccnz .LBB165_343
; %bb.342:
	v_lshlrev_b64 v[14:15], 3, v[4:5]
	s_delay_alu instid0(VALU_DEP_1) | instskip(NEXT) | instid1(VALU_DEP_2)
	v_add_co_u32 v14, vcc_lo, v12, v14
	v_add_co_ci_u32_e32 v15, vcc_lo, v13, v15, vcc_lo
	flat_load_b64 v[14:15], v[14:15]
	s_waitcnt vmcnt(0) lgkmcnt(0)
	v_mul_f64 v[14:15], s[12:13], v[14:15]
	s_delay_alu instid0(VALU_DEP_1)
	v_cvt_f32_f64_e32 v14, v[14:15]
	s_branch .LBB165_344
.LBB165_343:
	v_mov_b32_e32 v14, 0
.LBB165_344:
	s_delay_alu instid0(VALU_DEP_1) | instskip(SKIP_1) | instid1(VALU_DEP_2)
	v_dual_max_f32 v15, v77, v77 :: v_dual_max_f32 v14, v14, v14
	v_lshlrev_b64 v[16:17], 3, v[4:5]
	v_min_f32_e32 v14, v14, v15
	s_delay_alu instid0(VALU_DEP_2) | instskip(NEXT) | instid1(VALU_DEP_3)
	v_add_co_u32 v16, vcc_lo, v8, v16
	v_add_co_ci_u32_e32 v17, vcc_lo, v9, v17, vcc_lo
	s_delay_alu instid0(VALU_DEP_3) | instskip(SKIP_3) | instid1(SALU_CYCLE_1)
	v_cvt_f64_f32_e32 v[14:15], v14
	global_store_b64 v[16:17], v[14:15], off
	s_or_b32 exec_lo, exec_lo, s7
	s_and_b32 s7, s3, s4
	s_and_saveexec_b32 s4, s7
	s_cbranch_execz .LBB165_349
.LBB165_345:
	v_cmp_ne_u32_e32 vcc_lo, 1, v10
	s_cbranch_vccnz .LBB165_347
; %bb.346:
	v_lshlrev_b64 v[14:15], 3, v[6:7]
	s_delay_alu instid0(VALU_DEP_1) | instskip(NEXT) | instid1(VALU_DEP_2)
	v_add_co_u32 v12, vcc_lo, v12, v14
	v_add_co_ci_u32_e32 v13, vcc_lo, v13, v15, vcc_lo
	flat_load_b64 v[12:13], v[12:13]
	s_waitcnt vmcnt(0) lgkmcnt(0)
	v_mul_f64 v[12:13], s[12:13], v[12:13]
	s_delay_alu instid0(VALU_DEP_1)
	v_cvt_f32_f64_e32 v12, v[12:13]
	s_branch .LBB165_348
.LBB165_347:
	v_mov_b32_e32 v12, 0
.LBB165_348:
	v_max_f32_e32 v13, v76, v76
	s_delay_alu instid0(VALU_DEP_2) | instskip(SKIP_1) | instid1(VALU_DEP_2)
	v_max_f32_e32 v12, v12, v12
	v_lshlrev_b64 v[14:15], 3, v[6:7]
	v_min_f32_e32 v12, v12, v13
	s_delay_alu instid0(VALU_DEP_2) | instskip(NEXT) | instid1(VALU_DEP_3)
	v_add_co_u32 v8, vcc_lo, v8, v14
	v_add_co_ci_u32_e32 v9, vcc_lo, v9, v15, vcc_lo
	s_delay_alu instid0(VALU_DEP_3)
	v_cvt_f64_f32_e32 v[12:13], v12
	global_store_b64 v[8:9], v[12:13], off
.LBB165_349:
	s_or_b32 exec_lo, exec_lo, s4
	v_add_nc_u32_e32 v13, 0x78, v11
	s_delay_alu instid0(VALU_DEP_1) | instskip(SKIP_2) | instid1(VALU_DEP_3)
	v_mad_i64_i32 v[8:9], null, v13, s6, 0
	v_mad_i64_i32 v[11:12], null, v13, s5, 0
	v_cmp_gt_i32_e64 s4, s9, v13
	v_lshlrev_b64 v[8:9], 3, v[8:9]
	s_delay_alu instid0(VALU_DEP_2) | instskip(NEXT) | instid1(VALU_DEP_3)
	s_and_b32 s5, s0, s4
	v_lshlrev_b64 v[13:14], 3, v[11:12]
	s_delay_alu instid0(VALU_DEP_2) | instskip(NEXT) | instid1(VALU_DEP_3)
	v_add_co_u32 v11, vcc_lo, s20, v8
	v_add_co_ci_u32_e32 v12, vcc_lo, s21, v9, vcc_lo
	s_delay_alu instid0(VALU_DEP_3) | instskip(NEXT) | instid1(VALU_DEP_4)
	v_add_co_u32 v8, vcc_lo, s10, v13
	v_add_co_ci_u32_e32 v9, vcc_lo, s11, v14, vcc_lo
	s_and_saveexec_b32 s0, s5
	s_cbranch_execnz .LBB165_354
; %bb.350:
	s_or_b32 exec_lo, exec_lo, s0
	s_and_b32 s1, s1, s4
	s_delay_alu instid0(SALU_CYCLE_1)
	s_and_saveexec_b32 s0, s1
	s_cbranch_execnz .LBB165_358
.LBB165_351:
	s_or_b32 exec_lo, exec_lo, s0
	s_and_b32 s1, s2, s4
	s_delay_alu instid0(SALU_CYCLE_1)
	s_and_saveexec_b32 s0, s1
	s_cbranch_execnz .LBB165_362
.LBB165_352:
	s_or_b32 exec_lo, exec_lo, s0
	s_and_b32 s0, s3, s4
	s_delay_alu instid0(SALU_CYCLE_1)
	s_and_saveexec_b32 s1, s0
	s_cbranch_execnz .LBB165_366
.LBB165_353:
	s_nop 0
	s_sendmsg sendmsg(MSG_DEALLOC_VGPRS)
	s_endpgm
.LBB165_354:
	v_cmp_ne_u32_e32 vcc_lo, 1, v10
	v_lshlrev_b64 v[0:1], 3, v[0:1]
	s_cbranch_vccnz .LBB165_356
; %bb.355:
	s_delay_alu instid0(VALU_DEP_1) | instskip(NEXT) | instid1(VALU_DEP_2)
	v_add_co_u32 v13, vcc_lo, v11, v0
	v_add_co_ci_u32_e32 v14, vcc_lo, v12, v1, vcc_lo
	flat_load_b64 v[13:14], v[13:14]
	s_waitcnt vmcnt(0) lgkmcnt(0)
	v_mul_f64 v[13:14], s[12:13], v[13:14]
	s_delay_alu instid0(VALU_DEP_1)
	v_cvt_f32_f64_e32 v13, v[13:14]
	s_branch .LBB165_357
.LBB165_356:
	v_mov_b32_e32 v13, 0
.LBB165_357:
	s_delay_alu instid0(VALU_DEP_1) | instskip(NEXT) | instid1(VALU_DEP_3)
	v_dual_max_f32 v14, v75, v75 :: v_dual_max_f32 v13, v13, v13
	v_add_co_u32 v0, vcc_lo, v8, v0
	s_delay_alu instid0(VALU_DEP_4) | instskip(NEXT) | instid1(VALU_DEP_3)
	v_add_co_ci_u32_e32 v1, vcc_lo, v9, v1, vcc_lo
	v_min_f32_e32 v13, v13, v14
	s_delay_alu instid0(VALU_DEP_1) | instskip(SKIP_3) | instid1(SALU_CYCLE_1)
	v_cvt_f64_f32_e32 v[13:14], v13
	global_store_b64 v[0:1], v[13:14], off
	s_or_b32 exec_lo, exec_lo, s0
	s_and_b32 s1, s1, s4
	s_and_saveexec_b32 s0, s1
	s_cbranch_execz .LBB165_351
.LBB165_358:
	v_cmp_ne_u32_e32 vcc_lo, 1, v10
	v_lshlrev_b64 v[0:1], 3, v[2:3]
	s_cbranch_vccnz .LBB165_360
; %bb.359:
	s_delay_alu instid0(VALU_DEP_1) | instskip(NEXT) | instid1(VALU_DEP_2)
	v_add_co_u32 v2, vcc_lo, v11, v0
	v_add_co_ci_u32_e32 v3, vcc_lo, v12, v1, vcc_lo
	flat_load_b64 v[2:3], v[2:3]
	s_waitcnt vmcnt(0) lgkmcnt(0)
	v_mul_f64 v[2:3], s[12:13], v[2:3]
	s_delay_alu instid0(VALU_DEP_1)
	v_cvt_f32_f64_e32 v2, v[2:3]
	s_branch .LBB165_361
.LBB165_360:
	v_mov_b32_e32 v2, 0
.LBB165_361:
	v_max_f32_e32 v3, v74, v74
	s_delay_alu instid0(VALU_DEP_2) | instskip(NEXT) | instid1(VALU_DEP_4)
	v_max_f32_e32 v2, v2, v2
	v_add_co_u32 v0, vcc_lo, v8, v0
	v_add_co_ci_u32_e32 v1, vcc_lo, v9, v1, vcc_lo
	s_delay_alu instid0(VALU_DEP_3) | instskip(NEXT) | instid1(VALU_DEP_1)
	v_min_f32_e32 v2, v2, v3
	v_cvt_f64_f32_e32 v[2:3], v2
	global_store_b64 v[0:1], v[2:3], off
	s_or_b32 exec_lo, exec_lo, s0
	s_and_b32 s1, s2, s4
	s_delay_alu instid0(SALU_CYCLE_1)
	s_and_saveexec_b32 s0, s1
	s_cbranch_execz .LBB165_352
.LBB165_362:
	v_cmp_ne_u32_e32 vcc_lo, 1, v10
	v_lshlrev_b64 v[0:1], 3, v[4:5]
	s_cbranch_vccnz .LBB165_364
; %bb.363:
	s_delay_alu instid0(VALU_DEP_1) | instskip(NEXT) | instid1(VALU_DEP_2)
	v_add_co_u32 v2, vcc_lo, v11, v0
	v_add_co_ci_u32_e32 v3, vcc_lo, v12, v1, vcc_lo
	flat_load_b64 v[2:3], v[2:3]
	s_waitcnt vmcnt(0) lgkmcnt(0)
	v_mul_f64 v[2:3], s[12:13], v[2:3]
	s_delay_alu instid0(VALU_DEP_1)
	v_cvt_f32_f64_e32 v2, v[2:3]
	s_branch .LBB165_365
.LBB165_364:
	v_mov_b32_e32 v2, 0
.LBB165_365:
	s_delay_alu instid0(VALU_DEP_1) | instskip(NEXT) | instid1(VALU_DEP_3)
	v_dual_max_f32 v3, v73, v73 :: v_dual_max_f32 v2, v2, v2
	v_add_co_u32 v0, vcc_lo, v8, v0
	s_delay_alu instid0(VALU_DEP_4) | instskip(NEXT) | instid1(VALU_DEP_3)
	v_add_co_ci_u32_e32 v1, vcc_lo, v9, v1, vcc_lo
	v_min_f32_e32 v2, v2, v3
	s_delay_alu instid0(VALU_DEP_1) | instskip(SKIP_3) | instid1(SALU_CYCLE_1)
	v_cvt_f64_f32_e32 v[2:3], v2
	global_store_b64 v[0:1], v[2:3], off
	s_or_b32 exec_lo, exec_lo, s0
	s_and_b32 s0, s3, s4
	s_and_saveexec_b32 s1, s0
	s_cbranch_execz .LBB165_353
.LBB165_366:
	v_cmp_ne_u32_e32 vcc_lo, 1, v10
	v_lshlrev_b64 v[0:1], 3, v[6:7]
	s_cbranch_vccnz .LBB165_368
; %bb.367:
	s_delay_alu instid0(VALU_DEP_1) | instskip(NEXT) | instid1(VALU_DEP_2)
	v_add_co_u32 v2, vcc_lo, v11, v0
	v_add_co_ci_u32_e32 v3, vcc_lo, v12, v1, vcc_lo
	flat_load_b64 v[2:3], v[2:3]
	s_waitcnt vmcnt(0) lgkmcnt(0)
	v_mul_f64 v[2:3], s[12:13], v[2:3]
	s_delay_alu instid0(VALU_DEP_1)
	v_cvt_f32_f64_e32 v2, v[2:3]
	s_branch .LBB165_369
.LBB165_368:
	v_mov_b32_e32 v2, 0
.LBB165_369:
	s_delay_alu instid0(VALU_DEP_1) | instskip(NEXT) | instid1(VALU_DEP_3)
	v_dual_max_f32 v3, v72, v72 :: v_dual_max_f32 v2, v2, v2
	v_add_co_u32 v0, vcc_lo, v8, v0
	s_delay_alu instid0(VALU_DEP_4) | instskip(NEXT) | instid1(VALU_DEP_3)
	v_add_co_ci_u32_e32 v1, vcc_lo, v9, v1, vcc_lo
	v_min_f32_e32 v2, v2, v3
	s_delay_alu instid0(VALU_DEP_1)
	v_cvt_f64_f32_e32 v[2:3], v2
	global_store_b64 v[0:1], v[2:3], off
	s_nop 0
	s_sendmsg sendmsg(MSG_DEALLOC_VGPRS)
	s_endpgm
	.section	.rodata,"a",@progbits
	.p2align	6, 0x0
	.amdhsa_kernel _ZN12_GLOBAL__N_120geam_min_plus_kernelId15HIP_vector_typeIdLj2EEdLi32ELi8ELi128ELi128ELi4ELi4ELi64ELi4ELi64ELc84ELc78ELb0ELb1ELb1EPKdS3_dEEviiiT16_PT17_ilS7_ilS5_S7_ilPT18_ili26rocblas_geam_ex_operation_
		.amdhsa_group_segment_fixed_size 16384
		.amdhsa_private_segment_fixed_size 0
		.amdhsa_kernarg_size 136
		.amdhsa_user_sgpr_count 14
		.amdhsa_user_sgpr_dispatch_ptr 0
		.amdhsa_user_sgpr_queue_ptr 0
		.amdhsa_user_sgpr_kernarg_segment_ptr 1
		.amdhsa_user_sgpr_dispatch_id 0
		.amdhsa_user_sgpr_private_segment_size 0
		.amdhsa_wavefront_size32 1
		.amdhsa_uses_dynamic_stack 0
		.amdhsa_enable_private_segment 0
		.amdhsa_system_sgpr_workgroup_id_x 1
		.amdhsa_system_sgpr_workgroup_id_y 0
		.amdhsa_system_sgpr_workgroup_id_z 1
		.amdhsa_system_sgpr_workgroup_info 0
		.amdhsa_system_vgpr_workitem_id 1
		.amdhsa_next_free_vgpr 172
		.amdhsa_next_free_sgpr 32
		.amdhsa_reserve_vcc 1
		.amdhsa_float_round_mode_32 0
		.amdhsa_float_round_mode_16_64 0
		.amdhsa_float_denorm_mode_32 3
		.amdhsa_float_denorm_mode_16_64 3
		.amdhsa_dx10_clamp 1
		.amdhsa_ieee_mode 1
		.amdhsa_fp16_overflow 0
		.amdhsa_workgroup_processor_mode 1
		.amdhsa_memory_ordered 1
		.amdhsa_forward_progress 0
		.amdhsa_shared_vgpr_count 0
		.amdhsa_exception_fp_ieee_invalid_op 0
		.amdhsa_exception_fp_denorm_src 0
		.amdhsa_exception_fp_ieee_div_zero 0
		.amdhsa_exception_fp_ieee_overflow 0
		.amdhsa_exception_fp_ieee_underflow 0
		.amdhsa_exception_fp_ieee_inexact 0
		.amdhsa_exception_int_div_zero 0
	.end_amdhsa_kernel
	.section	.text._ZN12_GLOBAL__N_120geam_min_plus_kernelId15HIP_vector_typeIdLj2EEdLi32ELi8ELi128ELi128ELi4ELi4ELi64ELi4ELi64ELc84ELc78ELb0ELb1ELb1EPKdS3_dEEviiiT16_PT17_ilS7_ilS5_S7_ilPT18_ili26rocblas_geam_ex_operation_,"axG",@progbits,_ZN12_GLOBAL__N_120geam_min_plus_kernelId15HIP_vector_typeIdLj2EEdLi32ELi8ELi128ELi128ELi4ELi4ELi64ELi4ELi64ELc84ELc78ELb0ELb1ELb1EPKdS3_dEEviiiT16_PT17_ilS7_ilS5_S7_ilPT18_ili26rocblas_geam_ex_operation_,comdat
.Lfunc_end165:
	.size	_ZN12_GLOBAL__N_120geam_min_plus_kernelId15HIP_vector_typeIdLj2EEdLi32ELi8ELi128ELi128ELi4ELi4ELi64ELi4ELi64ELc84ELc78ELb0ELb1ELb1EPKdS3_dEEviiiT16_PT17_ilS7_ilS5_S7_ilPT18_ili26rocblas_geam_ex_operation_, .Lfunc_end165-_ZN12_GLOBAL__N_120geam_min_plus_kernelId15HIP_vector_typeIdLj2EEdLi32ELi8ELi128ELi128ELi4ELi4ELi64ELi4ELi64ELc84ELc78ELb0ELb1ELb1EPKdS3_dEEviiiT16_PT17_ilS7_ilS5_S7_ilPT18_ili26rocblas_geam_ex_operation_
                                        ; -- End function
	.section	.AMDGPU.csdata,"",@progbits
; Kernel info:
; codeLenInByte = 24920
; NumSgprs: 34
; NumVgprs: 172
; ScratchSize: 0
; MemoryBound: 0
; FloatMode: 240
; IeeeMode: 1
; LDSByteSize: 16384 bytes/workgroup (compile time only)
; SGPRBlocks: 4
; VGPRBlocks: 21
; NumSGPRsForWavesPerEU: 34
; NumVGPRsForWavesPerEU: 172
; Occupancy: 8
; WaveLimiterHint : 0
; COMPUTE_PGM_RSRC2:SCRATCH_EN: 0
; COMPUTE_PGM_RSRC2:USER_SGPR: 14
; COMPUTE_PGM_RSRC2:TRAP_HANDLER: 0
; COMPUTE_PGM_RSRC2:TGID_X_EN: 1
; COMPUTE_PGM_RSRC2:TGID_Y_EN: 0
; COMPUTE_PGM_RSRC2:TGID_Z_EN: 1
; COMPUTE_PGM_RSRC2:TIDIG_COMP_CNT: 1
	.section	.text._ZN12_GLOBAL__N_120geam_min_plus_kernelId15HIP_vector_typeIdLj2EEdLi32ELi8ELi128ELi128ELi4ELi4ELi64ELi4ELi64ELc84ELc78ELb1ELb1ELb1EdKddEEviiiT16_PT17_ilS6_ilS4_S6_ilPT18_ili26rocblas_geam_ex_operation_,"axG",@progbits,_ZN12_GLOBAL__N_120geam_min_plus_kernelId15HIP_vector_typeIdLj2EEdLi32ELi8ELi128ELi128ELi4ELi4ELi64ELi4ELi64ELc84ELc78ELb1ELb1ELb1EdKddEEviiiT16_PT17_ilS6_ilS4_S6_ilPT18_ili26rocblas_geam_ex_operation_,comdat
	.globl	_ZN12_GLOBAL__N_120geam_min_plus_kernelId15HIP_vector_typeIdLj2EEdLi32ELi8ELi128ELi128ELi4ELi4ELi64ELi4ELi64ELc84ELc78ELb1ELb1ELb1EdKddEEviiiT16_PT17_ilS6_ilS4_S6_ilPT18_ili26rocblas_geam_ex_operation_ ; -- Begin function _ZN12_GLOBAL__N_120geam_min_plus_kernelId15HIP_vector_typeIdLj2EEdLi32ELi8ELi128ELi128ELi4ELi4ELi64ELi4ELi64ELc84ELc78ELb1ELb1ELb1EdKddEEviiiT16_PT17_ilS6_ilS4_S6_ilPT18_ili26rocblas_geam_ex_operation_
	.p2align	8
	.type	_ZN12_GLOBAL__N_120geam_min_plus_kernelId15HIP_vector_typeIdLj2EEdLi32ELi8ELi128ELi128ELi4ELi4ELi64ELi4ELi64ELc84ELc78ELb1ELb1ELb1EdKddEEviiiT16_PT17_ilS6_ilS4_S6_ilPT18_ili26rocblas_geam_ex_operation_,@function
_ZN12_GLOBAL__N_120geam_min_plus_kernelId15HIP_vector_typeIdLj2EEdLi32ELi8ELi128ELi128ELi4ELi4ELi64ELi4ELi64ELc84ELc78ELb1ELb1ELb1EdKddEEviiiT16_PT17_ilS6_ilS4_S6_ilPT18_ili26rocblas_geam_ex_operation_: ; @_ZN12_GLOBAL__N_120geam_min_plus_kernelId15HIP_vector_typeIdLj2EEdLi32ELi8ELi128ELi128ELi4ELi4ELi64ELi4ELi64ELc84ELc78ELb1ELb1ELb1EdKddEEviiiT16_PT17_ilS6_ilS4_S6_ilPT18_ili26rocblas_geam_ex_operation_
; %bb.0:
	s_clause 0x1
	s_load_b128 s[8:11], s[0:1], 0x10
	s_load_b128 s[4:7], s[0:1], 0x28
	s_mov_b64 s[12:13], 0
	s_waitcnt lgkmcnt(0)
	v_cmp_eq_f64_e64 s16, s[8:9], 0
	s_delay_alu instid0(VALU_DEP_1)
	s_and_b32 vcc_lo, exec_lo, s16
	s_cbranch_vccnz .LBB166_2
; %bb.1:
	s_mul_i32 s2, s15, s5
	s_mul_hi_u32 s3, s15, s4
	s_delay_alu instid0(SALU_CYCLE_1) | instskip(SKIP_1) | instid1(SALU_CYCLE_1)
	s_add_i32 s3, s3, s2
	s_mul_i32 s2, s15, s4
	s_lshl_b64 s[2:3], s[2:3], 3
	s_delay_alu instid0(SALU_CYCLE_1)
	s_add_u32 s12, s10, s2
	s_addc_u32 s13, s11, s3
.LBB166_2:
	s_clause 0x1
	s_load_b128 s[8:11], s[0:1], 0x40
	s_load_b64 s[2:3], s[0:1], 0x50
	s_and_not1_b32 vcc_lo, exec_lo, s16
	s_cbranch_vccnz .LBB166_4
; %bb.3:
	s_mov_b32 s26, 0
	s_mov_b64 s[24:25], 0
	s_cbranch_execz .LBB166_5
	s_branch .LBB166_6
.LBB166_4:
	s_mov_b32 s26, -1
                                        ; implicit-def: $sgpr24_sgpr25
.LBB166_5:
	s_waitcnt lgkmcnt(0)
	s_mul_i32 s4, s15, s9
	s_mul_hi_u32 s5, s15, s8
	s_mov_b32 s26, 0
	s_add_i32 s5, s5, s4
	s_mul_i32 s4, s15, s8
	s_delay_alu instid0(SALU_CYCLE_1) | instskip(NEXT) | instid1(SALU_CYCLE_1)
	s_lshl_b64 s[4:5], s[4:5], 3
	s_add_u32 s24, s6, s4
	s_addc_u32 s25, s7, s5
.LBB166_6:
	s_waitcnt lgkmcnt(0)
	v_cmp_eq_f64_e64 s4, s[10:11], 0
	v_cmp_neq_f64_e64 s27, s[10:11], 0
	s_load_b128 s[20:23], s[0:1], 0x60
	s_mov_b64 s[8:9], 0
	s_delay_alu instid0(VALU_DEP_2)
	s_and_b32 vcc_lo, exec_lo, s4
	s_cbranch_vccnz .LBB166_8
; %bb.7:
	s_waitcnt lgkmcnt(0)
	s_mul_i32 s4, s15, s21
	s_mul_hi_u32 s5, s15, s20
	s_mul_i32 s6, s26, s20
	s_add_i32 s4, s5, s4
	s_delay_alu instid0(SALU_CYCLE_1) | instskip(SKIP_1) | instid1(SALU_CYCLE_1)
	s_add_i32 s5, s4, s6
	s_mul_i32 s4, s15, s20
	s_lshl_b64 s[4:5], s[4:5], 3
	s_delay_alu instid0(SALU_CYCLE_1)
	s_add_u32 s8, s2, s4
	s_addc_u32 s9, s3, s5
.LBB166_8:
	s_clause 0x1
	s_load_b128 s[16:19], s[0:1], 0x0
	s_load_b32 s28, s[0:1], 0x20
	v_and_b32_e32 v132, 0x3ff, v0
	v_bfe_u32 v133, v0, 10, 10
	s_delay_alu instid0(VALU_DEP_2) | instskip(NEXT) | instid1(VALU_DEP_2)
	v_and_b32_e32 v140, 3, v132
	v_lshl_add_u32 v0, v133, 5, v132
	s_delay_alu instid0(VALU_DEP_1) | instskip(SKIP_4) | instid1(SALU_CYCLE_1)
	v_lshrrev_b32_e32 v8, 2, v0
	s_waitcnt lgkmcnt(0)
	s_add_i32 s2, s16, -1
	v_cmp_le_i32_e32 vcc_lo, s18, v140
	s_ashr_i32 s3, s2, 31
	s_lshr_b32 s3, s3, 25
	s_delay_alu instid0(SALU_CYCLE_1) | instskip(NEXT) | instid1(SALU_CYCLE_1)
	s_add_i32 s2, s2, s3
	s_ashr_i32 s2, s2, 7
	s_delay_alu instid0(SALU_CYCLE_1) | instskip(SKIP_2) | instid1(VALU_DEP_1)
	s_add_i32 s3, s2, 1
	s_not_b32 s2, s2
	v_cvt_f32_u32_e32 v1, s3
	v_rcp_iflag_f32_e32 v1, v1
	s_waitcnt_depctr 0xfff
	v_mul_f32_e32 v1, 0x4f7ffffe, v1
	s_delay_alu instid0(VALU_DEP_1) | instskip(NEXT) | instid1(VALU_DEP_1)
	v_cvt_u32_f32_e32 v1, v1
	v_readfirstlane_b32 s4, v1
	s_delay_alu instid0(VALU_DEP_1) | instskip(NEXT) | instid1(SALU_CYCLE_1)
	s_mul_i32 s2, s2, s4
	s_mul_hi_u32 s2, s4, s2
	s_delay_alu instid0(SALU_CYCLE_1) | instskip(NEXT) | instid1(SALU_CYCLE_1)
	s_add_i32 s4, s4, s2
	s_mul_hi_u32 s2, s14, s4
	s_delay_alu instid0(SALU_CYCLE_1) | instskip(SKIP_2) | instid1(SALU_CYCLE_1)
	s_mul_i32 s4, s2, s3
	s_add_i32 s5, s2, 1
	s_sub_i32 s4, s14, s4
	s_sub_i32 s6, s4, s3
	s_cmp_ge_u32 s4, s3
	s_cselect_b32 s2, s5, s2
	s_cselect_b32 s4, s6, s4
	s_add_i32 s5, s2, 1
	s_cmp_ge_u32 s4, s3
	s_cselect_b32 s6, s5, s2
	s_mov_b32 s4, -1
	s_mul_i32 s2, s6, s3
	s_mov_b32 s5, 0x7fefffff
	s_sub_i32 s2, s14, s2
	v_dual_mov_b32 v0, s4 :: v_dual_lshlrev_b32 v9, 3, v140
	s_lshl_b32 s14, s2, 7
	s_delay_alu instid0(SALU_CYCLE_1) | instskip(NEXT) | instid1(VALU_DEP_2)
	v_dual_mov_b32 v1, s5 :: v_dual_add_nc_u32 v64, s14, v8
	v_add_co_u32 v10, s3, s12, v9
	s_delay_alu instid0(VALU_DEP_1) | instskip(NEXT) | instid1(VALU_DEP_3)
	v_add_co_ci_u32_e64 v11, null, s13, 0, s3
	v_cmp_le_i32_e64 s2, s16, v64
	s_delay_alu instid0(VALU_DEP_1) | instskip(NEXT) | instid1(SALU_CYCLE_1)
	s_or_b32 s3, vcc_lo, s2
	s_xor_b32 s3, s3, -1
	s_delay_alu instid0(SALU_CYCLE_1)
	s_and_saveexec_b32 s7, s3
	s_cbranch_execz .LBB166_10
; %bb.9:
	v_mad_i64_i32 v[0:1], null, v64, s28, 0
	s_delay_alu instid0(VALU_DEP_1) | instskip(NEXT) | instid1(VALU_DEP_1)
	v_lshlrev_b64 v[0:1], 3, v[0:1]
	v_add_co_u32 v0, s3, v10, v0
	s_delay_alu instid0(VALU_DEP_1)
	v_add_co_ci_u32_e64 v1, s3, v11, v1, s3
	flat_load_b64 v[0:1], v[0:1]
.LBB166_10:
	s_or_b32 exec_lo, exec_lo, s7
	v_dual_mov_b32 v2, s4 :: v_dual_add_nc_u32 v65, 64, v64
	v_mov_b32_e32 v3, s5
	s_delay_alu instid0(VALU_DEP_2) | instskip(NEXT) | instid1(VALU_DEP_1)
	v_cmp_le_i32_e64 s3, s16, v65
	s_or_b32 s4, vcc_lo, s3
	s_delay_alu instid0(SALU_CYCLE_1) | instskip(NEXT) | instid1(SALU_CYCLE_1)
	s_xor_b32 s4, s4, -1
	s_and_saveexec_b32 s5, s4
	s_cbranch_execz .LBB166_12
; %bb.11:
	v_mad_i64_i32 v[2:3], null, v65, s28, 0
	s_delay_alu instid0(VALU_DEP_1) | instskip(NEXT) | instid1(VALU_DEP_1)
	v_lshlrev_b64 v[2:3], 3, v[2:3]
	v_add_co_u32 v2, s4, v10, v2
	s_delay_alu instid0(VALU_DEP_1)
	v_add_co_ci_u32_e64 v3, s4, v11, v3, s4
	flat_load_b64 v[2:3], v[2:3]
.LBB166_12:
	s_or_b32 exec_lo, exec_lo, s5
	s_load_b32 s29, s[0:1], 0x38
	s_lshl_b32 s19, s6, 7
	s_mov_b32 s6, -1
	s_mov_b32 s7, 0x7fefffff
	v_add_nc_u32_e32 v66, s19, v8
	v_dual_mov_b32 v4, s6 :: v_dual_mov_b32 v5, s7
	v_add_co_u32 v12, s5, s24, v9
	s_delay_alu instid0(VALU_DEP_3) | instskip(SKIP_1) | instid1(VALU_DEP_2)
	v_cmp_le_i32_e64 s4, s17, v66
	v_add_co_ci_u32_e64 v13, null, s25, 0, s5
	s_or_b32 s5, vcc_lo, s4
	s_delay_alu instid0(SALU_CYCLE_1) | instskip(NEXT) | instid1(SALU_CYCLE_1)
	s_xor_b32 s5, s5, -1
	s_and_saveexec_b32 s20, s5
	s_cbranch_execz .LBB166_14
; %bb.13:
	s_waitcnt lgkmcnt(0)
	v_mad_i64_i32 v[4:5], null, v66, s29, 0
	s_delay_alu instid0(VALU_DEP_1) | instskip(NEXT) | instid1(VALU_DEP_1)
	v_lshlrev_b64 v[4:5], 3, v[4:5]
	v_add_co_u32 v4, s5, v12, v4
	s_delay_alu instid0(VALU_DEP_1)
	v_add_co_ci_u32_e64 v5, s5, v13, v5, s5
	flat_load_b64 v[4:5], v[4:5]
.LBB166_14:
	s_or_b32 exec_lo, exec_lo, s20
	v_dual_mov_b32 v6, s6 :: v_dual_add_nc_u32 v67, 64, v66
	v_mov_b32_e32 v7, s7
	s_delay_alu instid0(VALU_DEP_2) | instskip(NEXT) | instid1(VALU_DEP_1)
	v_cmp_le_i32_e64 s5, s17, v67
	s_or_b32 s6, vcc_lo, s5
	s_delay_alu instid0(SALU_CYCLE_1) | instskip(NEXT) | instid1(SALU_CYCLE_1)
	s_xor_b32 s7, s6, -1
	s_and_saveexec_b32 s6, s7
	s_cbranch_execz .LBB166_16
; %bb.15:
	s_waitcnt lgkmcnt(0)
	v_mad_i64_i32 v[6:7], null, v67, s29, 0
	s_delay_alu instid0(VALU_DEP_1) | instskip(NEXT) | instid1(VALU_DEP_1)
	v_lshlrev_b64 v[6:7], 3, v[6:7]
	v_add_co_u32 v6, vcc_lo, v12, v6
	s_delay_alu instid0(VALU_DEP_2)
	v_add_co_ci_u32_e32 v7, vcc_lo, v13, v7, vcc_lo
	flat_load_b64 v[6:7], v[6:7]
.LBB166_16:
	s_or_b32 exec_lo, exec_lo, s6
	v_or_b32_e32 v14, 4, v140
	s_mov_b32 s20, -1
	s_mov_b32 s21, 0x7fefffff
	s_delay_alu instid0(SALU_CYCLE_1) | instskip(NEXT) | instid1(VALU_DEP_2)
	v_dual_mov_b32 v57, s21 :: v_dual_mov_b32 v56, s20
	v_cmp_le_i32_e32 vcc_lo, s18, v14
	s_or_b32 s6, vcc_lo, s2
	s_delay_alu instid0(SALU_CYCLE_1) | instskip(NEXT) | instid1(SALU_CYCLE_1)
	s_xor_b32 s6, s6, -1
	s_and_saveexec_b32 s7, s6
	s_cbranch_execz .LBB166_18
; %bb.17:
	v_mad_i64_i32 v[14:15], null, v64, s28, 0
	s_delay_alu instid0(VALU_DEP_1) | instskip(NEXT) | instid1(VALU_DEP_1)
	v_lshlrev_b64 v[14:15], 3, v[14:15]
	v_add_co_u32 v14, s6, v10, v14
	s_delay_alu instid0(VALU_DEP_1)
	v_add_co_ci_u32_e64 v15, s6, v11, v15, s6
	flat_load_b64 v[56:57], v[14:15] offset:32
.LBB166_18:
	s_or_b32 exec_lo, exec_lo, s7
	v_dual_mov_b32 v59, s21 :: v_dual_mov_b32 v58, s20
	s_or_b32 s6, vcc_lo, s3
	s_delay_alu instid0(SALU_CYCLE_1) | instskip(NEXT) | instid1(SALU_CYCLE_1)
	s_xor_b32 s6, s6, -1
	s_and_saveexec_b32 s7, s6
	s_cbranch_execz .LBB166_20
; %bb.19:
	v_mad_i64_i32 v[14:15], null, v65, s28, 0
	s_delay_alu instid0(VALU_DEP_1) | instskip(NEXT) | instid1(VALU_DEP_1)
	v_lshlrev_b64 v[14:15], 3, v[14:15]
	v_add_co_u32 v10, s6, v10, v14
	s_delay_alu instid0(VALU_DEP_1)
	v_add_co_ci_u32_e64 v11, s6, v11, v15, s6
	flat_load_b64 v[58:59], v[10:11] offset:32
.LBB166_20:
	s_or_b32 exec_lo, exec_lo, s7
	v_dual_mov_b32 v61, s21 :: v_dual_mov_b32 v60, s20
	s_or_b32 s6, vcc_lo, s4
	s_delay_alu instid0(SALU_CYCLE_1) | instskip(NEXT) | instid1(SALU_CYCLE_1)
	s_xor_b32 s6, s6, -1
	s_and_saveexec_b32 s7, s6
	s_cbranch_execz .LBB166_22
; %bb.21:
	s_waitcnt lgkmcnt(0)
	v_mad_i64_i32 v[10:11], null, v66, s29, 0
	s_delay_alu instid0(VALU_DEP_1) | instskip(NEXT) | instid1(VALU_DEP_1)
	v_lshlrev_b64 v[10:11], 3, v[10:11]
	v_add_co_u32 v10, s6, v12, v10
	s_delay_alu instid0(VALU_DEP_1)
	v_add_co_ci_u32_e64 v11, s6, v13, v11, s6
	flat_load_b64 v[60:61], v[10:11] offset:32
.LBB166_22:
	s_or_b32 exec_lo, exec_lo, s7
	v_dual_mov_b32 v63, s21 :: v_dual_mov_b32 v62, s20
	s_or_b32 s6, vcc_lo, s5
	s_delay_alu instid0(SALU_CYCLE_1) | instskip(NEXT) | instid1(SALU_CYCLE_1)
	s_xor_b32 s7, s6, -1
	s_and_saveexec_b32 s6, s7
	s_cbranch_execz .LBB166_24
; %bb.23:
	s_waitcnt lgkmcnt(0)
	v_mad_i64_i32 v[10:11], null, v67, s29, 0
	s_delay_alu instid0(VALU_DEP_1) | instskip(NEXT) | instid1(VALU_DEP_1)
	v_lshlrev_b64 v[10:11], 3, v[10:11]
	v_add_co_u32 v10, vcc_lo, v12, v10
	s_delay_alu instid0(VALU_DEP_2)
	v_add_co_ci_u32_e32 v11, vcc_lo, v13, v11, vcc_lo
	flat_load_b64 v[62:63], v[10:11] offset:32
.LBB166_24:
	s_or_b32 exec_lo, exec_lo, s6
	v_lshl_or_b32 v141, v8, 5, v9
	v_dual_mov_b32 v74, 0x7f800000 :: v_dual_mov_b32 v75, 0x7f800000
	v_dual_mov_b32 v76, 0x7f800000 :: v_dual_mov_b32 v77, 0x7f800000
	s_delay_alu instid0(VALU_DEP_3)
	v_add_nc_u32_e32 v142, 0x2000, v141
	v_dual_mov_b32 v78, 0x7f800000 :: v_dual_mov_b32 v79, 0x7f800000
	v_dual_mov_b32 v80, 0x7f800000 :: v_dual_mov_b32 v81, 0x7f800000
	;; [unrolled: 1-line block ×30, first 2 shown]
	s_mov_b32 s7, 0
	s_mov_b32 s6, -1
	s_waitcnt vmcnt(0) lgkmcnt(0)
	ds_store_2addr_stride64_b64 v141, v[0:1], v[2:3] offset1:4
	ds_store_2addr_stride64_b64 v141, v[4:5], v[6:7] offset0:16 offset1:20
	s_waitcnt lgkmcnt(0)
	s_barrier
	buffer_gl0_inv
.LBB166_25:                             ; =>This Inner Loop Header: Depth=1
	s_lshl_b32 s7, s7, 3
	s_and_not1_b32 vcc_lo, exec_lo, s6
	v_lshl_add_u32 v0, v132, 5, s7
	v_lshl_add_u32 v16, v133, 5, s7
	s_mov_b32 s7, 2
	s_mov_b32 s6, 0
	ds_load_b128 v[12:15], v0
	ds_load_b128 v[8:11], v0 offset:1024
	ds_load_b128 v[4:7], v0 offset:2048
	;; [unrolled: 1-line block ×19, first 2 shown]
	s_waitcnt lgkmcnt(15)
	v_add_f64 v[72:73], v[14:15], v[70:71]
	v_add_f64 v[163:164], v[12:13], v[68:69]
	s_delay_alu instid0(VALU_DEP_2) | instskip(NEXT) | instid1(VALU_DEP_2)
	v_cvt_f32_f64_e32 v72, v[72:73]
	v_cvt_f32_f64_e32 v163, v[163:164]
	s_delay_alu instid0(VALU_DEP_1) | instskip(SKIP_2) | instid1(VALU_DEP_2)
	v_min3_f32 v139, v163, v72, v139
	v_add_f64 v[72:73], v[10:11], v[70:71]
	v_add_f64 v[163:164], v[8:9], v[68:69]
	v_cvt_f32_f64_e32 v72, v[72:73]
	s_delay_alu instid0(VALU_DEP_2) | instskip(NEXT) | instid1(VALU_DEP_1)
	v_cvt_f32_f64_e32 v163, v[163:164]
	v_min3_f32 v138, v163, v72, v138
	v_add_f64 v[72:73], v[6:7], v[70:71]
	v_add_f64 v[163:164], v[4:5], v[68:69]
	;; [unrolled: 1-line block ×4, first 2 shown]
	s_delay_alu instid0(VALU_DEP_4) | instskip(NEXT) | instid1(VALU_DEP_4)
	v_cvt_f32_f64_e32 v72, v[72:73]
	v_cvt_f32_f64_e32 v163, v[163:164]
	s_delay_alu instid0(VALU_DEP_3) | instskip(SKIP_3) | instid1(VALU_DEP_4)
	v_cvt_f32_f64_e32 v68, v[68:69]
	v_cvt_f32_f64_e32 v69, v[70:71]
	s_waitcnt lgkmcnt(14)
	v_add_f64 v[70:71], v[12:13], v[143:144]
	v_min3_f32 v137, v163, v72, v137
	s_delay_alu instid0(VALU_DEP_3) | instskip(SKIP_1) | instid1(VALU_DEP_4)
	v_min3_f32 v136, v68, v69, v136
	v_add_f64 v[68:69], v[14:15], v[145:146]
	v_cvt_f32_f64_e32 v70, v[70:71]
	s_delay_alu instid0(VALU_DEP_2) | instskip(NEXT) | instid1(VALU_DEP_1)
	v_cvt_f32_f64_e32 v68, v[68:69]
	v_min3_f32 v135, v70, v68, v135
	v_add_f64 v[68:69], v[10:11], v[145:146]
	v_add_f64 v[70:71], v[8:9], v[143:144]
	s_delay_alu instid0(VALU_DEP_2) | instskip(NEXT) | instid1(VALU_DEP_2)
	v_cvt_f32_f64_e32 v68, v[68:69]
	v_cvt_f32_f64_e32 v70, v[70:71]
	s_delay_alu instid0(VALU_DEP_1) | instskip(SKIP_2) | instid1(VALU_DEP_2)
	v_min3_f32 v134, v70, v68, v134
	v_add_f64 v[68:69], v[6:7], v[145:146]
	v_add_f64 v[70:71], v[4:5], v[143:144]
	v_cvt_f32_f64_e32 v68, v[68:69]
	s_delay_alu instid0(VALU_DEP_2) | instskip(NEXT) | instid1(VALU_DEP_1)
	v_cvt_f32_f64_e32 v70, v[70:71]
	v_min3_f32 v131, v70, v68, v131
	v_add_f64 v[68:69], v[2:3], v[145:146]
	v_add_f64 v[70:71], v[0:1], v[143:144]
	s_delay_alu instid0(VALU_DEP_2) | instskip(NEXT) | instid1(VALU_DEP_2)
	v_cvt_f32_f64_e32 v68, v[68:69]
	v_cvt_f32_f64_e32 v70, v[70:71]
	s_delay_alu instid0(VALU_DEP_1) | instskip(SKIP_3) | instid1(VALU_DEP_2)
	v_min3_f32 v130, v70, v68, v130
	s_waitcnt lgkmcnt(13)
	v_add_f64 v[68:69], v[14:15], v[149:150]
	v_add_f64 v[70:71], v[12:13], v[147:148]
	v_cvt_f32_f64_e32 v68, v[68:69]
	s_delay_alu instid0(VALU_DEP_2) | instskip(NEXT) | instid1(VALU_DEP_1)
	v_cvt_f32_f64_e32 v70, v[70:71]
	v_min3_f32 v129, v70, v68, v129
	v_add_f64 v[68:69], v[10:11], v[149:150]
	v_add_f64 v[70:71], v[8:9], v[147:148]
	s_delay_alu instid0(VALU_DEP_2) | instskip(NEXT) | instid1(VALU_DEP_2)
	v_cvt_f32_f64_e32 v68, v[68:69]
	v_cvt_f32_f64_e32 v70, v[70:71]
	s_delay_alu instid0(VALU_DEP_1) | instskip(SKIP_2) | instid1(VALU_DEP_2)
	v_min3_f32 v128, v70, v68, v128
	v_add_f64 v[68:69], v[6:7], v[149:150]
	v_add_f64 v[70:71], v[4:5], v[147:148]
	v_cvt_f32_f64_e32 v68, v[68:69]
	s_delay_alu instid0(VALU_DEP_2) | instskip(NEXT) | instid1(VALU_DEP_1)
	v_cvt_f32_f64_e32 v70, v[70:71]
	v_min3_f32 v127, v70, v68, v127
	v_add_f64 v[68:69], v[2:3], v[149:150]
	v_add_f64 v[70:71], v[0:1], v[147:148]
	s_delay_alu instid0(VALU_DEP_2) | instskip(NEXT) | instid1(VALU_DEP_2)
	v_cvt_f32_f64_e32 v68, v[68:69]
	v_cvt_f32_f64_e32 v70, v[70:71]
	s_delay_alu instid0(VALU_DEP_1) | instskip(SKIP_3) | instid1(VALU_DEP_2)
	v_min3_f32 v126, v70, v68, v126
	s_waitcnt lgkmcnt(12)
	v_add_f64 v[68:69], v[14:15], v[153:154]
	;; [unrolled: 27-line block ×5, first 2 shown]
	v_add_f64 v[70:71], v[12:13], v[52:53]
	v_cvt_f32_f64_e32 v68, v[68:69]
	s_delay_alu instid0(VALU_DEP_2) | instskip(NEXT) | instid1(VALU_DEP_1)
	v_cvt_f32_f64_e32 v70, v[70:71]
	v_min3_f32 v113, v70, v68, v113
	v_add_f64 v[68:69], v[10:11], v[54:55]
	v_add_f64 v[70:71], v[8:9], v[52:53]
	s_delay_alu instid0(VALU_DEP_2) | instskip(NEXT) | instid1(VALU_DEP_2)
	v_cvt_f32_f64_e32 v68, v[68:69]
	v_cvt_f32_f64_e32 v70, v[70:71]
	s_delay_alu instid0(VALU_DEP_1) | instskip(SKIP_4) | instid1(VALU_DEP_4)
	v_min3_f32 v112, v70, v68, v112
	v_add_f64 v[68:69], v[6:7], v[54:55]
	v_add_f64 v[70:71], v[4:5], v[52:53]
	v_add_f64 v[54:55], v[2:3], v[54:55]
	v_add_f64 v[52:53], v[0:1], v[52:53]
	v_cvt_f32_f64_e32 v68, v[68:69]
	s_delay_alu instid0(VALU_DEP_4) | instskip(NEXT) | instid1(VALU_DEP_3)
	v_cvt_f32_f64_e32 v70, v[70:71]
	v_cvt_f32_f64_e32 v52, v[52:53]
	v_cvt_f32_f64_e32 v53, v[54:55]
	s_waitcnt lgkmcnt(8)
	v_add_f64 v[54:55], v[12:13], v[48:49]
	s_delay_alu instid0(VALU_DEP_4) | instskip(NEXT) | instid1(VALU_DEP_3)
	v_min3_f32 v111, v70, v68, v111
	v_min3_f32 v110, v52, v53, v110
	v_add_f64 v[52:53], v[14:15], v[50:51]
	s_delay_alu instid0(VALU_DEP_4) | instskip(NEXT) | instid1(VALU_DEP_2)
	v_cvt_f32_f64_e32 v54, v[54:55]
	v_cvt_f32_f64_e32 v52, v[52:53]
	s_delay_alu instid0(VALU_DEP_1) | instskip(SKIP_2) | instid1(VALU_DEP_2)
	v_min3_f32 v109, v54, v52, v109
	v_add_f64 v[52:53], v[10:11], v[50:51]
	v_add_f64 v[54:55], v[8:9], v[48:49]
	v_cvt_f32_f64_e32 v52, v[52:53]
	s_delay_alu instid0(VALU_DEP_2) | instskip(NEXT) | instid1(VALU_DEP_1)
	v_cvt_f32_f64_e32 v54, v[54:55]
	v_min3_f32 v108, v54, v52, v108
	v_add_f64 v[52:53], v[6:7], v[50:51]
	v_add_f64 v[54:55], v[4:5], v[48:49]
	v_add_f64 v[50:51], v[2:3], v[50:51]
	v_add_f64 v[48:49], v[0:1], v[48:49]
	s_delay_alu instid0(VALU_DEP_4) | instskip(NEXT) | instid1(VALU_DEP_4)
	v_cvt_f32_f64_e32 v52, v[52:53]
	v_cvt_f32_f64_e32 v54, v[54:55]
	s_delay_alu instid0(VALU_DEP_3) | instskip(SKIP_3) | instid1(VALU_DEP_4)
	v_cvt_f32_f64_e32 v48, v[48:49]
	v_cvt_f32_f64_e32 v49, v[50:51]
	s_waitcnt lgkmcnt(7)
	v_add_f64 v[50:51], v[12:13], v[44:45]
	v_min3_f32 v107, v54, v52, v107
	s_delay_alu instid0(VALU_DEP_3) | instskip(SKIP_1) | instid1(VALU_DEP_4)
	v_min3_f32 v106, v48, v49, v106
	v_add_f64 v[48:49], v[14:15], v[46:47]
	v_cvt_f32_f64_e32 v50, v[50:51]
	s_delay_alu instid0(VALU_DEP_2) | instskip(NEXT) | instid1(VALU_DEP_1)
	v_cvt_f32_f64_e32 v48, v[48:49]
	v_min3_f32 v105, v50, v48, v105
	v_add_f64 v[48:49], v[10:11], v[46:47]
	v_add_f64 v[50:51], v[8:9], v[44:45]
	s_delay_alu instid0(VALU_DEP_2) | instskip(NEXT) | instid1(VALU_DEP_2)
	v_cvt_f32_f64_e32 v48, v[48:49]
	v_cvt_f32_f64_e32 v50, v[50:51]
	s_delay_alu instid0(VALU_DEP_1) | instskip(SKIP_4) | instid1(VALU_DEP_4)
	v_min3_f32 v104, v50, v48, v104
	v_add_f64 v[48:49], v[6:7], v[46:47]
	v_add_f64 v[50:51], v[4:5], v[44:45]
	v_add_f64 v[46:47], v[2:3], v[46:47]
	v_add_f64 v[44:45], v[0:1], v[44:45]
	v_cvt_f32_f64_e32 v48, v[48:49]
	s_delay_alu instid0(VALU_DEP_4) | instskip(NEXT) | instid1(VALU_DEP_3)
	v_cvt_f32_f64_e32 v50, v[50:51]
	v_cvt_f32_f64_e32 v44, v[44:45]
	v_cvt_f32_f64_e32 v45, v[46:47]
	s_waitcnt lgkmcnt(6)
	v_add_f64 v[46:47], v[12:13], v[40:41]
	s_delay_alu instid0(VALU_DEP_4) | instskip(NEXT) | instid1(VALU_DEP_3)
	v_min3_f32 v103, v50, v48, v103
	v_min3_f32 v102, v44, v45, v102
	v_add_f64 v[44:45], v[14:15], v[42:43]
	s_delay_alu instid0(VALU_DEP_4) | instskip(NEXT) | instid1(VALU_DEP_2)
	v_cvt_f32_f64_e32 v46, v[46:47]
	v_cvt_f32_f64_e32 v44, v[44:45]
	s_delay_alu instid0(VALU_DEP_1) | instskip(SKIP_2) | instid1(VALU_DEP_2)
	v_min3_f32 v101, v46, v44, v101
	v_add_f64 v[44:45], v[10:11], v[42:43]
	v_add_f64 v[46:47], v[8:9], v[40:41]
	v_cvt_f32_f64_e32 v44, v[44:45]
	s_delay_alu instid0(VALU_DEP_2) | instskip(NEXT) | instid1(VALU_DEP_1)
	v_cvt_f32_f64_e32 v46, v[46:47]
	v_min3_f32 v100, v46, v44, v100
	v_add_f64 v[44:45], v[6:7], v[42:43]
	v_add_f64 v[46:47], v[4:5], v[40:41]
	v_add_f64 v[42:43], v[2:3], v[42:43]
	v_add_f64 v[40:41], v[0:1], v[40:41]
	s_delay_alu instid0(VALU_DEP_4) | instskip(NEXT) | instid1(VALU_DEP_4)
	v_cvt_f32_f64_e32 v44, v[44:45]
	v_cvt_f32_f64_e32 v46, v[46:47]
	s_delay_alu instid0(VALU_DEP_3) | instskip(SKIP_3) | instid1(VALU_DEP_4)
	v_cvt_f32_f64_e32 v40, v[40:41]
	v_cvt_f32_f64_e32 v41, v[42:43]
	s_waitcnt lgkmcnt(5)
	v_add_f64 v[42:43], v[12:13], v[36:37]
	v_min3_f32 v99, v46, v44, v99
	s_delay_alu instid0(VALU_DEP_3) | instskip(SKIP_1) | instid1(VALU_DEP_4)
	v_min3_f32 v98, v40, v41, v98
	;; [unrolled: 53-line block ×3, first 2 shown]
	v_add_f64 v[32:33], v[14:15], v[30:31]
	v_cvt_f32_f64_e32 v34, v[34:35]
	s_delay_alu instid0(VALU_DEP_2) | instskip(NEXT) | instid1(VALU_DEP_1)
	v_cvt_f32_f64_e32 v32, v[32:33]
	v_min3_f32 v89, v34, v32, v89
	v_add_f64 v[32:33], v[10:11], v[30:31]
	v_add_f64 v[34:35], v[8:9], v[28:29]
	s_delay_alu instid0(VALU_DEP_2) | instskip(NEXT) | instid1(VALU_DEP_2)
	v_cvt_f32_f64_e32 v32, v[32:33]
	v_cvt_f32_f64_e32 v34, v[34:35]
	s_delay_alu instid0(VALU_DEP_1) | instskip(SKIP_4) | instid1(VALU_DEP_4)
	v_min3_f32 v88, v34, v32, v88
	v_add_f64 v[32:33], v[6:7], v[30:31]
	v_add_f64 v[34:35], v[4:5], v[28:29]
	;; [unrolled: 1-line block ×4, first 2 shown]
	v_cvt_f32_f64_e32 v32, v[32:33]
	s_delay_alu instid0(VALU_DEP_4) | instskip(NEXT) | instid1(VALU_DEP_3)
	v_cvt_f32_f64_e32 v34, v[34:35]
	v_cvt_f32_f64_e32 v28, v[28:29]
	;; [unrolled: 1-line block ×3, first 2 shown]
	s_waitcnt lgkmcnt(2)
	v_add_f64 v[30:31], v[12:13], v[24:25]
	s_delay_alu instid0(VALU_DEP_4) | instskip(NEXT) | instid1(VALU_DEP_3)
	v_min3_f32 v87, v34, v32, v87
	v_min3_f32 v86, v28, v29, v86
	v_add_f64 v[28:29], v[14:15], v[26:27]
	s_delay_alu instid0(VALU_DEP_4) | instskip(NEXT) | instid1(VALU_DEP_2)
	v_cvt_f32_f64_e32 v30, v[30:31]
	v_cvt_f32_f64_e32 v28, v[28:29]
	s_delay_alu instid0(VALU_DEP_1) | instskip(SKIP_2) | instid1(VALU_DEP_2)
	v_min3_f32 v85, v30, v28, v85
	v_add_f64 v[28:29], v[10:11], v[26:27]
	v_add_f64 v[30:31], v[8:9], v[24:25]
	v_cvt_f32_f64_e32 v28, v[28:29]
	s_delay_alu instid0(VALU_DEP_2) | instskip(NEXT) | instid1(VALU_DEP_1)
	v_cvt_f32_f64_e32 v30, v[30:31]
	v_min3_f32 v84, v30, v28, v84
	v_add_f64 v[28:29], v[6:7], v[26:27]
	v_add_f64 v[30:31], v[4:5], v[24:25]
	;; [unrolled: 1-line block ×4, first 2 shown]
	s_delay_alu instid0(VALU_DEP_4) | instskip(NEXT) | instid1(VALU_DEP_4)
	v_cvt_f32_f64_e32 v28, v[28:29]
	v_cvt_f32_f64_e32 v30, v[30:31]
	s_delay_alu instid0(VALU_DEP_3)
	v_cvt_f32_f64_e32 v24, v[24:25]
	v_cvt_f32_f64_e32 v25, v[26:27]
	s_waitcnt lgkmcnt(1)
	v_add_f64 v[26:27], v[12:13], v[20:21]
	s_waitcnt lgkmcnt(0)
	v_add_f64 v[12:13], v[12:13], v[16:17]
	v_min3_f32 v83, v30, v28, v83
	s_delay_alu instid0(VALU_DEP_4) | instskip(SKIP_4) | instid1(VALU_DEP_4)
	v_min3_f32 v82, v24, v25, v82
	v_add_f64 v[24:25], v[14:15], v[22:23]
	v_cvt_f32_f64_e32 v26, v[26:27]
	v_add_f64 v[14:15], v[14:15], v[18:19]
	v_cvt_f32_f64_e32 v12, v[12:13]
	v_cvt_f32_f64_e32 v24, v[24:25]
	s_delay_alu instid0(VALU_DEP_3) | instskip(NEXT) | instid1(VALU_DEP_2)
	v_cvt_f32_f64_e32 v13, v[14:15]
	v_min3_f32 v81, v26, v24, v81
	v_add_f64 v[24:25], v[10:11], v[22:23]
	v_add_f64 v[26:27], v[8:9], v[20:21]
	;; [unrolled: 1-line block ×4, first 2 shown]
	v_min3_f32 v77, v12, v13, v77
	v_cvt_f32_f64_e32 v24, v[24:25]
	v_cvt_f32_f64_e32 v26, v[26:27]
	s_delay_alu instid0(VALU_DEP_4) | instskip(SKIP_1) | instid1(VALU_DEP_3)
	v_cvt_f32_f64_e32 v8, v[8:9]
	v_cvt_f32_f64_e32 v9, v[10:11]
	v_min3_f32 v80, v26, v24, v80
	v_add_f64 v[24:25], v[6:7], v[22:23]
	v_add_f64 v[26:27], v[4:5], v[20:21]
	;; [unrolled: 1-line block ×8, first 2 shown]
	v_min3_f32 v76, v8, v9, v76
	v_cvt_f32_f64_e32 v24, v[24:25]
	v_cvt_f32_f64_e32 v26, v[26:27]
	;; [unrolled: 1-line block ×8, first 2 shown]
	v_min3_f32 v79, v26, v24, v79
	v_min3_f32 v78, v20, v21, v78
	;; [unrolled: 1-line block ×3, first 2 shown]
	s_delay_alu instid0(VALU_DEP_4)
	v_min3_f32 v74, v0, v1, v74
	s_cbranch_vccz .LBB166_25
; %bb.26:
	s_cmp_gt_i32 s18, 8
	s_mov_b32 s7, 8
	ds_store_2addr_stride64_b64 v141, v[56:57], v[58:59] offset0:8 offset1:12
	ds_store_2addr_stride64_b64 v141, v[60:61], v[62:63] offset0:24 offset1:28
	s_waitcnt lgkmcnt(0)
	s_barrier
	buffer_gl0_inv
	s_cbranch_scc0 .LBB166_49
; %bb.27:
	v_mad_i64_i32 v[0:1], null, v64, s28, 0
	v_mad_i64_i32 v[2:3], null, v65, s28, 0
	v_mad_i64_i32 v[4:5], null, v66, s29, 0
	v_mad_i64_i32 v[6:7], null, v67, s29, 0
	s_delay_alu instid0(VALU_DEP_4)
	v_lshlrev_b64 v[56:57], 3, v[0:1]
	v_add_nc_u32_e32 v143, 0x1000, v141
	v_lshlrev_b64 v[58:59], 3, v[2:3]
	v_dual_mov_b32 v65, 0 :: v_dual_add_nc_u32 v144, 0x3000, v141
	v_lshlrev_b64 v[60:61], 3, v[4:5]
	v_lshlrev_b64 v[62:63], 3, v[6:7]
	s_mov_b32 s20, -1
	s_mov_b32 s21, 0x7fefffff
	s_add_i32 s28, s18, -8
	s_mov_b32 s29, 0
.LBB166_28:                             ; =>This Loop Header: Depth=1
                                        ;     Child Loop BB166_37 Depth 2
                                        ;     Child Loop BB166_47 Depth 2
	v_or_b32_e32 v64, s7, v140
	v_dual_mov_b32 v67, s21 :: v_dual_mov_b32 v66, s20
	s_delay_alu instid0(VALU_DEP_2) | instskip(SKIP_1) | instid1(VALU_DEP_2)
	v_lshlrev_b64 v[0:1], 3, v[64:65]
	v_cmp_le_i32_e32 vcc_lo, s18, v64
	v_add_co_u32 v145, s6, s12, v0
	s_delay_alu instid0(VALU_DEP_1) | instskip(SKIP_1) | instid1(SALU_CYCLE_1)
	v_add_co_ci_u32_e64 v146, s6, s13, v1, s6
	s_or_b32 s6, s2, vcc_lo
	s_xor_b32 s6, s6, -1
	s_delay_alu instid0(SALU_CYCLE_1)
	s_and_saveexec_b32 s30, s6
	s_cbranch_execz .LBB166_30
; %bb.29:                               ;   in Loop: Header=BB166_28 Depth=1
	v_add_co_u32 v2, s6, v145, v56
	s_delay_alu instid0(VALU_DEP_1)
	v_add_co_ci_u32_e64 v3, s6, v146, v57, s6
	flat_load_b64 v[66:67], v[2:3]
.LBB166_30:                             ;   in Loop: Header=BB166_28 Depth=1
	s_or_b32 exec_lo, exec_lo, s30
	v_dual_mov_b32 v69, s21 :: v_dual_mov_b32 v68, s20
	s_or_b32 s6, s3, vcc_lo
	s_delay_alu instid0(SALU_CYCLE_1) | instskip(NEXT) | instid1(SALU_CYCLE_1)
	s_xor_b32 s6, s6, -1
	s_and_saveexec_b32 s30, s6
	s_cbranch_execz .LBB166_32
; %bb.31:                               ;   in Loop: Header=BB166_28 Depth=1
	v_add_co_u32 v2, s6, v145, v58
	s_delay_alu instid0(VALU_DEP_1)
	v_add_co_ci_u32_e64 v3, s6, v146, v59, s6
	flat_load_b64 v[68:69], v[2:3]
.LBB166_32:                             ;   in Loop: Header=BB166_28 Depth=1
	s_or_b32 exec_lo, exec_lo, s30
	v_add_co_u32 v147, s6, s24, v0
	s_delay_alu instid0(VALU_DEP_1) | instskip(SKIP_2) | instid1(SALU_CYCLE_1)
	v_add_co_ci_u32_e64 v148, s6, s25, v1, s6
	v_dual_mov_b32 v71, s21 :: v_dual_mov_b32 v70, s20
	s_or_b32 s6, s4, vcc_lo
	s_xor_b32 s6, s6, -1
	s_delay_alu instid0(SALU_CYCLE_1)
	s_and_saveexec_b32 s30, s6
	s_cbranch_execz .LBB166_34
; %bb.33:                               ;   in Loop: Header=BB166_28 Depth=1
	v_add_co_u32 v0, s6, v147, v60
	s_delay_alu instid0(VALU_DEP_1)
	v_add_co_ci_u32_e64 v1, s6, v148, v61, s6
	flat_load_b64 v[70:71], v[0:1]
.LBB166_34:                             ;   in Loop: Header=BB166_28 Depth=1
	s_or_b32 exec_lo, exec_lo, s30
	v_dual_mov_b32 v73, s21 :: v_dual_mov_b32 v72, s20
	s_or_b32 s6, s5, vcc_lo
	s_delay_alu instid0(SALU_CYCLE_1) | instskip(NEXT) | instid1(SALU_CYCLE_1)
	s_xor_b32 s30, s6, -1
	s_and_saveexec_b32 s6, s30
	s_cbranch_execz .LBB166_36
; %bb.35:                               ;   in Loop: Header=BB166_28 Depth=1
	v_add_co_u32 v0, vcc_lo, v147, v62
	v_add_co_ci_u32_e32 v1, vcc_lo, v148, v63, vcc_lo
	flat_load_b64 v[72:73], v[0:1]
.LBB166_36:                             ;   in Loop: Header=BB166_28 Depth=1
	s_or_b32 exec_lo, exec_lo, s6
	s_mov_b32 s30, 0
	s_mov_b32 s6, -1
.LBB166_37:                             ;   Parent Loop BB166_28 Depth=1
                                        ; =>  This Inner Loop Header: Depth=2
	s_lshl_b32 s30, s30, 3
	s_and_not1_b32 vcc_lo, exec_lo, s6
	v_lshl_add_u32 v0, v132, 5, s30
	v_lshl_add_u32 v16, v133, 5, s30
	s_mov_b32 s30, 2
	s_mov_b32 s6, 0
	ds_load_b128 v[12:15], v0 offset:4096
	ds_load_b128 v[8:11], v0 offset:5120
	;; [unrolled: 1-line block ×20, first 2 shown]
	s_waitcnt lgkmcnt(15)
	v_add_f64 v[173:174], v[14:15], v[151:152]
	v_add_f64 v[175:176], v[12:13], v[149:150]
	s_delay_alu instid0(VALU_DEP_2) | instskip(NEXT) | instid1(VALU_DEP_2)
	v_cvt_f32_f64_e32 v173, v[173:174]
	v_cvt_f32_f64_e32 v175, v[175:176]
	s_delay_alu instid0(VALU_DEP_1) | instskip(SKIP_2) | instid1(VALU_DEP_2)
	v_min3_f32 v139, v175, v173, v139
	v_add_f64 v[173:174], v[10:11], v[151:152]
	v_add_f64 v[175:176], v[8:9], v[149:150]
	v_cvt_f32_f64_e32 v173, v[173:174]
	s_delay_alu instid0(VALU_DEP_2) | instskip(NEXT) | instid1(VALU_DEP_1)
	v_cvt_f32_f64_e32 v175, v[175:176]
	v_min3_f32 v138, v175, v173, v138
	v_add_f64 v[173:174], v[6:7], v[151:152]
	v_add_f64 v[175:176], v[4:5], v[149:150]
	;; [unrolled: 1-line block ×4, first 2 shown]
	s_delay_alu instid0(VALU_DEP_4) | instskip(NEXT) | instid1(VALU_DEP_4)
	v_cvt_f32_f64_e32 v173, v[173:174]
	v_cvt_f32_f64_e32 v175, v[175:176]
	s_delay_alu instid0(VALU_DEP_3) | instskip(SKIP_3) | instid1(VALU_DEP_4)
	v_cvt_f32_f64_e32 v149, v[149:150]
	v_cvt_f32_f64_e32 v150, v[151:152]
	s_waitcnt lgkmcnt(14)
	v_add_f64 v[151:152], v[12:13], v[153:154]
	v_min3_f32 v137, v175, v173, v137
	s_delay_alu instid0(VALU_DEP_3) | instskip(SKIP_1) | instid1(VALU_DEP_4)
	v_min3_f32 v136, v149, v150, v136
	v_add_f64 v[149:150], v[14:15], v[155:156]
	v_cvt_f32_f64_e32 v151, v[151:152]
	s_delay_alu instid0(VALU_DEP_2) | instskip(NEXT) | instid1(VALU_DEP_1)
	v_cvt_f32_f64_e32 v149, v[149:150]
	v_min3_f32 v135, v151, v149, v135
	v_add_f64 v[149:150], v[10:11], v[155:156]
	v_add_f64 v[151:152], v[8:9], v[153:154]
	s_delay_alu instid0(VALU_DEP_2) | instskip(NEXT) | instid1(VALU_DEP_2)
	v_cvt_f32_f64_e32 v149, v[149:150]
	v_cvt_f32_f64_e32 v151, v[151:152]
	s_delay_alu instid0(VALU_DEP_1) | instskip(SKIP_2) | instid1(VALU_DEP_2)
	v_min3_f32 v134, v151, v149, v134
	v_add_f64 v[149:150], v[6:7], v[155:156]
	v_add_f64 v[151:152], v[4:5], v[153:154]
	v_cvt_f32_f64_e32 v149, v[149:150]
	s_delay_alu instid0(VALU_DEP_2) | instskip(NEXT) | instid1(VALU_DEP_1)
	v_cvt_f32_f64_e32 v151, v[151:152]
	v_min3_f32 v131, v151, v149, v131
	v_add_f64 v[149:150], v[2:3], v[155:156]
	v_add_f64 v[151:152], v[0:1], v[153:154]
	s_delay_alu instid0(VALU_DEP_2) | instskip(NEXT) | instid1(VALU_DEP_2)
	v_cvt_f32_f64_e32 v149, v[149:150]
	v_cvt_f32_f64_e32 v151, v[151:152]
	s_delay_alu instid0(VALU_DEP_1) | instskip(SKIP_3) | instid1(VALU_DEP_2)
	v_min3_f32 v130, v151, v149, v130
	s_waitcnt lgkmcnt(13)
	v_add_f64 v[149:150], v[14:15], v[159:160]
	v_add_f64 v[151:152], v[12:13], v[157:158]
	v_cvt_f32_f64_e32 v149, v[149:150]
	s_delay_alu instid0(VALU_DEP_2) | instskip(NEXT) | instid1(VALU_DEP_1)
	v_cvt_f32_f64_e32 v151, v[151:152]
	v_min3_f32 v129, v151, v149, v129
	v_add_f64 v[149:150], v[10:11], v[159:160]
	v_add_f64 v[151:152], v[8:9], v[157:158]
	s_delay_alu instid0(VALU_DEP_2) | instskip(NEXT) | instid1(VALU_DEP_2)
	v_cvt_f32_f64_e32 v149, v[149:150]
	v_cvt_f32_f64_e32 v151, v[151:152]
	s_delay_alu instid0(VALU_DEP_1) | instskip(SKIP_2) | instid1(VALU_DEP_2)
	v_min3_f32 v128, v151, v149, v128
	v_add_f64 v[149:150], v[6:7], v[159:160]
	v_add_f64 v[151:152], v[4:5], v[157:158]
	v_cvt_f32_f64_e32 v149, v[149:150]
	s_delay_alu instid0(VALU_DEP_2) | instskip(NEXT) | instid1(VALU_DEP_1)
	v_cvt_f32_f64_e32 v151, v[151:152]
	v_min3_f32 v127, v151, v149, v127
	v_add_f64 v[149:150], v[2:3], v[159:160]
	v_add_f64 v[151:152], v[0:1], v[157:158]
	s_delay_alu instid0(VALU_DEP_2) | instskip(NEXT) | instid1(VALU_DEP_2)
	v_cvt_f32_f64_e32 v149, v[149:150]
	v_cvt_f32_f64_e32 v151, v[151:152]
	s_delay_alu instid0(VALU_DEP_1) | instskip(SKIP_3) | instid1(VALU_DEP_2)
	v_min3_f32 v126, v151, v149, v126
	s_waitcnt lgkmcnt(12)
	v_add_f64 v[149:150], v[14:15], v[163:164]
	;; [unrolled: 27-line block ×5, first 2 shown]
	v_add_f64 v[151:152], v[12:13], v[52:53]
	v_cvt_f32_f64_e32 v149, v[149:150]
	s_delay_alu instid0(VALU_DEP_2) | instskip(NEXT) | instid1(VALU_DEP_1)
	v_cvt_f32_f64_e32 v151, v[151:152]
	v_min3_f32 v113, v151, v149, v113
	v_add_f64 v[149:150], v[10:11], v[54:55]
	v_add_f64 v[151:152], v[8:9], v[52:53]
	s_delay_alu instid0(VALU_DEP_2) | instskip(NEXT) | instid1(VALU_DEP_2)
	v_cvt_f32_f64_e32 v149, v[149:150]
	v_cvt_f32_f64_e32 v151, v[151:152]
	s_delay_alu instid0(VALU_DEP_1) | instskip(SKIP_4) | instid1(VALU_DEP_4)
	v_min3_f32 v112, v151, v149, v112
	v_add_f64 v[149:150], v[6:7], v[54:55]
	v_add_f64 v[151:152], v[4:5], v[52:53]
	v_add_f64 v[54:55], v[2:3], v[54:55]
	v_add_f64 v[52:53], v[0:1], v[52:53]
	v_cvt_f32_f64_e32 v149, v[149:150]
	s_delay_alu instid0(VALU_DEP_4) | instskip(NEXT) | instid1(VALU_DEP_3)
	v_cvt_f32_f64_e32 v151, v[151:152]
	v_cvt_f32_f64_e32 v52, v[52:53]
	v_cvt_f32_f64_e32 v53, v[54:55]
	s_waitcnt lgkmcnt(8)
	v_add_f64 v[54:55], v[12:13], v[48:49]
	s_delay_alu instid0(VALU_DEP_4) | instskip(NEXT) | instid1(VALU_DEP_3)
	v_min3_f32 v111, v151, v149, v111
	v_min3_f32 v110, v52, v53, v110
	v_add_f64 v[52:53], v[14:15], v[50:51]
	s_delay_alu instid0(VALU_DEP_4) | instskip(NEXT) | instid1(VALU_DEP_2)
	v_cvt_f32_f64_e32 v54, v[54:55]
	v_cvt_f32_f64_e32 v52, v[52:53]
	s_delay_alu instid0(VALU_DEP_1) | instskip(SKIP_2) | instid1(VALU_DEP_2)
	v_min3_f32 v109, v54, v52, v109
	v_add_f64 v[52:53], v[10:11], v[50:51]
	v_add_f64 v[54:55], v[8:9], v[48:49]
	v_cvt_f32_f64_e32 v52, v[52:53]
	s_delay_alu instid0(VALU_DEP_2) | instskip(NEXT) | instid1(VALU_DEP_1)
	v_cvt_f32_f64_e32 v54, v[54:55]
	v_min3_f32 v108, v54, v52, v108
	v_add_f64 v[52:53], v[6:7], v[50:51]
	v_add_f64 v[54:55], v[4:5], v[48:49]
	v_add_f64 v[50:51], v[2:3], v[50:51]
	v_add_f64 v[48:49], v[0:1], v[48:49]
	s_delay_alu instid0(VALU_DEP_4) | instskip(NEXT) | instid1(VALU_DEP_4)
	v_cvt_f32_f64_e32 v52, v[52:53]
	v_cvt_f32_f64_e32 v54, v[54:55]
	s_delay_alu instid0(VALU_DEP_3) | instskip(SKIP_3) | instid1(VALU_DEP_4)
	v_cvt_f32_f64_e32 v48, v[48:49]
	v_cvt_f32_f64_e32 v49, v[50:51]
	s_waitcnt lgkmcnt(7)
	v_add_f64 v[50:51], v[12:13], v[44:45]
	v_min3_f32 v107, v54, v52, v107
	s_delay_alu instid0(VALU_DEP_3) | instskip(SKIP_1) | instid1(VALU_DEP_4)
	v_min3_f32 v106, v48, v49, v106
	v_add_f64 v[48:49], v[14:15], v[46:47]
	v_cvt_f32_f64_e32 v50, v[50:51]
	s_delay_alu instid0(VALU_DEP_2) | instskip(NEXT) | instid1(VALU_DEP_1)
	v_cvt_f32_f64_e32 v48, v[48:49]
	v_min3_f32 v105, v50, v48, v105
	v_add_f64 v[48:49], v[10:11], v[46:47]
	v_add_f64 v[50:51], v[8:9], v[44:45]
	s_delay_alu instid0(VALU_DEP_2) | instskip(NEXT) | instid1(VALU_DEP_2)
	v_cvt_f32_f64_e32 v48, v[48:49]
	v_cvt_f32_f64_e32 v50, v[50:51]
	s_delay_alu instid0(VALU_DEP_1) | instskip(SKIP_4) | instid1(VALU_DEP_4)
	v_min3_f32 v104, v50, v48, v104
	v_add_f64 v[48:49], v[6:7], v[46:47]
	v_add_f64 v[50:51], v[4:5], v[44:45]
	v_add_f64 v[46:47], v[2:3], v[46:47]
	v_add_f64 v[44:45], v[0:1], v[44:45]
	v_cvt_f32_f64_e32 v48, v[48:49]
	s_delay_alu instid0(VALU_DEP_4) | instskip(NEXT) | instid1(VALU_DEP_3)
	v_cvt_f32_f64_e32 v50, v[50:51]
	v_cvt_f32_f64_e32 v44, v[44:45]
	v_cvt_f32_f64_e32 v45, v[46:47]
	s_waitcnt lgkmcnt(6)
	v_add_f64 v[46:47], v[12:13], v[40:41]
	s_delay_alu instid0(VALU_DEP_4) | instskip(NEXT) | instid1(VALU_DEP_3)
	v_min3_f32 v103, v50, v48, v103
	v_min3_f32 v102, v44, v45, v102
	v_add_f64 v[44:45], v[14:15], v[42:43]
	s_delay_alu instid0(VALU_DEP_4) | instskip(NEXT) | instid1(VALU_DEP_2)
	v_cvt_f32_f64_e32 v46, v[46:47]
	v_cvt_f32_f64_e32 v44, v[44:45]
	s_delay_alu instid0(VALU_DEP_1) | instskip(SKIP_2) | instid1(VALU_DEP_2)
	v_min3_f32 v101, v46, v44, v101
	v_add_f64 v[44:45], v[10:11], v[42:43]
	v_add_f64 v[46:47], v[8:9], v[40:41]
	v_cvt_f32_f64_e32 v44, v[44:45]
	s_delay_alu instid0(VALU_DEP_2) | instskip(NEXT) | instid1(VALU_DEP_1)
	v_cvt_f32_f64_e32 v46, v[46:47]
	v_min3_f32 v100, v46, v44, v100
	v_add_f64 v[44:45], v[6:7], v[42:43]
	v_add_f64 v[46:47], v[4:5], v[40:41]
	v_add_f64 v[42:43], v[2:3], v[42:43]
	v_add_f64 v[40:41], v[0:1], v[40:41]
	s_delay_alu instid0(VALU_DEP_4) | instskip(NEXT) | instid1(VALU_DEP_4)
	v_cvt_f32_f64_e32 v44, v[44:45]
	v_cvt_f32_f64_e32 v46, v[46:47]
	s_delay_alu instid0(VALU_DEP_3) | instskip(SKIP_3) | instid1(VALU_DEP_4)
	v_cvt_f32_f64_e32 v40, v[40:41]
	v_cvt_f32_f64_e32 v41, v[42:43]
	s_waitcnt lgkmcnt(5)
	v_add_f64 v[42:43], v[12:13], v[36:37]
	v_min3_f32 v99, v46, v44, v99
	s_delay_alu instid0(VALU_DEP_3) | instskip(SKIP_1) | instid1(VALU_DEP_4)
	v_min3_f32 v98, v40, v41, v98
	;; [unrolled: 53-line block ×3, first 2 shown]
	v_add_f64 v[32:33], v[14:15], v[30:31]
	v_cvt_f32_f64_e32 v34, v[34:35]
	s_delay_alu instid0(VALU_DEP_2) | instskip(NEXT) | instid1(VALU_DEP_1)
	v_cvt_f32_f64_e32 v32, v[32:33]
	v_min3_f32 v89, v34, v32, v89
	v_add_f64 v[32:33], v[10:11], v[30:31]
	v_add_f64 v[34:35], v[8:9], v[28:29]
	s_delay_alu instid0(VALU_DEP_2) | instskip(NEXT) | instid1(VALU_DEP_2)
	v_cvt_f32_f64_e32 v32, v[32:33]
	v_cvt_f32_f64_e32 v34, v[34:35]
	s_delay_alu instid0(VALU_DEP_1) | instskip(SKIP_4) | instid1(VALU_DEP_4)
	v_min3_f32 v88, v34, v32, v88
	v_add_f64 v[32:33], v[6:7], v[30:31]
	v_add_f64 v[34:35], v[4:5], v[28:29]
	;; [unrolled: 1-line block ×4, first 2 shown]
	v_cvt_f32_f64_e32 v32, v[32:33]
	s_delay_alu instid0(VALU_DEP_4) | instskip(NEXT) | instid1(VALU_DEP_3)
	v_cvt_f32_f64_e32 v34, v[34:35]
	v_cvt_f32_f64_e32 v28, v[28:29]
	;; [unrolled: 1-line block ×3, first 2 shown]
	s_waitcnt lgkmcnt(2)
	v_add_f64 v[30:31], v[12:13], v[24:25]
	s_delay_alu instid0(VALU_DEP_4) | instskip(NEXT) | instid1(VALU_DEP_3)
	v_min3_f32 v87, v34, v32, v87
	v_min3_f32 v86, v28, v29, v86
	v_add_f64 v[28:29], v[14:15], v[26:27]
	s_delay_alu instid0(VALU_DEP_4) | instskip(NEXT) | instid1(VALU_DEP_2)
	v_cvt_f32_f64_e32 v30, v[30:31]
	v_cvt_f32_f64_e32 v28, v[28:29]
	s_delay_alu instid0(VALU_DEP_1) | instskip(SKIP_2) | instid1(VALU_DEP_2)
	v_min3_f32 v85, v30, v28, v85
	v_add_f64 v[28:29], v[10:11], v[26:27]
	v_add_f64 v[30:31], v[8:9], v[24:25]
	v_cvt_f32_f64_e32 v28, v[28:29]
	s_delay_alu instid0(VALU_DEP_2) | instskip(NEXT) | instid1(VALU_DEP_1)
	v_cvt_f32_f64_e32 v30, v[30:31]
	v_min3_f32 v84, v30, v28, v84
	v_add_f64 v[28:29], v[6:7], v[26:27]
	v_add_f64 v[30:31], v[4:5], v[24:25]
	;; [unrolled: 1-line block ×4, first 2 shown]
	s_delay_alu instid0(VALU_DEP_4) | instskip(NEXT) | instid1(VALU_DEP_4)
	v_cvt_f32_f64_e32 v28, v[28:29]
	v_cvt_f32_f64_e32 v30, v[30:31]
	s_delay_alu instid0(VALU_DEP_3)
	v_cvt_f32_f64_e32 v24, v[24:25]
	v_cvt_f32_f64_e32 v25, v[26:27]
	s_waitcnt lgkmcnt(1)
	v_add_f64 v[26:27], v[12:13], v[20:21]
	s_waitcnt lgkmcnt(0)
	v_add_f64 v[12:13], v[12:13], v[16:17]
	v_min3_f32 v83, v30, v28, v83
	s_delay_alu instid0(VALU_DEP_4) | instskip(SKIP_4) | instid1(VALU_DEP_4)
	v_min3_f32 v82, v24, v25, v82
	v_add_f64 v[24:25], v[14:15], v[22:23]
	v_cvt_f32_f64_e32 v26, v[26:27]
	v_add_f64 v[14:15], v[14:15], v[18:19]
	v_cvt_f32_f64_e32 v12, v[12:13]
	v_cvt_f32_f64_e32 v24, v[24:25]
	s_delay_alu instid0(VALU_DEP_3) | instskip(NEXT) | instid1(VALU_DEP_2)
	v_cvt_f32_f64_e32 v13, v[14:15]
	v_min3_f32 v81, v26, v24, v81
	v_add_f64 v[24:25], v[10:11], v[22:23]
	v_add_f64 v[26:27], v[8:9], v[20:21]
	;; [unrolled: 1-line block ×4, first 2 shown]
	v_min3_f32 v77, v12, v13, v77
	v_cvt_f32_f64_e32 v24, v[24:25]
	v_cvt_f32_f64_e32 v26, v[26:27]
	s_delay_alu instid0(VALU_DEP_4) | instskip(SKIP_1) | instid1(VALU_DEP_3)
	v_cvt_f32_f64_e32 v8, v[8:9]
	v_cvt_f32_f64_e32 v9, v[10:11]
	v_min3_f32 v80, v26, v24, v80
	v_add_f64 v[24:25], v[6:7], v[22:23]
	v_add_f64 v[26:27], v[4:5], v[20:21]
	;; [unrolled: 1-line block ×8, first 2 shown]
	v_min3_f32 v76, v8, v9, v76
	v_cvt_f32_f64_e32 v24, v[24:25]
	v_cvt_f32_f64_e32 v26, v[26:27]
	;; [unrolled: 1-line block ×8, first 2 shown]
	v_min3_f32 v79, v26, v24, v79
	v_min3_f32 v78, v20, v21, v78
	;; [unrolled: 1-line block ×3, first 2 shown]
	s_delay_alu instid0(VALU_DEP_4)
	v_min3_f32 v74, v0, v1, v74
	s_cbranch_vccz .LBB166_37
; %bb.38:                               ;   in Loop: Header=BB166_28 Depth=1
	v_or_b32_e32 v0, 4, v64
	s_waitcnt vmcnt(0)
	ds_store_2addr_stride64_b64 v141, v[66:67], v[68:69] offset1:4
	ds_store_2addr_stride64_b64 v142, v[70:71], v[72:73] offset1:4
	v_dual_mov_b32 v67, s21 :: v_dual_mov_b32 v66, s20
	s_waitcnt lgkmcnt(0)
	v_cmp_le_i32_e32 vcc_lo, s18, v0
	s_barrier
	buffer_gl0_inv
	s_or_b32 s6, s2, vcc_lo
	s_delay_alu instid0(SALU_CYCLE_1) | instskip(NEXT) | instid1(SALU_CYCLE_1)
	s_xor_b32 s6, s6, -1
	s_and_saveexec_b32 s30, s6
	s_cbranch_execz .LBB166_40
; %bb.39:                               ;   in Loop: Header=BB166_28 Depth=1
	v_add_co_u32 v0, s6, v145, v56
	s_delay_alu instid0(VALU_DEP_1)
	v_add_co_ci_u32_e64 v1, s6, v146, v57, s6
	flat_load_b64 v[66:67], v[0:1] offset:32
.LBB166_40:                             ;   in Loop: Header=BB166_28 Depth=1
	s_or_b32 exec_lo, exec_lo, s30
	v_dual_mov_b32 v69, s21 :: v_dual_mov_b32 v68, s20
	s_or_b32 s6, s3, vcc_lo
	s_delay_alu instid0(SALU_CYCLE_1) | instskip(NEXT) | instid1(SALU_CYCLE_1)
	s_xor_b32 s6, s6, -1
	s_and_saveexec_b32 s30, s6
	s_cbranch_execz .LBB166_42
; %bb.41:                               ;   in Loop: Header=BB166_28 Depth=1
	v_add_co_u32 v0, s6, v145, v58
	s_delay_alu instid0(VALU_DEP_1)
	v_add_co_ci_u32_e64 v1, s6, v146, v59, s6
	flat_load_b64 v[68:69], v[0:1] offset:32
.LBB166_42:                             ;   in Loop: Header=BB166_28 Depth=1
	s_or_b32 exec_lo, exec_lo, s30
	v_dual_mov_b32 v71, s21 :: v_dual_mov_b32 v70, s20
	;; [unrolled: 13-line block ×3, first 2 shown]
	s_or_b32 s6, s5, vcc_lo
	s_delay_alu instid0(SALU_CYCLE_1) | instskip(NEXT) | instid1(SALU_CYCLE_1)
	s_xor_b32 s30, s6, -1
	s_and_saveexec_b32 s6, s30
	s_cbranch_execz .LBB166_46
; %bb.45:                               ;   in Loop: Header=BB166_28 Depth=1
	v_add_co_u32 v0, vcc_lo, v147, v62
	v_add_co_ci_u32_e32 v1, vcc_lo, v148, v63, vcc_lo
	flat_load_b64 v[72:73], v[0:1] offset:32
.LBB166_46:                             ;   in Loop: Header=BB166_28 Depth=1
	s_or_b32 exec_lo, exec_lo, s6
	s_mov_b32 s30, 0
	s_mov_b32 s6, -1
.LBB166_47:                             ;   Parent Loop BB166_28 Depth=1
                                        ; =>  This Inner Loop Header: Depth=2
	s_lshl_b32 s30, s30, 3
	s_and_not1_b32 vcc_lo, exec_lo, s6
	v_lshl_add_u32 v0, v132, 5, s30
	v_lshl_add_u32 v16, v133, 5, s30
	s_mov_b32 s30, 2
	s_mov_b32 s6, 0
	ds_load_b128 v[12:15], v0
	ds_load_b128 v[8:11], v0 offset:1024
	ds_load_b128 v[4:7], v0 offset:2048
	;; [unrolled: 1-line block ×19, first 2 shown]
	s_waitcnt lgkmcnt(15)
	v_add_f64 v[169:170], v[14:15], v[147:148]
	v_add_f64 v[171:172], v[12:13], v[145:146]
	s_delay_alu instid0(VALU_DEP_2) | instskip(NEXT) | instid1(VALU_DEP_2)
	v_cvt_f32_f64_e32 v169, v[169:170]
	v_cvt_f32_f64_e32 v64, v[171:172]
	v_add_f64 v[171:172], v[8:9], v[145:146]
	s_delay_alu instid0(VALU_DEP_2) | instskip(SKIP_1) | instid1(VALU_DEP_3)
	v_min3_f32 v139, v64, v169, v139
	v_add_f64 v[169:170], v[10:11], v[147:148]
	v_cvt_f32_f64_e32 v64, v[171:172]
	v_add_f64 v[171:172], v[4:5], v[145:146]
	v_add_f64 v[145:146], v[0:1], v[145:146]
	s_delay_alu instid0(VALU_DEP_4) | instskip(NEXT) | instid1(VALU_DEP_1)
	v_cvt_f32_f64_e32 v169, v[169:170]
	v_min3_f32 v138, v64, v169, v138
	v_add_f64 v[169:170], v[6:7], v[147:148]
	v_cvt_f32_f64_e32 v64, v[171:172]
	v_add_f64 v[147:148], v[2:3], v[147:148]
	s_delay_alu instid0(VALU_DEP_3) | instskip(NEXT) | instid1(VALU_DEP_1)
	v_cvt_f32_f64_e32 v169, v[169:170]
	v_min3_f32 v137, v64, v169, v137
	v_cvt_f32_f64_e32 v64, v[145:146]
	s_delay_alu instid0(VALU_DEP_4) | instskip(SKIP_2) | instid1(VALU_DEP_2)
	v_cvt_f32_f64_e32 v145, v[147:148]
	s_waitcnt lgkmcnt(14)
	v_add_f64 v[147:148], v[12:13], v[149:150]
	v_min3_f32 v136, v64, v145, v136
	v_add_f64 v[145:146], v[14:15], v[151:152]
	s_delay_alu instid0(VALU_DEP_3) | instskip(SKIP_1) | instid1(VALU_DEP_3)
	v_cvt_f32_f64_e32 v64, v[147:148]
	v_add_f64 v[147:148], v[8:9], v[149:150]
	v_cvt_f32_f64_e32 v145, v[145:146]
	s_delay_alu instid0(VALU_DEP_1) | instskip(SKIP_1) | instid1(VALU_DEP_4)
	v_min3_f32 v135, v64, v145, v135
	v_add_f64 v[145:146], v[10:11], v[151:152]
	v_cvt_f32_f64_e32 v64, v[147:148]
	v_add_f64 v[147:148], v[4:5], v[149:150]
	s_delay_alu instid0(VALU_DEP_3) | instskip(NEXT) | instid1(VALU_DEP_1)
	v_cvt_f32_f64_e32 v145, v[145:146]
	v_min3_f32 v134, v64, v145, v134
	v_add_f64 v[145:146], v[6:7], v[151:152]
	s_delay_alu instid0(VALU_DEP_4) | instskip(SKIP_1) | instid1(VALU_DEP_3)
	v_cvt_f32_f64_e32 v64, v[147:148]
	v_add_f64 v[147:148], v[0:1], v[149:150]
	v_cvt_f32_f64_e32 v145, v[145:146]
	s_delay_alu instid0(VALU_DEP_1) | instskip(SKIP_1) | instid1(VALU_DEP_4)
	v_min3_f32 v131, v64, v145, v131
	v_add_f64 v[145:146], v[2:3], v[151:152]
	v_cvt_f32_f64_e32 v64, v[147:148]
	s_waitcnt lgkmcnt(13)
	v_add_f64 v[147:148], v[12:13], v[153:154]
	s_delay_alu instid0(VALU_DEP_3) | instskip(NEXT) | instid1(VALU_DEP_1)
	v_cvt_f32_f64_e32 v145, v[145:146]
	v_min3_f32 v130, v64, v145, v130
	v_add_f64 v[145:146], v[14:15], v[155:156]
	s_delay_alu instid0(VALU_DEP_4) | instskip(SKIP_1) | instid1(VALU_DEP_3)
	v_cvt_f32_f64_e32 v64, v[147:148]
	v_add_f64 v[147:148], v[8:9], v[153:154]
	v_cvt_f32_f64_e32 v145, v[145:146]
	s_delay_alu instid0(VALU_DEP_1) | instskip(SKIP_1) | instid1(VALU_DEP_4)
	v_min3_f32 v129, v64, v145, v129
	v_add_f64 v[145:146], v[10:11], v[155:156]
	v_cvt_f32_f64_e32 v64, v[147:148]
	v_add_f64 v[147:148], v[4:5], v[153:154]
	s_delay_alu instid0(VALU_DEP_3) | instskip(NEXT) | instid1(VALU_DEP_1)
	v_cvt_f32_f64_e32 v145, v[145:146]
	v_min3_f32 v128, v64, v145, v128
	v_add_f64 v[145:146], v[6:7], v[155:156]
	s_delay_alu instid0(VALU_DEP_4) | instskip(SKIP_1) | instid1(VALU_DEP_3)
	v_cvt_f32_f64_e32 v64, v[147:148]
	v_add_f64 v[147:148], v[0:1], v[153:154]
	v_cvt_f32_f64_e32 v145, v[145:146]
	s_delay_alu instid0(VALU_DEP_1) | instskip(SKIP_1) | instid1(VALU_DEP_4)
	v_min3_f32 v127, v64, v145, v127
	v_add_f64 v[145:146], v[2:3], v[155:156]
	v_cvt_f32_f64_e32 v64, v[147:148]
	s_waitcnt lgkmcnt(12)
	v_add_f64 v[147:148], v[12:13], v[157:158]
	s_delay_alu instid0(VALU_DEP_3) | instskip(NEXT) | instid1(VALU_DEP_1)
	v_cvt_f32_f64_e32 v145, v[145:146]
	v_min3_f32 v126, v64, v145, v126
	v_add_f64 v[145:146], v[14:15], v[159:160]
	s_delay_alu instid0(VALU_DEP_4) | instskip(SKIP_1) | instid1(VALU_DEP_3)
	;; [unrolled: 27-line block ×5, first 2 shown]
	v_cvt_f32_f64_e32 v64, v[147:148]
	v_add_f64 v[147:148], v[8:9], v[52:53]
	v_cvt_f32_f64_e32 v145, v[145:146]
	s_delay_alu instid0(VALU_DEP_1) | instskip(SKIP_1) | instid1(VALU_DEP_4)
	v_min3_f32 v113, v64, v145, v113
	v_add_f64 v[145:146], v[10:11], v[54:55]
	v_cvt_f32_f64_e32 v64, v[147:148]
	v_add_f64 v[147:148], v[4:5], v[52:53]
	v_add_f64 v[52:53], v[0:1], v[52:53]
	s_delay_alu instid0(VALU_DEP_4) | instskip(NEXT) | instid1(VALU_DEP_2)
	v_cvt_f32_f64_e32 v145, v[145:146]
	v_cvt_f32_f64_e32 v52, v[52:53]
	s_delay_alu instid0(VALU_DEP_2) | instskip(SKIP_3) | instid1(VALU_DEP_3)
	v_min3_f32 v112, v64, v145, v112
	v_add_f64 v[145:146], v[6:7], v[54:55]
	v_add_f64 v[54:55], v[2:3], v[54:55]
	v_cvt_f32_f64_e32 v64, v[147:148]
	v_cvt_f32_f64_e32 v145, v[145:146]
	s_delay_alu instid0(VALU_DEP_3) | instskip(SKIP_2) | instid1(VALU_DEP_3)
	v_cvt_f32_f64_e32 v53, v[54:55]
	s_waitcnt lgkmcnt(8)
	v_add_f64 v[54:55], v[12:13], v[48:49]
	v_min3_f32 v111, v64, v145, v111
	s_delay_alu instid0(VALU_DEP_3) | instskip(SKIP_1) | instid1(VALU_DEP_4)
	v_min3_f32 v110, v52, v53, v110
	v_add_f64 v[52:53], v[14:15], v[50:51]
	v_cvt_f32_f64_e32 v54, v[54:55]
	s_delay_alu instid0(VALU_DEP_2) | instskip(NEXT) | instid1(VALU_DEP_1)
	v_cvt_f32_f64_e32 v52, v[52:53]
	v_min3_f32 v109, v54, v52, v109
	v_add_f64 v[52:53], v[10:11], v[50:51]
	v_add_f64 v[54:55], v[8:9], v[48:49]
	s_delay_alu instid0(VALU_DEP_2) | instskip(NEXT) | instid1(VALU_DEP_2)
	v_cvt_f32_f64_e32 v52, v[52:53]
	v_cvt_f32_f64_e32 v54, v[54:55]
	s_delay_alu instid0(VALU_DEP_1) | instskip(SKIP_4) | instid1(VALU_DEP_4)
	v_min3_f32 v108, v54, v52, v108
	v_add_f64 v[52:53], v[6:7], v[50:51]
	v_add_f64 v[54:55], v[4:5], v[48:49]
	v_add_f64 v[50:51], v[2:3], v[50:51]
	v_add_f64 v[48:49], v[0:1], v[48:49]
	v_cvt_f32_f64_e32 v52, v[52:53]
	s_delay_alu instid0(VALU_DEP_4) | instskip(NEXT) | instid1(VALU_DEP_3)
	v_cvt_f32_f64_e32 v54, v[54:55]
	v_cvt_f32_f64_e32 v48, v[48:49]
	v_cvt_f32_f64_e32 v49, v[50:51]
	s_waitcnt lgkmcnt(7)
	v_add_f64 v[50:51], v[12:13], v[44:45]
	s_delay_alu instid0(VALU_DEP_4) | instskip(NEXT) | instid1(VALU_DEP_3)
	v_min3_f32 v107, v54, v52, v107
	v_min3_f32 v106, v48, v49, v106
	v_add_f64 v[48:49], v[14:15], v[46:47]
	s_delay_alu instid0(VALU_DEP_4) | instskip(NEXT) | instid1(VALU_DEP_2)
	v_cvt_f32_f64_e32 v50, v[50:51]
	v_cvt_f32_f64_e32 v48, v[48:49]
	s_delay_alu instid0(VALU_DEP_1) | instskip(SKIP_2) | instid1(VALU_DEP_2)
	v_min3_f32 v105, v50, v48, v105
	v_add_f64 v[48:49], v[10:11], v[46:47]
	v_add_f64 v[50:51], v[8:9], v[44:45]
	v_cvt_f32_f64_e32 v48, v[48:49]
	s_delay_alu instid0(VALU_DEP_2) | instskip(NEXT) | instid1(VALU_DEP_1)
	v_cvt_f32_f64_e32 v50, v[50:51]
	v_min3_f32 v104, v50, v48, v104
	v_add_f64 v[48:49], v[6:7], v[46:47]
	v_add_f64 v[50:51], v[4:5], v[44:45]
	v_add_f64 v[46:47], v[2:3], v[46:47]
	v_add_f64 v[44:45], v[0:1], v[44:45]
	s_delay_alu instid0(VALU_DEP_4) | instskip(NEXT) | instid1(VALU_DEP_4)
	v_cvt_f32_f64_e32 v48, v[48:49]
	v_cvt_f32_f64_e32 v50, v[50:51]
	s_delay_alu instid0(VALU_DEP_3) | instskip(SKIP_3) | instid1(VALU_DEP_4)
	v_cvt_f32_f64_e32 v44, v[44:45]
	v_cvt_f32_f64_e32 v45, v[46:47]
	s_waitcnt lgkmcnt(6)
	v_add_f64 v[46:47], v[12:13], v[40:41]
	v_min3_f32 v103, v50, v48, v103
	s_delay_alu instid0(VALU_DEP_3) | instskip(SKIP_1) | instid1(VALU_DEP_4)
	v_min3_f32 v102, v44, v45, v102
	v_add_f64 v[44:45], v[14:15], v[42:43]
	v_cvt_f32_f64_e32 v46, v[46:47]
	s_delay_alu instid0(VALU_DEP_2) | instskip(NEXT) | instid1(VALU_DEP_1)
	v_cvt_f32_f64_e32 v44, v[44:45]
	v_min3_f32 v101, v46, v44, v101
	v_add_f64 v[44:45], v[10:11], v[42:43]
	v_add_f64 v[46:47], v[8:9], v[40:41]
	s_delay_alu instid0(VALU_DEP_2) | instskip(NEXT) | instid1(VALU_DEP_2)
	v_cvt_f32_f64_e32 v44, v[44:45]
	v_cvt_f32_f64_e32 v46, v[46:47]
	s_delay_alu instid0(VALU_DEP_1) | instskip(SKIP_4) | instid1(VALU_DEP_4)
	v_min3_f32 v100, v46, v44, v100
	v_add_f64 v[44:45], v[6:7], v[42:43]
	v_add_f64 v[46:47], v[4:5], v[40:41]
	v_add_f64 v[42:43], v[2:3], v[42:43]
	v_add_f64 v[40:41], v[0:1], v[40:41]
	v_cvt_f32_f64_e32 v44, v[44:45]
	s_delay_alu instid0(VALU_DEP_4) | instskip(NEXT) | instid1(VALU_DEP_3)
	v_cvt_f32_f64_e32 v46, v[46:47]
	v_cvt_f32_f64_e32 v40, v[40:41]
	v_cvt_f32_f64_e32 v41, v[42:43]
	s_waitcnt lgkmcnt(5)
	v_add_f64 v[42:43], v[12:13], v[36:37]
	s_delay_alu instid0(VALU_DEP_4) | instskip(NEXT) | instid1(VALU_DEP_3)
	v_min3_f32 v99, v46, v44, v99
	v_min3_f32 v98, v40, v41, v98
	v_add_f64 v[40:41], v[14:15], v[38:39]
	s_delay_alu instid0(VALU_DEP_4) | instskip(NEXT) | instid1(VALU_DEP_2)
	v_cvt_f32_f64_e32 v42, v[42:43]
	v_cvt_f32_f64_e32 v40, v[40:41]
	s_delay_alu instid0(VALU_DEP_1) | instskip(SKIP_2) | instid1(VALU_DEP_2)
	v_min3_f32 v97, v42, v40, v97
	v_add_f64 v[40:41], v[10:11], v[38:39]
	v_add_f64 v[42:43], v[8:9], v[36:37]
	v_cvt_f32_f64_e32 v40, v[40:41]
	s_delay_alu instid0(VALU_DEP_2) | instskip(NEXT) | instid1(VALU_DEP_1)
	v_cvt_f32_f64_e32 v42, v[42:43]
	v_min3_f32 v96, v42, v40, v96
	v_add_f64 v[40:41], v[6:7], v[38:39]
	v_add_f64 v[42:43], v[4:5], v[36:37]
	v_add_f64 v[38:39], v[2:3], v[38:39]
	v_add_f64 v[36:37], v[0:1], v[36:37]
	s_delay_alu instid0(VALU_DEP_4) | instskip(NEXT) | instid1(VALU_DEP_4)
	v_cvt_f32_f64_e32 v40, v[40:41]
	v_cvt_f32_f64_e32 v42, v[42:43]
	s_delay_alu instid0(VALU_DEP_3) | instskip(SKIP_3) | instid1(VALU_DEP_4)
	v_cvt_f32_f64_e32 v36, v[36:37]
	;; [unrolled: 53-line block ×3, first 2 shown]
	v_cvt_f32_f64_e32 v29, v[30:31]
	s_waitcnt lgkmcnt(2)
	v_add_f64 v[30:31], v[12:13], v[24:25]
	v_min3_f32 v87, v34, v32, v87
	s_delay_alu instid0(VALU_DEP_3) | instskip(SKIP_1) | instid1(VALU_DEP_4)
	v_min3_f32 v86, v28, v29, v86
	v_add_f64 v[28:29], v[14:15], v[26:27]
	v_cvt_f32_f64_e32 v30, v[30:31]
	s_delay_alu instid0(VALU_DEP_2) | instskip(NEXT) | instid1(VALU_DEP_1)
	v_cvt_f32_f64_e32 v28, v[28:29]
	v_min3_f32 v85, v30, v28, v85
	v_add_f64 v[28:29], v[10:11], v[26:27]
	v_add_f64 v[30:31], v[8:9], v[24:25]
	s_delay_alu instid0(VALU_DEP_2) | instskip(NEXT) | instid1(VALU_DEP_2)
	v_cvt_f32_f64_e32 v28, v[28:29]
	v_cvt_f32_f64_e32 v30, v[30:31]
	s_delay_alu instid0(VALU_DEP_1) | instskip(SKIP_4) | instid1(VALU_DEP_4)
	v_min3_f32 v84, v30, v28, v84
	v_add_f64 v[28:29], v[6:7], v[26:27]
	v_add_f64 v[30:31], v[4:5], v[24:25]
	;; [unrolled: 1-line block ×4, first 2 shown]
	v_cvt_f32_f64_e32 v28, v[28:29]
	s_delay_alu instid0(VALU_DEP_4) | instskip(NEXT) | instid1(VALU_DEP_3)
	v_cvt_f32_f64_e32 v30, v[30:31]
	v_cvt_f32_f64_e32 v24, v[24:25]
	;; [unrolled: 1-line block ×3, first 2 shown]
	s_waitcnt lgkmcnt(1)
	v_add_f64 v[26:27], v[12:13], v[20:21]
	s_waitcnt lgkmcnt(0)
	v_add_f64 v[12:13], v[12:13], v[16:17]
	v_min3_f32 v83, v30, v28, v83
	s_delay_alu instid0(VALU_DEP_4) | instskip(SKIP_4) | instid1(VALU_DEP_4)
	v_min3_f32 v82, v24, v25, v82
	v_add_f64 v[24:25], v[14:15], v[22:23]
	v_cvt_f32_f64_e32 v26, v[26:27]
	v_add_f64 v[14:15], v[14:15], v[18:19]
	v_cvt_f32_f64_e32 v12, v[12:13]
	v_cvt_f32_f64_e32 v24, v[24:25]
	s_delay_alu instid0(VALU_DEP_3) | instskip(NEXT) | instid1(VALU_DEP_2)
	v_cvt_f32_f64_e32 v13, v[14:15]
	v_min3_f32 v81, v26, v24, v81
	v_add_f64 v[24:25], v[10:11], v[22:23]
	v_add_f64 v[26:27], v[8:9], v[20:21]
	;; [unrolled: 1-line block ×4, first 2 shown]
	v_min3_f32 v77, v12, v13, v77
	v_cvt_f32_f64_e32 v24, v[24:25]
	v_cvt_f32_f64_e32 v26, v[26:27]
	s_delay_alu instid0(VALU_DEP_4) | instskip(SKIP_1) | instid1(VALU_DEP_3)
	v_cvt_f32_f64_e32 v8, v[8:9]
	v_cvt_f32_f64_e32 v9, v[10:11]
	v_min3_f32 v80, v26, v24, v80
	v_add_f64 v[24:25], v[6:7], v[22:23]
	v_add_f64 v[26:27], v[4:5], v[20:21]
	;; [unrolled: 1-line block ×8, first 2 shown]
	v_min3_f32 v76, v8, v9, v76
	v_cvt_f32_f64_e32 v24, v[24:25]
	v_cvt_f32_f64_e32 v26, v[26:27]
	;; [unrolled: 1-line block ×8, first 2 shown]
	v_min3_f32 v79, v26, v24, v79
	v_min3_f32 v78, v20, v21, v78
	;; [unrolled: 1-line block ×3, first 2 shown]
	s_delay_alu instid0(VALU_DEP_4)
	v_min3_f32 v74, v0, v1, v74
	s_cbranch_vccz .LBB166_47
; %bb.48:                               ;   in Loop: Header=BB166_28 Depth=1
	s_add_i32 s29, s29, 8
	s_add_i32 s7, s7, 8
	s_cmp_ge_i32 s29, s28
	s_waitcnt vmcnt(0)
	ds_store_2addr_stride64_b64 v143, v[66:67], v[68:69] offset1:4
	ds_store_2addr_stride64_b64 v144, v[70:71], v[72:73] offset1:4
	s_waitcnt lgkmcnt(0)
	s_barrier
	buffer_gl0_inv
	s_cbranch_scc0 .LBB166_28
.LBB166_49:
	s_mov_b32 s3, 0
	s_mov_b32 s2, -1
.LBB166_50:                             ; =>This Inner Loop Header: Depth=1
	s_lshl_b32 s3, s3, 3
	s_and_not1_b32 vcc_lo, exec_lo, s2
	v_lshl_add_u32 v0, v132, 5, s3
	v_lshl_add_u32 v16, v133, 5, s3
	s_mov_b32 s3, 2
	s_mov_b32 s2, 0
	ds_load_b128 v[12:15], v0 offset:4096
	ds_load_b128 v[8:11], v0 offset:5120
	;; [unrolled: 1-line block ×20, first 2 shown]
	s_waitcnt lgkmcnt(15)
	v_add_f64 v[72:73], v[14:15], v[58:59]
	v_add_f64 v[148:149], v[12:13], v[56:57]
	s_delay_alu instid0(VALU_DEP_2) | instskip(NEXT) | instid1(VALU_DEP_2)
	v_cvt_f32_f64_e32 v72, v[72:73]
	v_cvt_f32_f64_e32 v148, v[148:149]
	s_delay_alu instid0(VALU_DEP_1) | instskip(SKIP_2) | instid1(VALU_DEP_2)
	v_min3_f32 v139, v148, v72, v139
	v_add_f64 v[72:73], v[10:11], v[58:59]
	v_add_f64 v[148:149], v[8:9], v[56:57]
	v_cvt_f32_f64_e32 v72, v[72:73]
	s_delay_alu instid0(VALU_DEP_2) | instskip(NEXT) | instid1(VALU_DEP_1)
	v_cvt_f32_f64_e32 v148, v[148:149]
	v_min3_f32 v138, v148, v72, v138
	v_add_f64 v[72:73], v[6:7], v[58:59]
	v_add_f64 v[148:149], v[4:5], v[56:57]
	;; [unrolled: 1-line block ×4, first 2 shown]
	s_delay_alu instid0(VALU_DEP_4) | instskip(NEXT) | instid1(VALU_DEP_4)
	v_cvt_f32_f64_e32 v72, v[72:73]
	v_cvt_f32_f64_e32 v148, v[148:149]
	s_delay_alu instid0(VALU_DEP_3) | instskip(SKIP_3) | instid1(VALU_DEP_4)
	v_cvt_f32_f64_e32 v56, v[56:57]
	v_cvt_f32_f64_e32 v57, v[58:59]
	s_waitcnt lgkmcnt(14)
	v_add_f64 v[58:59], v[12:13], v[60:61]
	v_min3_f32 v137, v148, v72, v137
	s_delay_alu instid0(VALU_DEP_3) | instskip(SKIP_1) | instid1(VALU_DEP_4)
	v_min3_f32 v136, v56, v57, v136
	v_add_f64 v[56:57], v[14:15], v[62:63]
	v_cvt_f32_f64_e32 v58, v[58:59]
	s_delay_alu instid0(VALU_DEP_2) | instskip(NEXT) | instid1(VALU_DEP_1)
	v_cvt_f32_f64_e32 v56, v[56:57]
	v_min3_f32 v135, v58, v56, v135
	v_add_f64 v[56:57], v[10:11], v[62:63]
	v_add_f64 v[58:59], v[8:9], v[60:61]
	s_delay_alu instid0(VALU_DEP_2) | instskip(NEXT) | instid1(VALU_DEP_2)
	v_cvt_f32_f64_e32 v56, v[56:57]
	v_cvt_f32_f64_e32 v58, v[58:59]
	s_delay_alu instid0(VALU_DEP_1) | instskip(SKIP_2) | instid1(VALU_DEP_2)
	v_min3_f32 v134, v58, v56, v134
	v_add_f64 v[56:57], v[6:7], v[62:63]
	v_add_f64 v[58:59], v[4:5], v[60:61]
	v_cvt_f32_f64_e32 v56, v[56:57]
	s_delay_alu instid0(VALU_DEP_2) | instskip(NEXT) | instid1(VALU_DEP_1)
	v_cvt_f32_f64_e32 v58, v[58:59]
	v_min3_f32 v131, v58, v56, v131
	v_add_f64 v[56:57], v[2:3], v[62:63]
	v_add_f64 v[58:59], v[0:1], v[60:61]
	s_delay_alu instid0(VALU_DEP_2) | instskip(NEXT) | instid1(VALU_DEP_2)
	v_cvt_f32_f64_e32 v56, v[56:57]
	v_cvt_f32_f64_e32 v58, v[58:59]
	s_delay_alu instid0(VALU_DEP_1) | instskip(SKIP_3) | instid1(VALU_DEP_2)
	v_min3_f32 v130, v58, v56, v130
	s_waitcnt lgkmcnt(13)
	v_add_f64 v[56:57], v[14:15], v[66:67]
	v_add_f64 v[58:59], v[12:13], v[64:65]
	v_cvt_f32_f64_e32 v56, v[56:57]
	s_delay_alu instid0(VALU_DEP_2) | instskip(NEXT) | instid1(VALU_DEP_1)
	v_cvt_f32_f64_e32 v58, v[58:59]
	v_min3_f32 v129, v58, v56, v129
	v_add_f64 v[56:57], v[10:11], v[66:67]
	v_add_f64 v[58:59], v[8:9], v[64:65]
	s_delay_alu instid0(VALU_DEP_2) | instskip(NEXT) | instid1(VALU_DEP_2)
	v_cvt_f32_f64_e32 v56, v[56:57]
	v_cvt_f32_f64_e32 v58, v[58:59]
	s_delay_alu instid0(VALU_DEP_1) | instskip(SKIP_2) | instid1(VALU_DEP_2)
	v_min3_f32 v128, v58, v56, v128
	v_add_f64 v[56:57], v[6:7], v[66:67]
	v_add_f64 v[58:59], v[4:5], v[64:65]
	v_cvt_f32_f64_e32 v56, v[56:57]
	s_delay_alu instid0(VALU_DEP_2) | instskip(NEXT) | instid1(VALU_DEP_1)
	v_cvt_f32_f64_e32 v58, v[58:59]
	v_min3_f32 v127, v58, v56, v127
	v_add_f64 v[56:57], v[2:3], v[66:67]
	v_add_f64 v[58:59], v[0:1], v[64:65]
	s_delay_alu instid0(VALU_DEP_2) | instskip(NEXT) | instid1(VALU_DEP_2)
	v_cvt_f32_f64_e32 v56, v[56:57]
	v_cvt_f32_f64_e32 v58, v[58:59]
	s_delay_alu instid0(VALU_DEP_1) | instskip(SKIP_3) | instid1(VALU_DEP_2)
	v_min3_f32 v126, v58, v56, v126
	s_waitcnt lgkmcnt(12)
	v_add_f64 v[56:57], v[14:15], v[70:71]
	;; [unrolled: 27-line block ×5, first 2 shown]
	v_add_f64 v[58:59], v[12:13], v[52:53]
	v_cvt_f32_f64_e32 v56, v[56:57]
	s_delay_alu instid0(VALU_DEP_2) | instskip(NEXT) | instid1(VALU_DEP_1)
	v_cvt_f32_f64_e32 v58, v[58:59]
	v_min3_f32 v113, v58, v56, v113
	v_add_f64 v[56:57], v[10:11], v[54:55]
	v_add_f64 v[58:59], v[8:9], v[52:53]
	s_delay_alu instid0(VALU_DEP_2) | instskip(NEXT) | instid1(VALU_DEP_2)
	v_cvt_f32_f64_e32 v56, v[56:57]
	v_cvt_f32_f64_e32 v58, v[58:59]
	s_delay_alu instid0(VALU_DEP_1) | instskip(SKIP_4) | instid1(VALU_DEP_4)
	v_min3_f32 v112, v58, v56, v112
	v_add_f64 v[56:57], v[6:7], v[54:55]
	v_add_f64 v[58:59], v[4:5], v[52:53]
	v_add_f64 v[54:55], v[2:3], v[54:55]
	v_add_f64 v[52:53], v[0:1], v[52:53]
	v_cvt_f32_f64_e32 v56, v[56:57]
	s_delay_alu instid0(VALU_DEP_4) | instskip(NEXT) | instid1(VALU_DEP_3)
	v_cvt_f32_f64_e32 v58, v[58:59]
	v_cvt_f32_f64_e32 v52, v[52:53]
	v_cvt_f32_f64_e32 v53, v[54:55]
	s_waitcnt lgkmcnt(8)
	v_add_f64 v[54:55], v[12:13], v[48:49]
	s_delay_alu instid0(VALU_DEP_4) | instskip(NEXT) | instid1(VALU_DEP_3)
	v_min3_f32 v111, v58, v56, v111
	v_min3_f32 v110, v52, v53, v110
	v_add_f64 v[52:53], v[14:15], v[50:51]
	s_delay_alu instid0(VALU_DEP_4) | instskip(NEXT) | instid1(VALU_DEP_2)
	v_cvt_f32_f64_e32 v54, v[54:55]
	v_cvt_f32_f64_e32 v52, v[52:53]
	s_delay_alu instid0(VALU_DEP_1) | instskip(SKIP_2) | instid1(VALU_DEP_2)
	v_min3_f32 v109, v54, v52, v109
	v_add_f64 v[52:53], v[10:11], v[50:51]
	v_add_f64 v[54:55], v[8:9], v[48:49]
	v_cvt_f32_f64_e32 v52, v[52:53]
	s_delay_alu instid0(VALU_DEP_2) | instskip(NEXT) | instid1(VALU_DEP_1)
	v_cvt_f32_f64_e32 v54, v[54:55]
	v_min3_f32 v108, v54, v52, v108
	v_add_f64 v[52:53], v[6:7], v[50:51]
	v_add_f64 v[54:55], v[4:5], v[48:49]
	v_add_f64 v[50:51], v[2:3], v[50:51]
	v_add_f64 v[48:49], v[0:1], v[48:49]
	s_delay_alu instid0(VALU_DEP_4) | instskip(NEXT) | instid1(VALU_DEP_4)
	v_cvt_f32_f64_e32 v52, v[52:53]
	v_cvt_f32_f64_e32 v54, v[54:55]
	s_delay_alu instid0(VALU_DEP_3) | instskip(SKIP_3) | instid1(VALU_DEP_4)
	v_cvt_f32_f64_e32 v48, v[48:49]
	v_cvt_f32_f64_e32 v49, v[50:51]
	s_waitcnt lgkmcnt(7)
	v_add_f64 v[50:51], v[12:13], v[44:45]
	v_min3_f32 v107, v54, v52, v107
	s_delay_alu instid0(VALU_DEP_3) | instskip(SKIP_1) | instid1(VALU_DEP_4)
	v_min3_f32 v106, v48, v49, v106
	v_add_f64 v[48:49], v[14:15], v[46:47]
	v_cvt_f32_f64_e32 v50, v[50:51]
	s_delay_alu instid0(VALU_DEP_2) | instskip(NEXT) | instid1(VALU_DEP_1)
	v_cvt_f32_f64_e32 v48, v[48:49]
	v_min3_f32 v105, v50, v48, v105
	v_add_f64 v[48:49], v[10:11], v[46:47]
	v_add_f64 v[50:51], v[8:9], v[44:45]
	s_delay_alu instid0(VALU_DEP_2) | instskip(NEXT) | instid1(VALU_DEP_2)
	v_cvt_f32_f64_e32 v48, v[48:49]
	v_cvt_f32_f64_e32 v50, v[50:51]
	s_delay_alu instid0(VALU_DEP_1) | instskip(SKIP_4) | instid1(VALU_DEP_4)
	v_min3_f32 v104, v50, v48, v104
	v_add_f64 v[48:49], v[6:7], v[46:47]
	v_add_f64 v[50:51], v[4:5], v[44:45]
	v_add_f64 v[46:47], v[2:3], v[46:47]
	v_add_f64 v[44:45], v[0:1], v[44:45]
	v_cvt_f32_f64_e32 v48, v[48:49]
	s_delay_alu instid0(VALU_DEP_4) | instskip(NEXT) | instid1(VALU_DEP_3)
	v_cvt_f32_f64_e32 v50, v[50:51]
	v_cvt_f32_f64_e32 v44, v[44:45]
	v_cvt_f32_f64_e32 v45, v[46:47]
	s_waitcnt lgkmcnt(6)
	v_add_f64 v[46:47], v[12:13], v[40:41]
	s_delay_alu instid0(VALU_DEP_4) | instskip(NEXT) | instid1(VALU_DEP_3)
	v_min3_f32 v103, v50, v48, v103
	v_min3_f32 v102, v44, v45, v102
	v_add_f64 v[44:45], v[14:15], v[42:43]
	s_delay_alu instid0(VALU_DEP_4) | instskip(NEXT) | instid1(VALU_DEP_2)
	v_cvt_f32_f64_e32 v46, v[46:47]
	v_cvt_f32_f64_e32 v44, v[44:45]
	s_delay_alu instid0(VALU_DEP_1) | instskip(SKIP_2) | instid1(VALU_DEP_2)
	v_min3_f32 v101, v46, v44, v101
	v_add_f64 v[44:45], v[10:11], v[42:43]
	v_add_f64 v[46:47], v[8:9], v[40:41]
	v_cvt_f32_f64_e32 v44, v[44:45]
	s_delay_alu instid0(VALU_DEP_2) | instskip(NEXT) | instid1(VALU_DEP_1)
	v_cvt_f32_f64_e32 v46, v[46:47]
	v_min3_f32 v100, v46, v44, v100
	v_add_f64 v[44:45], v[6:7], v[42:43]
	v_add_f64 v[46:47], v[4:5], v[40:41]
	v_add_f64 v[42:43], v[2:3], v[42:43]
	v_add_f64 v[40:41], v[0:1], v[40:41]
	s_delay_alu instid0(VALU_DEP_4) | instskip(NEXT) | instid1(VALU_DEP_4)
	v_cvt_f32_f64_e32 v44, v[44:45]
	v_cvt_f32_f64_e32 v46, v[46:47]
	s_delay_alu instid0(VALU_DEP_3) | instskip(SKIP_3) | instid1(VALU_DEP_4)
	v_cvt_f32_f64_e32 v40, v[40:41]
	v_cvt_f32_f64_e32 v41, v[42:43]
	s_waitcnt lgkmcnt(5)
	v_add_f64 v[42:43], v[12:13], v[36:37]
	v_min3_f32 v99, v46, v44, v99
	s_delay_alu instid0(VALU_DEP_3) | instskip(SKIP_1) | instid1(VALU_DEP_4)
	v_min3_f32 v98, v40, v41, v98
	;; [unrolled: 53-line block ×3, first 2 shown]
	v_add_f64 v[32:33], v[14:15], v[30:31]
	v_cvt_f32_f64_e32 v34, v[34:35]
	s_delay_alu instid0(VALU_DEP_2) | instskip(NEXT) | instid1(VALU_DEP_1)
	v_cvt_f32_f64_e32 v32, v[32:33]
	v_min3_f32 v89, v34, v32, v89
	v_add_f64 v[32:33], v[10:11], v[30:31]
	v_add_f64 v[34:35], v[8:9], v[28:29]
	s_delay_alu instid0(VALU_DEP_2) | instskip(NEXT) | instid1(VALU_DEP_2)
	v_cvt_f32_f64_e32 v32, v[32:33]
	v_cvt_f32_f64_e32 v34, v[34:35]
	s_delay_alu instid0(VALU_DEP_1) | instskip(SKIP_4) | instid1(VALU_DEP_4)
	v_min3_f32 v88, v34, v32, v88
	v_add_f64 v[32:33], v[6:7], v[30:31]
	v_add_f64 v[34:35], v[4:5], v[28:29]
	;; [unrolled: 1-line block ×4, first 2 shown]
	v_cvt_f32_f64_e32 v32, v[32:33]
	s_delay_alu instid0(VALU_DEP_4) | instskip(NEXT) | instid1(VALU_DEP_3)
	v_cvt_f32_f64_e32 v34, v[34:35]
	v_cvt_f32_f64_e32 v28, v[28:29]
	v_cvt_f32_f64_e32 v29, v[30:31]
	s_waitcnt lgkmcnt(2)
	v_add_f64 v[30:31], v[12:13], v[24:25]
	s_delay_alu instid0(VALU_DEP_4) | instskip(NEXT) | instid1(VALU_DEP_3)
	v_min3_f32 v87, v34, v32, v87
	v_min3_f32 v86, v28, v29, v86
	v_add_f64 v[28:29], v[14:15], v[26:27]
	s_delay_alu instid0(VALU_DEP_4) | instskip(NEXT) | instid1(VALU_DEP_2)
	v_cvt_f32_f64_e32 v30, v[30:31]
	v_cvt_f32_f64_e32 v28, v[28:29]
	s_delay_alu instid0(VALU_DEP_1) | instskip(SKIP_2) | instid1(VALU_DEP_2)
	v_min3_f32 v85, v30, v28, v85
	v_add_f64 v[28:29], v[10:11], v[26:27]
	v_add_f64 v[30:31], v[8:9], v[24:25]
	v_cvt_f32_f64_e32 v28, v[28:29]
	s_delay_alu instid0(VALU_DEP_2) | instskip(NEXT) | instid1(VALU_DEP_1)
	v_cvt_f32_f64_e32 v30, v[30:31]
	v_min3_f32 v84, v30, v28, v84
	v_add_f64 v[28:29], v[6:7], v[26:27]
	v_add_f64 v[30:31], v[4:5], v[24:25]
	;; [unrolled: 1-line block ×4, first 2 shown]
	s_delay_alu instid0(VALU_DEP_4) | instskip(NEXT) | instid1(VALU_DEP_4)
	v_cvt_f32_f64_e32 v28, v[28:29]
	v_cvt_f32_f64_e32 v30, v[30:31]
	s_delay_alu instid0(VALU_DEP_3)
	v_cvt_f32_f64_e32 v24, v[24:25]
	v_cvt_f32_f64_e32 v25, v[26:27]
	s_waitcnt lgkmcnt(1)
	v_add_f64 v[26:27], v[12:13], v[20:21]
	s_waitcnt lgkmcnt(0)
	v_add_f64 v[12:13], v[12:13], v[16:17]
	v_min3_f32 v83, v30, v28, v83
	s_delay_alu instid0(VALU_DEP_4) | instskip(SKIP_4) | instid1(VALU_DEP_4)
	v_min3_f32 v82, v24, v25, v82
	v_add_f64 v[24:25], v[14:15], v[22:23]
	v_cvt_f32_f64_e32 v26, v[26:27]
	v_add_f64 v[14:15], v[14:15], v[18:19]
	v_cvt_f32_f64_e32 v12, v[12:13]
	v_cvt_f32_f64_e32 v24, v[24:25]
	s_delay_alu instid0(VALU_DEP_3) | instskip(NEXT) | instid1(VALU_DEP_2)
	v_cvt_f32_f64_e32 v13, v[14:15]
	v_min3_f32 v81, v26, v24, v81
	v_add_f64 v[24:25], v[10:11], v[22:23]
	v_add_f64 v[26:27], v[8:9], v[20:21]
	v_add_f64 v[10:11], v[10:11], v[18:19]
	v_add_f64 v[8:9], v[8:9], v[16:17]
	v_min3_f32 v77, v12, v13, v77
	v_cvt_f32_f64_e32 v24, v[24:25]
	v_cvt_f32_f64_e32 v26, v[26:27]
	s_delay_alu instid0(VALU_DEP_4) | instskip(SKIP_1) | instid1(VALU_DEP_3)
	v_cvt_f32_f64_e32 v8, v[8:9]
	v_cvt_f32_f64_e32 v9, v[10:11]
	v_min3_f32 v80, v26, v24, v80
	v_add_f64 v[24:25], v[6:7], v[22:23]
	v_add_f64 v[26:27], v[4:5], v[20:21]
	;; [unrolled: 1-line block ×8, first 2 shown]
	v_min3_f32 v76, v8, v9, v76
	v_cvt_f32_f64_e32 v24, v[24:25]
	v_cvt_f32_f64_e32 v26, v[26:27]
	;; [unrolled: 1-line block ×8, first 2 shown]
	v_min3_f32 v79, v26, v24, v79
	v_min3_f32 v78, v20, v21, v78
	;; [unrolled: 1-line block ×3, first 2 shown]
	s_delay_alu instid0(VALU_DEP_4)
	v_min3_f32 v74, v0, v1, v74
	s_cbranch_vccz .LBB166_50
; %bb.51:
	s_clause 0x2
	s_load_b64 s[2:3], s[0:1], 0x78
	s_load_b32 s6, s[0:1], 0x58
	s_load_b32 s5, s[0:1], 0x70
	v_add_nc_u32_e32 v11, s19, v133
	v_add_nc_u32_e32 v0, s14, v132
	v_cndmask_b32_e64 v10, 0, 1, s27
	s_delay_alu instid0(VALU_DEP_2)
	v_cmp_gt_i32_e64 s0, s16, v0
	v_ashrrev_i32_e32 v1, 31, v0
	s_waitcnt lgkmcnt(0)
	s_mul_i32 s1, s15, s3
	v_mad_i64_i32 v[2:3], null, v11, s6, 0
	v_mad_i64_i32 v[4:5], null, v11, s5, 0
	s_mul_hi_u32 s3, s15, s2
	s_mul_i32 s4, s26, s2
	s_add_i32 s1, s3, s1
	s_mul_i32 s2, s15, s2
	s_delay_alu instid0(VALU_DEP_2) | instskip(SKIP_1) | instid1(VALU_DEP_2)
	v_lshlrev_b64 v[2:3], 3, v[2:3]
	s_add_i32 s3, s1, s4
	v_lshlrev_b64 v[4:5], 3, v[4:5]
	s_lshl_b64 s[2:3], s[2:3], 3
	v_cmp_gt_i32_e64 s4, s17, v11
	s_add_u32 s7, s22, s2
	v_add_co_u32 v8, vcc_lo, s8, v2
	v_add_co_ci_u32_e32 v9, vcc_lo, s9, v3, vcc_lo
	s_addc_u32 s12, s23, s3
	v_add_co_u32 v12, vcc_lo, s7, v4
	v_add_co_ci_u32_e32 v13, vcc_lo, s12, v5, vcc_lo
	s_and_b32 s2, s0, s4
	s_delay_alu instid0(SALU_CYCLE_1)
	s_and_saveexec_b32 s1, s2
	s_cbranch_execz .LBB166_56
; %bb.52:
	s_and_not1_b32 vcc_lo, exec_lo, s27
	s_cbranch_vccnz .LBB166_54
; %bb.53:
	v_lshlrev_b64 v[2:3], 3, v[0:1]
	s_delay_alu instid0(VALU_DEP_1) | instskip(NEXT) | instid1(VALU_DEP_2)
	v_add_co_u32 v2, vcc_lo, v8, v2
	v_add_co_ci_u32_e32 v3, vcc_lo, v9, v3, vcc_lo
	flat_load_b64 v[2:3], v[2:3]
	s_waitcnt vmcnt(0) lgkmcnt(0)
	v_mul_f64 v[2:3], v[2:3], s[10:11]
	s_branch .LBB166_55
.LBB166_54:
	v_mov_b32_e32 v2, 0
	v_mov_b32_e32 v3, 0
.LBB166_55:
	s_delay_alu instid0(VALU_DEP_1) | instskip(SKIP_2) | instid1(VALU_DEP_1)
	v_cvt_f32_f64_e32 v2, v[2:3]
	v_max_f32_e32 v3, v139, v139
	v_lshlrev_b64 v[4:5], 3, v[0:1]
	v_add_co_u32 v4, vcc_lo, v12, v4
	s_delay_alu instid0(VALU_DEP_2) | instskip(NEXT) | instid1(VALU_DEP_4)
	v_add_co_ci_u32_e32 v5, vcc_lo, v13, v5, vcc_lo
	v_min_f32_e32 v2, v2, v3
	s_delay_alu instid0(VALU_DEP_1)
	v_cvt_f64_f32_e32 v[2:3], v2
	global_store_b64 v[4:5], v[2:3], off
.LBB166_56:
	s_or_b32 exec_lo, exec_lo, s1
	v_add_nc_u32_e32 v2, 32, v0
	s_delay_alu instid0(VALU_DEP_1) | instskip(SKIP_1) | instid1(VALU_DEP_2)
	v_cmp_gt_i32_e64 s1, s16, v2
	v_ashrrev_i32_e32 v3, 31, v2
	s_and_b32 s3, s1, s4
	s_delay_alu instid0(SALU_CYCLE_1)
	s_and_saveexec_b32 s2, s3
	s_cbranch_execz .LBB166_61
; %bb.57:
	v_cmp_ne_u32_e32 vcc_lo, 1, v10
	s_cbranch_vccnz .LBB166_59
; %bb.58:
	v_lshlrev_b64 v[4:5], 3, v[2:3]
	s_delay_alu instid0(VALU_DEP_1) | instskip(NEXT) | instid1(VALU_DEP_2)
	v_add_co_u32 v4, vcc_lo, v8, v4
	v_add_co_ci_u32_e32 v5, vcc_lo, v9, v5, vcc_lo
	flat_load_b64 v[4:5], v[4:5]
	s_waitcnt vmcnt(0) lgkmcnt(0)
	v_mul_f64 v[4:5], v[4:5], s[10:11]
	s_branch .LBB166_60
.LBB166_59:
	v_mov_b32_e32 v4, 0
	v_mov_b32_e32 v5, 0
.LBB166_60:
	s_delay_alu instid0(VALU_DEP_1) | instskip(SKIP_2) | instid1(VALU_DEP_1)
	v_cvt_f32_f64_e32 v4, v[4:5]
	v_max_f32_e32 v5, v138, v138
	v_lshlrev_b64 v[6:7], 3, v[2:3]
	v_add_co_u32 v6, vcc_lo, v12, v6
	s_delay_alu instid0(VALU_DEP_2) | instskip(NEXT) | instid1(VALU_DEP_4)
	v_add_co_ci_u32_e32 v7, vcc_lo, v13, v7, vcc_lo
	v_min_f32_e32 v4, v4, v5
	s_delay_alu instid0(VALU_DEP_1)
	v_cvt_f64_f32_e32 v[4:5], v4
	global_store_b64 v[6:7], v[4:5], off
.LBB166_61:
	s_or_b32 exec_lo, exec_lo, s2
	v_add_nc_u32_e32 v4, 64, v0
	s_delay_alu instid0(VALU_DEP_1) | instskip(SKIP_1) | instid1(VALU_DEP_2)
	v_cmp_gt_i32_e64 s2, s16, v4
	v_ashrrev_i32_e32 v5, 31, v4
	s_and_b32 s13, s2, s4
	s_delay_alu instid0(SALU_CYCLE_1)
	s_and_saveexec_b32 s3, s13
	s_cbranch_execz .LBB166_66
; %bb.62:
	v_cmp_ne_u32_e32 vcc_lo, 1, v10
	s_cbranch_vccnz .LBB166_64
; %bb.63:
	v_lshlrev_b64 v[6:7], 3, v[4:5]
	s_delay_alu instid0(VALU_DEP_1) | instskip(NEXT) | instid1(VALU_DEP_2)
	v_add_co_u32 v6, vcc_lo, v8, v6
	v_add_co_ci_u32_e32 v7, vcc_lo, v9, v7, vcc_lo
	flat_load_b64 v[6:7], v[6:7]
	s_waitcnt vmcnt(0) lgkmcnt(0)
	v_mul_f64 v[6:7], v[6:7], s[10:11]
	s_branch .LBB166_65
.LBB166_64:
	v_mov_b32_e32 v6, 0
	v_mov_b32_e32 v7, 0
.LBB166_65:
	s_delay_alu instid0(VALU_DEP_1) | instskip(SKIP_2) | instid1(VALU_DEP_1)
	v_cvt_f32_f64_e32 v6, v[6:7]
	v_max_f32_e32 v7, v137, v137
	v_lshlrev_b64 v[14:15], 3, v[4:5]
	v_add_co_u32 v14, vcc_lo, v12, v14
	s_delay_alu instid0(VALU_DEP_2) | instskip(NEXT) | instid1(VALU_DEP_4)
	v_add_co_ci_u32_e32 v15, vcc_lo, v13, v15, vcc_lo
	v_min_f32_e32 v6, v6, v7
	s_delay_alu instid0(VALU_DEP_1)
	v_cvt_f64_f32_e32 v[6:7], v6
	global_store_b64 v[14:15], v[6:7], off
.LBB166_66:
	;; [unrolled: 37-line block ×3, first 2 shown]
	s_or_b32 exec_lo, exec_lo, s4
	v_add_nc_u32_e32 v14, 8, v11
	s_delay_alu instid0(VALU_DEP_1) | instskip(SKIP_2) | instid1(VALU_DEP_3)
	v_mad_i64_i32 v[8:9], null, v14, s6, 0
	v_mad_i64_i32 v[12:13], null, v14, s5, 0
	v_cmp_gt_i32_e64 s4, s17, v14
	v_lshlrev_b64 v[8:9], 3, v[8:9]
	s_delay_alu instid0(VALU_DEP_2) | instskip(NEXT) | instid1(VALU_DEP_3)
	s_and_b32 s14, s0, s4
	v_lshlrev_b64 v[12:13], 3, v[12:13]
	s_delay_alu instid0(VALU_DEP_2) | instskip(NEXT) | instid1(VALU_DEP_3)
	v_add_co_u32 v14, vcc_lo, s8, v8
	v_add_co_ci_u32_e32 v15, vcc_lo, s9, v9, vcc_lo
	s_delay_alu instid0(VALU_DEP_3) | instskip(NEXT) | instid1(VALU_DEP_4)
	v_add_co_u32 v12, vcc_lo, s7, v12
	v_add_co_ci_u32_e32 v13, vcc_lo, s12, v13, vcc_lo
	s_and_saveexec_b32 s13, s14
	s_cbranch_execnz .LBB166_75
; %bb.72:
	s_or_b32 exec_lo, exec_lo, s13
	s_and_b32 s14, s1, s4
	s_delay_alu instid0(SALU_CYCLE_1)
	s_and_saveexec_b32 s13, s14
	s_cbranch_execnz .LBB166_79
.LBB166_73:
	s_or_b32 exec_lo, exec_lo, s13
	s_and_b32 s14, s2, s4
	s_delay_alu instid0(SALU_CYCLE_1)
	s_and_saveexec_b32 s13, s14
	s_cbranch_execnz .LBB166_83
.LBB166_74:
	s_or_b32 exec_lo, exec_lo, s13
	s_and_b32 s13, s3, s4
	s_delay_alu instid0(SALU_CYCLE_1)
	s_and_saveexec_b32 s4, s13
	s_cbranch_execnz .LBB166_87
	s_branch .LBB166_91
.LBB166_75:
	v_cmp_ne_u32_e32 vcc_lo, 1, v10
	s_cbranch_vccnz .LBB166_77
; %bb.76:
	v_lshlrev_b64 v[8:9], 3, v[0:1]
	s_delay_alu instid0(VALU_DEP_1) | instskip(NEXT) | instid1(VALU_DEP_2)
	v_add_co_u32 v8, vcc_lo, v14, v8
	v_add_co_ci_u32_e32 v9, vcc_lo, v15, v9, vcc_lo
	flat_load_b64 v[8:9], v[8:9]
	s_waitcnt vmcnt(0) lgkmcnt(0)
	v_mul_f64 v[8:9], v[8:9], s[10:11]
	s_branch .LBB166_78
.LBB166_77:
	v_mov_b32_e32 v8, 0
	v_mov_b32_e32 v9, 0
.LBB166_78:
	s_delay_alu instid0(VALU_DEP_1) | instskip(SKIP_2) | instid1(VALU_DEP_1)
	v_cvt_f32_f64_e32 v8, v[8:9]
	v_max_f32_e32 v9, v135, v135
	v_lshlrev_b64 v[16:17], 3, v[0:1]
	v_add_co_u32 v16, vcc_lo, v12, v16
	s_delay_alu instid0(VALU_DEP_2) | instskip(NEXT) | instid1(VALU_DEP_4)
	v_add_co_ci_u32_e32 v17, vcc_lo, v13, v17, vcc_lo
	v_min_f32_e32 v8, v8, v9
	s_delay_alu instid0(VALU_DEP_1) | instskip(SKIP_3) | instid1(SALU_CYCLE_1)
	v_cvt_f64_f32_e32 v[8:9], v8
	global_store_b64 v[16:17], v[8:9], off
	s_or_b32 exec_lo, exec_lo, s13
	s_and_b32 s14, s1, s4
	s_and_saveexec_b32 s13, s14
	s_cbranch_execz .LBB166_73
.LBB166_79:
	v_cmp_ne_u32_e32 vcc_lo, 1, v10
	s_cbranch_vccnz .LBB166_81
; %bb.80:
	v_lshlrev_b64 v[8:9], 3, v[2:3]
	s_delay_alu instid0(VALU_DEP_1) | instskip(NEXT) | instid1(VALU_DEP_2)
	v_add_co_u32 v8, vcc_lo, v14, v8
	v_add_co_ci_u32_e32 v9, vcc_lo, v15, v9, vcc_lo
	flat_load_b64 v[8:9], v[8:9]
	s_waitcnt vmcnt(0) lgkmcnt(0)
	v_mul_f64 v[8:9], v[8:9], s[10:11]
	s_branch .LBB166_82
.LBB166_81:
	v_mov_b32_e32 v8, 0
	v_mov_b32_e32 v9, 0
.LBB166_82:
	s_delay_alu instid0(VALU_DEP_1) | instskip(SKIP_2) | instid1(VALU_DEP_1)
	v_cvt_f32_f64_e32 v8, v[8:9]
	v_max_f32_e32 v9, v134, v134
	v_lshlrev_b64 v[16:17], 3, v[2:3]
	v_add_co_u32 v16, vcc_lo, v12, v16
	s_delay_alu instid0(VALU_DEP_2) | instskip(NEXT) | instid1(VALU_DEP_4)
	v_add_co_ci_u32_e32 v17, vcc_lo, v13, v17, vcc_lo
	v_min_f32_e32 v8, v8, v9
	s_delay_alu instid0(VALU_DEP_1) | instskip(SKIP_3) | instid1(SALU_CYCLE_1)
	v_cvt_f64_f32_e32 v[8:9], v8
	global_store_b64 v[16:17], v[8:9], off
	s_or_b32 exec_lo, exec_lo, s13
	s_and_b32 s14, s2, s4
	s_and_saveexec_b32 s13, s14
	s_cbranch_execz .LBB166_74
.LBB166_83:
	v_cmp_ne_u32_e32 vcc_lo, 1, v10
	s_cbranch_vccnz .LBB166_85
; %bb.84:
	v_lshlrev_b64 v[8:9], 3, v[4:5]
	s_delay_alu instid0(VALU_DEP_1) | instskip(NEXT) | instid1(VALU_DEP_2)
	v_add_co_u32 v8, vcc_lo, v14, v8
	v_add_co_ci_u32_e32 v9, vcc_lo, v15, v9, vcc_lo
	flat_load_b64 v[8:9], v[8:9]
	s_waitcnt vmcnt(0) lgkmcnt(0)
	v_mul_f64 v[8:9], v[8:9], s[10:11]
	s_branch .LBB166_86
.LBB166_85:
	v_mov_b32_e32 v8, 0
	v_mov_b32_e32 v9, 0
.LBB166_86:
	s_delay_alu instid0(VALU_DEP_1) | instskip(SKIP_2) | instid1(VALU_DEP_1)
	v_cvt_f32_f64_e32 v8, v[8:9]
	v_max_f32_e32 v9, v131, v131
	v_lshlrev_b64 v[16:17], 3, v[4:5]
	v_add_co_u32 v16, vcc_lo, v12, v16
	s_delay_alu instid0(VALU_DEP_2) | instskip(NEXT) | instid1(VALU_DEP_4)
	v_add_co_ci_u32_e32 v17, vcc_lo, v13, v17, vcc_lo
	v_min_f32_e32 v8, v8, v9
	s_delay_alu instid0(VALU_DEP_1) | instskip(SKIP_3) | instid1(SALU_CYCLE_1)
	v_cvt_f64_f32_e32 v[8:9], v8
	global_store_b64 v[16:17], v[8:9], off
	s_or_b32 exec_lo, exec_lo, s13
	s_and_b32 s13, s3, s4
	s_and_saveexec_b32 s4, s13
	s_cbranch_execz .LBB166_91
.LBB166_87:
	v_cmp_ne_u32_e32 vcc_lo, 1, v10
	s_cbranch_vccnz .LBB166_89
; %bb.88:
	v_lshlrev_b64 v[8:9], 3, v[6:7]
	s_delay_alu instid0(VALU_DEP_1) | instskip(NEXT) | instid1(VALU_DEP_2)
	v_add_co_u32 v8, vcc_lo, v14, v8
	v_add_co_ci_u32_e32 v9, vcc_lo, v15, v9, vcc_lo
	flat_load_b64 v[8:9], v[8:9]
	s_waitcnt vmcnt(0) lgkmcnt(0)
	v_mul_f64 v[8:9], v[8:9], s[10:11]
	s_branch .LBB166_90
.LBB166_89:
	v_mov_b32_e32 v8, 0
	v_mov_b32_e32 v9, 0
.LBB166_90:
	s_delay_alu instid0(VALU_DEP_1) | instskip(SKIP_2) | instid1(VALU_DEP_1)
	v_cvt_f32_f64_e32 v8, v[8:9]
	v_max_f32_e32 v9, v130, v130
	v_lshlrev_b64 v[14:15], 3, v[6:7]
	v_add_co_u32 v12, vcc_lo, v12, v14
	s_delay_alu instid0(VALU_DEP_2) | instskip(NEXT) | instid1(VALU_DEP_4)
	v_add_co_ci_u32_e32 v13, vcc_lo, v13, v15, vcc_lo
	v_min_f32_e32 v8, v8, v9
	s_delay_alu instid0(VALU_DEP_1)
	v_cvt_f64_f32_e32 v[8:9], v8
	global_store_b64 v[12:13], v[8:9], off
.LBB166_91:
	s_or_b32 exec_lo, exec_lo, s4
	v_add_nc_u32_e32 v14, 16, v11
	s_delay_alu instid0(VALU_DEP_1) | instskip(SKIP_2) | instid1(VALU_DEP_3)
	v_mad_i64_i32 v[8:9], null, v14, s6, 0
	v_mad_i64_i32 v[12:13], null, v14, s5, 0
	v_cmp_gt_i32_e64 s4, s17, v14
	v_lshlrev_b64 v[8:9], 3, v[8:9]
	s_delay_alu instid0(VALU_DEP_2) | instskip(NEXT) | instid1(VALU_DEP_3)
	s_and_b32 s14, s0, s4
	v_lshlrev_b64 v[12:13], 3, v[12:13]
	s_delay_alu instid0(VALU_DEP_2) | instskip(NEXT) | instid1(VALU_DEP_3)
	v_add_co_u32 v14, vcc_lo, s8, v8
	v_add_co_ci_u32_e32 v15, vcc_lo, s9, v9, vcc_lo
	s_delay_alu instid0(VALU_DEP_3) | instskip(NEXT) | instid1(VALU_DEP_4)
	v_add_co_u32 v12, vcc_lo, s7, v12
	v_add_co_ci_u32_e32 v13, vcc_lo, s12, v13, vcc_lo
	s_and_saveexec_b32 s13, s14
	s_cbranch_execnz .LBB166_95
; %bb.92:
	s_or_b32 exec_lo, exec_lo, s13
	s_and_b32 s14, s1, s4
	s_delay_alu instid0(SALU_CYCLE_1)
	s_and_saveexec_b32 s13, s14
	s_cbranch_execnz .LBB166_99
.LBB166_93:
	s_or_b32 exec_lo, exec_lo, s13
	s_and_b32 s14, s2, s4
	s_delay_alu instid0(SALU_CYCLE_1)
	s_and_saveexec_b32 s13, s14
	s_cbranch_execnz .LBB166_103
.LBB166_94:
	s_or_b32 exec_lo, exec_lo, s13
	s_and_b32 s13, s3, s4
	s_delay_alu instid0(SALU_CYCLE_1)
	s_and_saveexec_b32 s4, s13
	s_cbranch_execnz .LBB166_107
	s_branch .LBB166_111
.LBB166_95:
	v_cmp_ne_u32_e32 vcc_lo, 1, v10
	s_cbranch_vccnz .LBB166_97
; %bb.96:
	v_lshlrev_b64 v[8:9], 3, v[0:1]
	s_delay_alu instid0(VALU_DEP_1) | instskip(NEXT) | instid1(VALU_DEP_2)
	v_add_co_u32 v8, vcc_lo, v14, v8
	v_add_co_ci_u32_e32 v9, vcc_lo, v15, v9, vcc_lo
	flat_load_b64 v[8:9], v[8:9]
	s_waitcnt vmcnt(0) lgkmcnt(0)
	v_mul_f64 v[8:9], v[8:9], s[10:11]
	s_branch .LBB166_98
.LBB166_97:
	v_mov_b32_e32 v8, 0
	v_mov_b32_e32 v9, 0
.LBB166_98:
	s_delay_alu instid0(VALU_DEP_1) | instskip(SKIP_2) | instid1(VALU_DEP_1)
	v_cvt_f32_f64_e32 v8, v[8:9]
	v_max_f32_e32 v9, v129, v129
	v_lshlrev_b64 v[16:17], 3, v[0:1]
	v_add_co_u32 v16, vcc_lo, v12, v16
	s_delay_alu instid0(VALU_DEP_2) | instskip(NEXT) | instid1(VALU_DEP_4)
	v_add_co_ci_u32_e32 v17, vcc_lo, v13, v17, vcc_lo
	v_min_f32_e32 v8, v8, v9
	s_delay_alu instid0(VALU_DEP_1) | instskip(SKIP_3) | instid1(SALU_CYCLE_1)
	v_cvt_f64_f32_e32 v[8:9], v8
	global_store_b64 v[16:17], v[8:9], off
	s_or_b32 exec_lo, exec_lo, s13
	s_and_b32 s14, s1, s4
	s_and_saveexec_b32 s13, s14
	s_cbranch_execz .LBB166_93
.LBB166_99:
	v_cmp_ne_u32_e32 vcc_lo, 1, v10
	s_cbranch_vccnz .LBB166_101
; %bb.100:
	v_lshlrev_b64 v[8:9], 3, v[2:3]
	s_delay_alu instid0(VALU_DEP_1) | instskip(NEXT) | instid1(VALU_DEP_2)
	v_add_co_u32 v8, vcc_lo, v14, v8
	v_add_co_ci_u32_e32 v9, vcc_lo, v15, v9, vcc_lo
	flat_load_b64 v[8:9], v[8:9]
	s_waitcnt vmcnt(0) lgkmcnt(0)
	v_mul_f64 v[8:9], v[8:9], s[10:11]
	s_branch .LBB166_102
.LBB166_101:
	v_mov_b32_e32 v8, 0
	v_mov_b32_e32 v9, 0
.LBB166_102:
	s_delay_alu instid0(VALU_DEP_1) | instskip(SKIP_2) | instid1(VALU_DEP_1)
	v_cvt_f32_f64_e32 v8, v[8:9]
	v_max_f32_e32 v9, v128, v128
	v_lshlrev_b64 v[16:17], 3, v[2:3]
	v_add_co_u32 v16, vcc_lo, v12, v16
	s_delay_alu instid0(VALU_DEP_2) | instskip(NEXT) | instid1(VALU_DEP_4)
	v_add_co_ci_u32_e32 v17, vcc_lo, v13, v17, vcc_lo
	v_min_f32_e32 v8, v8, v9
	s_delay_alu instid0(VALU_DEP_1) | instskip(SKIP_3) | instid1(SALU_CYCLE_1)
	v_cvt_f64_f32_e32 v[8:9], v8
	global_store_b64 v[16:17], v[8:9], off
	s_or_b32 exec_lo, exec_lo, s13
	s_and_b32 s14, s2, s4
	s_and_saveexec_b32 s13, s14
	s_cbranch_execz .LBB166_94
.LBB166_103:
	v_cmp_ne_u32_e32 vcc_lo, 1, v10
	s_cbranch_vccnz .LBB166_105
; %bb.104:
	v_lshlrev_b64 v[8:9], 3, v[4:5]
	s_delay_alu instid0(VALU_DEP_1) | instskip(NEXT) | instid1(VALU_DEP_2)
	v_add_co_u32 v8, vcc_lo, v14, v8
	v_add_co_ci_u32_e32 v9, vcc_lo, v15, v9, vcc_lo
	flat_load_b64 v[8:9], v[8:9]
	s_waitcnt vmcnt(0) lgkmcnt(0)
	v_mul_f64 v[8:9], v[8:9], s[10:11]
	s_branch .LBB166_106
.LBB166_105:
	v_mov_b32_e32 v8, 0
	v_mov_b32_e32 v9, 0
.LBB166_106:
	s_delay_alu instid0(VALU_DEP_1) | instskip(SKIP_2) | instid1(VALU_DEP_1)
	v_cvt_f32_f64_e32 v8, v[8:9]
	v_max_f32_e32 v9, v127, v127
	v_lshlrev_b64 v[16:17], 3, v[4:5]
	v_add_co_u32 v16, vcc_lo, v12, v16
	s_delay_alu instid0(VALU_DEP_2) | instskip(NEXT) | instid1(VALU_DEP_4)
	v_add_co_ci_u32_e32 v17, vcc_lo, v13, v17, vcc_lo
	v_min_f32_e32 v8, v8, v9
	s_delay_alu instid0(VALU_DEP_1) | instskip(SKIP_3) | instid1(SALU_CYCLE_1)
	v_cvt_f64_f32_e32 v[8:9], v8
	global_store_b64 v[16:17], v[8:9], off
	s_or_b32 exec_lo, exec_lo, s13
	s_and_b32 s13, s3, s4
	s_and_saveexec_b32 s4, s13
	s_cbranch_execz .LBB166_111
.LBB166_107:
	v_cmp_ne_u32_e32 vcc_lo, 1, v10
	s_cbranch_vccnz .LBB166_109
; %bb.108:
	v_lshlrev_b64 v[8:9], 3, v[6:7]
	s_delay_alu instid0(VALU_DEP_1) | instskip(NEXT) | instid1(VALU_DEP_2)
	v_add_co_u32 v8, vcc_lo, v14, v8
	v_add_co_ci_u32_e32 v9, vcc_lo, v15, v9, vcc_lo
	flat_load_b64 v[8:9], v[8:9]
	s_waitcnt vmcnt(0) lgkmcnt(0)
	v_mul_f64 v[8:9], v[8:9], s[10:11]
	s_branch .LBB166_110
.LBB166_109:
	v_mov_b32_e32 v8, 0
	v_mov_b32_e32 v9, 0
.LBB166_110:
	s_delay_alu instid0(VALU_DEP_1) | instskip(SKIP_2) | instid1(VALU_DEP_1)
	v_cvt_f32_f64_e32 v8, v[8:9]
	v_max_f32_e32 v9, v126, v126
	v_lshlrev_b64 v[14:15], 3, v[6:7]
	v_add_co_u32 v12, vcc_lo, v12, v14
	s_delay_alu instid0(VALU_DEP_2) | instskip(NEXT) | instid1(VALU_DEP_4)
	v_add_co_ci_u32_e32 v13, vcc_lo, v13, v15, vcc_lo
	v_min_f32_e32 v8, v8, v9
	s_delay_alu instid0(VALU_DEP_1)
	v_cvt_f64_f32_e32 v[8:9], v8
	global_store_b64 v[12:13], v[8:9], off
.LBB166_111:
	s_or_b32 exec_lo, exec_lo, s4
	v_add_nc_u32_e32 v14, 24, v11
	s_delay_alu instid0(VALU_DEP_1) | instskip(SKIP_2) | instid1(VALU_DEP_3)
	v_mad_i64_i32 v[8:9], null, v14, s6, 0
	v_mad_i64_i32 v[12:13], null, v14, s5, 0
	v_cmp_gt_i32_e64 s4, s17, v14
	v_lshlrev_b64 v[8:9], 3, v[8:9]
	s_delay_alu instid0(VALU_DEP_2) | instskip(NEXT) | instid1(VALU_DEP_3)
	s_and_b32 s14, s0, s4
	v_lshlrev_b64 v[12:13], 3, v[12:13]
	s_delay_alu instid0(VALU_DEP_2) | instskip(NEXT) | instid1(VALU_DEP_3)
	v_add_co_u32 v14, vcc_lo, s8, v8
	v_add_co_ci_u32_e32 v15, vcc_lo, s9, v9, vcc_lo
	s_delay_alu instid0(VALU_DEP_3) | instskip(NEXT) | instid1(VALU_DEP_4)
	v_add_co_u32 v12, vcc_lo, s7, v12
	v_add_co_ci_u32_e32 v13, vcc_lo, s12, v13, vcc_lo
	s_and_saveexec_b32 s13, s14
	s_cbranch_execnz .LBB166_115
; %bb.112:
	s_or_b32 exec_lo, exec_lo, s13
	s_and_b32 s14, s1, s4
	s_delay_alu instid0(SALU_CYCLE_1)
	s_and_saveexec_b32 s13, s14
	s_cbranch_execnz .LBB166_119
.LBB166_113:
	s_or_b32 exec_lo, exec_lo, s13
	s_and_b32 s14, s2, s4
	s_delay_alu instid0(SALU_CYCLE_1)
	s_and_saveexec_b32 s13, s14
	s_cbranch_execnz .LBB166_123
.LBB166_114:
	s_or_b32 exec_lo, exec_lo, s13
	s_and_b32 s13, s3, s4
	s_delay_alu instid0(SALU_CYCLE_1)
	s_and_saveexec_b32 s4, s13
	s_cbranch_execnz .LBB166_127
	s_branch .LBB166_131
.LBB166_115:
	v_cmp_ne_u32_e32 vcc_lo, 1, v10
	s_cbranch_vccnz .LBB166_117
; %bb.116:
	v_lshlrev_b64 v[8:9], 3, v[0:1]
	s_delay_alu instid0(VALU_DEP_1) | instskip(NEXT) | instid1(VALU_DEP_2)
	v_add_co_u32 v8, vcc_lo, v14, v8
	v_add_co_ci_u32_e32 v9, vcc_lo, v15, v9, vcc_lo
	flat_load_b64 v[8:9], v[8:9]
	s_waitcnt vmcnt(0) lgkmcnt(0)
	v_mul_f64 v[8:9], v[8:9], s[10:11]
	s_branch .LBB166_118
.LBB166_117:
	v_mov_b32_e32 v8, 0
	v_mov_b32_e32 v9, 0
.LBB166_118:
	s_delay_alu instid0(VALU_DEP_1) | instskip(SKIP_2) | instid1(VALU_DEP_1)
	v_cvt_f32_f64_e32 v8, v[8:9]
	v_max_f32_e32 v9, v125, v125
	v_lshlrev_b64 v[16:17], 3, v[0:1]
	v_add_co_u32 v16, vcc_lo, v12, v16
	s_delay_alu instid0(VALU_DEP_2) | instskip(NEXT) | instid1(VALU_DEP_4)
	v_add_co_ci_u32_e32 v17, vcc_lo, v13, v17, vcc_lo
	v_min_f32_e32 v8, v8, v9
	s_delay_alu instid0(VALU_DEP_1) | instskip(SKIP_3) | instid1(SALU_CYCLE_1)
	v_cvt_f64_f32_e32 v[8:9], v8
	global_store_b64 v[16:17], v[8:9], off
	s_or_b32 exec_lo, exec_lo, s13
	s_and_b32 s14, s1, s4
	s_and_saveexec_b32 s13, s14
	s_cbranch_execz .LBB166_113
.LBB166_119:
	v_cmp_ne_u32_e32 vcc_lo, 1, v10
	s_cbranch_vccnz .LBB166_121
; %bb.120:
	v_lshlrev_b64 v[8:9], 3, v[2:3]
	s_delay_alu instid0(VALU_DEP_1) | instskip(NEXT) | instid1(VALU_DEP_2)
	v_add_co_u32 v8, vcc_lo, v14, v8
	v_add_co_ci_u32_e32 v9, vcc_lo, v15, v9, vcc_lo
	flat_load_b64 v[8:9], v[8:9]
	s_waitcnt vmcnt(0) lgkmcnt(0)
	v_mul_f64 v[8:9], v[8:9], s[10:11]
	s_branch .LBB166_122
.LBB166_121:
	v_mov_b32_e32 v8, 0
	v_mov_b32_e32 v9, 0
.LBB166_122:
	s_delay_alu instid0(VALU_DEP_1) | instskip(SKIP_2) | instid1(VALU_DEP_1)
	v_cvt_f32_f64_e32 v8, v[8:9]
	v_max_f32_e32 v9, v124, v124
	v_lshlrev_b64 v[16:17], 3, v[2:3]
	v_add_co_u32 v16, vcc_lo, v12, v16
	s_delay_alu instid0(VALU_DEP_2) | instskip(NEXT) | instid1(VALU_DEP_4)
	v_add_co_ci_u32_e32 v17, vcc_lo, v13, v17, vcc_lo
	v_min_f32_e32 v8, v8, v9
	s_delay_alu instid0(VALU_DEP_1) | instskip(SKIP_3) | instid1(SALU_CYCLE_1)
	v_cvt_f64_f32_e32 v[8:9], v8
	global_store_b64 v[16:17], v[8:9], off
	s_or_b32 exec_lo, exec_lo, s13
	s_and_b32 s14, s2, s4
	s_and_saveexec_b32 s13, s14
	s_cbranch_execz .LBB166_114
.LBB166_123:
	v_cmp_ne_u32_e32 vcc_lo, 1, v10
	s_cbranch_vccnz .LBB166_125
; %bb.124:
	v_lshlrev_b64 v[8:9], 3, v[4:5]
	s_delay_alu instid0(VALU_DEP_1) | instskip(NEXT) | instid1(VALU_DEP_2)
	v_add_co_u32 v8, vcc_lo, v14, v8
	v_add_co_ci_u32_e32 v9, vcc_lo, v15, v9, vcc_lo
	flat_load_b64 v[8:9], v[8:9]
	s_waitcnt vmcnt(0) lgkmcnt(0)
	v_mul_f64 v[8:9], v[8:9], s[10:11]
	s_branch .LBB166_126
.LBB166_125:
	v_mov_b32_e32 v8, 0
	v_mov_b32_e32 v9, 0
.LBB166_126:
	s_delay_alu instid0(VALU_DEP_1) | instskip(SKIP_2) | instid1(VALU_DEP_1)
	v_cvt_f32_f64_e32 v8, v[8:9]
	v_max_f32_e32 v9, v123, v123
	v_lshlrev_b64 v[16:17], 3, v[4:5]
	v_add_co_u32 v16, vcc_lo, v12, v16
	s_delay_alu instid0(VALU_DEP_2) | instskip(NEXT) | instid1(VALU_DEP_4)
	v_add_co_ci_u32_e32 v17, vcc_lo, v13, v17, vcc_lo
	v_min_f32_e32 v8, v8, v9
	s_delay_alu instid0(VALU_DEP_1) | instskip(SKIP_3) | instid1(SALU_CYCLE_1)
	v_cvt_f64_f32_e32 v[8:9], v8
	global_store_b64 v[16:17], v[8:9], off
	s_or_b32 exec_lo, exec_lo, s13
	s_and_b32 s13, s3, s4
	s_and_saveexec_b32 s4, s13
	s_cbranch_execz .LBB166_131
.LBB166_127:
	v_cmp_ne_u32_e32 vcc_lo, 1, v10
	s_cbranch_vccnz .LBB166_129
; %bb.128:
	v_lshlrev_b64 v[8:9], 3, v[6:7]
	s_delay_alu instid0(VALU_DEP_1) | instskip(NEXT) | instid1(VALU_DEP_2)
	v_add_co_u32 v8, vcc_lo, v14, v8
	v_add_co_ci_u32_e32 v9, vcc_lo, v15, v9, vcc_lo
	flat_load_b64 v[8:9], v[8:9]
	s_waitcnt vmcnt(0) lgkmcnt(0)
	v_mul_f64 v[8:9], v[8:9], s[10:11]
	s_branch .LBB166_130
.LBB166_129:
	v_mov_b32_e32 v8, 0
	v_mov_b32_e32 v9, 0
.LBB166_130:
	s_delay_alu instid0(VALU_DEP_1) | instskip(SKIP_2) | instid1(VALU_DEP_1)
	v_cvt_f32_f64_e32 v8, v[8:9]
	v_max_f32_e32 v9, v122, v122
	v_lshlrev_b64 v[14:15], 3, v[6:7]
	v_add_co_u32 v12, vcc_lo, v12, v14
	s_delay_alu instid0(VALU_DEP_2) | instskip(NEXT) | instid1(VALU_DEP_4)
	v_add_co_ci_u32_e32 v13, vcc_lo, v13, v15, vcc_lo
	v_min_f32_e32 v8, v8, v9
	s_delay_alu instid0(VALU_DEP_1)
	v_cvt_f64_f32_e32 v[8:9], v8
	global_store_b64 v[12:13], v[8:9], off
.LBB166_131:
	s_or_b32 exec_lo, exec_lo, s4
	v_add_nc_u32_e32 v14, 32, v11
	s_delay_alu instid0(VALU_DEP_1) | instskip(SKIP_2) | instid1(VALU_DEP_3)
	v_mad_i64_i32 v[8:9], null, v14, s6, 0
	v_mad_i64_i32 v[12:13], null, v14, s5, 0
	v_cmp_gt_i32_e64 s4, s17, v14
	v_lshlrev_b64 v[8:9], 3, v[8:9]
	s_delay_alu instid0(VALU_DEP_2) | instskip(NEXT) | instid1(VALU_DEP_3)
	s_and_b32 s14, s0, s4
	v_lshlrev_b64 v[12:13], 3, v[12:13]
	s_delay_alu instid0(VALU_DEP_2) | instskip(NEXT) | instid1(VALU_DEP_3)
	v_add_co_u32 v14, vcc_lo, s8, v8
	v_add_co_ci_u32_e32 v15, vcc_lo, s9, v9, vcc_lo
	s_delay_alu instid0(VALU_DEP_3) | instskip(NEXT) | instid1(VALU_DEP_4)
	v_add_co_u32 v12, vcc_lo, s7, v12
	v_add_co_ci_u32_e32 v13, vcc_lo, s12, v13, vcc_lo
	s_and_saveexec_b32 s13, s14
	s_cbranch_execnz .LBB166_135
; %bb.132:
	s_or_b32 exec_lo, exec_lo, s13
	s_and_b32 s14, s1, s4
	s_delay_alu instid0(SALU_CYCLE_1)
	s_and_saveexec_b32 s13, s14
	s_cbranch_execnz .LBB166_139
.LBB166_133:
	s_or_b32 exec_lo, exec_lo, s13
	s_and_b32 s14, s2, s4
	s_delay_alu instid0(SALU_CYCLE_1)
	s_and_saveexec_b32 s13, s14
	s_cbranch_execnz .LBB166_143
.LBB166_134:
	s_or_b32 exec_lo, exec_lo, s13
	s_and_b32 s13, s3, s4
	s_delay_alu instid0(SALU_CYCLE_1)
	s_and_saveexec_b32 s4, s13
	s_cbranch_execnz .LBB166_147
	s_branch .LBB166_151
.LBB166_135:
	v_cmp_ne_u32_e32 vcc_lo, 1, v10
	s_cbranch_vccnz .LBB166_137
; %bb.136:
	v_lshlrev_b64 v[8:9], 3, v[0:1]
	s_delay_alu instid0(VALU_DEP_1) | instskip(NEXT) | instid1(VALU_DEP_2)
	v_add_co_u32 v8, vcc_lo, v14, v8
	v_add_co_ci_u32_e32 v9, vcc_lo, v15, v9, vcc_lo
	flat_load_b64 v[8:9], v[8:9]
	s_waitcnt vmcnt(0) lgkmcnt(0)
	v_mul_f64 v[8:9], v[8:9], s[10:11]
	s_branch .LBB166_138
.LBB166_137:
	v_mov_b32_e32 v8, 0
	v_mov_b32_e32 v9, 0
.LBB166_138:
	s_delay_alu instid0(VALU_DEP_1) | instskip(SKIP_2) | instid1(VALU_DEP_1)
	v_cvt_f32_f64_e32 v8, v[8:9]
	v_max_f32_e32 v9, v121, v121
	v_lshlrev_b64 v[16:17], 3, v[0:1]
	v_add_co_u32 v16, vcc_lo, v12, v16
	s_delay_alu instid0(VALU_DEP_2) | instskip(NEXT) | instid1(VALU_DEP_4)
	v_add_co_ci_u32_e32 v17, vcc_lo, v13, v17, vcc_lo
	v_min_f32_e32 v8, v8, v9
	s_delay_alu instid0(VALU_DEP_1) | instskip(SKIP_3) | instid1(SALU_CYCLE_1)
	v_cvt_f64_f32_e32 v[8:9], v8
	global_store_b64 v[16:17], v[8:9], off
	s_or_b32 exec_lo, exec_lo, s13
	s_and_b32 s14, s1, s4
	s_and_saveexec_b32 s13, s14
	s_cbranch_execz .LBB166_133
.LBB166_139:
	v_cmp_ne_u32_e32 vcc_lo, 1, v10
	s_cbranch_vccnz .LBB166_141
; %bb.140:
	v_lshlrev_b64 v[8:9], 3, v[2:3]
	s_delay_alu instid0(VALU_DEP_1) | instskip(NEXT) | instid1(VALU_DEP_2)
	v_add_co_u32 v8, vcc_lo, v14, v8
	v_add_co_ci_u32_e32 v9, vcc_lo, v15, v9, vcc_lo
	flat_load_b64 v[8:9], v[8:9]
	s_waitcnt vmcnt(0) lgkmcnt(0)
	v_mul_f64 v[8:9], v[8:9], s[10:11]
	s_branch .LBB166_142
.LBB166_141:
	v_mov_b32_e32 v8, 0
	v_mov_b32_e32 v9, 0
.LBB166_142:
	s_delay_alu instid0(VALU_DEP_1) | instskip(SKIP_2) | instid1(VALU_DEP_1)
	v_cvt_f32_f64_e32 v8, v[8:9]
	v_max_f32_e32 v9, v120, v120
	v_lshlrev_b64 v[16:17], 3, v[2:3]
	v_add_co_u32 v16, vcc_lo, v12, v16
	s_delay_alu instid0(VALU_DEP_2) | instskip(NEXT) | instid1(VALU_DEP_4)
	v_add_co_ci_u32_e32 v17, vcc_lo, v13, v17, vcc_lo
	v_min_f32_e32 v8, v8, v9
	s_delay_alu instid0(VALU_DEP_1) | instskip(SKIP_3) | instid1(SALU_CYCLE_1)
	v_cvt_f64_f32_e32 v[8:9], v8
	global_store_b64 v[16:17], v[8:9], off
	s_or_b32 exec_lo, exec_lo, s13
	s_and_b32 s14, s2, s4
	s_and_saveexec_b32 s13, s14
	s_cbranch_execz .LBB166_134
.LBB166_143:
	v_cmp_ne_u32_e32 vcc_lo, 1, v10
	s_cbranch_vccnz .LBB166_145
; %bb.144:
	v_lshlrev_b64 v[8:9], 3, v[4:5]
	s_delay_alu instid0(VALU_DEP_1) | instskip(NEXT) | instid1(VALU_DEP_2)
	v_add_co_u32 v8, vcc_lo, v14, v8
	v_add_co_ci_u32_e32 v9, vcc_lo, v15, v9, vcc_lo
	flat_load_b64 v[8:9], v[8:9]
	s_waitcnt vmcnt(0) lgkmcnt(0)
	v_mul_f64 v[8:9], v[8:9], s[10:11]
	s_branch .LBB166_146
.LBB166_145:
	v_mov_b32_e32 v8, 0
	v_mov_b32_e32 v9, 0
.LBB166_146:
	s_delay_alu instid0(VALU_DEP_1) | instskip(SKIP_2) | instid1(VALU_DEP_1)
	v_cvt_f32_f64_e32 v8, v[8:9]
	v_max_f32_e32 v9, v119, v119
	v_lshlrev_b64 v[16:17], 3, v[4:5]
	v_add_co_u32 v16, vcc_lo, v12, v16
	s_delay_alu instid0(VALU_DEP_2) | instskip(NEXT) | instid1(VALU_DEP_4)
	v_add_co_ci_u32_e32 v17, vcc_lo, v13, v17, vcc_lo
	v_min_f32_e32 v8, v8, v9
	s_delay_alu instid0(VALU_DEP_1) | instskip(SKIP_3) | instid1(SALU_CYCLE_1)
	v_cvt_f64_f32_e32 v[8:9], v8
	global_store_b64 v[16:17], v[8:9], off
	s_or_b32 exec_lo, exec_lo, s13
	s_and_b32 s13, s3, s4
	s_and_saveexec_b32 s4, s13
	s_cbranch_execz .LBB166_151
.LBB166_147:
	v_cmp_ne_u32_e32 vcc_lo, 1, v10
	s_cbranch_vccnz .LBB166_149
; %bb.148:
	v_lshlrev_b64 v[8:9], 3, v[6:7]
	s_delay_alu instid0(VALU_DEP_1) | instskip(NEXT) | instid1(VALU_DEP_2)
	v_add_co_u32 v8, vcc_lo, v14, v8
	v_add_co_ci_u32_e32 v9, vcc_lo, v15, v9, vcc_lo
	flat_load_b64 v[8:9], v[8:9]
	s_waitcnt vmcnt(0) lgkmcnt(0)
	v_mul_f64 v[8:9], v[8:9], s[10:11]
	s_branch .LBB166_150
.LBB166_149:
	v_mov_b32_e32 v8, 0
	v_mov_b32_e32 v9, 0
.LBB166_150:
	s_delay_alu instid0(VALU_DEP_1) | instskip(SKIP_2) | instid1(VALU_DEP_1)
	v_cvt_f32_f64_e32 v8, v[8:9]
	v_max_f32_e32 v9, v118, v118
	v_lshlrev_b64 v[14:15], 3, v[6:7]
	v_add_co_u32 v12, vcc_lo, v12, v14
	s_delay_alu instid0(VALU_DEP_2) | instskip(NEXT) | instid1(VALU_DEP_4)
	v_add_co_ci_u32_e32 v13, vcc_lo, v13, v15, vcc_lo
	v_min_f32_e32 v8, v8, v9
	s_delay_alu instid0(VALU_DEP_1)
	v_cvt_f64_f32_e32 v[8:9], v8
	global_store_b64 v[12:13], v[8:9], off
.LBB166_151:
	s_or_b32 exec_lo, exec_lo, s4
	v_add_nc_u32_e32 v14, 40, v11
	s_delay_alu instid0(VALU_DEP_1) | instskip(SKIP_2) | instid1(VALU_DEP_3)
	v_mad_i64_i32 v[8:9], null, v14, s6, 0
	v_mad_i64_i32 v[12:13], null, v14, s5, 0
	v_cmp_gt_i32_e64 s4, s17, v14
	v_lshlrev_b64 v[8:9], 3, v[8:9]
	s_delay_alu instid0(VALU_DEP_2) | instskip(NEXT) | instid1(VALU_DEP_3)
	s_and_b32 s14, s0, s4
	v_lshlrev_b64 v[12:13], 3, v[12:13]
	s_delay_alu instid0(VALU_DEP_2) | instskip(NEXT) | instid1(VALU_DEP_3)
	v_add_co_u32 v14, vcc_lo, s8, v8
	v_add_co_ci_u32_e32 v15, vcc_lo, s9, v9, vcc_lo
	s_delay_alu instid0(VALU_DEP_3) | instskip(NEXT) | instid1(VALU_DEP_4)
	v_add_co_u32 v12, vcc_lo, s7, v12
	v_add_co_ci_u32_e32 v13, vcc_lo, s12, v13, vcc_lo
	s_and_saveexec_b32 s13, s14
	s_cbranch_execnz .LBB166_155
; %bb.152:
	s_or_b32 exec_lo, exec_lo, s13
	s_and_b32 s14, s1, s4
	s_delay_alu instid0(SALU_CYCLE_1)
	s_and_saveexec_b32 s13, s14
	s_cbranch_execnz .LBB166_159
.LBB166_153:
	s_or_b32 exec_lo, exec_lo, s13
	s_and_b32 s14, s2, s4
	s_delay_alu instid0(SALU_CYCLE_1)
	s_and_saveexec_b32 s13, s14
	s_cbranch_execnz .LBB166_163
.LBB166_154:
	s_or_b32 exec_lo, exec_lo, s13
	s_and_b32 s13, s3, s4
	s_delay_alu instid0(SALU_CYCLE_1)
	s_and_saveexec_b32 s4, s13
	s_cbranch_execnz .LBB166_167
	s_branch .LBB166_171
.LBB166_155:
	v_cmp_ne_u32_e32 vcc_lo, 1, v10
	s_cbranch_vccnz .LBB166_157
; %bb.156:
	v_lshlrev_b64 v[8:9], 3, v[0:1]
	s_delay_alu instid0(VALU_DEP_1) | instskip(NEXT) | instid1(VALU_DEP_2)
	v_add_co_u32 v8, vcc_lo, v14, v8
	v_add_co_ci_u32_e32 v9, vcc_lo, v15, v9, vcc_lo
	flat_load_b64 v[8:9], v[8:9]
	s_waitcnt vmcnt(0) lgkmcnt(0)
	v_mul_f64 v[8:9], v[8:9], s[10:11]
	s_branch .LBB166_158
.LBB166_157:
	v_mov_b32_e32 v8, 0
	v_mov_b32_e32 v9, 0
.LBB166_158:
	s_delay_alu instid0(VALU_DEP_1) | instskip(SKIP_2) | instid1(VALU_DEP_1)
	v_cvt_f32_f64_e32 v8, v[8:9]
	v_max_f32_e32 v9, v117, v117
	v_lshlrev_b64 v[16:17], 3, v[0:1]
	v_add_co_u32 v16, vcc_lo, v12, v16
	s_delay_alu instid0(VALU_DEP_2) | instskip(NEXT) | instid1(VALU_DEP_4)
	v_add_co_ci_u32_e32 v17, vcc_lo, v13, v17, vcc_lo
	v_min_f32_e32 v8, v8, v9
	s_delay_alu instid0(VALU_DEP_1) | instskip(SKIP_3) | instid1(SALU_CYCLE_1)
	v_cvt_f64_f32_e32 v[8:9], v8
	global_store_b64 v[16:17], v[8:9], off
	s_or_b32 exec_lo, exec_lo, s13
	s_and_b32 s14, s1, s4
	s_and_saveexec_b32 s13, s14
	s_cbranch_execz .LBB166_153
.LBB166_159:
	v_cmp_ne_u32_e32 vcc_lo, 1, v10
	s_cbranch_vccnz .LBB166_161
; %bb.160:
	v_lshlrev_b64 v[8:9], 3, v[2:3]
	s_delay_alu instid0(VALU_DEP_1) | instskip(NEXT) | instid1(VALU_DEP_2)
	v_add_co_u32 v8, vcc_lo, v14, v8
	v_add_co_ci_u32_e32 v9, vcc_lo, v15, v9, vcc_lo
	flat_load_b64 v[8:9], v[8:9]
	s_waitcnt vmcnt(0) lgkmcnt(0)
	v_mul_f64 v[8:9], v[8:9], s[10:11]
	s_branch .LBB166_162
.LBB166_161:
	v_mov_b32_e32 v8, 0
	v_mov_b32_e32 v9, 0
.LBB166_162:
	s_delay_alu instid0(VALU_DEP_1) | instskip(SKIP_2) | instid1(VALU_DEP_1)
	v_cvt_f32_f64_e32 v8, v[8:9]
	v_max_f32_e32 v9, v116, v116
	v_lshlrev_b64 v[16:17], 3, v[2:3]
	v_add_co_u32 v16, vcc_lo, v12, v16
	s_delay_alu instid0(VALU_DEP_2) | instskip(NEXT) | instid1(VALU_DEP_4)
	v_add_co_ci_u32_e32 v17, vcc_lo, v13, v17, vcc_lo
	v_min_f32_e32 v8, v8, v9
	s_delay_alu instid0(VALU_DEP_1) | instskip(SKIP_3) | instid1(SALU_CYCLE_1)
	v_cvt_f64_f32_e32 v[8:9], v8
	global_store_b64 v[16:17], v[8:9], off
	s_or_b32 exec_lo, exec_lo, s13
	s_and_b32 s14, s2, s4
	s_and_saveexec_b32 s13, s14
	s_cbranch_execz .LBB166_154
.LBB166_163:
	v_cmp_ne_u32_e32 vcc_lo, 1, v10
	s_cbranch_vccnz .LBB166_165
; %bb.164:
	v_lshlrev_b64 v[8:9], 3, v[4:5]
	s_delay_alu instid0(VALU_DEP_1) | instskip(NEXT) | instid1(VALU_DEP_2)
	v_add_co_u32 v8, vcc_lo, v14, v8
	v_add_co_ci_u32_e32 v9, vcc_lo, v15, v9, vcc_lo
	flat_load_b64 v[8:9], v[8:9]
	s_waitcnt vmcnt(0) lgkmcnt(0)
	v_mul_f64 v[8:9], v[8:9], s[10:11]
	s_branch .LBB166_166
.LBB166_165:
	v_mov_b32_e32 v8, 0
	v_mov_b32_e32 v9, 0
.LBB166_166:
	s_delay_alu instid0(VALU_DEP_1) | instskip(SKIP_2) | instid1(VALU_DEP_1)
	v_cvt_f32_f64_e32 v8, v[8:9]
	v_max_f32_e32 v9, v115, v115
	v_lshlrev_b64 v[16:17], 3, v[4:5]
	v_add_co_u32 v16, vcc_lo, v12, v16
	s_delay_alu instid0(VALU_DEP_2) | instskip(NEXT) | instid1(VALU_DEP_4)
	v_add_co_ci_u32_e32 v17, vcc_lo, v13, v17, vcc_lo
	v_min_f32_e32 v8, v8, v9
	s_delay_alu instid0(VALU_DEP_1) | instskip(SKIP_3) | instid1(SALU_CYCLE_1)
	v_cvt_f64_f32_e32 v[8:9], v8
	global_store_b64 v[16:17], v[8:9], off
	s_or_b32 exec_lo, exec_lo, s13
	s_and_b32 s13, s3, s4
	s_and_saveexec_b32 s4, s13
	s_cbranch_execz .LBB166_171
.LBB166_167:
	v_cmp_ne_u32_e32 vcc_lo, 1, v10
	s_cbranch_vccnz .LBB166_169
; %bb.168:
	v_lshlrev_b64 v[8:9], 3, v[6:7]
	s_delay_alu instid0(VALU_DEP_1) | instskip(NEXT) | instid1(VALU_DEP_2)
	v_add_co_u32 v8, vcc_lo, v14, v8
	v_add_co_ci_u32_e32 v9, vcc_lo, v15, v9, vcc_lo
	flat_load_b64 v[8:9], v[8:9]
	s_waitcnt vmcnt(0) lgkmcnt(0)
	v_mul_f64 v[8:9], v[8:9], s[10:11]
	s_branch .LBB166_170
.LBB166_169:
	v_mov_b32_e32 v8, 0
	v_mov_b32_e32 v9, 0
.LBB166_170:
	s_delay_alu instid0(VALU_DEP_1) | instskip(SKIP_2) | instid1(VALU_DEP_1)
	v_cvt_f32_f64_e32 v8, v[8:9]
	v_max_f32_e32 v9, v114, v114
	v_lshlrev_b64 v[14:15], 3, v[6:7]
	v_add_co_u32 v12, vcc_lo, v12, v14
	s_delay_alu instid0(VALU_DEP_2) | instskip(NEXT) | instid1(VALU_DEP_4)
	v_add_co_ci_u32_e32 v13, vcc_lo, v13, v15, vcc_lo
	v_min_f32_e32 v8, v8, v9
	s_delay_alu instid0(VALU_DEP_1)
	v_cvt_f64_f32_e32 v[8:9], v8
	global_store_b64 v[12:13], v[8:9], off
.LBB166_171:
	s_or_b32 exec_lo, exec_lo, s4
	v_add_nc_u32_e32 v14, 48, v11
	s_delay_alu instid0(VALU_DEP_1) | instskip(SKIP_2) | instid1(VALU_DEP_3)
	v_mad_i64_i32 v[8:9], null, v14, s6, 0
	v_mad_i64_i32 v[12:13], null, v14, s5, 0
	v_cmp_gt_i32_e64 s4, s17, v14
	v_lshlrev_b64 v[8:9], 3, v[8:9]
	s_delay_alu instid0(VALU_DEP_2) | instskip(NEXT) | instid1(VALU_DEP_3)
	s_and_b32 s14, s0, s4
	v_lshlrev_b64 v[12:13], 3, v[12:13]
	s_delay_alu instid0(VALU_DEP_2) | instskip(NEXT) | instid1(VALU_DEP_3)
	v_add_co_u32 v14, vcc_lo, s8, v8
	v_add_co_ci_u32_e32 v15, vcc_lo, s9, v9, vcc_lo
	s_delay_alu instid0(VALU_DEP_3) | instskip(NEXT) | instid1(VALU_DEP_4)
	v_add_co_u32 v12, vcc_lo, s7, v12
	v_add_co_ci_u32_e32 v13, vcc_lo, s12, v13, vcc_lo
	s_and_saveexec_b32 s13, s14
	s_cbranch_execnz .LBB166_175
; %bb.172:
	s_or_b32 exec_lo, exec_lo, s13
	s_and_b32 s14, s1, s4
	s_delay_alu instid0(SALU_CYCLE_1)
	s_and_saveexec_b32 s13, s14
	s_cbranch_execnz .LBB166_179
.LBB166_173:
	s_or_b32 exec_lo, exec_lo, s13
	s_and_b32 s14, s2, s4
	s_delay_alu instid0(SALU_CYCLE_1)
	s_and_saveexec_b32 s13, s14
	s_cbranch_execnz .LBB166_183
.LBB166_174:
	s_or_b32 exec_lo, exec_lo, s13
	s_and_b32 s13, s3, s4
	s_delay_alu instid0(SALU_CYCLE_1)
	s_and_saveexec_b32 s4, s13
	s_cbranch_execnz .LBB166_187
	s_branch .LBB166_191
.LBB166_175:
	v_cmp_ne_u32_e32 vcc_lo, 1, v10
	s_cbranch_vccnz .LBB166_177
; %bb.176:
	v_lshlrev_b64 v[8:9], 3, v[0:1]
	s_delay_alu instid0(VALU_DEP_1) | instskip(NEXT) | instid1(VALU_DEP_2)
	v_add_co_u32 v8, vcc_lo, v14, v8
	v_add_co_ci_u32_e32 v9, vcc_lo, v15, v9, vcc_lo
	flat_load_b64 v[8:9], v[8:9]
	s_waitcnt vmcnt(0) lgkmcnt(0)
	v_mul_f64 v[8:9], v[8:9], s[10:11]
	s_branch .LBB166_178
.LBB166_177:
	v_mov_b32_e32 v8, 0
	v_mov_b32_e32 v9, 0
.LBB166_178:
	s_delay_alu instid0(VALU_DEP_1) | instskip(SKIP_2) | instid1(VALU_DEP_1)
	v_cvt_f32_f64_e32 v8, v[8:9]
	v_max_f32_e32 v9, v113, v113
	v_lshlrev_b64 v[16:17], 3, v[0:1]
	v_add_co_u32 v16, vcc_lo, v12, v16
	s_delay_alu instid0(VALU_DEP_2) | instskip(NEXT) | instid1(VALU_DEP_4)
	v_add_co_ci_u32_e32 v17, vcc_lo, v13, v17, vcc_lo
	v_min_f32_e32 v8, v8, v9
	s_delay_alu instid0(VALU_DEP_1) | instskip(SKIP_3) | instid1(SALU_CYCLE_1)
	v_cvt_f64_f32_e32 v[8:9], v8
	global_store_b64 v[16:17], v[8:9], off
	s_or_b32 exec_lo, exec_lo, s13
	s_and_b32 s14, s1, s4
	s_and_saveexec_b32 s13, s14
	s_cbranch_execz .LBB166_173
.LBB166_179:
	v_cmp_ne_u32_e32 vcc_lo, 1, v10
	s_cbranch_vccnz .LBB166_181
; %bb.180:
	v_lshlrev_b64 v[8:9], 3, v[2:3]
	s_delay_alu instid0(VALU_DEP_1) | instskip(NEXT) | instid1(VALU_DEP_2)
	v_add_co_u32 v8, vcc_lo, v14, v8
	v_add_co_ci_u32_e32 v9, vcc_lo, v15, v9, vcc_lo
	flat_load_b64 v[8:9], v[8:9]
	s_waitcnt vmcnt(0) lgkmcnt(0)
	v_mul_f64 v[8:9], v[8:9], s[10:11]
	s_branch .LBB166_182
.LBB166_181:
	v_mov_b32_e32 v8, 0
	v_mov_b32_e32 v9, 0
.LBB166_182:
	s_delay_alu instid0(VALU_DEP_1) | instskip(SKIP_2) | instid1(VALU_DEP_1)
	v_cvt_f32_f64_e32 v8, v[8:9]
	v_max_f32_e32 v9, v112, v112
	v_lshlrev_b64 v[16:17], 3, v[2:3]
	v_add_co_u32 v16, vcc_lo, v12, v16
	s_delay_alu instid0(VALU_DEP_2) | instskip(NEXT) | instid1(VALU_DEP_4)
	v_add_co_ci_u32_e32 v17, vcc_lo, v13, v17, vcc_lo
	v_min_f32_e32 v8, v8, v9
	s_delay_alu instid0(VALU_DEP_1) | instskip(SKIP_3) | instid1(SALU_CYCLE_1)
	v_cvt_f64_f32_e32 v[8:9], v8
	global_store_b64 v[16:17], v[8:9], off
	s_or_b32 exec_lo, exec_lo, s13
	s_and_b32 s14, s2, s4
	s_and_saveexec_b32 s13, s14
	s_cbranch_execz .LBB166_174
.LBB166_183:
	v_cmp_ne_u32_e32 vcc_lo, 1, v10
	s_cbranch_vccnz .LBB166_185
; %bb.184:
	v_lshlrev_b64 v[8:9], 3, v[4:5]
	s_delay_alu instid0(VALU_DEP_1) | instskip(NEXT) | instid1(VALU_DEP_2)
	v_add_co_u32 v8, vcc_lo, v14, v8
	v_add_co_ci_u32_e32 v9, vcc_lo, v15, v9, vcc_lo
	flat_load_b64 v[8:9], v[8:9]
	s_waitcnt vmcnt(0) lgkmcnt(0)
	v_mul_f64 v[8:9], v[8:9], s[10:11]
	s_branch .LBB166_186
.LBB166_185:
	v_mov_b32_e32 v8, 0
	v_mov_b32_e32 v9, 0
.LBB166_186:
	s_delay_alu instid0(VALU_DEP_1) | instskip(SKIP_2) | instid1(VALU_DEP_1)
	v_cvt_f32_f64_e32 v8, v[8:9]
	v_max_f32_e32 v9, v111, v111
	v_lshlrev_b64 v[16:17], 3, v[4:5]
	v_add_co_u32 v16, vcc_lo, v12, v16
	s_delay_alu instid0(VALU_DEP_2) | instskip(NEXT) | instid1(VALU_DEP_4)
	v_add_co_ci_u32_e32 v17, vcc_lo, v13, v17, vcc_lo
	v_min_f32_e32 v8, v8, v9
	s_delay_alu instid0(VALU_DEP_1) | instskip(SKIP_3) | instid1(SALU_CYCLE_1)
	v_cvt_f64_f32_e32 v[8:9], v8
	global_store_b64 v[16:17], v[8:9], off
	s_or_b32 exec_lo, exec_lo, s13
	s_and_b32 s13, s3, s4
	s_and_saveexec_b32 s4, s13
	s_cbranch_execz .LBB166_191
.LBB166_187:
	v_cmp_ne_u32_e32 vcc_lo, 1, v10
	s_cbranch_vccnz .LBB166_189
; %bb.188:
	v_lshlrev_b64 v[8:9], 3, v[6:7]
	s_delay_alu instid0(VALU_DEP_1) | instskip(NEXT) | instid1(VALU_DEP_2)
	v_add_co_u32 v8, vcc_lo, v14, v8
	v_add_co_ci_u32_e32 v9, vcc_lo, v15, v9, vcc_lo
	flat_load_b64 v[8:9], v[8:9]
	s_waitcnt vmcnt(0) lgkmcnt(0)
	v_mul_f64 v[8:9], v[8:9], s[10:11]
	s_branch .LBB166_190
.LBB166_189:
	v_mov_b32_e32 v8, 0
	v_mov_b32_e32 v9, 0
.LBB166_190:
	s_delay_alu instid0(VALU_DEP_1) | instskip(SKIP_2) | instid1(VALU_DEP_1)
	v_cvt_f32_f64_e32 v8, v[8:9]
	v_max_f32_e32 v9, v110, v110
	v_lshlrev_b64 v[14:15], 3, v[6:7]
	v_add_co_u32 v12, vcc_lo, v12, v14
	s_delay_alu instid0(VALU_DEP_2) | instskip(NEXT) | instid1(VALU_DEP_4)
	v_add_co_ci_u32_e32 v13, vcc_lo, v13, v15, vcc_lo
	v_min_f32_e32 v8, v8, v9
	s_delay_alu instid0(VALU_DEP_1)
	v_cvt_f64_f32_e32 v[8:9], v8
	global_store_b64 v[12:13], v[8:9], off
.LBB166_191:
	s_or_b32 exec_lo, exec_lo, s4
	v_add_nc_u32_e32 v14, 56, v11
	s_delay_alu instid0(VALU_DEP_1) | instskip(SKIP_2) | instid1(VALU_DEP_3)
	v_mad_i64_i32 v[8:9], null, v14, s6, 0
	v_mad_i64_i32 v[12:13], null, v14, s5, 0
	v_cmp_gt_i32_e64 s4, s17, v14
	v_lshlrev_b64 v[8:9], 3, v[8:9]
	s_delay_alu instid0(VALU_DEP_2) | instskip(NEXT) | instid1(VALU_DEP_3)
	s_and_b32 s14, s0, s4
	v_lshlrev_b64 v[12:13], 3, v[12:13]
	s_delay_alu instid0(VALU_DEP_2) | instskip(NEXT) | instid1(VALU_DEP_3)
	v_add_co_u32 v14, vcc_lo, s8, v8
	v_add_co_ci_u32_e32 v15, vcc_lo, s9, v9, vcc_lo
	s_delay_alu instid0(VALU_DEP_3) | instskip(NEXT) | instid1(VALU_DEP_4)
	v_add_co_u32 v12, vcc_lo, s7, v12
	v_add_co_ci_u32_e32 v13, vcc_lo, s12, v13, vcc_lo
	s_and_saveexec_b32 s13, s14
	s_cbranch_execnz .LBB166_195
; %bb.192:
	s_or_b32 exec_lo, exec_lo, s13
	s_and_b32 s14, s1, s4
	s_delay_alu instid0(SALU_CYCLE_1)
	s_and_saveexec_b32 s13, s14
	s_cbranch_execnz .LBB166_199
.LBB166_193:
	s_or_b32 exec_lo, exec_lo, s13
	s_and_b32 s14, s2, s4
	s_delay_alu instid0(SALU_CYCLE_1)
	s_and_saveexec_b32 s13, s14
	s_cbranch_execnz .LBB166_203
.LBB166_194:
	s_or_b32 exec_lo, exec_lo, s13
	s_and_b32 s13, s3, s4
	s_delay_alu instid0(SALU_CYCLE_1)
	s_and_saveexec_b32 s4, s13
	s_cbranch_execnz .LBB166_207
	s_branch .LBB166_211
.LBB166_195:
	v_cmp_ne_u32_e32 vcc_lo, 1, v10
	s_cbranch_vccnz .LBB166_197
; %bb.196:
	v_lshlrev_b64 v[8:9], 3, v[0:1]
	s_delay_alu instid0(VALU_DEP_1) | instskip(NEXT) | instid1(VALU_DEP_2)
	v_add_co_u32 v8, vcc_lo, v14, v8
	v_add_co_ci_u32_e32 v9, vcc_lo, v15, v9, vcc_lo
	flat_load_b64 v[8:9], v[8:9]
	s_waitcnt vmcnt(0) lgkmcnt(0)
	v_mul_f64 v[8:9], v[8:9], s[10:11]
	s_branch .LBB166_198
.LBB166_197:
	v_mov_b32_e32 v8, 0
	v_mov_b32_e32 v9, 0
.LBB166_198:
	s_delay_alu instid0(VALU_DEP_1) | instskip(SKIP_2) | instid1(VALU_DEP_1)
	v_cvt_f32_f64_e32 v8, v[8:9]
	v_max_f32_e32 v9, v109, v109
	v_lshlrev_b64 v[16:17], 3, v[0:1]
	v_add_co_u32 v16, vcc_lo, v12, v16
	s_delay_alu instid0(VALU_DEP_2) | instskip(NEXT) | instid1(VALU_DEP_4)
	v_add_co_ci_u32_e32 v17, vcc_lo, v13, v17, vcc_lo
	v_min_f32_e32 v8, v8, v9
	s_delay_alu instid0(VALU_DEP_1) | instskip(SKIP_3) | instid1(SALU_CYCLE_1)
	v_cvt_f64_f32_e32 v[8:9], v8
	global_store_b64 v[16:17], v[8:9], off
	s_or_b32 exec_lo, exec_lo, s13
	s_and_b32 s14, s1, s4
	s_and_saveexec_b32 s13, s14
	s_cbranch_execz .LBB166_193
.LBB166_199:
	v_cmp_ne_u32_e32 vcc_lo, 1, v10
	s_cbranch_vccnz .LBB166_201
; %bb.200:
	v_lshlrev_b64 v[8:9], 3, v[2:3]
	s_delay_alu instid0(VALU_DEP_1) | instskip(NEXT) | instid1(VALU_DEP_2)
	v_add_co_u32 v8, vcc_lo, v14, v8
	v_add_co_ci_u32_e32 v9, vcc_lo, v15, v9, vcc_lo
	flat_load_b64 v[8:9], v[8:9]
	s_waitcnt vmcnt(0) lgkmcnt(0)
	v_mul_f64 v[8:9], v[8:9], s[10:11]
	s_branch .LBB166_202
.LBB166_201:
	v_mov_b32_e32 v8, 0
	v_mov_b32_e32 v9, 0
.LBB166_202:
	s_delay_alu instid0(VALU_DEP_1) | instskip(SKIP_2) | instid1(VALU_DEP_1)
	v_cvt_f32_f64_e32 v8, v[8:9]
	v_max_f32_e32 v9, v108, v108
	v_lshlrev_b64 v[16:17], 3, v[2:3]
	v_add_co_u32 v16, vcc_lo, v12, v16
	s_delay_alu instid0(VALU_DEP_2) | instskip(NEXT) | instid1(VALU_DEP_4)
	v_add_co_ci_u32_e32 v17, vcc_lo, v13, v17, vcc_lo
	v_min_f32_e32 v8, v8, v9
	s_delay_alu instid0(VALU_DEP_1) | instskip(SKIP_3) | instid1(SALU_CYCLE_1)
	v_cvt_f64_f32_e32 v[8:9], v8
	global_store_b64 v[16:17], v[8:9], off
	s_or_b32 exec_lo, exec_lo, s13
	s_and_b32 s14, s2, s4
	s_and_saveexec_b32 s13, s14
	s_cbranch_execz .LBB166_194
.LBB166_203:
	v_cmp_ne_u32_e32 vcc_lo, 1, v10
	s_cbranch_vccnz .LBB166_205
; %bb.204:
	v_lshlrev_b64 v[8:9], 3, v[4:5]
	s_delay_alu instid0(VALU_DEP_1) | instskip(NEXT) | instid1(VALU_DEP_2)
	v_add_co_u32 v8, vcc_lo, v14, v8
	v_add_co_ci_u32_e32 v9, vcc_lo, v15, v9, vcc_lo
	flat_load_b64 v[8:9], v[8:9]
	s_waitcnt vmcnt(0) lgkmcnt(0)
	v_mul_f64 v[8:9], v[8:9], s[10:11]
	s_branch .LBB166_206
.LBB166_205:
	v_mov_b32_e32 v8, 0
	v_mov_b32_e32 v9, 0
.LBB166_206:
	s_delay_alu instid0(VALU_DEP_1) | instskip(SKIP_2) | instid1(VALU_DEP_1)
	v_cvt_f32_f64_e32 v8, v[8:9]
	v_max_f32_e32 v9, v107, v107
	v_lshlrev_b64 v[16:17], 3, v[4:5]
	v_add_co_u32 v16, vcc_lo, v12, v16
	s_delay_alu instid0(VALU_DEP_2) | instskip(NEXT) | instid1(VALU_DEP_4)
	v_add_co_ci_u32_e32 v17, vcc_lo, v13, v17, vcc_lo
	v_min_f32_e32 v8, v8, v9
	s_delay_alu instid0(VALU_DEP_1) | instskip(SKIP_3) | instid1(SALU_CYCLE_1)
	v_cvt_f64_f32_e32 v[8:9], v8
	global_store_b64 v[16:17], v[8:9], off
	s_or_b32 exec_lo, exec_lo, s13
	s_and_b32 s13, s3, s4
	s_and_saveexec_b32 s4, s13
	s_cbranch_execz .LBB166_211
.LBB166_207:
	v_cmp_ne_u32_e32 vcc_lo, 1, v10
	s_cbranch_vccnz .LBB166_209
; %bb.208:
	v_lshlrev_b64 v[8:9], 3, v[6:7]
	s_delay_alu instid0(VALU_DEP_1) | instskip(NEXT) | instid1(VALU_DEP_2)
	v_add_co_u32 v8, vcc_lo, v14, v8
	v_add_co_ci_u32_e32 v9, vcc_lo, v15, v9, vcc_lo
	flat_load_b64 v[8:9], v[8:9]
	s_waitcnt vmcnt(0) lgkmcnt(0)
	v_mul_f64 v[8:9], v[8:9], s[10:11]
	s_branch .LBB166_210
.LBB166_209:
	v_mov_b32_e32 v8, 0
	v_mov_b32_e32 v9, 0
.LBB166_210:
	s_delay_alu instid0(VALU_DEP_1) | instskip(SKIP_2) | instid1(VALU_DEP_1)
	v_cvt_f32_f64_e32 v8, v[8:9]
	v_max_f32_e32 v9, v106, v106
	v_lshlrev_b64 v[14:15], 3, v[6:7]
	v_add_co_u32 v12, vcc_lo, v12, v14
	s_delay_alu instid0(VALU_DEP_2) | instskip(NEXT) | instid1(VALU_DEP_4)
	v_add_co_ci_u32_e32 v13, vcc_lo, v13, v15, vcc_lo
	v_min_f32_e32 v8, v8, v9
	s_delay_alu instid0(VALU_DEP_1)
	v_cvt_f64_f32_e32 v[8:9], v8
	global_store_b64 v[12:13], v[8:9], off
.LBB166_211:
	s_or_b32 exec_lo, exec_lo, s4
	v_add_nc_u32_e32 v14, 64, v11
	s_delay_alu instid0(VALU_DEP_1) | instskip(SKIP_2) | instid1(VALU_DEP_3)
	v_mad_i64_i32 v[8:9], null, v14, s6, 0
	v_mad_i64_i32 v[12:13], null, v14, s5, 0
	v_cmp_gt_i32_e64 s4, s17, v14
	v_lshlrev_b64 v[8:9], 3, v[8:9]
	s_delay_alu instid0(VALU_DEP_2) | instskip(NEXT) | instid1(VALU_DEP_3)
	s_and_b32 s14, s0, s4
	v_lshlrev_b64 v[12:13], 3, v[12:13]
	s_delay_alu instid0(VALU_DEP_2) | instskip(NEXT) | instid1(VALU_DEP_3)
	v_add_co_u32 v14, vcc_lo, s8, v8
	v_add_co_ci_u32_e32 v15, vcc_lo, s9, v9, vcc_lo
	s_delay_alu instid0(VALU_DEP_3) | instskip(NEXT) | instid1(VALU_DEP_4)
	v_add_co_u32 v12, vcc_lo, s7, v12
	v_add_co_ci_u32_e32 v13, vcc_lo, s12, v13, vcc_lo
	s_and_saveexec_b32 s13, s14
	s_cbranch_execnz .LBB166_215
; %bb.212:
	s_or_b32 exec_lo, exec_lo, s13
	s_and_b32 s14, s1, s4
	s_delay_alu instid0(SALU_CYCLE_1)
	s_and_saveexec_b32 s13, s14
	s_cbranch_execnz .LBB166_219
.LBB166_213:
	s_or_b32 exec_lo, exec_lo, s13
	s_and_b32 s14, s2, s4
	s_delay_alu instid0(SALU_CYCLE_1)
	s_and_saveexec_b32 s13, s14
	s_cbranch_execnz .LBB166_223
.LBB166_214:
	s_or_b32 exec_lo, exec_lo, s13
	s_and_b32 s13, s3, s4
	s_delay_alu instid0(SALU_CYCLE_1)
	s_and_saveexec_b32 s4, s13
	s_cbranch_execnz .LBB166_227
	s_branch .LBB166_231
.LBB166_215:
	v_cmp_ne_u32_e32 vcc_lo, 1, v10
	s_cbranch_vccnz .LBB166_217
; %bb.216:
	v_lshlrev_b64 v[8:9], 3, v[0:1]
	s_delay_alu instid0(VALU_DEP_1) | instskip(NEXT) | instid1(VALU_DEP_2)
	v_add_co_u32 v8, vcc_lo, v14, v8
	v_add_co_ci_u32_e32 v9, vcc_lo, v15, v9, vcc_lo
	flat_load_b64 v[8:9], v[8:9]
	s_waitcnt vmcnt(0) lgkmcnt(0)
	v_mul_f64 v[8:9], v[8:9], s[10:11]
	s_branch .LBB166_218
.LBB166_217:
	v_mov_b32_e32 v8, 0
	v_mov_b32_e32 v9, 0
.LBB166_218:
	s_delay_alu instid0(VALU_DEP_1) | instskip(SKIP_2) | instid1(VALU_DEP_1)
	v_cvt_f32_f64_e32 v8, v[8:9]
	v_max_f32_e32 v9, v105, v105
	v_lshlrev_b64 v[16:17], 3, v[0:1]
	v_add_co_u32 v16, vcc_lo, v12, v16
	s_delay_alu instid0(VALU_DEP_2) | instskip(NEXT) | instid1(VALU_DEP_4)
	v_add_co_ci_u32_e32 v17, vcc_lo, v13, v17, vcc_lo
	v_min_f32_e32 v8, v8, v9
	s_delay_alu instid0(VALU_DEP_1) | instskip(SKIP_3) | instid1(SALU_CYCLE_1)
	v_cvt_f64_f32_e32 v[8:9], v8
	global_store_b64 v[16:17], v[8:9], off
	s_or_b32 exec_lo, exec_lo, s13
	s_and_b32 s14, s1, s4
	s_and_saveexec_b32 s13, s14
	s_cbranch_execz .LBB166_213
.LBB166_219:
	v_cmp_ne_u32_e32 vcc_lo, 1, v10
	s_cbranch_vccnz .LBB166_221
; %bb.220:
	v_lshlrev_b64 v[8:9], 3, v[2:3]
	s_delay_alu instid0(VALU_DEP_1) | instskip(NEXT) | instid1(VALU_DEP_2)
	v_add_co_u32 v8, vcc_lo, v14, v8
	v_add_co_ci_u32_e32 v9, vcc_lo, v15, v9, vcc_lo
	flat_load_b64 v[8:9], v[8:9]
	s_waitcnt vmcnt(0) lgkmcnt(0)
	v_mul_f64 v[8:9], v[8:9], s[10:11]
	s_branch .LBB166_222
.LBB166_221:
	v_mov_b32_e32 v8, 0
	v_mov_b32_e32 v9, 0
.LBB166_222:
	s_delay_alu instid0(VALU_DEP_1) | instskip(SKIP_2) | instid1(VALU_DEP_1)
	v_cvt_f32_f64_e32 v8, v[8:9]
	v_max_f32_e32 v9, v104, v104
	v_lshlrev_b64 v[16:17], 3, v[2:3]
	v_add_co_u32 v16, vcc_lo, v12, v16
	s_delay_alu instid0(VALU_DEP_2) | instskip(NEXT) | instid1(VALU_DEP_4)
	v_add_co_ci_u32_e32 v17, vcc_lo, v13, v17, vcc_lo
	v_min_f32_e32 v8, v8, v9
	s_delay_alu instid0(VALU_DEP_1) | instskip(SKIP_3) | instid1(SALU_CYCLE_1)
	v_cvt_f64_f32_e32 v[8:9], v8
	global_store_b64 v[16:17], v[8:9], off
	s_or_b32 exec_lo, exec_lo, s13
	s_and_b32 s14, s2, s4
	s_and_saveexec_b32 s13, s14
	s_cbranch_execz .LBB166_214
.LBB166_223:
	v_cmp_ne_u32_e32 vcc_lo, 1, v10
	s_cbranch_vccnz .LBB166_225
; %bb.224:
	v_lshlrev_b64 v[8:9], 3, v[4:5]
	s_delay_alu instid0(VALU_DEP_1) | instskip(NEXT) | instid1(VALU_DEP_2)
	v_add_co_u32 v8, vcc_lo, v14, v8
	v_add_co_ci_u32_e32 v9, vcc_lo, v15, v9, vcc_lo
	flat_load_b64 v[8:9], v[8:9]
	s_waitcnt vmcnt(0) lgkmcnt(0)
	v_mul_f64 v[8:9], v[8:9], s[10:11]
	s_branch .LBB166_226
.LBB166_225:
	v_mov_b32_e32 v8, 0
	v_mov_b32_e32 v9, 0
.LBB166_226:
	s_delay_alu instid0(VALU_DEP_1) | instskip(SKIP_2) | instid1(VALU_DEP_1)
	v_cvt_f32_f64_e32 v8, v[8:9]
	v_max_f32_e32 v9, v103, v103
	v_lshlrev_b64 v[16:17], 3, v[4:5]
	v_add_co_u32 v16, vcc_lo, v12, v16
	s_delay_alu instid0(VALU_DEP_2) | instskip(NEXT) | instid1(VALU_DEP_4)
	v_add_co_ci_u32_e32 v17, vcc_lo, v13, v17, vcc_lo
	v_min_f32_e32 v8, v8, v9
	s_delay_alu instid0(VALU_DEP_1) | instskip(SKIP_3) | instid1(SALU_CYCLE_1)
	v_cvt_f64_f32_e32 v[8:9], v8
	global_store_b64 v[16:17], v[8:9], off
	s_or_b32 exec_lo, exec_lo, s13
	s_and_b32 s13, s3, s4
	s_and_saveexec_b32 s4, s13
	s_cbranch_execz .LBB166_231
.LBB166_227:
	v_cmp_ne_u32_e32 vcc_lo, 1, v10
	s_cbranch_vccnz .LBB166_229
; %bb.228:
	v_lshlrev_b64 v[8:9], 3, v[6:7]
	s_delay_alu instid0(VALU_DEP_1) | instskip(NEXT) | instid1(VALU_DEP_2)
	v_add_co_u32 v8, vcc_lo, v14, v8
	v_add_co_ci_u32_e32 v9, vcc_lo, v15, v9, vcc_lo
	flat_load_b64 v[8:9], v[8:9]
	s_waitcnt vmcnt(0) lgkmcnt(0)
	v_mul_f64 v[8:9], v[8:9], s[10:11]
	s_branch .LBB166_230
.LBB166_229:
	v_mov_b32_e32 v8, 0
	v_mov_b32_e32 v9, 0
.LBB166_230:
	s_delay_alu instid0(VALU_DEP_1) | instskip(SKIP_2) | instid1(VALU_DEP_1)
	v_cvt_f32_f64_e32 v8, v[8:9]
	v_max_f32_e32 v9, v102, v102
	v_lshlrev_b64 v[14:15], 3, v[6:7]
	v_add_co_u32 v12, vcc_lo, v12, v14
	s_delay_alu instid0(VALU_DEP_2) | instskip(NEXT) | instid1(VALU_DEP_4)
	v_add_co_ci_u32_e32 v13, vcc_lo, v13, v15, vcc_lo
	v_min_f32_e32 v8, v8, v9
	s_delay_alu instid0(VALU_DEP_1)
	v_cvt_f64_f32_e32 v[8:9], v8
	global_store_b64 v[12:13], v[8:9], off
.LBB166_231:
	s_or_b32 exec_lo, exec_lo, s4
	v_add_nc_u32_e32 v14, 0x48, v11
	s_delay_alu instid0(VALU_DEP_1) | instskip(SKIP_2) | instid1(VALU_DEP_3)
	v_mad_i64_i32 v[8:9], null, v14, s6, 0
	v_mad_i64_i32 v[12:13], null, v14, s5, 0
	v_cmp_gt_i32_e64 s4, s17, v14
	v_lshlrev_b64 v[8:9], 3, v[8:9]
	s_delay_alu instid0(VALU_DEP_2) | instskip(NEXT) | instid1(VALU_DEP_3)
	s_and_b32 s14, s0, s4
	v_lshlrev_b64 v[12:13], 3, v[12:13]
	s_delay_alu instid0(VALU_DEP_2) | instskip(NEXT) | instid1(VALU_DEP_3)
	v_add_co_u32 v14, vcc_lo, s8, v8
	v_add_co_ci_u32_e32 v15, vcc_lo, s9, v9, vcc_lo
	s_delay_alu instid0(VALU_DEP_3) | instskip(NEXT) | instid1(VALU_DEP_4)
	v_add_co_u32 v12, vcc_lo, s7, v12
	v_add_co_ci_u32_e32 v13, vcc_lo, s12, v13, vcc_lo
	s_and_saveexec_b32 s13, s14
	s_cbranch_execnz .LBB166_235
; %bb.232:
	s_or_b32 exec_lo, exec_lo, s13
	s_and_b32 s14, s1, s4
	s_delay_alu instid0(SALU_CYCLE_1)
	s_and_saveexec_b32 s13, s14
	s_cbranch_execnz .LBB166_239
.LBB166_233:
	s_or_b32 exec_lo, exec_lo, s13
	s_and_b32 s14, s2, s4
	s_delay_alu instid0(SALU_CYCLE_1)
	s_and_saveexec_b32 s13, s14
	s_cbranch_execnz .LBB166_243
.LBB166_234:
	s_or_b32 exec_lo, exec_lo, s13
	s_and_b32 s13, s3, s4
	s_delay_alu instid0(SALU_CYCLE_1)
	s_and_saveexec_b32 s4, s13
	s_cbranch_execnz .LBB166_247
	s_branch .LBB166_251
.LBB166_235:
	v_cmp_ne_u32_e32 vcc_lo, 1, v10
	s_cbranch_vccnz .LBB166_237
; %bb.236:
	v_lshlrev_b64 v[8:9], 3, v[0:1]
	s_delay_alu instid0(VALU_DEP_1) | instskip(NEXT) | instid1(VALU_DEP_2)
	v_add_co_u32 v8, vcc_lo, v14, v8
	v_add_co_ci_u32_e32 v9, vcc_lo, v15, v9, vcc_lo
	flat_load_b64 v[8:9], v[8:9]
	s_waitcnt vmcnt(0) lgkmcnt(0)
	v_mul_f64 v[8:9], v[8:9], s[10:11]
	s_branch .LBB166_238
.LBB166_237:
	v_mov_b32_e32 v8, 0
	v_mov_b32_e32 v9, 0
.LBB166_238:
	s_delay_alu instid0(VALU_DEP_1) | instskip(SKIP_2) | instid1(VALU_DEP_1)
	v_cvt_f32_f64_e32 v8, v[8:9]
	v_max_f32_e32 v9, v101, v101
	v_lshlrev_b64 v[16:17], 3, v[0:1]
	v_add_co_u32 v16, vcc_lo, v12, v16
	s_delay_alu instid0(VALU_DEP_2) | instskip(NEXT) | instid1(VALU_DEP_4)
	v_add_co_ci_u32_e32 v17, vcc_lo, v13, v17, vcc_lo
	v_min_f32_e32 v8, v8, v9
	s_delay_alu instid0(VALU_DEP_1) | instskip(SKIP_3) | instid1(SALU_CYCLE_1)
	v_cvt_f64_f32_e32 v[8:9], v8
	global_store_b64 v[16:17], v[8:9], off
	s_or_b32 exec_lo, exec_lo, s13
	s_and_b32 s14, s1, s4
	s_and_saveexec_b32 s13, s14
	s_cbranch_execz .LBB166_233
.LBB166_239:
	v_cmp_ne_u32_e32 vcc_lo, 1, v10
	s_cbranch_vccnz .LBB166_241
; %bb.240:
	v_lshlrev_b64 v[8:9], 3, v[2:3]
	s_delay_alu instid0(VALU_DEP_1) | instskip(NEXT) | instid1(VALU_DEP_2)
	v_add_co_u32 v8, vcc_lo, v14, v8
	v_add_co_ci_u32_e32 v9, vcc_lo, v15, v9, vcc_lo
	flat_load_b64 v[8:9], v[8:9]
	s_waitcnt vmcnt(0) lgkmcnt(0)
	v_mul_f64 v[8:9], v[8:9], s[10:11]
	s_branch .LBB166_242
.LBB166_241:
	v_mov_b32_e32 v8, 0
	v_mov_b32_e32 v9, 0
.LBB166_242:
	s_delay_alu instid0(VALU_DEP_1) | instskip(SKIP_2) | instid1(VALU_DEP_1)
	v_cvt_f32_f64_e32 v8, v[8:9]
	v_max_f32_e32 v9, v100, v100
	v_lshlrev_b64 v[16:17], 3, v[2:3]
	v_add_co_u32 v16, vcc_lo, v12, v16
	s_delay_alu instid0(VALU_DEP_2) | instskip(NEXT) | instid1(VALU_DEP_4)
	v_add_co_ci_u32_e32 v17, vcc_lo, v13, v17, vcc_lo
	v_min_f32_e32 v8, v8, v9
	s_delay_alu instid0(VALU_DEP_1) | instskip(SKIP_3) | instid1(SALU_CYCLE_1)
	v_cvt_f64_f32_e32 v[8:9], v8
	global_store_b64 v[16:17], v[8:9], off
	s_or_b32 exec_lo, exec_lo, s13
	s_and_b32 s14, s2, s4
	s_and_saveexec_b32 s13, s14
	s_cbranch_execz .LBB166_234
.LBB166_243:
	v_cmp_ne_u32_e32 vcc_lo, 1, v10
	s_cbranch_vccnz .LBB166_245
; %bb.244:
	v_lshlrev_b64 v[8:9], 3, v[4:5]
	s_delay_alu instid0(VALU_DEP_1) | instskip(NEXT) | instid1(VALU_DEP_2)
	v_add_co_u32 v8, vcc_lo, v14, v8
	v_add_co_ci_u32_e32 v9, vcc_lo, v15, v9, vcc_lo
	flat_load_b64 v[8:9], v[8:9]
	s_waitcnt vmcnt(0) lgkmcnt(0)
	v_mul_f64 v[8:9], v[8:9], s[10:11]
	s_branch .LBB166_246
.LBB166_245:
	v_mov_b32_e32 v8, 0
	v_mov_b32_e32 v9, 0
.LBB166_246:
	s_delay_alu instid0(VALU_DEP_1) | instskip(SKIP_2) | instid1(VALU_DEP_1)
	v_cvt_f32_f64_e32 v8, v[8:9]
	v_max_f32_e32 v9, v99, v99
	v_lshlrev_b64 v[16:17], 3, v[4:5]
	v_add_co_u32 v16, vcc_lo, v12, v16
	s_delay_alu instid0(VALU_DEP_2) | instskip(NEXT) | instid1(VALU_DEP_4)
	v_add_co_ci_u32_e32 v17, vcc_lo, v13, v17, vcc_lo
	v_min_f32_e32 v8, v8, v9
	s_delay_alu instid0(VALU_DEP_1) | instskip(SKIP_3) | instid1(SALU_CYCLE_1)
	v_cvt_f64_f32_e32 v[8:9], v8
	global_store_b64 v[16:17], v[8:9], off
	s_or_b32 exec_lo, exec_lo, s13
	s_and_b32 s13, s3, s4
	s_and_saveexec_b32 s4, s13
	s_cbranch_execz .LBB166_251
.LBB166_247:
	v_cmp_ne_u32_e32 vcc_lo, 1, v10
	s_cbranch_vccnz .LBB166_249
; %bb.248:
	v_lshlrev_b64 v[8:9], 3, v[6:7]
	s_delay_alu instid0(VALU_DEP_1) | instskip(NEXT) | instid1(VALU_DEP_2)
	v_add_co_u32 v8, vcc_lo, v14, v8
	v_add_co_ci_u32_e32 v9, vcc_lo, v15, v9, vcc_lo
	flat_load_b64 v[8:9], v[8:9]
	s_waitcnt vmcnt(0) lgkmcnt(0)
	v_mul_f64 v[8:9], v[8:9], s[10:11]
	s_branch .LBB166_250
.LBB166_249:
	v_mov_b32_e32 v8, 0
	v_mov_b32_e32 v9, 0
.LBB166_250:
	s_delay_alu instid0(VALU_DEP_1) | instskip(SKIP_2) | instid1(VALU_DEP_1)
	v_cvt_f32_f64_e32 v8, v[8:9]
	v_max_f32_e32 v9, v98, v98
	v_lshlrev_b64 v[14:15], 3, v[6:7]
	v_add_co_u32 v12, vcc_lo, v12, v14
	s_delay_alu instid0(VALU_DEP_2) | instskip(NEXT) | instid1(VALU_DEP_4)
	v_add_co_ci_u32_e32 v13, vcc_lo, v13, v15, vcc_lo
	v_min_f32_e32 v8, v8, v9
	s_delay_alu instid0(VALU_DEP_1)
	v_cvt_f64_f32_e32 v[8:9], v8
	global_store_b64 v[12:13], v[8:9], off
.LBB166_251:
	s_or_b32 exec_lo, exec_lo, s4
	v_add_nc_u32_e32 v14, 0x50, v11
	s_delay_alu instid0(VALU_DEP_1) | instskip(SKIP_2) | instid1(VALU_DEP_3)
	v_mad_i64_i32 v[8:9], null, v14, s6, 0
	v_mad_i64_i32 v[12:13], null, v14, s5, 0
	v_cmp_gt_i32_e64 s4, s17, v14
	v_lshlrev_b64 v[8:9], 3, v[8:9]
	s_delay_alu instid0(VALU_DEP_2) | instskip(NEXT) | instid1(VALU_DEP_3)
	s_and_b32 s14, s0, s4
	v_lshlrev_b64 v[12:13], 3, v[12:13]
	s_delay_alu instid0(VALU_DEP_2) | instskip(NEXT) | instid1(VALU_DEP_3)
	v_add_co_u32 v14, vcc_lo, s8, v8
	v_add_co_ci_u32_e32 v15, vcc_lo, s9, v9, vcc_lo
	s_delay_alu instid0(VALU_DEP_3) | instskip(NEXT) | instid1(VALU_DEP_4)
	v_add_co_u32 v12, vcc_lo, s7, v12
	v_add_co_ci_u32_e32 v13, vcc_lo, s12, v13, vcc_lo
	s_and_saveexec_b32 s13, s14
	s_cbranch_execnz .LBB166_255
; %bb.252:
	s_or_b32 exec_lo, exec_lo, s13
	s_and_b32 s14, s1, s4
	s_delay_alu instid0(SALU_CYCLE_1)
	s_and_saveexec_b32 s13, s14
	s_cbranch_execnz .LBB166_259
.LBB166_253:
	s_or_b32 exec_lo, exec_lo, s13
	s_and_b32 s14, s2, s4
	s_delay_alu instid0(SALU_CYCLE_1)
	s_and_saveexec_b32 s13, s14
	s_cbranch_execnz .LBB166_263
.LBB166_254:
	s_or_b32 exec_lo, exec_lo, s13
	s_and_b32 s13, s3, s4
	s_delay_alu instid0(SALU_CYCLE_1)
	s_and_saveexec_b32 s4, s13
	s_cbranch_execnz .LBB166_267
	s_branch .LBB166_271
.LBB166_255:
	v_cmp_ne_u32_e32 vcc_lo, 1, v10
	s_cbranch_vccnz .LBB166_257
; %bb.256:
	v_lshlrev_b64 v[8:9], 3, v[0:1]
	s_delay_alu instid0(VALU_DEP_1) | instskip(NEXT) | instid1(VALU_DEP_2)
	v_add_co_u32 v8, vcc_lo, v14, v8
	v_add_co_ci_u32_e32 v9, vcc_lo, v15, v9, vcc_lo
	flat_load_b64 v[8:9], v[8:9]
	s_waitcnt vmcnt(0) lgkmcnt(0)
	v_mul_f64 v[8:9], v[8:9], s[10:11]
	s_branch .LBB166_258
.LBB166_257:
	v_mov_b32_e32 v8, 0
	v_mov_b32_e32 v9, 0
.LBB166_258:
	s_delay_alu instid0(VALU_DEP_1) | instskip(SKIP_2) | instid1(VALU_DEP_1)
	v_cvt_f32_f64_e32 v8, v[8:9]
	v_max_f32_e32 v9, v97, v97
	v_lshlrev_b64 v[16:17], 3, v[0:1]
	v_add_co_u32 v16, vcc_lo, v12, v16
	s_delay_alu instid0(VALU_DEP_2) | instskip(NEXT) | instid1(VALU_DEP_4)
	v_add_co_ci_u32_e32 v17, vcc_lo, v13, v17, vcc_lo
	v_min_f32_e32 v8, v8, v9
	s_delay_alu instid0(VALU_DEP_1) | instskip(SKIP_3) | instid1(SALU_CYCLE_1)
	v_cvt_f64_f32_e32 v[8:9], v8
	global_store_b64 v[16:17], v[8:9], off
	s_or_b32 exec_lo, exec_lo, s13
	s_and_b32 s14, s1, s4
	s_and_saveexec_b32 s13, s14
	s_cbranch_execz .LBB166_253
.LBB166_259:
	v_cmp_ne_u32_e32 vcc_lo, 1, v10
	s_cbranch_vccnz .LBB166_261
; %bb.260:
	v_lshlrev_b64 v[8:9], 3, v[2:3]
	s_delay_alu instid0(VALU_DEP_1) | instskip(NEXT) | instid1(VALU_DEP_2)
	v_add_co_u32 v8, vcc_lo, v14, v8
	v_add_co_ci_u32_e32 v9, vcc_lo, v15, v9, vcc_lo
	flat_load_b64 v[8:9], v[8:9]
	s_waitcnt vmcnt(0) lgkmcnt(0)
	v_mul_f64 v[8:9], v[8:9], s[10:11]
	s_branch .LBB166_262
.LBB166_261:
	v_mov_b32_e32 v8, 0
	v_mov_b32_e32 v9, 0
.LBB166_262:
	s_delay_alu instid0(VALU_DEP_1) | instskip(SKIP_2) | instid1(VALU_DEP_1)
	v_cvt_f32_f64_e32 v8, v[8:9]
	v_max_f32_e32 v9, v96, v96
	v_lshlrev_b64 v[16:17], 3, v[2:3]
	v_add_co_u32 v16, vcc_lo, v12, v16
	s_delay_alu instid0(VALU_DEP_2) | instskip(NEXT) | instid1(VALU_DEP_4)
	v_add_co_ci_u32_e32 v17, vcc_lo, v13, v17, vcc_lo
	v_min_f32_e32 v8, v8, v9
	s_delay_alu instid0(VALU_DEP_1) | instskip(SKIP_3) | instid1(SALU_CYCLE_1)
	v_cvt_f64_f32_e32 v[8:9], v8
	global_store_b64 v[16:17], v[8:9], off
	s_or_b32 exec_lo, exec_lo, s13
	s_and_b32 s14, s2, s4
	s_and_saveexec_b32 s13, s14
	s_cbranch_execz .LBB166_254
.LBB166_263:
	v_cmp_ne_u32_e32 vcc_lo, 1, v10
	s_cbranch_vccnz .LBB166_265
; %bb.264:
	v_lshlrev_b64 v[8:9], 3, v[4:5]
	s_delay_alu instid0(VALU_DEP_1) | instskip(NEXT) | instid1(VALU_DEP_2)
	v_add_co_u32 v8, vcc_lo, v14, v8
	v_add_co_ci_u32_e32 v9, vcc_lo, v15, v9, vcc_lo
	flat_load_b64 v[8:9], v[8:9]
	s_waitcnt vmcnt(0) lgkmcnt(0)
	v_mul_f64 v[8:9], v[8:9], s[10:11]
	s_branch .LBB166_266
.LBB166_265:
	v_mov_b32_e32 v8, 0
	v_mov_b32_e32 v9, 0
.LBB166_266:
	s_delay_alu instid0(VALU_DEP_1) | instskip(SKIP_2) | instid1(VALU_DEP_1)
	v_cvt_f32_f64_e32 v8, v[8:9]
	v_max_f32_e32 v9, v95, v95
	v_lshlrev_b64 v[16:17], 3, v[4:5]
	v_add_co_u32 v16, vcc_lo, v12, v16
	s_delay_alu instid0(VALU_DEP_2) | instskip(NEXT) | instid1(VALU_DEP_4)
	v_add_co_ci_u32_e32 v17, vcc_lo, v13, v17, vcc_lo
	v_min_f32_e32 v8, v8, v9
	s_delay_alu instid0(VALU_DEP_1) | instskip(SKIP_3) | instid1(SALU_CYCLE_1)
	v_cvt_f64_f32_e32 v[8:9], v8
	global_store_b64 v[16:17], v[8:9], off
	s_or_b32 exec_lo, exec_lo, s13
	s_and_b32 s13, s3, s4
	s_and_saveexec_b32 s4, s13
	s_cbranch_execz .LBB166_271
.LBB166_267:
	v_cmp_ne_u32_e32 vcc_lo, 1, v10
	s_cbranch_vccnz .LBB166_269
; %bb.268:
	v_lshlrev_b64 v[8:9], 3, v[6:7]
	s_delay_alu instid0(VALU_DEP_1) | instskip(NEXT) | instid1(VALU_DEP_2)
	v_add_co_u32 v8, vcc_lo, v14, v8
	v_add_co_ci_u32_e32 v9, vcc_lo, v15, v9, vcc_lo
	flat_load_b64 v[8:9], v[8:9]
	s_waitcnt vmcnt(0) lgkmcnt(0)
	v_mul_f64 v[8:9], v[8:9], s[10:11]
	s_branch .LBB166_270
.LBB166_269:
	v_mov_b32_e32 v8, 0
	v_mov_b32_e32 v9, 0
.LBB166_270:
	s_delay_alu instid0(VALU_DEP_1) | instskip(SKIP_2) | instid1(VALU_DEP_1)
	v_cvt_f32_f64_e32 v8, v[8:9]
	v_max_f32_e32 v9, v94, v94
	v_lshlrev_b64 v[14:15], 3, v[6:7]
	v_add_co_u32 v12, vcc_lo, v12, v14
	s_delay_alu instid0(VALU_DEP_2) | instskip(NEXT) | instid1(VALU_DEP_4)
	v_add_co_ci_u32_e32 v13, vcc_lo, v13, v15, vcc_lo
	v_min_f32_e32 v8, v8, v9
	s_delay_alu instid0(VALU_DEP_1)
	v_cvt_f64_f32_e32 v[8:9], v8
	global_store_b64 v[12:13], v[8:9], off
.LBB166_271:
	s_or_b32 exec_lo, exec_lo, s4
	v_add_nc_u32_e32 v14, 0x58, v11
	s_delay_alu instid0(VALU_DEP_1) | instskip(SKIP_2) | instid1(VALU_DEP_3)
	v_mad_i64_i32 v[8:9], null, v14, s6, 0
	v_mad_i64_i32 v[12:13], null, v14, s5, 0
	v_cmp_gt_i32_e64 s4, s17, v14
	v_lshlrev_b64 v[8:9], 3, v[8:9]
	s_delay_alu instid0(VALU_DEP_2) | instskip(NEXT) | instid1(VALU_DEP_3)
	s_and_b32 s14, s0, s4
	v_lshlrev_b64 v[12:13], 3, v[12:13]
	s_delay_alu instid0(VALU_DEP_2) | instskip(NEXT) | instid1(VALU_DEP_3)
	v_add_co_u32 v14, vcc_lo, s8, v8
	v_add_co_ci_u32_e32 v15, vcc_lo, s9, v9, vcc_lo
	s_delay_alu instid0(VALU_DEP_3) | instskip(NEXT) | instid1(VALU_DEP_4)
	v_add_co_u32 v12, vcc_lo, s7, v12
	v_add_co_ci_u32_e32 v13, vcc_lo, s12, v13, vcc_lo
	s_and_saveexec_b32 s13, s14
	s_cbranch_execnz .LBB166_275
; %bb.272:
	s_or_b32 exec_lo, exec_lo, s13
	s_and_b32 s14, s1, s4
	s_delay_alu instid0(SALU_CYCLE_1)
	s_and_saveexec_b32 s13, s14
	s_cbranch_execnz .LBB166_279
.LBB166_273:
	s_or_b32 exec_lo, exec_lo, s13
	s_and_b32 s14, s2, s4
	s_delay_alu instid0(SALU_CYCLE_1)
	s_and_saveexec_b32 s13, s14
	s_cbranch_execnz .LBB166_283
.LBB166_274:
	s_or_b32 exec_lo, exec_lo, s13
	s_and_b32 s13, s3, s4
	s_delay_alu instid0(SALU_CYCLE_1)
	s_and_saveexec_b32 s4, s13
	s_cbranch_execnz .LBB166_287
	s_branch .LBB166_291
.LBB166_275:
	v_cmp_ne_u32_e32 vcc_lo, 1, v10
	s_cbranch_vccnz .LBB166_277
; %bb.276:
	v_lshlrev_b64 v[8:9], 3, v[0:1]
	s_delay_alu instid0(VALU_DEP_1) | instskip(NEXT) | instid1(VALU_DEP_2)
	v_add_co_u32 v8, vcc_lo, v14, v8
	v_add_co_ci_u32_e32 v9, vcc_lo, v15, v9, vcc_lo
	flat_load_b64 v[8:9], v[8:9]
	s_waitcnt vmcnt(0) lgkmcnt(0)
	v_mul_f64 v[8:9], v[8:9], s[10:11]
	s_branch .LBB166_278
.LBB166_277:
	v_mov_b32_e32 v8, 0
	v_mov_b32_e32 v9, 0
.LBB166_278:
	s_delay_alu instid0(VALU_DEP_1) | instskip(SKIP_2) | instid1(VALU_DEP_1)
	v_cvt_f32_f64_e32 v8, v[8:9]
	v_max_f32_e32 v9, v93, v93
	v_lshlrev_b64 v[16:17], 3, v[0:1]
	v_add_co_u32 v16, vcc_lo, v12, v16
	s_delay_alu instid0(VALU_DEP_2) | instskip(NEXT) | instid1(VALU_DEP_4)
	v_add_co_ci_u32_e32 v17, vcc_lo, v13, v17, vcc_lo
	v_min_f32_e32 v8, v8, v9
	s_delay_alu instid0(VALU_DEP_1) | instskip(SKIP_3) | instid1(SALU_CYCLE_1)
	v_cvt_f64_f32_e32 v[8:9], v8
	global_store_b64 v[16:17], v[8:9], off
	s_or_b32 exec_lo, exec_lo, s13
	s_and_b32 s14, s1, s4
	s_and_saveexec_b32 s13, s14
	s_cbranch_execz .LBB166_273
.LBB166_279:
	v_cmp_ne_u32_e32 vcc_lo, 1, v10
	s_cbranch_vccnz .LBB166_281
; %bb.280:
	v_lshlrev_b64 v[8:9], 3, v[2:3]
	s_delay_alu instid0(VALU_DEP_1) | instskip(NEXT) | instid1(VALU_DEP_2)
	v_add_co_u32 v8, vcc_lo, v14, v8
	v_add_co_ci_u32_e32 v9, vcc_lo, v15, v9, vcc_lo
	flat_load_b64 v[8:9], v[8:9]
	s_waitcnt vmcnt(0) lgkmcnt(0)
	v_mul_f64 v[8:9], v[8:9], s[10:11]
	s_branch .LBB166_282
.LBB166_281:
	v_mov_b32_e32 v8, 0
	v_mov_b32_e32 v9, 0
.LBB166_282:
	s_delay_alu instid0(VALU_DEP_1) | instskip(SKIP_2) | instid1(VALU_DEP_1)
	v_cvt_f32_f64_e32 v8, v[8:9]
	v_max_f32_e32 v9, v92, v92
	v_lshlrev_b64 v[16:17], 3, v[2:3]
	v_add_co_u32 v16, vcc_lo, v12, v16
	s_delay_alu instid0(VALU_DEP_2) | instskip(NEXT) | instid1(VALU_DEP_4)
	v_add_co_ci_u32_e32 v17, vcc_lo, v13, v17, vcc_lo
	v_min_f32_e32 v8, v8, v9
	s_delay_alu instid0(VALU_DEP_1) | instskip(SKIP_3) | instid1(SALU_CYCLE_1)
	v_cvt_f64_f32_e32 v[8:9], v8
	global_store_b64 v[16:17], v[8:9], off
	s_or_b32 exec_lo, exec_lo, s13
	s_and_b32 s14, s2, s4
	s_and_saveexec_b32 s13, s14
	s_cbranch_execz .LBB166_274
.LBB166_283:
	v_cmp_ne_u32_e32 vcc_lo, 1, v10
	s_cbranch_vccnz .LBB166_285
; %bb.284:
	v_lshlrev_b64 v[8:9], 3, v[4:5]
	s_delay_alu instid0(VALU_DEP_1) | instskip(NEXT) | instid1(VALU_DEP_2)
	v_add_co_u32 v8, vcc_lo, v14, v8
	v_add_co_ci_u32_e32 v9, vcc_lo, v15, v9, vcc_lo
	flat_load_b64 v[8:9], v[8:9]
	s_waitcnt vmcnt(0) lgkmcnt(0)
	v_mul_f64 v[8:9], v[8:9], s[10:11]
	s_branch .LBB166_286
.LBB166_285:
	v_mov_b32_e32 v8, 0
	v_mov_b32_e32 v9, 0
.LBB166_286:
	s_delay_alu instid0(VALU_DEP_1) | instskip(SKIP_2) | instid1(VALU_DEP_1)
	v_cvt_f32_f64_e32 v8, v[8:9]
	v_max_f32_e32 v9, v91, v91
	v_lshlrev_b64 v[16:17], 3, v[4:5]
	v_add_co_u32 v16, vcc_lo, v12, v16
	s_delay_alu instid0(VALU_DEP_2) | instskip(NEXT) | instid1(VALU_DEP_4)
	v_add_co_ci_u32_e32 v17, vcc_lo, v13, v17, vcc_lo
	v_min_f32_e32 v8, v8, v9
	s_delay_alu instid0(VALU_DEP_1) | instskip(SKIP_3) | instid1(SALU_CYCLE_1)
	v_cvt_f64_f32_e32 v[8:9], v8
	global_store_b64 v[16:17], v[8:9], off
	s_or_b32 exec_lo, exec_lo, s13
	s_and_b32 s13, s3, s4
	s_and_saveexec_b32 s4, s13
	s_cbranch_execz .LBB166_291
.LBB166_287:
	v_cmp_ne_u32_e32 vcc_lo, 1, v10
	s_cbranch_vccnz .LBB166_289
; %bb.288:
	v_lshlrev_b64 v[8:9], 3, v[6:7]
	s_delay_alu instid0(VALU_DEP_1) | instskip(NEXT) | instid1(VALU_DEP_2)
	v_add_co_u32 v8, vcc_lo, v14, v8
	v_add_co_ci_u32_e32 v9, vcc_lo, v15, v9, vcc_lo
	flat_load_b64 v[8:9], v[8:9]
	s_waitcnt vmcnt(0) lgkmcnt(0)
	v_mul_f64 v[8:9], v[8:9], s[10:11]
	s_branch .LBB166_290
.LBB166_289:
	v_mov_b32_e32 v8, 0
	v_mov_b32_e32 v9, 0
.LBB166_290:
	s_delay_alu instid0(VALU_DEP_1) | instskip(SKIP_2) | instid1(VALU_DEP_1)
	v_cvt_f32_f64_e32 v8, v[8:9]
	v_max_f32_e32 v9, v90, v90
	v_lshlrev_b64 v[14:15], 3, v[6:7]
	v_add_co_u32 v12, vcc_lo, v12, v14
	s_delay_alu instid0(VALU_DEP_2) | instskip(NEXT) | instid1(VALU_DEP_4)
	v_add_co_ci_u32_e32 v13, vcc_lo, v13, v15, vcc_lo
	v_min_f32_e32 v8, v8, v9
	s_delay_alu instid0(VALU_DEP_1)
	v_cvt_f64_f32_e32 v[8:9], v8
	global_store_b64 v[12:13], v[8:9], off
.LBB166_291:
	s_or_b32 exec_lo, exec_lo, s4
	v_add_nc_u32_e32 v14, 0x60, v11
	s_delay_alu instid0(VALU_DEP_1) | instskip(SKIP_2) | instid1(VALU_DEP_3)
	v_mad_i64_i32 v[8:9], null, v14, s6, 0
	v_mad_i64_i32 v[12:13], null, v14, s5, 0
	v_cmp_gt_i32_e64 s4, s17, v14
	v_lshlrev_b64 v[8:9], 3, v[8:9]
	s_delay_alu instid0(VALU_DEP_2) | instskip(NEXT) | instid1(VALU_DEP_3)
	s_and_b32 s14, s0, s4
	v_lshlrev_b64 v[12:13], 3, v[12:13]
	s_delay_alu instid0(VALU_DEP_2) | instskip(NEXT) | instid1(VALU_DEP_3)
	v_add_co_u32 v14, vcc_lo, s8, v8
	v_add_co_ci_u32_e32 v15, vcc_lo, s9, v9, vcc_lo
	s_delay_alu instid0(VALU_DEP_3) | instskip(NEXT) | instid1(VALU_DEP_4)
	v_add_co_u32 v12, vcc_lo, s7, v12
	v_add_co_ci_u32_e32 v13, vcc_lo, s12, v13, vcc_lo
	s_and_saveexec_b32 s13, s14
	s_cbranch_execnz .LBB166_295
; %bb.292:
	s_or_b32 exec_lo, exec_lo, s13
	s_and_b32 s14, s1, s4
	s_delay_alu instid0(SALU_CYCLE_1)
	s_and_saveexec_b32 s13, s14
	s_cbranch_execnz .LBB166_299
.LBB166_293:
	s_or_b32 exec_lo, exec_lo, s13
	s_and_b32 s14, s2, s4
	s_delay_alu instid0(SALU_CYCLE_1)
	s_and_saveexec_b32 s13, s14
	s_cbranch_execnz .LBB166_303
.LBB166_294:
	s_or_b32 exec_lo, exec_lo, s13
	s_and_b32 s13, s3, s4
	s_delay_alu instid0(SALU_CYCLE_1)
	s_and_saveexec_b32 s4, s13
	s_cbranch_execnz .LBB166_307
	s_branch .LBB166_311
.LBB166_295:
	v_cmp_ne_u32_e32 vcc_lo, 1, v10
	s_cbranch_vccnz .LBB166_297
; %bb.296:
	v_lshlrev_b64 v[8:9], 3, v[0:1]
	s_delay_alu instid0(VALU_DEP_1) | instskip(NEXT) | instid1(VALU_DEP_2)
	v_add_co_u32 v8, vcc_lo, v14, v8
	v_add_co_ci_u32_e32 v9, vcc_lo, v15, v9, vcc_lo
	flat_load_b64 v[8:9], v[8:9]
	s_waitcnt vmcnt(0) lgkmcnt(0)
	v_mul_f64 v[8:9], v[8:9], s[10:11]
	s_branch .LBB166_298
.LBB166_297:
	v_mov_b32_e32 v8, 0
	v_mov_b32_e32 v9, 0
.LBB166_298:
	s_delay_alu instid0(VALU_DEP_1) | instskip(SKIP_2) | instid1(VALU_DEP_1)
	v_cvt_f32_f64_e32 v8, v[8:9]
	v_max_f32_e32 v9, v89, v89
	v_lshlrev_b64 v[16:17], 3, v[0:1]
	v_add_co_u32 v16, vcc_lo, v12, v16
	s_delay_alu instid0(VALU_DEP_2) | instskip(NEXT) | instid1(VALU_DEP_4)
	v_add_co_ci_u32_e32 v17, vcc_lo, v13, v17, vcc_lo
	v_min_f32_e32 v8, v8, v9
	s_delay_alu instid0(VALU_DEP_1) | instskip(SKIP_3) | instid1(SALU_CYCLE_1)
	v_cvt_f64_f32_e32 v[8:9], v8
	global_store_b64 v[16:17], v[8:9], off
	s_or_b32 exec_lo, exec_lo, s13
	s_and_b32 s14, s1, s4
	s_and_saveexec_b32 s13, s14
	s_cbranch_execz .LBB166_293
.LBB166_299:
	v_cmp_ne_u32_e32 vcc_lo, 1, v10
	s_cbranch_vccnz .LBB166_301
; %bb.300:
	v_lshlrev_b64 v[8:9], 3, v[2:3]
	s_delay_alu instid0(VALU_DEP_1) | instskip(NEXT) | instid1(VALU_DEP_2)
	v_add_co_u32 v8, vcc_lo, v14, v8
	v_add_co_ci_u32_e32 v9, vcc_lo, v15, v9, vcc_lo
	flat_load_b64 v[8:9], v[8:9]
	s_waitcnt vmcnt(0) lgkmcnt(0)
	v_mul_f64 v[8:9], v[8:9], s[10:11]
	s_branch .LBB166_302
.LBB166_301:
	v_mov_b32_e32 v8, 0
	v_mov_b32_e32 v9, 0
.LBB166_302:
	s_delay_alu instid0(VALU_DEP_1) | instskip(SKIP_2) | instid1(VALU_DEP_1)
	v_cvt_f32_f64_e32 v8, v[8:9]
	v_max_f32_e32 v9, v88, v88
	v_lshlrev_b64 v[16:17], 3, v[2:3]
	v_add_co_u32 v16, vcc_lo, v12, v16
	s_delay_alu instid0(VALU_DEP_2) | instskip(NEXT) | instid1(VALU_DEP_4)
	v_add_co_ci_u32_e32 v17, vcc_lo, v13, v17, vcc_lo
	v_min_f32_e32 v8, v8, v9
	s_delay_alu instid0(VALU_DEP_1) | instskip(SKIP_3) | instid1(SALU_CYCLE_1)
	v_cvt_f64_f32_e32 v[8:9], v8
	global_store_b64 v[16:17], v[8:9], off
	s_or_b32 exec_lo, exec_lo, s13
	s_and_b32 s14, s2, s4
	s_and_saveexec_b32 s13, s14
	s_cbranch_execz .LBB166_294
.LBB166_303:
	v_cmp_ne_u32_e32 vcc_lo, 1, v10
	s_cbranch_vccnz .LBB166_305
; %bb.304:
	v_lshlrev_b64 v[8:9], 3, v[4:5]
	s_delay_alu instid0(VALU_DEP_1) | instskip(NEXT) | instid1(VALU_DEP_2)
	v_add_co_u32 v8, vcc_lo, v14, v8
	v_add_co_ci_u32_e32 v9, vcc_lo, v15, v9, vcc_lo
	flat_load_b64 v[8:9], v[8:9]
	s_waitcnt vmcnt(0) lgkmcnt(0)
	v_mul_f64 v[8:9], v[8:9], s[10:11]
	s_branch .LBB166_306
.LBB166_305:
	v_mov_b32_e32 v8, 0
	v_mov_b32_e32 v9, 0
.LBB166_306:
	s_delay_alu instid0(VALU_DEP_1) | instskip(SKIP_2) | instid1(VALU_DEP_1)
	v_cvt_f32_f64_e32 v8, v[8:9]
	v_max_f32_e32 v9, v87, v87
	v_lshlrev_b64 v[16:17], 3, v[4:5]
	v_add_co_u32 v16, vcc_lo, v12, v16
	s_delay_alu instid0(VALU_DEP_2) | instskip(NEXT) | instid1(VALU_DEP_4)
	v_add_co_ci_u32_e32 v17, vcc_lo, v13, v17, vcc_lo
	v_min_f32_e32 v8, v8, v9
	s_delay_alu instid0(VALU_DEP_1) | instskip(SKIP_3) | instid1(SALU_CYCLE_1)
	v_cvt_f64_f32_e32 v[8:9], v8
	global_store_b64 v[16:17], v[8:9], off
	s_or_b32 exec_lo, exec_lo, s13
	s_and_b32 s13, s3, s4
	s_and_saveexec_b32 s4, s13
	s_cbranch_execz .LBB166_311
.LBB166_307:
	v_cmp_ne_u32_e32 vcc_lo, 1, v10
	s_cbranch_vccnz .LBB166_309
; %bb.308:
	v_lshlrev_b64 v[8:9], 3, v[6:7]
	s_delay_alu instid0(VALU_DEP_1) | instskip(NEXT) | instid1(VALU_DEP_2)
	v_add_co_u32 v8, vcc_lo, v14, v8
	v_add_co_ci_u32_e32 v9, vcc_lo, v15, v9, vcc_lo
	flat_load_b64 v[8:9], v[8:9]
	s_waitcnt vmcnt(0) lgkmcnt(0)
	v_mul_f64 v[8:9], v[8:9], s[10:11]
	s_branch .LBB166_310
.LBB166_309:
	v_mov_b32_e32 v8, 0
	v_mov_b32_e32 v9, 0
.LBB166_310:
	s_delay_alu instid0(VALU_DEP_1) | instskip(SKIP_2) | instid1(VALU_DEP_1)
	v_cvt_f32_f64_e32 v8, v[8:9]
	v_max_f32_e32 v9, v86, v86
	v_lshlrev_b64 v[14:15], 3, v[6:7]
	v_add_co_u32 v12, vcc_lo, v12, v14
	s_delay_alu instid0(VALU_DEP_2) | instskip(NEXT) | instid1(VALU_DEP_4)
	v_add_co_ci_u32_e32 v13, vcc_lo, v13, v15, vcc_lo
	v_min_f32_e32 v8, v8, v9
	s_delay_alu instid0(VALU_DEP_1)
	v_cvt_f64_f32_e32 v[8:9], v8
	global_store_b64 v[12:13], v[8:9], off
.LBB166_311:
	s_or_b32 exec_lo, exec_lo, s4
	v_add_nc_u32_e32 v14, 0x68, v11
	s_delay_alu instid0(VALU_DEP_1) | instskip(SKIP_2) | instid1(VALU_DEP_3)
	v_mad_i64_i32 v[8:9], null, v14, s6, 0
	v_mad_i64_i32 v[12:13], null, v14, s5, 0
	v_cmp_gt_i32_e64 s4, s17, v14
	v_lshlrev_b64 v[8:9], 3, v[8:9]
	s_delay_alu instid0(VALU_DEP_2) | instskip(NEXT) | instid1(VALU_DEP_3)
	s_and_b32 s14, s0, s4
	v_lshlrev_b64 v[12:13], 3, v[12:13]
	s_delay_alu instid0(VALU_DEP_2) | instskip(NEXT) | instid1(VALU_DEP_3)
	v_add_co_u32 v14, vcc_lo, s8, v8
	v_add_co_ci_u32_e32 v15, vcc_lo, s9, v9, vcc_lo
	s_delay_alu instid0(VALU_DEP_3) | instskip(NEXT) | instid1(VALU_DEP_4)
	v_add_co_u32 v12, vcc_lo, s7, v12
	v_add_co_ci_u32_e32 v13, vcc_lo, s12, v13, vcc_lo
	s_and_saveexec_b32 s13, s14
	s_cbranch_execnz .LBB166_315
; %bb.312:
	s_or_b32 exec_lo, exec_lo, s13
	s_and_b32 s14, s1, s4
	s_delay_alu instid0(SALU_CYCLE_1)
	s_and_saveexec_b32 s13, s14
	s_cbranch_execnz .LBB166_319
.LBB166_313:
	s_or_b32 exec_lo, exec_lo, s13
	s_and_b32 s14, s2, s4
	s_delay_alu instid0(SALU_CYCLE_1)
	s_and_saveexec_b32 s13, s14
	s_cbranch_execnz .LBB166_323
.LBB166_314:
	s_or_b32 exec_lo, exec_lo, s13
	s_and_b32 s13, s3, s4
	s_delay_alu instid0(SALU_CYCLE_1)
	s_and_saveexec_b32 s4, s13
	s_cbranch_execnz .LBB166_327
	s_branch .LBB166_331
.LBB166_315:
	v_cmp_ne_u32_e32 vcc_lo, 1, v10
	s_cbranch_vccnz .LBB166_317
; %bb.316:
	v_lshlrev_b64 v[8:9], 3, v[0:1]
	s_delay_alu instid0(VALU_DEP_1) | instskip(NEXT) | instid1(VALU_DEP_2)
	v_add_co_u32 v8, vcc_lo, v14, v8
	v_add_co_ci_u32_e32 v9, vcc_lo, v15, v9, vcc_lo
	flat_load_b64 v[8:9], v[8:9]
	s_waitcnt vmcnt(0) lgkmcnt(0)
	v_mul_f64 v[8:9], v[8:9], s[10:11]
	s_branch .LBB166_318
.LBB166_317:
	v_mov_b32_e32 v8, 0
	v_mov_b32_e32 v9, 0
.LBB166_318:
	s_delay_alu instid0(VALU_DEP_1) | instskip(SKIP_2) | instid1(VALU_DEP_1)
	v_cvt_f32_f64_e32 v8, v[8:9]
	v_max_f32_e32 v9, v85, v85
	v_lshlrev_b64 v[16:17], 3, v[0:1]
	v_add_co_u32 v16, vcc_lo, v12, v16
	s_delay_alu instid0(VALU_DEP_2) | instskip(NEXT) | instid1(VALU_DEP_4)
	v_add_co_ci_u32_e32 v17, vcc_lo, v13, v17, vcc_lo
	v_min_f32_e32 v8, v8, v9
	s_delay_alu instid0(VALU_DEP_1) | instskip(SKIP_3) | instid1(SALU_CYCLE_1)
	v_cvt_f64_f32_e32 v[8:9], v8
	global_store_b64 v[16:17], v[8:9], off
	s_or_b32 exec_lo, exec_lo, s13
	s_and_b32 s14, s1, s4
	s_and_saveexec_b32 s13, s14
	s_cbranch_execz .LBB166_313
.LBB166_319:
	v_cmp_ne_u32_e32 vcc_lo, 1, v10
	s_cbranch_vccnz .LBB166_321
; %bb.320:
	v_lshlrev_b64 v[8:9], 3, v[2:3]
	s_delay_alu instid0(VALU_DEP_1) | instskip(NEXT) | instid1(VALU_DEP_2)
	v_add_co_u32 v8, vcc_lo, v14, v8
	v_add_co_ci_u32_e32 v9, vcc_lo, v15, v9, vcc_lo
	flat_load_b64 v[8:9], v[8:9]
	s_waitcnt vmcnt(0) lgkmcnt(0)
	v_mul_f64 v[8:9], v[8:9], s[10:11]
	s_branch .LBB166_322
.LBB166_321:
	v_mov_b32_e32 v8, 0
	v_mov_b32_e32 v9, 0
.LBB166_322:
	s_delay_alu instid0(VALU_DEP_1) | instskip(SKIP_2) | instid1(VALU_DEP_1)
	v_cvt_f32_f64_e32 v8, v[8:9]
	v_max_f32_e32 v9, v84, v84
	v_lshlrev_b64 v[16:17], 3, v[2:3]
	v_add_co_u32 v16, vcc_lo, v12, v16
	s_delay_alu instid0(VALU_DEP_2) | instskip(NEXT) | instid1(VALU_DEP_4)
	v_add_co_ci_u32_e32 v17, vcc_lo, v13, v17, vcc_lo
	v_min_f32_e32 v8, v8, v9
	s_delay_alu instid0(VALU_DEP_1) | instskip(SKIP_3) | instid1(SALU_CYCLE_1)
	v_cvt_f64_f32_e32 v[8:9], v8
	global_store_b64 v[16:17], v[8:9], off
	s_or_b32 exec_lo, exec_lo, s13
	s_and_b32 s14, s2, s4
	s_and_saveexec_b32 s13, s14
	s_cbranch_execz .LBB166_314
.LBB166_323:
	v_cmp_ne_u32_e32 vcc_lo, 1, v10
	s_cbranch_vccnz .LBB166_325
; %bb.324:
	v_lshlrev_b64 v[8:9], 3, v[4:5]
	s_delay_alu instid0(VALU_DEP_1) | instskip(NEXT) | instid1(VALU_DEP_2)
	v_add_co_u32 v8, vcc_lo, v14, v8
	v_add_co_ci_u32_e32 v9, vcc_lo, v15, v9, vcc_lo
	flat_load_b64 v[8:9], v[8:9]
	s_waitcnt vmcnt(0) lgkmcnt(0)
	v_mul_f64 v[8:9], v[8:9], s[10:11]
	s_branch .LBB166_326
.LBB166_325:
	v_mov_b32_e32 v8, 0
	v_mov_b32_e32 v9, 0
.LBB166_326:
	s_delay_alu instid0(VALU_DEP_1) | instskip(SKIP_2) | instid1(VALU_DEP_1)
	v_cvt_f32_f64_e32 v8, v[8:9]
	v_max_f32_e32 v9, v83, v83
	v_lshlrev_b64 v[16:17], 3, v[4:5]
	v_add_co_u32 v16, vcc_lo, v12, v16
	s_delay_alu instid0(VALU_DEP_2) | instskip(NEXT) | instid1(VALU_DEP_4)
	v_add_co_ci_u32_e32 v17, vcc_lo, v13, v17, vcc_lo
	v_min_f32_e32 v8, v8, v9
	s_delay_alu instid0(VALU_DEP_1) | instskip(SKIP_3) | instid1(SALU_CYCLE_1)
	v_cvt_f64_f32_e32 v[8:9], v8
	global_store_b64 v[16:17], v[8:9], off
	s_or_b32 exec_lo, exec_lo, s13
	s_and_b32 s13, s3, s4
	s_and_saveexec_b32 s4, s13
	s_cbranch_execz .LBB166_331
.LBB166_327:
	v_cmp_ne_u32_e32 vcc_lo, 1, v10
	s_cbranch_vccnz .LBB166_329
; %bb.328:
	v_lshlrev_b64 v[8:9], 3, v[6:7]
	s_delay_alu instid0(VALU_DEP_1) | instskip(NEXT) | instid1(VALU_DEP_2)
	v_add_co_u32 v8, vcc_lo, v14, v8
	v_add_co_ci_u32_e32 v9, vcc_lo, v15, v9, vcc_lo
	flat_load_b64 v[8:9], v[8:9]
	s_waitcnt vmcnt(0) lgkmcnt(0)
	v_mul_f64 v[8:9], v[8:9], s[10:11]
	s_branch .LBB166_330
.LBB166_329:
	v_mov_b32_e32 v8, 0
	v_mov_b32_e32 v9, 0
.LBB166_330:
	s_delay_alu instid0(VALU_DEP_1) | instskip(SKIP_2) | instid1(VALU_DEP_1)
	v_cvt_f32_f64_e32 v8, v[8:9]
	v_max_f32_e32 v9, v82, v82
	v_lshlrev_b64 v[14:15], 3, v[6:7]
	v_add_co_u32 v12, vcc_lo, v12, v14
	s_delay_alu instid0(VALU_DEP_2) | instskip(NEXT) | instid1(VALU_DEP_4)
	v_add_co_ci_u32_e32 v13, vcc_lo, v13, v15, vcc_lo
	v_min_f32_e32 v8, v8, v9
	s_delay_alu instid0(VALU_DEP_1)
	v_cvt_f64_f32_e32 v[8:9], v8
	global_store_b64 v[12:13], v[8:9], off
.LBB166_331:
	s_or_b32 exec_lo, exec_lo, s4
	v_add_nc_u32_e32 v14, 0x70, v11
	s_delay_alu instid0(VALU_DEP_1) | instskip(SKIP_2) | instid1(VALU_DEP_3)
	v_mad_i64_i32 v[8:9], null, v14, s6, 0
	v_mad_i64_i32 v[12:13], null, v14, s5, 0
	v_cmp_gt_i32_e64 s4, s17, v14
	v_lshlrev_b64 v[8:9], 3, v[8:9]
	s_delay_alu instid0(VALU_DEP_2) | instskip(NEXT) | instid1(VALU_DEP_3)
	s_and_b32 s14, s0, s4
	v_lshlrev_b64 v[14:15], 3, v[12:13]
	s_delay_alu instid0(VALU_DEP_2) | instskip(NEXT) | instid1(VALU_DEP_3)
	v_add_co_u32 v12, vcc_lo, s8, v8
	v_add_co_ci_u32_e32 v13, vcc_lo, s9, v9, vcc_lo
	s_delay_alu instid0(VALU_DEP_3) | instskip(NEXT) | instid1(VALU_DEP_4)
	v_add_co_u32 v8, vcc_lo, s7, v14
	v_add_co_ci_u32_e32 v9, vcc_lo, s12, v15, vcc_lo
	s_and_saveexec_b32 s13, s14
	s_cbranch_execnz .LBB166_335
; %bb.332:
	s_or_b32 exec_lo, exec_lo, s13
	s_and_b32 s14, s1, s4
	s_delay_alu instid0(SALU_CYCLE_1)
	s_and_saveexec_b32 s13, s14
	s_cbranch_execnz .LBB166_339
.LBB166_333:
	s_or_b32 exec_lo, exec_lo, s13
	s_and_b32 s14, s2, s4
	s_delay_alu instid0(SALU_CYCLE_1)
	s_and_saveexec_b32 s13, s14
	s_cbranch_execnz .LBB166_343
.LBB166_334:
	s_or_b32 exec_lo, exec_lo, s13
	s_and_b32 s13, s3, s4
	s_delay_alu instid0(SALU_CYCLE_1)
	s_and_saveexec_b32 s4, s13
	s_cbranch_execnz .LBB166_347
	s_branch .LBB166_351
.LBB166_335:
	v_cmp_ne_u32_e32 vcc_lo, 1, v10
	s_cbranch_vccnz .LBB166_337
; %bb.336:
	v_lshlrev_b64 v[14:15], 3, v[0:1]
	s_delay_alu instid0(VALU_DEP_1) | instskip(NEXT) | instid1(VALU_DEP_2)
	v_add_co_u32 v14, vcc_lo, v12, v14
	v_add_co_ci_u32_e32 v15, vcc_lo, v13, v15, vcc_lo
	flat_load_b64 v[14:15], v[14:15]
	s_waitcnt vmcnt(0) lgkmcnt(0)
	v_mul_f64 v[14:15], v[14:15], s[10:11]
	s_delay_alu instid0(VALU_DEP_1)
	v_cvt_f32_f64_e32 v14, v[14:15]
	s_branch .LBB166_338
.LBB166_337:
	v_mov_b32_e32 v14, 0
.LBB166_338:
	s_delay_alu instid0(VALU_DEP_1) | instskip(SKIP_1) | instid1(VALU_DEP_2)
	v_dual_max_f32 v15, v81, v81 :: v_dual_max_f32 v14, v14, v14
	v_lshlrev_b64 v[16:17], 3, v[0:1]
	v_min_f32_e32 v14, v14, v15
	s_delay_alu instid0(VALU_DEP_2) | instskip(NEXT) | instid1(VALU_DEP_3)
	v_add_co_u32 v16, vcc_lo, v8, v16
	v_add_co_ci_u32_e32 v17, vcc_lo, v9, v17, vcc_lo
	s_delay_alu instid0(VALU_DEP_3) | instskip(SKIP_3) | instid1(SALU_CYCLE_1)
	v_cvt_f64_f32_e32 v[14:15], v14
	global_store_b64 v[16:17], v[14:15], off
	s_or_b32 exec_lo, exec_lo, s13
	s_and_b32 s14, s1, s4
	s_and_saveexec_b32 s13, s14
	s_cbranch_execz .LBB166_333
.LBB166_339:
	v_cmp_ne_u32_e32 vcc_lo, 1, v10
	s_cbranch_vccnz .LBB166_341
; %bb.340:
	v_lshlrev_b64 v[14:15], 3, v[2:3]
	s_delay_alu instid0(VALU_DEP_1) | instskip(NEXT) | instid1(VALU_DEP_2)
	v_add_co_u32 v14, vcc_lo, v12, v14
	v_add_co_ci_u32_e32 v15, vcc_lo, v13, v15, vcc_lo
	flat_load_b64 v[14:15], v[14:15]
	s_waitcnt vmcnt(0) lgkmcnt(0)
	v_mul_f64 v[14:15], v[14:15], s[10:11]
	s_delay_alu instid0(VALU_DEP_1)
	v_cvt_f32_f64_e32 v14, v[14:15]
	s_branch .LBB166_342
.LBB166_341:
	v_mov_b32_e32 v14, 0
.LBB166_342:
	s_delay_alu instid0(VALU_DEP_1) | instskip(SKIP_1) | instid1(VALU_DEP_2)
	v_dual_max_f32 v15, v80, v80 :: v_dual_max_f32 v14, v14, v14
	v_lshlrev_b64 v[16:17], 3, v[2:3]
	v_min_f32_e32 v14, v14, v15
	s_delay_alu instid0(VALU_DEP_2) | instskip(NEXT) | instid1(VALU_DEP_3)
	v_add_co_u32 v16, vcc_lo, v8, v16
	v_add_co_ci_u32_e32 v17, vcc_lo, v9, v17, vcc_lo
	s_delay_alu instid0(VALU_DEP_3) | instskip(SKIP_3) | instid1(SALU_CYCLE_1)
	v_cvt_f64_f32_e32 v[14:15], v14
	global_store_b64 v[16:17], v[14:15], off
	s_or_b32 exec_lo, exec_lo, s13
	s_and_b32 s14, s2, s4
	s_and_saveexec_b32 s13, s14
	s_cbranch_execz .LBB166_334
.LBB166_343:
	v_cmp_ne_u32_e32 vcc_lo, 1, v10
	s_cbranch_vccnz .LBB166_345
; %bb.344:
	v_lshlrev_b64 v[14:15], 3, v[4:5]
	s_delay_alu instid0(VALU_DEP_1) | instskip(NEXT) | instid1(VALU_DEP_2)
	v_add_co_u32 v14, vcc_lo, v12, v14
	v_add_co_ci_u32_e32 v15, vcc_lo, v13, v15, vcc_lo
	flat_load_b64 v[14:15], v[14:15]
	s_waitcnt vmcnt(0) lgkmcnt(0)
	v_mul_f64 v[14:15], v[14:15], s[10:11]
	s_delay_alu instid0(VALU_DEP_1)
	v_cvt_f32_f64_e32 v14, v[14:15]
	s_branch .LBB166_346
.LBB166_345:
	v_mov_b32_e32 v14, 0
.LBB166_346:
	s_delay_alu instid0(VALU_DEP_1) | instskip(SKIP_1) | instid1(VALU_DEP_2)
	v_dual_max_f32 v15, v79, v79 :: v_dual_max_f32 v14, v14, v14
	v_lshlrev_b64 v[16:17], 3, v[4:5]
	v_min_f32_e32 v14, v14, v15
	s_delay_alu instid0(VALU_DEP_2) | instskip(NEXT) | instid1(VALU_DEP_3)
	v_add_co_u32 v16, vcc_lo, v8, v16
	v_add_co_ci_u32_e32 v17, vcc_lo, v9, v17, vcc_lo
	s_delay_alu instid0(VALU_DEP_3) | instskip(SKIP_3) | instid1(SALU_CYCLE_1)
	v_cvt_f64_f32_e32 v[14:15], v14
	global_store_b64 v[16:17], v[14:15], off
	s_or_b32 exec_lo, exec_lo, s13
	s_and_b32 s13, s3, s4
	s_and_saveexec_b32 s4, s13
	s_cbranch_execz .LBB166_351
.LBB166_347:
	v_cmp_ne_u32_e32 vcc_lo, 1, v10
	s_cbranch_vccnz .LBB166_349
; %bb.348:
	v_lshlrev_b64 v[14:15], 3, v[6:7]
	s_delay_alu instid0(VALU_DEP_1) | instskip(NEXT) | instid1(VALU_DEP_2)
	v_add_co_u32 v12, vcc_lo, v12, v14
	v_add_co_ci_u32_e32 v13, vcc_lo, v13, v15, vcc_lo
	flat_load_b64 v[12:13], v[12:13]
	s_waitcnt vmcnt(0) lgkmcnt(0)
	v_mul_f64 v[12:13], v[12:13], s[10:11]
	s_delay_alu instid0(VALU_DEP_1)
	v_cvt_f32_f64_e32 v12, v[12:13]
	s_branch .LBB166_350
.LBB166_349:
	v_mov_b32_e32 v12, 0
.LBB166_350:
	s_delay_alu instid0(VALU_DEP_1) | instskip(SKIP_1) | instid1(VALU_DEP_2)
	v_dual_max_f32 v13, v78, v78 :: v_dual_max_f32 v12, v12, v12
	v_lshlrev_b64 v[14:15], 3, v[6:7]
	v_min_f32_e32 v12, v12, v13
	s_delay_alu instid0(VALU_DEP_2) | instskip(NEXT) | instid1(VALU_DEP_3)
	v_add_co_u32 v8, vcc_lo, v8, v14
	v_add_co_ci_u32_e32 v9, vcc_lo, v9, v15, vcc_lo
	s_delay_alu instid0(VALU_DEP_3)
	v_cvt_f64_f32_e32 v[12:13], v12
	global_store_b64 v[8:9], v[12:13], off
.LBB166_351:
	s_or_b32 exec_lo, exec_lo, s4
	v_add_nc_u32_e32 v13, 0x78, v11
	s_delay_alu instid0(VALU_DEP_1) | instskip(SKIP_2) | instid1(VALU_DEP_3)
	v_mad_i64_i32 v[8:9], null, v13, s6, 0
	v_mad_i64_i32 v[11:12], null, v13, s5, 0
	v_cmp_gt_i32_e64 s4, s17, v13
	v_lshlrev_b64 v[8:9], 3, v[8:9]
	s_delay_alu instid0(VALU_DEP_2) | instskip(NEXT) | instid1(VALU_DEP_3)
	s_and_b32 s5, s0, s4
	v_lshlrev_b64 v[13:14], 3, v[11:12]
	s_delay_alu instid0(VALU_DEP_2) | instskip(NEXT) | instid1(VALU_DEP_3)
	v_add_co_u32 v11, vcc_lo, s8, v8
	v_add_co_ci_u32_e32 v12, vcc_lo, s9, v9, vcc_lo
	s_delay_alu instid0(VALU_DEP_3) | instskip(NEXT) | instid1(VALU_DEP_4)
	v_add_co_u32 v8, vcc_lo, s7, v13
	v_add_co_ci_u32_e32 v9, vcc_lo, s12, v14, vcc_lo
	s_and_saveexec_b32 s0, s5
	s_cbranch_execnz .LBB166_356
; %bb.352:
	s_or_b32 exec_lo, exec_lo, s0
	s_and_b32 s1, s1, s4
	s_delay_alu instid0(SALU_CYCLE_1)
	s_and_saveexec_b32 s0, s1
	s_cbranch_execnz .LBB166_360
.LBB166_353:
	s_or_b32 exec_lo, exec_lo, s0
	s_and_b32 s1, s2, s4
	s_delay_alu instid0(SALU_CYCLE_1)
	s_and_saveexec_b32 s0, s1
	s_cbranch_execnz .LBB166_364
.LBB166_354:
	s_or_b32 exec_lo, exec_lo, s0
	s_and_b32 s0, s3, s4
	s_delay_alu instid0(SALU_CYCLE_1)
	s_and_saveexec_b32 s1, s0
	s_cbranch_execnz .LBB166_368
.LBB166_355:
	s_nop 0
	s_sendmsg sendmsg(MSG_DEALLOC_VGPRS)
	s_endpgm
.LBB166_356:
	v_cmp_ne_u32_e32 vcc_lo, 1, v10
	v_lshlrev_b64 v[0:1], 3, v[0:1]
	s_cbranch_vccnz .LBB166_358
; %bb.357:
	s_delay_alu instid0(VALU_DEP_1) | instskip(NEXT) | instid1(VALU_DEP_2)
	v_add_co_u32 v13, vcc_lo, v11, v0
	v_add_co_ci_u32_e32 v14, vcc_lo, v12, v1, vcc_lo
	flat_load_b64 v[13:14], v[13:14]
	s_waitcnt vmcnt(0) lgkmcnt(0)
	v_mul_f64 v[13:14], v[13:14], s[10:11]
	s_delay_alu instid0(VALU_DEP_1)
	v_cvt_f32_f64_e32 v13, v[13:14]
	s_branch .LBB166_359
.LBB166_358:
	v_mov_b32_e32 v13, 0
.LBB166_359:
	v_max_f32_e32 v14, v77, v77
	s_delay_alu instid0(VALU_DEP_2) | instskip(NEXT) | instid1(VALU_DEP_4)
	v_max_f32_e32 v13, v13, v13
	v_add_co_u32 v0, vcc_lo, v8, v0
	v_add_co_ci_u32_e32 v1, vcc_lo, v9, v1, vcc_lo
	s_delay_alu instid0(VALU_DEP_3) | instskip(NEXT) | instid1(VALU_DEP_1)
	v_min_f32_e32 v13, v13, v14
	v_cvt_f64_f32_e32 v[13:14], v13
	global_store_b64 v[0:1], v[13:14], off
	s_or_b32 exec_lo, exec_lo, s0
	s_and_b32 s1, s1, s4
	s_delay_alu instid0(SALU_CYCLE_1)
	s_and_saveexec_b32 s0, s1
	s_cbranch_execz .LBB166_353
.LBB166_360:
	v_cmp_ne_u32_e32 vcc_lo, 1, v10
	v_lshlrev_b64 v[0:1], 3, v[2:3]
	s_cbranch_vccnz .LBB166_362
; %bb.361:
	s_delay_alu instid0(VALU_DEP_1) | instskip(NEXT) | instid1(VALU_DEP_2)
	v_add_co_u32 v2, vcc_lo, v11, v0
	v_add_co_ci_u32_e32 v3, vcc_lo, v12, v1, vcc_lo
	flat_load_b64 v[2:3], v[2:3]
	s_waitcnt vmcnt(0) lgkmcnt(0)
	v_mul_f64 v[2:3], v[2:3], s[10:11]
	s_delay_alu instid0(VALU_DEP_1)
	v_cvt_f32_f64_e32 v2, v[2:3]
	s_branch .LBB166_363
.LBB166_362:
	v_mov_b32_e32 v2, 0
.LBB166_363:
	s_delay_alu instid0(VALU_DEP_1) | instskip(NEXT) | instid1(VALU_DEP_3)
	v_dual_max_f32 v3, v76, v76 :: v_dual_max_f32 v2, v2, v2
	v_add_co_u32 v0, vcc_lo, v8, v0
	s_delay_alu instid0(VALU_DEP_4) | instskip(NEXT) | instid1(VALU_DEP_3)
	v_add_co_ci_u32_e32 v1, vcc_lo, v9, v1, vcc_lo
	v_min_f32_e32 v2, v2, v3
	s_delay_alu instid0(VALU_DEP_1) | instskip(SKIP_3) | instid1(SALU_CYCLE_1)
	v_cvt_f64_f32_e32 v[2:3], v2
	global_store_b64 v[0:1], v[2:3], off
	s_or_b32 exec_lo, exec_lo, s0
	s_and_b32 s1, s2, s4
	s_and_saveexec_b32 s0, s1
	s_cbranch_execz .LBB166_354
.LBB166_364:
	v_cmp_ne_u32_e32 vcc_lo, 1, v10
	v_lshlrev_b64 v[0:1], 3, v[4:5]
	s_cbranch_vccnz .LBB166_366
; %bb.365:
	s_delay_alu instid0(VALU_DEP_1) | instskip(NEXT) | instid1(VALU_DEP_2)
	v_add_co_u32 v2, vcc_lo, v11, v0
	v_add_co_ci_u32_e32 v3, vcc_lo, v12, v1, vcc_lo
	flat_load_b64 v[2:3], v[2:3]
	s_waitcnt vmcnt(0) lgkmcnt(0)
	v_mul_f64 v[2:3], v[2:3], s[10:11]
	s_delay_alu instid0(VALU_DEP_1)
	v_cvt_f32_f64_e32 v2, v[2:3]
	s_branch .LBB166_367
.LBB166_366:
	v_mov_b32_e32 v2, 0
.LBB166_367:
	s_delay_alu instid0(VALU_DEP_1) | instskip(NEXT) | instid1(VALU_DEP_3)
	v_dual_max_f32 v3, v75, v75 :: v_dual_max_f32 v2, v2, v2
	v_add_co_u32 v0, vcc_lo, v8, v0
	s_delay_alu instid0(VALU_DEP_4) | instskip(NEXT) | instid1(VALU_DEP_3)
	v_add_co_ci_u32_e32 v1, vcc_lo, v9, v1, vcc_lo
	v_min_f32_e32 v2, v2, v3
	s_delay_alu instid0(VALU_DEP_1) | instskip(SKIP_3) | instid1(SALU_CYCLE_1)
	v_cvt_f64_f32_e32 v[2:3], v2
	global_store_b64 v[0:1], v[2:3], off
	s_or_b32 exec_lo, exec_lo, s0
	s_and_b32 s0, s3, s4
	s_and_saveexec_b32 s1, s0
	s_cbranch_execz .LBB166_355
.LBB166_368:
	v_cmp_ne_u32_e32 vcc_lo, 1, v10
	v_lshlrev_b64 v[0:1], 3, v[6:7]
	s_cbranch_vccnz .LBB166_370
; %bb.369:
	s_delay_alu instid0(VALU_DEP_1) | instskip(NEXT) | instid1(VALU_DEP_2)
	v_add_co_u32 v2, vcc_lo, v11, v0
	v_add_co_ci_u32_e32 v3, vcc_lo, v12, v1, vcc_lo
	flat_load_b64 v[2:3], v[2:3]
	s_waitcnt vmcnt(0) lgkmcnt(0)
	v_mul_f64 v[2:3], v[2:3], s[10:11]
	s_delay_alu instid0(VALU_DEP_1)
	v_cvt_f32_f64_e32 v2, v[2:3]
	s_branch .LBB166_371
.LBB166_370:
	v_mov_b32_e32 v2, 0
.LBB166_371:
	v_max_f32_e32 v3, v74, v74
	s_delay_alu instid0(VALU_DEP_2) | instskip(NEXT) | instid1(VALU_DEP_4)
	v_max_f32_e32 v2, v2, v2
	v_add_co_u32 v0, vcc_lo, v8, v0
	v_add_co_ci_u32_e32 v1, vcc_lo, v9, v1, vcc_lo
	s_delay_alu instid0(VALU_DEP_3) | instskip(NEXT) | instid1(VALU_DEP_1)
	v_min_f32_e32 v2, v2, v3
	v_cvt_f64_f32_e32 v[2:3], v2
	global_store_b64 v[0:1], v[2:3], off
	s_nop 0
	s_sendmsg sendmsg(MSG_DEALLOC_VGPRS)
	s_endpgm
	.section	.rodata,"a",@progbits
	.p2align	6, 0x0
	.amdhsa_kernel _ZN12_GLOBAL__N_120geam_min_plus_kernelId15HIP_vector_typeIdLj2EEdLi32ELi8ELi128ELi128ELi4ELi4ELi64ELi4ELi64ELc84ELc78ELb1ELb1ELb1EdKddEEviiiT16_PT17_ilS6_ilS4_S6_ilPT18_ili26rocblas_geam_ex_operation_
		.amdhsa_group_segment_fixed_size 16384
		.amdhsa_private_segment_fixed_size 0
		.amdhsa_kernarg_size 136
		.amdhsa_user_sgpr_count 14
		.amdhsa_user_sgpr_dispatch_ptr 0
		.amdhsa_user_sgpr_queue_ptr 0
		.amdhsa_user_sgpr_kernarg_segment_ptr 1
		.amdhsa_user_sgpr_dispatch_id 0
		.amdhsa_user_sgpr_private_segment_size 0
		.amdhsa_wavefront_size32 1
		.amdhsa_uses_dynamic_stack 0
		.amdhsa_enable_private_segment 0
		.amdhsa_system_sgpr_workgroup_id_x 1
		.amdhsa_system_sgpr_workgroup_id_y 0
		.amdhsa_system_sgpr_workgroup_id_z 1
		.amdhsa_system_sgpr_workgroup_info 0
		.amdhsa_system_vgpr_workitem_id 1
		.amdhsa_next_free_vgpr 177
		.amdhsa_next_free_sgpr 31
		.amdhsa_reserve_vcc 1
		.amdhsa_float_round_mode_32 0
		.amdhsa_float_round_mode_16_64 0
		.amdhsa_float_denorm_mode_32 3
		.amdhsa_float_denorm_mode_16_64 3
		.amdhsa_dx10_clamp 1
		.amdhsa_ieee_mode 1
		.amdhsa_fp16_overflow 0
		.amdhsa_workgroup_processor_mode 1
		.amdhsa_memory_ordered 1
		.amdhsa_forward_progress 0
		.amdhsa_shared_vgpr_count 0
		.amdhsa_exception_fp_ieee_invalid_op 0
		.amdhsa_exception_fp_denorm_src 0
		.amdhsa_exception_fp_ieee_div_zero 0
		.amdhsa_exception_fp_ieee_overflow 0
		.amdhsa_exception_fp_ieee_underflow 0
		.amdhsa_exception_fp_ieee_inexact 0
		.amdhsa_exception_int_div_zero 0
	.end_amdhsa_kernel
	.section	.text._ZN12_GLOBAL__N_120geam_min_plus_kernelId15HIP_vector_typeIdLj2EEdLi32ELi8ELi128ELi128ELi4ELi4ELi64ELi4ELi64ELc84ELc78ELb1ELb1ELb1EdKddEEviiiT16_PT17_ilS6_ilS4_S6_ilPT18_ili26rocblas_geam_ex_operation_,"axG",@progbits,_ZN12_GLOBAL__N_120geam_min_plus_kernelId15HIP_vector_typeIdLj2EEdLi32ELi8ELi128ELi128ELi4ELi4ELi64ELi4ELi64ELc84ELc78ELb1ELb1ELb1EdKddEEviiiT16_PT17_ilS6_ilS4_S6_ilPT18_ili26rocblas_geam_ex_operation_,comdat
.Lfunc_end166:
	.size	_ZN12_GLOBAL__N_120geam_min_plus_kernelId15HIP_vector_typeIdLj2EEdLi32ELi8ELi128ELi128ELi4ELi4ELi64ELi4ELi64ELc84ELc78ELb1ELb1ELb1EdKddEEviiiT16_PT17_ilS6_ilS4_S6_ilPT18_ili26rocblas_geam_ex_operation_, .Lfunc_end166-_ZN12_GLOBAL__N_120geam_min_plus_kernelId15HIP_vector_typeIdLj2EEdLi32ELi8ELi128ELi128ELi4ELi4ELi64ELi4ELi64ELc84ELc78ELb1ELb1ELb1EdKddEEviiiT16_PT17_ilS6_ilS4_S6_ilPT18_ili26rocblas_geam_ex_operation_
                                        ; -- End function
	.section	.AMDGPU.csdata,"",@progbits
; Kernel info:
; codeLenInByte = 24308
; NumSgprs: 33
; NumVgprs: 177
; ScratchSize: 0
; MemoryBound: 0
; FloatMode: 240
; IeeeMode: 1
; LDSByteSize: 16384 bytes/workgroup (compile time only)
; SGPRBlocks: 4
; VGPRBlocks: 22
; NumSGPRsForWavesPerEU: 33
; NumVGPRsForWavesPerEU: 177
; Occupancy: 8
; WaveLimiterHint : 0
; COMPUTE_PGM_RSRC2:SCRATCH_EN: 0
; COMPUTE_PGM_RSRC2:USER_SGPR: 14
; COMPUTE_PGM_RSRC2:TRAP_HANDLER: 0
; COMPUTE_PGM_RSRC2:TGID_X_EN: 1
; COMPUTE_PGM_RSRC2:TGID_Y_EN: 0
; COMPUTE_PGM_RSRC2:TGID_Z_EN: 1
; COMPUTE_PGM_RSRC2:TIDIG_COMP_CNT: 1
	.section	.text._ZN12_GLOBAL__N_120geam_min_plus_kernelId15HIP_vector_typeIdLj2EEdLi32ELi8ELi128ELi128ELi4ELi4ELi64ELi4ELi64ELc84ELc78ELb0ELb1ELb1EdKddEEviiiT16_PT17_ilS6_ilS4_S6_ilPT18_ili26rocblas_geam_ex_operation_,"axG",@progbits,_ZN12_GLOBAL__N_120geam_min_plus_kernelId15HIP_vector_typeIdLj2EEdLi32ELi8ELi128ELi128ELi4ELi4ELi64ELi4ELi64ELc84ELc78ELb0ELb1ELb1EdKddEEviiiT16_PT17_ilS6_ilS4_S6_ilPT18_ili26rocblas_geam_ex_operation_,comdat
	.globl	_ZN12_GLOBAL__N_120geam_min_plus_kernelId15HIP_vector_typeIdLj2EEdLi32ELi8ELi128ELi128ELi4ELi4ELi64ELi4ELi64ELc84ELc78ELb0ELb1ELb1EdKddEEviiiT16_PT17_ilS6_ilS4_S6_ilPT18_ili26rocblas_geam_ex_operation_ ; -- Begin function _ZN12_GLOBAL__N_120geam_min_plus_kernelId15HIP_vector_typeIdLj2EEdLi32ELi8ELi128ELi128ELi4ELi4ELi64ELi4ELi64ELc84ELc78ELb0ELb1ELb1EdKddEEviiiT16_PT17_ilS6_ilS4_S6_ilPT18_ili26rocblas_geam_ex_operation_
	.p2align	8
	.type	_ZN12_GLOBAL__N_120geam_min_plus_kernelId15HIP_vector_typeIdLj2EEdLi32ELi8ELi128ELi128ELi4ELi4ELi64ELi4ELi64ELc84ELc78ELb0ELb1ELb1EdKddEEviiiT16_PT17_ilS6_ilS4_S6_ilPT18_ili26rocblas_geam_ex_operation_,@function
_ZN12_GLOBAL__N_120geam_min_plus_kernelId15HIP_vector_typeIdLj2EEdLi32ELi8ELi128ELi128ELi4ELi4ELi64ELi4ELi64ELc84ELc78ELb0ELb1ELb1EdKddEEviiiT16_PT17_ilS6_ilS4_S6_ilPT18_ili26rocblas_geam_ex_operation_: ; @_ZN12_GLOBAL__N_120geam_min_plus_kernelId15HIP_vector_typeIdLj2EEdLi32ELi8ELi128ELi128ELi4ELi4ELi64ELi4ELi64ELc84ELc78ELb0ELb1ELb1EdKddEEviiiT16_PT17_ilS6_ilS4_S6_ilPT18_ili26rocblas_geam_ex_operation_
; %bb.0:
	s_clause 0x1
	s_load_b128 s[24:27], s[0:1], 0x10
	s_load_b128 s[4:7], s[0:1], 0x28
	s_mov_b64 s[12:13], 0
	s_waitcnt lgkmcnt(0)
	v_cmp_eq_f64_e64 s16, s[24:25], 0
	s_delay_alu instid0(VALU_DEP_1)
	s_and_b32 vcc_lo, exec_lo, s16
	s_cbranch_vccnz .LBB167_2
; %bb.1:
	s_mul_i32 s2, s15, s5
	s_mul_hi_u32 s3, s15, s4
	s_delay_alu instid0(SALU_CYCLE_1) | instskip(SKIP_1) | instid1(SALU_CYCLE_1)
	s_add_i32 s3, s3, s2
	s_mul_i32 s2, s15, s4
	s_lshl_b64 s[2:3], s[2:3], 3
	s_delay_alu instid0(SALU_CYCLE_1)
	s_add_u32 s12, s26, s2
	s_addc_u32 s13, s27, s3
.LBB167_2:
	s_clause 0x1
	s_load_b128 s[8:11], s[0:1], 0x40
	s_load_b64 s[2:3], s[0:1], 0x50
	s_and_not1_b32 vcc_lo, exec_lo, s16
	s_cbranch_vccnz .LBB167_4
; %bb.3:
	s_mov_b32 s28, 0
	s_mov_b64 s[26:27], 0
	s_cbranch_execz .LBB167_5
	s_branch .LBB167_6
.LBB167_4:
	s_mov_b32 s28, -1
                                        ; implicit-def: $sgpr26_sgpr27
.LBB167_5:
	s_waitcnt lgkmcnt(0)
	s_mul_i32 s4, s15, s9
	s_mul_hi_u32 s5, s15, s8
	s_mov_b32 s28, 0
	s_add_i32 s5, s5, s4
	s_mul_i32 s4, s15, s8
	s_delay_alu instid0(SALU_CYCLE_1) | instskip(NEXT) | instid1(SALU_CYCLE_1)
	s_lshl_b64 s[4:5], s[4:5], 3
	s_add_u32 s26, s6, s4
	s_addc_u32 s27, s7, s5
.LBB167_6:
	s_waitcnt lgkmcnt(0)
	v_cmp_eq_f64_e64 s4, s[10:11], 0
	v_cmp_neq_f64_e64 s7, s[10:11], 0
	s_load_b128 s[20:23], s[0:1], 0x60
	s_mov_b64 s[8:9], 0
	s_delay_alu instid0(VALU_DEP_2)
	s_and_b32 vcc_lo, exec_lo, s4
	s_cbranch_vccnz .LBB167_8
; %bb.7:
	s_waitcnt lgkmcnt(0)
	s_mul_i32 s4, s15, s21
	s_mul_hi_u32 s5, s15, s20
	s_mul_i32 s6, s28, s20
	s_add_i32 s4, s5, s4
	s_delay_alu instid0(SALU_CYCLE_1) | instskip(SKIP_1) | instid1(SALU_CYCLE_1)
	s_add_i32 s5, s4, s6
	s_mul_i32 s4, s15, s20
	s_lshl_b64 s[4:5], s[4:5], 3
	s_delay_alu instid0(SALU_CYCLE_1)
	s_add_u32 s8, s2, s4
	s_addc_u32 s9, s3, s5
.LBB167_8:
	s_clause 0x1
	s_load_b128 s[16:19], s[0:1], 0x0
	s_load_b32 s30, s[0:1], 0x20
	v_and_b32_e32 v128, 0x3ff, v0
	s_waitcnt lgkmcnt(0)
	v_cmp_eq_f64_e64 s20, s[24:25], 0
	v_bfe_u32 v130, v0, 10, 10
	s_delay_alu instid0(VALU_DEP_3) | instskip(SKIP_1) | instid1(VALU_DEP_1)
	v_and_b32_e32 v138, 3, v128
	s_add_i32 s2, s16, -1
	v_cmp_le_i32_e32 vcc_lo, s18, v138
	s_ashr_i32 s3, s2, 31
	s_delay_alu instid0(SALU_CYCLE_1) | instskip(NEXT) | instid1(SALU_CYCLE_1)
	s_lshr_b32 s3, s3, 25
	s_add_i32 s2, s2, s3
	s_delay_alu instid0(SALU_CYCLE_1) | instskip(NEXT) | instid1(SALU_CYCLE_1)
	s_ashr_i32 s2, s2, 7
	s_add_i32 s3, s2, 1
	s_not_b32 s2, s2
	v_cvt_f32_u32_e32 v1, s3
	s_delay_alu instid0(VALU_DEP_1) | instskip(SKIP_2) | instid1(VALU_DEP_1)
	v_rcp_iflag_f32_e32 v1, v1
	s_waitcnt_depctr 0xfff
	v_mul_f32_e32 v1, 0x4f7ffffe, v1
	v_cvt_u32_f32_e32 v1, v1
	s_delay_alu instid0(VALU_DEP_1) | instskip(SKIP_1) | instid1(VALU_DEP_2)
	v_readfirstlane_b32 s4, v1
	v_lshl_add_u32 v1, v130, 5, v128
	s_mul_i32 s2, s2, s4
	s_delay_alu instid0(VALU_DEP_1) | instskip(SKIP_1) | instid1(SALU_CYCLE_1)
	v_lshrrev_b32_e32 v10, 2, v1
	s_mul_hi_u32 s2, s4, s2
	s_add_i32 s4, s4, s2
	s_delay_alu instid0(SALU_CYCLE_1) | instskip(NEXT) | instid1(SALU_CYCLE_1)
	s_mul_hi_u32 s2, s14, s4
	s_mul_i32 s4, s2, s3
	s_add_i32 s5, s2, 1
	s_sub_i32 s4, s14, s4
	s_delay_alu instid0(SALU_CYCLE_1)
	s_sub_i32 s6, s4, s3
	s_cmp_ge_u32 s4, s3
	s_cselect_b32 s2, s5, s2
	s_cselect_b32 s4, s6, s4
	s_add_i32 s5, s2, 1
	s_cmp_ge_u32 s4, s3
	s_cselect_b32 s5, s5, s2
	s_add_i32 s21, s18, -1
	s_mul_i32 s2, s5, s3
	v_min_i32_e32 v0, s21, v138
	s_sub_i32 s2, s14, s2
	s_delay_alu instid0(SALU_CYCLE_1) | instskip(NEXT) | instid1(VALU_DEP_1)
	s_lshl_b32 s14, s2, 7
	v_ashrrev_i32_e32 v1, 31, v0
	v_add_nc_u32_e32 v64, s14, v10
	s_delay_alu instid0(VALU_DEP_2) | instskip(NEXT) | instid1(VALU_DEP_2)
	v_lshlrev_b64 v[4:5], 3, v[0:1]
	v_cmp_le_i32_e64 s2, s16, v64
	s_delay_alu instid0(VALU_DEP_2) | instskip(NEXT) | instid1(VALU_DEP_1)
	v_add_co_u32 v6, s3, s12, v4
	v_add_co_ci_u32_e64 v7, s3, s13, v5, s3
	s_delay_alu instid0(VALU_DEP_3) | instskip(NEXT) | instid1(SALU_CYCLE_1)
	s_or_b32 s3, vcc_lo, s2
	v_cndmask_b32_e64 v1, 0, 0x7fefffff, s3
	v_cndmask_b32_e64 v0, 0, -1, s3
	s_or_b32 s3, s20, s3
	s_delay_alu instid0(SALU_CYCLE_1) | instskip(NEXT) | instid1(SALU_CYCLE_1)
	s_xor_b32 s3, s3, -1
	s_and_saveexec_b32 s4, s3
	s_cbranch_execz .LBB167_10
; %bb.9:
	v_mad_i64_i32 v[0:1], null, v64, s30, 0
	s_delay_alu instid0(VALU_DEP_1) | instskip(NEXT) | instid1(VALU_DEP_1)
	v_lshlrev_b64 v[0:1], 3, v[0:1]
	v_add_co_u32 v0, s3, v6, v0
	s_delay_alu instid0(VALU_DEP_1)
	v_add_co_ci_u32_e64 v1, s3, v7, v1, s3
	flat_load_b64 v[0:1], v[0:1]
	s_waitcnt vmcnt(0) lgkmcnt(0)
	v_mul_f64 v[0:1], v[0:1], s[24:25]
.LBB167_10:
	s_or_b32 exec_lo, exec_lo, s4
	v_add_nc_u32_e32 v65, 64, v64
	s_delay_alu instid0(VALU_DEP_1) | instskip(NEXT) | instid1(VALU_DEP_1)
	v_cmp_le_i32_e64 s3, s16, v65
	s_or_b32 s4, vcc_lo, s3
	s_delay_alu instid0(SALU_CYCLE_1) | instskip(SKIP_2) | instid1(SALU_CYCLE_1)
	v_cndmask_b32_e64 v3, 0, 0x7fefffff, s4
	v_cndmask_b32_e64 v2, 0, -1, s4
	s_or_b32 s4, s20, s4
	s_xor_b32 s4, s4, -1
	s_delay_alu instid0(SALU_CYCLE_1)
	s_and_saveexec_b32 s6, s4
	s_cbranch_execz .LBB167_12
; %bb.11:
	v_mad_i64_i32 v[2:3], null, v65, s30, 0
	s_delay_alu instid0(VALU_DEP_1) | instskip(NEXT) | instid1(VALU_DEP_1)
	v_lshlrev_b64 v[2:3], 3, v[2:3]
	v_add_co_u32 v2, s4, v6, v2
	s_delay_alu instid0(VALU_DEP_1)
	v_add_co_ci_u32_e64 v3, s4, v7, v3, s4
	flat_load_b64 v[2:3], v[2:3]
	s_waitcnt vmcnt(0) lgkmcnt(0)
	v_mul_f64 v[2:3], v[2:3], s[24:25]
.LBB167_12:
	s_or_b32 exec_lo, exec_lo, s6
	s_load_b32 s31, s[0:1], 0x38
	s_lshl_b32 s19, s5, 7
	v_add_co_u32 v8, s5, s26, v4
	v_add_nc_u32_e32 v66, s19, v10
	v_add_co_ci_u32_e64 v9, s5, s27, v5, s5
	s_delay_alu instid0(VALU_DEP_2) | instskip(NEXT) | instid1(VALU_DEP_1)
	v_cmp_le_i32_e64 s4, s17, v66
	s_or_b32 s5, vcc_lo, s4
	s_delay_alu instid0(SALU_CYCLE_1) | instskip(SKIP_2) | instid1(SALU_CYCLE_1)
	v_cndmask_b32_e64 v5, 0, 0x7fefffff, s5
	v_cndmask_b32_e64 v4, 0, -1, s5
	s_or_b32 s5, s20, s5
	s_xor_b32 s5, s5, -1
	s_delay_alu instid0(SALU_CYCLE_1)
	s_and_saveexec_b32 s6, s5
	s_cbranch_execz .LBB167_14
; %bb.13:
	s_waitcnt lgkmcnt(0)
	v_mad_i64_i32 v[4:5], null, v66, s31, 0
	s_delay_alu instid0(VALU_DEP_1) | instskip(NEXT) | instid1(VALU_DEP_1)
	v_lshlrev_b64 v[4:5], 3, v[4:5]
	v_add_co_u32 v4, s5, v8, v4
	s_delay_alu instid0(VALU_DEP_1)
	v_add_co_ci_u32_e64 v5, s5, v9, v5, s5
	flat_load_b64 v[4:5], v[4:5]
	s_waitcnt vmcnt(0) lgkmcnt(0)
	v_mul_f64 v[4:5], v[4:5], s[24:25]
.LBB167_14:
	s_or_b32 exec_lo, exec_lo, s6
	v_add_nc_u32_e32 v67, 64, v66
	s_delay_alu instid0(VALU_DEP_1) | instskip(NEXT) | instid1(VALU_DEP_1)
	v_cmp_le_i32_e64 s5, s17, v67
	s_or_b32 s6, vcc_lo, s5
	s_delay_alu instid0(SALU_CYCLE_1) | instskip(SKIP_2) | instid1(SALU_CYCLE_1)
	v_cndmask_b32_e64 v7, 0, 0x7fefffff, s6
	v_cndmask_b32_e64 v6, 0, -1, s6
	s_or_b32 s6, s20, s6
	s_xor_b32 s29, s6, -1
	s_delay_alu instid0(SALU_CYCLE_1)
	s_and_saveexec_b32 s6, s29
	s_cbranch_execz .LBB167_16
; %bb.15:
	s_waitcnt lgkmcnt(0)
	v_mad_i64_i32 v[6:7], null, v67, s31, 0
	s_delay_alu instid0(VALU_DEP_1) | instskip(NEXT) | instid1(VALU_DEP_1)
	v_lshlrev_b64 v[6:7], 3, v[6:7]
	v_add_co_u32 v6, vcc_lo, v8, v6
	s_delay_alu instid0(VALU_DEP_2)
	v_add_co_ci_u32_e32 v7, vcc_lo, v9, v7, vcc_lo
	flat_load_b64 v[6:7], v[6:7]
	s_waitcnt vmcnt(0) lgkmcnt(0)
	v_mul_f64 v[6:7], v[6:7], s[24:25]
.LBB167_16:
	s_or_b32 exec_lo, exec_lo, s6
	v_or_b32_e32 v11, 4, v138
	s_delay_alu instid0(VALU_DEP_1) | instskip(SKIP_1) | instid1(VALU_DEP_2)
	v_min_i32_e32 v8, s21, v11
	v_cmp_le_i32_e32 vcc_lo, s18, v11
	v_ashrrev_i32_e32 v9, 31, v8
	s_or_b32 s29, vcc_lo, s2
	s_delay_alu instid0(SALU_CYCLE_1) | instskip(SKIP_1) | instid1(VALU_DEP_3)
	v_cndmask_b32_e64 v57, 0, 0x7fefffff, s29
	v_cndmask_b32_e64 v56, 0, -1, s29
	v_lshlrev_b64 v[8:9], 3, v[8:9]
	s_delay_alu instid0(VALU_DEP_1) | instskip(NEXT) | instid1(VALU_DEP_1)
	v_add_co_u32 v11, s6, s12, v8
	v_add_co_ci_u32_e64 v12, s6, s13, v9, s6
	s_or_b32 s6, s20, s29
	s_delay_alu instid0(SALU_CYCLE_1) | instskip(NEXT) | instid1(SALU_CYCLE_1)
	s_xor_b32 s6, s6, -1
	s_and_saveexec_b32 s29, s6
	s_cbranch_execz .LBB167_18
; %bb.17:
	v_mad_i64_i32 v[13:14], null, v64, s30, 0
	s_delay_alu instid0(VALU_DEP_1) | instskip(NEXT) | instid1(VALU_DEP_1)
	v_lshlrev_b64 v[13:14], 3, v[13:14]
	v_add_co_u32 v13, s6, v11, v13
	s_delay_alu instid0(VALU_DEP_1)
	v_add_co_ci_u32_e64 v14, s6, v12, v14, s6
	flat_load_b64 v[13:14], v[13:14]
	s_waitcnt vmcnt(0) lgkmcnt(0)
	v_mul_f64 v[56:57], v[13:14], s[24:25]
.LBB167_18:
	s_or_b32 exec_lo, exec_lo, s29
	s_or_b32 s6, vcc_lo, s3
	s_delay_alu instid0(SALU_CYCLE_1) | instskip(SKIP_2) | instid1(SALU_CYCLE_1)
	v_cndmask_b32_e64 v59, 0, 0x7fefffff, s6
	v_cndmask_b32_e64 v58, 0, -1, s6
	s_or_b32 s6, s20, s6
	s_xor_b32 s6, s6, -1
	s_delay_alu instid0(SALU_CYCLE_1)
	s_and_saveexec_b32 s29, s6
	s_cbranch_execz .LBB167_20
; %bb.19:
	v_mad_i64_i32 v[13:14], null, v65, s30, 0
	s_delay_alu instid0(VALU_DEP_1) | instskip(NEXT) | instid1(VALU_DEP_1)
	v_lshlrev_b64 v[13:14], 3, v[13:14]
	v_add_co_u32 v11, s6, v11, v13
	s_delay_alu instid0(VALU_DEP_1)
	v_add_co_ci_u32_e64 v12, s6, v12, v14, s6
	flat_load_b64 v[11:12], v[11:12]
	s_waitcnt vmcnt(0) lgkmcnt(0)
	v_mul_f64 v[58:59], v[11:12], s[24:25]
.LBB167_20:
	s_or_b32 exec_lo, exec_lo, s29
	v_add_co_u32 v8, s6, s26, v8
	s_delay_alu instid0(VALU_DEP_1) | instskip(SKIP_1) | instid1(SALU_CYCLE_1)
	v_add_co_ci_u32_e64 v9, s6, s27, v9, s6
	s_or_b32 s6, vcc_lo, s4
	v_cndmask_b32_e64 v61, 0, 0x7fefffff, s6
	v_cndmask_b32_e64 v60, 0, -1, s6
	s_or_b32 s6, s20, s6
	s_delay_alu instid0(SALU_CYCLE_1) | instskip(NEXT) | instid1(SALU_CYCLE_1)
	s_xor_b32 s6, s6, -1
	s_and_saveexec_b32 s29, s6
	s_cbranch_execz .LBB167_22
; %bb.21:
	s_waitcnt lgkmcnt(0)
	v_mad_i64_i32 v[11:12], null, v66, s31, 0
	s_delay_alu instid0(VALU_DEP_1) | instskip(NEXT) | instid1(VALU_DEP_1)
	v_lshlrev_b64 v[11:12], 3, v[11:12]
	v_add_co_u32 v11, s6, v8, v11
	s_delay_alu instid0(VALU_DEP_1)
	v_add_co_ci_u32_e64 v12, s6, v9, v12, s6
	flat_load_b64 v[11:12], v[11:12]
	s_waitcnt vmcnt(0) lgkmcnt(0)
	v_mul_f64 v[60:61], v[11:12], s[24:25]
.LBB167_22:
	s_or_b32 exec_lo, exec_lo, s29
	s_or_b32 s6, vcc_lo, s5
	s_delay_alu instid0(SALU_CYCLE_1) | instskip(SKIP_4) | instid1(SALU_CYCLE_1)
	v_cndmask_b32_e64 v63, 0, 0x7fefffff, s6
	v_cndmask_b32_e64 v62, 0, -1, s6
	s_or_b32 s29, s20, s6
	s_mov_b32 s6, -1
	s_xor_b32 s33, s29, -1
	s_and_saveexec_b32 s29, s33
	s_cbranch_execz .LBB167_24
; %bb.23:
	s_waitcnt lgkmcnt(0)
	v_mad_i64_i32 v[11:12], null, v67, s31, 0
	s_delay_alu instid0(VALU_DEP_1) | instskip(NEXT) | instid1(VALU_DEP_1)
	v_lshlrev_b64 v[11:12], 3, v[11:12]
	v_add_co_u32 v8, vcc_lo, v8, v11
	s_delay_alu instid0(VALU_DEP_2)
	v_add_co_ci_u32_e32 v9, vcc_lo, v9, v12, vcc_lo
	flat_load_b64 v[8:9], v[8:9]
	s_waitcnt vmcnt(0) lgkmcnt(0)
	v_mul_f64 v[62:63], v[8:9], s[24:25]
.LBB167_24:
	s_or_b32 exec_lo, exec_lo, s29
	v_dual_mov_b32 v73, 0x7f800000 :: v_dual_lshlrev_b32 v8, 3, v138
	v_dual_mov_b32 v72, 0x7f800000 :: v_dual_mov_b32 v75, 0x7f800000
	v_dual_mov_b32 v74, 0x7f800000 :: v_dual_mov_b32 v77, 0x7f800000
	s_delay_alu instid0(VALU_DEP_3) | instskip(SKIP_2) | instid1(VALU_DEP_3)
	v_lshl_or_b32 v139, v10, 5, v8
	v_dual_mov_b32 v76, 0x7f800000 :: v_dual_mov_b32 v79, 0x7f800000
	v_dual_mov_b32 v78, 0x7f800000 :: v_dual_mov_b32 v81, 0x7f800000
	v_add_nc_u32_e32 v140, 0x2000, v139
	v_dual_mov_b32 v80, 0x7f800000 :: v_dual_mov_b32 v83, 0x7f800000
	v_dual_mov_b32 v82, 0x7f800000 :: v_dual_mov_b32 v85, 0x7f800000
	;; [unrolled: 1-line block ×27, first 2 shown]
	v_mov_b32_e32 v137, 0x7f800000
	s_mov_b32 s29, 0
	ds_store_2addr_stride64_b64 v139, v[0:1], v[2:3] offset1:4
	ds_store_2addr_stride64_b64 v139, v[4:5], v[6:7] offset0:16 offset1:20
	s_waitcnt lgkmcnt(0)
	s_barrier
	buffer_gl0_inv
.LBB167_25:                             ; =>This Inner Loop Header: Depth=1
	s_lshl_b32 s29, s29, 3
	s_and_not1_b32 vcc_lo, exec_lo, s6
	v_lshl_add_u32 v0, v128, 5, s29
	v_lshl_add_u32 v16, v130, 5, s29
	s_mov_b32 s29, 2
	s_mov_b32 s6, 0
	ds_load_b128 v[12:15], v0
	ds_load_b128 v[8:11], v0 offset:1024
	ds_load_b128 v[4:7], v0 offset:2048
	ds_load_b128 v[0:3], v0 offset:3072
	ds_load_b128 v[68:71], v16 offset:8192
	ds_load_b128 v[141:144], v16 offset:8448
	ds_load_b128 v[145:148], v16 offset:8704
	ds_load_b128 v[149:152], v16 offset:8960
	ds_load_b128 v[153:156], v16 offset:9216
	ds_load_b128 v[157:160], v16 offset:9472
	ds_load_b128 v[52:55], v16 offset:9728
	ds_load_b128 v[48:51], v16 offset:9984
	ds_load_b128 v[44:47], v16 offset:10240
	ds_load_b128 v[40:43], v16 offset:10496
	ds_load_b128 v[36:39], v16 offset:10752
	ds_load_b128 v[32:35], v16 offset:11008
	ds_load_b128 v[28:31], v16 offset:11264
	ds_load_b128 v[24:27], v16 offset:11520
	ds_load_b128 v[20:23], v16 offset:11776
	ds_load_b128 v[16:19], v16 offset:12032
	s_waitcnt lgkmcnt(15)
	v_add_f64 v[161:162], v[14:15], v[70:71]
	v_add_f64 v[163:164], v[12:13], v[68:69]
	s_delay_alu instid0(VALU_DEP_2) | instskip(NEXT) | instid1(VALU_DEP_2)
	v_cvt_f32_f64_e32 v161, v[161:162]
	v_cvt_f32_f64_e32 v163, v[163:164]
	s_delay_alu instid0(VALU_DEP_1) | instskip(SKIP_2) | instid1(VALU_DEP_2)
	v_min3_f32 v137, v163, v161, v137
	v_add_f64 v[161:162], v[10:11], v[70:71]
	v_add_f64 v[163:164], v[8:9], v[68:69]
	v_cvt_f32_f64_e32 v161, v[161:162]
	s_delay_alu instid0(VALU_DEP_2) | instskip(NEXT) | instid1(VALU_DEP_1)
	v_cvt_f32_f64_e32 v163, v[163:164]
	v_min3_f32 v136, v163, v161, v136
	v_add_f64 v[161:162], v[6:7], v[70:71]
	v_add_f64 v[163:164], v[4:5], v[68:69]
	;; [unrolled: 1-line block ×4, first 2 shown]
	s_delay_alu instid0(VALU_DEP_4) | instskip(NEXT) | instid1(VALU_DEP_4)
	v_cvt_f32_f64_e32 v161, v[161:162]
	v_cvt_f32_f64_e32 v163, v[163:164]
	s_delay_alu instid0(VALU_DEP_3) | instskip(SKIP_3) | instid1(VALU_DEP_4)
	v_cvt_f32_f64_e32 v68, v[68:69]
	v_cvt_f32_f64_e32 v69, v[70:71]
	s_waitcnt lgkmcnt(14)
	v_add_f64 v[70:71], v[12:13], v[141:142]
	v_min3_f32 v135, v163, v161, v135
	s_delay_alu instid0(VALU_DEP_3) | instskip(SKIP_1) | instid1(VALU_DEP_4)
	v_min3_f32 v134, v68, v69, v134
	v_add_f64 v[68:69], v[14:15], v[143:144]
	v_cvt_f32_f64_e32 v70, v[70:71]
	s_delay_alu instid0(VALU_DEP_2) | instskip(NEXT) | instid1(VALU_DEP_1)
	v_cvt_f32_f64_e32 v68, v[68:69]
	v_min3_f32 v133, v70, v68, v133
	v_add_f64 v[68:69], v[10:11], v[143:144]
	v_add_f64 v[70:71], v[8:9], v[141:142]
	s_delay_alu instid0(VALU_DEP_2) | instskip(NEXT) | instid1(VALU_DEP_2)
	v_cvt_f32_f64_e32 v68, v[68:69]
	v_cvt_f32_f64_e32 v70, v[70:71]
	s_delay_alu instid0(VALU_DEP_1) | instskip(SKIP_2) | instid1(VALU_DEP_2)
	v_min3_f32 v132, v70, v68, v132
	v_add_f64 v[68:69], v[6:7], v[143:144]
	v_add_f64 v[70:71], v[4:5], v[141:142]
	v_cvt_f32_f64_e32 v68, v[68:69]
	s_delay_alu instid0(VALU_DEP_2) | instskip(NEXT) | instid1(VALU_DEP_1)
	v_cvt_f32_f64_e32 v70, v[70:71]
	v_min3_f32 v131, v70, v68, v131
	v_add_f64 v[68:69], v[2:3], v[143:144]
	v_add_f64 v[70:71], v[0:1], v[141:142]
	s_delay_alu instid0(VALU_DEP_2) | instskip(NEXT) | instid1(VALU_DEP_2)
	v_cvt_f32_f64_e32 v68, v[68:69]
	v_cvt_f32_f64_e32 v70, v[70:71]
	s_delay_alu instid0(VALU_DEP_1) | instskip(SKIP_3) | instid1(VALU_DEP_2)
	v_min3_f32 v129, v70, v68, v129
	s_waitcnt lgkmcnt(13)
	v_add_f64 v[68:69], v[14:15], v[147:148]
	v_add_f64 v[70:71], v[12:13], v[145:146]
	v_cvt_f32_f64_e32 v68, v[68:69]
	s_delay_alu instid0(VALU_DEP_2) | instskip(NEXT) | instid1(VALU_DEP_1)
	v_cvt_f32_f64_e32 v70, v[70:71]
	v_min3_f32 v127, v70, v68, v127
	v_add_f64 v[68:69], v[10:11], v[147:148]
	v_add_f64 v[70:71], v[8:9], v[145:146]
	s_delay_alu instid0(VALU_DEP_2) | instskip(NEXT) | instid1(VALU_DEP_2)
	v_cvt_f32_f64_e32 v68, v[68:69]
	v_cvt_f32_f64_e32 v70, v[70:71]
	s_delay_alu instid0(VALU_DEP_1) | instskip(SKIP_2) | instid1(VALU_DEP_2)
	v_min3_f32 v126, v70, v68, v126
	v_add_f64 v[68:69], v[6:7], v[147:148]
	v_add_f64 v[70:71], v[4:5], v[145:146]
	v_cvt_f32_f64_e32 v68, v[68:69]
	s_delay_alu instid0(VALU_DEP_2) | instskip(NEXT) | instid1(VALU_DEP_1)
	v_cvt_f32_f64_e32 v70, v[70:71]
	v_min3_f32 v125, v70, v68, v125
	v_add_f64 v[68:69], v[2:3], v[147:148]
	v_add_f64 v[70:71], v[0:1], v[145:146]
	s_delay_alu instid0(VALU_DEP_2) | instskip(NEXT) | instid1(VALU_DEP_2)
	v_cvt_f32_f64_e32 v68, v[68:69]
	v_cvt_f32_f64_e32 v70, v[70:71]
	s_delay_alu instid0(VALU_DEP_1) | instskip(SKIP_3) | instid1(VALU_DEP_2)
	v_min3_f32 v124, v70, v68, v124
	s_waitcnt lgkmcnt(12)
	v_add_f64 v[68:69], v[14:15], v[151:152]
	v_add_f64 v[70:71], v[12:13], v[149:150]
	v_cvt_f32_f64_e32 v68, v[68:69]
	s_delay_alu instid0(VALU_DEP_2) | instskip(NEXT) | instid1(VALU_DEP_1)
	v_cvt_f32_f64_e32 v70, v[70:71]
	v_min3_f32 v123, v70, v68, v123
	v_add_f64 v[68:69], v[10:11], v[151:152]
	v_add_f64 v[70:71], v[8:9], v[149:150]
	s_delay_alu instid0(VALU_DEP_2) | instskip(NEXT) | instid1(VALU_DEP_2)
	v_cvt_f32_f64_e32 v68, v[68:69]
	v_cvt_f32_f64_e32 v70, v[70:71]
	s_delay_alu instid0(VALU_DEP_1) | instskip(SKIP_2) | instid1(VALU_DEP_2)
	v_min3_f32 v122, v70, v68, v122
	v_add_f64 v[68:69], v[6:7], v[151:152]
	v_add_f64 v[70:71], v[4:5], v[149:150]
	v_cvt_f32_f64_e32 v68, v[68:69]
	s_delay_alu instid0(VALU_DEP_2) | instskip(NEXT) | instid1(VALU_DEP_1)
	v_cvt_f32_f64_e32 v70, v[70:71]
	v_min3_f32 v121, v70, v68, v121
	v_add_f64 v[68:69], v[2:3], v[151:152]
	v_add_f64 v[70:71], v[0:1], v[149:150]
	s_delay_alu instid0(VALU_DEP_2) | instskip(NEXT) | instid1(VALU_DEP_2)
	v_cvt_f32_f64_e32 v68, v[68:69]
	v_cvt_f32_f64_e32 v70, v[70:71]
	s_delay_alu instid0(VALU_DEP_1) | instskip(SKIP_3) | instid1(VALU_DEP_2)
	v_min3_f32 v120, v70, v68, v120
	s_waitcnt lgkmcnt(11)
	v_add_f64 v[68:69], v[14:15], v[155:156]
	v_add_f64 v[70:71], v[12:13], v[153:154]
	v_cvt_f32_f64_e32 v68, v[68:69]
	s_delay_alu instid0(VALU_DEP_2) | instskip(NEXT) | instid1(VALU_DEP_1)
	v_cvt_f32_f64_e32 v70, v[70:71]
	v_min3_f32 v119, v70, v68, v119
	v_add_f64 v[68:69], v[10:11], v[155:156]
	v_add_f64 v[70:71], v[8:9], v[153:154]
	s_delay_alu instid0(VALU_DEP_2) | instskip(NEXT) | instid1(VALU_DEP_2)
	v_cvt_f32_f64_e32 v68, v[68:69]
	v_cvt_f32_f64_e32 v70, v[70:71]
	s_delay_alu instid0(VALU_DEP_1) | instskip(SKIP_2) | instid1(VALU_DEP_2)
	v_min3_f32 v118, v70, v68, v118
	v_add_f64 v[68:69], v[6:7], v[155:156]
	v_add_f64 v[70:71], v[4:5], v[153:154]
	v_cvt_f32_f64_e32 v68, v[68:69]
	s_delay_alu instid0(VALU_DEP_2) | instskip(NEXT) | instid1(VALU_DEP_1)
	v_cvt_f32_f64_e32 v70, v[70:71]
	v_min3_f32 v117, v70, v68, v117
	v_add_f64 v[68:69], v[2:3], v[155:156]
	v_add_f64 v[70:71], v[0:1], v[153:154]
	s_delay_alu instid0(VALU_DEP_2) | instskip(NEXT) | instid1(VALU_DEP_2)
	v_cvt_f32_f64_e32 v68, v[68:69]
	v_cvt_f32_f64_e32 v70, v[70:71]
	s_delay_alu instid0(VALU_DEP_1) | instskip(SKIP_3) | instid1(VALU_DEP_2)
	v_min3_f32 v116, v70, v68, v116
	s_waitcnt lgkmcnt(10)
	v_add_f64 v[68:69], v[14:15], v[159:160]
	v_add_f64 v[70:71], v[12:13], v[157:158]
	v_cvt_f32_f64_e32 v68, v[68:69]
	s_delay_alu instid0(VALU_DEP_2) | instskip(NEXT) | instid1(VALU_DEP_1)
	v_cvt_f32_f64_e32 v70, v[70:71]
	v_min3_f32 v115, v70, v68, v115
	v_add_f64 v[68:69], v[10:11], v[159:160]
	v_add_f64 v[70:71], v[8:9], v[157:158]
	s_delay_alu instid0(VALU_DEP_2) | instskip(NEXT) | instid1(VALU_DEP_2)
	v_cvt_f32_f64_e32 v68, v[68:69]
	v_cvt_f32_f64_e32 v70, v[70:71]
	s_delay_alu instid0(VALU_DEP_1) | instskip(SKIP_2) | instid1(VALU_DEP_2)
	v_min3_f32 v114, v70, v68, v114
	v_add_f64 v[68:69], v[6:7], v[159:160]
	v_add_f64 v[70:71], v[4:5], v[157:158]
	v_cvt_f32_f64_e32 v68, v[68:69]
	s_delay_alu instid0(VALU_DEP_2) | instskip(NEXT) | instid1(VALU_DEP_1)
	v_cvt_f32_f64_e32 v70, v[70:71]
	v_min3_f32 v113, v70, v68, v113
	v_add_f64 v[68:69], v[2:3], v[159:160]
	v_add_f64 v[70:71], v[0:1], v[157:158]
	s_delay_alu instid0(VALU_DEP_2) | instskip(NEXT) | instid1(VALU_DEP_2)
	v_cvt_f32_f64_e32 v68, v[68:69]
	v_cvt_f32_f64_e32 v70, v[70:71]
	s_delay_alu instid0(VALU_DEP_1) | instskip(SKIP_3) | instid1(VALU_DEP_2)
	v_min3_f32 v112, v70, v68, v112
	s_waitcnt lgkmcnt(9)
	v_add_f64 v[68:69], v[14:15], v[54:55]
	v_add_f64 v[70:71], v[12:13], v[52:53]
	v_cvt_f32_f64_e32 v68, v[68:69]
	s_delay_alu instid0(VALU_DEP_2) | instskip(NEXT) | instid1(VALU_DEP_1)
	v_cvt_f32_f64_e32 v70, v[70:71]
	v_min3_f32 v111, v70, v68, v111
	v_add_f64 v[68:69], v[10:11], v[54:55]
	v_add_f64 v[70:71], v[8:9], v[52:53]
	s_delay_alu instid0(VALU_DEP_2) | instskip(NEXT) | instid1(VALU_DEP_2)
	v_cvt_f32_f64_e32 v68, v[68:69]
	v_cvt_f32_f64_e32 v70, v[70:71]
	s_delay_alu instid0(VALU_DEP_1) | instskip(SKIP_4) | instid1(VALU_DEP_4)
	v_min3_f32 v110, v70, v68, v110
	v_add_f64 v[68:69], v[6:7], v[54:55]
	v_add_f64 v[70:71], v[4:5], v[52:53]
	v_add_f64 v[54:55], v[2:3], v[54:55]
	v_add_f64 v[52:53], v[0:1], v[52:53]
	v_cvt_f32_f64_e32 v68, v[68:69]
	s_delay_alu instid0(VALU_DEP_4) | instskip(NEXT) | instid1(VALU_DEP_3)
	v_cvt_f32_f64_e32 v70, v[70:71]
	v_cvt_f32_f64_e32 v52, v[52:53]
	v_cvt_f32_f64_e32 v53, v[54:55]
	s_waitcnt lgkmcnt(8)
	v_add_f64 v[54:55], v[12:13], v[48:49]
	s_delay_alu instid0(VALU_DEP_4) | instskip(NEXT) | instid1(VALU_DEP_3)
	v_min3_f32 v109, v70, v68, v109
	v_min3_f32 v108, v52, v53, v108
	v_add_f64 v[52:53], v[14:15], v[50:51]
	s_delay_alu instid0(VALU_DEP_4) | instskip(NEXT) | instid1(VALU_DEP_2)
	v_cvt_f32_f64_e32 v54, v[54:55]
	v_cvt_f32_f64_e32 v52, v[52:53]
	s_delay_alu instid0(VALU_DEP_1) | instskip(SKIP_2) | instid1(VALU_DEP_2)
	v_min3_f32 v107, v54, v52, v107
	v_add_f64 v[52:53], v[10:11], v[50:51]
	v_add_f64 v[54:55], v[8:9], v[48:49]
	v_cvt_f32_f64_e32 v52, v[52:53]
	s_delay_alu instid0(VALU_DEP_2) | instskip(NEXT) | instid1(VALU_DEP_1)
	v_cvt_f32_f64_e32 v54, v[54:55]
	v_min3_f32 v106, v54, v52, v106
	v_add_f64 v[52:53], v[6:7], v[50:51]
	v_add_f64 v[54:55], v[4:5], v[48:49]
	v_add_f64 v[50:51], v[2:3], v[50:51]
	v_add_f64 v[48:49], v[0:1], v[48:49]
	s_delay_alu instid0(VALU_DEP_4) | instskip(NEXT) | instid1(VALU_DEP_4)
	v_cvt_f32_f64_e32 v52, v[52:53]
	v_cvt_f32_f64_e32 v54, v[54:55]
	s_delay_alu instid0(VALU_DEP_3) | instskip(SKIP_3) | instid1(VALU_DEP_4)
	v_cvt_f32_f64_e32 v48, v[48:49]
	v_cvt_f32_f64_e32 v49, v[50:51]
	s_waitcnt lgkmcnt(7)
	v_add_f64 v[50:51], v[12:13], v[44:45]
	v_min3_f32 v105, v54, v52, v105
	s_delay_alu instid0(VALU_DEP_3) | instskip(SKIP_1) | instid1(VALU_DEP_4)
	v_min3_f32 v104, v48, v49, v104
	v_add_f64 v[48:49], v[14:15], v[46:47]
	v_cvt_f32_f64_e32 v50, v[50:51]
	s_delay_alu instid0(VALU_DEP_2) | instskip(NEXT) | instid1(VALU_DEP_1)
	v_cvt_f32_f64_e32 v48, v[48:49]
	v_min3_f32 v103, v50, v48, v103
	v_add_f64 v[48:49], v[10:11], v[46:47]
	v_add_f64 v[50:51], v[8:9], v[44:45]
	s_delay_alu instid0(VALU_DEP_2) | instskip(NEXT) | instid1(VALU_DEP_2)
	v_cvt_f32_f64_e32 v48, v[48:49]
	v_cvt_f32_f64_e32 v50, v[50:51]
	s_delay_alu instid0(VALU_DEP_1) | instskip(SKIP_4) | instid1(VALU_DEP_4)
	v_min3_f32 v102, v50, v48, v102
	v_add_f64 v[48:49], v[6:7], v[46:47]
	v_add_f64 v[50:51], v[4:5], v[44:45]
	v_add_f64 v[46:47], v[2:3], v[46:47]
	v_add_f64 v[44:45], v[0:1], v[44:45]
	v_cvt_f32_f64_e32 v48, v[48:49]
	s_delay_alu instid0(VALU_DEP_4) | instskip(NEXT) | instid1(VALU_DEP_3)
	v_cvt_f32_f64_e32 v50, v[50:51]
	v_cvt_f32_f64_e32 v44, v[44:45]
	v_cvt_f32_f64_e32 v45, v[46:47]
	s_waitcnt lgkmcnt(6)
	v_add_f64 v[46:47], v[12:13], v[40:41]
	s_delay_alu instid0(VALU_DEP_4) | instskip(NEXT) | instid1(VALU_DEP_3)
	v_min3_f32 v101, v50, v48, v101
	v_min3_f32 v100, v44, v45, v100
	v_add_f64 v[44:45], v[14:15], v[42:43]
	s_delay_alu instid0(VALU_DEP_4) | instskip(NEXT) | instid1(VALU_DEP_2)
	v_cvt_f32_f64_e32 v46, v[46:47]
	v_cvt_f32_f64_e32 v44, v[44:45]
	s_delay_alu instid0(VALU_DEP_1) | instskip(SKIP_2) | instid1(VALU_DEP_2)
	v_min3_f32 v99, v46, v44, v99
	v_add_f64 v[44:45], v[10:11], v[42:43]
	v_add_f64 v[46:47], v[8:9], v[40:41]
	v_cvt_f32_f64_e32 v44, v[44:45]
	s_delay_alu instid0(VALU_DEP_2) | instskip(NEXT) | instid1(VALU_DEP_1)
	v_cvt_f32_f64_e32 v46, v[46:47]
	v_min3_f32 v98, v46, v44, v98
	v_add_f64 v[44:45], v[6:7], v[42:43]
	v_add_f64 v[46:47], v[4:5], v[40:41]
	v_add_f64 v[42:43], v[2:3], v[42:43]
	v_add_f64 v[40:41], v[0:1], v[40:41]
	s_delay_alu instid0(VALU_DEP_4) | instskip(NEXT) | instid1(VALU_DEP_4)
	v_cvt_f32_f64_e32 v44, v[44:45]
	v_cvt_f32_f64_e32 v46, v[46:47]
	s_delay_alu instid0(VALU_DEP_3) | instskip(SKIP_3) | instid1(VALU_DEP_4)
	v_cvt_f32_f64_e32 v40, v[40:41]
	v_cvt_f32_f64_e32 v41, v[42:43]
	s_waitcnt lgkmcnt(5)
	v_add_f64 v[42:43], v[12:13], v[36:37]
	v_min3_f32 v97, v46, v44, v97
	s_delay_alu instid0(VALU_DEP_3) | instskip(SKIP_1) | instid1(VALU_DEP_4)
	v_min3_f32 v96, v40, v41, v96
	v_add_f64 v[40:41], v[14:15], v[38:39]
	v_cvt_f32_f64_e32 v42, v[42:43]
	s_delay_alu instid0(VALU_DEP_2) | instskip(NEXT) | instid1(VALU_DEP_1)
	v_cvt_f32_f64_e32 v40, v[40:41]
	v_min3_f32 v95, v42, v40, v95
	v_add_f64 v[40:41], v[10:11], v[38:39]
	v_add_f64 v[42:43], v[8:9], v[36:37]
	s_delay_alu instid0(VALU_DEP_2) | instskip(NEXT) | instid1(VALU_DEP_2)
	v_cvt_f32_f64_e32 v40, v[40:41]
	v_cvt_f32_f64_e32 v42, v[42:43]
	s_delay_alu instid0(VALU_DEP_1) | instskip(SKIP_4) | instid1(VALU_DEP_4)
	v_min3_f32 v94, v42, v40, v94
	v_add_f64 v[40:41], v[6:7], v[38:39]
	v_add_f64 v[42:43], v[4:5], v[36:37]
	v_add_f64 v[38:39], v[2:3], v[38:39]
	v_add_f64 v[36:37], v[0:1], v[36:37]
	v_cvt_f32_f64_e32 v40, v[40:41]
	s_delay_alu instid0(VALU_DEP_4) | instskip(NEXT) | instid1(VALU_DEP_3)
	v_cvt_f32_f64_e32 v42, v[42:43]
	v_cvt_f32_f64_e32 v36, v[36:37]
	v_cvt_f32_f64_e32 v37, v[38:39]
	s_waitcnt lgkmcnt(4)
	v_add_f64 v[38:39], v[12:13], v[32:33]
	s_delay_alu instid0(VALU_DEP_4) | instskip(NEXT) | instid1(VALU_DEP_3)
	v_min3_f32 v93, v42, v40, v93
	v_min3_f32 v92, v36, v37, v92
	v_add_f64 v[36:37], v[14:15], v[34:35]
	s_delay_alu instid0(VALU_DEP_4) | instskip(NEXT) | instid1(VALU_DEP_2)
	v_cvt_f32_f64_e32 v38, v[38:39]
	v_cvt_f32_f64_e32 v36, v[36:37]
	s_delay_alu instid0(VALU_DEP_1) | instskip(SKIP_2) | instid1(VALU_DEP_2)
	v_min3_f32 v91, v38, v36, v91
	v_add_f64 v[36:37], v[10:11], v[34:35]
	v_add_f64 v[38:39], v[8:9], v[32:33]
	v_cvt_f32_f64_e32 v36, v[36:37]
	s_delay_alu instid0(VALU_DEP_2) | instskip(NEXT) | instid1(VALU_DEP_1)
	v_cvt_f32_f64_e32 v38, v[38:39]
	v_min3_f32 v90, v38, v36, v90
	v_add_f64 v[36:37], v[6:7], v[34:35]
	v_add_f64 v[38:39], v[4:5], v[32:33]
	v_add_f64 v[34:35], v[2:3], v[34:35]
	v_add_f64 v[32:33], v[0:1], v[32:33]
	s_delay_alu instid0(VALU_DEP_4) | instskip(NEXT) | instid1(VALU_DEP_4)
	v_cvt_f32_f64_e32 v36, v[36:37]
	v_cvt_f32_f64_e32 v38, v[38:39]
	s_delay_alu instid0(VALU_DEP_3) | instskip(SKIP_3) | instid1(VALU_DEP_4)
	v_cvt_f32_f64_e32 v32, v[32:33]
	v_cvt_f32_f64_e32 v33, v[34:35]
	s_waitcnt lgkmcnt(3)
	v_add_f64 v[34:35], v[12:13], v[28:29]
	v_min3_f32 v89, v38, v36, v89
	s_delay_alu instid0(VALU_DEP_3) | instskip(SKIP_1) | instid1(VALU_DEP_4)
	v_min3_f32 v88, v32, v33, v88
	v_add_f64 v[32:33], v[14:15], v[30:31]
	v_cvt_f32_f64_e32 v34, v[34:35]
	s_delay_alu instid0(VALU_DEP_2) | instskip(NEXT) | instid1(VALU_DEP_1)
	v_cvt_f32_f64_e32 v32, v[32:33]
	v_min3_f32 v87, v34, v32, v87
	v_add_f64 v[32:33], v[10:11], v[30:31]
	v_add_f64 v[34:35], v[8:9], v[28:29]
	s_delay_alu instid0(VALU_DEP_2) | instskip(NEXT) | instid1(VALU_DEP_2)
	v_cvt_f32_f64_e32 v32, v[32:33]
	v_cvt_f32_f64_e32 v34, v[34:35]
	s_delay_alu instid0(VALU_DEP_1) | instskip(SKIP_4) | instid1(VALU_DEP_4)
	v_min3_f32 v86, v34, v32, v86
	v_add_f64 v[32:33], v[6:7], v[30:31]
	v_add_f64 v[34:35], v[4:5], v[28:29]
	;; [unrolled: 1-line block ×4, first 2 shown]
	v_cvt_f32_f64_e32 v32, v[32:33]
	s_delay_alu instid0(VALU_DEP_4) | instskip(NEXT) | instid1(VALU_DEP_3)
	v_cvt_f32_f64_e32 v34, v[34:35]
	v_cvt_f32_f64_e32 v28, v[28:29]
	;; [unrolled: 1-line block ×3, first 2 shown]
	s_waitcnt lgkmcnt(2)
	v_add_f64 v[30:31], v[12:13], v[24:25]
	s_delay_alu instid0(VALU_DEP_4) | instskip(NEXT) | instid1(VALU_DEP_3)
	v_min3_f32 v85, v34, v32, v85
	v_min3_f32 v84, v28, v29, v84
	v_add_f64 v[28:29], v[14:15], v[26:27]
	s_delay_alu instid0(VALU_DEP_4) | instskip(NEXT) | instid1(VALU_DEP_2)
	v_cvt_f32_f64_e32 v30, v[30:31]
	v_cvt_f32_f64_e32 v28, v[28:29]
	s_delay_alu instid0(VALU_DEP_1) | instskip(SKIP_2) | instid1(VALU_DEP_2)
	v_min3_f32 v83, v30, v28, v83
	v_add_f64 v[28:29], v[10:11], v[26:27]
	v_add_f64 v[30:31], v[8:9], v[24:25]
	v_cvt_f32_f64_e32 v28, v[28:29]
	s_delay_alu instid0(VALU_DEP_2) | instskip(NEXT) | instid1(VALU_DEP_1)
	v_cvt_f32_f64_e32 v30, v[30:31]
	v_min3_f32 v82, v30, v28, v82
	v_add_f64 v[28:29], v[6:7], v[26:27]
	v_add_f64 v[30:31], v[4:5], v[24:25]
	;; [unrolled: 1-line block ×4, first 2 shown]
	s_delay_alu instid0(VALU_DEP_4) | instskip(NEXT) | instid1(VALU_DEP_4)
	v_cvt_f32_f64_e32 v28, v[28:29]
	v_cvt_f32_f64_e32 v30, v[30:31]
	s_delay_alu instid0(VALU_DEP_3)
	v_cvt_f32_f64_e32 v24, v[24:25]
	v_cvt_f32_f64_e32 v25, v[26:27]
	s_waitcnt lgkmcnt(1)
	v_add_f64 v[26:27], v[12:13], v[20:21]
	s_waitcnt lgkmcnt(0)
	v_add_f64 v[12:13], v[12:13], v[16:17]
	v_min3_f32 v81, v30, v28, v81
	s_delay_alu instid0(VALU_DEP_4) | instskip(SKIP_4) | instid1(VALU_DEP_4)
	v_min3_f32 v80, v24, v25, v80
	v_add_f64 v[24:25], v[14:15], v[22:23]
	v_cvt_f32_f64_e32 v26, v[26:27]
	v_add_f64 v[14:15], v[14:15], v[18:19]
	v_cvt_f32_f64_e32 v12, v[12:13]
	v_cvt_f32_f64_e32 v24, v[24:25]
	s_delay_alu instid0(VALU_DEP_3) | instskip(NEXT) | instid1(VALU_DEP_2)
	v_cvt_f32_f64_e32 v13, v[14:15]
	v_min3_f32 v79, v26, v24, v79
	v_add_f64 v[24:25], v[10:11], v[22:23]
	v_add_f64 v[26:27], v[8:9], v[20:21]
	;; [unrolled: 1-line block ×4, first 2 shown]
	v_min3_f32 v75, v12, v13, v75
	v_cvt_f32_f64_e32 v24, v[24:25]
	v_cvt_f32_f64_e32 v26, v[26:27]
	s_delay_alu instid0(VALU_DEP_4) | instskip(SKIP_1) | instid1(VALU_DEP_3)
	v_cvt_f32_f64_e32 v8, v[8:9]
	v_cvt_f32_f64_e32 v9, v[10:11]
	v_min3_f32 v78, v26, v24, v78
	v_add_f64 v[24:25], v[6:7], v[22:23]
	v_add_f64 v[26:27], v[4:5], v[20:21]
	;; [unrolled: 1-line block ×8, first 2 shown]
	v_min3_f32 v74, v8, v9, v74
	v_cvt_f32_f64_e32 v24, v[24:25]
	v_cvt_f32_f64_e32 v26, v[26:27]
	;; [unrolled: 1-line block ×8, first 2 shown]
	v_min3_f32 v77, v26, v24, v77
	v_min3_f32 v76, v20, v21, v76
	;; [unrolled: 1-line block ×3, first 2 shown]
	s_delay_alu instid0(VALU_DEP_4)
	v_min3_f32 v72, v0, v1, v72
	s_cbranch_vccz .LBB167_25
; %bb.26:
	s_cmp_gt_i32 s18, 8
	s_mov_b32 s29, 8
	ds_store_2addr_stride64_b64 v139, v[56:57], v[58:59] offset0:8 offset1:12
	ds_store_2addr_stride64_b64 v139, v[60:61], v[62:63] offset0:24 offset1:28
	s_waitcnt lgkmcnt(0)
	s_barrier
	buffer_gl0_inv
	s_cbranch_scc0 .LBB167_49
; %bb.27:
	v_mad_i64_i32 v[0:1], null, v64, s30, 0
	v_mad_i64_i32 v[2:3], null, v65, s30, 0
	v_mad_i64_i32 v[4:5], null, v66, s31, 0
	v_mad_i64_i32 v[6:7], null, v67, s31, 0
	s_delay_alu instid0(VALU_DEP_4)
	v_lshlrev_b64 v[56:57], 3, v[0:1]
	v_add_nc_u32_e32 v141, 0x1000, v139
	v_lshlrev_b64 v[58:59], 3, v[2:3]
	v_add_nc_u32_e32 v142, 0x3000, v139
	v_lshlrev_b64 v[60:61], 3, v[4:5]
	s_add_i32 s30, s18, -8
	v_lshlrev_b64 v[62:63], 3, v[6:7]
	s_mov_b32 s31, 0
.LBB167_28:                             ; =>This Loop Header: Depth=1
                                        ;     Child Loop BB167_37 Depth 2
                                        ;     Child Loop BB167_47 Depth 2
	v_or_b32_e32 v143, s29, v138
	s_delay_alu instid0(VALU_DEP_1) | instskip(SKIP_1) | instid1(VALU_DEP_2)
	v_min_i32_e32 v0, s21, v143
	v_cmp_le_i32_e32 vcc_lo, s18, v143
	v_ashrrev_i32_e32 v1, 31, v0
	s_or_b32 s33, s2, vcc_lo
	s_delay_alu instid0(SALU_CYCLE_1) | instskip(SKIP_1) | instid1(VALU_DEP_3)
	v_cndmask_b32_e64 v65, 0, 0x7fefffff, s33
	v_cndmask_b32_e64 v64, 0, -1, s33
	v_lshlrev_b64 v[0:1], 3, v[0:1]
	s_delay_alu instid0(VALU_DEP_1) | instskip(NEXT) | instid1(VALU_DEP_1)
	v_add_co_u32 v2, s6, s12, v0
	v_add_co_ci_u32_e64 v3, s6, s13, v1, s6
	s_or_b32 s6, s20, s33
	s_delay_alu instid0(SALU_CYCLE_1) | instskip(NEXT) | instid1(SALU_CYCLE_1)
	s_xor_b32 s6, s6, -1
	s_and_saveexec_b32 s33, s6
	s_cbranch_execz .LBB167_30
; %bb.29:                               ;   in Loop: Header=BB167_28 Depth=1
	v_add_co_u32 v4, s6, v2, v56
	s_delay_alu instid0(VALU_DEP_1)
	v_add_co_ci_u32_e64 v5, s6, v3, v57, s6
	flat_load_b64 v[4:5], v[4:5]
	s_waitcnt vmcnt(0) lgkmcnt(0)
	v_mul_f64 v[64:65], v[4:5], s[24:25]
.LBB167_30:                             ;   in Loop: Header=BB167_28 Depth=1
	s_or_b32 exec_lo, exec_lo, s33
	s_or_b32 s6, s3, vcc_lo
	s_delay_alu instid0(SALU_CYCLE_1) | instskip(SKIP_2) | instid1(SALU_CYCLE_1)
	v_cndmask_b32_e64 v67, 0, 0x7fefffff, s6
	v_cndmask_b32_e64 v66, 0, -1, s6
	s_or_b32 s6, s20, s6
	s_xor_b32 s6, s6, -1
	s_delay_alu instid0(SALU_CYCLE_1)
	s_and_saveexec_b32 s33, s6
	s_cbranch_execz .LBB167_32
; %bb.31:                               ;   in Loop: Header=BB167_28 Depth=1
	v_add_co_u32 v2, s6, v2, v58
	s_delay_alu instid0(VALU_DEP_1)
	v_add_co_ci_u32_e64 v3, s6, v3, v59, s6
	flat_load_b64 v[2:3], v[2:3]
	s_waitcnt vmcnt(0) lgkmcnt(0)
	v_mul_f64 v[66:67], v[2:3], s[24:25]
.LBB167_32:                             ;   in Loop: Header=BB167_28 Depth=1
	s_or_b32 exec_lo, exec_lo, s33
	v_add_co_u32 v0, s6, s26, v0
	s_delay_alu instid0(VALU_DEP_1) | instskip(SKIP_1) | instid1(SALU_CYCLE_1)
	v_add_co_ci_u32_e64 v1, s6, s27, v1, s6
	s_or_b32 s6, s4, vcc_lo
	v_cndmask_b32_e64 v69, 0, 0x7fefffff, s6
	v_cndmask_b32_e64 v68, 0, -1, s6
	s_or_b32 s6, s20, s6
	s_delay_alu instid0(SALU_CYCLE_1) | instskip(NEXT) | instid1(SALU_CYCLE_1)
	s_xor_b32 s6, s6, -1
	s_and_saveexec_b32 s33, s6
	s_cbranch_execz .LBB167_34
; %bb.33:                               ;   in Loop: Header=BB167_28 Depth=1
	v_add_co_u32 v2, s6, v0, v60
	s_delay_alu instid0(VALU_DEP_1)
	v_add_co_ci_u32_e64 v3, s6, v1, v61, s6
	flat_load_b64 v[2:3], v[2:3]
	s_waitcnt vmcnt(0) lgkmcnt(0)
	v_mul_f64 v[68:69], v[2:3], s[24:25]
.LBB167_34:                             ;   in Loop: Header=BB167_28 Depth=1
	s_or_b32 exec_lo, exec_lo, s33
	s_or_b32 s6, s5, vcc_lo
	s_delay_alu instid0(SALU_CYCLE_1) | instskip(SKIP_2) | instid1(SALU_CYCLE_1)
	v_cndmask_b32_e64 v71, 0, 0x7fefffff, s6
	v_cndmask_b32_e64 v70, 0, -1, s6
	s_or_b32 s6, s20, s6
	s_xor_b32 s33, s6, -1
	s_delay_alu instid0(SALU_CYCLE_1)
	s_and_saveexec_b32 s6, s33
	s_cbranch_execz .LBB167_36
; %bb.35:                               ;   in Loop: Header=BB167_28 Depth=1
	v_add_co_u32 v0, vcc_lo, v0, v62
	v_add_co_ci_u32_e32 v1, vcc_lo, v1, v63, vcc_lo
	flat_load_b64 v[0:1], v[0:1]
	s_waitcnt vmcnt(0) lgkmcnt(0)
	v_mul_f64 v[70:71], v[0:1], s[24:25]
.LBB167_36:                             ;   in Loop: Header=BB167_28 Depth=1
	s_or_b32 exec_lo, exec_lo, s6
	s_mov_b32 s33, 0
	s_mov_b32 s6, -1
.LBB167_37:                             ;   Parent Loop BB167_28 Depth=1
                                        ; =>  This Inner Loop Header: Depth=2
	s_lshl_b32 s33, s33, 3
	s_and_not1_b32 vcc_lo, exec_lo, s6
	v_lshl_add_u32 v0, v128, 5, s33
	v_lshl_add_u32 v16, v130, 5, s33
	s_mov_b32 s33, 2
	s_mov_b32 s6, 0
	ds_load_b128 v[12:15], v0 offset:4096
	ds_load_b128 v[8:11], v0 offset:5120
	;; [unrolled: 1-line block ×20, first 2 shown]
	s_waitcnt lgkmcnt(15)
	v_add_f64 v[168:169], v[14:15], v[146:147]
	v_add_f64 v[170:171], v[12:13], v[144:145]
	s_delay_alu instid0(VALU_DEP_2) | instskip(NEXT) | instid1(VALU_DEP_2)
	v_cvt_f32_f64_e32 v168, v[168:169]
	v_cvt_f32_f64_e32 v170, v[170:171]
	s_delay_alu instid0(VALU_DEP_1) | instskip(SKIP_2) | instid1(VALU_DEP_2)
	v_min3_f32 v137, v170, v168, v137
	v_add_f64 v[168:169], v[10:11], v[146:147]
	v_add_f64 v[170:171], v[8:9], v[144:145]
	v_cvt_f32_f64_e32 v168, v[168:169]
	s_delay_alu instid0(VALU_DEP_2) | instskip(NEXT) | instid1(VALU_DEP_1)
	v_cvt_f32_f64_e32 v170, v[170:171]
	v_min3_f32 v136, v170, v168, v136
	v_add_f64 v[168:169], v[6:7], v[146:147]
	v_add_f64 v[170:171], v[4:5], v[144:145]
	;; [unrolled: 1-line block ×4, first 2 shown]
	s_delay_alu instid0(VALU_DEP_4) | instskip(NEXT) | instid1(VALU_DEP_4)
	v_cvt_f32_f64_e32 v168, v[168:169]
	v_cvt_f32_f64_e32 v170, v[170:171]
	s_delay_alu instid0(VALU_DEP_3) | instskip(SKIP_3) | instid1(VALU_DEP_4)
	v_cvt_f32_f64_e32 v144, v[144:145]
	v_cvt_f32_f64_e32 v145, v[146:147]
	s_waitcnt lgkmcnt(14)
	v_add_f64 v[146:147], v[12:13], v[148:149]
	v_min3_f32 v135, v170, v168, v135
	s_delay_alu instid0(VALU_DEP_3) | instskip(SKIP_1) | instid1(VALU_DEP_4)
	v_min3_f32 v134, v144, v145, v134
	v_add_f64 v[144:145], v[14:15], v[150:151]
	v_cvt_f32_f64_e32 v146, v[146:147]
	s_delay_alu instid0(VALU_DEP_2) | instskip(NEXT) | instid1(VALU_DEP_1)
	v_cvt_f32_f64_e32 v144, v[144:145]
	v_min3_f32 v133, v146, v144, v133
	v_add_f64 v[144:145], v[10:11], v[150:151]
	v_add_f64 v[146:147], v[8:9], v[148:149]
	s_delay_alu instid0(VALU_DEP_2) | instskip(NEXT) | instid1(VALU_DEP_2)
	v_cvt_f32_f64_e32 v144, v[144:145]
	v_cvt_f32_f64_e32 v146, v[146:147]
	s_delay_alu instid0(VALU_DEP_1) | instskip(SKIP_2) | instid1(VALU_DEP_2)
	v_min3_f32 v132, v146, v144, v132
	v_add_f64 v[144:145], v[6:7], v[150:151]
	v_add_f64 v[146:147], v[4:5], v[148:149]
	v_cvt_f32_f64_e32 v144, v[144:145]
	s_delay_alu instid0(VALU_DEP_2) | instskip(NEXT) | instid1(VALU_DEP_1)
	v_cvt_f32_f64_e32 v146, v[146:147]
	v_min3_f32 v131, v146, v144, v131
	v_add_f64 v[144:145], v[2:3], v[150:151]
	v_add_f64 v[146:147], v[0:1], v[148:149]
	s_delay_alu instid0(VALU_DEP_2) | instskip(NEXT) | instid1(VALU_DEP_2)
	v_cvt_f32_f64_e32 v144, v[144:145]
	v_cvt_f32_f64_e32 v146, v[146:147]
	s_delay_alu instid0(VALU_DEP_1) | instskip(SKIP_3) | instid1(VALU_DEP_2)
	v_min3_f32 v129, v146, v144, v129
	s_waitcnt lgkmcnt(13)
	v_add_f64 v[144:145], v[14:15], v[154:155]
	v_add_f64 v[146:147], v[12:13], v[152:153]
	v_cvt_f32_f64_e32 v144, v[144:145]
	s_delay_alu instid0(VALU_DEP_2) | instskip(NEXT) | instid1(VALU_DEP_1)
	v_cvt_f32_f64_e32 v146, v[146:147]
	v_min3_f32 v127, v146, v144, v127
	v_add_f64 v[144:145], v[10:11], v[154:155]
	v_add_f64 v[146:147], v[8:9], v[152:153]
	s_delay_alu instid0(VALU_DEP_2) | instskip(NEXT) | instid1(VALU_DEP_2)
	v_cvt_f32_f64_e32 v144, v[144:145]
	v_cvt_f32_f64_e32 v146, v[146:147]
	s_delay_alu instid0(VALU_DEP_1) | instskip(SKIP_2) | instid1(VALU_DEP_2)
	v_min3_f32 v126, v146, v144, v126
	v_add_f64 v[144:145], v[6:7], v[154:155]
	v_add_f64 v[146:147], v[4:5], v[152:153]
	v_cvt_f32_f64_e32 v144, v[144:145]
	s_delay_alu instid0(VALU_DEP_2) | instskip(NEXT) | instid1(VALU_DEP_1)
	v_cvt_f32_f64_e32 v146, v[146:147]
	v_min3_f32 v125, v146, v144, v125
	v_add_f64 v[144:145], v[2:3], v[154:155]
	v_add_f64 v[146:147], v[0:1], v[152:153]
	s_delay_alu instid0(VALU_DEP_2) | instskip(NEXT) | instid1(VALU_DEP_2)
	v_cvt_f32_f64_e32 v144, v[144:145]
	v_cvt_f32_f64_e32 v146, v[146:147]
	s_delay_alu instid0(VALU_DEP_1) | instskip(SKIP_3) | instid1(VALU_DEP_2)
	v_min3_f32 v124, v146, v144, v124
	s_waitcnt lgkmcnt(12)
	v_add_f64 v[144:145], v[14:15], v[158:159]
	;; [unrolled: 27-line block ×5, first 2 shown]
	v_add_f64 v[146:147], v[12:13], v[52:53]
	v_cvt_f32_f64_e32 v144, v[144:145]
	s_delay_alu instid0(VALU_DEP_2) | instskip(NEXT) | instid1(VALU_DEP_1)
	v_cvt_f32_f64_e32 v146, v[146:147]
	v_min3_f32 v111, v146, v144, v111
	v_add_f64 v[144:145], v[10:11], v[54:55]
	v_add_f64 v[146:147], v[8:9], v[52:53]
	s_delay_alu instid0(VALU_DEP_2) | instskip(NEXT) | instid1(VALU_DEP_2)
	v_cvt_f32_f64_e32 v144, v[144:145]
	v_cvt_f32_f64_e32 v146, v[146:147]
	s_delay_alu instid0(VALU_DEP_1) | instskip(SKIP_4) | instid1(VALU_DEP_4)
	v_min3_f32 v110, v146, v144, v110
	v_add_f64 v[144:145], v[6:7], v[54:55]
	v_add_f64 v[146:147], v[4:5], v[52:53]
	v_add_f64 v[54:55], v[2:3], v[54:55]
	v_add_f64 v[52:53], v[0:1], v[52:53]
	v_cvt_f32_f64_e32 v144, v[144:145]
	s_delay_alu instid0(VALU_DEP_4) | instskip(NEXT) | instid1(VALU_DEP_3)
	v_cvt_f32_f64_e32 v146, v[146:147]
	v_cvt_f32_f64_e32 v52, v[52:53]
	v_cvt_f32_f64_e32 v53, v[54:55]
	s_waitcnt lgkmcnt(8)
	v_add_f64 v[54:55], v[12:13], v[48:49]
	s_delay_alu instid0(VALU_DEP_4) | instskip(NEXT) | instid1(VALU_DEP_3)
	v_min3_f32 v109, v146, v144, v109
	v_min3_f32 v108, v52, v53, v108
	v_add_f64 v[52:53], v[14:15], v[50:51]
	s_delay_alu instid0(VALU_DEP_4) | instskip(NEXT) | instid1(VALU_DEP_2)
	v_cvt_f32_f64_e32 v54, v[54:55]
	v_cvt_f32_f64_e32 v52, v[52:53]
	s_delay_alu instid0(VALU_DEP_1) | instskip(SKIP_2) | instid1(VALU_DEP_2)
	v_min3_f32 v107, v54, v52, v107
	v_add_f64 v[52:53], v[10:11], v[50:51]
	v_add_f64 v[54:55], v[8:9], v[48:49]
	v_cvt_f32_f64_e32 v52, v[52:53]
	s_delay_alu instid0(VALU_DEP_2) | instskip(NEXT) | instid1(VALU_DEP_1)
	v_cvt_f32_f64_e32 v54, v[54:55]
	v_min3_f32 v106, v54, v52, v106
	v_add_f64 v[52:53], v[6:7], v[50:51]
	v_add_f64 v[54:55], v[4:5], v[48:49]
	v_add_f64 v[50:51], v[2:3], v[50:51]
	v_add_f64 v[48:49], v[0:1], v[48:49]
	s_delay_alu instid0(VALU_DEP_4) | instskip(NEXT) | instid1(VALU_DEP_4)
	v_cvt_f32_f64_e32 v52, v[52:53]
	v_cvt_f32_f64_e32 v54, v[54:55]
	s_delay_alu instid0(VALU_DEP_3) | instskip(SKIP_3) | instid1(VALU_DEP_4)
	v_cvt_f32_f64_e32 v48, v[48:49]
	v_cvt_f32_f64_e32 v49, v[50:51]
	s_waitcnt lgkmcnt(7)
	v_add_f64 v[50:51], v[12:13], v[44:45]
	v_min3_f32 v105, v54, v52, v105
	s_delay_alu instid0(VALU_DEP_3) | instskip(SKIP_1) | instid1(VALU_DEP_4)
	v_min3_f32 v104, v48, v49, v104
	v_add_f64 v[48:49], v[14:15], v[46:47]
	v_cvt_f32_f64_e32 v50, v[50:51]
	s_delay_alu instid0(VALU_DEP_2) | instskip(NEXT) | instid1(VALU_DEP_1)
	v_cvt_f32_f64_e32 v48, v[48:49]
	v_min3_f32 v103, v50, v48, v103
	v_add_f64 v[48:49], v[10:11], v[46:47]
	v_add_f64 v[50:51], v[8:9], v[44:45]
	s_delay_alu instid0(VALU_DEP_2) | instskip(NEXT) | instid1(VALU_DEP_2)
	v_cvt_f32_f64_e32 v48, v[48:49]
	v_cvt_f32_f64_e32 v50, v[50:51]
	s_delay_alu instid0(VALU_DEP_1) | instskip(SKIP_4) | instid1(VALU_DEP_4)
	v_min3_f32 v102, v50, v48, v102
	v_add_f64 v[48:49], v[6:7], v[46:47]
	v_add_f64 v[50:51], v[4:5], v[44:45]
	v_add_f64 v[46:47], v[2:3], v[46:47]
	v_add_f64 v[44:45], v[0:1], v[44:45]
	v_cvt_f32_f64_e32 v48, v[48:49]
	s_delay_alu instid0(VALU_DEP_4) | instskip(NEXT) | instid1(VALU_DEP_3)
	v_cvt_f32_f64_e32 v50, v[50:51]
	v_cvt_f32_f64_e32 v44, v[44:45]
	v_cvt_f32_f64_e32 v45, v[46:47]
	s_waitcnt lgkmcnt(6)
	v_add_f64 v[46:47], v[12:13], v[40:41]
	s_delay_alu instid0(VALU_DEP_4) | instskip(NEXT) | instid1(VALU_DEP_3)
	v_min3_f32 v101, v50, v48, v101
	v_min3_f32 v100, v44, v45, v100
	v_add_f64 v[44:45], v[14:15], v[42:43]
	s_delay_alu instid0(VALU_DEP_4) | instskip(NEXT) | instid1(VALU_DEP_2)
	v_cvt_f32_f64_e32 v46, v[46:47]
	v_cvt_f32_f64_e32 v44, v[44:45]
	s_delay_alu instid0(VALU_DEP_1) | instskip(SKIP_2) | instid1(VALU_DEP_2)
	v_min3_f32 v99, v46, v44, v99
	v_add_f64 v[44:45], v[10:11], v[42:43]
	v_add_f64 v[46:47], v[8:9], v[40:41]
	v_cvt_f32_f64_e32 v44, v[44:45]
	s_delay_alu instid0(VALU_DEP_2) | instskip(NEXT) | instid1(VALU_DEP_1)
	v_cvt_f32_f64_e32 v46, v[46:47]
	v_min3_f32 v98, v46, v44, v98
	v_add_f64 v[44:45], v[6:7], v[42:43]
	v_add_f64 v[46:47], v[4:5], v[40:41]
	v_add_f64 v[42:43], v[2:3], v[42:43]
	v_add_f64 v[40:41], v[0:1], v[40:41]
	s_delay_alu instid0(VALU_DEP_4) | instskip(NEXT) | instid1(VALU_DEP_4)
	v_cvt_f32_f64_e32 v44, v[44:45]
	v_cvt_f32_f64_e32 v46, v[46:47]
	s_delay_alu instid0(VALU_DEP_3) | instskip(SKIP_3) | instid1(VALU_DEP_4)
	v_cvt_f32_f64_e32 v40, v[40:41]
	v_cvt_f32_f64_e32 v41, v[42:43]
	s_waitcnt lgkmcnt(5)
	v_add_f64 v[42:43], v[12:13], v[36:37]
	v_min3_f32 v97, v46, v44, v97
	s_delay_alu instid0(VALU_DEP_3) | instskip(SKIP_1) | instid1(VALU_DEP_4)
	v_min3_f32 v96, v40, v41, v96
	;; [unrolled: 53-line block ×3, first 2 shown]
	v_add_f64 v[32:33], v[14:15], v[30:31]
	v_cvt_f32_f64_e32 v34, v[34:35]
	s_delay_alu instid0(VALU_DEP_2) | instskip(NEXT) | instid1(VALU_DEP_1)
	v_cvt_f32_f64_e32 v32, v[32:33]
	v_min3_f32 v87, v34, v32, v87
	v_add_f64 v[32:33], v[10:11], v[30:31]
	v_add_f64 v[34:35], v[8:9], v[28:29]
	s_delay_alu instid0(VALU_DEP_2) | instskip(NEXT) | instid1(VALU_DEP_2)
	v_cvt_f32_f64_e32 v32, v[32:33]
	v_cvt_f32_f64_e32 v34, v[34:35]
	s_delay_alu instid0(VALU_DEP_1) | instskip(SKIP_4) | instid1(VALU_DEP_4)
	v_min3_f32 v86, v34, v32, v86
	v_add_f64 v[32:33], v[6:7], v[30:31]
	v_add_f64 v[34:35], v[4:5], v[28:29]
	;; [unrolled: 1-line block ×4, first 2 shown]
	v_cvt_f32_f64_e32 v32, v[32:33]
	s_delay_alu instid0(VALU_DEP_4) | instskip(NEXT) | instid1(VALU_DEP_3)
	v_cvt_f32_f64_e32 v34, v[34:35]
	v_cvt_f32_f64_e32 v28, v[28:29]
	;; [unrolled: 1-line block ×3, first 2 shown]
	s_waitcnt lgkmcnt(2)
	v_add_f64 v[30:31], v[12:13], v[24:25]
	s_delay_alu instid0(VALU_DEP_4) | instskip(NEXT) | instid1(VALU_DEP_3)
	v_min3_f32 v85, v34, v32, v85
	v_min3_f32 v84, v28, v29, v84
	v_add_f64 v[28:29], v[14:15], v[26:27]
	s_delay_alu instid0(VALU_DEP_4) | instskip(NEXT) | instid1(VALU_DEP_2)
	v_cvt_f32_f64_e32 v30, v[30:31]
	v_cvt_f32_f64_e32 v28, v[28:29]
	s_delay_alu instid0(VALU_DEP_1) | instskip(SKIP_2) | instid1(VALU_DEP_2)
	v_min3_f32 v83, v30, v28, v83
	v_add_f64 v[28:29], v[10:11], v[26:27]
	v_add_f64 v[30:31], v[8:9], v[24:25]
	v_cvt_f32_f64_e32 v28, v[28:29]
	s_delay_alu instid0(VALU_DEP_2) | instskip(NEXT) | instid1(VALU_DEP_1)
	v_cvt_f32_f64_e32 v30, v[30:31]
	v_min3_f32 v82, v30, v28, v82
	v_add_f64 v[28:29], v[6:7], v[26:27]
	v_add_f64 v[30:31], v[4:5], v[24:25]
	;; [unrolled: 1-line block ×4, first 2 shown]
	s_delay_alu instid0(VALU_DEP_4) | instskip(NEXT) | instid1(VALU_DEP_4)
	v_cvt_f32_f64_e32 v28, v[28:29]
	v_cvt_f32_f64_e32 v30, v[30:31]
	s_delay_alu instid0(VALU_DEP_3)
	v_cvt_f32_f64_e32 v24, v[24:25]
	v_cvt_f32_f64_e32 v25, v[26:27]
	s_waitcnt lgkmcnt(1)
	v_add_f64 v[26:27], v[12:13], v[20:21]
	s_waitcnt lgkmcnt(0)
	v_add_f64 v[12:13], v[12:13], v[16:17]
	v_min3_f32 v81, v30, v28, v81
	s_delay_alu instid0(VALU_DEP_4) | instskip(SKIP_4) | instid1(VALU_DEP_4)
	v_min3_f32 v80, v24, v25, v80
	v_add_f64 v[24:25], v[14:15], v[22:23]
	v_cvt_f32_f64_e32 v26, v[26:27]
	v_add_f64 v[14:15], v[14:15], v[18:19]
	v_cvt_f32_f64_e32 v12, v[12:13]
	v_cvt_f32_f64_e32 v24, v[24:25]
	s_delay_alu instid0(VALU_DEP_3) | instskip(NEXT) | instid1(VALU_DEP_2)
	v_cvt_f32_f64_e32 v13, v[14:15]
	v_min3_f32 v79, v26, v24, v79
	v_add_f64 v[24:25], v[10:11], v[22:23]
	v_add_f64 v[26:27], v[8:9], v[20:21]
	v_add_f64 v[10:11], v[10:11], v[18:19]
	v_add_f64 v[8:9], v[8:9], v[16:17]
	v_min3_f32 v75, v12, v13, v75
	v_cvt_f32_f64_e32 v24, v[24:25]
	v_cvt_f32_f64_e32 v26, v[26:27]
	s_delay_alu instid0(VALU_DEP_4) | instskip(SKIP_1) | instid1(VALU_DEP_3)
	v_cvt_f32_f64_e32 v8, v[8:9]
	v_cvt_f32_f64_e32 v9, v[10:11]
	v_min3_f32 v78, v26, v24, v78
	v_add_f64 v[24:25], v[6:7], v[22:23]
	v_add_f64 v[26:27], v[4:5], v[20:21]
	;; [unrolled: 1-line block ×8, first 2 shown]
	v_min3_f32 v74, v8, v9, v74
	v_cvt_f32_f64_e32 v24, v[24:25]
	v_cvt_f32_f64_e32 v26, v[26:27]
	;; [unrolled: 1-line block ×8, first 2 shown]
	v_min3_f32 v77, v26, v24, v77
	v_min3_f32 v76, v20, v21, v76
	;; [unrolled: 1-line block ×3, first 2 shown]
	s_delay_alu instid0(VALU_DEP_4)
	v_min3_f32 v72, v0, v1, v72
	s_cbranch_vccz .LBB167_37
; %bb.38:                               ;   in Loop: Header=BB167_28 Depth=1
	v_or_b32_e32 v2, 4, v143
	ds_store_2addr_stride64_b64 v139, v[64:65], v[66:67] offset1:4
	ds_store_2addr_stride64_b64 v140, v[68:69], v[70:71] offset1:4
	s_waitcnt lgkmcnt(0)
	s_barrier
	v_min_i32_e32 v0, s21, v2
	v_cmp_le_i32_e32 vcc_lo, s18, v2
	buffer_gl0_inv
	v_ashrrev_i32_e32 v1, 31, v0
	s_or_b32 s33, s2, vcc_lo
	s_delay_alu instid0(SALU_CYCLE_1) | instskip(SKIP_1) | instid1(VALU_DEP_3)
	v_cndmask_b32_e64 v65, 0, 0x7fefffff, s33
	v_cndmask_b32_e64 v64, 0, -1, s33
	v_lshlrev_b64 v[0:1], 3, v[0:1]
	s_delay_alu instid0(VALU_DEP_1) | instskip(NEXT) | instid1(VALU_DEP_1)
	v_add_co_u32 v2, s6, s12, v0
	v_add_co_ci_u32_e64 v3, s6, s13, v1, s6
	s_or_b32 s6, s20, s33
	s_delay_alu instid0(SALU_CYCLE_1) | instskip(NEXT) | instid1(SALU_CYCLE_1)
	s_xor_b32 s6, s6, -1
	s_and_saveexec_b32 s33, s6
	s_cbranch_execz .LBB167_40
; %bb.39:                               ;   in Loop: Header=BB167_28 Depth=1
	v_add_co_u32 v4, s6, v2, v56
	s_delay_alu instid0(VALU_DEP_1)
	v_add_co_ci_u32_e64 v5, s6, v3, v57, s6
	flat_load_b64 v[4:5], v[4:5]
	s_waitcnt vmcnt(0) lgkmcnt(0)
	v_mul_f64 v[64:65], v[4:5], s[24:25]
.LBB167_40:                             ;   in Loop: Header=BB167_28 Depth=1
	s_or_b32 exec_lo, exec_lo, s33
	s_or_b32 s6, s3, vcc_lo
	s_delay_alu instid0(SALU_CYCLE_1) | instskip(SKIP_2) | instid1(SALU_CYCLE_1)
	v_cndmask_b32_e64 v67, 0, 0x7fefffff, s6
	v_cndmask_b32_e64 v66, 0, -1, s6
	s_or_b32 s6, s20, s6
	s_xor_b32 s6, s6, -1
	s_delay_alu instid0(SALU_CYCLE_1)
	s_and_saveexec_b32 s33, s6
	s_cbranch_execz .LBB167_42
; %bb.41:                               ;   in Loop: Header=BB167_28 Depth=1
	v_add_co_u32 v2, s6, v2, v58
	s_delay_alu instid0(VALU_DEP_1)
	v_add_co_ci_u32_e64 v3, s6, v3, v59, s6
	flat_load_b64 v[2:3], v[2:3]
	s_waitcnt vmcnt(0) lgkmcnt(0)
	v_mul_f64 v[66:67], v[2:3], s[24:25]
.LBB167_42:                             ;   in Loop: Header=BB167_28 Depth=1
	s_or_b32 exec_lo, exec_lo, s33
	v_add_co_u32 v0, s6, s26, v0
	s_delay_alu instid0(VALU_DEP_1) | instskip(SKIP_1) | instid1(SALU_CYCLE_1)
	v_add_co_ci_u32_e64 v1, s6, s27, v1, s6
	s_or_b32 s6, s4, vcc_lo
	v_cndmask_b32_e64 v69, 0, 0x7fefffff, s6
	v_cndmask_b32_e64 v68, 0, -1, s6
	s_or_b32 s6, s20, s6
	s_delay_alu instid0(SALU_CYCLE_1) | instskip(NEXT) | instid1(SALU_CYCLE_1)
	s_xor_b32 s6, s6, -1
	s_and_saveexec_b32 s33, s6
	s_cbranch_execz .LBB167_44
; %bb.43:                               ;   in Loop: Header=BB167_28 Depth=1
	v_add_co_u32 v2, s6, v0, v60
	s_delay_alu instid0(VALU_DEP_1)
	v_add_co_ci_u32_e64 v3, s6, v1, v61, s6
	flat_load_b64 v[2:3], v[2:3]
	s_waitcnt vmcnt(0) lgkmcnt(0)
	v_mul_f64 v[68:69], v[2:3], s[24:25]
.LBB167_44:                             ;   in Loop: Header=BB167_28 Depth=1
	s_or_b32 exec_lo, exec_lo, s33
	s_or_b32 s6, s5, vcc_lo
	s_delay_alu instid0(SALU_CYCLE_1) | instskip(SKIP_2) | instid1(SALU_CYCLE_1)
	v_cndmask_b32_e64 v71, 0, 0x7fefffff, s6
	v_cndmask_b32_e64 v70, 0, -1, s6
	s_or_b32 s6, s20, s6
	s_xor_b32 s33, s6, -1
	s_delay_alu instid0(SALU_CYCLE_1)
	s_and_saveexec_b32 s6, s33
	s_cbranch_execz .LBB167_46
; %bb.45:                               ;   in Loop: Header=BB167_28 Depth=1
	v_add_co_u32 v0, vcc_lo, v0, v62
	v_add_co_ci_u32_e32 v1, vcc_lo, v1, v63, vcc_lo
	flat_load_b64 v[0:1], v[0:1]
	s_waitcnt vmcnt(0) lgkmcnt(0)
	v_mul_f64 v[70:71], v[0:1], s[24:25]
.LBB167_46:                             ;   in Loop: Header=BB167_28 Depth=1
	s_or_b32 exec_lo, exec_lo, s6
	s_mov_b32 s33, 0
	s_mov_b32 s6, -1
.LBB167_47:                             ;   Parent Loop BB167_28 Depth=1
                                        ; =>  This Inner Loop Header: Depth=2
	s_lshl_b32 s33, s33, 3
	s_and_not1_b32 vcc_lo, exec_lo, s6
	v_lshl_add_u32 v0, v128, 5, s33
	v_lshl_add_u32 v16, v130, 5, s33
	s_mov_b32 s33, 2
	s_mov_b32 s6, 0
	ds_load_b128 v[12:15], v0
	ds_load_b128 v[8:11], v0 offset:1024
	ds_load_b128 v[4:7], v0 offset:2048
	;; [unrolled: 1-line block ×19, first 2 shown]
	s_waitcnt lgkmcnt(15)
	v_add_f64 v[167:168], v[14:15], v[145:146]
	v_add_f64 v[169:170], v[12:13], v[143:144]
	s_delay_alu instid0(VALU_DEP_2) | instskip(NEXT) | instid1(VALU_DEP_2)
	v_cvt_f32_f64_e32 v167, v[167:168]
	v_cvt_f32_f64_e32 v169, v[169:170]
	s_delay_alu instid0(VALU_DEP_1) | instskip(SKIP_2) | instid1(VALU_DEP_2)
	v_min3_f32 v137, v169, v167, v137
	v_add_f64 v[167:168], v[10:11], v[145:146]
	v_add_f64 v[169:170], v[8:9], v[143:144]
	v_cvt_f32_f64_e32 v167, v[167:168]
	s_delay_alu instid0(VALU_DEP_2) | instskip(NEXT) | instid1(VALU_DEP_1)
	v_cvt_f32_f64_e32 v169, v[169:170]
	v_min3_f32 v136, v169, v167, v136
	v_add_f64 v[167:168], v[6:7], v[145:146]
	v_add_f64 v[169:170], v[4:5], v[143:144]
	;; [unrolled: 1-line block ×4, first 2 shown]
	s_delay_alu instid0(VALU_DEP_4) | instskip(NEXT) | instid1(VALU_DEP_4)
	v_cvt_f32_f64_e32 v167, v[167:168]
	v_cvt_f32_f64_e32 v169, v[169:170]
	s_delay_alu instid0(VALU_DEP_3) | instskip(SKIP_3) | instid1(VALU_DEP_4)
	v_cvt_f32_f64_e32 v143, v[143:144]
	v_cvt_f32_f64_e32 v144, v[145:146]
	s_waitcnt lgkmcnt(14)
	v_add_f64 v[145:146], v[12:13], v[147:148]
	v_min3_f32 v135, v169, v167, v135
	s_delay_alu instid0(VALU_DEP_3) | instskip(SKIP_1) | instid1(VALU_DEP_4)
	v_min3_f32 v134, v143, v144, v134
	v_add_f64 v[143:144], v[14:15], v[149:150]
	v_cvt_f32_f64_e32 v145, v[145:146]
	s_delay_alu instid0(VALU_DEP_2) | instskip(NEXT) | instid1(VALU_DEP_1)
	v_cvt_f32_f64_e32 v143, v[143:144]
	v_min3_f32 v133, v145, v143, v133
	v_add_f64 v[143:144], v[10:11], v[149:150]
	v_add_f64 v[145:146], v[8:9], v[147:148]
	s_delay_alu instid0(VALU_DEP_2) | instskip(NEXT) | instid1(VALU_DEP_2)
	v_cvt_f32_f64_e32 v143, v[143:144]
	v_cvt_f32_f64_e32 v145, v[145:146]
	s_delay_alu instid0(VALU_DEP_1) | instskip(SKIP_2) | instid1(VALU_DEP_2)
	v_min3_f32 v132, v145, v143, v132
	v_add_f64 v[143:144], v[6:7], v[149:150]
	v_add_f64 v[145:146], v[4:5], v[147:148]
	v_cvt_f32_f64_e32 v143, v[143:144]
	s_delay_alu instid0(VALU_DEP_2) | instskip(NEXT) | instid1(VALU_DEP_1)
	v_cvt_f32_f64_e32 v145, v[145:146]
	v_min3_f32 v131, v145, v143, v131
	v_add_f64 v[143:144], v[2:3], v[149:150]
	v_add_f64 v[145:146], v[0:1], v[147:148]
	s_delay_alu instid0(VALU_DEP_2) | instskip(NEXT) | instid1(VALU_DEP_2)
	v_cvt_f32_f64_e32 v143, v[143:144]
	v_cvt_f32_f64_e32 v145, v[145:146]
	s_delay_alu instid0(VALU_DEP_1) | instskip(SKIP_3) | instid1(VALU_DEP_2)
	v_min3_f32 v129, v145, v143, v129
	s_waitcnt lgkmcnt(13)
	v_add_f64 v[143:144], v[14:15], v[153:154]
	v_add_f64 v[145:146], v[12:13], v[151:152]
	v_cvt_f32_f64_e32 v143, v[143:144]
	s_delay_alu instid0(VALU_DEP_2) | instskip(NEXT) | instid1(VALU_DEP_1)
	v_cvt_f32_f64_e32 v145, v[145:146]
	v_min3_f32 v127, v145, v143, v127
	v_add_f64 v[143:144], v[10:11], v[153:154]
	v_add_f64 v[145:146], v[8:9], v[151:152]
	s_delay_alu instid0(VALU_DEP_2) | instskip(NEXT) | instid1(VALU_DEP_2)
	v_cvt_f32_f64_e32 v143, v[143:144]
	v_cvt_f32_f64_e32 v145, v[145:146]
	s_delay_alu instid0(VALU_DEP_1) | instskip(SKIP_2) | instid1(VALU_DEP_2)
	v_min3_f32 v126, v145, v143, v126
	v_add_f64 v[143:144], v[6:7], v[153:154]
	v_add_f64 v[145:146], v[4:5], v[151:152]
	v_cvt_f32_f64_e32 v143, v[143:144]
	s_delay_alu instid0(VALU_DEP_2) | instskip(NEXT) | instid1(VALU_DEP_1)
	v_cvt_f32_f64_e32 v145, v[145:146]
	v_min3_f32 v125, v145, v143, v125
	v_add_f64 v[143:144], v[2:3], v[153:154]
	v_add_f64 v[145:146], v[0:1], v[151:152]
	s_delay_alu instid0(VALU_DEP_2) | instskip(NEXT) | instid1(VALU_DEP_2)
	v_cvt_f32_f64_e32 v143, v[143:144]
	v_cvt_f32_f64_e32 v145, v[145:146]
	s_delay_alu instid0(VALU_DEP_1) | instskip(SKIP_3) | instid1(VALU_DEP_2)
	v_min3_f32 v124, v145, v143, v124
	s_waitcnt lgkmcnt(12)
	v_add_f64 v[143:144], v[14:15], v[157:158]
	;; [unrolled: 27-line block ×5, first 2 shown]
	v_add_f64 v[145:146], v[12:13], v[52:53]
	v_cvt_f32_f64_e32 v143, v[143:144]
	s_delay_alu instid0(VALU_DEP_2) | instskip(NEXT) | instid1(VALU_DEP_1)
	v_cvt_f32_f64_e32 v145, v[145:146]
	v_min3_f32 v111, v145, v143, v111
	v_add_f64 v[143:144], v[10:11], v[54:55]
	v_add_f64 v[145:146], v[8:9], v[52:53]
	s_delay_alu instid0(VALU_DEP_2) | instskip(NEXT) | instid1(VALU_DEP_2)
	v_cvt_f32_f64_e32 v143, v[143:144]
	v_cvt_f32_f64_e32 v145, v[145:146]
	s_delay_alu instid0(VALU_DEP_1) | instskip(SKIP_4) | instid1(VALU_DEP_4)
	v_min3_f32 v110, v145, v143, v110
	v_add_f64 v[143:144], v[6:7], v[54:55]
	v_add_f64 v[145:146], v[4:5], v[52:53]
	v_add_f64 v[54:55], v[2:3], v[54:55]
	v_add_f64 v[52:53], v[0:1], v[52:53]
	v_cvt_f32_f64_e32 v143, v[143:144]
	s_delay_alu instid0(VALU_DEP_4) | instskip(NEXT) | instid1(VALU_DEP_3)
	v_cvt_f32_f64_e32 v145, v[145:146]
	v_cvt_f32_f64_e32 v52, v[52:53]
	v_cvt_f32_f64_e32 v53, v[54:55]
	s_waitcnt lgkmcnt(8)
	v_add_f64 v[54:55], v[12:13], v[48:49]
	s_delay_alu instid0(VALU_DEP_4) | instskip(NEXT) | instid1(VALU_DEP_3)
	v_min3_f32 v109, v145, v143, v109
	v_min3_f32 v108, v52, v53, v108
	v_add_f64 v[52:53], v[14:15], v[50:51]
	s_delay_alu instid0(VALU_DEP_4) | instskip(NEXT) | instid1(VALU_DEP_2)
	v_cvt_f32_f64_e32 v54, v[54:55]
	v_cvt_f32_f64_e32 v52, v[52:53]
	s_delay_alu instid0(VALU_DEP_1) | instskip(SKIP_2) | instid1(VALU_DEP_2)
	v_min3_f32 v107, v54, v52, v107
	v_add_f64 v[52:53], v[10:11], v[50:51]
	v_add_f64 v[54:55], v[8:9], v[48:49]
	v_cvt_f32_f64_e32 v52, v[52:53]
	s_delay_alu instid0(VALU_DEP_2) | instskip(NEXT) | instid1(VALU_DEP_1)
	v_cvt_f32_f64_e32 v54, v[54:55]
	v_min3_f32 v106, v54, v52, v106
	v_add_f64 v[52:53], v[6:7], v[50:51]
	v_add_f64 v[54:55], v[4:5], v[48:49]
	v_add_f64 v[50:51], v[2:3], v[50:51]
	v_add_f64 v[48:49], v[0:1], v[48:49]
	s_delay_alu instid0(VALU_DEP_4) | instskip(NEXT) | instid1(VALU_DEP_4)
	v_cvt_f32_f64_e32 v52, v[52:53]
	v_cvt_f32_f64_e32 v54, v[54:55]
	s_delay_alu instid0(VALU_DEP_3) | instskip(SKIP_3) | instid1(VALU_DEP_4)
	v_cvt_f32_f64_e32 v48, v[48:49]
	v_cvt_f32_f64_e32 v49, v[50:51]
	s_waitcnt lgkmcnt(7)
	v_add_f64 v[50:51], v[12:13], v[44:45]
	v_min3_f32 v105, v54, v52, v105
	s_delay_alu instid0(VALU_DEP_3) | instskip(SKIP_1) | instid1(VALU_DEP_4)
	v_min3_f32 v104, v48, v49, v104
	v_add_f64 v[48:49], v[14:15], v[46:47]
	v_cvt_f32_f64_e32 v50, v[50:51]
	s_delay_alu instid0(VALU_DEP_2) | instskip(NEXT) | instid1(VALU_DEP_1)
	v_cvt_f32_f64_e32 v48, v[48:49]
	v_min3_f32 v103, v50, v48, v103
	v_add_f64 v[48:49], v[10:11], v[46:47]
	v_add_f64 v[50:51], v[8:9], v[44:45]
	s_delay_alu instid0(VALU_DEP_2) | instskip(NEXT) | instid1(VALU_DEP_2)
	v_cvt_f32_f64_e32 v48, v[48:49]
	v_cvt_f32_f64_e32 v50, v[50:51]
	s_delay_alu instid0(VALU_DEP_1) | instskip(SKIP_4) | instid1(VALU_DEP_4)
	v_min3_f32 v102, v50, v48, v102
	v_add_f64 v[48:49], v[6:7], v[46:47]
	v_add_f64 v[50:51], v[4:5], v[44:45]
	v_add_f64 v[46:47], v[2:3], v[46:47]
	v_add_f64 v[44:45], v[0:1], v[44:45]
	v_cvt_f32_f64_e32 v48, v[48:49]
	s_delay_alu instid0(VALU_DEP_4) | instskip(NEXT) | instid1(VALU_DEP_3)
	v_cvt_f32_f64_e32 v50, v[50:51]
	v_cvt_f32_f64_e32 v44, v[44:45]
	v_cvt_f32_f64_e32 v45, v[46:47]
	s_waitcnt lgkmcnt(6)
	v_add_f64 v[46:47], v[12:13], v[40:41]
	s_delay_alu instid0(VALU_DEP_4) | instskip(NEXT) | instid1(VALU_DEP_3)
	v_min3_f32 v101, v50, v48, v101
	v_min3_f32 v100, v44, v45, v100
	v_add_f64 v[44:45], v[14:15], v[42:43]
	s_delay_alu instid0(VALU_DEP_4) | instskip(NEXT) | instid1(VALU_DEP_2)
	v_cvt_f32_f64_e32 v46, v[46:47]
	v_cvt_f32_f64_e32 v44, v[44:45]
	s_delay_alu instid0(VALU_DEP_1) | instskip(SKIP_2) | instid1(VALU_DEP_2)
	v_min3_f32 v99, v46, v44, v99
	v_add_f64 v[44:45], v[10:11], v[42:43]
	v_add_f64 v[46:47], v[8:9], v[40:41]
	v_cvt_f32_f64_e32 v44, v[44:45]
	s_delay_alu instid0(VALU_DEP_2) | instskip(NEXT) | instid1(VALU_DEP_1)
	v_cvt_f32_f64_e32 v46, v[46:47]
	v_min3_f32 v98, v46, v44, v98
	v_add_f64 v[44:45], v[6:7], v[42:43]
	v_add_f64 v[46:47], v[4:5], v[40:41]
	v_add_f64 v[42:43], v[2:3], v[42:43]
	v_add_f64 v[40:41], v[0:1], v[40:41]
	s_delay_alu instid0(VALU_DEP_4) | instskip(NEXT) | instid1(VALU_DEP_4)
	v_cvt_f32_f64_e32 v44, v[44:45]
	v_cvt_f32_f64_e32 v46, v[46:47]
	s_delay_alu instid0(VALU_DEP_3) | instskip(SKIP_3) | instid1(VALU_DEP_4)
	v_cvt_f32_f64_e32 v40, v[40:41]
	v_cvt_f32_f64_e32 v41, v[42:43]
	s_waitcnt lgkmcnt(5)
	v_add_f64 v[42:43], v[12:13], v[36:37]
	v_min3_f32 v97, v46, v44, v97
	s_delay_alu instid0(VALU_DEP_3) | instskip(SKIP_1) | instid1(VALU_DEP_4)
	v_min3_f32 v96, v40, v41, v96
	;; [unrolled: 53-line block ×3, first 2 shown]
	v_add_f64 v[32:33], v[14:15], v[30:31]
	v_cvt_f32_f64_e32 v34, v[34:35]
	s_delay_alu instid0(VALU_DEP_2) | instskip(NEXT) | instid1(VALU_DEP_1)
	v_cvt_f32_f64_e32 v32, v[32:33]
	v_min3_f32 v87, v34, v32, v87
	v_add_f64 v[32:33], v[10:11], v[30:31]
	v_add_f64 v[34:35], v[8:9], v[28:29]
	s_delay_alu instid0(VALU_DEP_2) | instskip(NEXT) | instid1(VALU_DEP_2)
	v_cvt_f32_f64_e32 v32, v[32:33]
	v_cvt_f32_f64_e32 v34, v[34:35]
	s_delay_alu instid0(VALU_DEP_1) | instskip(SKIP_4) | instid1(VALU_DEP_4)
	v_min3_f32 v86, v34, v32, v86
	v_add_f64 v[32:33], v[6:7], v[30:31]
	v_add_f64 v[34:35], v[4:5], v[28:29]
	;; [unrolled: 1-line block ×4, first 2 shown]
	v_cvt_f32_f64_e32 v32, v[32:33]
	s_delay_alu instid0(VALU_DEP_4) | instskip(NEXT) | instid1(VALU_DEP_3)
	v_cvt_f32_f64_e32 v34, v[34:35]
	v_cvt_f32_f64_e32 v28, v[28:29]
	;; [unrolled: 1-line block ×3, first 2 shown]
	s_waitcnt lgkmcnt(2)
	v_add_f64 v[30:31], v[12:13], v[24:25]
	s_delay_alu instid0(VALU_DEP_4) | instskip(NEXT) | instid1(VALU_DEP_3)
	v_min3_f32 v85, v34, v32, v85
	v_min3_f32 v84, v28, v29, v84
	v_add_f64 v[28:29], v[14:15], v[26:27]
	s_delay_alu instid0(VALU_DEP_4) | instskip(NEXT) | instid1(VALU_DEP_2)
	v_cvt_f32_f64_e32 v30, v[30:31]
	v_cvt_f32_f64_e32 v28, v[28:29]
	s_delay_alu instid0(VALU_DEP_1) | instskip(SKIP_2) | instid1(VALU_DEP_2)
	v_min3_f32 v83, v30, v28, v83
	v_add_f64 v[28:29], v[10:11], v[26:27]
	v_add_f64 v[30:31], v[8:9], v[24:25]
	v_cvt_f32_f64_e32 v28, v[28:29]
	s_delay_alu instid0(VALU_DEP_2) | instskip(NEXT) | instid1(VALU_DEP_1)
	v_cvt_f32_f64_e32 v30, v[30:31]
	v_min3_f32 v82, v30, v28, v82
	v_add_f64 v[28:29], v[6:7], v[26:27]
	v_add_f64 v[30:31], v[4:5], v[24:25]
	v_add_f64 v[26:27], v[2:3], v[26:27]
	v_add_f64 v[24:25], v[0:1], v[24:25]
	s_delay_alu instid0(VALU_DEP_4) | instskip(NEXT) | instid1(VALU_DEP_4)
	v_cvt_f32_f64_e32 v28, v[28:29]
	v_cvt_f32_f64_e32 v30, v[30:31]
	s_delay_alu instid0(VALU_DEP_3)
	v_cvt_f32_f64_e32 v24, v[24:25]
	v_cvt_f32_f64_e32 v25, v[26:27]
	s_waitcnt lgkmcnt(1)
	v_add_f64 v[26:27], v[12:13], v[20:21]
	s_waitcnt lgkmcnt(0)
	v_add_f64 v[12:13], v[12:13], v[16:17]
	v_min3_f32 v81, v30, v28, v81
	s_delay_alu instid0(VALU_DEP_4) | instskip(SKIP_4) | instid1(VALU_DEP_4)
	v_min3_f32 v80, v24, v25, v80
	v_add_f64 v[24:25], v[14:15], v[22:23]
	v_cvt_f32_f64_e32 v26, v[26:27]
	v_add_f64 v[14:15], v[14:15], v[18:19]
	v_cvt_f32_f64_e32 v12, v[12:13]
	v_cvt_f32_f64_e32 v24, v[24:25]
	s_delay_alu instid0(VALU_DEP_3) | instskip(NEXT) | instid1(VALU_DEP_2)
	v_cvt_f32_f64_e32 v13, v[14:15]
	v_min3_f32 v79, v26, v24, v79
	v_add_f64 v[24:25], v[10:11], v[22:23]
	v_add_f64 v[26:27], v[8:9], v[20:21]
	;; [unrolled: 1-line block ×4, first 2 shown]
	v_min3_f32 v75, v12, v13, v75
	v_cvt_f32_f64_e32 v24, v[24:25]
	v_cvt_f32_f64_e32 v26, v[26:27]
	s_delay_alu instid0(VALU_DEP_4) | instskip(SKIP_1) | instid1(VALU_DEP_3)
	v_cvt_f32_f64_e32 v8, v[8:9]
	v_cvt_f32_f64_e32 v9, v[10:11]
	v_min3_f32 v78, v26, v24, v78
	v_add_f64 v[24:25], v[6:7], v[22:23]
	v_add_f64 v[26:27], v[4:5], v[20:21]
	;; [unrolled: 1-line block ×8, first 2 shown]
	v_min3_f32 v74, v8, v9, v74
	v_cvt_f32_f64_e32 v24, v[24:25]
	v_cvt_f32_f64_e32 v26, v[26:27]
	;; [unrolled: 1-line block ×8, first 2 shown]
	v_min3_f32 v77, v26, v24, v77
	v_min3_f32 v76, v20, v21, v76
	;; [unrolled: 1-line block ×3, first 2 shown]
	s_delay_alu instid0(VALU_DEP_4)
	v_min3_f32 v72, v0, v1, v72
	s_cbranch_vccz .LBB167_47
; %bb.48:                               ;   in Loop: Header=BB167_28 Depth=1
	s_add_i32 s31, s31, 8
	s_add_i32 s29, s29, 8
	s_cmp_ge_i32 s31, s30
	ds_store_2addr_stride64_b64 v141, v[64:65], v[66:67] offset1:4
	ds_store_2addr_stride64_b64 v142, v[68:69], v[70:71] offset1:4
	s_waitcnt lgkmcnt(0)
	s_barrier
	buffer_gl0_inv
	s_cbranch_scc0 .LBB167_28
.LBB167_49:
	s_mov_b32 s3, 0
	s_mov_b32 s2, -1
.LBB167_50:                             ; =>This Inner Loop Header: Depth=1
	s_lshl_b32 s3, s3, 3
	s_and_not1_b32 vcc_lo, exec_lo, s2
	v_lshl_add_u32 v0, v128, 5, s3
	v_lshl_add_u32 v16, v130, 5, s3
	s_mov_b32 s3, 2
	s_mov_b32 s2, 0
	ds_load_b128 v[12:15], v0 offset:4096
	ds_load_b128 v[8:11], v0 offset:5120
	;; [unrolled: 1-line block ×20, first 2 shown]
	s_waitcnt lgkmcnt(15)
	v_add_f64 v[146:147], v[14:15], v[58:59]
	v_add_f64 v[148:149], v[12:13], v[56:57]
	s_delay_alu instid0(VALU_DEP_2) | instskip(NEXT) | instid1(VALU_DEP_2)
	v_cvt_f32_f64_e32 v146, v[146:147]
	v_cvt_f32_f64_e32 v148, v[148:149]
	s_delay_alu instid0(VALU_DEP_1) | instskip(SKIP_2) | instid1(VALU_DEP_2)
	v_min3_f32 v137, v148, v146, v137
	v_add_f64 v[146:147], v[10:11], v[58:59]
	v_add_f64 v[148:149], v[8:9], v[56:57]
	v_cvt_f32_f64_e32 v146, v[146:147]
	s_delay_alu instid0(VALU_DEP_2) | instskip(NEXT) | instid1(VALU_DEP_1)
	v_cvt_f32_f64_e32 v148, v[148:149]
	v_min3_f32 v136, v148, v146, v136
	v_add_f64 v[146:147], v[6:7], v[58:59]
	v_add_f64 v[148:149], v[4:5], v[56:57]
	;; [unrolled: 1-line block ×4, first 2 shown]
	s_delay_alu instid0(VALU_DEP_4) | instskip(NEXT) | instid1(VALU_DEP_4)
	v_cvt_f32_f64_e32 v146, v[146:147]
	v_cvt_f32_f64_e32 v148, v[148:149]
	s_delay_alu instid0(VALU_DEP_3) | instskip(SKIP_3) | instid1(VALU_DEP_4)
	v_cvt_f32_f64_e32 v56, v[56:57]
	v_cvt_f32_f64_e32 v57, v[58:59]
	s_waitcnt lgkmcnt(14)
	v_add_f64 v[58:59], v[12:13], v[60:61]
	v_min3_f32 v135, v148, v146, v135
	s_delay_alu instid0(VALU_DEP_3) | instskip(SKIP_1) | instid1(VALU_DEP_4)
	v_min3_f32 v134, v56, v57, v134
	v_add_f64 v[56:57], v[14:15], v[62:63]
	v_cvt_f32_f64_e32 v58, v[58:59]
	s_delay_alu instid0(VALU_DEP_2) | instskip(NEXT) | instid1(VALU_DEP_1)
	v_cvt_f32_f64_e32 v56, v[56:57]
	v_min3_f32 v133, v58, v56, v133
	v_add_f64 v[56:57], v[10:11], v[62:63]
	v_add_f64 v[58:59], v[8:9], v[60:61]
	s_delay_alu instid0(VALU_DEP_2) | instskip(NEXT) | instid1(VALU_DEP_2)
	v_cvt_f32_f64_e32 v56, v[56:57]
	v_cvt_f32_f64_e32 v58, v[58:59]
	s_delay_alu instid0(VALU_DEP_1) | instskip(SKIP_2) | instid1(VALU_DEP_2)
	v_min3_f32 v132, v58, v56, v132
	v_add_f64 v[56:57], v[6:7], v[62:63]
	v_add_f64 v[58:59], v[4:5], v[60:61]
	v_cvt_f32_f64_e32 v56, v[56:57]
	s_delay_alu instid0(VALU_DEP_2) | instskip(NEXT) | instid1(VALU_DEP_1)
	v_cvt_f32_f64_e32 v58, v[58:59]
	v_min3_f32 v131, v58, v56, v131
	v_add_f64 v[56:57], v[2:3], v[62:63]
	v_add_f64 v[58:59], v[0:1], v[60:61]
	s_delay_alu instid0(VALU_DEP_2) | instskip(NEXT) | instid1(VALU_DEP_2)
	v_cvt_f32_f64_e32 v56, v[56:57]
	v_cvt_f32_f64_e32 v58, v[58:59]
	s_delay_alu instid0(VALU_DEP_1) | instskip(SKIP_3) | instid1(VALU_DEP_2)
	v_min3_f32 v129, v58, v56, v129
	s_waitcnt lgkmcnt(13)
	v_add_f64 v[56:57], v[14:15], v[66:67]
	v_add_f64 v[58:59], v[12:13], v[64:65]
	v_cvt_f32_f64_e32 v56, v[56:57]
	s_delay_alu instid0(VALU_DEP_2) | instskip(NEXT) | instid1(VALU_DEP_1)
	v_cvt_f32_f64_e32 v58, v[58:59]
	v_min3_f32 v127, v58, v56, v127
	v_add_f64 v[56:57], v[10:11], v[66:67]
	v_add_f64 v[58:59], v[8:9], v[64:65]
	s_delay_alu instid0(VALU_DEP_2) | instskip(NEXT) | instid1(VALU_DEP_2)
	v_cvt_f32_f64_e32 v56, v[56:57]
	v_cvt_f32_f64_e32 v58, v[58:59]
	s_delay_alu instid0(VALU_DEP_1) | instskip(SKIP_2) | instid1(VALU_DEP_2)
	v_min3_f32 v126, v58, v56, v126
	v_add_f64 v[56:57], v[6:7], v[66:67]
	v_add_f64 v[58:59], v[4:5], v[64:65]
	v_cvt_f32_f64_e32 v56, v[56:57]
	s_delay_alu instid0(VALU_DEP_2) | instskip(NEXT) | instid1(VALU_DEP_1)
	v_cvt_f32_f64_e32 v58, v[58:59]
	v_min3_f32 v125, v58, v56, v125
	v_add_f64 v[56:57], v[2:3], v[66:67]
	v_add_f64 v[58:59], v[0:1], v[64:65]
	s_delay_alu instid0(VALU_DEP_2) | instskip(NEXT) | instid1(VALU_DEP_2)
	v_cvt_f32_f64_e32 v56, v[56:57]
	v_cvt_f32_f64_e32 v58, v[58:59]
	s_delay_alu instid0(VALU_DEP_1) | instskip(SKIP_3) | instid1(VALU_DEP_2)
	v_min3_f32 v124, v58, v56, v124
	s_waitcnt lgkmcnt(12)
	v_add_f64 v[56:57], v[14:15], v[70:71]
	;; [unrolled: 27-line block ×5, first 2 shown]
	v_add_f64 v[58:59], v[12:13], v[52:53]
	v_cvt_f32_f64_e32 v56, v[56:57]
	s_delay_alu instid0(VALU_DEP_2) | instskip(NEXT) | instid1(VALU_DEP_1)
	v_cvt_f32_f64_e32 v58, v[58:59]
	v_min3_f32 v111, v58, v56, v111
	v_add_f64 v[56:57], v[10:11], v[54:55]
	v_add_f64 v[58:59], v[8:9], v[52:53]
	s_delay_alu instid0(VALU_DEP_2) | instskip(NEXT) | instid1(VALU_DEP_2)
	v_cvt_f32_f64_e32 v56, v[56:57]
	v_cvt_f32_f64_e32 v58, v[58:59]
	s_delay_alu instid0(VALU_DEP_1) | instskip(SKIP_4) | instid1(VALU_DEP_4)
	v_min3_f32 v110, v58, v56, v110
	v_add_f64 v[56:57], v[6:7], v[54:55]
	v_add_f64 v[58:59], v[4:5], v[52:53]
	v_add_f64 v[54:55], v[2:3], v[54:55]
	v_add_f64 v[52:53], v[0:1], v[52:53]
	v_cvt_f32_f64_e32 v56, v[56:57]
	s_delay_alu instid0(VALU_DEP_4) | instskip(NEXT) | instid1(VALU_DEP_3)
	v_cvt_f32_f64_e32 v58, v[58:59]
	v_cvt_f32_f64_e32 v52, v[52:53]
	v_cvt_f32_f64_e32 v53, v[54:55]
	s_waitcnt lgkmcnt(8)
	v_add_f64 v[54:55], v[12:13], v[48:49]
	s_delay_alu instid0(VALU_DEP_4) | instskip(NEXT) | instid1(VALU_DEP_3)
	v_min3_f32 v109, v58, v56, v109
	v_min3_f32 v108, v52, v53, v108
	v_add_f64 v[52:53], v[14:15], v[50:51]
	s_delay_alu instid0(VALU_DEP_4) | instskip(NEXT) | instid1(VALU_DEP_2)
	v_cvt_f32_f64_e32 v54, v[54:55]
	v_cvt_f32_f64_e32 v52, v[52:53]
	s_delay_alu instid0(VALU_DEP_1) | instskip(SKIP_2) | instid1(VALU_DEP_2)
	v_min3_f32 v107, v54, v52, v107
	v_add_f64 v[52:53], v[10:11], v[50:51]
	v_add_f64 v[54:55], v[8:9], v[48:49]
	v_cvt_f32_f64_e32 v52, v[52:53]
	s_delay_alu instid0(VALU_DEP_2) | instskip(NEXT) | instid1(VALU_DEP_1)
	v_cvt_f32_f64_e32 v54, v[54:55]
	v_min3_f32 v106, v54, v52, v106
	v_add_f64 v[52:53], v[6:7], v[50:51]
	v_add_f64 v[54:55], v[4:5], v[48:49]
	v_add_f64 v[50:51], v[2:3], v[50:51]
	v_add_f64 v[48:49], v[0:1], v[48:49]
	s_delay_alu instid0(VALU_DEP_4) | instskip(NEXT) | instid1(VALU_DEP_4)
	v_cvt_f32_f64_e32 v52, v[52:53]
	v_cvt_f32_f64_e32 v54, v[54:55]
	s_delay_alu instid0(VALU_DEP_3) | instskip(SKIP_3) | instid1(VALU_DEP_4)
	v_cvt_f32_f64_e32 v48, v[48:49]
	v_cvt_f32_f64_e32 v49, v[50:51]
	s_waitcnt lgkmcnt(7)
	v_add_f64 v[50:51], v[12:13], v[44:45]
	v_min3_f32 v105, v54, v52, v105
	s_delay_alu instid0(VALU_DEP_3) | instskip(SKIP_1) | instid1(VALU_DEP_4)
	v_min3_f32 v104, v48, v49, v104
	v_add_f64 v[48:49], v[14:15], v[46:47]
	v_cvt_f32_f64_e32 v50, v[50:51]
	s_delay_alu instid0(VALU_DEP_2) | instskip(NEXT) | instid1(VALU_DEP_1)
	v_cvt_f32_f64_e32 v48, v[48:49]
	v_min3_f32 v103, v50, v48, v103
	v_add_f64 v[48:49], v[10:11], v[46:47]
	v_add_f64 v[50:51], v[8:9], v[44:45]
	s_delay_alu instid0(VALU_DEP_2) | instskip(NEXT) | instid1(VALU_DEP_2)
	v_cvt_f32_f64_e32 v48, v[48:49]
	v_cvt_f32_f64_e32 v50, v[50:51]
	s_delay_alu instid0(VALU_DEP_1) | instskip(SKIP_4) | instid1(VALU_DEP_4)
	v_min3_f32 v102, v50, v48, v102
	v_add_f64 v[48:49], v[6:7], v[46:47]
	v_add_f64 v[50:51], v[4:5], v[44:45]
	v_add_f64 v[46:47], v[2:3], v[46:47]
	v_add_f64 v[44:45], v[0:1], v[44:45]
	v_cvt_f32_f64_e32 v48, v[48:49]
	s_delay_alu instid0(VALU_DEP_4) | instskip(NEXT) | instid1(VALU_DEP_3)
	v_cvt_f32_f64_e32 v50, v[50:51]
	v_cvt_f32_f64_e32 v44, v[44:45]
	v_cvt_f32_f64_e32 v45, v[46:47]
	s_waitcnt lgkmcnt(6)
	v_add_f64 v[46:47], v[12:13], v[40:41]
	s_delay_alu instid0(VALU_DEP_4) | instskip(NEXT) | instid1(VALU_DEP_3)
	v_min3_f32 v101, v50, v48, v101
	v_min3_f32 v100, v44, v45, v100
	v_add_f64 v[44:45], v[14:15], v[42:43]
	s_delay_alu instid0(VALU_DEP_4) | instskip(NEXT) | instid1(VALU_DEP_2)
	v_cvt_f32_f64_e32 v46, v[46:47]
	v_cvt_f32_f64_e32 v44, v[44:45]
	s_delay_alu instid0(VALU_DEP_1) | instskip(SKIP_2) | instid1(VALU_DEP_2)
	v_min3_f32 v99, v46, v44, v99
	v_add_f64 v[44:45], v[10:11], v[42:43]
	v_add_f64 v[46:47], v[8:9], v[40:41]
	v_cvt_f32_f64_e32 v44, v[44:45]
	s_delay_alu instid0(VALU_DEP_2) | instskip(NEXT) | instid1(VALU_DEP_1)
	v_cvt_f32_f64_e32 v46, v[46:47]
	v_min3_f32 v98, v46, v44, v98
	v_add_f64 v[44:45], v[6:7], v[42:43]
	v_add_f64 v[46:47], v[4:5], v[40:41]
	v_add_f64 v[42:43], v[2:3], v[42:43]
	v_add_f64 v[40:41], v[0:1], v[40:41]
	s_delay_alu instid0(VALU_DEP_4) | instskip(NEXT) | instid1(VALU_DEP_4)
	v_cvt_f32_f64_e32 v44, v[44:45]
	v_cvt_f32_f64_e32 v46, v[46:47]
	s_delay_alu instid0(VALU_DEP_3) | instskip(SKIP_3) | instid1(VALU_DEP_4)
	v_cvt_f32_f64_e32 v40, v[40:41]
	v_cvt_f32_f64_e32 v41, v[42:43]
	s_waitcnt lgkmcnt(5)
	v_add_f64 v[42:43], v[12:13], v[36:37]
	v_min3_f32 v97, v46, v44, v97
	s_delay_alu instid0(VALU_DEP_3) | instskip(SKIP_1) | instid1(VALU_DEP_4)
	v_min3_f32 v96, v40, v41, v96
	v_add_f64 v[40:41], v[14:15], v[38:39]
	v_cvt_f32_f64_e32 v42, v[42:43]
	s_delay_alu instid0(VALU_DEP_2) | instskip(NEXT) | instid1(VALU_DEP_1)
	v_cvt_f32_f64_e32 v40, v[40:41]
	v_min3_f32 v95, v42, v40, v95
	v_add_f64 v[40:41], v[10:11], v[38:39]
	v_add_f64 v[42:43], v[8:9], v[36:37]
	s_delay_alu instid0(VALU_DEP_2) | instskip(NEXT) | instid1(VALU_DEP_2)
	v_cvt_f32_f64_e32 v40, v[40:41]
	v_cvt_f32_f64_e32 v42, v[42:43]
	s_delay_alu instid0(VALU_DEP_1) | instskip(SKIP_4) | instid1(VALU_DEP_4)
	v_min3_f32 v94, v42, v40, v94
	v_add_f64 v[40:41], v[6:7], v[38:39]
	v_add_f64 v[42:43], v[4:5], v[36:37]
	v_add_f64 v[38:39], v[2:3], v[38:39]
	v_add_f64 v[36:37], v[0:1], v[36:37]
	v_cvt_f32_f64_e32 v40, v[40:41]
	s_delay_alu instid0(VALU_DEP_4) | instskip(NEXT) | instid1(VALU_DEP_3)
	v_cvt_f32_f64_e32 v42, v[42:43]
	v_cvt_f32_f64_e32 v36, v[36:37]
	v_cvt_f32_f64_e32 v37, v[38:39]
	s_waitcnt lgkmcnt(4)
	v_add_f64 v[38:39], v[12:13], v[32:33]
	s_delay_alu instid0(VALU_DEP_4) | instskip(NEXT) | instid1(VALU_DEP_3)
	v_min3_f32 v93, v42, v40, v93
	v_min3_f32 v92, v36, v37, v92
	v_add_f64 v[36:37], v[14:15], v[34:35]
	s_delay_alu instid0(VALU_DEP_4) | instskip(NEXT) | instid1(VALU_DEP_2)
	v_cvt_f32_f64_e32 v38, v[38:39]
	v_cvt_f32_f64_e32 v36, v[36:37]
	s_delay_alu instid0(VALU_DEP_1) | instskip(SKIP_2) | instid1(VALU_DEP_2)
	v_min3_f32 v91, v38, v36, v91
	v_add_f64 v[36:37], v[10:11], v[34:35]
	v_add_f64 v[38:39], v[8:9], v[32:33]
	v_cvt_f32_f64_e32 v36, v[36:37]
	s_delay_alu instid0(VALU_DEP_2) | instskip(NEXT) | instid1(VALU_DEP_1)
	v_cvt_f32_f64_e32 v38, v[38:39]
	v_min3_f32 v90, v38, v36, v90
	v_add_f64 v[36:37], v[6:7], v[34:35]
	v_add_f64 v[38:39], v[4:5], v[32:33]
	v_add_f64 v[34:35], v[2:3], v[34:35]
	v_add_f64 v[32:33], v[0:1], v[32:33]
	s_delay_alu instid0(VALU_DEP_4) | instskip(NEXT) | instid1(VALU_DEP_4)
	v_cvt_f32_f64_e32 v36, v[36:37]
	v_cvt_f32_f64_e32 v38, v[38:39]
	s_delay_alu instid0(VALU_DEP_3) | instskip(SKIP_3) | instid1(VALU_DEP_4)
	v_cvt_f32_f64_e32 v32, v[32:33]
	v_cvt_f32_f64_e32 v33, v[34:35]
	s_waitcnt lgkmcnt(3)
	v_add_f64 v[34:35], v[12:13], v[28:29]
	v_min3_f32 v89, v38, v36, v89
	s_delay_alu instid0(VALU_DEP_3) | instskip(SKIP_1) | instid1(VALU_DEP_4)
	v_min3_f32 v88, v32, v33, v88
	v_add_f64 v[32:33], v[14:15], v[30:31]
	v_cvt_f32_f64_e32 v34, v[34:35]
	s_delay_alu instid0(VALU_DEP_2) | instskip(NEXT) | instid1(VALU_DEP_1)
	v_cvt_f32_f64_e32 v32, v[32:33]
	v_min3_f32 v87, v34, v32, v87
	v_add_f64 v[32:33], v[10:11], v[30:31]
	v_add_f64 v[34:35], v[8:9], v[28:29]
	s_delay_alu instid0(VALU_DEP_2) | instskip(NEXT) | instid1(VALU_DEP_2)
	v_cvt_f32_f64_e32 v32, v[32:33]
	v_cvt_f32_f64_e32 v34, v[34:35]
	s_delay_alu instid0(VALU_DEP_1) | instskip(SKIP_4) | instid1(VALU_DEP_4)
	v_min3_f32 v86, v34, v32, v86
	v_add_f64 v[32:33], v[6:7], v[30:31]
	v_add_f64 v[34:35], v[4:5], v[28:29]
	;; [unrolled: 1-line block ×4, first 2 shown]
	v_cvt_f32_f64_e32 v32, v[32:33]
	s_delay_alu instid0(VALU_DEP_4) | instskip(NEXT) | instid1(VALU_DEP_3)
	v_cvt_f32_f64_e32 v34, v[34:35]
	v_cvt_f32_f64_e32 v28, v[28:29]
	;; [unrolled: 1-line block ×3, first 2 shown]
	s_waitcnt lgkmcnt(2)
	v_add_f64 v[30:31], v[12:13], v[24:25]
	s_delay_alu instid0(VALU_DEP_4) | instskip(NEXT) | instid1(VALU_DEP_3)
	v_min3_f32 v85, v34, v32, v85
	v_min3_f32 v84, v28, v29, v84
	v_add_f64 v[28:29], v[14:15], v[26:27]
	s_delay_alu instid0(VALU_DEP_4) | instskip(NEXT) | instid1(VALU_DEP_2)
	v_cvt_f32_f64_e32 v30, v[30:31]
	v_cvt_f32_f64_e32 v28, v[28:29]
	s_delay_alu instid0(VALU_DEP_1) | instskip(SKIP_2) | instid1(VALU_DEP_2)
	v_min3_f32 v83, v30, v28, v83
	v_add_f64 v[28:29], v[10:11], v[26:27]
	v_add_f64 v[30:31], v[8:9], v[24:25]
	v_cvt_f32_f64_e32 v28, v[28:29]
	s_delay_alu instid0(VALU_DEP_2) | instskip(NEXT) | instid1(VALU_DEP_1)
	v_cvt_f32_f64_e32 v30, v[30:31]
	v_min3_f32 v82, v30, v28, v82
	v_add_f64 v[28:29], v[6:7], v[26:27]
	v_add_f64 v[30:31], v[4:5], v[24:25]
	;; [unrolled: 1-line block ×4, first 2 shown]
	s_delay_alu instid0(VALU_DEP_4) | instskip(NEXT) | instid1(VALU_DEP_4)
	v_cvt_f32_f64_e32 v28, v[28:29]
	v_cvt_f32_f64_e32 v30, v[30:31]
	s_delay_alu instid0(VALU_DEP_3)
	v_cvt_f32_f64_e32 v24, v[24:25]
	v_cvt_f32_f64_e32 v25, v[26:27]
	s_waitcnt lgkmcnt(1)
	v_add_f64 v[26:27], v[12:13], v[20:21]
	s_waitcnt lgkmcnt(0)
	v_add_f64 v[12:13], v[12:13], v[16:17]
	v_min3_f32 v81, v30, v28, v81
	s_delay_alu instid0(VALU_DEP_4) | instskip(SKIP_4) | instid1(VALU_DEP_4)
	v_min3_f32 v80, v24, v25, v80
	v_add_f64 v[24:25], v[14:15], v[22:23]
	v_cvt_f32_f64_e32 v26, v[26:27]
	v_add_f64 v[14:15], v[14:15], v[18:19]
	v_cvt_f32_f64_e32 v12, v[12:13]
	v_cvt_f32_f64_e32 v24, v[24:25]
	s_delay_alu instid0(VALU_DEP_3) | instskip(NEXT) | instid1(VALU_DEP_2)
	v_cvt_f32_f64_e32 v13, v[14:15]
	v_min3_f32 v79, v26, v24, v79
	v_add_f64 v[24:25], v[10:11], v[22:23]
	v_add_f64 v[26:27], v[8:9], v[20:21]
	;; [unrolled: 1-line block ×4, first 2 shown]
	v_min3_f32 v75, v12, v13, v75
	v_cvt_f32_f64_e32 v24, v[24:25]
	v_cvt_f32_f64_e32 v26, v[26:27]
	s_delay_alu instid0(VALU_DEP_4) | instskip(SKIP_1) | instid1(VALU_DEP_3)
	v_cvt_f32_f64_e32 v8, v[8:9]
	v_cvt_f32_f64_e32 v9, v[10:11]
	v_min3_f32 v78, v26, v24, v78
	v_add_f64 v[24:25], v[6:7], v[22:23]
	v_add_f64 v[26:27], v[4:5], v[20:21]
	;; [unrolled: 1-line block ×8, first 2 shown]
	v_min3_f32 v74, v8, v9, v74
	v_cvt_f32_f64_e32 v24, v[24:25]
	v_cvt_f32_f64_e32 v26, v[26:27]
	v_cvt_f32_f64_e32 v20, v[20:21]
	v_cvt_f32_f64_e32 v21, v[22:23]
	v_cvt_f32_f64_e32 v4, v[4:5]
	v_cvt_f32_f64_e32 v5, v[6:7]
	v_cvt_f32_f64_e32 v0, v[0:1]
	v_cvt_f32_f64_e32 v1, v[2:3]
	v_min3_f32 v77, v26, v24, v77
	v_min3_f32 v76, v20, v21, v76
	;; [unrolled: 1-line block ×3, first 2 shown]
	s_delay_alu instid0(VALU_DEP_4)
	v_min3_f32 v72, v0, v1, v72
	s_cbranch_vccz .LBB167_50
; %bb.51:
	s_clause 0x2
	s_load_b64 s[2:3], s[0:1], 0x78
	s_load_b32 s6, s[0:1], 0x58
	s_load_b32 s5, s[0:1], 0x70
	v_add_nc_u32_e32 v11, s19, v130
	v_add_nc_u32_e32 v0, s14, v128
	v_cndmask_b32_e64 v10, 0, 1, s7
	s_delay_alu instid0(VALU_DEP_2)
	v_cmp_gt_i32_e64 s0, s16, v0
	v_ashrrev_i32_e32 v1, 31, v0
	s_waitcnt lgkmcnt(0)
	s_mul_i32 s1, s15, s3
	v_mad_i64_i32 v[2:3], null, v11, s6, 0
	v_mad_i64_i32 v[4:5], null, v11, s5, 0
	s_mul_hi_u32 s3, s15, s2
	s_mul_i32 s4, s28, s2
	s_add_i32 s1, s3, s1
	s_mul_i32 s2, s15, s2
	s_delay_alu instid0(VALU_DEP_2) | instskip(SKIP_1) | instid1(VALU_DEP_2)
	v_lshlrev_b64 v[2:3], 3, v[2:3]
	s_add_i32 s3, s1, s4
	v_lshlrev_b64 v[4:5], 3, v[4:5]
	s_lshl_b64 s[2:3], s[2:3], 3
	v_cmp_gt_i32_e64 s4, s17, v11
	s_add_u32 s12, s22, s2
	v_add_co_u32 v8, vcc_lo, s8, v2
	v_add_co_ci_u32_e32 v9, vcc_lo, s9, v3, vcc_lo
	s_addc_u32 s13, s23, s3
	v_add_co_u32 v12, vcc_lo, s12, v4
	v_add_co_ci_u32_e32 v13, vcc_lo, s13, v5, vcc_lo
	s_and_b32 s2, s0, s4
	s_delay_alu instid0(SALU_CYCLE_1)
	s_and_saveexec_b32 s1, s2
	s_cbranch_execz .LBB167_56
; %bb.52:
	s_and_not1_b32 vcc_lo, exec_lo, s7
	s_cbranch_vccnz .LBB167_54
; %bb.53:
	v_lshlrev_b64 v[2:3], 3, v[0:1]
	s_delay_alu instid0(VALU_DEP_1) | instskip(NEXT) | instid1(VALU_DEP_2)
	v_add_co_u32 v2, vcc_lo, v8, v2
	v_add_co_ci_u32_e32 v3, vcc_lo, v9, v3, vcc_lo
	flat_load_b64 v[2:3], v[2:3]
	s_waitcnt vmcnt(0) lgkmcnt(0)
	v_mul_f64 v[2:3], v[2:3], s[10:11]
	s_branch .LBB167_55
.LBB167_54:
	v_mov_b32_e32 v2, 0
	v_mov_b32_e32 v3, 0
.LBB167_55:
	s_delay_alu instid0(VALU_DEP_1) | instskip(SKIP_2) | instid1(VALU_DEP_1)
	v_cvt_f32_f64_e32 v2, v[2:3]
	v_max_f32_e32 v3, v137, v137
	v_lshlrev_b64 v[4:5], 3, v[0:1]
	v_add_co_u32 v4, vcc_lo, v12, v4
	s_delay_alu instid0(VALU_DEP_2) | instskip(NEXT) | instid1(VALU_DEP_4)
	v_add_co_ci_u32_e32 v5, vcc_lo, v13, v5, vcc_lo
	v_min_f32_e32 v2, v2, v3
	s_delay_alu instid0(VALU_DEP_1)
	v_cvt_f64_f32_e32 v[2:3], v2
	global_store_b64 v[4:5], v[2:3], off
.LBB167_56:
	s_or_b32 exec_lo, exec_lo, s1
	v_add_nc_u32_e32 v2, 32, v0
	s_delay_alu instid0(VALU_DEP_1) | instskip(SKIP_1) | instid1(VALU_DEP_2)
	v_cmp_gt_i32_e64 s1, s16, v2
	v_ashrrev_i32_e32 v3, 31, v2
	s_and_b32 s3, s1, s4
	s_delay_alu instid0(SALU_CYCLE_1)
	s_and_saveexec_b32 s2, s3
	s_cbranch_execz .LBB167_61
; %bb.57:
	v_cmp_ne_u32_e32 vcc_lo, 1, v10
	s_cbranch_vccnz .LBB167_59
; %bb.58:
	v_lshlrev_b64 v[4:5], 3, v[2:3]
	s_delay_alu instid0(VALU_DEP_1) | instskip(NEXT) | instid1(VALU_DEP_2)
	v_add_co_u32 v4, vcc_lo, v8, v4
	v_add_co_ci_u32_e32 v5, vcc_lo, v9, v5, vcc_lo
	flat_load_b64 v[4:5], v[4:5]
	s_waitcnt vmcnt(0) lgkmcnt(0)
	v_mul_f64 v[4:5], v[4:5], s[10:11]
	s_branch .LBB167_60
.LBB167_59:
	v_mov_b32_e32 v4, 0
	v_mov_b32_e32 v5, 0
.LBB167_60:
	s_delay_alu instid0(VALU_DEP_1) | instskip(SKIP_2) | instid1(VALU_DEP_1)
	v_cvt_f32_f64_e32 v4, v[4:5]
	v_max_f32_e32 v5, v136, v136
	v_lshlrev_b64 v[6:7], 3, v[2:3]
	v_add_co_u32 v6, vcc_lo, v12, v6
	s_delay_alu instid0(VALU_DEP_2) | instskip(NEXT) | instid1(VALU_DEP_4)
	v_add_co_ci_u32_e32 v7, vcc_lo, v13, v7, vcc_lo
	v_min_f32_e32 v4, v4, v5
	s_delay_alu instid0(VALU_DEP_1)
	v_cvt_f64_f32_e32 v[4:5], v4
	global_store_b64 v[6:7], v[4:5], off
.LBB167_61:
	s_or_b32 exec_lo, exec_lo, s2
	v_add_nc_u32_e32 v4, 64, v0
	s_delay_alu instid0(VALU_DEP_1) | instskip(SKIP_1) | instid1(VALU_DEP_2)
	v_cmp_gt_i32_e64 s2, s16, v4
	v_ashrrev_i32_e32 v5, 31, v4
	s_and_b32 s7, s2, s4
	s_delay_alu instid0(SALU_CYCLE_1)
	s_and_saveexec_b32 s3, s7
	s_cbranch_execz .LBB167_66
; %bb.62:
	v_cmp_ne_u32_e32 vcc_lo, 1, v10
	s_cbranch_vccnz .LBB167_64
; %bb.63:
	v_lshlrev_b64 v[6:7], 3, v[4:5]
	s_delay_alu instid0(VALU_DEP_1) | instskip(NEXT) | instid1(VALU_DEP_2)
	v_add_co_u32 v6, vcc_lo, v8, v6
	v_add_co_ci_u32_e32 v7, vcc_lo, v9, v7, vcc_lo
	flat_load_b64 v[6:7], v[6:7]
	s_waitcnt vmcnt(0) lgkmcnt(0)
	v_mul_f64 v[6:7], v[6:7], s[10:11]
	s_branch .LBB167_65
.LBB167_64:
	v_mov_b32_e32 v6, 0
	v_mov_b32_e32 v7, 0
.LBB167_65:
	s_delay_alu instid0(VALU_DEP_1) | instskip(SKIP_2) | instid1(VALU_DEP_1)
	v_cvt_f32_f64_e32 v6, v[6:7]
	v_max_f32_e32 v7, v135, v135
	v_lshlrev_b64 v[14:15], 3, v[4:5]
	v_add_co_u32 v14, vcc_lo, v12, v14
	s_delay_alu instid0(VALU_DEP_2) | instskip(NEXT) | instid1(VALU_DEP_4)
	v_add_co_ci_u32_e32 v15, vcc_lo, v13, v15, vcc_lo
	v_min_f32_e32 v6, v6, v7
	s_delay_alu instid0(VALU_DEP_1)
	v_cvt_f64_f32_e32 v[6:7], v6
	global_store_b64 v[14:15], v[6:7], off
.LBB167_66:
	;; [unrolled: 37-line block ×3, first 2 shown]
	s_or_b32 exec_lo, exec_lo, s4
	v_add_nc_u32_e32 v14, 8, v11
	s_delay_alu instid0(VALU_DEP_1) | instskip(SKIP_2) | instid1(VALU_DEP_3)
	v_mad_i64_i32 v[8:9], null, v14, s6, 0
	v_mad_i64_i32 v[12:13], null, v14, s5, 0
	v_cmp_gt_i32_e64 s4, s17, v14
	v_lshlrev_b64 v[8:9], 3, v[8:9]
	s_delay_alu instid0(VALU_DEP_2) | instskip(NEXT) | instid1(VALU_DEP_3)
	s_and_b32 s14, s0, s4
	v_lshlrev_b64 v[12:13], 3, v[12:13]
	s_delay_alu instid0(VALU_DEP_2) | instskip(NEXT) | instid1(VALU_DEP_3)
	v_add_co_u32 v14, vcc_lo, s8, v8
	v_add_co_ci_u32_e32 v15, vcc_lo, s9, v9, vcc_lo
	s_delay_alu instid0(VALU_DEP_3) | instskip(NEXT) | instid1(VALU_DEP_4)
	v_add_co_u32 v12, vcc_lo, s12, v12
	v_add_co_ci_u32_e32 v13, vcc_lo, s13, v13, vcc_lo
	s_and_saveexec_b32 s7, s14
	s_cbranch_execnz .LBB167_75
; %bb.72:
	s_or_b32 exec_lo, exec_lo, s7
	s_and_b32 s14, s1, s4
	s_delay_alu instid0(SALU_CYCLE_1)
	s_and_saveexec_b32 s7, s14
	s_cbranch_execnz .LBB167_79
.LBB167_73:
	s_or_b32 exec_lo, exec_lo, s7
	s_and_b32 s14, s2, s4
	s_delay_alu instid0(SALU_CYCLE_1)
	s_and_saveexec_b32 s7, s14
	s_cbranch_execnz .LBB167_83
.LBB167_74:
	s_or_b32 exec_lo, exec_lo, s7
	s_and_b32 s7, s3, s4
	s_delay_alu instid0(SALU_CYCLE_1)
	s_and_saveexec_b32 s4, s7
	s_cbranch_execnz .LBB167_87
	s_branch .LBB167_91
.LBB167_75:
	v_cmp_ne_u32_e32 vcc_lo, 1, v10
	s_cbranch_vccnz .LBB167_77
; %bb.76:
	v_lshlrev_b64 v[8:9], 3, v[0:1]
	s_delay_alu instid0(VALU_DEP_1) | instskip(NEXT) | instid1(VALU_DEP_2)
	v_add_co_u32 v8, vcc_lo, v14, v8
	v_add_co_ci_u32_e32 v9, vcc_lo, v15, v9, vcc_lo
	flat_load_b64 v[8:9], v[8:9]
	s_waitcnt vmcnt(0) lgkmcnt(0)
	v_mul_f64 v[8:9], v[8:9], s[10:11]
	s_branch .LBB167_78
.LBB167_77:
	v_mov_b32_e32 v8, 0
	v_mov_b32_e32 v9, 0
.LBB167_78:
	s_delay_alu instid0(VALU_DEP_1) | instskip(SKIP_2) | instid1(VALU_DEP_1)
	v_cvt_f32_f64_e32 v8, v[8:9]
	v_max_f32_e32 v9, v133, v133
	v_lshlrev_b64 v[16:17], 3, v[0:1]
	v_add_co_u32 v16, vcc_lo, v12, v16
	s_delay_alu instid0(VALU_DEP_2) | instskip(NEXT) | instid1(VALU_DEP_4)
	v_add_co_ci_u32_e32 v17, vcc_lo, v13, v17, vcc_lo
	v_min_f32_e32 v8, v8, v9
	s_delay_alu instid0(VALU_DEP_1) | instskip(SKIP_3) | instid1(SALU_CYCLE_1)
	v_cvt_f64_f32_e32 v[8:9], v8
	global_store_b64 v[16:17], v[8:9], off
	s_or_b32 exec_lo, exec_lo, s7
	s_and_b32 s14, s1, s4
	s_and_saveexec_b32 s7, s14
	s_cbranch_execz .LBB167_73
.LBB167_79:
	v_cmp_ne_u32_e32 vcc_lo, 1, v10
	s_cbranch_vccnz .LBB167_81
; %bb.80:
	v_lshlrev_b64 v[8:9], 3, v[2:3]
	s_delay_alu instid0(VALU_DEP_1) | instskip(NEXT) | instid1(VALU_DEP_2)
	v_add_co_u32 v8, vcc_lo, v14, v8
	v_add_co_ci_u32_e32 v9, vcc_lo, v15, v9, vcc_lo
	flat_load_b64 v[8:9], v[8:9]
	s_waitcnt vmcnt(0) lgkmcnt(0)
	v_mul_f64 v[8:9], v[8:9], s[10:11]
	s_branch .LBB167_82
.LBB167_81:
	v_mov_b32_e32 v8, 0
	v_mov_b32_e32 v9, 0
.LBB167_82:
	s_delay_alu instid0(VALU_DEP_1) | instskip(SKIP_2) | instid1(VALU_DEP_1)
	v_cvt_f32_f64_e32 v8, v[8:9]
	v_max_f32_e32 v9, v132, v132
	v_lshlrev_b64 v[16:17], 3, v[2:3]
	v_add_co_u32 v16, vcc_lo, v12, v16
	s_delay_alu instid0(VALU_DEP_2) | instskip(NEXT) | instid1(VALU_DEP_4)
	v_add_co_ci_u32_e32 v17, vcc_lo, v13, v17, vcc_lo
	v_min_f32_e32 v8, v8, v9
	s_delay_alu instid0(VALU_DEP_1) | instskip(SKIP_3) | instid1(SALU_CYCLE_1)
	v_cvt_f64_f32_e32 v[8:9], v8
	global_store_b64 v[16:17], v[8:9], off
	s_or_b32 exec_lo, exec_lo, s7
	s_and_b32 s14, s2, s4
	s_and_saveexec_b32 s7, s14
	s_cbranch_execz .LBB167_74
.LBB167_83:
	v_cmp_ne_u32_e32 vcc_lo, 1, v10
	s_cbranch_vccnz .LBB167_85
; %bb.84:
	v_lshlrev_b64 v[8:9], 3, v[4:5]
	s_delay_alu instid0(VALU_DEP_1) | instskip(NEXT) | instid1(VALU_DEP_2)
	v_add_co_u32 v8, vcc_lo, v14, v8
	v_add_co_ci_u32_e32 v9, vcc_lo, v15, v9, vcc_lo
	flat_load_b64 v[8:9], v[8:9]
	s_waitcnt vmcnt(0) lgkmcnt(0)
	v_mul_f64 v[8:9], v[8:9], s[10:11]
	s_branch .LBB167_86
.LBB167_85:
	v_mov_b32_e32 v8, 0
	v_mov_b32_e32 v9, 0
.LBB167_86:
	s_delay_alu instid0(VALU_DEP_1) | instskip(SKIP_2) | instid1(VALU_DEP_1)
	v_cvt_f32_f64_e32 v8, v[8:9]
	v_max_f32_e32 v9, v131, v131
	v_lshlrev_b64 v[16:17], 3, v[4:5]
	v_add_co_u32 v16, vcc_lo, v12, v16
	s_delay_alu instid0(VALU_DEP_2) | instskip(NEXT) | instid1(VALU_DEP_4)
	v_add_co_ci_u32_e32 v17, vcc_lo, v13, v17, vcc_lo
	v_min_f32_e32 v8, v8, v9
	s_delay_alu instid0(VALU_DEP_1) | instskip(SKIP_3) | instid1(SALU_CYCLE_1)
	v_cvt_f64_f32_e32 v[8:9], v8
	global_store_b64 v[16:17], v[8:9], off
	s_or_b32 exec_lo, exec_lo, s7
	s_and_b32 s7, s3, s4
	s_and_saveexec_b32 s4, s7
	s_cbranch_execz .LBB167_91
.LBB167_87:
	v_cmp_ne_u32_e32 vcc_lo, 1, v10
	s_cbranch_vccnz .LBB167_89
; %bb.88:
	v_lshlrev_b64 v[8:9], 3, v[6:7]
	s_delay_alu instid0(VALU_DEP_1) | instskip(NEXT) | instid1(VALU_DEP_2)
	v_add_co_u32 v8, vcc_lo, v14, v8
	v_add_co_ci_u32_e32 v9, vcc_lo, v15, v9, vcc_lo
	flat_load_b64 v[8:9], v[8:9]
	s_waitcnt vmcnt(0) lgkmcnt(0)
	v_mul_f64 v[8:9], v[8:9], s[10:11]
	s_branch .LBB167_90
.LBB167_89:
	v_mov_b32_e32 v8, 0
	v_mov_b32_e32 v9, 0
.LBB167_90:
	s_delay_alu instid0(VALU_DEP_1) | instskip(SKIP_2) | instid1(VALU_DEP_1)
	v_cvt_f32_f64_e32 v8, v[8:9]
	v_max_f32_e32 v9, v129, v129
	v_lshlrev_b64 v[14:15], 3, v[6:7]
	v_add_co_u32 v12, vcc_lo, v12, v14
	s_delay_alu instid0(VALU_DEP_2) | instskip(NEXT) | instid1(VALU_DEP_4)
	v_add_co_ci_u32_e32 v13, vcc_lo, v13, v15, vcc_lo
	v_min_f32_e32 v8, v8, v9
	s_delay_alu instid0(VALU_DEP_1)
	v_cvt_f64_f32_e32 v[8:9], v8
	global_store_b64 v[12:13], v[8:9], off
.LBB167_91:
	s_or_b32 exec_lo, exec_lo, s4
	v_add_nc_u32_e32 v14, 16, v11
	s_delay_alu instid0(VALU_DEP_1) | instskip(SKIP_2) | instid1(VALU_DEP_3)
	v_mad_i64_i32 v[8:9], null, v14, s6, 0
	v_mad_i64_i32 v[12:13], null, v14, s5, 0
	v_cmp_gt_i32_e64 s4, s17, v14
	v_lshlrev_b64 v[8:9], 3, v[8:9]
	s_delay_alu instid0(VALU_DEP_2) | instskip(NEXT) | instid1(VALU_DEP_3)
	s_and_b32 s14, s0, s4
	v_lshlrev_b64 v[12:13], 3, v[12:13]
	s_delay_alu instid0(VALU_DEP_2) | instskip(NEXT) | instid1(VALU_DEP_3)
	v_add_co_u32 v14, vcc_lo, s8, v8
	v_add_co_ci_u32_e32 v15, vcc_lo, s9, v9, vcc_lo
	s_delay_alu instid0(VALU_DEP_3) | instskip(NEXT) | instid1(VALU_DEP_4)
	v_add_co_u32 v12, vcc_lo, s12, v12
	v_add_co_ci_u32_e32 v13, vcc_lo, s13, v13, vcc_lo
	s_and_saveexec_b32 s7, s14
	s_cbranch_execnz .LBB167_95
; %bb.92:
	s_or_b32 exec_lo, exec_lo, s7
	s_and_b32 s14, s1, s4
	s_delay_alu instid0(SALU_CYCLE_1)
	s_and_saveexec_b32 s7, s14
	s_cbranch_execnz .LBB167_99
.LBB167_93:
	s_or_b32 exec_lo, exec_lo, s7
	s_and_b32 s14, s2, s4
	s_delay_alu instid0(SALU_CYCLE_1)
	s_and_saveexec_b32 s7, s14
	s_cbranch_execnz .LBB167_103
.LBB167_94:
	s_or_b32 exec_lo, exec_lo, s7
	s_and_b32 s7, s3, s4
	s_delay_alu instid0(SALU_CYCLE_1)
	s_and_saveexec_b32 s4, s7
	s_cbranch_execnz .LBB167_107
	s_branch .LBB167_111
.LBB167_95:
	v_cmp_ne_u32_e32 vcc_lo, 1, v10
	s_cbranch_vccnz .LBB167_97
; %bb.96:
	v_lshlrev_b64 v[8:9], 3, v[0:1]
	s_delay_alu instid0(VALU_DEP_1) | instskip(NEXT) | instid1(VALU_DEP_2)
	v_add_co_u32 v8, vcc_lo, v14, v8
	v_add_co_ci_u32_e32 v9, vcc_lo, v15, v9, vcc_lo
	flat_load_b64 v[8:9], v[8:9]
	s_waitcnt vmcnt(0) lgkmcnt(0)
	v_mul_f64 v[8:9], v[8:9], s[10:11]
	s_branch .LBB167_98
.LBB167_97:
	v_mov_b32_e32 v8, 0
	v_mov_b32_e32 v9, 0
.LBB167_98:
	s_delay_alu instid0(VALU_DEP_1) | instskip(SKIP_2) | instid1(VALU_DEP_1)
	v_cvt_f32_f64_e32 v8, v[8:9]
	v_max_f32_e32 v9, v127, v127
	v_lshlrev_b64 v[16:17], 3, v[0:1]
	v_add_co_u32 v16, vcc_lo, v12, v16
	s_delay_alu instid0(VALU_DEP_2) | instskip(NEXT) | instid1(VALU_DEP_4)
	v_add_co_ci_u32_e32 v17, vcc_lo, v13, v17, vcc_lo
	v_min_f32_e32 v8, v8, v9
	s_delay_alu instid0(VALU_DEP_1) | instskip(SKIP_3) | instid1(SALU_CYCLE_1)
	v_cvt_f64_f32_e32 v[8:9], v8
	global_store_b64 v[16:17], v[8:9], off
	s_or_b32 exec_lo, exec_lo, s7
	s_and_b32 s14, s1, s4
	s_and_saveexec_b32 s7, s14
	s_cbranch_execz .LBB167_93
.LBB167_99:
	v_cmp_ne_u32_e32 vcc_lo, 1, v10
	s_cbranch_vccnz .LBB167_101
; %bb.100:
	v_lshlrev_b64 v[8:9], 3, v[2:3]
	s_delay_alu instid0(VALU_DEP_1) | instskip(NEXT) | instid1(VALU_DEP_2)
	v_add_co_u32 v8, vcc_lo, v14, v8
	v_add_co_ci_u32_e32 v9, vcc_lo, v15, v9, vcc_lo
	flat_load_b64 v[8:9], v[8:9]
	s_waitcnt vmcnt(0) lgkmcnt(0)
	v_mul_f64 v[8:9], v[8:9], s[10:11]
	s_branch .LBB167_102
.LBB167_101:
	v_mov_b32_e32 v8, 0
	v_mov_b32_e32 v9, 0
.LBB167_102:
	s_delay_alu instid0(VALU_DEP_1) | instskip(SKIP_2) | instid1(VALU_DEP_1)
	v_cvt_f32_f64_e32 v8, v[8:9]
	v_max_f32_e32 v9, v126, v126
	v_lshlrev_b64 v[16:17], 3, v[2:3]
	v_add_co_u32 v16, vcc_lo, v12, v16
	s_delay_alu instid0(VALU_DEP_2) | instskip(NEXT) | instid1(VALU_DEP_4)
	v_add_co_ci_u32_e32 v17, vcc_lo, v13, v17, vcc_lo
	v_min_f32_e32 v8, v8, v9
	s_delay_alu instid0(VALU_DEP_1) | instskip(SKIP_3) | instid1(SALU_CYCLE_1)
	v_cvt_f64_f32_e32 v[8:9], v8
	global_store_b64 v[16:17], v[8:9], off
	s_or_b32 exec_lo, exec_lo, s7
	s_and_b32 s14, s2, s4
	s_and_saveexec_b32 s7, s14
	s_cbranch_execz .LBB167_94
.LBB167_103:
	v_cmp_ne_u32_e32 vcc_lo, 1, v10
	s_cbranch_vccnz .LBB167_105
; %bb.104:
	v_lshlrev_b64 v[8:9], 3, v[4:5]
	s_delay_alu instid0(VALU_DEP_1) | instskip(NEXT) | instid1(VALU_DEP_2)
	v_add_co_u32 v8, vcc_lo, v14, v8
	v_add_co_ci_u32_e32 v9, vcc_lo, v15, v9, vcc_lo
	flat_load_b64 v[8:9], v[8:9]
	s_waitcnt vmcnt(0) lgkmcnt(0)
	v_mul_f64 v[8:9], v[8:9], s[10:11]
	s_branch .LBB167_106
.LBB167_105:
	v_mov_b32_e32 v8, 0
	v_mov_b32_e32 v9, 0
.LBB167_106:
	s_delay_alu instid0(VALU_DEP_1) | instskip(SKIP_2) | instid1(VALU_DEP_1)
	v_cvt_f32_f64_e32 v8, v[8:9]
	v_max_f32_e32 v9, v125, v125
	v_lshlrev_b64 v[16:17], 3, v[4:5]
	v_add_co_u32 v16, vcc_lo, v12, v16
	s_delay_alu instid0(VALU_DEP_2) | instskip(NEXT) | instid1(VALU_DEP_4)
	v_add_co_ci_u32_e32 v17, vcc_lo, v13, v17, vcc_lo
	v_min_f32_e32 v8, v8, v9
	s_delay_alu instid0(VALU_DEP_1) | instskip(SKIP_3) | instid1(SALU_CYCLE_1)
	v_cvt_f64_f32_e32 v[8:9], v8
	global_store_b64 v[16:17], v[8:9], off
	s_or_b32 exec_lo, exec_lo, s7
	s_and_b32 s7, s3, s4
	s_and_saveexec_b32 s4, s7
	s_cbranch_execz .LBB167_111
.LBB167_107:
	v_cmp_ne_u32_e32 vcc_lo, 1, v10
	s_cbranch_vccnz .LBB167_109
; %bb.108:
	v_lshlrev_b64 v[8:9], 3, v[6:7]
	s_delay_alu instid0(VALU_DEP_1) | instskip(NEXT) | instid1(VALU_DEP_2)
	v_add_co_u32 v8, vcc_lo, v14, v8
	v_add_co_ci_u32_e32 v9, vcc_lo, v15, v9, vcc_lo
	flat_load_b64 v[8:9], v[8:9]
	s_waitcnt vmcnt(0) lgkmcnt(0)
	v_mul_f64 v[8:9], v[8:9], s[10:11]
	s_branch .LBB167_110
.LBB167_109:
	v_mov_b32_e32 v8, 0
	v_mov_b32_e32 v9, 0
.LBB167_110:
	s_delay_alu instid0(VALU_DEP_1) | instskip(SKIP_2) | instid1(VALU_DEP_1)
	v_cvt_f32_f64_e32 v8, v[8:9]
	v_max_f32_e32 v9, v124, v124
	v_lshlrev_b64 v[14:15], 3, v[6:7]
	v_add_co_u32 v12, vcc_lo, v12, v14
	s_delay_alu instid0(VALU_DEP_2) | instskip(NEXT) | instid1(VALU_DEP_4)
	v_add_co_ci_u32_e32 v13, vcc_lo, v13, v15, vcc_lo
	v_min_f32_e32 v8, v8, v9
	s_delay_alu instid0(VALU_DEP_1)
	v_cvt_f64_f32_e32 v[8:9], v8
	global_store_b64 v[12:13], v[8:9], off
.LBB167_111:
	s_or_b32 exec_lo, exec_lo, s4
	v_add_nc_u32_e32 v14, 24, v11
	s_delay_alu instid0(VALU_DEP_1) | instskip(SKIP_2) | instid1(VALU_DEP_3)
	v_mad_i64_i32 v[8:9], null, v14, s6, 0
	v_mad_i64_i32 v[12:13], null, v14, s5, 0
	v_cmp_gt_i32_e64 s4, s17, v14
	v_lshlrev_b64 v[8:9], 3, v[8:9]
	s_delay_alu instid0(VALU_DEP_2) | instskip(NEXT) | instid1(VALU_DEP_3)
	s_and_b32 s14, s0, s4
	v_lshlrev_b64 v[12:13], 3, v[12:13]
	s_delay_alu instid0(VALU_DEP_2) | instskip(NEXT) | instid1(VALU_DEP_3)
	v_add_co_u32 v14, vcc_lo, s8, v8
	v_add_co_ci_u32_e32 v15, vcc_lo, s9, v9, vcc_lo
	s_delay_alu instid0(VALU_DEP_3) | instskip(NEXT) | instid1(VALU_DEP_4)
	v_add_co_u32 v12, vcc_lo, s12, v12
	v_add_co_ci_u32_e32 v13, vcc_lo, s13, v13, vcc_lo
	s_and_saveexec_b32 s7, s14
	s_cbranch_execnz .LBB167_115
; %bb.112:
	s_or_b32 exec_lo, exec_lo, s7
	s_and_b32 s14, s1, s4
	s_delay_alu instid0(SALU_CYCLE_1)
	s_and_saveexec_b32 s7, s14
	s_cbranch_execnz .LBB167_119
.LBB167_113:
	s_or_b32 exec_lo, exec_lo, s7
	s_and_b32 s14, s2, s4
	s_delay_alu instid0(SALU_CYCLE_1)
	s_and_saveexec_b32 s7, s14
	s_cbranch_execnz .LBB167_123
.LBB167_114:
	s_or_b32 exec_lo, exec_lo, s7
	s_and_b32 s7, s3, s4
	s_delay_alu instid0(SALU_CYCLE_1)
	s_and_saveexec_b32 s4, s7
	s_cbranch_execnz .LBB167_127
	s_branch .LBB167_131
.LBB167_115:
	v_cmp_ne_u32_e32 vcc_lo, 1, v10
	s_cbranch_vccnz .LBB167_117
; %bb.116:
	v_lshlrev_b64 v[8:9], 3, v[0:1]
	s_delay_alu instid0(VALU_DEP_1) | instskip(NEXT) | instid1(VALU_DEP_2)
	v_add_co_u32 v8, vcc_lo, v14, v8
	v_add_co_ci_u32_e32 v9, vcc_lo, v15, v9, vcc_lo
	flat_load_b64 v[8:9], v[8:9]
	s_waitcnt vmcnt(0) lgkmcnt(0)
	v_mul_f64 v[8:9], v[8:9], s[10:11]
	s_branch .LBB167_118
.LBB167_117:
	v_mov_b32_e32 v8, 0
	v_mov_b32_e32 v9, 0
.LBB167_118:
	s_delay_alu instid0(VALU_DEP_1) | instskip(SKIP_2) | instid1(VALU_DEP_1)
	v_cvt_f32_f64_e32 v8, v[8:9]
	v_max_f32_e32 v9, v123, v123
	v_lshlrev_b64 v[16:17], 3, v[0:1]
	v_add_co_u32 v16, vcc_lo, v12, v16
	s_delay_alu instid0(VALU_DEP_2) | instskip(NEXT) | instid1(VALU_DEP_4)
	v_add_co_ci_u32_e32 v17, vcc_lo, v13, v17, vcc_lo
	v_min_f32_e32 v8, v8, v9
	s_delay_alu instid0(VALU_DEP_1) | instskip(SKIP_3) | instid1(SALU_CYCLE_1)
	v_cvt_f64_f32_e32 v[8:9], v8
	global_store_b64 v[16:17], v[8:9], off
	s_or_b32 exec_lo, exec_lo, s7
	s_and_b32 s14, s1, s4
	s_and_saveexec_b32 s7, s14
	s_cbranch_execz .LBB167_113
.LBB167_119:
	v_cmp_ne_u32_e32 vcc_lo, 1, v10
	s_cbranch_vccnz .LBB167_121
; %bb.120:
	v_lshlrev_b64 v[8:9], 3, v[2:3]
	s_delay_alu instid0(VALU_DEP_1) | instskip(NEXT) | instid1(VALU_DEP_2)
	v_add_co_u32 v8, vcc_lo, v14, v8
	v_add_co_ci_u32_e32 v9, vcc_lo, v15, v9, vcc_lo
	flat_load_b64 v[8:9], v[8:9]
	s_waitcnt vmcnt(0) lgkmcnt(0)
	v_mul_f64 v[8:9], v[8:9], s[10:11]
	s_branch .LBB167_122
.LBB167_121:
	v_mov_b32_e32 v8, 0
	v_mov_b32_e32 v9, 0
.LBB167_122:
	s_delay_alu instid0(VALU_DEP_1) | instskip(SKIP_2) | instid1(VALU_DEP_1)
	v_cvt_f32_f64_e32 v8, v[8:9]
	v_max_f32_e32 v9, v122, v122
	v_lshlrev_b64 v[16:17], 3, v[2:3]
	v_add_co_u32 v16, vcc_lo, v12, v16
	s_delay_alu instid0(VALU_DEP_2) | instskip(NEXT) | instid1(VALU_DEP_4)
	v_add_co_ci_u32_e32 v17, vcc_lo, v13, v17, vcc_lo
	v_min_f32_e32 v8, v8, v9
	s_delay_alu instid0(VALU_DEP_1) | instskip(SKIP_3) | instid1(SALU_CYCLE_1)
	v_cvt_f64_f32_e32 v[8:9], v8
	global_store_b64 v[16:17], v[8:9], off
	s_or_b32 exec_lo, exec_lo, s7
	s_and_b32 s14, s2, s4
	s_and_saveexec_b32 s7, s14
	s_cbranch_execz .LBB167_114
.LBB167_123:
	v_cmp_ne_u32_e32 vcc_lo, 1, v10
	s_cbranch_vccnz .LBB167_125
; %bb.124:
	v_lshlrev_b64 v[8:9], 3, v[4:5]
	s_delay_alu instid0(VALU_DEP_1) | instskip(NEXT) | instid1(VALU_DEP_2)
	v_add_co_u32 v8, vcc_lo, v14, v8
	v_add_co_ci_u32_e32 v9, vcc_lo, v15, v9, vcc_lo
	flat_load_b64 v[8:9], v[8:9]
	s_waitcnt vmcnt(0) lgkmcnt(0)
	v_mul_f64 v[8:9], v[8:9], s[10:11]
	s_branch .LBB167_126
.LBB167_125:
	v_mov_b32_e32 v8, 0
	v_mov_b32_e32 v9, 0
.LBB167_126:
	s_delay_alu instid0(VALU_DEP_1) | instskip(SKIP_2) | instid1(VALU_DEP_1)
	v_cvt_f32_f64_e32 v8, v[8:9]
	v_max_f32_e32 v9, v121, v121
	v_lshlrev_b64 v[16:17], 3, v[4:5]
	v_add_co_u32 v16, vcc_lo, v12, v16
	s_delay_alu instid0(VALU_DEP_2) | instskip(NEXT) | instid1(VALU_DEP_4)
	v_add_co_ci_u32_e32 v17, vcc_lo, v13, v17, vcc_lo
	v_min_f32_e32 v8, v8, v9
	s_delay_alu instid0(VALU_DEP_1) | instskip(SKIP_3) | instid1(SALU_CYCLE_1)
	v_cvt_f64_f32_e32 v[8:9], v8
	global_store_b64 v[16:17], v[8:9], off
	s_or_b32 exec_lo, exec_lo, s7
	s_and_b32 s7, s3, s4
	s_and_saveexec_b32 s4, s7
	s_cbranch_execz .LBB167_131
.LBB167_127:
	v_cmp_ne_u32_e32 vcc_lo, 1, v10
	s_cbranch_vccnz .LBB167_129
; %bb.128:
	v_lshlrev_b64 v[8:9], 3, v[6:7]
	s_delay_alu instid0(VALU_DEP_1) | instskip(NEXT) | instid1(VALU_DEP_2)
	v_add_co_u32 v8, vcc_lo, v14, v8
	v_add_co_ci_u32_e32 v9, vcc_lo, v15, v9, vcc_lo
	flat_load_b64 v[8:9], v[8:9]
	s_waitcnt vmcnt(0) lgkmcnt(0)
	v_mul_f64 v[8:9], v[8:9], s[10:11]
	s_branch .LBB167_130
.LBB167_129:
	v_mov_b32_e32 v8, 0
	v_mov_b32_e32 v9, 0
.LBB167_130:
	s_delay_alu instid0(VALU_DEP_1) | instskip(SKIP_2) | instid1(VALU_DEP_1)
	v_cvt_f32_f64_e32 v8, v[8:9]
	v_max_f32_e32 v9, v120, v120
	v_lshlrev_b64 v[14:15], 3, v[6:7]
	v_add_co_u32 v12, vcc_lo, v12, v14
	s_delay_alu instid0(VALU_DEP_2) | instskip(NEXT) | instid1(VALU_DEP_4)
	v_add_co_ci_u32_e32 v13, vcc_lo, v13, v15, vcc_lo
	v_min_f32_e32 v8, v8, v9
	s_delay_alu instid0(VALU_DEP_1)
	v_cvt_f64_f32_e32 v[8:9], v8
	global_store_b64 v[12:13], v[8:9], off
.LBB167_131:
	s_or_b32 exec_lo, exec_lo, s4
	v_add_nc_u32_e32 v14, 32, v11
	s_delay_alu instid0(VALU_DEP_1) | instskip(SKIP_2) | instid1(VALU_DEP_3)
	v_mad_i64_i32 v[8:9], null, v14, s6, 0
	v_mad_i64_i32 v[12:13], null, v14, s5, 0
	v_cmp_gt_i32_e64 s4, s17, v14
	v_lshlrev_b64 v[8:9], 3, v[8:9]
	s_delay_alu instid0(VALU_DEP_2) | instskip(NEXT) | instid1(VALU_DEP_3)
	s_and_b32 s14, s0, s4
	v_lshlrev_b64 v[12:13], 3, v[12:13]
	s_delay_alu instid0(VALU_DEP_2) | instskip(NEXT) | instid1(VALU_DEP_3)
	v_add_co_u32 v14, vcc_lo, s8, v8
	v_add_co_ci_u32_e32 v15, vcc_lo, s9, v9, vcc_lo
	s_delay_alu instid0(VALU_DEP_3) | instskip(NEXT) | instid1(VALU_DEP_4)
	v_add_co_u32 v12, vcc_lo, s12, v12
	v_add_co_ci_u32_e32 v13, vcc_lo, s13, v13, vcc_lo
	s_and_saveexec_b32 s7, s14
	s_cbranch_execnz .LBB167_135
; %bb.132:
	s_or_b32 exec_lo, exec_lo, s7
	s_and_b32 s14, s1, s4
	s_delay_alu instid0(SALU_CYCLE_1)
	s_and_saveexec_b32 s7, s14
	s_cbranch_execnz .LBB167_139
.LBB167_133:
	s_or_b32 exec_lo, exec_lo, s7
	s_and_b32 s14, s2, s4
	s_delay_alu instid0(SALU_CYCLE_1)
	s_and_saveexec_b32 s7, s14
	s_cbranch_execnz .LBB167_143
.LBB167_134:
	s_or_b32 exec_lo, exec_lo, s7
	s_and_b32 s7, s3, s4
	s_delay_alu instid0(SALU_CYCLE_1)
	s_and_saveexec_b32 s4, s7
	s_cbranch_execnz .LBB167_147
	s_branch .LBB167_151
.LBB167_135:
	v_cmp_ne_u32_e32 vcc_lo, 1, v10
	s_cbranch_vccnz .LBB167_137
; %bb.136:
	v_lshlrev_b64 v[8:9], 3, v[0:1]
	s_delay_alu instid0(VALU_DEP_1) | instskip(NEXT) | instid1(VALU_DEP_2)
	v_add_co_u32 v8, vcc_lo, v14, v8
	v_add_co_ci_u32_e32 v9, vcc_lo, v15, v9, vcc_lo
	flat_load_b64 v[8:9], v[8:9]
	s_waitcnt vmcnt(0) lgkmcnt(0)
	v_mul_f64 v[8:9], v[8:9], s[10:11]
	s_branch .LBB167_138
.LBB167_137:
	v_mov_b32_e32 v8, 0
	v_mov_b32_e32 v9, 0
.LBB167_138:
	s_delay_alu instid0(VALU_DEP_1) | instskip(SKIP_2) | instid1(VALU_DEP_1)
	v_cvt_f32_f64_e32 v8, v[8:9]
	v_max_f32_e32 v9, v119, v119
	v_lshlrev_b64 v[16:17], 3, v[0:1]
	v_add_co_u32 v16, vcc_lo, v12, v16
	s_delay_alu instid0(VALU_DEP_2) | instskip(NEXT) | instid1(VALU_DEP_4)
	v_add_co_ci_u32_e32 v17, vcc_lo, v13, v17, vcc_lo
	v_min_f32_e32 v8, v8, v9
	s_delay_alu instid0(VALU_DEP_1) | instskip(SKIP_3) | instid1(SALU_CYCLE_1)
	v_cvt_f64_f32_e32 v[8:9], v8
	global_store_b64 v[16:17], v[8:9], off
	s_or_b32 exec_lo, exec_lo, s7
	s_and_b32 s14, s1, s4
	s_and_saveexec_b32 s7, s14
	s_cbranch_execz .LBB167_133
.LBB167_139:
	v_cmp_ne_u32_e32 vcc_lo, 1, v10
	s_cbranch_vccnz .LBB167_141
; %bb.140:
	v_lshlrev_b64 v[8:9], 3, v[2:3]
	s_delay_alu instid0(VALU_DEP_1) | instskip(NEXT) | instid1(VALU_DEP_2)
	v_add_co_u32 v8, vcc_lo, v14, v8
	v_add_co_ci_u32_e32 v9, vcc_lo, v15, v9, vcc_lo
	flat_load_b64 v[8:9], v[8:9]
	s_waitcnt vmcnt(0) lgkmcnt(0)
	v_mul_f64 v[8:9], v[8:9], s[10:11]
	s_branch .LBB167_142
.LBB167_141:
	v_mov_b32_e32 v8, 0
	v_mov_b32_e32 v9, 0
.LBB167_142:
	s_delay_alu instid0(VALU_DEP_1) | instskip(SKIP_2) | instid1(VALU_DEP_1)
	v_cvt_f32_f64_e32 v8, v[8:9]
	v_max_f32_e32 v9, v118, v118
	v_lshlrev_b64 v[16:17], 3, v[2:3]
	v_add_co_u32 v16, vcc_lo, v12, v16
	s_delay_alu instid0(VALU_DEP_2) | instskip(NEXT) | instid1(VALU_DEP_4)
	v_add_co_ci_u32_e32 v17, vcc_lo, v13, v17, vcc_lo
	v_min_f32_e32 v8, v8, v9
	s_delay_alu instid0(VALU_DEP_1) | instskip(SKIP_3) | instid1(SALU_CYCLE_1)
	v_cvt_f64_f32_e32 v[8:9], v8
	global_store_b64 v[16:17], v[8:9], off
	s_or_b32 exec_lo, exec_lo, s7
	s_and_b32 s14, s2, s4
	s_and_saveexec_b32 s7, s14
	s_cbranch_execz .LBB167_134
.LBB167_143:
	v_cmp_ne_u32_e32 vcc_lo, 1, v10
	s_cbranch_vccnz .LBB167_145
; %bb.144:
	v_lshlrev_b64 v[8:9], 3, v[4:5]
	s_delay_alu instid0(VALU_DEP_1) | instskip(NEXT) | instid1(VALU_DEP_2)
	v_add_co_u32 v8, vcc_lo, v14, v8
	v_add_co_ci_u32_e32 v9, vcc_lo, v15, v9, vcc_lo
	flat_load_b64 v[8:9], v[8:9]
	s_waitcnt vmcnt(0) lgkmcnt(0)
	v_mul_f64 v[8:9], v[8:9], s[10:11]
	s_branch .LBB167_146
.LBB167_145:
	v_mov_b32_e32 v8, 0
	v_mov_b32_e32 v9, 0
.LBB167_146:
	s_delay_alu instid0(VALU_DEP_1) | instskip(SKIP_2) | instid1(VALU_DEP_1)
	v_cvt_f32_f64_e32 v8, v[8:9]
	v_max_f32_e32 v9, v117, v117
	v_lshlrev_b64 v[16:17], 3, v[4:5]
	v_add_co_u32 v16, vcc_lo, v12, v16
	s_delay_alu instid0(VALU_DEP_2) | instskip(NEXT) | instid1(VALU_DEP_4)
	v_add_co_ci_u32_e32 v17, vcc_lo, v13, v17, vcc_lo
	v_min_f32_e32 v8, v8, v9
	s_delay_alu instid0(VALU_DEP_1) | instskip(SKIP_3) | instid1(SALU_CYCLE_1)
	v_cvt_f64_f32_e32 v[8:9], v8
	global_store_b64 v[16:17], v[8:9], off
	s_or_b32 exec_lo, exec_lo, s7
	s_and_b32 s7, s3, s4
	s_and_saveexec_b32 s4, s7
	s_cbranch_execz .LBB167_151
.LBB167_147:
	v_cmp_ne_u32_e32 vcc_lo, 1, v10
	s_cbranch_vccnz .LBB167_149
; %bb.148:
	v_lshlrev_b64 v[8:9], 3, v[6:7]
	s_delay_alu instid0(VALU_DEP_1) | instskip(NEXT) | instid1(VALU_DEP_2)
	v_add_co_u32 v8, vcc_lo, v14, v8
	v_add_co_ci_u32_e32 v9, vcc_lo, v15, v9, vcc_lo
	flat_load_b64 v[8:9], v[8:9]
	s_waitcnt vmcnt(0) lgkmcnt(0)
	v_mul_f64 v[8:9], v[8:9], s[10:11]
	s_branch .LBB167_150
.LBB167_149:
	v_mov_b32_e32 v8, 0
	v_mov_b32_e32 v9, 0
.LBB167_150:
	s_delay_alu instid0(VALU_DEP_1) | instskip(SKIP_2) | instid1(VALU_DEP_1)
	v_cvt_f32_f64_e32 v8, v[8:9]
	v_max_f32_e32 v9, v116, v116
	v_lshlrev_b64 v[14:15], 3, v[6:7]
	v_add_co_u32 v12, vcc_lo, v12, v14
	s_delay_alu instid0(VALU_DEP_2) | instskip(NEXT) | instid1(VALU_DEP_4)
	v_add_co_ci_u32_e32 v13, vcc_lo, v13, v15, vcc_lo
	v_min_f32_e32 v8, v8, v9
	s_delay_alu instid0(VALU_DEP_1)
	v_cvt_f64_f32_e32 v[8:9], v8
	global_store_b64 v[12:13], v[8:9], off
.LBB167_151:
	s_or_b32 exec_lo, exec_lo, s4
	v_add_nc_u32_e32 v14, 40, v11
	s_delay_alu instid0(VALU_DEP_1) | instskip(SKIP_2) | instid1(VALU_DEP_3)
	v_mad_i64_i32 v[8:9], null, v14, s6, 0
	v_mad_i64_i32 v[12:13], null, v14, s5, 0
	v_cmp_gt_i32_e64 s4, s17, v14
	v_lshlrev_b64 v[8:9], 3, v[8:9]
	s_delay_alu instid0(VALU_DEP_2) | instskip(NEXT) | instid1(VALU_DEP_3)
	s_and_b32 s14, s0, s4
	v_lshlrev_b64 v[12:13], 3, v[12:13]
	s_delay_alu instid0(VALU_DEP_2) | instskip(NEXT) | instid1(VALU_DEP_3)
	v_add_co_u32 v14, vcc_lo, s8, v8
	v_add_co_ci_u32_e32 v15, vcc_lo, s9, v9, vcc_lo
	s_delay_alu instid0(VALU_DEP_3) | instskip(NEXT) | instid1(VALU_DEP_4)
	v_add_co_u32 v12, vcc_lo, s12, v12
	v_add_co_ci_u32_e32 v13, vcc_lo, s13, v13, vcc_lo
	s_and_saveexec_b32 s7, s14
	s_cbranch_execnz .LBB167_155
; %bb.152:
	s_or_b32 exec_lo, exec_lo, s7
	s_and_b32 s14, s1, s4
	s_delay_alu instid0(SALU_CYCLE_1)
	s_and_saveexec_b32 s7, s14
	s_cbranch_execnz .LBB167_159
.LBB167_153:
	s_or_b32 exec_lo, exec_lo, s7
	s_and_b32 s14, s2, s4
	s_delay_alu instid0(SALU_CYCLE_1)
	s_and_saveexec_b32 s7, s14
	s_cbranch_execnz .LBB167_163
.LBB167_154:
	s_or_b32 exec_lo, exec_lo, s7
	s_and_b32 s7, s3, s4
	s_delay_alu instid0(SALU_CYCLE_1)
	s_and_saveexec_b32 s4, s7
	s_cbranch_execnz .LBB167_167
	s_branch .LBB167_171
.LBB167_155:
	v_cmp_ne_u32_e32 vcc_lo, 1, v10
	s_cbranch_vccnz .LBB167_157
; %bb.156:
	v_lshlrev_b64 v[8:9], 3, v[0:1]
	s_delay_alu instid0(VALU_DEP_1) | instskip(NEXT) | instid1(VALU_DEP_2)
	v_add_co_u32 v8, vcc_lo, v14, v8
	v_add_co_ci_u32_e32 v9, vcc_lo, v15, v9, vcc_lo
	flat_load_b64 v[8:9], v[8:9]
	s_waitcnt vmcnt(0) lgkmcnt(0)
	v_mul_f64 v[8:9], v[8:9], s[10:11]
	s_branch .LBB167_158
.LBB167_157:
	v_mov_b32_e32 v8, 0
	v_mov_b32_e32 v9, 0
.LBB167_158:
	s_delay_alu instid0(VALU_DEP_1) | instskip(SKIP_2) | instid1(VALU_DEP_1)
	v_cvt_f32_f64_e32 v8, v[8:9]
	v_max_f32_e32 v9, v115, v115
	v_lshlrev_b64 v[16:17], 3, v[0:1]
	v_add_co_u32 v16, vcc_lo, v12, v16
	s_delay_alu instid0(VALU_DEP_2) | instskip(NEXT) | instid1(VALU_DEP_4)
	v_add_co_ci_u32_e32 v17, vcc_lo, v13, v17, vcc_lo
	v_min_f32_e32 v8, v8, v9
	s_delay_alu instid0(VALU_DEP_1) | instskip(SKIP_3) | instid1(SALU_CYCLE_1)
	v_cvt_f64_f32_e32 v[8:9], v8
	global_store_b64 v[16:17], v[8:9], off
	s_or_b32 exec_lo, exec_lo, s7
	s_and_b32 s14, s1, s4
	s_and_saveexec_b32 s7, s14
	s_cbranch_execz .LBB167_153
.LBB167_159:
	v_cmp_ne_u32_e32 vcc_lo, 1, v10
	s_cbranch_vccnz .LBB167_161
; %bb.160:
	v_lshlrev_b64 v[8:9], 3, v[2:3]
	s_delay_alu instid0(VALU_DEP_1) | instskip(NEXT) | instid1(VALU_DEP_2)
	v_add_co_u32 v8, vcc_lo, v14, v8
	v_add_co_ci_u32_e32 v9, vcc_lo, v15, v9, vcc_lo
	flat_load_b64 v[8:9], v[8:9]
	s_waitcnt vmcnt(0) lgkmcnt(0)
	v_mul_f64 v[8:9], v[8:9], s[10:11]
	s_branch .LBB167_162
.LBB167_161:
	v_mov_b32_e32 v8, 0
	v_mov_b32_e32 v9, 0
.LBB167_162:
	s_delay_alu instid0(VALU_DEP_1) | instskip(SKIP_2) | instid1(VALU_DEP_1)
	v_cvt_f32_f64_e32 v8, v[8:9]
	v_max_f32_e32 v9, v114, v114
	v_lshlrev_b64 v[16:17], 3, v[2:3]
	v_add_co_u32 v16, vcc_lo, v12, v16
	s_delay_alu instid0(VALU_DEP_2) | instskip(NEXT) | instid1(VALU_DEP_4)
	v_add_co_ci_u32_e32 v17, vcc_lo, v13, v17, vcc_lo
	v_min_f32_e32 v8, v8, v9
	s_delay_alu instid0(VALU_DEP_1) | instskip(SKIP_3) | instid1(SALU_CYCLE_1)
	v_cvt_f64_f32_e32 v[8:9], v8
	global_store_b64 v[16:17], v[8:9], off
	s_or_b32 exec_lo, exec_lo, s7
	s_and_b32 s14, s2, s4
	s_and_saveexec_b32 s7, s14
	s_cbranch_execz .LBB167_154
.LBB167_163:
	v_cmp_ne_u32_e32 vcc_lo, 1, v10
	s_cbranch_vccnz .LBB167_165
; %bb.164:
	v_lshlrev_b64 v[8:9], 3, v[4:5]
	s_delay_alu instid0(VALU_DEP_1) | instskip(NEXT) | instid1(VALU_DEP_2)
	v_add_co_u32 v8, vcc_lo, v14, v8
	v_add_co_ci_u32_e32 v9, vcc_lo, v15, v9, vcc_lo
	flat_load_b64 v[8:9], v[8:9]
	s_waitcnt vmcnt(0) lgkmcnt(0)
	v_mul_f64 v[8:9], v[8:9], s[10:11]
	s_branch .LBB167_166
.LBB167_165:
	v_mov_b32_e32 v8, 0
	v_mov_b32_e32 v9, 0
.LBB167_166:
	s_delay_alu instid0(VALU_DEP_1) | instskip(SKIP_2) | instid1(VALU_DEP_1)
	v_cvt_f32_f64_e32 v8, v[8:9]
	v_max_f32_e32 v9, v113, v113
	v_lshlrev_b64 v[16:17], 3, v[4:5]
	v_add_co_u32 v16, vcc_lo, v12, v16
	s_delay_alu instid0(VALU_DEP_2) | instskip(NEXT) | instid1(VALU_DEP_4)
	v_add_co_ci_u32_e32 v17, vcc_lo, v13, v17, vcc_lo
	v_min_f32_e32 v8, v8, v9
	s_delay_alu instid0(VALU_DEP_1) | instskip(SKIP_3) | instid1(SALU_CYCLE_1)
	v_cvt_f64_f32_e32 v[8:9], v8
	global_store_b64 v[16:17], v[8:9], off
	s_or_b32 exec_lo, exec_lo, s7
	s_and_b32 s7, s3, s4
	s_and_saveexec_b32 s4, s7
	s_cbranch_execz .LBB167_171
.LBB167_167:
	v_cmp_ne_u32_e32 vcc_lo, 1, v10
	s_cbranch_vccnz .LBB167_169
; %bb.168:
	v_lshlrev_b64 v[8:9], 3, v[6:7]
	s_delay_alu instid0(VALU_DEP_1) | instskip(NEXT) | instid1(VALU_DEP_2)
	v_add_co_u32 v8, vcc_lo, v14, v8
	v_add_co_ci_u32_e32 v9, vcc_lo, v15, v9, vcc_lo
	flat_load_b64 v[8:9], v[8:9]
	s_waitcnt vmcnt(0) lgkmcnt(0)
	v_mul_f64 v[8:9], v[8:9], s[10:11]
	s_branch .LBB167_170
.LBB167_169:
	v_mov_b32_e32 v8, 0
	v_mov_b32_e32 v9, 0
.LBB167_170:
	s_delay_alu instid0(VALU_DEP_1) | instskip(SKIP_2) | instid1(VALU_DEP_1)
	v_cvt_f32_f64_e32 v8, v[8:9]
	v_max_f32_e32 v9, v112, v112
	v_lshlrev_b64 v[14:15], 3, v[6:7]
	v_add_co_u32 v12, vcc_lo, v12, v14
	s_delay_alu instid0(VALU_DEP_2) | instskip(NEXT) | instid1(VALU_DEP_4)
	v_add_co_ci_u32_e32 v13, vcc_lo, v13, v15, vcc_lo
	v_min_f32_e32 v8, v8, v9
	s_delay_alu instid0(VALU_DEP_1)
	v_cvt_f64_f32_e32 v[8:9], v8
	global_store_b64 v[12:13], v[8:9], off
.LBB167_171:
	s_or_b32 exec_lo, exec_lo, s4
	v_add_nc_u32_e32 v14, 48, v11
	s_delay_alu instid0(VALU_DEP_1) | instskip(SKIP_2) | instid1(VALU_DEP_3)
	v_mad_i64_i32 v[8:9], null, v14, s6, 0
	v_mad_i64_i32 v[12:13], null, v14, s5, 0
	v_cmp_gt_i32_e64 s4, s17, v14
	v_lshlrev_b64 v[8:9], 3, v[8:9]
	s_delay_alu instid0(VALU_DEP_2) | instskip(NEXT) | instid1(VALU_DEP_3)
	s_and_b32 s14, s0, s4
	v_lshlrev_b64 v[12:13], 3, v[12:13]
	s_delay_alu instid0(VALU_DEP_2) | instskip(NEXT) | instid1(VALU_DEP_3)
	v_add_co_u32 v14, vcc_lo, s8, v8
	v_add_co_ci_u32_e32 v15, vcc_lo, s9, v9, vcc_lo
	s_delay_alu instid0(VALU_DEP_3) | instskip(NEXT) | instid1(VALU_DEP_4)
	v_add_co_u32 v12, vcc_lo, s12, v12
	v_add_co_ci_u32_e32 v13, vcc_lo, s13, v13, vcc_lo
	s_and_saveexec_b32 s7, s14
	s_cbranch_execnz .LBB167_175
; %bb.172:
	s_or_b32 exec_lo, exec_lo, s7
	s_and_b32 s14, s1, s4
	s_delay_alu instid0(SALU_CYCLE_1)
	s_and_saveexec_b32 s7, s14
	s_cbranch_execnz .LBB167_179
.LBB167_173:
	s_or_b32 exec_lo, exec_lo, s7
	s_and_b32 s14, s2, s4
	s_delay_alu instid0(SALU_CYCLE_1)
	s_and_saveexec_b32 s7, s14
	s_cbranch_execnz .LBB167_183
.LBB167_174:
	s_or_b32 exec_lo, exec_lo, s7
	s_and_b32 s7, s3, s4
	s_delay_alu instid0(SALU_CYCLE_1)
	s_and_saveexec_b32 s4, s7
	s_cbranch_execnz .LBB167_187
	s_branch .LBB167_191
.LBB167_175:
	v_cmp_ne_u32_e32 vcc_lo, 1, v10
	s_cbranch_vccnz .LBB167_177
; %bb.176:
	v_lshlrev_b64 v[8:9], 3, v[0:1]
	s_delay_alu instid0(VALU_DEP_1) | instskip(NEXT) | instid1(VALU_DEP_2)
	v_add_co_u32 v8, vcc_lo, v14, v8
	v_add_co_ci_u32_e32 v9, vcc_lo, v15, v9, vcc_lo
	flat_load_b64 v[8:9], v[8:9]
	s_waitcnt vmcnt(0) lgkmcnt(0)
	v_mul_f64 v[8:9], v[8:9], s[10:11]
	s_branch .LBB167_178
.LBB167_177:
	v_mov_b32_e32 v8, 0
	v_mov_b32_e32 v9, 0
.LBB167_178:
	s_delay_alu instid0(VALU_DEP_1) | instskip(SKIP_2) | instid1(VALU_DEP_1)
	v_cvt_f32_f64_e32 v8, v[8:9]
	v_max_f32_e32 v9, v111, v111
	v_lshlrev_b64 v[16:17], 3, v[0:1]
	v_add_co_u32 v16, vcc_lo, v12, v16
	s_delay_alu instid0(VALU_DEP_2) | instskip(NEXT) | instid1(VALU_DEP_4)
	v_add_co_ci_u32_e32 v17, vcc_lo, v13, v17, vcc_lo
	v_min_f32_e32 v8, v8, v9
	s_delay_alu instid0(VALU_DEP_1) | instskip(SKIP_3) | instid1(SALU_CYCLE_1)
	v_cvt_f64_f32_e32 v[8:9], v8
	global_store_b64 v[16:17], v[8:9], off
	s_or_b32 exec_lo, exec_lo, s7
	s_and_b32 s14, s1, s4
	s_and_saveexec_b32 s7, s14
	s_cbranch_execz .LBB167_173
.LBB167_179:
	v_cmp_ne_u32_e32 vcc_lo, 1, v10
	s_cbranch_vccnz .LBB167_181
; %bb.180:
	v_lshlrev_b64 v[8:9], 3, v[2:3]
	s_delay_alu instid0(VALU_DEP_1) | instskip(NEXT) | instid1(VALU_DEP_2)
	v_add_co_u32 v8, vcc_lo, v14, v8
	v_add_co_ci_u32_e32 v9, vcc_lo, v15, v9, vcc_lo
	flat_load_b64 v[8:9], v[8:9]
	s_waitcnt vmcnt(0) lgkmcnt(0)
	v_mul_f64 v[8:9], v[8:9], s[10:11]
	s_branch .LBB167_182
.LBB167_181:
	v_mov_b32_e32 v8, 0
	v_mov_b32_e32 v9, 0
.LBB167_182:
	s_delay_alu instid0(VALU_DEP_1) | instskip(SKIP_2) | instid1(VALU_DEP_1)
	v_cvt_f32_f64_e32 v8, v[8:9]
	v_max_f32_e32 v9, v110, v110
	v_lshlrev_b64 v[16:17], 3, v[2:3]
	v_add_co_u32 v16, vcc_lo, v12, v16
	s_delay_alu instid0(VALU_DEP_2) | instskip(NEXT) | instid1(VALU_DEP_4)
	v_add_co_ci_u32_e32 v17, vcc_lo, v13, v17, vcc_lo
	v_min_f32_e32 v8, v8, v9
	s_delay_alu instid0(VALU_DEP_1) | instskip(SKIP_3) | instid1(SALU_CYCLE_1)
	v_cvt_f64_f32_e32 v[8:9], v8
	global_store_b64 v[16:17], v[8:9], off
	s_or_b32 exec_lo, exec_lo, s7
	s_and_b32 s14, s2, s4
	s_and_saveexec_b32 s7, s14
	s_cbranch_execz .LBB167_174
.LBB167_183:
	v_cmp_ne_u32_e32 vcc_lo, 1, v10
	s_cbranch_vccnz .LBB167_185
; %bb.184:
	v_lshlrev_b64 v[8:9], 3, v[4:5]
	s_delay_alu instid0(VALU_DEP_1) | instskip(NEXT) | instid1(VALU_DEP_2)
	v_add_co_u32 v8, vcc_lo, v14, v8
	v_add_co_ci_u32_e32 v9, vcc_lo, v15, v9, vcc_lo
	flat_load_b64 v[8:9], v[8:9]
	s_waitcnt vmcnt(0) lgkmcnt(0)
	v_mul_f64 v[8:9], v[8:9], s[10:11]
	s_branch .LBB167_186
.LBB167_185:
	v_mov_b32_e32 v8, 0
	v_mov_b32_e32 v9, 0
.LBB167_186:
	s_delay_alu instid0(VALU_DEP_1) | instskip(SKIP_2) | instid1(VALU_DEP_1)
	v_cvt_f32_f64_e32 v8, v[8:9]
	v_max_f32_e32 v9, v109, v109
	v_lshlrev_b64 v[16:17], 3, v[4:5]
	v_add_co_u32 v16, vcc_lo, v12, v16
	s_delay_alu instid0(VALU_DEP_2) | instskip(NEXT) | instid1(VALU_DEP_4)
	v_add_co_ci_u32_e32 v17, vcc_lo, v13, v17, vcc_lo
	v_min_f32_e32 v8, v8, v9
	s_delay_alu instid0(VALU_DEP_1) | instskip(SKIP_3) | instid1(SALU_CYCLE_1)
	v_cvt_f64_f32_e32 v[8:9], v8
	global_store_b64 v[16:17], v[8:9], off
	s_or_b32 exec_lo, exec_lo, s7
	s_and_b32 s7, s3, s4
	s_and_saveexec_b32 s4, s7
	s_cbranch_execz .LBB167_191
.LBB167_187:
	v_cmp_ne_u32_e32 vcc_lo, 1, v10
	s_cbranch_vccnz .LBB167_189
; %bb.188:
	v_lshlrev_b64 v[8:9], 3, v[6:7]
	s_delay_alu instid0(VALU_DEP_1) | instskip(NEXT) | instid1(VALU_DEP_2)
	v_add_co_u32 v8, vcc_lo, v14, v8
	v_add_co_ci_u32_e32 v9, vcc_lo, v15, v9, vcc_lo
	flat_load_b64 v[8:9], v[8:9]
	s_waitcnt vmcnt(0) lgkmcnt(0)
	v_mul_f64 v[8:9], v[8:9], s[10:11]
	s_branch .LBB167_190
.LBB167_189:
	v_mov_b32_e32 v8, 0
	v_mov_b32_e32 v9, 0
.LBB167_190:
	s_delay_alu instid0(VALU_DEP_1) | instskip(SKIP_2) | instid1(VALU_DEP_1)
	v_cvt_f32_f64_e32 v8, v[8:9]
	v_max_f32_e32 v9, v108, v108
	v_lshlrev_b64 v[14:15], 3, v[6:7]
	v_add_co_u32 v12, vcc_lo, v12, v14
	s_delay_alu instid0(VALU_DEP_2) | instskip(NEXT) | instid1(VALU_DEP_4)
	v_add_co_ci_u32_e32 v13, vcc_lo, v13, v15, vcc_lo
	v_min_f32_e32 v8, v8, v9
	s_delay_alu instid0(VALU_DEP_1)
	v_cvt_f64_f32_e32 v[8:9], v8
	global_store_b64 v[12:13], v[8:9], off
.LBB167_191:
	s_or_b32 exec_lo, exec_lo, s4
	v_add_nc_u32_e32 v14, 56, v11
	s_delay_alu instid0(VALU_DEP_1) | instskip(SKIP_2) | instid1(VALU_DEP_3)
	v_mad_i64_i32 v[8:9], null, v14, s6, 0
	v_mad_i64_i32 v[12:13], null, v14, s5, 0
	v_cmp_gt_i32_e64 s4, s17, v14
	v_lshlrev_b64 v[8:9], 3, v[8:9]
	s_delay_alu instid0(VALU_DEP_2) | instskip(NEXT) | instid1(VALU_DEP_3)
	s_and_b32 s14, s0, s4
	v_lshlrev_b64 v[12:13], 3, v[12:13]
	s_delay_alu instid0(VALU_DEP_2) | instskip(NEXT) | instid1(VALU_DEP_3)
	v_add_co_u32 v14, vcc_lo, s8, v8
	v_add_co_ci_u32_e32 v15, vcc_lo, s9, v9, vcc_lo
	s_delay_alu instid0(VALU_DEP_3) | instskip(NEXT) | instid1(VALU_DEP_4)
	v_add_co_u32 v12, vcc_lo, s12, v12
	v_add_co_ci_u32_e32 v13, vcc_lo, s13, v13, vcc_lo
	s_and_saveexec_b32 s7, s14
	s_cbranch_execnz .LBB167_195
; %bb.192:
	s_or_b32 exec_lo, exec_lo, s7
	s_and_b32 s14, s1, s4
	s_delay_alu instid0(SALU_CYCLE_1)
	s_and_saveexec_b32 s7, s14
	s_cbranch_execnz .LBB167_199
.LBB167_193:
	s_or_b32 exec_lo, exec_lo, s7
	s_and_b32 s14, s2, s4
	s_delay_alu instid0(SALU_CYCLE_1)
	s_and_saveexec_b32 s7, s14
	s_cbranch_execnz .LBB167_203
.LBB167_194:
	s_or_b32 exec_lo, exec_lo, s7
	s_and_b32 s7, s3, s4
	s_delay_alu instid0(SALU_CYCLE_1)
	s_and_saveexec_b32 s4, s7
	s_cbranch_execnz .LBB167_207
	s_branch .LBB167_211
.LBB167_195:
	v_cmp_ne_u32_e32 vcc_lo, 1, v10
	s_cbranch_vccnz .LBB167_197
; %bb.196:
	v_lshlrev_b64 v[8:9], 3, v[0:1]
	s_delay_alu instid0(VALU_DEP_1) | instskip(NEXT) | instid1(VALU_DEP_2)
	v_add_co_u32 v8, vcc_lo, v14, v8
	v_add_co_ci_u32_e32 v9, vcc_lo, v15, v9, vcc_lo
	flat_load_b64 v[8:9], v[8:9]
	s_waitcnt vmcnt(0) lgkmcnt(0)
	v_mul_f64 v[8:9], v[8:9], s[10:11]
	s_branch .LBB167_198
.LBB167_197:
	v_mov_b32_e32 v8, 0
	v_mov_b32_e32 v9, 0
.LBB167_198:
	s_delay_alu instid0(VALU_DEP_1) | instskip(SKIP_2) | instid1(VALU_DEP_1)
	v_cvt_f32_f64_e32 v8, v[8:9]
	v_max_f32_e32 v9, v107, v107
	v_lshlrev_b64 v[16:17], 3, v[0:1]
	v_add_co_u32 v16, vcc_lo, v12, v16
	s_delay_alu instid0(VALU_DEP_2) | instskip(NEXT) | instid1(VALU_DEP_4)
	v_add_co_ci_u32_e32 v17, vcc_lo, v13, v17, vcc_lo
	v_min_f32_e32 v8, v8, v9
	s_delay_alu instid0(VALU_DEP_1) | instskip(SKIP_3) | instid1(SALU_CYCLE_1)
	v_cvt_f64_f32_e32 v[8:9], v8
	global_store_b64 v[16:17], v[8:9], off
	s_or_b32 exec_lo, exec_lo, s7
	s_and_b32 s14, s1, s4
	s_and_saveexec_b32 s7, s14
	s_cbranch_execz .LBB167_193
.LBB167_199:
	v_cmp_ne_u32_e32 vcc_lo, 1, v10
	s_cbranch_vccnz .LBB167_201
; %bb.200:
	v_lshlrev_b64 v[8:9], 3, v[2:3]
	s_delay_alu instid0(VALU_DEP_1) | instskip(NEXT) | instid1(VALU_DEP_2)
	v_add_co_u32 v8, vcc_lo, v14, v8
	v_add_co_ci_u32_e32 v9, vcc_lo, v15, v9, vcc_lo
	flat_load_b64 v[8:9], v[8:9]
	s_waitcnt vmcnt(0) lgkmcnt(0)
	v_mul_f64 v[8:9], v[8:9], s[10:11]
	s_branch .LBB167_202
.LBB167_201:
	v_mov_b32_e32 v8, 0
	v_mov_b32_e32 v9, 0
.LBB167_202:
	s_delay_alu instid0(VALU_DEP_1) | instskip(SKIP_2) | instid1(VALU_DEP_1)
	v_cvt_f32_f64_e32 v8, v[8:9]
	v_max_f32_e32 v9, v106, v106
	v_lshlrev_b64 v[16:17], 3, v[2:3]
	v_add_co_u32 v16, vcc_lo, v12, v16
	s_delay_alu instid0(VALU_DEP_2) | instskip(NEXT) | instid1(VALU_DEP_4)
	v_add_co_ci_u32_e32 v17, vcc_lo, v13, v17, vcc_lo
	v_min_f32_e32 v8, v8, v9
	s_delay_alu instid0(VALU_DEP_1) | instskip(SKIP_3) | instid1(SALU_CYCLE_1)
	v_cvt_f64_f32_e32 v[8:9], v8
	global_store_b64 v[16:17], v[8:9], off
	s_or_b32 exec_lo, exec_lo, s7
	s_and_b32 s14, s2, s4
	s_and_saveexec_b32 s7, s14
	s_cbranch_execz .LBB167_194
.LBB167_203:
	v_cmp_ne_u32_e32 vcc_lo, 1, v10
	s_cbranch_vccnz .LBB167_205
; %bb.204:
	v_lshlrev_b64 v[8:9], 3, v[4:5]
	s_delay_alu instid0(VALU_DEP_1) | instskip(NEXT) | instid1(VALU_DEP_2)
	v_add_co_u32 v8, vcc_lo, v14, v8
	v_add_co_ci_u32_e32 v9, vcc_lo, v15, v9, vcc_lo
	flat_load_b64 v[8:9], v[8:9]
	s_waitcnt vmcnt(0) lgkmcnt(0)
	v_mul_f64 v[8:9], v[8:9], s[10:11]
	s_branch .LBB167_206
.LBB167_205:
	v_mov_b32_e32 v8, 0
	v_mov_b32_e32 v9, 0
.LBB167_206:
	s_delay_alu instid0(VALU_DEP_1) | instskip(SKIP_2) | instid1(VALU_DEP_1)
	v_cvt_f32_f64_e32 v8, v[8:9]
	v_max_f32_e32 v9, v105, v105
	v_lshlrev_b64 v[16:17], 3, v[4:5]
	v_add_co_u32 v16, vcc_lo, v12, v16
	s_delay_alu instid0(VALU_DEP_2) | instskip(NEXT) | instid1(VALU_DEP_4)
	v_add_co_ci_u32_e32 v17, vcc_lo, v13, v17, vcc_lo
	v_min_f32_e32 v8, v8, v9
	s_delay_alu instid0(VALU_DEP_1) | instskip(SKIP_3) | instid1(SALU_CYCLE_1)
	v_cvt_f64_f32_e32 v[8:9], v8
	global_store_b64 v[16:17], v[8:9], off
	s_or_b32 exec_lo, exec_lo, s7
	s_and_b32 s7, s3, s4
	s_and_saveexec_b32 s4, s7
	s_cbranch_execz .LBB167_211
.LBB167_207:
	v_cmp_ne_u32_e32 vcc_lo, 1, v10
	s_cbranch_vccnz .LBB167_209
; %bb.208:
	v_lshlrev_b64 v[8:9], 3, v[6:7]
	s_delay_alu instid0(VALU_DEP_1) | instskip(NEXT) | instid1(VALU_DEP_2)
	v_add_co_u32 v8, vcc_lo, v14, v8
	v_add_co_ci_u32_e32 v9, vcc_lo, v15, v9, vcc_lo
	flat_load_b64 v[8:9], v[8:9]
	s_waitcnt vmcnt(0) lgkmcnt(0)
	v_mul_f64 v[8:9], v[8:9], s[10:11]
	s_branch .LBB167_210
.LBB167_209:
	v_mov_b32_e32 v8, 0
	v_mov_b32_e32 v9, 0
.LBB167_210:
	s_delay_alu instid0(VALU_DEP_1) | instskip(SKIP_2) | instid1(VALU_DEP_1)
	v_cvt_f32_f64_e32 v8, v[8:9]
	v_max_f32_e32 v9, v104, v104
	v_lshlrev_b64 v[14:15], 3, v[6:7]
	v_add_co_u32 v12, vcc_lo, v12, v14
	s_delay_alu instid0(VALU_DEP_2) | instskip(NEXT) | instid1(VALU_DEP_4)
	v_add_co_ci_u32_e32 v13, vcc_lo, v13, v15, vcc_lo
	v_min_f32_e32 v8, v8, v9
	s_delay_alu instid0(VALU_DEP_1)
	v_cvt_f64_f32_e32 v[8:9], v8
	global_store_b64 v[12:13], v[8:9], off
.LBB167_211:
	s_or_b32 exec_lo, exec_lo, s4
	v_add_nc_u32_e32 v14, 64, v11
	s_delay_alu instid0(VALU_DEP_1) | instskip(SKIP_2) | instid1(VALU_DEP_3)
	v_mad_i64_i32 v[8:9], null, v14, s6, 0
	v_mad_i64_i32 v[12:13], null, v14, s5, 0
	v_cmp_gt_i32_e64 s4, s17, v14
	v_lshlrev_b64 v[8:9], 3, v[8:9]
	s_delay_alu instid0(VALU_DEP_2) | instskip(NEXT) | instid1(VALU_DEP_3)
	s_and_b32 s14, s0, s4
	v_lshlrev_b64 v[12:13], 3, v[12:13]
	s_delay_alu instid0(VALU_DEP_2) | instskip(NEXT) | instid1(VALU_DEP_3)
	v_add_co_u32 v14, vcc_lo, s8, v8
	v_add_co_ci_u32_e32 v15, vcc_lo, s9, v9, vcc_lo
	s_delay_alu instid0(VALU_DEP_3) | instskip(NEXT) | instid1(VALU_DEP_4)
	v_add_co_u32 v12, vcc_lo, s12, v12
	v_add_co_ci_u32_e32 v13, vcc_lo, s13, v13, vcc_lo
	s_and_saveexec_b32 s7, s14
	s_cbranch_execnz .LBB167_215
; %bb.212:
	s_or_b32 exec_lo, exec_lo, s7
	s_and_b32 s14, s1, s4
	s_delay_alu instid0(SALU_CYCLE_1)
	s_and_saveexec_b32 s7, s14
	s_cbranch_execnz .LBB167_219
.LBB167_213:
	s_or_b32 exec_lo, exec_lo, s7
	s_and_b32 s14, s2, s4
	s_delay_alu instid0(SALU_CYCLE_1)
	s_and_saveexec_b32 s7, s14
	s_cbranch_execnz .LBB167_223
.LBB167_214:
	s_or_b32 exec_lo, exec_lo, s7
	s_and_b32 s7, s3, s4
	s_delay_alu instid0(SALU_CYCLE_1)
	s_and_saveexec_b32 s4, s7
	s_cbranch_execnz .LBB167_227
	s_branch .LBB167_231
.LBB167_215:
	v_cmp_ne_u32_e32 vcc_lo, 1, v10
	s_cbranch_vccnz .LBB167_217
; %bb.216:
	v_lshlrev_b64 v[8:9], 3, v[0:1]
	s_delay_alu instid0(VALU_DEP_1) | instskip(NEXT) | instid1(VALU_DEP_2)
	v_add_co_u32 v8, vcc_lo, v14, v8
	v_add_co_ci_u32_e32 v9, vcc_lo, v15, v9, vcc_lo
	flat_load_b64 v[8:9], v[8:9]
	s_waitcnt vmcnt(0) lgkmcnt(0)
	v_mul_f64 v[8:9], v[8:9], s[10:11]
	s_branch .LBB167_218
.LBB167_217:
	v_mov_b32_e32 v8, 0
	v_mov_b32_e32 v9, 0
.LBB167_218:
	s_delay_alu instid0(VALU_DEP_1) | instskip(SKIP_2) | instid1(VALU_DEP_1)
	v_cvt_f32_f64_e32 v8, v[8:9]
	v_max_f32_e32 v9, v103, v103
	v_lshlrev_b64 v[16:17], 3, v[0:1]
	v_add_co_u32 v16, vcc_lo, v12, v16
	s_delay_alu instid0(VALU_DEP_2) | instskip(NEXT) | instid1(VALU_DEP_4)
	v_add_co_ci_u32_e32 v17, vcc_lo, v13, v17, vcc_lo
	v_min_f32_e32 v8, v8, v9
	s_delay_alu instid0(VALU_DEP_1) | instskip(SKIP_3) | instid1(SALU_CYCLE_1)
	v_cvt_f64_f32_e32 v[8:9], v8
	global_store_b64 v[16:17], v[8:9], off
	s_or_b32 exec_lo, exec_lo, s7
	s_and_b32 s14, s1, s4
	s_and_saveexec_b32 s7, s14
	s_cbranch_execz .LBB167_213
.LBB167_219:
	v_cmp_ne_u32_e32 vcc_lo, 1, v10
	s_cbranch_vccnz .LBB167_221
; %bb.220:
	v_lshlrev_b64 v[8:9], 3, v[2:3]
	s_delay_alu instid0(VALU_DEP_1) | instskip(NEXT) | instid1(VALU_DEP_2)
	v_add_co_u32 v8, vcc_lo, v14, v8
	v_add_co_ci_u32_e32 v9, vcc_lo, v15, v9, vcc_lo
	flat_load_b64 v[8:9], v[8:9]
	s_waitcnt vmcnt(0) lgkmcnt(0)
	v_mul_f64 v[8:9], v[8:9], s[10:11]
	s_branch .LBB167_222
.LBB167_221:
	v_mov_b32_e32 v8, 0
	v_mov_b32_e32 v9, 0
.LBB167_222:
	s_delay_alu instid0(VALU_DEP_1) | instskip(SKIP_2) | instid1(VALU_DEP_1)
	v_cvt_f32_f64_e32 v8, v[8:9]
	v_max_f32_e32 v9, v102, v102
	v_lshlrev_b64 v[16:17], 3, v[2:3]
	v_add_co_u32 v16, vcc_lo, v12, v16
	s_delay_alu instid0(VALU_DEP_2) | instskip(NEXT) | instid1(VALU_DEP_4)
	v_add_co_ci_u32_e32 v17, vcc_lo, v13, v17, vcc_lo
	v_min_f32_e32 v8, v8, v9
	s_delay_alu instid0(VALU_DEP_1) | instskip(SKIP_3) | instid1(SALU_CYCLE_1)
	v_cvt_f64_f32_e32 v[8:9], v8
	global_store_b64 v[16:17], v[8:9], off
	s_or_b32 exec_lo, exec_lo, s7
	s_and_b32 s14, s2, s4
	s_and_saveexec_b32 s7, s14
	s_cbranch_execz .LBB167_214
.LBB167_223:
	v_cmp_ne_u32_e32 vcc_lo, 1, v10
	s_cbranch_vccnz .LBB167_225
; %bb.224:
	v_lshlrev_b64 v[8:9], 3, v[4:5]
	s_delay_alu instid0(VALU_DEP_1) | instskip(NEXT) | instid1(VALU_DEP_2)
	v_add_co_u32 v8, vcc_lo, v14, v8
	v_add_co_ci_u32_e32 v9, vcc_lo, v15, v9, vcc_lo
	flat_load_b64 v[8:9], v[8:9]
	s_waitcnt vmcnt(0) lgkmcnt(0)
	v_mul_f64 v[8:9], v[8:9], s[10:11]
	s_branch .LBB167_226
.LBB167_225:
	v_mov_b32_e32 v8, 0
	v_mov_b32_e32 v9, 0
.LBB167_226:
	s_delay_alu instid0(VALU_DEP_1) | instskip(SKIP_2) | instid1(VALU_DEP_1)
	v_cvt_f32_f64_e32 v8, v[8:9]
	v_max_f32_e32 v9, v101, v101
	v_lshlrev_b64 v[16:17], 3, v[4:5]
	v_add_co_u32 v16, vcc_lo, v12, v16
	s_delay_alu instid0(VALU_DEP_2) | instskip(NEXT) | instid1(VALU_DEP_4)
	v_add_co_ci_u32_e32 v17, vcc_lo, v13, v17, vcc_lo
	v_min_f32_e32 v8, v8, v9
	s_delay_alu instid0(VALU_DEP_1) | instskip(SKIP_3) | instid1(SALU_CYCLE_1)
	v_cvt_f64_f32_e32 v[8:9], v8
	global_store_b64 v[16:17], v[8:9], off
	s_or_b32 exec_lo, exec_lo, s7
	s_and_b32 s7, s3, s4
	s_and_saveexec_b32 s4, s7
	s_cbranch_execz .LBB167_231
.LBB167_227:
	v_cmp_ne_u32_e32 vcc_lo, 1, v10
	s_cbranch_vccnz .LBB167_229
; %bb.228:
	v_lshlrev_b64 v[8:9], 3, v[6:7]
	s_delay_alu instid0(VALU_DEP_1) | instskip(NEXT) | instid1(VALU_DEP_2)
	v_add_co_u32 v8, vcc_lo, v14, v8
	v_add_co_ci_u32_e32 v9, vcc_lo, v15, v9, vcc_lo
	flat_load_b64 v[8:9], v[8:9]
	s_waitcnt vmcnt(0) lgkmcnt(0)
	v_mul_f64 v[8:9], v[8:9], s[10:11]
	s_branch .LBB167_230
.LBB167_229:
	v_mov_b32_e32 v8, 0
	v_mov_b32_e32 v9, 0
.LBB167_230:
	s_delay_alu instid0(VALU_DEP_1) | instskip(SKIP_2) | instid1(VALU_DEP_1)
	v_cvt_f32_f64_e32 v8, v[8:9]
	v_max_f32_e32 v9, v100, v100
	v_lshlrev_b64 v[14:15], 3, v[6:7]
	v_add_co_u32 v12, vcc_lo, v12, v14
	s_delay_alu instid0(VALU_DEP_2) | instskip(NEXT) | instid1(VALU_DEP_4)
	v_add_co_ci_u32_e32 v13, vcc_lo, v13, v15, vcc_lo
	v_min_f32_e32 v8, v8, v9
	s_delay_alu instid0(VALU_DEP_1)
	v_cvt_f64_f32_e32 v[8:9], v8
	global_store_b64 v[12:13], v[8:9], off
.LBB167_231:
	s_or_b32 exec_lo, exec_lo, s4
	v_add_nc_u32_e32 v14, 0x48, v11
	s_delay_alu instid0(VALU_DEP_1) | instskip(SKIP_2) | instid1(VALU_DEP_3)
	v_mad_i64_i32 v[8:9], null, v14, s6, 0
	v_mad_i64_i32 v[12:13], null, v14, s5, 0
	v_cmp_gt_i32_e64 s4, s17, v14
	v_lshlrev_b64 v[8:9], 3, v[8:9]
	s_delay_alu instid0(VALU_DEP_2) | instskip(NEXT) | instid1(VALU_DEP_3)
	s_and_b32 s14, s0, s4
	v_lshlrev_b64 v[12:13], 3, v[12:13]
	s_delay_alu instid0(VALU_DEP_2) | instskip(NEXT) | instid1(VALU_DEP_3)
	v_add_co_u32 v14, vcc_lo, s8, v8
	v_add_co_ci_u32_e32 v15, vcc_lo, s9, v9, vcc_lo
	s_delay_alu instid0(VALU_DEP_3) | instskip(NEXT) | instid1(VALU_DEP_4)
	v_add_co_u32 v12, vcc_lo, s12, v12
	v_add_co_ci_u32_e32 v13, vcc_lo, s13, v13, vcc_lo
	s_and_saveexec_b32 s7, s14
	s_cbranch_execnz .LBB167_235
; %bb.232:
	s_or_b32 exec_lo, exec_lo, s7
	s_and_b32 s14, s1, s4
	s_delay_alu instid0(SALU_CYCLE_1)
	s_and_saveexec_b32 s7, s14
	s_cbranch_execnz .LBB167_239
.LBB167_233:
	s_or_b32 exec_lo, exec_lo, s7
	s_and_b32 s14, s2, s4
	s_delay_alu instid0(SALU_CYCLE_1)
	s_and_saveexec_b32 s7, s14
	s_cbranch_execnz .LBB167_243
.LBB167_234:
	s_or_b32 exec_lo, exec_lo, s7
	s_and_b32 s7, s3, s4
	s_delay_alu instid0(SALU_CYCLE_1)
	s_and_saveexec_b32 s4, s7
	s_cbranch_execnz .LBB167_247
	s_branch .LBB167_251
.LBB167_235:
	v_cmp_ne_u32_e32 vcc_lo, 1, v10
	s_cbranch_vccnz .LBB167_237
; %bb.236:
	v_lshlrev_b64 v[8:9], 3, v[0:1]
	s_delay_alu instid0(VALU_DEP_1) | instskip(NEXT) | instid1(VALU_DEP_2)
	v_add_co_u32 v8, vcc_lo, v14, v8
	v_add_co_ci_u32_e32 v9, vcc_lo, v15, v9, vcc_lo
	flat_load_b64 v[8:9], v[8:9]
	s_waitcnt vmcnt(0) lgkmcnt(0)
	v_mul_f64 v[8:9], v[8:9], s[10:11]
	s_branch .LBB167_238
.LBB167_237:
	v_mov_b32_e32 v8, 0
	v_mov_b32_e32 v9, 0
.LBB167_238:
	s_delay_alu instid0(VALU_DEP_1) | instskip(SKIP_2) | instid1(VALU_DEP_1)
	v_cvt_f32_f64_e32 v8, v[8:9]
	v_max_f32_e32 v9, v99, v99
	v_lshlrev_b64 v[16:17], 3, v[0:1]
	v_add_co_u32 v16, vcc_lo, v12, v16
	s_delay_alu instid0(VALU_DEP_2) | instskip(NEXT) | instid1(VALU_DEP_4)
	v_add_co_ci_u32_e32 v17, vcc_lo, v13, v17, vcc_lo
	v_min_f32_e32 v8, v8, v9
	s_delay_alu instid0(VALU_DEP_1) | instskip(SKIP_3) | instid1(SALU_CYCLE_1)
	v_cvt_f64_f32_e32 v[8:9], v8
	global_store_b64 v[16:17], v[8:9], off
	s_or_b32 exec_lo, exec_lo, s7
	s_and_b32 s14, s1, s4
	s_and_saveexec_b32 s7, s14
	s_cbranch_execz .LBB167_233
.LBB167_239:
	v_cmp_ne_u32_e32 vcc_lo, 1, v10
	s_cbranch_vccnz .LBB167_241
; %bb.240:
	v_lshlrev_b64 v[8:9], 3, v[2:3]
	s_delay_alu instid0(VALU_DEP_1) | instskip(NEXT) | instid1(VALU_DEP_2)
	v_add_co_u32 v8, vcc_lo, v14, v8
	v_add_co_ci_u32_e32 v9, vcc_lo, v15, v9, vcc_lo
	flat_load_b64 v[8:9], v[8:9]
	s_waitcnt vmcnt(0) lgkmcnt(0)
	v_mul_f64 v[8:9], v[8:9], s[10:11]
	s_branch .LBB167_242
.LBB167_241:
	v_mov_b32_e32 v8, 0
	v_mov_b32_e32 v9, 0
.LBB167_242:
	s_delay_alu instid0(VALU_DEP_1) | instskip(SKIP_2) | instid1(VALU_DEP_1)
	v_cvt_f32_f64_e32 v8, v[8:9]
	v_max_f32_e32 v9, v98, v98
	v_lshlrev_b64 v[16:17], 3, v[2:3]
	v_add_co_u32 v16, vcc_lo, v12, v16
	s_delay_alu instid0(VALU_DEP_2) | instskip(NEXT) | instid1(VALU_DEP_4)
	v_add_co_ci_u32_e32 v17, vcc_lo, v13, v17, vcc_lo
	v_min_f32_e32 v8, v8, v9
	s_delay_alu instid0(VALU_DEP_1) | instskip(SKIP_3) | instid1(SALU_CYCLE_1)
	v_cvt_f64_f32_e32 v[8:9], v8
	global_store_b64 v[16:17], v[8:9], off
	s_or_b32 exec_lo, exec_lo, s7
	s_and_b32 s14, s2, s4
	s_and_saveexec_b32 s7, s14
	s_cbranch_execz .LBB167_234
.LBB167_243:
	v_cmp_ne_u32_e32 vcc_lo, 1, v10
	s_cbranch_vccnz .LBB167_245
; %bb.244:
	v_lshlrev_b64 v[8:9], 3, v[4:5]
	s_delay_alu instid0(VALU_DEP_1) | instskip(NEXT) | instid1(VALU_DEP_2)
	v_add_co_u32 v8, vcc_lo, v14, v8
	v_add_co_ci_u32_e32 v9, vcc_lo, v15, v9, vcc_lo
	flat_load_b64 v[8:9], v[8:9]
	s_waitcnt vmcnt(0) lgkmcnt(0)
	v_mul_f64 v[8:9], v[8:9], s[10:11]
	s_branch .LBB167_246
.LBB167_245:
	v_mov_b32_e32 v8, 0
	v_mov_b32_e32 v9, 0
.LBB167_246:
	s_delay_alu instid0(VALU_DEP_1) | instskip(SKIP_2) | instid1(VALU_DEP_1)
	v_cvt_f32_f64_e32 v8, v[8:9]
	v_max_f32_e32 v9, v97, v97
	v_lshlrev_b64 v[16:17], 3, v[4:5]
	v_add_co_u32 v16, vcc_lo, v12, v16
	s_delay_alu instid0(VALU_DEP_2) | instskip(NEXT) | instid1(VALU_DEP_4)
	v_add_co_ci_u32_e32 v17, vcc_lo, v13, v17, vcc_lo
	v_min_f32_e32 v8, v8, v9
	s_delay_alu instid0(VALU_DEP_1) | instskip(SKIP_3) | instid1(SALU_CYCLE_1)
	v_cvt_f64_f32_e32 v[8:9], v8
	global_store_b64 v[16:17], v[8:9], off
	s_or_b32 exec_lo, exec_lo, s7
	s_and_b32 s7, s3, s4
	s_and_saveexec_b32 s4, s7
	s_cbranch_execz .LBB167_251
.LBB167_247:
	v_cmp_ne_u32_e32 vcc_lo, 1, v10
	s_cbranch_vccnz .LBB167_249
; %bb.248:
	v_lshlrev_b64 v[8:9], 3, v[6:7]
	s_delay_alu instid0(VALU_DEP_1) | instskip(NEXT) | instid1(VALU_DEP_2)
	v_add_co_u32 v8, vcc_lo, v14, v8
	v_add_co_ci_u32_e32 v9, vcc_lo, v15, v9, vcc_lo
	flat_load_b64 v[8:9], v[8:9]
	s_waitcnt vmcnt(0) lgkmcnt(0)
	v_mul_f64 v[8:9], v[8:9], s[10:11]
	s_branch .LBB167_250
.LBB167_249:
	v_mov_b32_e32 v8, 0
	v_mov_b32_e32 v9, 0
.LBB167_250:
	s_delay_alu instid0(VALU_DEP_1) | instskip(SKIP_2) | instid1(VALU_DEP_1)
	v_cvt_f32_f64_e32 v8, v[8:9]
	v_max_f32_e32 v9, v96, v96
	v_lshlrev_b64 v[14:15], 3, v[6:7]
	v_add_co_u32 v12, vcc_lo, v12, v14
	s_delay_alu instid0(VALU_DEP_2) | instskip(NEXT) | instid1(VALU_DEP_4)
	v_add_co_ci_u32_e32 v13, vcc_lo, v13, v15, vcc_lo
	v_min_f32_e32 v8, v8, v9
	s_delay_alu instid0(VALU_DEP_1)
	v_cvt_f64_f32_e32 v[8:9], v8
	global_store_b64 v[12:13], v[8:9], off
.LBB167_251:
	s_or_b32 exec_lo, exec_lo, s4
	v_add_nc_u32_e32 v14, 0x50, v11
	s_delay_alu instid0(VALU_DEP_1) | instskip(SKIP_2) | instid1(VALU_DEP_3)
	v_mad_i64_i32 v[8:9], null, v14, s6, 0
	v_mad_i64_i32 v[12:13], null, v14, s5, 0
	v_cmp_gt_i32_e64 s4, s17, v14
	v_lshlrev_b64 v[8:9], 3, v[8:9]
	s_delay_alu instid0(VALU_DEP_2) | instskip(NEXT) | instid1(VALU_DEP_3)
	s_and_b32 s14, s0, s4
	v_lshlrev_b64 v[12:13], 3, v[12:13]
	s_delay_alu instid0(VALU_DEP_2) | instskip(NEXT) | instid1(VALU_DEP_3)
	v_add_co_u32 v14, vcc_lo, s8, v8
	v_add_co_ci_u32_e32 v15, vcc_lo, s9, v9, vcc_lo
	s_delay_alu instid0(VALU_DEP_3) | instskip(NEXT) | instid1(VALU_DEP_4)
	v_add_co_u32 v12, vcc_lo, s12, v12
	v_add_co_ci_u32_e32 v13, vcc_lo, s13, v13, vcc_lo
	s_and_saveexec_b32 s7, s14
	s_cbranch_execnz .LBB167_255
; %bb.252:
	s_or_b32 exec_lo, exec_lo, s7
	s_and_b32 s14, s1, s4
	s_delay_alu instid0(SALU_CYCLE_1)
	s_and_saveexec_b32 s7, s14
	s_cbranch_execnz .LBB167_259
.LBB167_253:
	s_or_b32 exec_lo, exec_lo, s7
	s_and_b32 s14, s2, s4
	s_delay_alu instid0(SALU_CYCLE_1)
	s_and_saveexec_b32 s7, s14
	s_cbranch_execnz .LBB167_263
.LBB167_254:
	s_or_b32 exec_lo, exec_lo, s7
	s_and_b32 s7, s3, s4
	s_delay_alu instid0(SALU_CYCLE_1)
	s_and_saveexec_b32 s4, s7
	s_cbranch_execnz .LBB167_267
	s_branch .LBB167_271
.LBB167_255:
	v_cmp_ne_u32_e32 vcc_lo, 1, v10
	s_cbranch_vccnz .LBB167_257
; %bb.256:
	v_lshlrev_b64 v[8:9], 3, v[0:1]
	s_delay_alu instid0(VALU_DEP_1) | instskip(NEXT) | instid1(VALU_DEP_2)
	v_add_co_u32 v8, vcc_lo, v14, v8
	v_add_co_ci_u32_e32 v9, vcc_lo, v15, v9, vcc_lo
	flat_load_b64 v[8:9], v[8:9]
	s_waitcnt vmcnt(0) lgkmcnt(0)
	v_mul_f64 v[8:9], v[8:9], s[10:11]
	s_branch .LBB167_258
.LBB167_257:
	v_mov_b32_e32 v8, 0
	v_mov_b32_e32 v9, 0
.LBB167_258:
	s_delay_alu instid0(VALU_DEP_1) | instskip(SKIP_2) | instid1(VALU_DEP_1)
	v_cvt_f32_f64_e32 v8, v[8:9]
	v_max_f32_e32 v9, v95, v95
	v_lshlrev_b64 v[16:17], 3, v[0:1]
	v_add_co_u32 v16, vcc_lo, v12, v16
	s_delay_alu instid0(VALU_DEP_2) | instskip(NEXT) | instid1(VALU_DEP_4)
	v_add_co_ci_u32_e32 v17, vcc_lo, v13, v17, vcc_lo
	v_min_f32_e32 v8, v8, v9
	s_delay_alu instid0(VALU_DEP_1) | instskip(SKIP_3) | instid1(SALU_CYCLE_1)
	v_cvt_f64_f32_e32 v[8:9], v8
	global_store_b64 v[16:17], v[8:9], off
	s_or_b32 exec_lo, exec_lo, s7
	s_and_b32 s14, s1, s4
	s_and_saveexec_b32 s7, s14
	s_cbranch_execz .LBB167_253
.LBB167_259:
	v_cmp_ne_u32_e32 vcc_lo, 1, v10
	s_cbranch_vccnz .LBB167_261
; %bb.260:
	v_lshlrev_b64 v[8:9], 3, v[2:3]
	s_delay_alu instid0(VALU_DEP_1) | instskip(NEXT) | instid1(VALU_DEP_2)
	v_add_co_u32 v8, vcc_lo, v14, v8
	v_add_co_ci_u32_e32 v9, vcc_lo, v15, v9, vcc_lo
	flat_load_b64 v[8:9], v[8:9]
	s_waitcnt vmcnt(0) lgkmcnt(0)
	v_mul_f64 v[8:9], v[8:9], s[10:11]
	s_branch .LBB167_262
.LBB167_261:
	v_mov_b32_e32 v8, 0
	v_mov_b32_e32 v9, 0
.LBB167_262:
	s_delay_alu instid0(VALU_DEP_1) | instskip(SKIP_2) | instid1(VALU_DEP_1)
	v_cvt_f32_f64_e32 v8, v[8:9]
	v_max_f32_e32 v9, v94, v94
	v_lshlrev_b64 v[16:17], 3, v[2:3]
	v_add_co_u32 v16, vcc_lo, v12, v16
	s_delay_alu instid0(VALU_DEP_2) | instskip(NEXT) | instid1(VALU_DEP_4)
	v_add_co_ci_u32_e32 v17, vcc_lo, v13, v17, vcc_lo
	v_min_f32_e32 v8, v8, v9
	s_delay_alu instid0(VALU_DEP_1) | instskip(SKIP_3) | instid1(SALU_CYCLE_1)
	v_cvt_f64_f32_e32 v[8:9], v8
	global_store_b64 v[16:17], v[8:9], off
	s_or_b32 exec_lo, exec_lo, s7
	s_and_b32 s14, s2, s4
	s_and_saveexec_b32 s7, s14
	s_cbranch_execz .LBB167_254
.LBB167_263:
	v_cmp_ne_u32_e32 vcc_lo, 1, v10
	s_cbranch_vccnz .LBB167_265
; %bb.264:
	v_lshlrev_b64 v[8:9], 3, v[4:5]
	s_delay_alu instid0(VALU_DEP_1) | instskip(NEXT) | instid1(VALU_DEP_2)
	v_add_co_u32 v8, vcc_lo, v14, v8
	v_add_co_ci_u32_e32 v9, vcc_lo, v15, v9, vcc_lo
	flat_load_b64 v[8:9], v[8:9]
	s_waitcnt vmcnt(0) lgkmcnt(0)
	v_mul_f64 v[8:9], v[8:9], s[10:11]
	s_branch .LBB167_266
.LBB167_265:
	v_mov_b32_e32 v8, 0
	v_mov_b32_e32 v9, 0
.LBB167_266:
	s_delay_alu instid0(VALU_DEP_1) | instskip(SKIP_2) | instid1(VALU_DEP_1)
	v_cvt_f32_f64_e32 v8, v[8:9]
	v_max_f32_e32 v9, v93, v93
	v_lshlrev_b64 v[16:17], 3, v[4:5]
	v_add_co_u32 v16, vcc_lo, v12, v16
	s_delay_alu instid0(VALU_DEP_2) | instskip(NEXT) | instid1(VALU_DEP_4)
	v_add_co_ci_u32_e32 v17, vcc_lo, v13, v17, vcc_lo
	v_min_f32_e32 v8, v8, v9
	s_delay_alu instid0(VALU_DEP_1) | instskip(SKIP_3) | instid1(SALU_CYCLE_1)
	v_cvt_f64_f32_e32 v[8:9], v8
	global_store_b64 v[16:17], v[8:9], off
	s_or_b32 exec_lo, exec_lo, s7
	s_and_b32 s7, s3, s4
	s_and_saveexec_b32 s4, s7
	s_cbranch_execz .LBB167_271
.LBB167_267:
	v_cmp_ne_u32_e32 vcc_lo, 1, v10
	s_cbranch_vccnz .LBB167_269
; %bb.268:
	v_lshlrev_b64 v[8:9], 3, v[6:7]
	s_delay_alu instid0(VALU_DEP_1) | instskip(NEXT) | instid1(VALU_DEP_2)
	v_add_co_u32 v8, vcc_lo, v14, v8
	v_add_co_ci_u32_e32 v9, vcc_lo, v15, v9, vcc_lo
	flat_load_b64 v[8:9], v[8:9]
	s_waitcnt vmcnt(0) lgkmcnt(0)
	v_mul_f64 v[8:9], v[8:9], s[10:11]
	s_branch .LBB167_270
.LBB167_269:
	v_mov_b32_e32 v8, 0
	v_mov_b32_e32 v9, 0
.LBB167_270:
	s_delay_alu instid0(VALU_DEP_1) | instskip(SKIP_2) | instid1(VALU_DEP_1)
	v_cvt_f32_f64_e32 v8, v[8:9]
	v_max_f32_e32 v9, v92, v92
	v_lshlrev_b64 v[14:15], 3, v[6:7]
	v_add_co_u32 v12, vcc_lo, v12, v14
	s_delay_alu instid0(VALU_DEP_2) | instskip(NEXT) | instid1(VALU_DEP_4)
	v_add_co_ci_u32_e32 v13, vcc_lo, v13, v15, vcc_lo
	v_min_f32_e32 v8, v8, v9
	s_delay_alu instid0(VALU_DEP_1)
	v_cvt_f64_f32_e32 v[8:9], v8
	global_store_b64 v[12:13], v[8:9], off
.LBB167_271:
	s_or_b32 exec_lo, exec_lo, s4
	v_add_nc_u32_e32 v14, 0x58, v11
	s_delay_alu instid0(VALU_DEP_1) | instskip(SKIP_2) | instid1(VALU_DEP_3)
	v_mad_i64_i32 v[8:9], null, v14, s6, 0
	v_mad_i64_i32 v[12:13], null, v14, s5, 0
	v_cmp_gt_i32_e64 s4, s17, v14
	v_lshlrev_b64 v[8:9], 3, v[8:9]
	s_delay_alu instid0(VALU_DEP_2) | instskip(NEXT) | instid1(VALU_DEP_3)
	s_and_b32 s14, s0, s4
	v_lshlrev_b64 v[12:13], 3, v[12:13]
	s_delay_alu instid0(VALU_DEP_2) | instskip(NEXT) | instid1(VALU_DEP_3)
	v_add_co_u32 v14, vcc_lo, s8, v8
	v_add_co_ci_u32_e32 v15, vcc_lo, s9, v9, vcc_lo
	s_delay_alu instid0(VALU_DEP_3) | instskip(NEXT) | instid1(VALU_DEP_4)
	v_add_co_u32 v12, vcc_lo, s12, v12
	v_add_co_ci_u32_e32 v13, vcc_lo, s13, v13, vcc_lo
	s_and_saveexec_b32 s7, s14
	s_cbranch_execnz .LBB167_275
; %bb.272:
	s_or_b32 exec_lo, exec_lo, s7
	s_and_b32 s14, s1, s4
	s_delay_alu instid0(SALU_CYCLE_1)
	s_and_saveexec_b32 s7, s14
	s_cbranch_execnz .LBB167_279
.LBB167_273:
	s_or_b32 exec_lo, exec_lo, s7
	s_and_b32 s14, s2, s4
	s_delay_alu instid0(SALU_CYCLE_1)
	s_and_saveexec_b32 s7, s14
	s_cbranch_execnz .LBB167_283
.LBB167_274:
	s_or_b32 exec_lo, exec_lo, s7
	s_and_b32 s7, s3, s4
	s_delay_alu instid0(SALU_CYCLE_1)
	s_and_saveexec_b32 s4, s7
	s_cbranch_execnz .LBB167_287
	s_branch .LBB167_291
.LBB167_275:
	v_cmp_ne_u32_e32 vcc_lo, 1, v10
	s_cbranch_vccnz .LBB167_277
; %bb.276:
	v_lshlrev_b64 v[8:9], 3, v[0:1]
	s_delay_alu instid0(VALU_DEP_1) | instskip(NEXT) | instid1(VALU_DEP_2)
	v_add_co_u32 v8, vcc_lo, v14, v8
	v_add_co_ci_u32_e32 v9, vcc_lo, v15, v9, vcc_lo
	flat_load_b64 v[8:9], v[8:9]
	s_waitcnt vmcnt(0) lgkmcnt(0)
	v_mul_f64 v[8:9], v[8:9], s[10:11]
	s_branch .LBB167_278
.LBB167_277:
	v_mov_b32_e32 v8, 0
	v_mov_b32_e32 v9, 0
.LBB167_278:
	s_delay_alu instid0(VALU_DEP_1) | instskip(SKIP_2) | instid1(VALU_DEP_1)
	v_cvt_f32_f64_e32 v8, v[8:9]
	v_max_f32_e32 v9, v91, v91
	v_lshlrev_b64 v[16:17], 3, v[0:1]
	v_add_co_u32 v16, vcc_lo, v12, v16
	s_delay_alu instid0(VALU_DEP_2) | instskip(NEXT) | instid1(VALU_DEP_4)
	v_add_co_ci_u32_e32 v17, vcc_lo, v13, v17, vcc_lo
	v_min_f32_e32 v8, v8, v9
	s_delay_alu instid0(VALU_DEP_1) | instskip(SKIP_3) | instid1(SALU_CYCLE_1)
	v_cvt_f64_f32_e32 v[8:9], v8
	global_store_b64 v[16:17], v[8:9], off
	s_or_b32 exec_lo, exec_lo, s7
	s_and_b32 s14, s1, s4
	s_and_saveexec_b32 s7, s14
	s_cbranch_execz .LBB167_273
.LBB167_279:
	v_cmp_ne_u32_e32 vcc_lo, 1, v10
	s_cbranch_vccnz .LBB167_281
; %bb.280:
	v_lshlrev_b64 v[8:9], 3, v[2:3]
	s_delay_alu instid0(VALU_DEP_1) | instskip(NEXT) | instid1(VALU_DEP_2)
	v_add_co_u32 v8, vcc_lo, v14, v8
	v_add_co_ci_u32_e32 v9, vcc_lo, v15, v9, vcc_lo
	flat_load_b64 v[8:9], v[8:9]
	s_waitcnt vmcnt(0) lgkmcnt(0)
	v_mul_f64 v[8:9], v[8:9], s[10:11]
	s_branch .LBB167_282
.LBB167_281:
	v_mov_b32_e32 v8, 0
	v_mov_b32_e32 v9, 0
.LBB167_282:
	s_delay_alu instid0(VALU_DEP_1) | instskip(SKIP_2) | instid1(VALU_DEP_1)
	v_cvt_f32_f64_e32 v8, v[8:9]
	v_max_f32_e32 v9, v90, v90
	v_lshlrev_b64 v[16:17], 3, v[2:3]
	v_add_co_u32 v16, vcc_lo, v12, v16
	s_delay_alu instid0(VALU_DEP_2) | instskip(NEXT) | instid1(VALU_DEP_4)
	v_add_co_ci_u32_e32 v17, vcc_lo, v13, v17, vcc_lo
	v_min_f32_e32 v8, v8, v9
	s_delay_alu instid0(VALU_DEP_1) | instskip(SKIP_3) | instid1(SALU_CYCLE_1)
	v_cvt_f64_f32_e32 v[8:9], v8
	global_store_b64 v[16:17], v[8:9], off
	s_or_b32 exec_lo, exec_lo, s7
	s_and_b32 s14, s2, s4
	s_and_saveexec_b32 s7, s14
	s_cbranch_execz .LBB167_274
.LBB167_283:
	v_cmp_ne_u32_e32 vcc_lo, 1, v10
	s_cbranch_vccnz .LBB167_285
; %bb.284:
	v_lshlrev_b64 v[8:9], 3, v[4:5]
	s_delay_alu instid0(VALU_DEP_1) | instskip(NEXT) | instid1(VALU_DEP_2)
	v_add_co_u32 v8, vcc_lo, v14, v8
	v_add_co_ci_u32_e32 v9, vcc_lo, v15, v9, vcc_lo
	flat_load_b64 v[8:9], v[8:9]
	s_waitcnt vmcnt(0) lgkmcnt(0)
	v_mul_f64 v[8:9], v[8:9], s[10:11]
	s_branch .LBB167_286
.LBB167_285:
	v_mov_b32_e32 v8, 0
	v_mov_b32_e32 v9, 0
.LBB167_286:
	s_delay_alu instid0(VALU_DEP_1) | instskip(SKIP_2) | instid1(VALU_DEP_1)
	v_cvt_f32_f64_e32 v8, v[8:9]
	v_max_f32_e32 v9, v89, v89
	v_lshlrev_b64 v[16:17], 3, v[4:5]
	v_add_co_u32 v16, vcc_lo, v12, v16
	s_delay_alu instid0(VALU_DEP_2) | instskip(NEXT) | instid1(VALU_DEP_4)
	v_add_co_ci_u32_e32 v17, vcc_lo, v13, v17, vcc_lo
	v_min_f32_e32 v8, v8, v9
	s_delay_alu instid0(VALU_DEP_1) | instskip(SKIP_3) | instid1(SALU_CYCLE_1)
	v_cvt_f64_f32_e32 v[8:9], v8
	global_store_b64 v[16:17], v[8:9], off
	s_or_b32 exec_lo, exec_lo, s7
	s_and_b32 s7, s3, s4
	s_and_saveexec_b32 s4, s7
	s_cbranch_execz .LBB167_291
.LBB167_287:
	v_cmp_ne_u32_e32 vcc_lo, 1, v10
	s_cbranch_vccnz .LBB167_289
; %bb.288:
	v_lshlrev_b64 v[8:9], 3, v[6:7]
	s_delay_alu instid0(VALU_DEP_1) | instskip(NEXT) | instid1(VALU_DEP_2)
	v_add_co_u32 v8, vcc_lo, v14, v8
	v_add_co_ci_u32_e32 v9, vcc_lo, v15, v9, vcc_lo
	flat_load_b64 v[8:9], v[8:9]
	s_waitcnt vmcnt(0) lgkmcnt(0)
	v_mul_f64 v[8:9], v[8:9], s[10:11]
	s_branch .LBB167_290
.LBB167_289:
	v_mov_b32_e32 v8, 0
	v_mov_b32_e32 v9, 0
.LBB167_290:
	s_delay_alu instid0(VALU_DEP_1) | instskip(SKIP_2) | instid1(VALU_DEP_1)
	v_cvt_f32_f64_e32 v8, v[8:9]
	v_max_f32_e32 v9, v88, v88
	v_lshlrev_b64 v[14:15], 3, v[6:7]
	v_add_co_u32 v12, vcc_lo, v12, v14
	s_delay_alu instid0(VALU_DEP_2) | instskip(NEXT) | instid1(VALU_DEP_4)
	v_add_co_ci_u32_e32 v13, vcc_lo, v13, v15, vcc_lo
	v_min_f32_e32 v8, v8, v9
	s_delay_alu instid0(VALU_DEP_1)
	v_cvt_f64_f32_e32 v[8:9], v8
	global_store_b64 v[12:13], v[8:9], off
.LBB167_291:
	s_or_b32 exec_lo, exec_lo, s4
	v_add_nc_u32_e32 v14, 0x60, v11
	s_delay_alu instid0(VALU_DEP_1) | instskip(SKIP_2) | instid1(VALU_DEP_3)
	v_mad_i64_i32 v[8:9], null, v14, s6, 0
	v_mad_i64_i32 v[12:13], null, v14, s5, 0
	v_cmp_gt_i32_e64 s4, s17, v14
	v_lshlrev_b64 v[8:9], 3, v[8:9]
	s_delay_alu instid0(VALU_DEP_2) | instskip(NEXT) | instid1(VALU_DEP_3)
	s_and_b32 s14, s0, s4
	v_lshlrev_b64 v[12:13], 3, v[12:13]
	s_delay_alu instid0(VALU_DEP_2) | instskip(NEXT) | instid1(VALU_DEP_3)
	v_add_co_u32 v14, vcc_lo, s8, v8
	v_add_co_ci_u32_e32 v15, vcc_lo, s9, v9, vcc_lo
	s_delay_alu instid0(VALU_DEP_3) | instskip(NEXT) | instid1(VALU_DEP_4)
	v_add_co_u32 v12, vcc_lo, s12, v12
	v_add_co_ci_u32_e32 v13, vcc_lo, s13, v13, vcc_lo
	s_and_saveexec_b32 s7, s14
	s_cbranch_execnz .LBB167_295
; %bb.292:
	s_or_b32 exec_lo, exec_lo, s7
	s_and_b32 s14, s1, s4
	s_delay_alu instid0(SALU_CYCLE_1)
	s_and_saveexec_b32 s7, s14
	s_cbranch_execnz .LBB167_299
.LBB167_293:
	s_or_b32 exec_lo, exec_lo, s7
	s_and_b32 s14, s2, s4
	s_delay_alu instid0(SALU_CYCLE_1)
	s_and_saveexec_b32 s7, s14
	s_cbranch_execnz .LBB167_303
.LBB167_294:
	s_or_b32 exec_lo, exec_lo, s7
	s_and_b32 s7, s3, s4
	s_delay_alu instid0(SALU_CYCLE_1)
	s_and_saveexec_b32 s4, s7
	s_cbranch_execnz .LBB167_307
	s_branch .LBB167_311
.LBB167_295:
	v_cmp_ne_u32_e32 vcc_lo, 1, v10
	s_cbranch_vccnz .LBB167_297
; %bb.296:
	v_lshlrev_b64 v[8:9], 3, v[0:1]
	s_delay_alu instid0(VALU_DEP_1) | instskip(NEXT) | instid1(VALU_DEP_2)
	v_add_co_u32 v8, vcc_lo, v14, v8
	v_add_co_ci_u32_e32 v9, vcc_lo, v15, v9, vcc_lo
	flat_load_b64 v[8:9], v[8:9]
	s_waitcnt vmcnt(0) lgkmcnt(0)
	v_mul_f64 v[8:9], v[8:9], s[10:11]
	s_branch .LBB167_298
.LBB167_297:
	v_mov_b32_e32 v8, 0
	v_mov_b32_e32 v9, 0
.LBB167_298:
	s_delay_alu instid0(VALU_DEP_1) | instskip(SKIP_2) | instid1(VALU_DEP_1)
	v_cvt_f32_f64_e32 v8, v[8:9]
	v_max_f32_e32 v9, v87, v87
	v_lshlrev_b64 v[16:17], 3, v[0:1]
	v_add_co_u32 v16, vcc_lo, v12, v16
	s_delay_alu instid0(VALU_DEP_2) | instskip(NEXT) | instid1(VALU_DEP_4)
	v_add_co_ci_u32_e32 v17, vcc_lo, v13, v17, vcc_lo
	v_min_f32_e32 v8, v8, v9
	s_delay_alu instid0(VALU_DEP_1) | instskip(SKIP_3) | instid1(SALU_CYCLE_1)
	v_cvt_f64_f32_e32 v[8:9], v8
	global_store_b64 v[16:17], v[8:9], off
	s_or_b32 exec_lo, exec_lo, s7
	s_and_b32 s14, s1, s4
	s_and_saveexec_b32 s7, s14
	s_cbranch_execz .LBB167_293
.LBB167_299:
	v_cmp_ne_u32_e32 vcc_lo, 1, v10
	s_cbranch_vccnz .LBB167_301
; %bb.300:
	v_lshlrev_b64 v[8:9], 3, v[2:3]
	s_delay_alu instid0(VALU_DEP_1) | instskip(NEXT) | instid1(VALU_DEP_2)
	v_add_co_u32 v8, vcc_lo, v14, v8
	v_add_co_ci_u32_e32 v9, vcc_lo, v15, v9, vcc_lo
	flat_load_b64 v[8:9], v[8:9]
	s_waitcnt vmcnt(0) lgkmcnt(0)
	v_mul_f64 v[8:9], v[8:9], s[10:11]
	s_branch .LBB167_302
.LBB167_301:
	v_mov_b32_e32 v8, 0
	v_mov_b32_e32 v9, 0
.LBB167_302:
	s_delay_alu instid0(VALU_DEP_1) | instskip(SKIP_2) | instid1(VALU_DEP_1)
	v_cvt_f32_f64_e32 v8, v[8:9]
	v_max_f32_e32 v9, v86, v86
	v_lshlrev_b64 v[16:17], 3, v[2:3]
	v_add_co_u32 v16, vcc_lo, v12, v16
	s_delay_alu instid0(VALU_DEP_2) | instskip(NEXT) | instid1(VALU_DEP_4)
	v_add_co_ci_u32_e32 v17, vcc_lo, v13, v17, vcc_lo
	v_min_f32_e32 v8, v8, v9
	s_delay_alu instid0(VALU_DEP_1) | instskip(SKIP_3) | instid1(SALU_CYCLE_1)
	v_cvt_f64_f32_e32 v[8:9], v8
	global_store_b64 v[16:17], v[8:9], off
	s_or_b32 exec_lo, exec_lo, s7
	s_and_b32 s14, s2, s4
	s_and_saveexec_b32 s7, s14
	s_cbranch_execz .LBB167_294
.LBB167_303:
	v_cmp_ne_u32_e32 vcc_lo, 1, v10
	s_cbranch_vccnz .LBB167_305
; %bb.304:
	v_lshlrev_b64 v[8:9], 3, v[4:5]
	s_delay_alu instid0(VALU_DEP_1) | instskip(NEXT) | instid1(VALU_DEP_2)
	v_add_co_u32 v8, vcc_lo, v14, v8
	v_add_co_ci_u32_e32 v9, vcc_lo, v15, v9, vcc_lo
	flat_load_b64 v[8:9], v[8:9]
	s_waitcnt vmcnt(0) lgkmcnt(0)
	v_mul_f64 v[8:9], v[8:9], s[10:11]
	s_branch .LBB167_306
.LBB167_305:
	v_mov_b32_e32 v8, 0
	v_mov_b32_e32 v9, 0
.LBB167_306:
	s_delay_alu instid0(VALU_DEP_1) | instskip(SKIP_2) | instid1(VALU_DEP_1)
	v_cvt_f32_f64_e32 v8, v[8:9]
	v_max_f32_e32 v9, v85, v85
	v_lshlrev_b64 v[16:17], 3, v[4:5]
	v_add_co_u32 v16, vcc_lo, v12, v16
	s_delay_alu instid0(VALU_DEP_2) | instskip(NEXT) | instid1(VALU_DEP_4)
	v_add_co_ci_u32_e32 v17, vcc_lo, v13, v17, vcc_lo
	v_min_f32_e32 v8, v8, v9
	s_delay_alu instid0(VALU_DEP_1) | instskip(SKIP_3) | instid1(SALU_CYCLE_1)
	v_cvt_f64_f32_e32 v[8:9], v8
	global_store_b64 v[16:17], v[8:9], off
	s_or_b32 exec_lo, exec_lo, s7
	s_and_b32 s7, s3, s4
	s_and_saveexec_b32 s4, s7
	s_cbranch_execz .LBB167_311
.LBB167_307:
	v_cmp_ne_u32_e32 vcc_lo, 1, v10
	s_cbranch_vccnz .LBB167_309
; %bb.308:
	v_lshlrev_b64 v[8:9], 3, v[6:7]
	s_delay_alu instid0(VALU_DEP_1) | instskip(NEXT) | instid1(VALU_DEP_2)
	v_add_co_u32 v8, vcc_lo, v14, v8
	v_add_co_ci_u32_e32 v9, vcc_lo, v15, v9, vcc_lo
	flat_load_b64 v[8:9], v[8:9]
	s_waitcnt vmcnt(0) lgkmcnt(0)
	v_mul_f64 v[8:9], v[8:9], s[10:11]
	s_branch .LBB167_310
.LBB167_309:
	v_mov_b32_e32 v8, 0
	v_mov_b32_e32 v9, 0
.LBB167_310:
	s_delay_alu instid0(VALU_DEP_1) | instskip(SKIP_2) | instid1(VALU_DEP_1)
	v_cvt_f32_f64_e32 v8, v[8:9]
	v_max_f32_e32 v9, v84, v84
	v_lshlrev_b64 v[14:15], 3, v[6:7]
	v_add_co_u32 v12, vcc_lo, v12, v14
	s_delay_alu instid0(VALU_DEP_2) | instskip(NEXT) | instid1(VALU_DEP_4)
	v_add_co_ci_u32_e32 v13, vcc_lo, v13, v15, vcc_lo
	v_min_f32_e32 v8, v8, v9
	s_delay_alu instid0(VALU_DEP_1)
	v_cvt_f64_f32_e32 v[8:9], v8
	global_store_b64 v[12:13], v[8:9], off
.LBB167_311:
	s_or_b32 exec_lo, exec_lo, s4
	v_add_nc_u32_e32 v14, 0x68, v11
	s_delay_alu instid0(VALU_DEP_1) | instskip(SKIP_2) | instid1(VALU_DEP_3)
	v_mad_i64_i32 v[8:9], null, v14, s6, 0
	v_mad_i64_i32 v[12:13], null, v14, s5, 0
	v_cmp_gt_i32_e64 s4, s17, v14
	v_lshlrev_b64 v[8:9], 3, v[8:9]
	s_delay_alu instid0(VALU_DEP_2) | instskip(NEXT) | instid1(VALU_DEP_3)
	s_and_b32 s14, s0, s4
	v_lshlrev_b64 v[12:13], 3, v[12:13]
	s_delay_alu instid0(VALU_DEP_2) | instskip(NEXT) | instid1(VALU_DEP_3)
	v_add_co_u32 v14, vcc_lo, s8, v8
	v_add_co_ci_u32_e32 v15, vcc_lo, s9, v9, vcc_lo
	s_delay_alu instid0(VALU_DEP_3) | instskip(NEXT) | instid1(VALU_DEP_4)
	v_add_co_u32 v12, vcc_lo, s12, v12
	v_add_co_ci_u32_e32 v13, vcc_lo, s13, v13, vcc_lo
	s_and_saveexec_b32 s7, s14
	s_cbranch_execnz .LBB167_315
; %bb.312:
	s_or_b32 exec_lo, exec_lo, s7
	s_and_b32 s14, s1, s4
	s_delay_alu instid0(SALU_CYCLE_1)
	s_and_saveexec_b32 s7, s14
	s_cbranch_execnz .LBB167_319
.LBB167_313:
	s_or_b32 exec_lo, exec_lo, s7
	s_and_b32 s14, s2, s4
	s_delay_alu instid0(SALU_CYCLE_1)
	s_and_saveexec_b32 s7, s14
	s_cbranch_execnz .LBB167_323
.LBB167_314:
	s_or_b32 exec_lo, exec_lo, s7
	s_and_b32 s7, s3, s4
	s_delay_alu instid0(SALU_CYCLE_1)
	s_and_saveexec_b32 s4, s7
	s_cbranch_execnz .LBB167_327
	s_branch .LBB167_331
.LBB167_315:
	v_cmp_ne_u32_e32 vcc_lo, 1, v10
	s_cbranch_vccnz .LBB167_317
; %bb.316:
	v_lshlrev_b64 v[8:9], 3, v[0:1]
	s_delay_alu instid0(VALU_DEP_1) | instskip(NEXT) | instid1(VALU_DEP_2)
	v_add_co_u32 v8, vcc_lo, v14, v8
	v_add_co_ci_u32_e32 v9, vcc_lo, v15, v9, vcc_lo
	flat_load_b64 v[8:9], v[8:9]
	s_waitcnt vmcnt(0) lgkmcnt(0)
	v_mul_f64 v[8:9], v[8:9], s[10:11]
	s_branch .LBB167_318
.LBB167_317:
	v_mov_b32_e32 v8, 0
	v_mov_b32_e32 v9, 0
.LBB167_318:
	s_delay_alu instid0(VALU_DEP_1) | instskip(SKIP_2) | instid1(VALU_DEP_1)
	v_cvt_f32_f64_e32 v8, v[8:9]
	v_max_f32_e32 v9, v83, v83
	v_lshlrev_b64 v[16:17], 3, v[0:1]
	v_add_co_u32 v16, vcc_lo, v12, v16
	s_delay_alu instid0(VALU_DEP_2) | instskip(NEXT) | instid1(VALU_DEP_4)
	v_add_co_ci_u32_e32 v17, vcc_lo, v13, v17, vcc_lo
	v_min_f32_e32 v8, v8, v9
	s_delay_alu instid0(VALU_DEP_1) | instskip(SKIP_3) | instid1(SALU_CYCLE_1)
	v_cvt_f64_f32_e32 v[8:9], v8
	global_store_b64 v[16:17], v[8:9], off
	s_or_b32 exec_lo, exec_lo, s7
	s_and_b32 s14, s1, s4
	s_and_saveexec_b32 s7, s14
	s_cbranch_execz .LBB167_313
.LBB167_319:
	v_cmp_ne_u32_e32 vcc_lo, 1, v10
	s_cbranch_vccnz .LBB167_321
; %bb.320:
	v_lshlrev_b64 v[8:9], 3, v[2:3]
	s_delay_alu instid0(VALU_DEP_1) | instskip(NEXT) | instid1(VALU_DEP_2)
	v_add_co_u32 v8, vcc_lo, v14, v8
	v_add_co_ci_u32_e32 v9, vcc_lo, v15, v9, vcc_lo
	flat_load_b64 v[8:9], v[8:9]
	s_waitcnt vmcnt(0) lgkmcnt(0)
	v_mul_f64 v[8:9], v[8:9], s[10:11]
	s_branch .LBB167_322
.LBB167_321:
	v_mov_b32_e32 v8, 0
	v_mov_b32_e32 v9, 0
.LBB167_322:
	s_delay_alu instid0(VALU_DEP_1) | instskip(SKIP_2) | instid1(VALU_DEP_1)
	v_cvt_f32_f64_e32 v8, v[8:9]
	v_max_f32_e32 v9, v82, v82
	v_lshlrev_b64 v[16:17], 3, v[2:3]
	v_add_co_u32 v16, vcc_lo, v12, v16
	s_delay_alu instid0(VALU_DEP_2) | instskip(NEXT) | instid1(VALU_DEP_4)
	v_add_co_ci_u32_e32 v17, vcc_lo, v13, v17, vcc_lo
	v_min_f32_e32 v8, v8, v9
	s_delay_alu instid0(VALU_DEP_1) | instskip(SKIP_3) | instid1(SALU_CYCLE_1)
	v_cvt_f64_f32_e32 v[8:9], v8
	global_store_b64 v[16:17], v[8:9], off
	s_or_b32 exec_lo, exec_lo, s7
	s_and_b32 s14, s2, s4
	s_and_saveexec_b32 s7, s14
	s_cbranch_execz .LBB167_314
.LBB167_323:
	v_cmp_ne_u32_e32 vcc_lo, 1, v10
	s_cbranch_vccnz .LBB167_325
; %bb.324:
	v_lshlrev_b64 v[8:9], 3, v[4:5]
	s_delay_alu instid0(VALU_DEP_1) | instskip(NEXT) | instid1(VALU_DEP_2)
	v_add_co_u32 v8, vcc_lo, v14, v8
	v_add_co_ci_u32_e32 v9, vcc_lo, v15, v9, vcc_lo
	flat_load_b64 v[8:9], v[8:9]
	s_waitcnt vmcnt(0) lgkmcnt(0)
	v_mul_f64 v[8:9], v[8:9], s[10:11]
	s_branch .LBB167_326
.LBB167_325:
	v_mov_b32_e32 v8, 0
	v_mov_b32_e32 v9, 0
.LBB167_326:
	s_delay_alu instid0(VALU_DEP_1) | instskip(SKIP_2) | instid1(VALU_DEP_1)
	v_cvt_f32_f64_e32 v8, v[8:9]
	v_max_f32_e32 v9, v81, v81
	v_lshlrev_b64 v[16:17], 3, v[4:5]
	v_add_co_u32 v16, vcc_lo, v12, v16
	s_delay_alu instid0(VALU_DEP_2) | instskip(NEXT) | instid1(VALU_DEP_4)
	v_add_co_ci_u32_e32 v17, vcc_lo, v13, v17, vcc_lo
	v_min_f32_e32 v8, v8, v9
	s_delay_alu instid0(VALU_DEP_1) | instskip(SKIP_3) | instid1(SALU_CYCLE_1)
	v_cvt_f64_f32_e32 v[8:9], v8
	global_store_b64 v[16:17], v[8:9], off
	s_or_b32 exec_lo, exec_lo, s7
	s_and_b32 s7, s3, s4
	s_and_saveexec_b32 s4, s7
	s_cbranch_execz .LBB167_331
.LBB167_327:
	v_cmp_ne_u32_e32 vcc_lo, 1, v10
	s_cbranch_vccnz .LBB167_329
; %bb.328:
	v_lshlrev_b64 v[8:9], 3, v[6:7]
	s_delay_alu instid0(VALU_DEP_1) | instskip(NEXT) | instid1(VALU_DEP_2)
	v_add_co_u32 v8, vcc_lo, v14, v8
	v_add_co_ci_u32_e32 v9, vcc_lo, v15, v9, vcc_lo
	flat_load_b64 v[8:9], v[8:9]
	s_waitcnt vmcnt(0) lgkmcnt(0)
	v_mul_f64 v[8:9], v[8:9], s[10:11]
	s_branch .LBB167_330
.LBB167_329:
	v_mov_b32_e32 v8, 0
	v_mov_b32_e32 v9, 0
.LBB167_330:
	s_delay_alu instid0(VALU_DEP_1) | instskip(SKIP_2) | instid1(VALU_DEP_1)
	v_cvt_f32_f64_e32 v8, v[8:9]
	v_max_f32_e32 v9, v80, v80
	v_lshlrev_b64 v[14:15], 3, v[6:7]
	v_add_co_u32 v12, vcc_lo, v12, v14
	s_delay_alu instid0(VALU_DEP_2) | instskip(NEXT) | instid1(VALU_DEP_4)
	v_add_co_ci_u32_e32 v13, vcc_lo, v13, v15, vcc_lo
	v_min_f32_e32 v8, v8, v9
	s_delay_alu instid0(VALU_DEP_1)
	v_cvt_f64_f32_e32 v[8:9], v8
	global_store_b64 v[12:13], v[8:9], off
.LBB167_331:
	s_or_b32 exec_lo, exec_lo, s4
	v_add_nc_u32_e32 v14, 0x70, v11
	s_delay_alu instid0(VALU_DEP_1) | instskip(SKIP_2) | instid1(VALU_DEP_3)
	v_mad_i64_i32 v[8:9], null, v14, s6, 0
	v_mad_i64_i32 v[12:13], null, v14, s5, 0
	v_cmp_gt_i32_e64 s4, s17, v14
	v_lshlrev_b64 v[8:9], 3, v[8:9]
	s_delay_alu instid0(VALU_DEP_2) | instskip(NEXT) | instid1(VALU_DEP_3)
	s_and_b32 s14, s0, s4
	v_lshlrev_b64 v[14:15], 3, v[12:13]
	s_delay_alu instid0(VALU_DEP_2) | instskip(NEXT) | instid1(VALU_DEP_3)
	v_add_co_u32 v12, vcc_lo, s8, v8
	v_add_co_ci_u32_e32 v13, vcc_lo, s9, v9, vcc_lo
	s_delay_alu instid0(VALU_DEP_3) | instskip(NEXT) | instid1(VALU_DEP_4)
	v_add_co_u32 v8, vcc_lo, s12, v14
	v_add_co_ci_u32_e32 v9, vcc_lo, s13, v15, vcc_lo
	s_and_saveexec_b32 s7, s14
	s_cbranch_execnz .LBB167_335
; %bb.332:
	s_or_b32 exec_lo, exec_lo, s7
	s_and_b32 s14, s1, s4
	s_delay_alu instid0(SALU_CYCLE_1)
	s_and_saveexec_b32 s7, s14
	s_cbranch_execnz .LBB167_339
.LBB167_333:
	s_or_b32 exec_lo, exec_lo, s7
	s_and_b32 s14, s2, s4
	s_delay_alu instid0(SALU_CYCLE_1)
	s_and_saveexec_b32 s7, s14
	s_cbranch_execnz .LBB167_343
.LBB167_334:
	s_or_b32 exec_lo, exec_lo, s7
	s_and_b32 s7, s3, s4
	s_delay_alu instid0(SALU_CYCLE_1)
	s_and_saveexec_b32 s4, s7
	s_cbranch_execnz .LBB167_347
	s_branch .LBB167_351
.LBB167_335:
	v_cmp_ne_u32_e32 vcc_lo, 1, v10
	s_cbranch_vccnz .LBB167_337
; %bb.336:
	v_lshlrev_b64 v[14:15], 3, v[0:1]
	s_delay_alu instid0(VALU_DEP_1) | instskip(NEXT) | instid1(VALU_DEP_2)
	v_add_co_u32 v14, vcc_lo, v12, v14
	v_add_co_ci_u32_e32 v15, vcc_lo, v13, v15, vcc_lo
	flat_load_b64 v[14:15], v[14:15]
	s_waitcnt vmcnt(0) lgkmcnt(0)
	v_mul_f64 v[14:15], v[14:15], s[10:11]
	s_delay_alu instid0(VALU_DEP_1)
	v_cvt_f32_f64_e32 v14, v[14:15]
	s_branch .LBB167_338
.LBB167_337:
	v_mov_b32_e32 v14, 0
.LBB167_338:
	s_delay_alu instid0(VALU_DEP_1) | instskip(SKIP_1) | instid1(VALU_DEP_2)
	v_dual_max_f32 v15, v79, v79 :: v_dual_max_f32 v14, v14, v14
	v_lshlrev_b64 v[16:17], 3, v[0:1]
	v_min_f32_e32 v14, v14, v15
	s_delay_alu instid0(VALU_DEP_2) | instskip(NEXT) | instid1(VALU_DEP_3)
	v_add_co_u32 v16, vcc_lo, v8, v16
	v_add_co_ci_u32_e32 v17, vcc_lo, v9, v17, vcc_lo
	s_delay_alu instid0(VALU_DEP_3) | instskip(SKIP_3) | instid1(SALU_CYCLE_1)
	v_cvt_f64_f32_e32 v[14:15], v14
	global_store_b64 v[16:17], v[14:15], off
	s_or_b32 exec_lo, exec_lo, s7
	s_and_b32 s14, s1, s4
	s_and_saveexec_b32 s7, s14
	s_cbranch_execz .LBB167_333
.LBB167_339:
	v_cmp_ne_u32_e32 vcc_lo, 1, v10
	s_cbranch_vccnz .LBB167_341
; %bb.340:
	v_lshlrev_b64 v[14:15], 3, v[2:3]
	s_delay_alu instid0(VALU_DEP_1) | instskip(NEXT) | instid1(VALU_DEP_2)
	v_add_co_u32 v14, vcc_lo, v12, v14
	v_add_co_ci_u32_e32 v15, vcc_lo, v13, v15, vcc_lo
	flat_load_b64 v[14:15], v[14:15]
	s_waitcnt vmcnt(0) lgkmcnt(0)
	v_mul_f64 v[14:15], v[14:15], s[10:11]
	s_delay_alu instid0(VALU_DEP_1)
	v_cvt_f32_f64_e32 v14, v[14:15]
	s_branch .LBB167_342
.LBB167_341:
	v_mov_b32_e32 v14, 0
.LBB167_342:
	v_max_f32_e32 v15, v78, v78
	s_delay_alu instid0(VALU_DEP_2) | instskip(SKIP_1) | instid1(VALU_DEP_2)
	v_max_f32_e32 v14, v14, v14
	v_lshlrev_b64 v[16:17], 3, v[2:3]
	v_min_f32_e32 v14, v14, v15
	s_delay_alu instid0(VALU_DEP_2) | instskip(NEXT) | instid1(VALU_DEP_3)
	v_add_co_u32 v16, vcc_lo, v8, v16
	v_add_co_ci_u32_e32 v17, vcc_lo, v9, v17, vcc_lo
	s_delay_alu instid0(VALU_DEP_3) | instskip(SKIP_3) | instid1(SALU_CYCLE_1)
	v_cvt_f64_f32_e32 v[14:15], v14
	global_store_b64 v[16:17], v[14:15], off
	s_or_b32 exec_lo, exec_lo, s7
	s_and_b32 s14, s2, s4
	s_and_saveexec_b32 s7, s14
	s_cbranch_execz .LBB167_334
.LBB167_343:
	v_cmp_ne_u32_e32 vcc_lo, 1, v10
	s_cbranch_vccnz .LBB167_345
; %bb.344:
	v_lshlrev_b64 v[14:15], 3, v[4:5]
	s_delay_alu instid0(VALU_DEP_1) | instskip(NEXT) | instid1(VALU_DEP_2)
	v_add_co_u32 v14, vcc_lo, v12, v14
	v_add_co_ci_u32_e32 v15, vcc_lo, v13, v15, vcc_lo
	flat_load_b64 v[14:15], v[14:15]
	s_waitcnt vmcnt(0) lgkmcnt(0)
	v_mul_f64 v[14:15], v[14:15], s[10:11]
	s_delay_alu instid0(VALU_DEP_1)
	v_cvt_f32_f64_e32 v14, v[14:15]
	s_branch .LBB167_346
.LBB167_345:
	v_mov_b32_e32 v14, 0
.LBB167_346:
	s_delay_alu instid0(VALU_DEP_1) | instskip(SKIP_1) | instid1(VALU_DEP_2)
	v_dual_max_f32 v15, v77, v77 :: v_dual_max_f32 v14, v14, v14
	v_lshlrev_b64 v[16:17], 3, v[4:5]
	v_min_f32_e32 v14, v14, v15
	s_delay_alu instid0(VALU_DEP_2) | instskip(NEXT) | instid1(VALU_DEP_3)
	v_add_co_u32 v16, vcc_lo, v8, v16
	v_add_co_ci_u32_e32 v17, vcc_lo, v9, v17, vcc_lo
	s_delay_alu instid0(VALU_DEP_3) | instskip(SKIP_3) | instid1(SALU_CYCLE_1)
	v_cvt_f64_f32_e32 v[14:15], v14
	global_store_b64 v[16:17], v[14:15], off
	s_or_b32 exec_lo, exec_lo, s7
	s_and_b32 s7, s3, s4
	s_and_saveexec_b32 s4, s7
	s_cbranch_execz .LBB167_351
.LBB167_347:
	v_cmp_ne_u32_e32 vcc_lo, 1, v10
	s_cbranch_vccnz .LBB167_349
; %bb.348:
	v_lshlrev_b64 v[14:15], 3, v[6:7]
	s_delay_alu instid0(VALU_DEP_1) | instskip(NEXT) | instid1(VALU_DEP_2)
	v_add_co_u32 v12, vcc_lo, v12, v14
	v_add_co_ci_u32_e32 v13, vcc_lo, v13, v15, vcc_lo
	flat_load_b64 v[12:13], v[12:13]
	s_waitcnt vmcnt(0) lgkmcnt(0)
	v_mul_f64 v[12:13], v[12:13], s[10:11]
	s_delay_alu instid0(VALU_DEP_1)
	v_cvt_f32_f64_e32 v12, v[12:13]
	s_branch .LBB167_350
.LBB167_349:
	v_mov_b32_e32 v12, 0
.LBB167_350:
	v_max_f32_e32 v13, v76, v76
	s_delay_alu instid0(VALU_DEP_2) | instskip(SKIP_1) | instid1(VALU_DEP_2)
	v_max_f32_e32 v12, v12, v12
	v_lshlrev_b64 v[14:15], 3, v[6:7]
	v_min_f32_e32 v12, v12, v13
	s_delay_alu instid0(VALU_DEP_2) | instskip(NEXT) | instid1(VALU_DEP_3)
	v_add_co_u32 v8, vcc_lo, v8, v14
	v_add_co_ci_u32_e32 v9, vcc_lo, v9, v15, vcc_lo
	s_delay_alu instid0(VALU_DEP_3)
	v_cvt_f64_f32_e32 v[12:13], v12
	global_store_b64 v[8:9], v[12:13], off
.LBB167_351:
	s_or_b32 exec_lo, exec_lo, s4
	v_add_nc_u32_e32 v13, 0x78, v11
	s_delay_alu instid0(VALU_DEP_1) | instskip(SKIP_2) | instid1(VALU_DEP_3)
	v_mad_i64_i32 v[8:9], null, v13, s6, 0
	v_mad_i64_i32 v[11:12], null, v13, s5, 0
	v_cmp_gt_i32_e64 s4, s17, v13
	v_lshlrev_b64 v[8:9], 3, v[8:9]
	s_delay_alu instid0(VALU_DEP_2) | instskip(NEXT) | instid1(VALU_DEP_3)
	s_and_b32 s5, s0, s4
	v_lshlrev_b64 v[13:14], 3, v[11:12]
	s_delay_alu instid0(VALU_DEP_2) | instskip(NEXT) | instid1(VALU_DEP_3)
	v_add_co_u32 v11, vcc_lo, s8, v8
	v_add_co_ci_u32_e32 v12, vcc_lo, s9, v9, vcc_lo
	s_delay_alu instid0(VALU_DEP_3) | instskip(NEXT) | instid1(VALU_DEP_4)
	v_add_co_u32 v8, vcc_lo, s12, v13
	v_add_co_ci_u32_e32 v9, vcc_lo, s13, v14, vcc_lo
	s_and_saveexec_b32 s0, s5
	s_cbranch_execnz .LBB167_356
; %bb.352:
	s_or_b32 exec_lo, exec_lo, s0
	s_and_b32 s1, s1, s4
	s_delay_alu instid0(SALU_CYCLE_1)
	s_and_saveexec_b32 s0, s1
	s_cbranch_execnz .LBB167_360
.LBB167_353:
	s_or_b32 exec_lo, exec_lo, s0
	s_and_b32 s1, s2, s4
	s_delay_alu instid0(SALU_CYCLE_1)
	s_and_saveexec_b32 s0, s1
	s_cbranch_execnz .LBB167_364
.LBB167_354:
	s_or_b32 exec_lo, exec_lo, s0
	s_and_b32 s0, s3, s4
	s_delay_alu instid0(SALU_CYCLE_1)
	s_and_saveexec_b32 s1, s0
	s_cbranch_execnz .LBB167_368
.LBB167_355:
	s_nop 0
	s_sendmsg sendmsg(MSG_DEALLOC_VGPRS)
	s_endpgm
.LBB167_356:
	v_cmp_ne_u32_e32 vcc_lo, 1, v10
	v_lshlrev_b64 v[0:1], 3, v[0:1]
	s_cbranch_vccnz .LBB167_358
; %bb.357:
	s_delay_alu instid0(VALU_DEP_1) | instskip(NEXT) | instid1(VALU_DEP_2)
	v_add_co_u32 v13, vcc_lo, v11, v0
	v_add_co_ci_u32_e32 v14, vcc_lo, v12, v1, vcc_lo
	flat_load_b64 v[13:14], v[13:14]
	s_waitcnt vmcnt(0) lgkmcnt(0)
	v_mul_f64 v[13:14], v[13:14], s[10:11]
	s_delay_alu instid0(VALU_DEP_1)
	v_cvt_f32_f64_e32 v13, v[13:14]
	s_branch .LBB167_359
.LBB167_358:
	v_mov_b32_e32 v13, 0
.LBB167_359:
	s_delay_alu instid0(VALU_DEP_1) | instskip(NEXT) | instid1(VALU_DEP_3)
	v_dual_max_f32 v14, v75, v75 :: v_dual_max_f32 v13, v13, v13
	v_add_co_u32 v0, vcc_lo, v8, v0
	s_delay_alu instid0(VALU_DEP_4) | instskip(NEXT) | instid1(VALU_DEP_3)
	v_add_co_ci_u32_e32 v1, vcc_lo, v9, v1, vcc_lo
	v_min_f32_e32 v13, v13, v14
	s_delay_alu instid0(VALU_DEP_1) | instskip(SKIP_3) | instid1(SALU_CYCLE_1)
	v_cvt_f64_f32_e32 v[13:14], v13
	global_store_b64 v[0:1], v[13:14], off
	s_or_b32 exec_lo, exec_lo, s0
	s_and_b32 s1, s1, s4
	s_and_saveexec_b32 s0, s1
	s_cbranch_execz .LBB167_353
.LBB167_360:
	v_cmp_ne_u32_e32 vcc_lo, 1, v10
	v_lshlrev_b64 v[0:1], 3, v[2:3]
	s_cbranch_vccnz .LBB167_362
; %bb.361:
	s_delay_alu instid0(VALU_DEP_1) | instskip(NEXT) | instid1(VALU_DEP_2)
	v_add_co_u32 v2, vcc_lo, v11, v0
	v_add_co_ci_u32_e32 v3, vcc_lo, v12, v1, vcc_lo
	flat_load_b64 v[2:3], v[2:3]
	s_waitcnt vmcnt(0) lgkmcnt(0)
	v_mul_f64 v[2:3], v[2:3], s[10:11]
	s_delay_alu instid0(VALU_DEP_1)
	v_cvt_f32_f64_e32 v2, v[2:3]
	s_branch .LBB167_363
.LBB167_362:
	v_mov_b32_e32 v2, 0
.LBB167_363:
	v_max_f32_e32 v3, v74, v74
	s_delay_alu instid0(VALU_DEP_2) | instskip(NEXT) | instid1(VALU_DEP_4)
	v_max_f32_e32 v2, v2, v2
	v_add_co_u32 v0, vcc_lo, v8, v0
	v_add_co_ci_u32_e32 v1, vcc_lo, v9, v1, vcc_lo
	s_delay_alu instid0(VALU_DEP_3) | instskip(NEXT) | instid1(VALU_DEP_1)
	v_min_f32_e32 v2, v2, v3
	v_cvt_f64_f32_e32 v[2:3], v2
	global_store_b64 v[0:1], v[2:3], off
	s_or_b32 exec_lo, exec_lo, s0
	s_and_b32 s1, s2, s4
	s_delay_alu instid0(SALU_CYCLE_1)
	s_and_saveexec_b32 s0, s1
	s_cbranch_execz .LBB167_354
.LBB167_364:
	v_cmp_ne_u32_e32 vcc_lo, 1, v10
	v_lshlrev_b64 v[0:1], 3, v[4:5]
	s_cbranch_vccnz .LBB167_366
; %bb.365:
	s_delay_alu instid0(VALU_DEP_1) | instskip(NEXT) | instid1(VALU_DEP_2)
	v_add_co_u32 v2, vcc_lo, v11, v0
	v_add_co_ci_u32_e32 v3, vcc_lo, v12, v1, vcc_lo
	flat_load_b64 v[2:3], v[2:3]
	s_waitcnt vmcnt(0) lgkmcnt(0)
	v_mul_f64 v[2:3], v[2:3], s[10:11]
	s_delay_alu instid0(VALU_DEP_1)
	v_cvt_f32_f64_e32 v2, v[2:3]
	s_branch .LBB167_367
.LBB167_366:
	v_mov_b32_e32 v2, 0
.LBB167_367:
	s_delay_alu instid0(VALU_DEP_1) | instskip(NEXT) | instid1(VALU_DEP_3)
	v_dual_max_f32 v3, v73, v73 :: v_dual_max_f32 v2, v2, v2
	v_add_co_u32 v0, vcc_lo, v8, v0
	s_delay_alu instid0(VALU_DEP_4) | instskip(NEXT) | instid1(VALU_DEP_3)
	v_add_co_ci_u32_e32 v1, vcc_lo, v9, v1, vcc_lo
	v_min_f32_e32 v2, v2, v3
	s_delay_alu instid0(VALU_DEP_1) | instskip(SKIP_3) | instid1(SALU_CYCLE_1)
	v_cvt_f64_f32_e32 v[2:3], v2
	global_store_b64 v[0:1], v[2:3], off
	s_or_b32 exec_lo, exec_lo, s0
	s_and_b32 s0, s3, s4
	s_and_saveexec_b32 s1, s0
	s_cbranch_execz .LBB167_355
.LBB167_368:
	v_cmp_ne_u32_e32 vcc_lo, 1, v10
	v_lshlrev_b64 v[0:1], 3, v[6:7]
	s_cbranch_vccnz .LBB167_370
; %bb.369:
	s_delay_alu instid0(VALU_DEP_1) | instskip(NEXT) | instid1(VALU_DEP_2)
	v_add_co_u32 v2, vcc_lo, v11, v0
	v_add_co_ci_u32_e32 v3, vcc_lo, v12, v1, vcc_lo
	flat_load_b64 v[2:3], v[2:3]
	s_waitcnt vmcnt(0) lgkmcnt(0)
	v_mul_f64 v[2:3], v[2:3], s[10:11]
	s_delay_alu instid0(VALU_DEP_1)
	v_cvt_f32_f64_e32 v2, v[2:3]
	s_branch .LBB167_371
.LBB167_370:
	v_mov_b32_e32 v2, 0
.LBB167_371:
	s_delay_alu instid0(VALU_DEP_1) | instskip(NEXT) | instid1(VALU_DEP_3)
	v_dual_max_f32 v3, v72, v72 :: v_dual_max_f32 v2, v2, v2
	v_add_co_u32 v0, vcc_lo, v8, v0
	s_delay_alu instid0(VALU_DEP_4) | instskip(NEXT) | instid1(VALU_DEP_3)
	v_add_co_ci_u32_e32 v1, vcc_lo, v9, v1, vcc_lo
	v_min_f32_e32 v2, v2, v3
	s_delay_alu instid0(VALU_DEP_1)
	v_cvt_f64_f32_e32 v[2:3], v2
	global_store_b64 v[0:1], v[2:3], off
	s_nop 0
	s_sendmsg sendmsg(MSG_DEALLOC_VGPRS)
	s_endpgm
	.section	.rodata,"a",@progbits
	.p2align	6, 0x0
	.amdhsa_kernel _ZN12_GLOBAL__N_120geam_min_plus_kernelId15HIP_vector_typeIdLj2EEdLi32ELi8ELi128ELi128ELi4ELi4ELi64ELi4ELi64ELc84ELc78ELb0ELb1ELb1EdKddEEviiiT16_PT17_ilS6_ilS4_S6_ilPT18_ili26rocblas_geam_ex_operation_
		.amdhsa_group_segment_fixed_size 16384
		.amdhsa_private_segment_fixed_size 0
		.amdhsa_kernarg_size 136
		.amdhsa_user_sgpr_count 14
		.amdhsa_user_sgpr_dispatch_ptr 0
		.amdhsa_user_sgpr_queue_ptr 0
		.amdhsa_user_sgpr_kernarg_segment_ptr 1
		.amdhsa_user_sgpr_dispatch_id 0
		.amdhsa_user_sgpr_private_segment_size 0
		.amdhsa_wavefront_size32 1
		.amdhsa_uses_dynamic_stack 0
		.amdhsa_enable_private_segment 0
		.amdhsa_system_sgpr_workgroup_id_x 1
		.amdhsa_system_sgpr_workgroup_id_y 0
		.amdhsa_system_sgpr_workgroup_id_z 1
		.amdhsa_system_sgpr_workgroup_info 0
		.amdhsa_system_vgpr_workitem_id 1
		.amdhsa_next_free_vgpr 172
		.amdhsa_next_free_sgpr 34
		.amdhsa_reserve_vcc 1
		.amdhsa_float_round_mode_32 0
		.amdhsa_float_round_mode_16_64 0
		.amdhsa_float_denorm_mode_32 3
		.amdhsa_float_denorm_mode_16_64 3
		.amdhsa_dx10_clamp 1
		.amdhsa_ieee_mode 1
		.amdhsa_fp16_overflow 0
		.amdhsa_workgroup_processor_mode 1
		.amdhsa_memory_ordered 1
		.amdhsa_forward_progress 0
		.amdhsa_shared_vgpr_count 0
		.amdhsa_exception_fp_ieee_invalid_op 0
		.amdhsa_exception_fp_denorm_src 0
		.amdhsa_exception_fp_ieee_div_zero 0
		.amdhsa_exception_fp_ieee_overflow 0
		.amdhsa_exception_fp_ieee_underflow 0
		.amdhsa_exception_fp_ieee_inexact 0
		.amdhsa_exception_int_div_zero 0
	.end_amdhsa_kernel
	.section	.text._ZN12_GLOBAL__N_120geam_min_plus_kernelId15HIP_vector_typeIdLj2EEdLi32ELi8ELi128ELi128ELi4ELi4ELi64ELi4ELi64ELc84ELc78ELb0ELb1ELb1EdKddEEviiiT16_PT17_ilS6_ilS4_S6_ilPT18_ili26rocblas_geam_ex_operation_,"axG",@progbits,_ZN12_GLOBAL__N_120geam_min_plus_kernelId15HIP_vector_typeIdLj2EEdLi32ELi8ELi128ELi128ELi4ELi4ELi64ELi4ELi64ELc84ELc78ELb0ELb1ELb1EdKddEEviiiT16_PT17_ilS6_ilS4_S6_ilPT18_ili26rocblas_geam_ex_operation_,comdat
.Lfunc_end167:
	.size	_ZN12_GLOBAL__N_120geam_min_plus_kernelId15HIP_vector_typeIdLj2EEdLi32ELi8ELi128ELi128ELi4ELi4ELi64ELi4ELi64ELc84ELc78ELb0ELb1ELb1EdKddEEviiiT16_PT17_ilS6_ilS4_S6_ilPT18_ili26rocblas_geam_ex_operation_, .Lfunc_end167-_ZN12_GLOBAL__N_120geam_min_plus_kernelId15HIP_vector_typeIdLj2EEdLi32ELi8ELi128ELi128ELi4ELi4ELi64ELi4ELi64ELc84ELc78ELb0ELb1ELb1EdKddEEviiiT16_PT17_ilS6_ilS4_S6_ilPT18_ili26rocblas_geam_ex_operation_
                                        ; -- End function
	.section	.AMDGPU.csdata,"",@progbits
; Kernel info:
; codeLenInByte = 24900
; NumSgprs: 36
; NumVgprs: 172
; ScratchSize: 0
; MemoryBound: 0
; FloatMode: 240
; IeeeMode: 1
; LDSByteSize: 16384 bytes/workgroup (compile time only)
; SGPRBlocks: 4
; VGPRBlocks: 21
; NumSGPRsForWavesPerEU: 36
; NumVGPRsForWavesPerEU: 172
; Occupancy: 8
; WaveLimiterHint : 0
; COMPUTE_PGM_RSRC2:SCRATCH_EN: 0
; COMPUTE_PGM_RSRC2:USER_SGPR: 14
; COMPUTE_PGM_RSRC2:TRAP_HANDLER: 0
; COMPUTE_PGM_RSRC2:TGID_X_EN: 1
; COMPUTE_PGM_RSRC2:TGID_Y_EN: 0
; COMPUTE_PGM_RSRC2:TGID_Z_EN: 1
; COMPUTE_PGM_RSRC2:TIDIG_COMP_CNT: 1
	.section	.text._ZN12_GLOBAL__N_120geam_min_plus_kernelId15HIP_vector_typeIdLj2EEdLi8ELi32ELi64ELi256ELi4ELi64ELi4ELi64ELi4ELc78ELc84ELb0ELb0ELb1EPKdS3_dEEviiiT16_PT17_ilS7_ilS5_S7_ilPT18_ili26rocblas_geam_ex_operation_,"axG",@progbits,_ZN12_GLOBAL__N_120geam_min_plus_kernelId15HIP_vector_typeIdLj2EEdLi8ELi32ELi64ELi256ELi4ELi64ELi4ELi64ELi4ELc78ELc84ELb0ELb0ELb1EPKdS3_dEEviiiT16_PT17_ilS7_ilS5_S7_ilPT18_ili26rocblas_geam_ex_operation_,comdat
	.globl	_ZN12_GLOBAL__N_120geam_min_plus_kernelId15HIP_vector_typeIdLj2EEdLi8ELi32ELi64ELi256ELi4ELi64ELi4ELi64ELi4ELc78ELc84ELb0ELb0ELb1EPKdS3_dEEviiiT16_PT17_ilS7_ilS5_S7_ilPT18_ili26rocblas_geam_ex_operation_ ; -- Begin function _ZN12_GLOBAL__N_120geam_min_plus_kernelId15HIP_vector_typeIdLj2EEdLi8ELi32ELi64ELi256ELi4ELi64ELi4ELi64ELi4ELc78ELc84ELb0ELb0ELb1EPKdS3_dEEviiiT16_PT17_ilS7_ilS5_S7_ilPT18_ili26rocblas_geam_ex_operation_
	.p2align	8
	.type	_ZN12_GLOBAL__N_120geam_min_plus_kernelId15HIP_vector_typeIdLj2EEdLi8ELi32ELi64ELi256ELi4ELi64ELi4ELi64ELi4ELc78ELc84ELb0ELb0ELb1EPKdS3_dEEviiiT16_PT17_ilS7_ilS5_S7_ilPT18_ili26rocblas_geam_ex_operation_,@function
_ZN12_GLOBAL__N_120geam_min_plus_kernelId15HIP_vector_typeIdLj2EEdLi8ELi32ELi64ELi256ELi4ELi64ELi4ELi64ELi4ELc78ELc84ELb0ELb0ELb1EPKdS3_dEEviiiT16_PT17_ilS7_ilS5_S7_ilPT18_ili26rocblas_geam_ex_operation_: ; @_ZN12_GLOBAL__N_120geam_min_plus_kernelId15HIP_vector_typeIdLj2EEdLi8ELi32ELi64ELi256ELi4ELi64ELi4ELi64ELi4ELc78ELc84ELb0ELb0ELb1EPKdS3_dEEviiiT16_PT17_ilS7_ilS5_S7_ilPT18_ili26rocblas_geam_ex_operation_
; %bb.0:
	s_clause 0x1
	s_load_b128 s[8:11], s[0:1], 0x10
	s_load_b128 s[4:7], s[0:1], 0x28
	s_mov_b32 s12, s15
	s_mov_b32 s13, 0
	s_mov_b64 s[22:23], 0
	s_lshl_b64 s[2:3], s[12:13], 3
	s_waitcnt lgkmcnt(0)
	s_add_u32 s8, s8, s2
	s_addc_u32 s9, s9, s3
	s_load_b64 s[20:21], s[8:9], 0x0
	s_clause 0x1
	s_load_b128 s[16:19], s[0:1], 0x40
	s_load_b64 s[24:25], s[0:1], 0x50
	s_waitcnt lgkmcnt(0)
	s_add_u32 s2, s18, s2
	v_cmp_eq_f64_e64 s13, s[20:21], 0
	v_cmp_neq_f64_e64 s15, s[20:21], 0
	s_addc_u32 s3, s19, s3
	s_mov_b64 s[18:19], 0
	s_delay_alu instid0(VALU_DEP_2)
	s_and_b32 vcc_lo, exec_lo, s13
	s_cbranch_vccnz .LBB168_2
; %bb.1:
	s_mul_i32 s5, s12, s5
	s_mul_hi_u32 s8, s12, s4
	s_mul_i32 s4, s12, s4
	s_add_i32 s5, s8, s5
	s_delay_alu instid0(SALU_CYCLE_1) | instskip(NEXT) | instid1(SALU_CYCLE_1)
	s_lshl_b64 s[4:5], s[4:5], 3
	s_add_u32 s22, s10, s4
	s_addc_u32 s23, s11, s5
.LBB168_2:
	s_load_b64 s[8:9], s[2:3], 0x0
	s_delay_alu instid0(VALU_DEP_1) | instskip(SKIP_1) | instid1(VALU_DEP_1)
	v_cndmask_b32_e64 v1, 0, 1, s15
	s_and_not1_b32 vcc_lo, exec_lo, s15
	v_cmp_ne_u32_e64 s3, 1, v1
	s_cbranch_vccnz .LBB168_4
; %bb.3:
	s_mul_i32 s2, s12, s17
	s_mul_hi_u32 s4, s12, s16
	s_delay_alu instid0(SALU_CYCLE_1) | instskip(SKIP_1) | instid1(SALU_CYCLE_1)
	s_add_i32 s5, s4, s2
	s_mul_i32 s4, s12, s16
	s_lshl_b64 s[4:5], s[4:5], 3
	s_delay_alu instid0(SALU_CYCLE_1)
	s_add_u32 s18, s6, s4
	s_addc_u32 s19, s7, s5
.LBB168_4:
	s_waitcnt lgkmcnt(0)
	v_cmp_eq_f64_e64 s2, s[8:9], 0
	s_load_b128 s[4:7], s[0:1], 0x60
	s_mov_b64 s[10:11], 0
	s_delay_alu instid0(VALU_DEP_1) | instskip(NEXT) | instid1(SALU_CYCLE_1)
	s_and_b32 s2, exec_lo, s2
	s_mov_b32 vcc_lo, s2
	s_cbranch_vccnz .LBB168_6
; %bb.5:
	s_waitcnt lgkmcnt(0)
	s_mul_i32 s5, s12, s5
	s_mul_hi_u32 s10, s12, s4
	s_mul_i32 s4, s12, s4
	s_add_i32 s5, s10, s5
	s_delay_alu instid0(SALU_CYCLE_1) | instskip(NEXT) | instid1(SALU_CYCLE_1)
	s_lshl_b64 s[4:5], s[4:5], 3
	s_add_u32 s10, s24, s4
	s_addc_u32 s11, s25, s5
.LBB168_6:
	s_waitcnt lgkmcnt(0)
	s_clause 0x1
	s_load_b32 s4, s[0:1], 0x0
	s_load_b32 s16, s[0:1], 0x20
	v_and_b32_e32 v101, 0x3ff, v0
	v_bfe_u32 v6, v0, 10, 10
	v_cndmask_b32_e64 v0, 0, 1, s13
	s_waitcnt lgkmcnt(0)
	s_add_i32 s4, s4, -1
	s_ashr_i32 s17, s16, 31
	s_ashr_i32 s5, s4, 31
	s_delay_alu instid0(SALU_CYCLE_1) | instskip(NEXT) | instid1(SALU_CYCLE_1)
	s_lshr_b32 s5, s5, 26
	s_add_i32 s4, s4, s5
	s_delay_alu instid0(SALU_CYCLE_1) | instskip(NEXT) | instid1(SALU_CYCLE_1)
	s_ashr_i32 s4, s4, 6
	s_add_i32 s15, s4, 1
	s_not_b32 s4, s4
	v_cvt_f32_u32_e32 v1, s15
	s_delay_alu instid0(VALU_DEP_1) | instskip(SKIP_2) | instid1(VALU_DEP_1)
	v_rcp_iflag_f32_e32 v1, v1
	s_waitcnt_depctr 0xfff
	v_mul_f32_e32 v1, 0x4f7ffffe, v1
	v_cvt_u32_f32_e32 v1, v1
	s_delay_alu instid0(VALU_DEP_1) | instskip(SKIP_1) | instid1(VALU_DEP_2)
	v_readfirstlane_b32 s5, v1
	v_lshl_add_u32 v1, v6, 3, v101
	s_mul_i32 s4, s4, s5
	s_delay_alu instid0(VALU_DEP_1) | instskip(SKIP_3) | instid1(SALU_CYCLE_1)
	v_and_b32_e32 v24, 63, v1
	s_mul_hi_u32 s4, s5, s4
	v_lshrrev_b32_e32 v7, 6, v1
	s_add_i32 s5, s5, s4
	s_mul_hi_u32 s4, s14, s5
	s_delay_alu instid0(SALU_CYCLE_1) | instskip(SKIP_2) | instid1(SALU_CYCLE_1)
	s_mul_i32 s5, s4, s15
	s_add_i32 s24, s4, 1
	s_sub_i32 s5, s14, s5
	s_sub_i32 s25, s5, s15
	s_cmp_ge_u32 s5, s15
	s_cselect_b32 s4, s24, s4
	s_cselect_b32 s5, s25, s5
	s_add_i32 s25, s4, 1
	s_cmp_ge_u32 s5, s15
	s_mov_b32 s24, -1
	s_cselect_b32 s5, s25, s4
	v_cmp_ne_u32_e64 s4, 1, v0
	s_mul_i32 s15, s5, s15
	s_and_not1_b32 vcc_lo, exec_lo, s13
	s_sub_i32 s14, s14, s15
	s_delay_alu instid0(SALU_CYCLE_1)
	s_lshl_b32 s13, s14, 6
	s_cbranch_vccnz .LBB168_9
; %bb.7:
	v_mov_b32_e32 v2, 0
	s_mov_b64 s[14:15], 0
	v_or_b32_e32 v14, s13, v24
	s_delay_alu instid0(VALU_DEP_1)
	v_ashrrev_i32_e32 v15, 31, v14
	s_cbranch_execz .LBB168_10
.LBB168_8:
	v_dual_mov_b32 v0, s14 :: v_dual_mov_b32 v1, s15
	s_branch .LBB168_11
.LBB168_9:
                                        ; implicit-def: $sgpr14_sgpr15
                                        ; implicit-def: $vgpr1_vgpr2
	v_or_b32_e32 v14, s13, v24
	s_and_not1_b32 vcc_lo, exec_lo, s24
	s_delay_alu instid0(VALU_DEP_1)
	v_ashrrev_i32_e32 v15, 31, v14
	s_cbranch_vccnz .LBB168_8
.LBB168_10:
	v_mad_i64_i32 v[0:1], null, s16, v7, 0
	s_delay_alu instid0(VALU_DEP_2) | instskip(NEXT) | instid1(VALU_DEP_2)
	v_lshlrev_b64 v[2:3], 3, v[14:15]
	v_lshlrev_b64 v[0:1], 3, v[0:1]
	s_delay_alu instid0(VALU_DEP_1) | instskip(NEXT) | instid1(VALU_DEP_2)
	v_add_co_u32 v0, vcc_lo, s22, v0
	v_add_co_ci_u32_e32 v1, vcc_lo, s23, v1, vcc_lo
	s_delay_alu instid0(VALU_DEP_2) | instskip(NEXT) | instid1(VALU_DEP_2)
	v_add_co_u32 v0, vcc_lo, v0, v2
	v_add_co_ci_u32_e32 v1, vcc_lo, v1, v3, vcc_lo
	v_mov_b32_e32 v2, 0
	flat_load_b64 v[0:1], v[0:1]
	s_waitcnt vmcnt(0) lgkmcnt(0)
	v_mul_f64 v[0:1], s[20:21], v[0:1]
.LBB168_11:
	s_load_b32 s15, s[0:1], 0x38
	s_lshl_b32 s14, s5, 8
	s_delay_alu instid0(SALU_CYCLE_1) | instskip(NEXT) | instid1(VALU_DEP_1)
	v_or_b32_e32 v25, s14, v24
	v_ashrrev_i32_e32 v26, 31, v25
	s_waitcnt lgkmcnt(0)
	s_ashr_i32 s24, s15, 31
	v_mul_lo_u32 v4, v2, s15
	v_mad_u64_u32 v[2:3], null, v7, s15, 0
	v_mul_lo_u32 v5, v7, s24
	s_delay_alu instid0(VALU_DEP_1) | instskip(NEXT) | instid1(VALU_DEP_1)
	v_add3_u32 v3, v3, v5, v4
	v_lshlrev_b64 v[2:3], 3, v[2:3]
	s_delay_alu instid0(VALU_DEP_1) | instskip(NEXT) | instid1(VALU_DEP_2)
	v_add_co_u32 v8, vcc_lo, s18, v2
	v_add_co_ci_u32_e32 v9, vcc_lo, s19, v3, vcc_lo
	s_and_b32 vcc_lo, exec_lo, s3
	s_cbranch_vccnz .LBB168_16
; %bb.12:
	v_lshlrev_b64 v[2:3], 3, v[25:26]
	s_delay_alu instid0(VALU_DEP_1) | instskip(NEXT) | instid1(VALU_DEP_2)
	v_add_co_u32 v2, vcc_lo, v8, v2
	v_add_co_ci_u32_e32 v3, vcc_lo, v9, v3, vcc_lo
	s_clause 0x1
	flat_load_b64 v[10:11], v[2:3]
	flat_load_b64 v[12:13], v[2:3] offset:512
	s_waitcnt vmcnt(1) lgkmcnt(1)
	v_mul_f64 v[2:3], s[20:21], v[10:11]
	s_waitcnt vmcnt(0) lgkmcnt(0)
	v_mul_f64 v[18:19], s[20:21], v[12:13]
	s_and_b32 vcc_lo, exec_lo, s3
	s_cbranch_vccnz .LBB168_17
.LBB168_13:
	v_lshlrev_b64 v[10:11], 3, v[25:26]
	s_delay_alu instid0(VALU_DEP_1) | instskip(NEXT) | instid1(VALU_DEP_2)
	v_add_co_u32 v8, vcc_lo, v8, v10
	v_add_co_ci_u32_e32 v9, vcc_lo, v9, v11, vcc_lo
	s_clause 0x1
	flat_load_b64 v[10:11], v[8:9] offset:1024
	flat_load_b64 v[8:9], v[8:9] offset:1536
	s_waitcnt vmcnt(1) lgkmcnt(1)
	v_mul_f64 v[20:21], s[20:21], v[10:11]
	s_waitcnt vmcnt(0) lgkmcnt(0)
	v_mul_f64 v[22:23], s[20:21], v[8:9]
	v_add_nc_u32_e32 v12, 4, v7
	s_and_b32 vcc_lo, exec_lo, s4
	s_cbranch_vccnz .LBB168_18
.LBB168_14:
	v_mov_b32_e32 v10, 0
	s_mov_b64 s[4:5], 0
	scratch_store_b64 off, v[14:15], off offset:352 ; 8-byte Folded Spill
	s_cbranch_execz .LBB168_19
; %bb.15:
	v_dual_mov_b32 v4, s4 :: v_dual_mov_b32 v5, s5
	s_branch .LBB168_20
.LBB168_16:
	v_mov_b32_e32 v2, 0
	v_dual_mov_b32 v3, 0 :: v_dual_mov_b32 v18, 0
	v_mov_b32_e32 v19, 0
	s_and_b32 vcc_lo, exec_lo, s3
	s_cbranch_vccz .LBB168_13
.LBB168_17:
	v_mov_b32_e32 v20, 0
	v_dual_mov_b32 v21, 0 :: v_dual_mov_b32 v22, 0
	v_dual_mov_b32 v23, 0 :: v_dual_add_nc_u32 v12, 4, v7
	s_and_b32 vcc_lo, exec_lo, s4
	s_cbranch_vccz .LBB168_14
.LBB168_18:
                                        ; implicit-def: $sgpr4_sgpr5
                                        ; implicit-def: $vgpr9_vgpr10
	scratch_store_b64 off, v[14:15], off offset:352 ; 8-byte Folded Spill
.LBB168_19:
	v_mad_i64_i32 v[8:9], null, s16, v12, 0
	v_lshlrev_b64 v[10:11], 3, v[14:15]
	s_delay_alu instid0(VALU_DEP_2) | instskip(NEXT) | instid1(VALU_DEP_1)
	v_lshlrev_b64 v[8:9], 3, v[8:9]
	v_add_co_u32 v4, vcc_lo, s22, v8
	s_delay_alu instid0(VALU_DEP_2) | instskip(NEXT) | instid1(VALU_DEP_2)
	v_add_co_ci_u32_e32 v5, vcc_lo, s23, v9, vcc_lo
	v_add_co_u32 v8, vcc_lo, v4, v10
	s_delay_alu instid0(VALU_DEP_2)
	v_add_co_ci_u32_e32 v9, vcc_lo, v5, v11, vcc_lo
	v_mov_b32_e32 v10, 0
	flat_load_b64 v[8:9], v[8:9]
	s_waitcnt vmcnt(0) lgkmcnt(0)
	v_mul_f64 v[4:5], s[20:21], v[8:9]
.LBB168_20:
	scratch_store_b64 off, v[4:5], off offset:312 ; 8-byte Folded Spill
	v_mul_lo_u32 v4, v10, s15
	v_mul_lo_u32 v5, v12, s24
	v_mad_u64_u32 v[10:11], null, v12, s15, 0
	scratch_store_b32 off, v12, off offset:364 ; 4-byte Folded Spill
	v_add3_u32 v11, v11, v5, v4
	s_delay_alu instid0(VALU_DEP_1) | instskip(NEXT) | instid1(VALU_DEP_1)
	v_lshlrev_b64 v[10:11], 3, v[10:11]
	v_add_co_u32 v14, vcc_lo, s18, v10
	s_delay_alu instid0(VALU_DEP_2)
	v_add_co_ci_u32_e32 v15, vcc_lo, s19, v11, vcc_lo
	s_and_b32 vcc_lo, exec_lo, s3
	s_cbranch_vccnz .LBB168_22
; %bb.21:
	v_lshlrev_b64 v[10:11], 3, v[25:26]
	s_delay_alu instid0(VALU_DEP_1) | instskip(NEXT) | instid1(VALU_DEP_2)
	v_add_co_u32 v10, vcc_lo, v14, v10
	v_add_co_ci_u32_e32 v11, vcc_lo, v15, v11, vcc_lo
	s_clause 0x1
	flat_load_b64 v[12:13], v[10:11]
	flat_load_b64 v[16:17], v[10:11] offset:512
	s_waitcnt vmcnt(1) lgkmcnt(1)
	v_mul_f64 v[4:5], s[20:21], v[12:13]
	scratch_store_b64 off, v[4:5], off offset:320 ; 8-byte Folded Spill
	s_waitcnt vmcnt(0) lgkmcnt(0)
	v_mul_f64 v[4:5], s[20:21], v[16:17]
	s_branch .LBB168_23
.LBB168_22:
	v_mov_b32_e32 v4, 0
	v_mov_b32_e32 v5, 0
	scratch_store_b64 off, v[4:5], off offset:320 ; 8-byte Folded Spill
	v_mov_b32_e32 v4, 0
	v_mov_b32_e32 v5, 0
.LBB168_23:
	s_and_b32 vcc_lo, exec_lo, s3
	s_clause 0x2
	scratch_store_b64 off, v[4:5], off offset:328
	scratch_store_b32 off, v6, off offset:292
	scratch_store_b64 off, v[25:26], off offset:384
	s_cbranch_vccnz .LBB168_25
; %bb.24:
	v_lshlrev_b64 v[16:17], 3, v[25:26]
	s_delay_alu instid0(VALU_DEP_1) | instskip(NEXT) | instid1(VALU_DEP_2)
	v_add_co_u32 v14, vcc_lo, v14, v16
	v_add_co_ci_u32_e32 v15, vcc_lo, v15, v17, vcc_lo
	s_clause 0x1
	flat_load_b64 v[16:17], v[14:15] offset:1024
	flat_load_b64 v[25:26], v[14:15] offset:1536
	s_waitcnt vmcnt(1) lgkmcnt(1)
	v_mul_f64 v[4:5], s[20:21], v[16:17]
	scratch_store_b64 off, v[4:5], off offset:336 ; 8-byte Folded Spill
	s_waitcnt vmcnt(0) lgkmcnt(0)
	v_mul_f64 v[4:5], s[20:21], v[25:26]
	s_branch .LBB168_26
.LBB168_25:
	v_mov_b32_e32 v4, 0
	v_mov_b32_e32 v5, 0
	scratch_store_b64 off, v[4:5], off offset:336 ; 8-byte Folded Spill
	v_mov_b32_e32 v4, 0
	v_mov_b32_e32 v5, 0
.LBB168_26:
	s_clause 0x1
	scratch_store_b64 off, v[4:5], off offset:344
	scratch_store_b32 off, v7, off offset:360
	v_dual_mov_b32 v113, 0x7f800000 :: v_dual_lshlrev_b32 v4, 3, v7
	v_dual_mov_b32 v120, 0x7f800000 :: v_dual_mov_b32 v127, 0x7f800000
	v_dual_mov_b32 v76, 0x7f800000 :: v_dual_mov_b32 v129, 0x7f800000
	s_delay_alu instid0(VALU_DEP_3) | instskip(SKIP_2) | instid1(VALU_DEP_3)
	v_lshl_add_u32 v4, v24, 5, v4
	v_dual_mov_b32 v118, 0x7f800000 :: v_dual_mov_b32 v239, 0x7f800000
	v_dual_mov_b32 v122, 0x7f800000 :: v_dual_mov_b32 v215, 0x7f800000
	v_or_b32_e32 v5, 0x4000, v4
	scratch_store_b32 off, v24, off offset:304 ; 4-byte Folded Spill
	v_dual_mov_b32 v124, 0x7f800000 :: v_dual_mov_b32 v235, 0x7f800000
	v_dual_mov_b32 v126, 0x7f800000 :: v_dual_mov_b32 v119, 0x7f800000
	scratch_store_b32 off, v5, off offset:372 ; 4-byte Folded Spill
	ds_store_b64 v4, v[0:1] offset:16384
	ds_store_2addr_stride64_b64 v4, v[2:3], v[18:19] offset1:4
	scratch_store_b32 off, v4, off offset:368 ; 4-byte Folded Spill
	ds_store_2addr_stride64_b64 v4, v[20:21], v[22:23] offset0:8 offset1:12
	s_waitcnt lgkmcnt(0)
	s_waitcnt_vscnt null, 0x0
	s_barrier
	buffer_gl0_inv
	scratch_load_b32 v238, off, off offset:292 ; 4-byte Folded Reload
	v_dual_mov_b32 v128, 0x7f800000 :: v_dual_mov_b32 v217, 0x7f800000
	v_dual_mov_b32 v196, 0x7f800000 :: v_dual_mov_b32 v117, 0x7f800000
	v_dual_mov_b32 v212, 0x7f800000 :: v_dual_mov_b32 v133, 0x7f800000
	v_dual_mov_b32 v218, 0x7f800000 :: v_dual_mov_b32 v243, 0x7f800000
	v_dual_mov_b32 v202, 0x7f800000 :: v_dual_mov_b32 v191, 0x7f800000
	v_dual_mov_b32 v242, 0x7f800000 :: v_dual_mov_b32 v195, 0x7f800000
	v_dual_mov_b32 v190, 0x7f800000 :: v_dual_mov_b32 v199, 0x7f800000
	v_dual_mov_b32 v134, 0x7f800000 :: v_dual_mov_b32 v201, 0x7f800000
	v_dual_mov_b32 v192, 0x7f800000 :: v_dual_mov_b32 v203, 0x7f800000
	v_dual_mov_b32 v112, 0x7f800000 :: v_dual_mov_b32 v81, 0x7f800000
	v_dual_mov_b32 v194, 0x7f800000 :: v_dual_mov_b32 v193, 0x7f800000
	v_dual_mov_b32 v198, 0x7f800000 :: v_dual_mov_b32 v205, 0x7f800000
	v_dual_mov_b32 v200, 0x7f800000 :: v_dual_mov_b32 v207, 0x7f800000
	v_dual_mov_b32 v204, 0x7f800000 :: v_dual_mov_b32 v209, 0x7f800000
	v_dual_mov_b32 v206, 0x7f800000 :: v_dual_mov_b32 v211, 0x7f800000
	v_dual_mov_b32 v208, 0x7f800000 :: v_dual_mov_b32 v105, 0x7f800000
	v_dual_mov_b32 v210, 0x7f800000 :: v_dual_mov_b32 v213, 0x7f800000
	v_dual_mov_b32 v214, 0x7f800000 :: v_dual_mov_b32 v121, 0x7f800000
	v_dual_mov_b32 v216, 0x7f800000 :: v_dual_mov_b32 v77, 0x7f800000
	v_dual_mov_b32 v234, 0x7f800000 :: v_dual_mov_b32 v123, 0x7f800000
	v_dual_mov_b32 v197, 0x7f800000 :: v_dual_mov_b32 v80, 0x7f800000
	v_dual_mov_b32 v125, 0x7f800000 :: v_dual_mov_b32 v132, 0x7f800000
	v_dual_mov_b32 v135, 0x7f800000 :: v_dual_mov_b32 v136, 0x7f800000
	v_dual_mov_b32 v137, 0x7f800000 :: v_dual_mov_b32 v138, 0x7f800000
	v_dual_mov_b32 v139, 0x7f800000 :: v_dual_mov_b32 v140, 0x7f800000
	v_mov_b32_e32 v141, 0x7f800000
	s_mov_b32 s5, 0
	s_mov_b32 s4, -1
	scratch_store_b32 off, v101, off offset:288 ; 4-byte Folded Spill
.LBB168_27:                             ; =>This Inner Loop Header: Depth=1
	s_lshl_b32 s5, s5, 3
	v_dual_mov_b32 v219, v212 :: v_dual_mov_b32 v212, v105
	s_waitcnt vmcnt(0)
	v_lshl_add_u32 v24, v238, 5, s5
	v_lshl_add_u32 v4, v101, 5, s5
	v_mov_b32_e32 v116, v76
	s_mov_b32 s5, 2
	ds_load_b128 v[18:21], v24
	ds_load_b128 v[0:3], v4 offset:16384
	ds_load_b128 v[186:189], v4 offset:16640
	;; [unrolled: 1-line block ×3, first 2 shown]
	s_and_not1_b32 vcc_lo, exec_lo, s4
	s_mov_b32 s4, 0
	s_waitcnt lgkmcnt(2)
	v_add_f64 v[5:6], v[2:3], v[20:21]
	scratch_store_b64 off, v[5:6], off offset:32 ; 8-byte Folded Spill
	v_add_f64 v[5:6], v[0:1], v[18:19]
	scratch_store_b64 off, v[5:6], off offset:96 ; 8-byte Folded Spill
	s_waitcnt lgkmcnt(1)
	v_add_f64 v[5:6], v[188:189], v[20:21]
	scratch_store_b64 off, v[5:6], off      ; 8-byte Folded Spill
	v_add_f64 v[5:6], v[186:187], v[18:19]
	scratch_store_b64 off, v[5:6], off offset:64 ; 8-byte Folded Spill
	ds_load_b128 v[33:36], v4 offset:16896
	ds_load_b128 v[37:40], v4 offset:17152
	s_waitcnt lgkmcnt(1)
	v_add_f64 v[5:6], v[35:36], v[20:21]
	scratch_store_b64 off, v[5:6], off offset:40 ; 8-byte Folded Spill
	v_add_f64 v[5:6], v[33:34], v[18:19]
	scratch_store_b64 off, v[5:6], off offset:104 ; 8-byte Folded Spill
	s_waitcnt lgkmcnt(0)
	v_add_f64 v[5:6], v[39:40], v[20:21]
	scratch_store_b64 off, v[5:6], off offset:8 ; 8-byte Folded Spill
	v_add_f64 v[5:6], v[37:38], v[18:19]
	scratch_store_b64 off, v[5:6], off offset:72 ; 8-byte Folded Spill
	ds_load_b128 v[41:44], v4 offset:17408
	ds_load_b128 v[45:48], v4 offset:17664
	s_waitcnt lgkmcnt(1)
	v_add_f64 v[5:6], v[43:44], v[20:21]
	scratch_store_b64 off, v[5:6], off offset:48 ; 8-byte Folded Spill
	v_add_f64 v[5:6], v[41:42], v[18:19]
	scratch_store_b64 off, v[5:6], off offset:112 ; 8-byte Folded Spill
	s_waitcnt lgkmcnt(0)
	v_add_f64 v[5:6], v[47:48], v[20:21]
	scratch_store_b64 off, v[5:6], off offset:16 ; 8-byte Folded Spill
	;; [unrolled: 12-line block ×3, first 2 shown]
	v_add_f64 v[4:5], v[53:54], v[18:19]
	scratch_store_b64 off, v[4:5], off offset:88 ; 8-byte Folded Spill
	v_add_f64 v[4:5], v[2:3], v[31:32]
	scratch_store_b64 off, v[4:5], off offset:128 ; 8-byte Folded Spill
	;; [unrolled: 2-line block ×17, first 2 shown]
	ds_load_b128 v[18:21], v24 offset:2048
	ds_load_b128 v[29:32], v24 offset:3072
	s_waitcnt lgkmcnt(1)
	v_add_f64 v[4:5], v[43:44], v[20:21]
	v_add_f64 v[166:167], v[2:3], v[20:21]
	;; [unrolled: 1-line block ×12, first 2 shown]
	s_waitcnt lgkmcnt(0)
	v_add_f64 v[170:171], v[2:3], v[31:32]
	v_add_f64 v[224:225], v[0:1], v[29:30]
	;; [unrolled: 1-line block ×16, first 2 shown]
	scratch_store_b64 off, v[4:5], off offset:296 ; 8-byte Folded Spill
	v_add_f64 v[4:5], v[47:48], v[20:21]
	scratch_store_b64 off, v[4:5], off offset:272 ; 8-byte Folded Spill
	v_add_f64 v[4:5], v[51:52], v[20:21]
	;; [unrolled: 2-line block ×4, first 2 shown]
	scratch_store_b64 off, v[4:5], off offset:280 ; 8-byte Folded Spill
	ds_load_b128 v[18:21], v24 offset:4096
	ds_load_b128 v[29:32], v24 offset:5120
	s_waitcnt lgkmcnt(1)
	v_add_f64 v[254:255], v[2:3], v[20:21]
	v_add_f64 v[8:9], v[0:1], v[18:19]
	;; [unrolled: 1-line block ×16, first 2 shown]
	s_waitcnt lgkmcnt(0)
	v_add_f64 v[164:165], v[2:3], v[31:32]
	v_add_f64 v[162:163], v[0:1], v[29:30]
	;; [unrolled: 1-line block ×16, first 2 shown]
	ds_load_b128 v[18:21], v24 offset:6144
	ds_load_b128 v[29:32], v24 offset:7168
	v_cvt_f32_f64_e32 v8, v[8:9]
	v_cvt_f32_f64_e32 v9, v[254:255]
	;; [unrolled: 1-line block ×5, first 2 shown]
	s_waitcnt lgkmcnt(1)
	v_add_f64 v[100:101], v[0:1], v[18:19]
	v_add_f64 v[78:79], v[186:187], v[18:19]
	v_add_f64 v[130:131], v[33:34], v[18:19]
	v_add_f64 v[84:85], v[37:38], v[18:19]
	v_add_f64 v[88:89], v[41:42], v[18:19]
	v_add_f64 v[92:93], v[45:46], v[18:19]
	v_add_f64 v[222:223], v[49:50], v[18:19]
	v_add_f64 v[18:19], v[53:54], v[18:19]
	s_waitcnt lgkmcnt(0)
	v_add_f64 v[0:1], v[0:1], v[29:30]
	v_add_f64 v[24:25], v[186:187], v[29:30]
	v_add_f64 v[33:34], v[33:34], v[29:30]
	v_add_f64 v[37:38], v[37:38], v[29:30]
	v_add_f64 v[41:42], v[41:42], v[29:30]
	v_add_f64 v[45:46], v[45:46], v[29:30]
	v_add_f64 v[49:50], v[49:50], v[29:30]
	v_add_f64 v[29:30], v[53:54], v[29:30]
	scratch_load_b64 v[53:54], off, off offset:96 ; 8-byte Folded Reload
	v_add_f64 v[96:97], v[2:3], v[20:21]
	v_add_f64 v[2:3], v[2:3], v[31:32]
	;; [unrolled: 1-line block ×15, first 2 shown]
	v_min3_f32 v194, v6, v4, v194
	v_cvt_f32_f64_e32 v4, v[142:143]
	v_add_f64 v[31:32], v[55:56], v[31:32]
	v_min3_f32 v199, v8, v9, v199
	v_cvt_f32_f64_e32 v8, v[12:13]
	v_cvt_f32_f64_e32 v9, v[10:11]
	;; [unrolled: 1-line block ×4, first 2 shown]
	v_min3_f32 v112, v4, v5, v112
	v_cvt_f32_f64_e32 v4, v[65:66]
	v_cvt_f32_f64_e32 v5, v[75:76]
	v_mov_b32_e32 v76, v116
	v_min3_f32 v198, v8, v9, v198
	v_cvt_f32_f64_e32 v8, v[16:17]
	v_cvt_f32_f64_e32 v9, v[14:15]
	v_min3_f32 v129, v0, v1, v129
	v_cvt_f32_f64_e32 v0, v[24:25]
	v_cvt_f32_f64_e32 v1, v[26:27]
	;; [unrolled: 3-line block ×3, first 2 shown]
	v_min3_f32 v195, v8, v9, v195
	v_min3_f32 v124, v0, v1, v124
	v_cvt_f32_f64_e32 v0, v[33:34]
	v_cvt_f32_f64_e32 v1, v[35:36]
	v_min3_f32 v191, v4, v5, v191
	v_cvt_f32_f64_e32 v4, v[22:23]
	v_cvt_f32_f64_e32 v5, v[59:60]
	s_delay_alu instid0(VALU_DEP_4) | instskip(SKIP_2) | instid1(VALU_DEP_4)
	v_min3_f32 v127, v0, v1, v127
	v_cvt_f32_f64_e32 v0, v[37:38]
	v_cvt_f32_f64_e32 v1, v[39:40]
	v_min3_f32 v243, v4, v5, v243
	v_cvt_f32_f64_e32 v4, v[162:163]
	v_cvt_f32_f64_e32 v5, v[164:165]
	s_delay_alu instid0(VALU_DEP_4) | instskip(SKIP_2) | instid1(VALU_DEP_4)
	;; [unrolled: 7-line block ×4, first 2 shown]
	v_min3_f32 v76, v0, v1, v76
	v_cvt_f32_f64_e32 v0, v[49:50]
	v_cvt_f32_f64_e32 v1, v[51:52]
	v_min3_f32 v117, v4, v5, v117
	v_cvt_f32_f64_e32 v4, v[150:151]
	v_cvt_f32_f64_e32 v5, v[152:153]
	s_delay_alu instid0(VALU_DEP_4)
	v_min3_f32 v120, v0, v1, v120
	v_cvt_f32_f64_e32 v0, v[29:30]
	s_waitcnt vmcnt(0)
	v_cvt_f32_f64_e32 v28, v[53:54]
	scratch_load_b64 v[53:54], off, off offset:32 ; 8-byte Folded Reload
	v_cvt_f32_f64_e32 v1, v[31:32]
	v_min3_f32 v190, v4, v5, v190
	v_cvt_f32_f64_e32 v4, v[146:147]
	v_cvt_f32_f64_e32 v5, v[148:149]
	s_delay_alu instid0(VALU_DEP_4) | instskip(NEXT) | instid1(VALU_DEP_2)
	v_min3_f32 v113, v0, v1, v113
	v_min3_f32 v217, v4, v5, v217
	v_cvt_f32_f64_e32 v4, v[71:72]
	v_cvt_f32_f64_e32 v5, v[73:74]
	s_delay_alu instid0(VALU_DEP_1) | instskip(SKIP_2) | instid1(VALU_DEP_1)
	v_min3_f32 v242, v4, v5, v242
	v_cvt_f32_f64_e32 v4, v[67:68]
	v_cvt_f32_f64_e32 v5, v[69:70]
	v_min3_f32 v119, v4, v5, v119
	v_cvt_f32_f64_e32 v4, v[108:109]
	v_cvt_f32_f64_e32 v5, v[63:64]
	s_delay_alu instid0(VALU_DEP_1)
	v_min3_f32 v235, v4, v5, v235
	v_cvt_f32_f64_e32 v4, v[100:101]
	v_cvt_f32_f64_e32 v5, v[96:97]
	scratch_load_b32 v101, off, off offset:288 ; 4-byte Folded Reload
	v_min3_f32 v215, v4, v5, v215
	v_cvt_f32_f64_e32 v4, v[78:79]
	v_cvt_f32_f64_e32 v5, v[61:62]
	s_delay_alu instid0(VALU_DEP_1) | instskip(SKIP_2) | instid1(VALU_DEP_1)
	v_min3_f32 v239, v4, v5, v239
	v_cvt_f32_f64_e32 v4, v[130:131]
	v_cvt_f32_f64_e32 v5, v[220:221]
	v_min3_f32 v202, v4, v5, v202
	v_cvt_f32_f64_e32 v4, v[84:85]
	v_cvt_f32_f64_e32 v5, v[82:83]
	s_waitcnt vmcnt(1)
	v_cvt_f32_f64_e32 v53, v[53:54]
	s_delay_alu instid0(VALU_DEP_2) | instskip(SKIP_2) | instid1(VALU_DEP_4)
	v_min3_f32 v218, v4, v5, v218
	v_cvt_f32_f64_e32 v4, v[88:89]
	v_cvt_f32_f64_e32 v5, v[86:87]
	v_min3_f32 v141, v28, v53, v141
	scratch_load_b64 v[53:54], off, off offset:64 ; 8-byte Folded Reload
	s_waitcnt vmcnt(0)
	v_cvt_f32_f64_e32 v28, v[53:54]
	scratch_load_b64 v[53:54], off, off     ; 8-byte Folded Reload
	s_waitcnt vmcnt(0)
	v_cvt_f32_f64_e32 v53, v[53:54]
	s_delay_alu instid0(VALU_DEP_1)
	v_min3_f32 v140, v28, v53, v140
	scratch_load_b64 v[53:54], off, off offset:104 ; 8-byte Folded Reload
	s_waitcnt vmcnt(0)
	v_cvt_f32_f64_e32 v28, v[53:54]
	scratch_load_b64 v[53:54], off, off offset:40 ; 8-byte Folded Reload
	s_waitcnt vmcnt(0)
	v_cvt_f32_f64_e32 v53, v[53:54]
	s_delay_alu instid0(VALU_DEP_1)
	v_min3_f32 v139, v28, v53, v139
	scratch_load_b64 v[53:54], off, off offset:72 ; 8-byte Folded Reload
	s_waitcnt vmcnt(0)
	v_cvt_f32_f64_e32 v28, v[53:54]
	scratch_load_b64 v[53:54], off, off offset:8 ; 8-byte Folded Reload
	;; [unrolled: 8-line block ×14, first 2 shown]
	s_waitcnt vmcnt(0)
	v_cvt_f32_f64_e32 v53, v[53:54]
	s_delay_alu instid0(VALU_DEP_1) | instskip(SKIP_3) | instid1(VALU_DEP_1)
	v_min3_f32 v216, v28, v53, v216
	v_cvt_f32_f64_e32 v28, v[104:105]
	v_cvt_f32_f64_e32 v53, v[166:167]
	v_dual_mov_b32 v105, v212 :: v_dual_mov_b32 v212, v219
	v_min3_f32 v212, v4, v5, v212
	v_cvt_f32_f64_e32 v4, v[92:93]
	v_cvt_f32_f64_e32 v5, v[90:91]
	v_min3_f32 v214, v28, v53, v214
	v_cvt_f32_f64_e32 v28, v[106:107]
	v_cvt_f32_f64_e32 v53, v[172:173]
	s_delay_alu instid0(VALU_DEP_4) | instskip(SKIP_2) | instid1(VALU_DEP_4)
	v_min3_f32 v196, v4, v5, v196
	v_cvt_f32_f64_e32 v4, v[222:223]
	v_cvt_f32_f64_e32 v5, v[94:95]
	v_min3_f32 v213, v28, v53, v213
	v_cvt_f32_f64_e32 v28, v[168:169]
	v_cvt_f32_f64_e32 v53, v[178:179]
	s_delay_alu instid0(VALU_DEP_4) | instskip(SKIP_2) | instid1(VALU_DEP_4)
	v_min3_f32 v128, v4, v5, v128
	v_cvt_f32_f64_e32 v4, v[18:19]
	v_cvt_f32_f64_e32 v5, v[20:21]
	v_min3_f32 v105, v28, v53, v105
	v_cvt_f32_f64_e32 v28, v[174:175]
	v_cvt_f32_f64_e32 v53, v[182:183]
	s_delay_alu instid0(VALU_DEP_4) | instskip(NEXT) | instid1(VALU_DEP_2)
	v_min3_f32 v126, v4, v5, v126
	v_min3_f32 v211, v28, v53, v211
	scratch_load_b64 v[53:54], off, off offset:296 ; 8-byte Folded Reload
	v_cvt_f32_f64_e32 v28, v[176:177]
	s_waitcnt vmcnt(0)
	v_cvt_f32_f64_e32 v53, v[53:54]
	s_delay_alu instid0(VALU_DEP_1) | instskip(SKIP_4) | instid1(VALU_DEP_1)
	v_min3_f32 v210, v28, v53, v210
	scratch_load_b64 v[53:54], off, off offset:272 ; 8-byte Folded Reload
	v_cvt_f32_f64_e32 v28, v[180:181]
	s_waitcnt vmcnt(0)
	v_cvt_f32_f64_e32 v53, v[53:54]
	v_min3_f32 v209, v28, v53, v209
	scratch_load_b64 v[53:54], off, off offset:264 ; 8-byte Folded Reload
	v_cvt_f32_f64_e32 v28, v[184:185]
	s_waitcnt vmcnt(0)
	v_cvt_f32_f64_e32 v53, v[53:54]
	s_delay_alu instid0(VALU_DEP_1)
	v_min3_f32 v208, v28, v53, v208
	scratch_load_b64 v[53:54], off, off offset:280 ; 8-byte Folded Reload
	s_waitcnt vmcnt(0)
	v_cvt_f32_f64_e32 v28, v[53:54]
	scratch_load_b64 v[53:54], off, off offset:256 ; 8-byte Folded Reload
	s_waitcnt vmcnt(0)
	v_cvt_f32_f64_e32 v53, v[53:54]
	s_delay_alu instid0(VALU_DEP_1) | instskip(SKIP_2) | instid1(VALU_DEP_1)
	v_min3_f32 v207, v28, v53, v207
	v_cvt_f32_f64_e32 v28, v[224:225]
	v_cvt_f32_f64_e32 v53, v[170:171]
	v_min3_f32 v206, v28, v53, v206
	v_cvt_f32_f64_e32 v28, v[228:229]
	v_cvt_f32_f64_e32 v53, v[226:227]
	s_delay_alu instid0(VALU_DEP_1) | instskip(SKIP_2) | instid1(VALU_DEP_1)
	v_min3_f32 v205, v28, v53, v205
	v_cvt_f32_f64_e32 v28, v[232:233]
	v_cvt_f32_f64_e32 v53, v[230:231]
	v_min3_f32 v193, v28, v53, v193
	v_cvt_f32_f64_e32 v28, v[236:237]
	;; [unrolled: 7-line block ×4, first 2 shown]
	v_cvt_f32_f64_e32 v53, v[250:251]
	s_delay_alu instid0(VALU_DEP_1)
	v_min3_f32 v200, v28, v53, v200
	s_cbranch_vccz .LBB168_27
; %bb.28:
	s_clause 0x2
	scratch_load_b32 v0, off, off offset:304
	scratch_load_b64 v[1:2], off, off offset:312
	scratch_load_b32 v3, off, off offset:360
	v_mov_b32_e32 v71, v194
	s_load_b32 s5, s[0:1], 0x8
	v_dual_mov_b32 v33, v242 :: v_dual_mov_b32 v100, v216
	v_dual_mov_b32 v91, v214 :: v_dual_mov_b32 v90, v213
	;; [unrolled: 1-line block ×11, first 2 shown]
	v_mov_b32_e32 v191, v117
	s_waitcnt lgkmcnt(0)
	s_cmp_gt_i32 s5, 8
	s_mov_b32 s4, 8
	s_waitcnt vmcnt(2)
	v_lshlrev_b32_e32 v0, 5, v0
	s_waitcnt vmcnt(0)
	s_delay_alu instid0(VALU_DEP_1)
	v_lshl_add_u32 v0, v3, 3, v0
	ds_store_b64 v0, v[1:2] offset:18432
	s_clause 0x1
	scratch_load_b64 v[1:2], off, off offset:320
	scratch_load_b64 v[4:5], off, off offset:328
	s_waitcnt vmcnt(0)
	ds_store_2addr_stride64_b64 v0, v[1:2], v[4:5] offset0:16 offset1:20
	s_clause 0x1
	scratch_load_b64 v[1:2], off, off offset:336
	scratch_load_b64 v[4:5], off, off offset:344
	s_waitcnt vmcnt(0)
	ds_store_2addr_stride64_b64 v0, v[1:2], v[4:5] offset0:24 offset1:28
	s_waitcnt lgkmcnt(0)
	s_waitcnt_vscnt null, 0x0
	s_barrier
	buffer_gl0_inv
	s_cbranch_scc0 .LBB168_54
; %bb.29:
	v_dual_mov_b32 v32, v235 :: v_dual_mov_b32 v41, v217
	v_dual_mov_b32 v235, v119 :: v_dual_add_nc_u32 v4, 0x4800, v0
	scratch_load_b64 v[1:2], off, off offset:352 ; 8-byte Folded Reload
	v_or_b32_e32 v0, 0x2000, v0
	v_dual_mov_b32 v70, v72 :: v_dual_mov_b32 v39, v215
	scratch_store_b32 off, v4, off offset:376 ; 4-byte Folded Spill
	scratch_load_b64 v[4:5], off, off offset:384 ; 8-byte Folded Reload
	scratch_store_b32 off, v0, off offset:380 ; 4-byte Folded Spill
	scratch_load_b32 v213, off, off offset:292 ; 4-byte Folded Reload
	v_dual_mov_b32 v119, v239 :: v_dual_mov_b32 v34, v112
	s_add_i32 s5, s5, -8
	s_waitcnt vmcnt(2)
	v_lshlrev_b64 v[1:2], 3, v[1:2]
	s_waitcnt vmcnt(1)
	v_lshlrev_b64 v[4:5], 3, v[4:5]
	s_delay_alu instid0(VALU_DEP_2)
	v_add_co_u32 v0, vcc_lo, s22, v1
	s_mov_b32 s22, 0
	s_clause 0x1
	scratch_store_b64 off, v[4:5], off offset:296
	scratch_store_b32 off, v0, off offset:344
	v_add_co_ci_u32_e32 v0, vcc_lo, s23, v2, vcc_lo
	scratch_store_b32 off, v0, off offset:352 ; 4-byte Folded Spill
.LBB168_30:                             ; =>This Loop Header: Depth=1
                                        ;     Child Loop BB168_40 Depth 2
                                        ;     Child Loop BB168_51 Depth 2
	s_waitcnt vmcnt(0)
	v_dual_mov_b32 v43, v90 :: v_dual_add_nc_u32 v0, s4, v3
	v_mov_b32_e32 v72, v74
	s_and_b32 vcc_lo, exec_lo, s3
	s_cbranch_vccnz .LBB168_32
; %bb.31:                               ;   in Loop: Header=BB168_30 Depth=1
	s_delay_alu instid0(VALU_DEP_2) | instskip(NEXT) | instid1(VALU_DEP_1)
	v_mad_u64_u32 v[1:2], null, v0, s16, 0
	v_mad_u64_u32 v[6:7], null, v0, s17, v[2:3]
	scratch_load_b32 v3, off, off offset:344 ; 4-byte Folded Reload
	v_mov_b32_e32 v2, v6
	s_delay_alu instid0(VALU_DEP_1) | instskip(SKIP_1) | instid1(VALU_DEP_1)
	v_lshlrev_b64 v[1:2], 3, v[1:2]
	s_waitcnt vmcnt(0)
	v_add_co_u32 v1, vcc_lo, v3, v1
	scratch_load_b32 v3, off, off offset:352 ; 4-byte Folded Reload
	s_waitcnt vmcnt(0)
	v_add_co_ci_u32_e32 v2, vcc_lo, v3, v2, vcc_lo
	flat_load_b64 v[1:2], v[1:2]
	s_waitcnt vmcnt(0) lgkmcnt(0)
	v_mul_f64 v[1:2], s[20:21], v[1:2]
	s_branch .LBB168_33
.LBB168_32:                             ;   in Loop: Header=BB168_30 Depth=1
	v_mov_b32_e32 v1, 0
	v_mov_b32_e32 v2, 0
.LBB168_33:                             ;   in Loop: Header=BB168_30 Depth=1
	scratch_store_b64 off, v[1:2], off offset:304 ; 8-byte Folded Spill
	v_mad_u64_u32 v[1:2], null, v0, s15, 0
	v_dual_mov_b32 v74, v219 :: v_dual_mov_b32 v219, v52
	s_delay_alu instid0(VALU_DEP_2) | instskip(NEXT) | instid1(VALU_DEP_1)
	v_mad_u64_u32 v[8:9], null, v0, s24, v[2:3]
	v_mov_b32_e32 v2, v8
	s_delay_alu instid0(VALU_DEP_1) | instskip(NEXT) | instid1(VALU_DEP_1)
	v_lshlrev_b64 v[0:1], 3, v[1:2]
	v_add_co_u32 v0, vcc_lo, s18, v0
	s_delay_alu instid0(VALU_DEP_2)
	v_add_co_ci_u32_e32 v1, vcc_lo, s19, v1, vcc_lo
	s_and_b32 vcc_lo, exec_lo, s3
	s_cbranch_vccnz .LBB168_35
; %bb.34:                               ;   in Loop: Header=BB168_30 Depth=1
	scratch_load_b64 v[2:3], off, off offset:296 ; 8-byte Folded Reload
	s_waitcnt vmcnt(0)
	v_add_co_u32 v2, vcc_lo, v0, v2
	v_add_co_ci_u32_e32 v3, vcc_lo, v1, v3, vcc_lo
	s_clause 0x1
	flat_load_b64 v[8:9], v[2:3]
	flat_load_b64 v[2:3], v[2:3] offset:512
	s_waitcnt vmcnt(1) lgkmcnt(1)
	v_mul_f64 v[4:5], s[20:21], v[8:9]
	s_waitcnt vmcnt(0) lgkmcnt(0)
	v_mul_f64 v[2:3], s[20:21], v[2:3]
	scratch_store_b64 off, v[4:5], off offset:312 ; 8-byte Folded Spill
	s_branch .LBB168_36
.LBB168_35:                             ;   in Loop: Header=BB168_30 Depth=1
	v_mov_b32_e32 v2, 0
	v_mov_b32_e32 v3, 0
	scratch_store_b64 off, v[2:3], off offset:312 ; 8-byte Folded Spill
	v_mov_b32_e32 v2, 0
	v_mov_b32_e32 v3, 0
.LBB168_36:                             ;   in Loop: Header=BB168_30 Depth=1
	v_dual_mov_b32 v52, v102 :: v_dual_mov_b32 v239, v205
	v_mov_b32_e32 v38, v91
	v_dual_mov_b32 v42, v105 :: v_dual_mov_b32 v81, v103
	v_mov_b32_e32 v133, v243
	s_and_b32 vcc_lo, exec_lo, s3
	scratch_store_b64 off, v[2:3], off offset:320 ; 8-byte Folded Spill
	s_cbranch_vccnz .LBB168_38
; %bb.37:                               ;   in Loop: Header=BB168_30 Depth=1
	scratch_load_b64 v[2:3], off, off offset:296 ; 8-byte Folded Reload
	s_waitcnt vmcnt(0)
	v_add_co_u32 v0, vcc_lo, v0, v2
	v_add_co_ci_u32_e32 v1, vcc_lo, v1, v3, vcc_lo
	s_clause 0x1
	flat_load_b64 v[2:3], v[0:1] offset:1024
	flat_load_b64 v[0:1], v[0:1] offset:1536
	s_waitcnt vmcnt(1) lgkmcnt(1)
	v_mul_f64 v[2:3], s[20:21], v[2:3]
	s_waitcnt vmcnt(0) lgkmcnt(0)
	v_mul_f64 v[0:1], s[20:21], v[0:1]
	scratch_store_b64 off, v[2:3], off offset:328 ; 8-byte Folded Spill
	s_branch .LBB168_39
.LBB168_38:                             ;   in Loop: Header=BB168_30 Depth=1
	v_mov_b32_e32 v0, 0
	v_mov_b32_e32 v1, 0
	scratch_store_b64 off, v[0:1], off offset:328 ; 8-byte Folded Spill
	v_mov_b32_e32 v0, 0
	v_mov_b32_e32 v1, 0
.LBB168_39:                             ;   in Loop: Header=BB168_30 Depth=1
	v_dual_mov_b32 v243, v60 :: v_dual_mov_b32 v68, v142
	v_mov_b32_e32 v142, v94
	v_mov_b32_e32 v64, v95
	;; [unrolled: 1-line block ×3, first 2 shown]
	s_mov_b32 s25, 0
	s_mov_b32 s23, -1
	scratch_store_b64 off, v[0:1], off offset:336 ; 8-byte Folded Spill
.LBB168_40:                             ;   Parent Loop BB168_30 Depth=1
                                        ; =>  This Inner Loop Header: Depth=2
	s_lshl_b32 s25, s25, 3
	s_and_not1_b32 vcc_lo, exec_lo, s23
	s_waitcnt vmcnt(0)
	v_lshl_add_u32 v102, v213, 5, s25
	v_lshl_add_u32 v4, v101, 5, s25
	s_mov_b32 s25, 2
	s_mov_b32 s23, 0
	ds_load_b128 v[44:47], v102 offset:8192
	ds_load_b128 v[0:3], v4 offset:18432
	;; [unrolled: 1-line block ×4, first 2 shown]
	s_waitcnt lgkmcnt(2)
	v_add_f64 v[18:19], v[0:1], v[44:45]
	s_waitcnt lgkmcnt(1)
	v_add_f64 v[5:6], v[152:153], v[46:47]
	v_add_f64 v[66:67], v[2:3], v[46:47]
	s_delay_alu instid0(VALU_DEP_3)
	v_cvt_f32_f64_e32 v112, v[18:19]
	scratch_store_b64 off, v[5:6], off      ; 8-byte Folded Spill
	v_add_f64 v[5:6], v[150:151], v[44:45]
	v_cvt_f32_f64_e32 v66, v[66:67]
	scratch_store_b64 off, v[5:6], off offset:56 ; 8-byte Folded Spill
	ds_load_b128 v[158:161], v4 offset:18944
	ds_load_b128 v[162:165], v4 offset:19200
	v_min3_f32 v141, v112, v66, v141
	s_waitcnt lgkmcnt(1)
	v_add_f64 v[5:6], v[160:161], v[46:47]
	v_add_f64 v[54:55], v[158:159], v[154:155]
	s_waitcnt lgkmcnt(0)
	v_add_f64 v[50:51], v[162:163], v[154:155]
	scratch_store_b64 off, v[5:6], off offset:32 ; 8-byte Folded Spill
	v_add_f64 v[5:6], v[158:159], v[44:45]
	v_cvt_f32_f64_e32 v54, v[54:55]
	v_cvt_f32_f64_e32 v50, v[50:51]
	scratch_store_b64 off, v[5:6], off offset:88 ; 8-byte Folded Spill
	v_add_f64 v[5:6], v[164:165], v[46:47]
	scratch_store_b64 off, v[5:6], off offset:8 ; 8-byte Folded Spill
	v_add_f64 v[5:6], v[162:163], v[44:45]
	scratch_store_b64 off, v[5:6], off offset:64 ; 8-byte Folded Spill
	ds_load_b128 v[166:169], v4 offset:19456
	ds_load_b128 v[170:173], v4 offset:19712
	s_waitcnt lgkmcnt(1)
	v_add_f64 v[5:6], v[168:169], v[46:47]
	v_add_f64 v[48:49], v[166:167], v[154:155]
	s_waitcnt lgkmcnt(0)
	v_add_f64 v[28:29], v[170:171], v[154:155]
	scratch_store_b64 off, v[5:6], off offset:40 ; 8-byte Folded Spill
	v_add_f64 v[5:6], v[166:167], v[44:45]
	v_cvt_f32_f64_e32 v48, v[48:49]
	scratch_store_b64 off, v[5:6], off offset:96 ; 8-byte Folded Spill
	v_add_f64 v[5:6], v[172:173], v[46:47]
	scratch_store_b64 off, v[5:6], off offset:16 ; 8-byte Folded Spill
	v_add_f64 v[5:6], v[170:171], v[44:45]
	scratch_store_b64 off, v[5:6], off offset:72 ; 8-byte Folded Spill
	ds_load_b128 v[174:177], v4 offset:19968
	ds_load_b128 v[178:181], v4 offset:20224
	s_waitcnt lgkmcnt(1)
	v_add_f64 v[4:5], v[176:177], v[46:47]
	scratch_store_b64 off, v[4:5], off offset:48 ; 8-byte Folded Spill
	v_add_f64 v[4:5], v[174:175], v[44:45]
	scratch_store_b64 off, v[4:5], off offset:104 ; 8-byte Folded Spill
	s_waitcnt lgkmcnt(0)
	v_add_f64 v[4:5], v[180:181], v[46:47]
	scratch_store_b64 off, v[4:5], off offset:24 ; 8-byte Folded Spill
	v_add_f64 v[4:5], v[178:179], v[44:45]
	scratch_store_b64 off, v[4:5], off offset:80 ; 8-byte Folded Spill
	v_add_f64 v[4:5], v[2:3], v[156:157]
	scratch_store_b64 off, v[4:5], off offset:112 ; 8-byte Folded Spill
	v_add_f64 v[4:5], v[0:1], v[154:155]
	scratch_store_b64 off, v[4:5], off offset:120 ; 8-byte Folded Spill
	v_add_f64 v[4:5], v[152:153], v[156:157]
	scratch_store_b64 off, v[4:5], off offset:128 ; 8-byte Folded Spill
	v_add_f64 v[4:5], v[150:151], v[154:155]
	scratch_store_b64 off, v[4:5], off offset:136 ; 8-byte Folded Spill
	v_add_f64 v[4:5], v[160:161], v[156:157]
	scratch_store_b64 off, v[4:5], off offset:144 ; 8-byte Folded Spill
	v_add_f64 v[4:5], v[164:165], v[156:157]
	scratch_store_b64 off, v[4:5], off offset:152 ; 8-byte Folded Spill
	v_add_f64 v[4:5], v[168:169], v[156:157]
	scratch_store_b64 off, v[4:5], off offset:160 ; 8-byte Folded Spill
	v_add_f64 v[4:5], v[172:173], v[156:157]
	scratch_store_b64 off, v[4:5], off offset:168 ; 8-byte Folded Spill
	v_add_f64 v[4:5], v[176:177], v[156:157]
	scratch_store_b64 off, v[4:5], off offset:176 ; 8-byte Folded Spill
	v_add_f64 v[4:5], v[174:175], v[154:155]
	scratch_store_b64 off, v[4:5], off offset:184 ; 8-byte Folded Spill
	v_add_f64 v[4:5], v[180:181], v[156:157]
	scratch_store_b64 off, v[4:5], off offset:192 ; 8-byte Folded Spill
	v_add_f64 v[4:5], v[178:179], v[154:155]
	scratch_store_b64 off, v[4:5], off offset:200 ; 8-byte Folded Spill
	ds_load_b128 v[154:157], v102 offset:10240
	ds_load_b128 v[182:185], v102 offset:11264
	s_waitcnt lgkmcnt(1)
	v_add_f64 v[4:5], v[160:161], v[156:157]
	v_add_f64 v[144:145], v[2:3], v[156:157]
	;; [unrolled: 1-line block ×7, first 2 shown]
	s_waitcnt lgkmcnt(0)
	v_add_f64 v[36:37], v[2:3], v[184:185]
	v_add_f64 v[220:221], v[0:1], v[182:183]
	v_add_f64 v[222:223], v[152:153], v[184:185]
	v_add_f64 v[224:225], v[150:151], v[182:183]
	v_add_f64 v[226:227], v[160:161], v[184:185]
	v_add_f64 v[228:229], v[158:159], v[182:183]
	v_add_f64 v[230:231], v[164:165], v[184:185]
	v_add_f64 v[232:233], v[162:163], v[182:183]
	v_add_f64 v[30:31], v[168:169], v[184:185]
	v_add_f64 v[236:237], v[166:167], v[182:183]
	v_add_f64 v[114:115], v[172:173], v[184:185]
	v_add_f64 v[240:241], v[170:171], v[182:183]
	v_add_f64 v[110:111], v[176:177], v[184:185]
	v_add_f64 v[244:245], v[174:175], v[182:183]
	v_add_f64 v[246:247], v[180:181], v[184:185]
	v_add_f64 v[248:249], v[178:179], v[182:183]
	scratch_store_b64 off, v[4:5], off offset:272 ; 8-byte Folded Spill
	v_add_f64 v[4:5], v[164:165], v[156:157]
	scratch_store_b64 off, v[4:5], off offset:256 ; 8-byte Folded Spill
	v_add_f64 v[4:5], v[168:169], v[156:157]
	;; [unrolled: 2-line block ×9, first 2 shown]
	scratch_store_b64 off, v[4:5], off offset:232 ; 8-byte Folded Spill
	ds_load_b128 v[154:157], v102 offset:12288
	ds_load_b128 v[182:185], v102 offset:13312
	s_waitcnt lgkmcnt(1)
	v_add_f64 v[250:251], v[2:3], v[156:157]
	v_add_f64 v[252:253], v[0:1], v[154:155]
	;; [unrolled: 1-line block ×16, first 2 shown]
	s_waitcnt lgkmcnt(0)
	v_add_f64 v[22:23], v[2:3], v[184:185]
	v_add_f64 v[24:25], v[0:1], v[182:183]
	;; [unrolled: 1-line block ×16, first 2 shown]
	ds_load_b128 v[154:157], v102 offset:14336
	ds_load_b128 v[182:185], v102 offset:15360
	scratch_load_b64 v[18:19], off, off offset:56 ; 8-byte Folded Reload
	v_cvt_f32_f64_e32 v4, v[4:5]
	v_cvt_f32_f64_e32 v5, v[148:149]
	s_waitcnt lgkmcnt(1)
	v_add_f64 v[214:215], v[2:3], v[156:157]
	v_add_f64 v[102:103], v[0:1], v[154:155]
	s_waitcnt lgkmcnt(0)
	v_add_f64 v[2:3], v[2:3], v[184:185]
	v_add_f64 v[0:1], v[0:1], v[182:183]
	v_add_f64 v[210:211], v[152:153], v[156:157]
	v_add_f64 v[206:207], v[150:151], v[154:155]
	v_add_f64 v[152:153], v[152:153], v[184:185]
	v_add_f64 v[150:151], v[150:151], v[182:183]
	v_add_f64 v[216:217], v[160:161], v[156:157]
	v_add_f64 v[202:203], v[158:159], v[154:155]
	v_add_f64 v[160:161], v[160:161], v[184:185]
	v_add_f64 v[158:159], v[158:159], v[182:183]
	v_add_f64 v[6:7], v[164:165], v[156:157]
	v_add_f64 v[198:199], v[162:163], v[154:155]
	v_add_f64 v[164:165], v[164:165], v[184:185]
	v_add_f64 v[162:163], v[162:163], v[182:183]
	v_add_f64 v[208:209], v[168:169], v[156:157]
	v_add_f64 v[194:195], v[166:167], v[154:155]
	v_add_f64 v[168:169], v[168:169], v[184:185]
	v_add_f64 v[166:167], v[166:167], v[182:183]
	v_add_f64 v[204:205], v[172:173], v[156:157]
	v_add_f64 v[104:105], v[170:171], v[154:155]
	v_add_f64 v[172:173], v[172:173], v[184:185]
	v_add_f64 v[170:171], v[170:171], v[182:183]
	v_add_f64 v[188:189], v[176:177], v[156:157]
	v_add_f64 v[200:201], v[174:175], v[154:155]
	v_add_f64 v[176:177], v[176:177], v[184:185]
	v_add_f64 v[174:175], v[174:175], v[182:183]
	v_add_f64 v[156:157], v[180:181], v[156:157]
	v_add_f64 v[154:155], v[178:179], v[154:155]
	v_add_f64 v[180:181], v[180:181], v[184:185]
	v_min3_f32 v70, v4, v5, v70
	v_cvt_f32_f64_e32 v4, v[8:9]
	v_cvt_f32_f64_e32 v5, v[14:15]
	v_add_f64 v[178:179], v[178:179], v[182:183]
	v_cvt_f32_f64_e32 v0, v[0:1]
	v_cvt_f32_f64_e32 v1, v[2:3]
	s_delay_alu instid0(VALU_DEP_4) | instskip(SKIP_2) | instid1(VALU_DEP_4)
	v_min3_f32 v71, v4, v5, v71
	v_cvt_f32_f64_e32 v4, v[12:13]
	v_cvt_f32_f64_e32 v5, v[16:17]
	v_min3_f32 v129, v0, v1, v129
	v_cvt_f32_f64_e32 v0, v[150:151]
	v_cvt_f32_f64_e32 v1, v[152:153]
	s_delay_alu instid0(VALU_DEP_4) | instskip(SKIP_2) | instid1(VALU_DEP_4)
	v_min3_f32 v34, v4, v5, v34
	v_cvt_f32_f64_e32 v4, v[10:11]
	v_cvt_f32_f64_e32 v5, v[20:21]
	v_min3_f32 v124, v0, v1, v124
	;; [unrolled: 7-line block ×6, first 2 shown]
	v_cvt_f32_f64_e32 v0, v[174:175]
	v_cvt_f32_f64_e32 v1, v[176:177]
	s_waitcnt vmcnt(0)
	v_cvt_f32_f64_e32 v66, v[18:19]
	scratch_load_b64 v[18:19], off, off     ; 8-byte Folded Reload
	v_min3_f32 v243, v4, v5, v243
	v_cvt_f32_f64_e32 v4, v[58:59]
	v_cvt_f32_f64_e32 v5, v[56:57]
	v_min3_f32 v120, v0, v1, v120
	v_cvt_f32_f64_e32 v0, v[178:179]
	v_cvt_f32_f64_e32 v1, v[180:181]
	s_delay_alu instid0(VALU_DEP_4) | instskip(SKIP_2) | instid1(VALU_DEP_4)
	v_min3_f32 v191, v4, v5, v191
	v_cvt_f32_f64_e32 v4, v[86:87]
	v_cvt_f32_f64_e32 v5, v[60:61]
	v_min3_f32 v113, v0, v1, v113
	s_delay_alu instid0(VALU_DEP_2) | instskip(SKIP_2) | instid1(VALU_DEP_1)
	v_min3_f32 v190, v4, v5, v190
	v_cvt_f32_f64_e32 v4, v[88:89]
	v_cvt_f32_f64_e32 v5, v[62:63]
	v_min3_f32 v41, v4, v5, v41
	v_cvt_f32_f64_e32 v4, v[92:93]
	v_cvt_f32_f64_e32 v5, v[90:91]
	s_delay_alu instid0(VALU_DEP_1) | instskip(SKIP_2) | instid1(VALU_DEP_1)
	v_min3_f32 v33, v4, v5, v33
	v_cvt_f32_f64_e32 v4, v[96:97]
	v_cvt_f32_f64_e32 v5, v[94:95]
	v_min3_f32 v235, v4, v5, v235
	v_cvt_f32_f64_e32 v4, v[100:101]
	scratch_load_b32 v101, off, off offset:288 ; 4-byte Folded Reload
	v_cvt_f32_f64_e32 v5, v[98:99]
	s_delay_alu instid0(VALU_DEP_1) | instskip(SKIP_2) | instid1(VALU_DEP_1)
	v_min3_f32 v32, v4, v5, v32
	v_cvt_f32_f64_e32 v4, v[102:103]
	v_cvt_f32_f64_e32 v5, v[214:215]
	v_min3_f32 v39, v4, v5, v39
	v_cvt_f32_f64_e32 v4, v[206:207]
	v_cvt_f32_f64_e32 v5, v[210:211]
	s_waitcnt vmcnt(1)
	v_cvt_f32_f64_e32 v67, v[18:19]
	scratch_load_b64 v[18:19], off, off offset:88 ; 8-byte Folded Reload
	v_min3_f32 v119, v4, v5, v119
	v_cvt_f32_f64_e32 v4, v[202:203]
	v_cvt_f32_f64_e32 v5, v[216:217]
	v_min3_f32 v140, v66, v67, v140
	s_delay_alu instid0(VALU_DEP_2) | instskip(SKIP_2) | instid1(VALU_DEP_1)
	v_min3_f32 v219, v4, v5, v219
	v_cvt_f32_f64_e32 v4, v[198:199]
	v_cvt_f32_f64_e32 v5, v[6:7]
	v_min3_f32 v218, v4, v5, v218
	v_cvt_f32_f64_e32 v4, v[194:195]
	v_cvt_f32_f64_e32 v5, v[208:209]
	s_delay_alu instid0(VALU_DEP_1) | instskip(SKIP_2) | instid1(VALU_DEP_1)
	v_min3_f32 v212, v4, v5, v212
	v_cvt_f32_f64_e32 v4, v[104:105]
	v_cvt_f32_f64_e32 v5, v[204:205]
	v_min3_f32 v196, v4, v5, v196
	v_cvt_f32_f64_e32 v4, v[200:201]
	v_cvt_f32_f64_e32 v5, v[188:189]
	s_delay_alu instid0(VALU_DEP_1) | instskip(SKIP_2) | instid1(VALU_DEP_1)
	v_min3_f32 v128, v4, v5, v128
	v_cvt_f32_f64_e32 v4, v[154:155]
	v_cvt_f32_f64_e32 v5, v[156:157]
	v_min3_f32 v126, v4, v5, v126
	s_waitcnt vmcnt(0)
	v_cvt_f32_f64_e32 v66, v[18:19]
	scratch_load_b64 v[18:19], off, off offset:32 ; 8-byte Folded Reload
	s_waitcnt vmcnt(0)
	v_cvt_f32_f64_e32 v67, v[18:19]
	scratch_load_b64 v[18:19], off, off offset:64 ; 8-byte Folded Reload
	v_min3_f32 v139, v66, v67, v139
	s_waitcnt vmcnt(0)
	v_cvt_f32_f64_e32 v66, v[18:19]
	scratch_load_b64 v[18:19], off, off offset:8 ; 8-byte Folded Reload
	s_waitcnt vmcnt(0)
	v_cvt_f32_f64_e32 v67, v[18:19]
	scratch_load_b64 v[18:19], off, off offset:96 ; 8-byte Folded Reload
	;; [unrolled: 7-line block ×8, first 2 shown]
	v_min3_f32 v125, v66, v67, v125
	s_waitcnt vmcnt(0)
	v_cvt_f32_f64_e32 v55, v[18:19]
	scratch_load_b64 v[18:19], off, off offset:152 ; 8-byte Folded Reload
	v_min3_f32 v197, v54, v55, v197
	s_waitcnt vmcnt(0)
	v_cvt_f32_f64_e32 v51, v[18:19]
	scratch_load_b64 v[18:19], off, off offset:160 ; 8-byte Folded Reload
	;; [unrolled: 4-line block ×3, first 2 shown]
	v_min3_f32 v77, v48, v49, v77
	v_cvt_f32_f64_e32 v48, v[28:29]
	s_waitcnt vmcnt(0)
	v_cvt_f32_f64_e32 v28, v[18:19]
	scratch_load_b64 v[18:19], off, off offset:184 ; 8-byte Folded Reload
	v_min3_f32 v121, v48, v28, v121
	s_waitcnt vmcnt(0)
	v_cvt_f32_f64_e32 v28, v[18:19]
	scratch_load_b64 v[18:19], off, off offset:176 ; 8-byte Folded Reload
	s_waitcnt vmcnt(0)
	v_cvt_f32_f64_e32 v29, v[18:19]
	scratch_load_b64 v[18:19], off, off offset:200 ; 8-byte Folded Reload
	v_min3_f32 v234, v28, v29, v234
	s_waitcnt vmcnt(0)
	v_cvt_f32_f64_e32 v28, v[18:19]
	scratch_load_b64 v[18:19], off, off offset:192 ; 8-byte Folded Reload
	s_waitcnt vmcnt(0)
	v_cvt_f32_f64_e32 v29, v[18:19]
	v_cvt_f32_f64_e32 v18, v[44:45]
	s_delay_alu instid0(VALU_DEP_2) | instskip(SKIP_2) | instid1(VALU_DEP_1)
	v_min3_f32 v40, v28, v29, v40
	v_cvt_f32_f64_e32 v28, v[106:107]
	v_cvt_f32_f64_e32 v29, v[144:145]
	v_min3_f32 v38, v28, v29, v38
	v_cvt_f32_f64_e32 v28, v[186:187]
	s_delay_alu instid0(VALU_DEP_1)
	v_min3_f32 v43, v28, v18, v43
	scratch_load_b64 v[28:29], off, off offset:272 ; 8-byte Folded Reload
	v_cvt_f32_f64_e32 v18, v[108:109]
	s_waitcnt vmcnt(0)
	v_cvt_f32_f64_e32 v19, v[28:29]
	scratch_load_b64 v[28:29], off, off offset:256 ; 8-byte Folded Reload
	v_min3_f32 v42, v18, v19, v42
	v_cvt_f32_f64_e32 v18, v[46:47]
	s_waitcnt vmcnt(0)
	v_cvt_f32_f64_e32 v19, v[28:29]
	scratch_load_b64 v[28:29], off, off offset:240 ; 8-byte Folded Reload
	v_min3_f32 v65, v18, v19, v65
	scratch_load_b64 v[18:19], off, off offset:280 ; 8-byte Folded Reload
	s_waitcnt vmcnt(0)
	v_cvt_f32_f64_e32 v18, v[18:19]
	v_cvt_f32_f64_e32 v19, v[28:29]
	scratch_load_b64 v[28:29], off, off offset:224 ; 8-byte Folded Reload
	v_min3_f32 v64, v18, v19, v64
	scratch_load_b64 v[18:19], off, off offset:264 ; 8-byte Folded Reload
	s_waitcnt vmcnt(0)
	v_cvt_f32_f64_e32 v18, v[18:19]
	;; [unrolled: 6-line block ×4, first 2 shown]
	v_cvt_f32_f64_e32 v19, v[28:29]
	s_delay_alu instid0(VALU_DEP_1) | instskip(SKIP_2) | instid1(VALU_DEP_1)
	v_min3_f32 v68, v18, v19, v68
	v_cvt_f32_f64_e32 v18, v[220:221]
	v_cvt_f32_f64_e32 v19, v[36:37]
	v_min3_f32 v242, v18, v19, v242
	v_cvt_f32_f64_e32 v18, v[224:225]
	v_cvt_f32_f64_e32 v19, v[222:223]
	s_delay_alu instid0(VALU_DEP_1) | instskip(SKIP_2) | instid1(VALU_DEP_1)
	v_min3_f32 v239, v18, v19, v239
	v_cvt_f32_f64_e32 v18, v[228:229]
	v_cvt_f32_f64_e32 v19, v[226:227]
	v_min3_f32 v193, v18, v19, v193
	v_cvt_f32_f64_e32 v18, v[232:233]
	;; [unrolled: 7-line block ×5, first 2 shown]
	v_cvt_f32_f64_e32 v19, v[254:255]
	s_delay_alu instid0(VALU_DEP_1)
	v_min3_f32 v73, v18, v19, v73
	s_cbranch_vccz .LBB168_40
; %bb.41:                               ;   in Loop: Header=BB168_30 Depth=1
	s_clause 0x1
	scratch_load_b32 v0, off, off offset:372
	scratch_load_b64 v[1:2], off, off offset:304
	v_dual_mov_b32 v5, v235 :: v_dual_mov_b32 v94, v142
	v_dual_mov_b32 v95, v64 :: v_dual_mov_b32 v60, v243
	v_mov_b32_e32 v142, v68
	v_mov_b32_e32 v102, v52
	;; [unrolled: 1-line block ×3, first 2 shown]
	s_and_b32 vcc_lo, exec_lo, s3
	s_waitcnt vmcnt(0)
	ds_store_b64 v0, v[1:2]
	s_clause 0x2
	scratch_load_b32 v0, off, off offset:368
	scratch_load_b64 v[1:2], off, off offset:312
	scratch_load_b64 v[6:7], off, off offset:320
	s_waitcnt vmcnt(0)
	ds_store_2addr_stride64_b64 v0, v[1:2], v[6:7] offset1:4
	s_clause 0x1
	scratch_load_b64 v[1:2], off, off offset:328
	scratch_load_b64 v[6:7], off, off offset:336
	s_waitcnt vmcnt(0)
	ds_store_2addr_stride64_b64 v0, v[1:2], v[6:7] offset0:8 offset1:12
	scratch_load_b32 v0, off, off offset:364 ; 4-byte Folded Reload
	s_waitcnt vmcnt(0) lgkmcnt(0)
	s_waitcnt_vscnt null, 0x0
	s_barrier
	buffer_gl0_inv
	v_add_nc_u32_e32 v0, s4, v0
	s_cbranch_vccnz .LBB168_43
; %bb.42:                               ;   in Loop: Header=BB168_30 Depth=1
	s_delay_alu instid0(VALU_DEP_1) | instskip(NEXT) | instid1(VALU_DEP_1)
	v_mad_u64_u32 v[1:2], null, v0, s16, 0
	v_mad_u64_u32 v[6:7], null, v0, s17, v[2:3]
	scratch_load_b32 v3, off, off offset:344 ; 4-byte Folded Reload
	v_mov_b32_e32 v2, v6
	s_delay_alu instid0(VALU_DEP_1) | instskip(SKIP_1) | instid1(VALU_DEP_1)
	v_lshlrev_b64 v[1:2], 3, v[1:2]
	s_waitcnt vmcnt(0)
	v_add_co_u32 v1, vcc_lo, v3, v1
	scratch_load_b32 v3, off, off offset:352 ; 4-byte Folded Reload
	s_waitcnt vmcnt(0)
	v_add_co_ci_u32_e32 v2, vcc_lo, v3, v2, vcc_lo
	flat_load_b64 v[1:2], v[1:2]
	s_waitcnt vmcnt(0) lgkmcnt(0)
	v_mul_f64 v[1:2], s[20:21], v[1:2]
	s_branch .LBB168_44
.LBB168_43:                             ;   in Loop: Header=BB168_30 Depth=1
	v_mov_b32_e32 v1, 0
	v_mov_b32_e32 v2, 0
.LBB168_44:                             ;   in Loop: Header=BB168_30 Depth=1
	scratch_store_b64 off, v[1:2], off offset:280 ; 8-byte Folded Spill
	v_mad_u64_u32 v[1:2], null, v0, s15, 0
	v_mov_b32_e32 v235, v239
	v_mov_b32_e32 v105, v42
	;; [unrolled: 1-line block ×3, first 2 shown]
	v_dual_mov_b32 v219, v74 :: v_dual_mov_b32 v74, v72
	v_mad_u64_u32 v[8:9], null, v0, s24, v[2:3]
	s_delay_alu instid0(VALU_DEP_1) | instskip(NEXT) | instid1(VALU_DEP_1)
	v_dual_mov_b32 v103, v81 :: v_dual_mov_b32 v2, v8
	v_lshlrev_b64 v[0:1], 3, v[1:2]
	s_delay_alu instid0(VALU_DEP_1) | instskip(NEXT) | instid1(VALU_DEP_2)
	v_add_co_u32 v0, vcc_lo, s18, v0
	v_add_co_ci_u32_e32 v1, vcc_lo, s19, v1, vcc_lo
	s_and_b32 vcc_lo, exec_lo, s3
	s_cbranch_vccnz .LBB168_46
; %bb.45:                               ;   in Loop: Header=BB168_30 Depth=1
	scratch_load_b64 v[2:3], off, off offset:296 ; 8-byte Folded Reload
	s_waitcnt vmcnt(0)
	v_add_co_u32 v2, vcc_lo, v0, v2
	v_add_co_ci_u32_e32 v3, vcc_lo, v1, v3, vcc_lo
	s_clause 0x1
	flat_load_b64 v[8:9], v[2:3]
	flat_load_b64 v[2:3], v[2:3] offset:512
	s_waitcnt vmcnt(1) lgkmcnt(1)
	v_mul_f64 v[7:8], s[20:21], v[8:9]
	s_waitcnt vmcnt(0) lgkmcnt(0)
	v_mul_f64 v[2:3], s[20:21], v[2:3]
	scratch_store_b64 off, v[7:8], off offset:304 ; 8-byte Folded Spill
	s_branch .LBB168_47
.LBB168_46:                             ;   in Loop: Header=BB168_30 Depth=1
	v_mov_b32_e32 v2, 0
	v_mov_b32_e32 v3, 0
	scratch_store_b64 off, v[2:3], off offset:304 ; 8-byte Folded Spill
	v_mov_b32_e32 v2, 0
	v_mov_b32_e32 v3, 0
.LBB168_47:                             ;   in Loop: Header=BB168_30 Depth=1
	v_dual_mov_b32 v72, v70 :: v_dual_mov_b32 v59, v41
	v_dual_mov_b32 v90, v43 :: v_dual_mov_b32 v239, v5
	v_mov_b32_e32 v104, v65
	v_mov_b32_e32 v58, v33
	;; [unrolled: 1-line block ×3, first 2 shown]
	s_and_b32 vcc_lo, exec_lo, s3
	scratch_store_b64 off, v[2:3], off offset:312 ; 8-byte Folded Spill
	s_cbranch_vccnz .LBB168_49
; %bb.48:                               ;   in Loop: Header=BB168_30 Depth=1
	scratch_load_b64 v[2:3], off, off offset:296 ; 8-byte Folded Reload
	s_waitcnt vmcnt(0)
	v_add_co_u32 v0, vcc_lo, v0, v2
	v_add_co_ci_u32_e32 v1, vcc_lo, v1, v3, vcc_lo
	s_clause 0x1
	flat_load_b64 v[2:3], v[0:1] offset:1024
	flat_load_b64 v[0:1], v[0:1] offset:1536
	s_waitcnt vmcnt(1) lgkmcnt(1)
	v_mul_f64 v[2:3], s[20:21], v[2:3]
	s_waitcnt vmcnt(0) lgkmcnt(0)
	v_mul_f64 v[0:1], s[20:21], v[0:1]
	scratch_store_b64 off, v[2:3], off offset:320 ; 8-byte Folded Spill
	s_branch .LBB168_50
.LBB168_49:                             ;   in Loop: Header=BB168_30 Depth=1
	v_mov_b32_e32 v0, 0
	v_mov_b32_e32 v1, 0
	scratch_store_b64 off, v[0:1], off offset:320 ; 8-byte Folded Spill
	v_mov_b32_e32 v0, 0
	v_mov_b32_e32 v1, 0
.LBB168_50:                             ;   in Loop: Header=BB168_30 Depth=1
	v_dual_mov_b32 v54, v119 :: v_dual_mov_b32 v55, v134
	v_dual_mov_b32 v56, v32 :: v_dual_mov_b32 v57, v239
	;; [unrolled: 1-line block ×6, first 2 shown]
	s_mov_b32 s25, 0
	s_mov_b32 s23, -1
	scratch_store_b64 off, v[0:1], off offset:328 ; 8-byte Folded Spill
.LBB168_51:                             ;   Parent Loop BB168_30 Depth=1
                                        ; =>  This Inner Loop Header: Depth=2
	s_lshl_b32 s25, s25, 3
	v_mov_b32_e32 v112, v76
	s_waitcnt vmcnt(0)
	v_lshl_add_u32 v26, v213, 5, s25
	v_lshl_add_u32 v4, v101, 5, s25
	s_mov_b32 s25, 2
	s_and_not1_b32 vcc_lo, exec_lo, s23
	s_mov_b32 s23, 0
	ds_load_b128 v[44:47], v26
	ds_load_b128 v[0:3], v4 offset:16384
	ds_load_b128 v[150:153], v4 offset:16640
	;; [unrolled: 1-line block ×3, first 2 shown]
	s_waitcnt lgkmcnt(2)
	v_add_f64 v[18:19], v[0:1], v[44:45]
	s_waitcnt lgkmcnt(1)
	v_add_f64 v[5:6], v[152:153], v[46:47]
	v_add_f64 v[62:63], v[2:3], v[46:47]
	s_delay_alu instid0(VALU_DEP_3)
	v_cvt_f32_f64_e32 v76, v[18:19]
	scratch_store_b64 off, v[5:6], off      ; 8-byte Folded Spill
	v_add_f64 v[5:6], v[150:151], v[44:45]
	v_cvt_f32_f64_e32 v62, v[62:63]
	scratch_store_b64 off, v[5:6], off offset:56 ; 8-byte Folded Spill
	ds_load_b128 v[158:161], v4 offset:16896
	ds_load_b128 v[162:165], v4 offset:17152
	v_min3_f32 v141, v76, v62, v141
	v_mov_b32_e32 v76, v112
	s_waitcnt lgkmcnt(1)
	v_add_f64 v[5:6], v[160:161], v[46:47]
	s_waitcnt lgkmcnt(0)
	v_add_f64 v[34:35], v[162:163], v[154:155]
	v_add_f64 v[38:39], v[158:159], v[44:45]
	scratch_store_b64 off, v[5:6], off offset:32 ; 8-byte Folded Spill
	v_add_f64 v[5:6], v[164:165], v[46:47]
	v_cvt_f32_f64_e32 v38, v[38:39]
	scratch_store_b64 off, v[5:6], off offset:8 ; 8-byte Folded Spill
	v_add_f64 v[5:6], v[162:163], v[44:45]
	scratch_store_b64 off, v[5:6], off offset:64 ; 8-byte Folded Spill
	ds_load_b128 v[166:169], v4 offset:17408
	ds_load_b128 v[170:173], v4 offset:17664
	s_waitcnt lgkmcnt(1)
	v_add_f64 v[5:6], v[168:169], v[46:47]
	s_waitcnt lgkmcnt(0)
	v_add_f64 v[30:31], v[170:171], v[154:155]
	v_add_f64 v[36:37], v[166:167], v[44:45]
	scratch_store_b64 off, v[5:6], off offset:40 ; 8-byte Folded Spill
	v_add_f64 v[5:6], v[172:173], v[46:47]
	v_cvt_f32_f64_e32 v30, v[30:31]
	scratch_store_b64 off, v[5:6], off offset:16 ; 8-byte Folded Spill
	v_add_f64 v[5:6], v[170:171], v[44:45]
	scratch_store_b64 off, v[5:6], off offset:72 ; 8-byte Folded Spill
	ds_load_b128 v[174:177], v4 offset:17920
	ds_load_b128 v[178:181], v4 offset:18176
	s_waitcnt lgkmcnt(1)
	v_add_f64 v[4:5], v[176:177], v[46:47]
	scratch_store_b64 off, v[4:5], off offset:48 ; 8-byte Folded Spill
	v_add_f64 v[4:5], v[174:175], v[44:45]
	scratch_store_b64 off, v[4:5], off offset:88 ; 8-byte Folded Spill
	s_waitcnt lgkmcnt(0)
	v_add_f64 v[4:5], v[180:181], v[46:47]
	scratch_store_b64 off, v[4:5], off offset:24 ; 8-byte Folded Spill
	v_add_f64 v[4:5], v[178:179], v[44:45]
	scratch_store_b64 off, v[4:5], off offset:80 ; 8-byte Folded Spill
	;; [unrolled: 2-line block ×16, first 2 shown]
	ds_load_b128 v[154:157], v26 offset:2048
	ds_load_b128 v[182:185], v26 offset:3072
	s_waitcnt lgkmcnt(1)
	v_add_f64 v[4:5], v[160:161], v[156:157]
	v_add_f64 v[82:83], v[2:3], v[156:157]
	;; [unrolled: 1-line block ×8, first 2 shown]
	s_waitcnt lgkmcnt(0)
	v_add_f64 v[144:145], v[2:3], v[184:185]
	v_add_f64 v[146:147], v[0:1], v[182:183]
	;; [unrolled: 1-line block ×16, first 2 shown]
	scratch_store_b64 off, v[4:5], off offset:272 ; 8-byte Folded Spill
	v_add_f64 v[4:5], v[164:165], v[156:157]
	v_cvt_f32_f64_e32 v22, v[22:23]
	v_cvt_f32_f64_e32 v23, v[148:149]
	;; [unrolled: 1-line block ×3, first 2 shown]
	scratch_store_b64 off, v[4:5], off offset:256 ; 8-byte Folded Spill
	v_add_f64 v[4:5], v[168:169], v[156:157]
	v_min3_f32 v235, v22, v23, v235
	v_cvt_f32_f64_e32 v22, v[78:79]
	v_cvt_f32_f64_e32 v23, v[188:189]
	scratch_store_b64 off, v[4:5], off offset:240 ; 8-byte Folded Spill
	v_add_f64 v[4:5], v[172:173], v[156:157]
	v_min3_f32 v98, v22, v23, v98
	v_cvt_f32_f64_e32 v22, v[194:195]
	scratch_store_b64 off, v[4:5], off offset:224 ; 8-byte Folded Spill
	v_add_f64 v[4:5], v[170:171], v[154:155]
	v_min3_f32 v103, v22, v20, v103
	v_cvt_f32_f64_e32 v20, v[198:199]
	scratch_store_b64 off, v[4:5], off offset:264 ; 8-byte Folded Spill
	v_add_f64 v[4:5], v[176:177], v[156:157]
	scratch_store_b64 off, v[4:5], off offset:216 ; 8-byte Folded Spill
	v_add_f64 v[4:5], v[174:175], v[154:155]
	;; [unrolled: 2-line block ×4, first 2 shown]
	scratch_store_b64 off, v[4:5], off offset:232 ; 8-byte Folded Spill
	ds_load_b128 v[154:157], v26 offset:4096
	ds_load_b128 v[182:185], v26 offset:5120
	s_waitcnt lgkmcnt(1)
	v_add_f64 v[212:213], v[2:3], v[156:157]
	v_add_f64 v[214:215], v[0:1], v[154:155]
	v_add_f64 v[216:217], v[152:153], v[156:157]
	v_add_f64 v[220:221], v[150:151], v[154:155]
	v_add_f64 v[222:223], v[160:161], v[156:157]
	v_add_f64 v[224:225], v[158:159], v[154:155]
	v_add_f64 v[226:227], v[164:165], v[156:157]
	v_add_f64 v[228:229], v[162:163], v[154:155]
	v_add_f64 v[230:231], v[168:169], v[156:157]
	v_add_f64 v[232:233], v[166:167], v[154:155]
	v_add_f64 v[16:17], v[172:173], v[156:157]
	v_add_f64 v[236:237], v[170:171], v[154:155]
	v_add_f64 v[46:47], v[176:177], v[156:157]
	v_add_f64 v[240:241], v[174:175], v[154:155]
	v_add_f64 v[48:49], v[180:181], v[156:157]
	v_add_f64 v[244:245], v[178:179], v[154:155]
	s_waitcnt lgkmcnt(0)
	v_add_f64 v[246:247], v[2:3], v[184:185]
	v_add_f64 v[248:249], v[0:1], v[182:183]
	;; [unrolled: 1-line block ×16, first 2 shown]
	ds_load_b128 v[154:157], v26 offset:6144
	ds_load_b128 v[182:185], v26 offset:7168
	scratch_load_b64 v[18:19], off, off offset:56 ; 8-byte Folded Reload
	s_waitcnt lgkmcnt(1)
	v_add_f64 v[130:131], v[2:3], v[156:157]
	v_add_f64 v[26:27], v[0:1], v[154:155]
	s_waitcnt lgkmcnt(0)
	v_add_f64 v[2:3], v[2:3], v[184:185]
	v_add_f64 v[0:1], v[0:1], v[182:183]
	;; [unrolled: 1-line block ×6, first 2 shown]
	v_cvt_f32_f64_e32 v6, v[6:7]
	v_cvt_f32_f64_e32 v7, v[254:255]
	v_add_f64 v[64:65], v[160:161], v[156:157]
	v_add_f64 v[66:67], v[158:159], v[154:155]
	v_add_f64 v[160:161], v[160:161], v[184:185]
	v_add_f64 v[158:159], v[158:159], v[182:183]
	v_add_f64 v[242:243], v[164:165], v[156:157]
	v_add_f64 v[114:115], v[162:163], v[154:155]
	v_add_f64 v[164:165], v[164:165], v[184:185]
	v_add_f64 v[162:163], v[162:163], v[182:183]
	v_add_f64 v[116:117], v[168:169], v[156:157]
	v_add_f64 v[238:239], v[166:167], v[154:155]
	v_add_f64 v[168:169], v[168:169], v[184:185]
	v_add_f64 v[166:167], v[166:167], v[182:183]
	v_add_f64 v[12:13], v[172:173], v[156:157]
	v_add_f64 v[8:9], v[170:171], v[154:155]
	v_add_f64 v[172:173], v[172:173], v[184:185]
	v_add_f64 v[170:171], v[170:171], v[182:183]
	v_add_f64 v[133:134], v[176:177], v[156:157]
	v_add_f64 v[10:11], v[174:175], v[154:155]
	v_add_f64 v[176:177], v[176:177], v[184:185]
	v_add_f64 v[174:175], v[174:175], v[182:183]
	v_add_f64 v[156:157], v[180:181], v[156:157]
	v_add_f64 v[154:155], v[178:179], v[154:155]
	v_add_f64 v[180:181], v[180:181], v[184:185]
	v_add_f64 v[178:179], v[178:179], v[182:183]
	v_cvt_f32_f64_e32 v0, v[0:1]
	v_cvt_f32_f64_e32 v1, v[2:3]
	v_min3_f32 v191, v6, v7, v191
	v_cvt_f32_f64_e32 v6, v[42:43]
	v_cvt_f32_f64_e32 v7, v[44:45]
	s_delay_alu instid0(VALU_DEP_4) | instskip(SKIP_2) | instid1(VALU_DEP_4)
	v_min3_f32 v129, v0, v1, v129
	v_cvt_f32_f64_e32 v0, v[150:151]
	v_cvt_f32_f64_e32 v1, v[152:153]
	v_min3_f32 v190, v6, v7, v190
	v_cvt_f32_f64_e32 v6, v[14:15]
	v_cvt_f32_f64_e32 v7, v[40:41]
	s_delay_alu instid0(VALU_DEP_4) | instskip(SKIP_2) | instid1(VALU_DEP_4)
	v_min3_f32 v124, v0, v1, v124
	v_cvt_f32_f64_e32 v0, v[158:159]
	v_cvt_f32_f64_e32 v1, v[160:161]
	v_min3_f32 v59, v6, v7, v59
	v_cvt_f32_f64_e32 v6, v[4:5]
	v_cvt_f32_f64_e32 v4, v[32:33]
	;; [unrolled: 1-line block ×3, first 2 shown]
	v_min3_f32 v127, v0, v1, v127
	v_cvt_f32_f64_e32 v0, v[162:163]
	v_cvt_f32_f64_e32 v1, v[164:165]
	v_min3_f32 v58, v6, v4, v58
	v_cvt_f32_f64_e32 v4, v[186:187]
	s_delay_alu instid0(VALU_DEP_3) | instskip(SKIP_2) | instid1(VALU_DEP_4)
	v_min3_f32 v122, v0, v1, v122
	v_cvt_f32_f64_e32 v0, v[166:167]
	v_cvt_f32_f64_e32 v1, v[168:169]
	v_min3_f32 v57, v4, v5, v57
	v_cvt_f32_f64_e32 v4, v[108:109]
	v_cvt_f32_f64_e32 v5, v[192:193]
	s_delay_alu instid0(VALU_DEP_4) | instskip(SKIP_2) | instid1(VALU_DEP_4)
	v_min3_f32 v118, v0, v1, v118
	v_cvt_f32_f64_e32 v0, v[170:171]
	v_cvt_f32_f64_e32 v1, v[172:173]
	v_min3_f32 v56, v4, v5, v56
	v_cvt_f32_f64_e32 v4, v[26:27]
	v_cvt_f32_f64_e32 v5, v[130:131]
	s_delay_alu instid0(VALU_DEP_4) | instskip(SKIP_2) | instid1(VALU_DEP_4)
	v_min3_f32 v76, v0, v1, v76
	v_cvt_f32_f64_e32 v0, v[174:175]
	v_cvt_f32_f64_e32 v1, v[176:177]
	v_min3_f32 v55, v4, v5, v55
	v_cvt_f32_f64_e32 v4, v[110:111]
	v_cvt_f32_f64_e32 v5, v[28:29]
	s_waitcnt vmcnt(0)
	v_cvt_f32_f64_e32 v62, v[18:19]
	scratch_load_b64 v[18:19], off, off     ; 8-byte Folded Reload
	v_min3_f32 v120, v0, v1, v120
	v_cvt_f32_f64_e32 v0, v[178:179]
	v_cvt_f32_f64_e32 v1, v[180:181]
	v_min3_f32 v54, v4, v5, v54
	v_cvt_f32_f64_e32 v4, v[66:67]
	v_cvt_f32_f64_e32 v5, v[64:65]
	s_delay_alu instid0(VALU_DEP_4) | instskip(NEXT) | instid1(VALU_DEP_2)
	v_min3_f32 v113, v0, v1, v113
	v_min3_f32 v52, v4, v5, v52
	v_cvt_f32_f64_e32 v4, v[114:115]
	v_cvt_f32_f64_e32 v5, v[242:243]
	s_delay_alu instid0(VALU_DEP_1) | instskip(SKIP_2) | instid1(VALU_DEP_1)
	v_min3_f32 v218, v4, v5, v218
	v_cvt_f32_f64_e32 v4, v[238:239]
	v_cvt_f32_f64_e32 v5, v[116:117]
	v_min3_f32 v70, v4, v5, v70
	v_cvt_f32_f64_e32 v4, v[8:9]
	v_cvt_f32_f64_e32 v5, v[12:13]
	s_delay_alu instid0(VALU_DEP_1) | instskip(SKIP_2) | instid1(VALU_DEP_1)
	v_min3_f32 v196, v4, v5, v196
	v_cvt_f32_f64_e32 v4, v[10:11]
	v_cvt_f32_f64_e32 v5, v[133:134]
	v_min3_f32 v128, v4, v5, v128
	v_cvt_f32_f64_e32 v4, v[154:155]
	v_cvt_f32_f64_e32 v5, v[156:157]
	s_delay_alu instid0(VALU_DEP_1)
	v_min3_f32 v126, v4, v5, v126
	s_waitcnt vmcnt(0)
	v_cvt_f32_f64_e32 v63, v[18:19]
	scratch_load_b64 v[18:19], off, off offset:32 ; 8-byte Folded Reload
	v_min3_f32 v140, v62, v63, v140
	s_waitcnt vmcnt(0)
	v_cvt_f32_f64_e32 v39, v[18:19]
	scratch_load_b64 v[18:19], off, off offset:64 ; 8-byte Folded Reload
	;; [unrolled: 4-line block ×3, first 2 shown]
	s_waitcnt vmcnt(0)
	v_cvt_f32_f64_e32 v39, v[18:19]
	scratch_load_b64 v[18:19], off, off offset:40 ; 8-byte Folded Reload
	v_min3_f32 v138, v38, v39, v138
	v_cvt_f32_f64_e32 v38, v[36:37]
	s_waitcnt vmcnt(0)
	v_cvt_f32_f64_e32 v39, v[18:19]
	scratch_load_b64 v[18:19], off, off offset:72 ; 8-byte Folded Reload
	v_min3_f32 v137, v38, v39, v137
	s_waitcnt vmcnt(0)
	v_cvt_f32_f64_e32 v38, v[18:19]
	scratch_load_b64 v[18:19], off, off offset:16 ; 8-byte Folded Reload
	s_waitcnt vmcnt(0)
	v_cvt_f32_f64_e32 v39, v[18:19]
	scratch_load_b64 v[18:19], off, off offset:88 ; 8-byte Folded Reload
	v_min3_f32 v136, v38, v39, v136
	s_waitcnt vmcnt(0)
	v_cvt_f32_f64_e32 v38, v[18:19]
	scratch_load_b64 v[18:19], off, off offset:48 ; 8-byte Folded Reload
	;; [unrolled: 7-line block ×6, first 2 shown]
	s_waitcnt vmcnt(0)
	v_cvt_f32_f64_e32 v37, v[18:19]
	scratch_load_b64 v[18:19], off, off offset:144 ; 8-byte Folded Reload
	v_min3_f32 v197, v36, v37, v197
	v_cvt_f32_f64_e32 v36, v[34:35]
	s_waitcnt vmcnt(0)
	v_cvt_f32_f64_e32 v34, v[18:19]
	scratch_load_b64 v[18:19], off, off offset:160 ; 8-byte Folded Reload
	v_min3_f32 v123, v36, v34, v123
	s_waitcnt vmcnt(0)
	v_cvt_f32_f64_e32 v34, v[18:19]
	scratch_load_b64 v[18:19], off, off offset:152 ; 8-byte Folded Reload
	s_waitcnt vmcnt(0)
	v_cvt_f32_f64_e32 v35, v[18:19]
	scratch_load_b64 v[18:19], off, off offset:168 ; 8-byte Folded Reload
	v_min3_f32 v77, v34, v35, v77
	s_waitcnt vmcnt(0)
	v_cvt_f32_f64_e32 v31, v[18:19]
	scratch_load_b64 v[18:19], off, off offset:184 ; 8-byte Folded Reload
	v_min3_f32 v121, v30, v31, v121
	s_waitcnt vmcnt(0)
	v_cvt_f32_f64_e32 v30, v[18:19]
	scratch_load_b64 v[18:19], off, off offset:176 ; 8-byte Folded Reload
	s_waitcnt vmcnt(0)
	v_cvt_f32_f64_e32 v31, v[18:19]
	scratch_load_b64 v[18:19], off, off offset:200 ; 8-byte Folded Reload
	v_min3_f32 v234, v30, v31, v234
	s_waitcnt vmcnt(0)
	v_cvt_f32_f64_e32 v30, v[18:19]
	scratch_load_b64 v[18:19], off, off offset:192 ; 8-byte Folded Reload
	s_waitcnt vmcnt(0)
	v_cvt_f32_f64_e32 v31, v[18:19]
	scratch_load_b64 v[18:19], off, off offset:272 ; 8-byte Folded Reload
	v_min3_f32 v100, v30, v31, v100
	v_cvt_f32_f64_e32 v30, v[24:25]
	v_cvt_f32_f64_e32 v31, v[82:83]
	;; [unrolled: 1-line block ×3, first 2 shown]
	s_delay_alu instid0(VALU_DEP_2) | instskip(SKIP_2) | instid1(VALU_DEP_1)
	v_min3_f32 v91, v30, v31, v91
	v_cvt_f32_f64_e32 v30, v[84:85]
	v_cvt_f32_f64_e32 v31, v[86:87]
	v_min3_f32 v90, v30, v31, v90
	v_cvt_f32_f64_e32 v30, v[88:89]
	s_waitcnt vmcnt(0)
	v_cvt_f32_f64_e32 v31, v[18:19]
	scratch_load_b64 v[18:19], off, off offset:256 ; 8-byte Folded Reload
	v_min3_f32 v105, v30, v31, v105
	v_cvt_f32_f64_e32 v30, v[92:93]
	s_waitcnt vmcnt(0)
	v_cvt_f32_f64_e32 v31, v[18:19]
	scratch_load_b64 v[18:19], off, off offset:240 ; 8-byte Folded Reload
	;; [unrolled: 5-line block ×3, first 2 shown]
	v_min3_f32 v95, v30, v31, v95
	s_waitcnt vmcnt(0)
	v_cvt_f32_f64_e32 v30, v[18:19]
	scratch_load_b64 v[18:19], off, off offset:224 ; 8-byte Folded Reload
	s_waitcnt vmcnt(0)
	v_cvt_f32_f64_e32 v31, v[18:19]
	scratch_load_b64 v[18:19], off, off offset:248 ; 8-byte Folded Reload
	v_min3_f32 v94, v30, v31, v94
	s_waitcnt vmcnt(0)
	v_cvt_f32_f64_e32 v30, v[18:19]
	scratch_load_b64 v[18:19], off, off offset:216 ; 8-byte Folded Reload
	s_waitcnt vmcnt(0)
	v_cvt_f32_f64_e32 v31, v[18:19]
	scratch_load_b64 v[18:19], off, off offset:232 ; 8-byte Folded Reload
	v_min3_f32 v143, v30, v31, v143
	s_waitcnt vmcnt(0)
	v_cvt_f32_f64_e32 v30, v[18:19]
	scratch_load_b64 v[18:19], off, off offset:208 ; 8-byte Folded Reload
	s_waitcnt vmcnt(0)
	v_cvt_f32_f64_e32 v24, v[18:19]
	v_cvt_f32_f64_e32 v18, v[50:51]
	;; [unrolled: 1-line block ×3, first 2 shown]
	s_delay_alu instid0(VALU_DEP_3) | instskip(NEXT) | instid1(VALU_DEP_3)
	v_min3_f32 v142, v30, v24, v142
	v_min3_f32 v102, v20, v18, v102
	v_cvt_f32_f64_e32 v18, v[202:203]
	v_cvt_f32_f64_e32 v24, v[146:147]
	s_delay_alu instid0(VALU_DEP_2) | instskip(SKIP_2) | instid1(VALU_DEP_4)
	v_min3_f32 v53, v18, v19, v53
	v_cvt_f32_f64_e32 v18, v[206:207]
	v_cvt_f32_f64_e32 v19, v[204:205]
	v_min3_f32 v99, v24, v25, v99
	s_delay_alu instid0(VALU_DEP_2) | instskip(SKIP_2) | instid1(VALU_DEP_1)
	v_min3_f32 v219, v18, v19, v219
	v_cvt_f32_f64_e32 v18, v[210:211]
	v_cvt_f32_f64_e32 v19, v[208:209]
	v_min3_f32 v75, v18, v19, v75
	v_cvt_f32_f64_e32 v18, v[214:215]
	v_cvt_f32_f64_e32 v19, v[212:213]
	scratch_load_b32 v213, off, off offset:292 ; 4-byte Folded Reload
	v_min3_f32 v74, v18, v19, v74
	v_cvt_f32_f64_e32 v18, v[220:221]
	v_cvt_f32_f64_e32 v19, v[216:217]
	s_delay_alu instid0(VALU_DEP_1) | instskip(SKIP_2) | instid1(VALU_DEP_1)
	v_min3_f32 v73, v18, v19, v73
	v_cvt_f32_f64_e32 v18, v[224:225]
	v_cvt_f32_f64_e32 v19, v[222:223]
	v_min3_f32 v72, v18, v19, v72
	v_cvt_f32_f64_e32 v18, v[228:229]
	v_cvt_f32_f64_e32 v19, v[226:227]
	s_delay_alu instid0(VALU_DEP_1) | instskip(SKIP_2) | instid1(VALU_DEP_1)
	v_min3_f32 v71, v18, v19, v71
	v_cvt_f32_f64_e32 v18, v[232:233]
	v_cvt_f32_f64_e32 v19, v[230:231]
	v_min3_f32 v81, v18, v19, v81
	v_cvt_f32_f64_e32 v18, v[236:237]
	v_cvt_f32_f64_e32 v19, v[16:17]
	;; [unrolled: 1-line block ×4, first 2 shown]
	s_delay_alu instid0(VALU_DEP_3) | instskip(SKIP_2) | instid1(VALU_DEP_1)
	v_min3_f32 v61, v18, v19, v61
	v_cvt_f32_f64_e32 v18, v[240:241]
	v_cvt_f32_f64_e32 v19, v[46:47]
	v_min3_f32 v69, v18, v19, v69
	v_cvt_f32_f64_e32 v18, v[244:245]
	s_delay_alu instid0(VALU_DEP_1) | instskip(SKIP_1) | instid1(VALU_DEP_1)
	v_min3_f32 v68, v18, v16, v68
	v_cvt_f32_f64_e32 v16, v[248:249]
	v_min3_f32 v119, v16, v17, v119
	v_cvt_f32_f64_e32 v16, v[252:253]
	v_cvt_f32_f64_e32 v17, v[250:251]
	s_delay_alu instid0(VALU_DEP_1)
	v_min3_f32 v60, v16, v17, v60
	s_cbranch_vccz .LBB168_51
; %bb.52:                               ;   in Loop: Header=BB168_30 Depth=1
	s_clause 0x1
	scratch_load_b32 v0, off, off offset:376
	scratch_load_b64 v[1:2], off, off offset:280
	v_dual_mov_b32 v238, v119 :: v_dual_mov_b32 v65, v104
	v_dual_mov_b32 v205, v235 :: v_dual_mov_b32 v212, v70
	;; [unrolled: 1-line block ×3, first 2 shown]
	v_mov_b32_e32 v192, v61
	s_add_i32 s22, s22, 8
	s_add_i32 s4, s4, 8
	s_cmp_ge_i32 s22, s5
	s_waitcnt vmcnt(0)
	ds_store_b64 v0, v[1:2]
	s_clause 0x2
	scratch_load_b32 v0, off, off offset:380
	scratch_load_b64 v[1:2], off, off offset:304
	scratch_load_b64 v[3:4], off, off offset:312
	s_waitcnt vmcnt(0)
	ds_store_2addr_stride64_b64 v0, v[1:2], v[3:4] offset1:4
	s_clause 0x1
	scratch_load_b64 v[1:2], off, off offset:320
	scratch_load_b64 v[3:4], off, off offset:328
	s_waitcnt vmcnt(0)
	ds_store_2addr_stride64_b64 v0, v[1:2], v[3:4] offset0:8 offset1:12
	s_waitcnt lgkmcnt(0)
	s_waitcnt_vscnt null, 0x0
	s_barrier
	buffer_gl0_inv
	s_cbranch_scc1 .LBB168_55
; %bb.53:                               ;   in Loop: Header=BB168_30 Depth=1
	scratch_load_b32 v3, off, off offset:360 ; 4-byte Folded Reload
	v_dual_mov_b32 v119, v54 :: v_dual_mov_b32 v32, v56
	v_dual_mov_b32 v39, v55 :: v_dual_mov_b32 v34, v81
	;; [unrolled: 1-line block ×3, first 2 shown]
	v_mov_b32_e32 v33, v58
	v_mov_b32_e32 v41, v59
	;; [unrolled: 1-line block ×3, first 2 shown]
	s_branch .LBB168_30
.LBB168_54:
	scratch_load_b32 v213, off, off offset:292 ; 4-byte Folded Reload
	v_mov_b32_e32 v111, v215
	v_mov_b32_e32 v101, v217
	;; [unrolled: 1-line block ×5, first 2 shown]
	s_branch .LBB168_56
.LBB168_55:
	v_mov_b32_e32 v133, v54
	v_mov_b32_e32 v111, v55
	;; [unrolled: 1-line block ×7, first 2 shown]
.LBB168_56:
	v_dual_mov_b32 v110, v91 :: v_dual_mov_b32 v131, v73
	v_dual_mov_b32 v106, v105 :: v_dual_mov_b32 v61, v71
	;; [unrolled: 1-line block ×8, first 2 shown]
	v_mov_b32_e32 v98, v242
	v_mov_b32_e32 v242, v142
	;; [unrolled: 1-line block ×3, first 2 shown]
	s_mov_b32 s4, 0
	s_mov_b32 s3, -1
.LBB168_57:                             ; =>This Inner Loop Header: Depth=1
	scratch_load_b32 v0, off, off offset:288 ; 4-byte Folded Reload
	s_lshl_b32 s4, s4, 3
	v_dual_mov_b32 v94, v65 :: v_dual_mov_b32 v63, v192
	s_waitcnt vmcnt(1)
	v_lshl_add_u32 v4, v213, 5, s4
	v_dual_mov_b32 v36, v103 :: v_dual_mov_b32 v219, v53
	v_mov_b32_e32 v191, v212
	s_and_not1_b32 vcc_lo, exec_lo, s3
	s_mov_b32 s3, 0
	s_waitcnt vmcnt(0)
	v_lshl_add_u32 v5, v0, 5, s4
	s_mov_b32 s4, 2
	ds_load_b128 v[32:35], v4 offset:8192
	ds_load_b128 v[0:3], v5 offset:18432
	;; [unrolled: 1-line block ×4, first 2 shown]
	s_waitcnt lgkmcnt(2)
	v_add_f64 v[28:29], v[2:3], v[34:35]
	s_waitcnt lgkmcnt(1)
	v_add_f64 v[6:7], v[42:43], v[34:35]
	v_add_f64 v[64:65], v[0:1], v[32:33]
	s_delay_alu instid0(VALU_DEP_3)
	v_cvt_f32_f64_e32 v28, v[28:29]
	scratch_store_b64 off, v[6:7], off      ; 8-byte Folded Spill
	v_add_f64 v[6:7], v[40:41], v[32:33]
	v_cvt_f32_f64_e32 v64, v[64:65]
	v_mov_b32_e32 v65, v94
	scratch_store_b64 off, v[6:7], off offset:56 ; 8-byte Folded Spill
	ds_load_b128 v[72:75], v5 offset:18944
	ds_load_b128 v[142:145], v5 offset:19200
	v_min3_f32 v141, v64, v28, v141
	s_waitcnt lgkmcnt(1)
	v_add_f64 v[6:7], v[74:75], v[34:35]
	scratch_store_b64 off, v[6:7], off offset:32 ; 8-byte Folded Spill
	v_add_f64 v[6:7], v[72:73], v[32:33]
	scratch_store_b64 off, v[6:7], off offset:88 ; 8-byte Folded Spill
	s_waitcnt lgkmcnt(0)
	v_add_f64 v[6:7], v[144:145], v[34:35]
	scratch_store_b64 off, v[6:7], off offset:8 ; 8-byte Folded Spill
	v_add_f64 v[6:7], v[142:143], v[32:33]
	scratch_store_b64 off, v[6:7], off offset:64 ; 8-byte Folded Spill
	ds_load_b128 v[146:149], v5 offset:19456
	ds_load_b128 v[150:153], v5 offset:19712
	s_waitcnt lgkmcnt(1)
	v_add_f64 v[6:7], v[148:149], v[34:35]
	v_add_f64 v[26:27], v[146:147], v[32:33]
	scratch_store_b64 off, v[6:7], off offset:40 ; 8-byte Folded Spill
	s_waitcnt lgkmcnt(0)
	v_add_f64 v[6:7], v[152:153], v[34:35]
	v_cvt_f32_f64_e32 v26, v[26:27]
	scratch_store_b64 off, v[6:7], off offset:16 ; 8-byte Folded Spill
	v_add_f64 v[6:7], v[150:151], v[32:33]
	scratch_store_b64 off, v[6:7], off offset:72 ; 8-byte Folded Spill
	ds_load_b128 v[154:157], v5 offset:19968
	ds_load_b128 v[158:161], v5 offset:20224
	s_waitcnt lgkmcnt(1)
	v_add_f64 v[5:6], v[156:157], v[34:35]
	v_add_f64 v[24:25], v[154:155], v[68:69]
	scratch_store_b64 off, v[5:6], off offset:48 ; 8-byte Folded Spill
	v_add_f64 v[5:6], v[154:155], v[32:33]
	scratch_store_b64 off, v[5:6], off offset:96 ; 8-byte Folded Spill
	s_waitcnt lgkmcnt(0)
	v_add_f64 v[5:6], v[160:161], v[34:35]
	scratch_store_b64 off, v[5:6], off offset:24 ; 8-byte Folded Spill
	v_add_f64 v[5:6], v[158:159], v[32:33]
	scratch_store_b64 off, v[5:6], off offset:80 ; 8-byte Folded Spill
	;; [unrolled: 2-line block ×17, first 2 shown]
	ds_load_b128 v[68:71], v4 offset:10240
	ds_load_b128 v[162:165], v4 offset:11264
	s_waitcnt lgkmcnt(1)
	v_add_f64 v[5:6], v[144:145], v[70:71]
	v_add_f64 v[84:85], v[2:3], v[70:71]
	;; [unrolled: 1-line block ×9, first 2 shown]
	s_waitcnt lgkmcnt(0)
	v_add_f64 v[52:53], v[2:3], v[164:165]
	v_add_f64 v[114:115], v[0:1], v[162:163]
	;; [unrolled: 1-line block ×16, first 2 shown]
	scratch_store_b64 off, v[5:6], off offset:272 ; 8-byte Folded Spill
	v_add_f64 v[5:6], v[148:149], v[70:71]
	scratch_store_b64 off, v[5:6], off offset:256 ; 8-byte Folded Spill
	v_add_f64 v[5:6], v[146:147], v[68:69]
	;; [unrolled: 2-line block ×7, first 2 shown]
	scratch_store_b64 off, v[5:6], off offset:248 ; 8-byte Folded Spill
	ds_load_b128 v[68:71], v4 offset:12288
	ds_load_b128 v[162:165], v4 offset:13312
	s_waitcnt lgkmcnt(1)
	v_add_f64 v[182:183], v[2:3], v[70:71]
	v_add_f64 v[184:185], v[0:1], v[68:69]
	;; [unrolled: 1-line block ×16, first 2 shown]
	s_waitcnt lgkmcnt(0)
	v_add_f64 v[214:215], v[2:3], v[164:165]
	v_add_f64 v[216:217], v[0:1], v[162:163]
	v_add_f64 v[34:35], v[42:43], v[164:165]
	v_add_f64 v[220:221], v[40:41], v[162:163]
	v_add_f64 v[222:223], v[74:75], v[164:165]
	v_add_f64 v[224:225], v[72:73], v[162:163]
	v_add_f64 v[226:227], v[144:145], v[164:165]
	v_add_f64 v[228:229], v[142:143], v[162:163]
	v_add_f64 v[230:231], v[148:149], v[164:165]
	v_add_f64 v[232:233], v[146:147], v[162:163]
	v_add_f64 v[32:33], v[152:153], v[164:165]
	v_add_f64 v[236:237], v[150:151], v[162:163]
	v_add_f64 v[30:31], v[156:157], v[164:165]
	v_add_f64 v[240:241], v[154:155], v[162:163]
	v_add_f64 v[244:245], v[160:161], v[164:165]
	v_add_f64 v[246:247], v[158:159], v[162:163]
	ds_load_b128 v[68:71], v4 offset:14336
	ds_load_b128 v[162:165], v4 offset:15360
	scratch_load_b64 v[28:29], off, off offset:56 ; 8-byte Folded Reload
	s_waitcnt lgkmcnt(1)
	v_add_f64 v[254:255], v[40:41], v[68:69]
	s_waitcnt lgkmcnt(0)
	v_add_f64 v[78:79], v[40:41], v[162:163]
	scratch_load_b64 v[40:41], off, off     ; 8-byte Folded Reload
	v_add_f64 v[248:249], v[2:3], v[70:71]
	v_add_f64 v[250:251], v[0:1], v[68:69]
	;; [unrolled: 1-line block ×30, first 2 shown]
	v_cvt_f32_f64_e32 v0, v[0:1]
	v_cvt_f32_f64_e32 v1, v[2:3]
	;; [unrolled: 1-line block ×4, first 2 shown]
	s_delay_alu instid0(VALU_DEP_3) | instskip(SKIP_2) | instid1(VALU_DEP_4)
	v_min3_f32 v129, v0, v1, v129
	v_cvt_f32_f64_e32 v0, v[78:79]
	v_cvt_f32_f64_e32 v1, v[42:43]
	v_min3_f32 v59, v4, v5, v59
	v_cvt_f32_f64_e32 v4, v[6:7]
	v_cvt_f32_f64_e32 v5, v[12:13]
	s_delay_alu instid0(VALU_DEP_4) | instskip(SKIP_2) | instid1(VALU_DEP_4)
	v_min3_f32 v124, v0, v1, v124
	v_cvt_f32_f64_e32 v0, v[72:73]
	v_cvt_f32_f64_e32 v1, v[74:75]
	v_min3_f32 v218, v4, v5, v218
	v_cvt_f32_f64_e32 v4, v[10:11]
	v_cvt_f32_f64_e32 v5, v[16:17]
	s_delay_alu instid0(VALU_DEP_4) | instskip(SKIP_2) | instid1(VALU_DEP_1)
	v_min3_f32 v127, v0, v1, v127
	v_cvt_f32_f64_e32 v0, v[142:143]
	v_cvt_f32_f64_e32 v1, v[144:145]
	v_min3_f32 v122, v0, v1, v122
	v_cvt_f32_f64_e32 v0, v[146:147]
	v_cvt_f32_f64_e32 v1, v[148:149]
	s_delay_alu instid0(VALU_DEP_1) | instskip(SKIP_2) | instid1(VALU_DEP_1)
	v_min3_f32 v118, v0, v1, v118
	v_cvt_f32_f64_e32 v0, v[150:151]
	v_cvt_f32_f64_e32 v1, v[152:153]
	v_min3_f32 v76, v0, v1, v76
	v_cvt_f32_f64_e32 v0, v[154:155]
	v_cvt_f32_f64_e32 v1, v[156:157]
	s_waitcnt vmcnt(1)
	v_cvt_f32_f64_e32 v28, v[28:29]
	s_waitcnt vmcnt(0)
	v_cvt_f32_f64_e32 v29, v[40:41]
	scratch_load_b64 v[40:41], off, off offset:32 ; 8-byte Folded Reload
	v_min3_f32 v120, v0, v1, v120
	v_cvt_f32_f64_e32 v0, v[158:159]
	v_cvt_f32_f64_e32 v1, v[160:161]
	v_min3_f32 v140, v28, v29, v140
	scratch_load_b64 v[28:29], off, off offset:88 ; 8-byte Folded Reload
	v_min3_f32 v113, v0, v1, v113
	s_waitcnt vmcnt(0)
	v_cvt_f32_f64_e32 v28, v[28:29]
	v_cvt_f32_f64_e32 v29, v[40:41]
	scratch_load_b64 v[40:41], off, off offset:8 ; 8-byte Folded Reload
	v_min3_f32 v139, v28, v29, v139
	scratch_load_b64 v[28:29], off, off offset:64 ; 8-byte Folded Reload
	s_waitcnt vmcnt(0)
	v_cvt_f32_f64_e32 v28, v[28:29]
	v_cvt_f32_f64_e32 v29, v[40:41]
	s_delay_alu instid0(VALU_DEP_1) | instskip(SKIP_3) | instid1(VALU_DEP_1)
	v_min3_f32 v138, v28, v29, v138
	scratch_load_b64 v[27:28], off, off offset:40 ; 8-byte Folded Reload
	s_waitcnt vmcnt(0)
	v_cvt_f32_f64_e32 v27, v[27:28]
	v_min3_f32 v137, v26, v27, v137
	scratch_load_b64 v[26:27], off, off offset:72 ; 8-byte Folded Reload
	s_waitcnt vmcnt(0)
	v_cvt_f32_f64_e32 v26, v[26:27]
	scratch_load_b64 v[27:28], off, off offset:16 ; 8-byte Folded Reload
	s_waitcnt vmcnt(0)
	v_cvt_f32_f64_e32 v27, v[27:28]
	s_delay_alu instid0(VALU_DEP_1)
	v_min3_f32 v136, v26, v27, v136
	scratch_load_b64 v[26:27], off, off offset:96 ; 8-byte Folded Reload
	s_waitcnt vmcnt(0)
	v_cvt_f32_f64_e32 v26, v[26:27]
	scratch_load_b64 v[27:28], off, off offset:48 ; 8-byte Folded Reload
	s_waitcnt vmcnt(0)
	v_cvt_f32_f64_e32 v27, v[27:28]
	s_delay_alu instid0(VALU_DEP_1)
	;; [unrolled: 8-line block ×8, first 2 shown]
	v_min3_f32 v77, v26, v27, v77
	scratch_load_b64 v[26:27], off, off offset:192 ; 8-byte Folded Reload
	s_waitcnt vmcnt(0)
	v_cvt_f32_f64_e32 v26, v[26:27]
	scratch_load_b64 v[27:28], off, off offset:184 ; 8-byte Folded Reload
	s_waitcnt vmcnt(0)
	v_cvt_f32_f64_e32 v27, v[27:28]
	s_delay_alu instid0(VALU_DEP_1) | instskip(SKIP_4) | instid1(VALU_DEP_1)
	v_min3_f32 v121, v26, v27, v121
	v_cvt_f32_f64_e32 v26, v[24:25]
	scratch_load_b64 v[24:25], off, off offset:200 ; 8-byte Folded Reload
	s_waitcnt vmcnt(0)
	v_cvt_f32_f64_e32 v24, v[24:25]
	v_min3_f32 v234, v26, v24, v234
	scratch_load_b64 v[24:25], off, off offset:216 ; 8-byte Folded Reload
	s_waitcnt vmcnt(0)
	v_cvt_f32_f64_e32 v24, v[24:25]
	scratch_load_b64 v[25:26], off, off offset:208 ; 8-byte Folded Reload
	s_waitcnt vmcnt(0)
	v_cvt_f32_f64_e32 v25, v[25:26]
	s_delay_alu instid0(VALU_DEP_1) | instskip(SKIP_2) | instid1(VALU_DEP_1)
	v_min3_f32 v100, v24, v25, v100
	v_cvt_f32_f64_e32 v24, v[82:83]
	v_cvt_f32_f64_e32 v25, v[84:85]
	v_min3_f32 v110, v24, v25, v110
	v_cvt_f32_f64_e32 v24, v[86:87]
	v_cvt_f32_f64_e32 v25, v[92:93]
	s_delay_alu instid0(VALU_DEP_1) | instskip(SKIP_2) | instid1(VALU_DEP_1)
	v_min3_f32 v107, v24, v25, v107
	v_cvt_f32_f64_e32 v24, v[90:91]
	v_cvt_f32_f64_e32 v25, v[96:97]
	v_min3_f32 v106, v24, v25, v106
	scratch_load_b64 v[25:26], off, off offset:272 ; 8-byte Folded Reload
	v_cvt_f32_f64_e32 v24, v[88:89]
	s_waitcnt vmcnt(0)
	v_cvt_f32_f64_e32 v25, v[25:26]
	s_delay_alu instid0(VALU_DEP_1)
	v_min3_f32 v65, v24, v25, v65
	scratch_load_b64 v[24:25], off, off offset:280 ; 8-byte Folded Reload
	s_waitcnt vmcnt(0)
	v_cvt_f32_f64_e32 v24, v[24:25]
	scratch_load_b64 v[25:26], off, off offset:256 ; 8-byte Folded Reload
	s_waitcnt vmcnt(0)
	v_cvt_f32_f64_e32 v25, v[25:26]
	s_delay_alu instid0(VALU_DEP_1)
	v_min3_f32 v95, v24, v25, v95
	scratch_load_b64 v[25:26], off, off offset:240 ; 8-byte Folded Reload
	v_cvt_f32_f64_e32 v24, v[102:103]
	v_mov_b32_e32 v103, v36
	s_waitcnt vmcnt(0)
	v_cvt_f32_f64_e32 v25, v[25:26]
	s_delay_alu instid0(VALU_DEP_1)
	v_min3_f32 v105, v24, v25, v105
	scratch_load_b64 v[24:25], off, off offset:264 ; 8-byte Folded Reload
	s_waitcnt vmcnt(0)
	v_cvt_f32_f64_e32 v24, v[24:25]
	scratch_load_b64 v[25:26], off, off offset:232 ; 8-byte Folded Reload
	s_waitcnt vmcnt(0)
	v_cvt_f32_f64_e32 v25, v[25:26]
	s_delay_alu instid0(VALU_DEP_1)
	v_min3_f32 v104, v24, v25, v104
	scratch_load_b64 v[24:25], off, off offset:248 ; 8-byte Folded Reload
	s_waitcnt vmcnt(0)
	v_cvt_f32_f64_e32 v24, v[24:25]
	scratch_load_b64 v[25:26], off, off offset:224 ; 8-byte Folded Reload
	s_waitcnt vmcnt(0)
	v_cvt_f32_f64_e32 v25, v[25:26]
	s_delay_alu instid0(VALU_DEP_1) | instskip(SKIP_3) | instid1(VALU_DEP_2)
	v_min3_f32 v242, v24, v25, v242
	v_cvt_f32_f64_e32 v24, v[114:115]
	v_cvt_f32_f64_e32 v25, v[52:53]
	v_mov_b32_e32 v53, v219
	v_min3_f32 v98, v24, v25, v98
	v_cvt_f32_f64_e32 v24, v[54:55]
	v_cvt_f32_f64_e32 v25, v[116:117]
	s_delay_alu instid0(VALU_DEP_1) | instskip(SKIP_2) | instid1(VALU_DEP_1)
	v_min3_f32 v99, v24, v25, v99
	v_cvt_f32_f64_e32 v24, v[48:49]
	v_cvt_f32_f64_e32 v25, v[66:67]
	v_min3_f32 v108, v24, v25, v108
	v_cvt_f32_f64_e32 v24, v[46:47]
	v_cvt_f32_f64_e32 v25, v[50:51]
	s_delay_alu instid0(VALU_DEP_1) | instskip(SKIP_2) | instid1(VALU_DEP_1)
	v_min3_f32 v103, v24, v25, v103
	v_cvt_f32_f64_e32 v24, v[168:169]
	v_cvt_f32_f64_e32 v25, v[166:167]
	;; [unrolled: 7-line block ×4, first 2 shown]
	v_min3_f32 v56, v24, v25, v56
	v_cvt_f32_f64_e32 v24, v[188:189]
	v_cvt_f32_f64_e32 v25, v[186:187]
	s_delay_alu instid0(VALU_DEP_1) | instskip(SKIP_3) | instid1(VALU_DEP_2)
	v_min3_f32 v131, v24, v25, v131
	v_cvt_f32_f64_e32 v24, v[192:193]
	v_cvt_f32_f64_e32 v25, v[44:45]
	v_mov_b32_e32 v192, v63
	v_min3_f32 v130, v24, v25, v130
	v_cvt_f32_f64_e32 v24, v[38:39]
	v_cvt_f32_f64_e32 v25, v[194:195]
	s_delay_alu instid0(VALU_DEP_1) | instskip(SKIP_2) | instid1(VALU_DEP_1)
	v_min3_f32 v61, v24, v25, v61
	v_cvt_f32_f64_e32 v24, v[200:201]
	v_cvt_f32_f64_e32 v25, v[198:199]
	v_min3_f32 v81, v24, v25, v81
	v_cvt_f32_f64_e32 v24, v[204:205]
	v_cvt_f32_f64_e32 v25, v[202:203]
	s_delay_alu instid0(VALU_DEP_1) | instskip(SKIP_2) | instid1(VALU_DEP_1)
	v_min3_f32 v192, v24, v25, v192
	v_cvt_f32_f64_e32 v24, v[208:209]
	v_cvt_f32_f64_e32 v25, v[206:207]
	v_min3_f32 v62, v24, v25, v62
	v_cvt_f32_f64_e32 v24, v[212:213]
	v_cvt_f32_f64_e32 v25, v[210:211]
	scratch_load_b32 v213, off, off offset:292 ; 4-byte Folded Reload
	v_mov_b32_e32 v212, v191
	s_delay_alu instid0(VALU_DEP_1)
	v_min3_f32 v212, v4, v5, v212
	v_cvt_f32_f64_e32 v4, v[14:15]
	v_cvt_f32_f64_e32 v5, v[20:21]
	v_min3_f32 v243, v24, v25, v243
	v_cvt_f32_f64_e32 v24, v[216:217]
	v_cvt_f32_f64_e32 v25, v[214:215]
	s_delay_alu instid0(VALU_DEP_4) | instskip(SKIP_2) | instid1(VALU_DEP_4)
	v_min3_f32 v196, v4, v5, v196
	v_cvt_f32_f64_e32 v4, v[18:19]
	v_cvt_f32_f64_e32 v5, v[22:23]
	v_min3_f32 v238, v24, v25, v238
	v_cvt_f32_f64_e32 v24, v[220:221]
	v_cvt_f32_f64_e32 v25, v[34:35]
	s_delay_alu instid0(VALU_DEP_4) | instskip(SKIP_2) | instid1(VALU_DEP_4)
	v_min3_f32 v128, v4, v5, v128
	v_cvt_f32_f64_e32 v4, v[68:69]
	v_cvt_f32_f64_e32 v5, v[70:71]
	v_min3_f32 v60, v24, v25, v60
	v_cvt_f32_f64_e32 v24, v[224:225]
	v_cvt_f32_f64_e32 v25, v[222:223]
	s_delay_alu instid0(VALU_DEP_4) | instskip(NEXT) | instid1(VALU_DEP_2)
	v_min3_f32 v126, v4, v5, v126
	v_min3_f32 v134, v24, v25, v134
	v_cvt_f32_f64_e32 v24, v[228:229]
	v_cvt_f32_f64_e32 v25, v[226:227]
	s_delay_alu instid0(VALU_DEP_1) | instskip(SKIP_2) | instid1(VALU_DEP_1)
	v_min3_f32 v190, v24, v25, v190
	v_cvt_f32_f64_e32 v24, v[232:233]
	v_cvt_f32_f64_e32 v25, v[230:231]
	v_min3_f32 v101, v24, v25, v101
	v_cvt_f32_f64_e32 v24, v[236:237]
	v_cvt_f32_f64_e32 v25, v[32:33]
	s_delay_alu instid0(VALU_DEP_1) | instskip(SKIP_2) | instid1(VALU_DEP_1)
	v_min3_f32 v239, v24, v25, v239
	v_cvt_f32_f64_e32 v24, v[240:241]
	v_cvt_f32_f64_e32 v25, v[30:31]
	;; [unrolled: 7-line block ×3, first 2 shown]
	v_min3_f32 v111, v24, v25, v111
	v_cvt_f32_f64_e32 v24, v[254:255]
	v_cvt_f32_f64_e32 v25, v[252:253]
	s_delay_alu instid0(VALU_DEP_1)
	v_min3_f32 v133, v24, v25, v133
	s_cbranch_vccz .LBB168_57
; %bb.58:
	s_clause 0x2
	s_load_b64 s[16:17], s[0:1], 0x78
	s_load_b32 s4, s[0:1], 0x70
	s_load_b32 s3, s[0:1], 0x58
	scratch_load_b32 v0, off, off offset:288 ; 4-byte Folded Reload
	s_waitcnt vmcnt(1)
	v_dual_mov_b32 v39, v105 :: v_dual_add_nc_u32 v18, s14, v213
	v_mov_b32_e32 v41, v107
	v_mov_b32_e32 v33, v131
	;; [unrolled: 1-line block ×4, first 2 shown]
	s_waitcnt lgkmcnt(0)
	s_mul_i32 s1, s12, s17
	s_mul_hi_u32 s5, s12, s16
	v_mad_i64_i32 v[4:5], null, v18, s3, 0
	s_mul_i32 s0, s12, s16
	s_add_i32 s1, s5, s1
	s_delay_alu instid0(SALU_CYCLE_1) | instskip(NEXT) | instid1(SALU_CYCLE_1)
	s_lshl_b64 s[0:1], s[0:1], 3
	s_add_u32 s5, s6, s0
	s_delay_alu instid0(VALU_DEP_1) | instskip(SKIP_4) | instid1(VALU_DEP_2)
	v_lshlrev_b64 v[4:5], 3, v[4:5]
	s_addc_u32 s6, s7, s1
	s_waitcnt vmcnt(0)
	v_add_nc_u32_e32 v12, s13, v0
	v_mad_i64_i32 v[0:1], null, v18, s4, 0
	v_dual_mov_b32 v35, v57 :: v_dual_add_nc_u32 v2, 8, v12
	v_ashrrev_i32_e32 v13, 31, v12
	s_delay_alu instid0(VALU_DEP_3) | instskip(NEXT) | instid1(VALU_DEP_3)
	v_lshlrev_b64 v[6:7], 3, v[0:1]
	v_ashrrev_i32_e32 v3, 31, v2
	s_delay_alu instid0(VALU_DEP_3) | instskip(NEXT) | instid1(VALU_DEP_3)
	v_lshlrev_b64 v[0:1], 3, v[12:13]
	v_add_co_u32 v19, vcc_lo, s5, v6
	s_delay_alu instid0(VALU_DEP_4)
	v_add_co_ci_u32_e32 v20, vcc_lo, s6, v7, vcc_lo
	v_add_co_u32 v16, vcc_lo, s10, v4
	v_add_co_ci_u32_e32 v17, vcc_lo, s11, v5, vcc_lo
	v_max_f32_e32 v4, v141, v141
	s_mov_b32 vcc_lo, s2
	s_cbranch_vccz .LBB168_61
; %bb.59:
	s_delay_alu instid0(VALU_DEP_1) | instskip(SKIP_2) | instid1(VALU_DEP_3)
	v_min_f32_e32 v5, 0, v4
	v_add_co_u32 v7, vcc_lo, v19, v0
	v_add_co_ci_u32_e32 v8, vcc_lo, v20, v1, vcc_lo
	v_cvt_f64_f32_e32 v[5:6], v5
	s_mov_b64 s[0:1], 0
	global_store_b64 v[7:8], v[5:6], off
	v_lshlrev_b64 v[2:3], 3, v[2:3]
	s_cbranch_execz .LBB168_62
; %bb.60:
	v_dual_mov_b32 v5, s1 :: v_dual_mov_b32 v4, s0
	s_branch .LBB168_63
.LBB168_61:
                                        ; implicit-def: $sgpr0_sgpr1
	v_lshlrev_b64 v[2:3], 3, v[2:3]
.LBB168_62:
	v_add_co_u32 v5, vcc_lo, v16, v0
	v_add_co_ci_u32_e32 v6, vcc_lo, v17, v1, vcc_lo
	flat_load_b64 v[5:6], v[5:6]
	s_waitcnt vmcnt(0) lgkmcnt(0)
	v_mul_f64 v[5:6], s[8:9], v[5:6]
	s_delay_alu instid0(VALU_DEP_1)
	v_cvt_f32_f64_e32 v5, v[5:6]
	v_add_co_u32 v6, vcc_lo, v19, v0
	v_add_co_ci_u32_e32 v7, vcc_lo, v20, v1, vcc_lo
	v_add_co_u32 v8, vcc_lo, v16, v2
	v_add_co_ci_u32_e32 v9, vcc_lo, v17, v3, vcc_lo
	v_min_f32_e32 v4, v5, v4
	s_delay_alu instid0(VALU_DEP_1)
	v_cvt_f64_f32_e32 v[4:5], v4
	global_store_b64 v[6:7], v[4:5], off
	flat_load_b64 v[4:5], v[8:9]
	s_waitcnt vmcnt(0) lgkmcnt(0)
	v_mul_f64 v[4:5], s[8:9], v[4:5]
.LBB168_63:
	s_delay_alu instid0(VALU_DEP_1) | instskip(SKIP_4) | instid1(VALU_DEP_3)
	v_cvt_f32_f64_e32 v4, v[4:5]
	v_dual_max_f32 v5, v140, v140 :: v_dual_max_f32 v8, v139, v139
	v_add_nc_u32_e32 v6, 24, v12
	v_add_co_u32 v13, vcc_lo, v19, v2
	v_add_co_ci_u32_e32 v14, vcc_lo, v20, v3, vcc_lo
	v_ashrrev_i32_e32 v7, 31, v6
	s_mov_b32 vcc_lo, s2
	v_min_f32_e32 v4, v4, v5
	s_delay_alu instid0(VALU_DEP_1) | instskip(SKIP_1) | instid1(VALU_DEP_1)
	v_cvt_f64_f32_e32 v[9:10], v4
	v_add_nc_u32_e32 v4, 16, v12
	v_ashrrev_i32_e32 v5, 31, v4
	s_delay_alu instid0(VALU_DEP_1)
	v_lshlrev_b64 v[4:5], 3, v[4:5]
	global_store_b64 v[13:14], v[9:10], off
	s_cbranch_vccz .LBB168_66
; %bb.64:
	v_min_f32_e32 v9, 0, v8
	v_add_co_u32 v13, vcc_lo, v19, v4
	v_add_co_ci_u32_e32 v14, vcc_lo, v20, v5, vcc_lo
	s_delay_alu instid0(VALU_DEP_3)
	v_cvt_f64_f32_e32 v[9:10], v9
	s_mov_b64 s[0:1], 0
	global_store_b64 v[13:14], v[9:10], off
	v_lshlrev_b64 v[6:7], 3, v[6:7]
	s_cbranch_execz .LBB168_67
; %bb.65:
	v_dual_mov_b32 v9, s1 :: v_dual_mov_b32 v8, s0
	s_branch .LBB168_68
.LBB168_66:
                                        ; implicit-def: $sgpr0_sgpr1
	v_lshlrev_b64 v[6:7], 3, v[6:7]
.LBB168_67:
	v_add_co_u32 v9, vcc_lo, v16, v4
	v_add_co_ci_u32_e32 v10, vcc_lo, v17, v5, vcc_lo
	flat_load_b64 v[9:10], v[9:10]
	s_waitcnt vmcnt(0) lgkmcnt(0)
	v_mul_f64 v[9:10], s[8:9], v[9:10]
	s_delay_alu instid0(VALU_DEP_1)
	v_cvt_f32_f64_e32 v9, v[9:10]
	v_add_co_u32 v10, vcc_lo, v19, v4
	v_add_co_ci_u32_e32 v11, vcc_lo, v20, v5, vcc_lo
	v_add_co_u32 v13, vcc_lo, v16, v6
	v_add_co_ci_u32_e32 v14, vcc_lo, v17, v7, vcc_lo
	v_min_f32_e32 v8, v9, v8
	s_delay_alu instid0(VALU_DEP_1)
	v_cvt_f64_f32_e32 v[8:9], v8
	global_store_b64 v[10:11], v[8:9], off
	flat_load_b64 v[8:9], v[13:14]
	s_waitcnt vmcnt(0) lgkmcnt(0)
	v_mul_f64 v[8:9], s[8:9], v[8:9]
.LBB168_68:
	s_delay_alu instid0(VALU_DEP_1) | instskip(SKIP_4) | instid1(VALU_DEP_4)
	v_cvt_f32_f64_e32 v8, v[8:9]
	v_dual_max_f32 v9, v138, v138 :: v_dual_add_nc_u32 v10, 40, v12
	v_max_f32_e32 v13, v137, v137
	v_add_co_u32 v21, vcc_lo, v19, v6
	v_add_co_ci_u32_e32 v22, vcc_lo, v20, v7, vcc_lo
	v_ashrrev_i32_e32 v11, 31, v10
	s_mov_b32 vcc_lo, s2
	v_min_f32_e32 v8, v8, v9
	s_delay_alu instid0(VALU_DEP_1) | instskip(SKIP_1) | instid1(VALU_DEP_1)
	v_cvt_f64_f32_e32 v[14:15], v8
	v_add_nc_u32_e32 v8, 32, v12
	v_ashrrev_i32_e32 v9, 31, v8
	s_delay_alu instid0(VALU_DEP_1)
	v_lshlrev_b64 v[8:9], 3, v[8:9]
	global_store_b64 v[21:22], v[14:15], off
	s_cbranch_vccz .LBB168_71
; %bb.69:
	v_min_f32_e32 v14, 0, v13
	v_add_co_u32 v21, vcc_lo, v19, v8
	v_add_co_ci_u32_e32 v22, vcc_lo, v20, v9, vcc_lo
	s_delay_alu instid0(VALU_DEP_3)
	v_cvt_f64_f32_e32 v[14:15], v14
	s_mov_b64 s[0:1], 0
	global_store_b64 v[21:22], v[14:15], off
	v_lshlrev_b64 v[10:11], 3, v[10:11]
	s_cbranch_execz .LBB168_72
; %bb.70:
	v_dual_mov_b32 v14, s1 :: v_dual_mov_b32 v13, s0
	s_branch .LBB168_73
.LBB168_71:
                                        ; implicit-def: $sgpr0_sgpr1
	v_lshlrev_b64 v[10:11], 3, v[10:11]
.LBB168_72:
	v_add_co_u32 v14, vcc_lo, v16, v8
	v_add_co_ci_u32_e32 v15, vcc_lo, v17, v9, vcc_lo
	v_add_co_u32 v21, vcc_lo, v19, v8
	v_add_co_ci_u32_e32 v22, vcc_lo, v20, v9, vcc_lo
	flat_load_b64 v[14:15], v[14:15]
	v_add_co_u32 v23, vcc_lo, v16, v10
	v_add_co_ci_u32_e32 v24, vcc_lo, v17, v11, vcc_lo
	s_waitcnt vmcnt(0) lgkmcnt(0)
	v_mul_f64 v[14:15], s[8:9], v[14:15]
	s_delay_alu instid0(VALU_DEP_1) | instskip(NEXT) | instid1(VALU_DEP_1)
	v_cvt_f32_f64_e32 v14, v[14:15]
	v_min_f32_e32 v13, v14, v13
	s_delay_alu instid0(VALU_DEP_1)
	v_cvt_f64_f32_e32 v[13:14], v13
	global_store_b64 v[21:22], v[13:14], off
	flat_load_b64 v[13:14], v[23:24]
	s_waitcnt vmcnt(0) lgkmcnt(0)
	v_mul_f64 v[13:14], s[8:9], v[13:14]
.LBB168_73:
	s_delay_alu instid0(VALU_DEP_1)
	v_cvt_f32_f64_e32 v13, v[13:14]
	v_dual_max_f32 v14, v136, v136 :: v_dual_max_f32 v21, v135, v135
	v_add_co_u32 v26, vcc_lo, v19, v10
	v_add_co_ci_u32_e32 v27, vcc_lo, v20, v11, vcc_lo
	s_mov_b32 vcc_lo, s2
	v_add_nc_u32_e32 v24, 48, v12
	s_delay_alu instid0(VALU_DEP_1) | instskip(SKIP_1) | instid1(VALU_DEP_1)
	v_ashrrev_i32_e32 v25, 31, v24
	v_dual_min_f32 v13, v13, v14 :: v_dual_add_nc_u32 v14, 56, v12
	v_cvt_f64_f32_e32 v[22:23], v13
	s_delay_alu instid0(VALU_DEP_2) | instskip(NEXT) | instid1(VALU_DEP_4)
	v_ashrrev_i32_e32 v15, 31, v14
	v_lshlrev_b64 v[12:13], 3, v[24:25]
	global_store_b64 v[26:27], v[22:23], off
	s_cbranch_vccz .LBB168_76
; %bb.74:
	v_min_f32_e32 v22, 0, v21
	v_add_co_u32 v24, vcc_lo, v19, v12
	v_add_co_ci_u32_e32 v25, vcc_lo, v20, v13, vcc_lo
	s_delay_alu instid0(VALU_DEP_3)
	v_cvt_f64_f32_e32 v[22:23], v22
	s_mov_b64 s[0:1], 0
	global_store_b64 v[24:25], v[22:23], off
	v_lshlrev_b64 v[14:15], 3, v[14:15]
	s_cbranch_execz .LBB168_77
; %bb.75:
	v_dual_mov_b32 v17, s1 :: v_dual_mov_b32 v16, s0
	s_branch .LBB168_78
.LBB168_76:
                                        ; implicit-def: $sgpr0_sgpr1
	v_lshlrev_b64 v[14:15], 3, v[14:15]
.LBB168_77:
	v_add_co_u32 v22, vcc_lo, v16, v12
	v_add_co_ci_u32_e32 v23, vcc_lo, v17, v13, vcc_lo
	flat_load_b64 v[22:23], v[22:23]
	s_waitcnt vmcnt(0) lgkmcnt(0)
	v_mul_f64 v[22:23], s[8:9], v[22:23]
	s_delay_alu instid0(VALU_DEP_1)
	v_cvt_f32_f64_e32 v22, v[22:23]
	v_add_co_u32 v23, vcc_lo, v19, v12
	v_add_co_ci_u32_e32 v24, vcc_lo, v20, v13, vcc_lo
	v_add_co_u32 v16, vcc_lo, v16, v14
	v_add_co_ci_u32_e32 v17, vcc_lo, v17, v15, vcc_lo
	v_min_f32_e32 v21, v22, v21
	s_delay_alu instid0(VALU_DEP_1)
	v_cvt_f64_f32_e32 v[21:22], v21
	global_store_b64 v[23:24], v[21:22], off
	flat_load_b64 v[16:17], v[16:17]
	s_waitcnt vmcnt(0) lgkmcnt(0)
	v_mul_f64 v[16:17], s[8:9], v[16:17]
.LBB168_78:
	s_delay_alu instid0(VALU_DEP_1) | instskip(SKIP_4) | instid1(VALU_DEP_1)
	v_cvt_f32_f64_e32 v16, v[16:17]
	v_max_f32_e32 v17, v132, v132
	v_add_co_u32 v27, vcc_lo, v19, v14
	v_add_co_ci_u32_e32 v28, vcc_lo, v20, v15, vcc_lo
	v_add_nc_u32_e32 v25, 32, v18
	v_mad_i64_i32 v[21:22], null, v25, s3, 0
	s_delay_alu instid0(VALU_DEP_1) | instskip(SKIP_1) | instid1(VALU_DEP_1)
	v_lshlrev_b64 v[21:22], 3, v[21:22]
	v_min_f32_e32 v16, v16, v17
	v_cvt_f64_f32_e32 v[23:24], v16
	v_mad_i64_i32 v[16:17], null, v25, s4, 0
	s_delay_alu instid0(VALU_DEP_1) | instskip(SKIP_1) | instid1(VALU_DEP_2)
	v_lshlrev_b64 v[25:26], 3, v[16:17]
	v_max_f32_e32 v16, v80, v80
	v_add_co_u32 v19, vcc_lo, s5, v25
	s_delay_alu instid0(VALU_DEP_3)
	v_add_co_ci_u32_e32 v20, vcc_lo, s6, v26, vcc_lo
	v_add_co_u32 v21, vcc_lo, s10, v21
	v_add_co_ci_u32_e32 v22, vcc_lo, s11, v22, vcc_lo
	s_mov_b32 vcc_lo, s2
	global_store_b64 v[27:28], v[23:24], off
	s_cbranch_vccz .LBB168_81
; %bb.79:
	v_min_f32_e32 v17, 0, v16
	v_add_co_u32 v25, vcc_lo, v19, v0
	v_add_co_ci_u32_e32 v26, vcc_lo, v20, v1, vcc_lo
	s_delay_alu instid0(VALU_DEP_3)
	v_cvt_f64_f32_e32 v[23:24], v17
	s_mov_b64 s[0:1], 0
	global_store_b64 v[25:26], v[23:24], off
	s_cbranch_execz .LBB168_82
; %bb.80:
	v_dual_mov_b32 v17, s1 :: v_dual_mov_b32 v16, s0
	s_branch .LBB168_83
.LBB168_81:
                                        ; implicit-def: $sgpr0_sgpr1
.LBB168_82:
	v_add_co_u32 v23, vcc_lo, v21, v0
	v_add_co_ci_u32_e32 v24, vcc_lo, v22, v1, vcc_lo
	flat_load_b64 v[23:24], v[23:24]
	s_waitcnt vmcnt(0) lgkmcnt(0)
	v_mul_f64 v[23:24], s[8:9], v[23:24]
	s_delay_alu instid0(VALU_DEP_1)
	v_cvt_f32_f64_e32 v17, v[23:24]
	v_add_co_u32 v23, vcc_lo, v19, v0
	v_add_co_ci_u32_e32 v24, vcc_lo, v20, v1, vcc_lo
	v_add_co_u32 v25, vcc_lo, v21, v2
	v_add_co_ci_u32_e32 v26, vcc_lo, v22, v3, vcc_lo
	v_min_f32_e32 v16, v17, v16
	s_delay_alu instid0(VALU_DEP_1)
	v_cvt_f64_f32_e32 v[16:17], v16
	global_store_b64 v[23:24], v[16:17], off
	flat_load_b64 v[16:17], v[25:26]
	s_waitcnt vmcnt(0) lgkmcnt(0)
	v_mul_f64 v[16:17], s[8:9], v[16:17]
.LBB168_83:
	s_delay_alu instid0(VALU_DEP_1) | instskip(SKIP_4) | instid1(VALU_DEP_3)
	v_cvt_f32_f64_e32 v16, v[16:17]
	v_max_f32_e32 v17, v125, v125
	v_add_co_u32 v25, vcc_lo, v19, v2
	v_add_co_ci_u32_e32 v26, vcc_lo, v20, v3, vcc_lo
	s_mov_b32 vcc_lo, s2
	v_min_f32_e32 v16, v16, v17
	s_delay_alu instid0(VALU_DEP_1)
	v_cvt_f64_f32_e32 v[23:24], v16
	v_max_f32_e32 v16, v197, v197
	global_store_b64 v[25:26], v[23:24], off
	s_cbranch_vccz .LBB168_86
; %bb.84:
	v_min_f32_e32 v17, 0, v16
	v_add_co_u32 v25, vcc_lo, v19, v4
	v_add_co_ci_u32_e32 v26, vcc_lo, v20, v5, vcc_lo
	s_delay_alu instid0(VALU_DEP_3)
	v_cvt_f64_f32_e32 v[23:24], v17
	s_mov_b64 s[0:1], 0
	global_store_b64 v[25:26], v[23:24], off
	s_cbranch_execz .LBB168_87
; %bb.85:
	v_dual_mov_b32 v17, s1 :: v_dual_mov_b32 v16, s0
	s_branch .LBB168_88
.LBB168_86:
                                        ; implicit-def: $sgpr0_sgpr1
.LBB168_87:
	v_add_co_u32 v23, vcc_lo, v21, v4
	v_add_co_ci_u32_e32 v24, vcc_lo, v22, v5, vcc_lo
	flat_load_b64 v[23:24], v[23:24]
	s_waitcnt vmcnt(0) lgkmcnt(0)
	v_mul_f64 v[23:24], s[8:9], v[23:24]
	s_delay_alu instid0(VALU_DEP_1)
	v_cvt_f32_f64_e32 v17, v[23:24]
	v_add_co_u32 v23, vcc_lo, v19, v4
	v_add_co_ci_u32_e32 v24, vcc_lo, v20, v5, vcc_lo
	v_add_co_u32 v25, vcc_lo, v21, v6
	v_add_co_ci_u32_e32 v26, vcc_lo, v22, v7, vcc_lo
	v_min_f32_e32 v16, v17, v16
	s_delay_alu instid0(VALU_DEP_1)
	v_cvt_f64_f32_e32 v[16:17], v16
	global_store_b64 v[23:24], v[16:17], off
	flat_load_b64 v[16:17], v[25:26]
	s_waitcnt vmcnt(0) lgkmcnt(0)
	v_mul_f64 v[16:17], s[8:9], v[16:17]
.LBB168_88:
	s_delay_alu instid0(VALU_DEP_1) | instskip(SKIP_4) | instid1(VALU_DEP_3)
	v_cvt_f32_f64_e32 v16, v[16:17]
	v_max_f32_e32 v17, v123, v123
	v_add_co_u32 v25, vcc_lo, v19, v6
	v_add_co_ci_u32_e32 v26, vcc_lo, v20, v7, vcc_lo
	s_mov_b32 vcc_lo, s2
	v_min_f32_e32 v16, v16, v17
	s_delay_alu instid0(VALU_DEP_1)
	v_cvt_f64_f32_e32 v[23:24], v16
	v_max_f32_e32 v16, v77, v77
	;; [unrolled: 46-line block ×3, first 2 shown]
	global_store_b64 v[25:26], v[23:24], off
	s_cbranch_vccz .LBB168_96
; %bb.94:
	v_min_f32_e32 v17, 0, v16
	v_add_co_u32 v25, vcc_lo, v19, v12
	v_add_co_ci_u32_e32 v26, vcc_lo, v20, v13, vcc_lo
	s_delay_alu instid0(VALU_DEP_3)
	v_cvt_f64_f32_e32 v[23:24], v17
	s_mov_b64 s[0:1], 0
	global_store_b64 v[25:26], v[23:24], off
	s_cbranch_execz .LBB168_97
; %bb.95:
	v_dual_mov_b32 v17, s1 :: v_dual_mov_b32 v16, s0
	s_branch .LBB168_98
.LBB168_96:
                                        ; implicit-def: $sgpr0_sgpr1
.LBB168_97:
	v_add_co_u32 v23, vcc_lo, v21, v12
	v_add_co_ci_u32_e32 v24, vcc_lo, v22, v13, vcc_lo
	flat_load_b64 v[23:24], v[23:24]
	s_waitcnt vmcnt(0) lgkmcnt(0)
	v_mul_f64 v[23:24], s[8:9], v[23:24]
	s_delay_alu instid0(VALU_DEP_1)
	v_cvt_f32_f64_e32 v17, v[23:24]
	v_add_co_u32 v23, vcc_lo, v19, v12
	v_add_co_ci_u32_e32 v24, vcc_lo, v20, v13, vcc_lo
	v_add_co_u32 v21, vcc_lo, v21, v14
	v_add_co_ci_u32_e32 v22, vcc_lo, v22, v15, vcc_lo
	v_min_f32_e32 v16, v17, v16
	s_delay_alu instid0(VALU_DEP_1)
	v_cvt_f64_f32_e32 v[16:17], v16
	global_store_b64 v[23:24], v[16:17], off
	flat_load_b64 v[16:17], v[21:22]
	s_waitcnt vmcnt(0) lgkmcnt(0)
	v_mul_f64 v[16:17], s[8:9], v[16:17]
.LBB168_98:
	s_delay_alu instid0(VALU_DEP_1) | instskip(SKIP_4) | instid1(VALU_DEP_1)
	v_cvt_f32_f64_e32 v16, v[16:17]
	v_max_f32_e32 v17, v100, v100
	v_add_co_u32 v27, vcc_lo, v19, v14
	v_add_co_ci_u32_e32 v28, vcc_lo, v20, v15, vcc_lo
	v_add_nc_u32_e32 v25, 64, v18
	v_mad_i64_i32 v[21:22], null, v25, s3, 0
	s_delay_alu instid0(VALU_DEP_1) | instskip(SKIP_1) | instid1(VALU_DEP_1)
	v_lshlrev_b64 v[21:22], 3, v[21:22]
	v_min_f32_e32 v16, v16, v17
	v_cvt_f64_f32_e32 v[23:24], v16
	v_mad_i64_i32 v[16:17], null, v25, s4, 0
	s_delay_alu instid0(VALU_DEP_1) | instskip(SKIP_1) | instid1(VALU_DEP_2)
	v_lshlrev_b64 v[25:26], 3, v[16:17]
	v_max_f32_e32 v16, v110, v110
	v_add_co_u32 v19, vcc_lo, s5, v25
	s_delay_alu instid0(VALU_DEP_3)
	v_add_co_ci_u32_e32 v20, vcc_lo, s6, v26, vcc_lo
	v_add_co_u32 v21, vcc_lo, s10, v21
	v_add_co_ci_u32_e32 v22, vcc_lo, s11, v22, vcc_lo
	s_mov_b32 vcc_lo, s2
	global_store_b64 v[27:28], v[23:24], off
	s_cbranch_vccz .LBB168_101
; %bb.99:
	v_min_f32_e32 v17, 0, v16
	v_add_co_u32 v25, vcc_lo, v19, v0
	v_add_co_ci_u32_e32 v26, vcc_lo, v20, v1, vcc_lo
	s_delay_alu instid0(VALU_DEP_3)
	v_cvt_f64_f32_e32 v[23:24], v17
	s_mov_b64 s[0:1], 0
	global_store_b64 v[25:26], v[23:24], off
	s_cbranch_execz .LBB168_102
; %bb.100:
	v_dual_mov_b32 v17, s1 :: v_dual_mov_b32 v16, s0
	s_branch .LBB168_103
.LBB168_101:
                                        ; implicit-def: $sgpr0_sgpr1
.LBB168_102:
	v_add_co_u32 v23, vcc_lo, v21, v0
	v_add_co_ci_u32_e32 v24, vcc_lo, v22, v1, vcc_lo
	flat_load_b64 v[23:24], v[23:24]
	s_waitcnt vmcnt(0) lgkmcnt(0)
	v_mul_f64 v[23:24], s[8:9], v[23:24]
	s_delay_alu instid0(VALU_DEP_1)
	v_cvt_f32_f64_e32 v17, v[23:24]
	v_add_co_u32 v23, vcc_lo, v19, v0
	v_add_co_ci_u32_e32 v24, vcc_lo, v20, v1, vcc_lo
	v_add_co_u32 v25, vcc_lo, v21, v2
	v_add_co_ci_u32_e32 v26, vcc_lo, v22, v3, vcc_lo
	v_min_f32_e32 v16, v17, v16
	s_delay_alu instid0(VALU_DEP_1)
	v_cvt_f64_f32_e32 v[16:17], v16
	global_store_b64 v[23:24], v[16:17], off
	flat_load_b64 v[16:17], v[25:26]
	s_waitcnt vmcnt(0) lgkmcnt(0)
	v_mul_f64 v[16:17], s[8:9], v[16:17]
.LBB168_103:
	s_delay_alu instid0(VALU_DEP_1) | instskip(SKIP_4) | instid1(VALU_DEP_3)
	v_cvt_f32_f64_e32 v16, v[16:17]
	v_max_f32_e32 v17, v41, v41
	v_add_co_u32 v25, vcc_lo, v19, v2
	v_add_co_ci_u32_e32 v26, vcc_lo, v20, v3, vcc_lo
	s_mov_b32 vcc_lo, s2
	v_min_f32_e32 v16, v16, v17
	s_delay_alu instid0(VALU_DEP_1)
	v_cvt_f64_f32_e32 v[23:24], v16
	v_max_f32_e32 v16, v106, v106
	global_store_b64 v[25:26], v[23:24], off
	s_cbranch_vccz .LBB168_106
; %bb.104:
	v_min_f32_e32 v17, 0, v16
	v_add_co_u32 v25, vcc_lo, v19, v4
	v_add_co_ci_u32_e32 v26, vcc_lo, v20, v5, vcc_lo
	s_delay_alu instid0(VALU_DEP_3)
	v_cvt_f64_f32_e32 v[23:24], v17
	s_mov_b64 s[0:1], 0
	global_store_b64 v[25:26], v[23:24], off
	v_mov_b32_e32 v40, v101
	s_cbranch_execz .LBB168_107
; %bb.105:
	v_dual_mov_b32 v17, s1 :: v_dual_mov_b32 v16, s0
	s_branch .LBB168_108
.LBB168_106:
                                        ; implicit-def: $sgpr0_sgpr1
	v_mov_b32_e32 v40, v101
.LBB168_107:
	v_add_co_u32 v23, vcc_lo, v21, v4
	v_add_co_ci_u32_e32 v24, vcc_lo, v22, v5, vcc_lo
	flat_load_b64 v[23:24], v[23:24]
	s_waitcnt vmcnt(0) lgkmcnt(0)
	v_mul_f64 v[23:24], s[8:9], v[23:24]
	s_delay_alu instid0(VALU_DEP_1)
	v_cvt_f32_f64_e32 v17, v[23:24]
	v_add_co_u32 v23, vcc_lo, v19, v4
	v_add_co_ci_u32_e32 v24, vcc_lo, v20, v5, vcc_lo
	v_add_co_u32 v25, vcc_lo, v21, v6
	v_add_co_ci_u32_e32 v26, vcc_lo, v22, v7, vcc_lo
	v_min_f32_e32 v16, v17, v16
	s_delay_alu instid0(VALU_DEP_1)
	v_cvt_f64_f32_e32 v[16:17], v16
	global_store_b64 v[23:24], v[16:17], off
	flat_load_b64 v[16:17], v[25:26]
	s_waitcnt vmcnt(0) lgkmcnt(0)
	v_mul_f64 v[16:17], s[8:9], v[16:17]
.LBB168_108:
	s_delay_alu instid0(VALU_DEP_1) | instskip(SKIP_4) | instid1(VALU_DEP_3)
	v_cvt_f32_f64_e32 v16, v[16:17]
	v_max_f32_e32 v17, v65, v65
	v_add_co_u32 v25, vcc_lo, v19, v6
	v_add_co_ci_u32_e32 v26, vcc_lo, v20, v7, vcc_lo
	s_mov_b32 vcc_lo, s2
	v_min_f32_e32 v16, v16, v17
	s_delay_alu instid0(VALU_DEP_1)
	v_cvt_f64_f32_e32 v[23:24], v16
	v_max_f32_e32 v16, v95, v95
	global_store_b64 v[25:26], v[23:24], off
	s_cbranch_vccz .LBB168_111
; %bb.109:
	v_min_f32_e32 v17, 0, v16
	v_add_co_u32 v25, vcc_lo, v19, v8
	v_add_co_ci_u32_e32 v26, vcc_lo, v20, v9, vcc_lo
	s_delay_alu instid0(VALU_DEP_3)
	v_cvt_f64_f32_e32 v[23:24], v17
	s_mov_b64 s[0:1], 0
	global_store_b64 v[25:26], v[23:24], off
	s_cbranch_execz .LBB168_112
; %bb.110:
	v_dual_mov_b32 v17, s1 :: v_dual_mov_b32 v16, s0
	s_branch .LBB168_113
.LBB168_111:
                                        ; implicit-def: $sgpr0_sgpr1
.LBB168_112:
	v_add_co_u32 v23, vcc_lo, v21, v8
	v_add_co_ci_u32_e32 v24, vcc_lo, v22, v9, vcc_lo
	flat_load_b64 v[23:24], v[23:24]
	s_waitcnt vmcnt(0) lgkmcnt(0)
	v_mul_f64 v[23:24], s[8:9], v[23:24]
	s_delay_alu instid0(VALU_DEP_1)
	v_cvt_f32_f64_e32 v17, v[23:24]
	v_add_co_u32 v23, vcc_lo, v19, v8
	v_add_co_ci_u32_e32 v24, vcc_lo, v20, v9, vcc_lo
	v_add_co_u32 v25, vcc_lo, v21, v10
	v_add_co_ci_u32_e32 v26, vcc_lo, v22, v11, vcc_lo
	v_min_f32_e32 v16, v17, v16
	s_delay_alu instid0(VALU_DEP_1)
	v_cvt_f64_f32_e32 v[16:17], v16
	global_store_b64 v[23:24], v[16:17], off
	flat_load_b64 v[16:17], v[25:26]
	s_waitcnt vmcnt(0) lgkmcnt(0)
	v_mul_f64 v[16:17], s[8:9], v[16:17]
.LBB168_113:
	s_delay_alu instid0(VALU_DEP_1) | instskip(SKIP_4) | instid1(VALU_DEP_3)
	v_cvt_f32_f64_e32 v16, v[16:17]
	v_max_f32_e32 v17, v39, v39
	v_add_co_u32 v25, vcc_lo, v19, v10
	v_add_co_ci_u32_e32 v26, vcc_lo, v20, v11, vcc_lo
	s_mov_b32 vcc_lo, s2
	v_min_f32_e32 v16, v16, v17
	s_delay_alu instid0(VALU_DEP_1)
	v_cvt_f64_f32_e32 v[23:24], v16
	v_max_f32_e32 v16, v104, v104
	global_store_b64 v[25:26], v[23:24], off
	s_cbranch_vccz .LBB168_116
; %bb.114:
	v_min_f32_e32 v17, 0, v16
	v_add_co_u32 v25, vcc_lo, v19, v12
	v_add_co_ci_u32_e32 v26, vcc_lo, v20, v13, vcc_lo
	s_delay_alu instid0(VALU_DEP_3)
	v_cvt_f64_f32_e32 v[23:24], v17
	s_mov_b64 s[0:1], 0
	global_store_b64 v[25:26], v[23:24], off
	v_mov_b32_e32 v38, v111
	s_cbranch_execz .LBB168_117
; %bb.115:
	v_dual_mov_b32 v17, s1 :: v_dual_mov_b32 v16, s0
	s_branch .LBB168_118
.LBB168_116:
                                        ; implicit-def: $sgpr0_sgpr1
	v_mov_b32_e32 v38, v111
.LBB168_117:
	v_add_co_u32 v23, vcc_lo, v21, v12
	v_add_co_ci_u32_e32 v24, vcc_lo, v22, v13, vcc_lo
	flat_load_b64 v[23:24], v[23:24]
	s_waitcnt vmcnt(0) lgkmcnt(0)
	v_mul_f64 v[23:24], s[8:9], v[23:24]
	s_delay_alu instid0(VALU_DEP_1)
	v_cvt_f32_f64_e32 v17, v[23:24]
	v_add_co_u32 v23, vcc_lo, v19, v12
	v_add_co_ci_u32_e32 v24, vcc_lo, v20, v13, vcc_lo
	v_add_co_u32 v21, vcc_lo, v21, v14
	v_add_co_ci_u32_e32 v22, vcc_lo, v22, v15, vcc_lo
	v_min_f32_e32 v16, v17, v16
	s_delay_alu instid0(VALU_DEP_1)
	v_cvt_f64_f32_e32 v[16:17], v16
	global_store_b64 v[23:24], v[16:17], off
	flat_load_b64 v[16:17], v[21:22]
	s_waitcnt vmcnt(0) lgkmcnt(0)
	v_mul_f64 v[16:17], s[8:9], v[16:17]
.LBB168_118:
	s_delay_alu instid0(VALU_DEP_1) | instskip(SKIP_4) | instid1(VALU_DEP_1)
	v_cvt_f32_f64_e32 v16, v[16:17]
	v_max_f32_e32 v17, v242, v242
	v_add_co_u32 v27, vcc_lo, v19, v14
	v_add_co_ci_u32_e32 v28, vcc_lo, v20, v15, vcc_lo
	v_add_nc_u32_e32 v25, 0x60, v18
	v_mad_i64_i32 v[21:22], null, v25, s3, 0
	s_delay_alu instid0(VALU_DEP_1) | instskip(SKIP_1) | instid1(VALU_DEP_1)
	v_lshlrev_b64 v[21:22], 3, v[21:22]
	v_min_f32_e32 v16, v16, v17
	v_cvt_f64_f32_e32 v[23:24], v16
	v_mad_i64_i32 v[16:17], null, v25, s4, 0
	s_delay_alu instid0(VALU_DEP_1) | instskip(SKIP_1) | instid1(VALU_DEP_2)
	v_lshlrev_b64 v[25:26], 3, v[16:17]
	v_max_f32_e32 v16, v98, v98
	v_add_co_u32 v19, vcc_lo, s5, v25
	s_delay_alu instid0(VALU_DEP_3)
	v_add_co_ci_u32_e32 v20, vcc_lo, s6, v26, vcc_lo
	v_add_co_u32 v21, vcc_lo, s10, v21
	v_add_co_ci_u32_e32 v22, vcc_lo, s11, v22, vcc_lo
	s_mov_b32 vcc_lo, s2
	global_store_b64 v[27:28], v[23:24], off
	s_cbranch_vccz .LBB168_121
; %bb.119:
	v_min_f32_e32 v17, 0, v16
	v_add_co_u32 v25, vcc_lo, v19, v0
	v_add_co_ci_u32_e32 v26, vcc_lo, v20, v1, vcc_lo
	s_delay_alu instid0(VALU_DEP_3)
	v_cvt_f64_f32_e32 v[23:24], v17
	s_mov_b64 s[0:1], 0
	global_store_b64 v[25:26], v[23:24], off
	s_cbranch_execz .LBB168_122
; %bb.120:
	v_dual_mov_b32 v17, s1 :: v_dual_mov_b32 v16, s0
	s_branch .LBB168_123
.LBB168_121:
                                        ; implicit-def: $sgpr0_sgpr1
.LBB168_122:
	v_add_co_u32 v23, vcc_lo, v21, v0
	v_add_co_ci_u32_e32 v24, vcc_lo, v22, v1, vcc_lo
	flat_load_b64 v[23:24], v[23:24]
	s_waitcnt vmcnt(0) lgkmcnt(0)
	v_mul_f64 v[23:24], s[8:9], v[23:24]
	s_delay_alu instid0(VALU_DEP_1)
	v_cvt_f32_f64_e32 v17, v[23:24]
	v_add_co_u32 v23, vcc_lo, v19, v0
	v_add_co_ci_u32_e32 v24, vcc_lo, v20, v1, vcc_lo
	v_add_co_u32 v25, vcc_lo, v21, v2
	v_add_co_ci_u32_e32 v26, vcc_lo, v22, v3, vcc_lo
	v_min_f32_e32 v16, v17, v16
	s_delay_alu instid0(VALU_DEP_1)
	v_cvt_f64_f32_e32 v[16:17], v16
	global_store_b64 v[23:24], v[16:17], off
	flat_load_b64 v[16:17], v[25:26]
	s_waitcnt vmcnt(0) lgkmcnt(0)
	v_mul_f64 v[16:17], s[8:9], v[16:17]
.LBB168_123:
	s_delay_alu instid0(VALU_DEP_1) | instskip(SKIP_4) | instid1(VALU_DEP_3)
	v_cvt_f32_f64_e32 v16, v[16:17]
	v_max_f32_e32 v17, v99, v99
	v_add_co_u32 v25, vcc_lo, v19, v2
	v_add_co_ci_u32_e32 v26, vcc_lo, v20, v3, vcc_lo
	s_mov_b32 vcc_lo, s2
	v_min_f32_e32 v16, v16, v17
	s_delay_alu instid0(VALU_DEP_1)
	v_cvt_f64_f32_e32 v[23:24], v16
	v_max_f32_e32 v16, v108, v108
	global_store_b64 v[25:26], v[23:24], off
	s_cbranch_vccz .LBB168_126
; %bb.124:
	v_min_f32_e32 v17, 0, v16
	v_add_co_u32 v25, vcc_lo, v19, v4
	v_add_co_ci_u32_e32 v26, vcc_lo, v20, v5, vcc_lo
	s_delay_alu instid0(VALU_DEP_3)
	v_cvt_f64_f32_e32 v[23:24], v17
	s_mov_b64 s[0:1], 0
	global_store_b64 v[25:26], v[23:24], off
	s_cbranch_execz .LBB168_127
; %bb.125:
	v_dual_mov_b32 v17, s1 :: v_dual_mov_b32 v16, s0
	s_branch .LBB168_128
.LBB168_126:
                                        ; implicit-def: $sgpr0_sgpr1
.LBB168_127:
	v_add_co_u32 v23, vcc_lo, v21, v4
	v_add_co_ci_u32_e32 v24, vcc_lo, v22, v5, vcc_lo
	flat_load_b64 v[23:24], v[23:24]
	s_waitcnt vmcnt(0) lgkmcnt(0)
	v_mul_f64 v[23:24], s[8:9], v[23:24]
	s_delay_alu instid0(VALU_DEP_1)
	v_cvt_f32_f64_e32 v17, v[23:24]
	v_add_co_u32 v23, vcc_lo, v19, v4
	v_add_co_ci_u32_e32 v24, vcc_lo, v20, v5, vcc_lo
	v_add_co_u32 v25, vcc_lo, v21, v6
	v_add_co_ci_u32_e32 v26, vcc_lo, v22, v7, vcc_lo
	v_min_f32_e32 v16, v17, v16
	s_delay_alu instid0(VALU_DEP_1)
	v_cvt_f64_f32_e32 v[16:17], v16
	global_store_b64 v[23:24], v[16:17], off
	flat_load_b64 v[16:17], v[25:26]
	s_waitcnt vmcnt(0) lgkmcnt(0)
	v_mul_f64 v[16:17], s[8:9], v[16:17]
.LBB168_128:
	s_delay_alu instid0(VALU_DEP_1) | instskip(SKIP_4) | instid1(VALU_DEP_3)
	v_cvt_f32_f64_e32 v16, v[16:17]
	v_max_f32_e32 v17, v103, v103
	v_add_co_u32 v25, vcc_lo, v19, v6
	v_add_co_ci_u32_e32 v26, vcc_lo, v20, v7, vcc_lo
	s_mov_b32 vcc_lo, s2
	v_min_f32_e32 v16, v16, v17
	s_delay_alu instid0(VALU_DEP_1)
	v_cvt_f64_f32_e32 v[23:24], v16
	v_max_f32_e32 v16, v37, v37
	;; [unrolled: 46-line block ×3, first 2 shown]
	global_store_b64 v[25:26], v[23:24], off
	s_cbranch_vccz .LBB168_136
; %bb.134:
	v_min_f32_e32 v17, 0, v16
	v_add_co_u32 v25, vcc_lo, v19, v12
	v_add_co_ci_u32_e32 v26, vcc_lo, v20, v13, vcc_lo
	s_delay_alu instid0(VALU_DEP_3)
	v_cvt_f64_f32_e32 v[23:24], v17
	s_mov_b64 s[0:1], 0
	global_store_b64 v[25:26], v[23:24], off
	s_cbranch_execz .LBB168_137
; %bb.135:
	v_dual_mov_b32 v17, s1 :: v_dual_mov_b32 v16, s0
	s_branch .LBB168_138
.LBB168_136:
                                        ; implicit-def: $sgpr0_sgpr1
.LBB168_137:
	v_add_co_u32 v23, vcc_lo, v21, v12
	v_add_co_ci_u32_e32 v24, vcc_lo, v22, v13, vcc_lo
	flat_load_b64 v[23:24], v[23:24]
	s_waitcnt vmcnt(0) lgkmcnt(0)
	v_mul_f64 v[23:24], s[8:9], v[23:24]
	s_delay_alu instid0(VALU_DEP_1)
	v_cvt_f32_f64_e32 v17, v[23:24]
	v_add_co_u32 v23, vcc_lo, v19, v12
	v_add_co_ci_u32_e32 v24, vcc_lo, v20, v13, vcc_lo
	v_add_co_u32 v21, vcc_lo, v21, v14
	v_add_co_ci_u32_e32 v22, vcc_lo, v22, v15, vcc_lo
	v_min_f32_e32 v16, v17, v16
	s_delay_alu instid0(VALU_DEP_1)
	v_cvt_f64_f32_e32 v[16:17], v16
	global_store_b64 v[23:24], v[16:17], off
	flat_load_b64 v[16:17], v[21:22]
	s_waitcnt vmcnt(0) lgkmcnt(0)
	v_mul_f64 v[16:17], s[8:9], v[16:17]
.LBB168_138:
	s_delay_alu instid0(VALU_DEP_1) | instskip(SKIP_4) | instid1(VALU_DEP_1)
	v_cvt_f32_f64_e32 v16, v[16:17]
	v_max_f32_e32 v17, v35, v35
	v_add_co_u32 v27, vcc_lo, v19, v14
	v_add_co_ci_u32_e32 v28, vcc_lo, v20, v15, vcc_lo
	v_add_nc_u32_e32 v25, 0x80, v18
	v_mad_i64_i32 v[21:22], null, v25, s3, 0
	s_delay_alu instid0(VALU_DEP_1) | instskip(SKIP_1) | instid1(VALU_DEP_1)
	v_lshlrev_b64 v[21:22], 3, v[21:22]
	v_min_f32_e32 v16, v16, v17
	v_cvt_f64_f32_e32 v[23:24], v16
	v_mad_i64_i32 v[16:17], null, v25, s4, 0
	s_delay_alu instid0(VALU_DEP_1) | instskip(SKIP_1) | instid1(VALU_DEP_2)
	v_lshlrev_b64 v[25:26], 3, v[16:17]
	v_max_f32_e32 v16, v56, v56
	v_add_co_u32 v19, vcc_lo, s5, v25
	s_delay_alu instid0(VALU_DEP_3)
	v_add_co_ci_u32_e32 v20, vcc_lo, s6, v26, vcc_lo
	v_add_co_u32 v21, vcc_lo, s10, v21
	v_add_co_ci_u32_e32 v22, vcc_lo, s11, v22, vcc_lo
	s_mov_b32 vcc_lo, s2
	global_store_b64 v[27:28], v[23:24], off
	s_cbranch_vccz .LBB168_141
; %bb.139:
	v_min_f32_e32 v17, 0, v16
	v_add_co_u32 v25, vcc_lo, v19, v0
	v_add_co_ci_u32_e32 v26, vcc_lo, v20, v1, vcc_lo
	s_delay_alu instid0(VALU_DEP_3)
	v_cvt_f64_f32_e32 v[23:24], v17
	s_mov_b64 s[0:1], 0
	global_store_b64 v[25:26], v[23:24], off
	s_cbranch_execz .LBB168_142
; %bb.140:
	v_dual_mov_b32 v17, s1 :: v_dual_mov_b32 v16, s0
	s_branch .LBB168_143
.LBB168_141:
                                        ; implicit-def: $sgpr0_sgpr1
.LBB168_142:
	v_add_co_u32 v23, vcc_lo, v21, v0
	v_add_co_ci_u32_e32 v24, vcc_lo, v22, v1, vcc_lo
	flat_load_b64 v[23:24], v[23:24]
	s_waitcnt vmcnt(0) lgkmcnt(0)
	v_mul_f64 v[23:24], s[8:9], v[23:24]
	s_delay_alu instid0(VALU_DEP_1)
	v_cvt_f32_f64_e32 v17, v[23:24]
	v_add_co_u32 v23, vcc_lo, v19, v0
	v_add_co_ci_u32_e32 v24, vcc_lo, v20, v1, vcc_lo
	v_add_co_u32 v25, vcc_lo, v21, v2
	v_add_co_ci_u32_e32 v26, vcc_lo, v22, v3, vcc_lo
	v_min_f32_e32 v16, v17, v16
	s_delay_alu instid0(VALU_DEP_1)
	v_cvt_f64_f32_e32 v[16:17], v16
	global_store_b64 v[23:24], v[16:17], off
	flat_load_b64 v[16:17], v[25:26]
	s_waitcnt vmcnt(0) lgkmcnt(0)
	v_mul_f64 v[16:17], s[8:9], v[16:17]
.LBB168_143:
	s_delay_alu instid0(VALU_DEP_1) | instskip(SKIP_4) | instid1(VALU_DEP_3)
	v_cvt_f32_f64_e32 v16, v[16:17]
	v_max_f32_e32 v17, v33, v33
	v_add_co_u32 v25, vcc_lo, v19, v2
	v_add_co_ci_u32_e32 v26, vcc_lo, v20, v3, vcc_lo
	s_mov_b32 vcc_lo, s2
	v_min_f32_e32 v16, v16, v17
	s_delay_alu instid0(VALU_DEP_1)
	v_cvt_f64_f32_e32 v[23:24], v16
	v_max_f32_e32 v16, v130, v130
	global_store_b64 v[25:26], v[23:24], off
	s_cbranch_vccz .LBB168_146
; %bb.144:
	v_min_f32_e32 v17, 0, v16
	v_add_co_u32 v25, vcc_lo, v19, v4
	v_add_co_ci_u32_e32 v26, vcc_lo, v20, v5, vcc_lo
	s_delay_alu instid0(VALU_DEP_3)
	v_cvt_f64_f32_e32 v[23:24], v17
	s_mov_b64 s[0:1], 0
	global_store_b64 v[25:26], v[23:24], off
	s_cbranch_execz .LBB168_147
; %bb.145:
	v_dual_mov_b32 v17, s1 :: v_dual_mov_b32 v16, s0
	s_branch .LBB168_148
.LBB168_146:
                                        ; implicit-def: $sgpr0_sgpr1
.LBB168_147:
	v_add_co_u32 v23, vcc_lo, v21, v4
	v_add_co_ci_u32_e32 v24, vcc_lo, v22, v5, vcc_lo
	flat_load_b64 v[23:24], v[23:24]
	s_waitcnt vmcnt(0) lgkmcnt(0)
	v_mul_f64 v[23:24], s[8:9], v[23:24]
	s_delay_alu instid0(VALU_DEP_1)
	v_cvt_f32_f64_e32 v17, v[23:24]
	v_add_co_u32 v23, vcc_lo, v19, v4
	v_add_co_ci_u32_e32 v24, vcc_lo, v20, v5, vcc_lo
	v_add_co_u32 v25, vcc_lo, v21, v6
	v_add_co_ci_u32_e32 v26, vcc_lo, v22, v7, vcc_lo
	v_min_f32_e32 v16, v17, v16
	s_delay_alu instid0(VALU_DEP_1)
	v_cvt_f64_f32_e32 v[16:17], v16
	global_store_b64 v[23:24], v[16:17], off
	flat_load_b64 v[16:17], v[25:26]
	s_waitcnt vmcnt(0) lgkmcnt(0)
	v_mul_f64 v[16:17], s[8:9], v[16:17]
.LBB168_148:
	s_delay_alu instid0(VALU_DEP_1) | instskip(SKIP_4) | instid1(VALU_DEP_3)
	v_cvt_f32_f64_e32 v16, v[16:17]
	v_max_f32_e32 v17, v31, v31
	v_add_co_u32 v25, vcc_lo, v19, v6
	v_add_co_ci_u32_e32 v26, vcc_lo, v20, v7, vcc_lo
	s_mov_b32 vcc_lo, s2
	v_min_f32_e32 v16, v16, v17
	s_delay_alu instid0(VALU_DEP_1)
	v_cvt_f64_f32_e32 v[23:24], v16
	v_max_f32_e32 v16, v81, v81
	global_store_b64 v[25:26], v[23:24], off
	s_cbranch_vccz .LBB168_151
; %bb.149:
	v_min_f32_e32 v17, 0, v16
	v_add_co_u32 v25, vcc_lo, v19, v8
	v_add_co_ci_u32_e32 v26, vcc_lo, v20, v9, vcc_lo
	s_delay_alu instid0(VALU_DEP_3)
	v_cvt_f64_f32_e32 v[23:24], v17
	s_mov_b64 s[0:1], 0
	global_store_b64 v[25:26], v[23:24], off
	s_cbranch_execz .LBB168_152
; %bb.150:
	v_dual_mov_b32 v17, s1 :: v_dual_mov_b32 v16, s0
	s_branch .LBB168_153
.LBB168_151:
                                        ; implicit-def: $sgpr0_sgpr1
.LBB168_152:
	v_add_co_u32 v23, vcc_lo, v21, v8
	v_add_co_ci_u32_e32 v24, vcc_lo, v22, v9, vcc_lo
	flat_load_b64 v[23:24], v[23:24]
	s_waitcnt vmcnt(0) lgkmcnt(0)
	v_mul_f64 v[23:24], s[8:9], v[23:24]
	s_delay_alu instid0(VALU_DEP_1)
	v_cvt_f32_f64_e32 v17, v[23:24]
	v_add_co_u32 v23, vcc_lo, v19, v8
	v_add_co_ci_u32_e32 v24, vcc_lo, v20, v9, vcc_lo
	v_add_co_u32 v25, vcc_lo, v21, v10
	v_add_co_ci_u32_e32 v26, vcc_lo, v22, v11, vcc_lo
	v_min_f32_e32 v16, v17, v16
	s_delay_alu instid0(VALU_DEP_1)
	v_cvt_f64_f32_e32 v[16:17], v16
	global_store_b64 v[23:24], v[16:17], off
	flat_load_b64 v[16:17], v[25:26]
	s_waitcnt vmcnt(0) lgkmcnt(0)
	v_mul_f64 v[16:17], s[8:9], v[16:17]
.LBB168_153:
	s_delay_alu instid0(VALU_DEP_1) | instskip(SKIP_4) | instid1(VALU_DEP_3)
	v_cvt_f32_f64_e32 v16, v[16:17]
	v_max_f32_e32 v17, v192, v192
	v_add_co_u32 v25, vcc_lo, v19, v10
	v_add_co_ci_u32_e32 v26, vcc_lo, v20, v11, vcc_lo
	s_mov_b32 vcc_lo, s2
	v_min_f32_e32 v16, v16, v17
	s_delay_alu instid0(VALU_DEP_1)
	v_cvt_f64_f32_e32 v[23:24], v16
	v_max_f32_e32 v16, v62, v62
	global_store_b64 v[25:26], v[23:24], off
	s_cbranch_vccz .LBB168_156
; %bb.154:
	v_min_f32_e32 v17, 0, v16
	v_add_co_u32 v25, vcc_lo, v19, v12
	v_add_co_ci_u32_e32 v26, vcc_lo, v20, v13, vcc_lo
	s_delay_alu instid0(VALU_DEP_3)
	v_cvt_f64_f32_e32 v[23:24], v17
	s_mov_b64 s[0:1], 0
	global_store_b64 v[25:26], v[23:24], off
	s_cbranch_execz .LBB168_157
; %bb.155:
	v_dual_mov_b32 v17, s1 :: v_dual_mov_b32 v16, s0
	s_branch .LBB168_158
.LBB168_156:
                                        ; implicit-def: $sgpr0_sgpr1
.LBB168_157:
	v_add_co_u32 v23, vcc_lo, v21, v12
	v_add_co_ci_u32_e32 v24, vcc_lo, v22, v13, vcc_lo
	flat_load_b64 v[23:24], v[23:24]
	s_waitcnt vmcnt(0) lgkmcnt(0)
	v_mul_f64 v[23:24], s[8:9], v[23:24]
	s_delay_alu instid0(VALU_DEP_1)
	v_cvt_f32_f64_e32 v17, v[23:24]
	v_add_co_u32 v23, vcc_lo, v19, v12
	v_add_co_ci_u32_e32 v24, vcc_lo, v20, v13, vcc_lo
	v_add_co_u32 v21, vcc_lo, v21, v14
	v_add_co_ci_u32_e32 v22, vcc_lo, v22, v15, vcc_lo
	v_min_f32_e32 v16, v17, v16
	s_delay_alu instid0(VALU_DEP_1)
	v_cvt_f64_f32_e32 v[16:17], v16
	global_store_b64 v[23:24], v[16:17], off
	flat_load_b64 v[16:17], v[21:22]
	s_waitcnt vmcnt(0) lgkmcnt(0)
	v_mul_f64 v[16:17], s[8:9], v[16:17]
.LBB168_158:
	s_delay_alu instid0(VALU_DEP_1) | instskip(SKIP_4) | instid1(VALU_DEP_1)
	v_cvt_f32_f64_e32 v16, v[16:17]
	v_max_f32_e32 v17, v243, v243
	v_add_co_u32 v27, vcc_lo, v19, v14
	v_add_co_ci_u32_e32 v28, vcc_lo, v20, v15, vcc_lo
	v_add_nc_u32_e32 v25, 0xa0, v18
	v_mad_i64_i32 v[21:22], null, v25, s3, 0
	s_delay_alu instid0(VALU_DEP_1) | instskip(SKIP_1) | instid1(VALU_DEP_1)
	v_lshlrev_b64 v[21:22], 3, v[21:22]
	v_min_f32_e32 v16, v16, v17
	v_cvt_f64_f32_e32 v[23:24], v16
	v_mad_i64_i32 v[16:17], null, v25, s4, 0
	s_delay_alu instid0(VALU_DEP_1) | instskip(SKIP_1) | instid1(VALU_DEP_2)
	v_lshlrev_b64 v[25:26], 3, v[16:17]
	v_max_f32_e32 v16, v238, v238
	v_add_co_u32 v19, vcc_lo, s5, v25
	s_delay_alu instid0(VALU_DEP_3)
	v_add_co_ci_u32_e32 v20, vcc_lo, s6, v26, vcc_lo
	v_add_co_u32 v21, vcc_lo, s10, v21
	v_add_co_ci_u32_e32 v22, vcc_lo, s11, v22, vcc_lo
	s_mov_b32 vcc_lo, s2
	global_store_b64 v[27:28], v[23:24], off
	s_cbranch_vccz .LBB168_161
; %bb.159:
	v_min_f32_e32 v17, 0, v16
	v_add_co_u32 v25, vcc_lo, v19, v0
	v_add_co_ci_u32_e32 v26, vcc_lo, v20, v1, vcc_lo
	s_delay_alu instid0(VALU_DEP_3)
	v_cvt_f64_f32_e32 v[23:24], v17
	s_mov_b64 s[0:1], 0
	global_store_b64 v[25:26], v[23:24], off
	s_cbranch_execz .LBB168_162
; %bb.160:
	v_dual_mov_b32 v17, s1 :: v_dual_mov_b32 v16, s0
	s_branch .LBB168_163
.LBB168_161:
                                        ; implicit-def: $sgpr0_sgpr1
.LBB168_162:
	v_add_co_u32 v23, vcc_lo, v21, v0
	v_add_co_ci_u32_e32 v24, vcc_lo, v22, v1, vcc_lo
	flat_load_b64 v[23:24], v[23:24]
	s_waitcnt vmcnt(0) lgkmcnt(0)
	v_mul_f64 v[23:24], s[8:9], v[23:24]
	s_delay_alu instid0(VALU_DEP_1)
	v_cvt_f32_f64_e32 v17, v[23:24]
	v_add_co_u32 v23, vcc_lo, v19, v0
	v_add_co_ci_u32_e32 v24, vcc_lo, v20, v1, vcc_lo
	v_add_co_u32 v25, vcc_lo, v21, v2
	v_add_co_ci_u32_e32 v26, vcc_lo, v22, v3, vcc_lo
	v_min_f32_e32 v16, v17, v16
	s_delay_alu instid0(VALU_DEP_1)
	v_cvt_f64_f32_e32 v[16:17], v16
	global_store_b64 v[23:24], v[16:17], off
	flat_load_b64 v[16:17], v[25:26]
	s_waitcnt vmcnt(0) lgkmcnt(0)
	v_mul_f64 v[16:17], s[8:9], v[16:17]
.LBB168_163:
	s_delay_alu instid0(VALU_DEP_1) | instskip(SKIP_4) | instid1(VALU_DEP_3)
	v_cvt_f32_f64_e32 v16, v[16:17]
	v_max_f32_e32 v17, v60, v60
	v_add_co_u32 v25, vcc_lo, v19, v2
	v_add_co_ci_u32_e32 v26, vcc_lo, v20, v3, vcc_lo
	s_mov_b32 vcc_lo, s2
	v_min_f32_e32 v16, v16, v17
	s_delay_alu instid0(VALU_DEP_1)
	v_cvt_f64_f32_e32 v[23:24], v16
	v_max_f32_e32 v16, v29, v29
	global_store_b64 v[25:26], v[23:24], off
	s_cbranch_vccz .LBB168_166
; %bb.164:
	v_min_f32_e32 v17, 0, v16
	v_add_co_u32 v25, vcc_lo, v19, v4
	v_add_co_ci_u32_e32 v26, vcc_lo, v20, v5, vcc_lo
	s_delay_alu instid0(VALU_DEP_3)
	v_cvt_f64_f32_e32 v[23:24], v17
	s_mov_b32 s0, 0
	global_store_b64 v[25:26], v[23:24], off
	s_cbranch_execz .LBB168_167
; %bb.165:
	v_mov_b32_e32 v16, s0
	s_branch .LBB168_168
.LBB168_166:
	s_mov_b32 s0, -1
.LBB168_167:
	v_add_co_u32 v23, vcc_lo, v21, v4
	v_add_co_ci_u32_e32 v24, vcc_lo, v22, v5, vcc_lo
	flat_load_b64 v[23:24], v[23:24]
	s_waitcnt vmcnt(0) lgkmcnt(0)
	v_mul_f64 v[23:24], s[8:9], v[23:24]
	s_delay_alu instid0(VALU_DEP_1)
	v_cvt_f32_f64_e32 v17, v[23:24]
	v_add_co_u32 v23, vcc_lo, v19, v4
	v_add_co_ci_u32_e32 v24, vcc_lo, v20, v5, vcc_lo
	v_add_co_u32 v25, vcc_lo, v21, v6
	v_add_co_ci_u32_e32 v26, vcc_lo, v22, v7, vcc_lo
	v_min_f32_e32 v16, v17, v16
	s_delay_alu instid0(VALU_DEP_1) | instskip(SKIP_4) | instid1(VALU_DEP_1)
	v_cvt_f64_f32_e32 v[16:17], v16
	global_store_b64 v[23:24], v[16:17], off
	flat_load_b64 v[16:17], v[25:26]
	s_waitcnt vmcnt(0) lgkmcnt(0)
	v_mul_f64 v[16:17], s[8:9], v[16:17]
	v_cvt_f32_f64_e32 v16, v[16:17]
.LBB168_168:
	s_delay_alu instid0(VALU_DEP_1) | instskip(SKIP_2) | instid1(VALU_DEP_3)
	v_dual_max_f32 v17, v190, v190 :: v_dual_max_f32 v16, v16, v16
	v_add_co_u32 v25, vcc_lo, v19, v6
	v_add_co_ci_u32_e32 v26, vcc_lo, v20, v7, vcc_lo
	v_min_f32_e32 v16, v16, v17
	s_mov_b32 vcc_lo, s2
	s_delay_alu instid0(VALU_DEP_1)
	v_cvt_f64_f32_e32 v[23:24], v16
	v_max_f32_e32 v16, v40, v40
	global_store_b64 v[25:26], v[23:24], off
	s_cbranch_vccz .LBB168_171
; %bb.169:
	v_min_f32_e32 v17, 0, v16
	v_add_co_u32 v25, vcc_lo, v19, v8
	v_add_co_ci_u32_e32 v26, vcc_lo, v20, v9, vcc_lo
	s_delay_alu instid0(VALU_DEP_3)
	v_cvt_f64_f32_e32 v[23:24], v17
	s_mov_b32 s0, 0
	global_store_b64 v[25:26], v[23:24], off
	s_cbranch_execz .LBB168_172
; %bb.170:
	v_mov_b32_e32 v16, s0
	s_branch .LBB168_173
.LBB168_171:
	s_mov_b32 s0, -1
.LBB168_172:
	v_add_co_u32 v23, vcc_lo, v21, v8
	v_add_co_ci_u32_e32 v24, vcc_lo, v22, v9, vcc_lo
	flat_load_b64 v[23:24], v[23:24]
	s_waitcnt vmcnt(0) lgkmcnt(0)
	v_mul_f64 v[23:24], s[8:9], v[23:24]
	s_delay_alu instid0(VALU_DEP_1)
	v_cvt_f32_f64_e32 v17, v[23:24]
	v_add_co_u32 v23, vcc_lo, v19, v8
	v_add_co_ci_u32_e32 v24, vcc_lo, v20, v9, vcc_lo
	v_add_co_u32 v25, vcc_lo, v21, v10
	v_add_co_ci_u32_e32 v26, vcc_lo, v22, v11, vcc_lo
	v_min_f32_e32 v16, v17, v16
	s_delay_alu instid0(VALU_DEP_1) | instskip(SKIP_4) | instid1(VALU_DEP_1)
	v_cvt_f64_f32_e32 v[16:17], v16
	global_store_b64 v[23:24], v[16:17], off
	flat_load_b64 v[16:17], v[25:26]
	s_waitcnt vmcnt(0) lgkmcnt(0)
	v_mul_f64 v[16:17], s[8:9], v[16:17]
	v_cvt_f32_f64_e32 v16, v[16:17]
.LBB168_173:
	s_delay_alu instid0(VALU_DEP_1) | instskip(SKIP_2) | instid1(VALU_DEP_3)
	v_dual_max_f32 v17, v239, v239 :: v_dual_max_f32 v16, v16, v16
	v_add_co_u32 v25, vcc_lo, v19, v10
	v_add_co_ci_u32_e32 v26, vcc_lo, v20, v11, vcc_lo
	v_min_f32_e32 v16, v16, v17
	s_mov_b32 vcc_lo, s2
	s_delay_alu instid0(VALU_DEP_1)
	v_cvt_f64_f32_e32 v[23:24], v16
	v_max_f32_e32 v16, v119, v119
	global_store_b64 v[25:26], v[23:24], off
	s_cbranch_vccz .LBB168_176
; %bb.174:
	v_min_f32_e32 v17, 0, v16
	v_add_co_u32 v25, vcc_lo, v19, v12
	v_add_co_ci_u32_e32 v26, vcc_lo, v20, v13, vcc_lo
	s_delay_alu instid0(VALU_DEP_3)
	v_cvt_f64_f32_e32 v[23:24], v17
	s_mov_b32 s0, 0
	global_store_b64 v[25:26], v[23:24], off
	s_cbranch_execz .LBB168_177
; %bb.175:
	v_mov_b32_e32 v16, s0
	s_branch .LBB168_178
.LBB168_176:
	s_mov_b32 s0, -1
.LBB168_177:
	v_add_co_u32 v23, vcc_lo, v21, v12
	v_add_co_ci_u32_e32 v24, vcc_lo, v22, v13, vcc_lo
	flat_load_b64 v[23:24], v[23:24]
	s_waitcnt vmcnt(0) lgkmcnt(0)
	v_mul_f64 v[23:24], s[8:9], v[23:24]
	s_delay_alu instid0(VALU_DEP_1)
	v_cvt_f32_f64_e32 v17, v[23:24]
	v_add_co_u32 v23, vcc_lo, v19, v12
	v_add_co_ci_u32_e32 v24, vcc_lo, v20, v13, vcc_lo
	v_add_co_u32 v21, vcc_lo, v21, v14
	v_add_co_ci_u32_e32 v22, vcc_lo, v22, v15, vcc_lo
	v_min_f32_e32 v16, v17, v16
	s_delay_alu instid0(VALU_DEP_1) | instskip(SKIP_4) | instid1(VALU_DEP_1)
	v_cvt_f64_f32_e32 v[16:17], v16
	global_store_b64 v[23:24], v[16:17], off
	flat_load_b64 v[16:17], v[21:22]
	s_waitcnt vmcnt(0) lgkmcnt(0)
	v_mul_f64 v[16:17], s[8:9], v[16:17]
	v_cvt_f32_f64_e32 v16, v[16:17]
.LBB168_178:
	s_delay_alu instid0(VALU_DEP_1) | instskip(SKIP_2) | instid1(VALU_DEP_3)
	v_dual_max_f32 v17, v235, v235 :: v_dual_max_f32 v16, v16, v16
	v_add_co_u32 v26, vcc_lo, v19, v14
	v_add_co_ci_u32_e32 v27, vcc_lo, v20, v15, vcc_lo
	v_dual_min_f32 v16, v16, v17 :: v_dual_add_nc_u32 v21, 0xc0, v18
	s_delay_alu instid0(VALU_DEP_1) | instskip(NEXT) | instid1(VALU_DEP_2)
	v_cvt_f64_f32_e32 v[22:23], v16
	v_mad_i64_i32 v[16:17], null, v21, s4, 0
	v_mad_i64_i32 v[24:25], null, v21, s3, 0
	v_max_f32_e32 v21, v38, v38
	s_delay_alu instid0(VALU_DEP_3) | instskip(NEXT) | instid1(VALU_DEP_3)
	v_lshlrev_b64 v[16:17], 3, v[16:17]
	v_lshlrev_b64 v[19:20], 3, v[24:25]
	s_delay_alu instid0(VALU_DEP_2) | instskip(NEXT) | instid1(VALU_DEP_3)
	v_add_co_u32 v16, vcc_lo, s5, v16
	v_add_co_ci_u32_e32 v17, vcc_lo, s6, v17, vcc_lo
	s_delay_alu instid0(VALU_DEP_3) | instskip(NEXT) | instid1(VALU_DEP_4)
	v_add_co_u32 v19, vcc_lo, s10, v19
	v_add_co_ci_u32_e32 v20, vcc_lo, s11, v20, vcc_lo
	s_mov_b32 vcc_lo, s2
	global_store_b64 v[26:27], v[22:23], off
	s_cbranch_vccz .LBB168_181
; %bb.179:
	v_min_f32_e32 v22, 0, v21
	v_add_co_u32 v24, vcc_lo, v16, v0
	v_add_co_ci_u32_e32 v25, vcc_lo, v17, v1, vcc_lo
	s_delay_alu instid0(VALU_DEP_3)
	v_cvt_f64_f32_e32 v[22:23], v22
	s_mov_b32 s0, 0
	global_store_b64 v[24:25], v[22:23], off
	s_cbranch_execz .LBB168_182
; %bb.180:
	v_mov_b32_e32 v21, s0
	s_branch .LBB168_183
.LBB168_181:
	s_mov_b32 s0, -1
.LBB168_182:
	v_add_co_u32 v22, vcc_lo, v19, v0
	v_add_co_ci_u32_e32 v23, vcc_lo, v20, v1, vcc_lo
	flat_load_b64 v[22:23], v[22:23]
	s_waitcnt vmcnt(0) lgkmcnt(0)
	v_mul_f64 v[22:23], s[8:9], v[22:23]
	s_delay_alu instid0(VALU_DEP_1)
	v_cvt_f32_f64_e32 v22, v[22:23]
	v_add_co_u32 v23, vcc_lo, v16, v0
	v_add_co_ci_u32_e32 v24, vcc_lo, v17, v1, vcc_lo
	v_add_co_u32 v25, vcc_lo, v19, v2
	v_add_co_ci_u32_e32 v26, vcc_lo, v20, v3, vcc_lo
	v_min_f32_e32 v21, v22, v21
	s_delay_alu instid0(VALU_DEP_1) | instskip(SKIP_4) | instid1(VALU_DEP_1)
	v_cvt_f64_f32_e32 v[21:22], v21
	global_store_b64 v[23:24], v[21:22], off
	flat_load_b64 v[21:22], v[25:26]
	s_waitcnt vmcnt(0) lgkmcnt(0)
	v_mul_f64 v[21:22], s[8:9], v[21:22]
	v_cvt_f32_f64_e32 v21, v[21:22]
.LBB168_183:
	v_max_f32_e32 v22, v133, v133
	s_delay_alu instid0(VALU_DEP_2) | instskip(SKIP_2) | instid1(VALU_DEP_3)
	v_max_f32_e32 v21, v21, v21
	v_add_co_u32 v24, vcc_lo, v16, v2
	v_add_co_ci_u32_e32 v25, vcc_lo, v17, v3, vcc_lo
	v_min_f32_e32 v21, v21, v22
	s_mov_b32 vcc_lo, s2
	s_delay_alu instid0(VALU_DEP_1)
	v_cvt_f64_f32_e32 v[22:23], v21
	v_max_f32_e32 v21, v59, v59
	global_store_b64 v[24:25], v[22:23], off
	s_cbranch_vccz .LBB168_186
; %bb.184:
	v_min_f32_e32 v22, 0, v21
	v_add_co_u32 v24, vcc_lo, v16, v4
	v_add_co_ci_u32_e32 v25, vcc_lo, v17, v5, vcc_lo
	s_delay_alu instid0(VALU_DEP_3)
	v_cvt_f64_f32_e32 v[22:23], v22
	s_mov_b32 s0, 0
	global_store_b64 v[24:25], v[22:23], off
	s_cbranch_execz .LBB168_187
; %bb.185:
	v_mov_b32_e32 v21, s0
	s_branch .LBB168_188
.LBB168_186:
	s_mov_b32 s0, -1
.LBB168_187:
	v_add_co_u32 v22, vcc_lo, v19, v4
	v_add_co_ci_u32_e32 v23, vcc_lo, v20, v5, vcc_lo
	flat_load_b64 v[22:23], v[22:23]
	s_waitcnt vmcnt(0) lgkmcnt(0)
	v_mul_f64 v[22:23], s[8:9], v[22:23]
	s_delay_alu instid0(VALU_DEP_1)
	v_cvt_f32_f64_e32 v22, v[22:23]
	v_add_co_u32 v23, vcc_lo, v16, v4
	v_add_co_ci_u32_e32 v24, vcc_lo, v17, v5, vcc_lo
	v_add_co_u32 v25, vcc_lo, v19, v6
	v_add_co_ci_u32_e32 v26, vcc_lo, v20, v7, vcc_lo
	v_min_f32_e32 v21, v22, v21
	s_delay_alu instid0(VALU_DEP_1) | instskip(SKIP_4) | instid1(VALU_DEP_1)
	v_cvt_f64_f32_e32 v[21:22], v21
	global_store_b64 v[23:24], v[21:22], off
	flat_load_b64 v[21:22], v[25:26]
	s_waitcnt vmcnt(0) lgkmcnt(0)
	v_mul_f64 v[21:22], s[8:9], v[21:22]
	v_cvt_f32_f64_e32 v21, v[21:22]
.LBB168_188:
	s_delay_alu instid0(VALU_DEP_1) | instskip(SKIP_2) | instid1(VALU_DEP_3)
	v_dual_max_f32 v22, v218, v218 :: v_dual_max_f32 v21, v21, v21
	v_add_co_u32 v24, vcc_lo, v16, v6
	v_add_co_ci_u32_e32 v25, vcc_lo, v17, v7, vcc_lo
	v_min_f32_e32 v21, v21, v22
	s_mov_b32 vcc_lo, s2
	s_delay_alu instid0(VALU_DEP_1)
	v_cvt_f64_f32_e32 v[22:23], v21
	v_max_f32_e32 v21, v212, v212
	global_store_b64 v[24:25], v[22:23], off
	s_cbranch_vccz .LBB168_191
; %bb.189:
	v_min_f32_e32 v22, 0, v21
	v_add_co_u32 v24, vcc_lo, v16, v8
	v_add_co_ci_u32_e32 v25, vcc_lo, v17, v9, vcc_lo
	s_delay_alu instid0(VALU_DEP_3)
	v_cvt_f64_f32_e32 v[22:23], v22
	s_mov_b32 s0, 0
	global_store_b64 v[24:25], v[22:23], off
	s_cbranch_execz .LBB168_192
; %bb.190:
	v_mov_b32_e32 v21, s0
	s_branch .LBB168_193
.LBB168_191:
	s_mov_b32 s0, -1
.LBB168_192:
	v_add_co_u32 v22, vcc_lo, v19, v8
	v_add_co_ci_u32_e32 v23, vcc_lo, v20, v9, vcc_lo
	flat_load_b64 v[22:23], v[22:23]
	s_waitcnt vmcnt(0) lgkmcnt(0)
	v_mul_f64 v[22:23], s[8:9], v[22:23]
	s_delay_alu instid0(VALU_DEP_1)
	v_cvt_f32_f64_e32 v22, v[22:23]
	v_add_co_u32 v23, vcc_lo, v16, v8
	v_add_co_ci_u32_e32 v24, vcc_lo, v17, v9, vcc_lo
	v_add_co_u32 v25, vcc_lo, v19, v10
	v_add_co_ci_u32_e32 v26, vcc_lo, v20, v11, vcc_lo
	v_min_f32_e32 v21, v22, v21
	s_delay_alu instid0(VALU_DEP_1) | instskip(SKIP_4) | instid1(VALU_DEP_1)
	v_cvt_f64_f32_e32 v[21:22], v21
	global_store_b64 v[23:24], v[21:22], off
	flat_load_b64 v[21:22], v[25:26]
	s_waitcnt vmcnt(0) lgkmcnt(0)
	v_mul_f64 v[21:22], s[8:9], v[21:22]
	v_cvt_f32_f64_e32 v21, v[21:22]
.LBB168_193:
	s_delay_alu instid0(VALU_DEP_1) | instskip(SKIP_2) | instid1(VALU_DEP_3)
	v_dual_max_f32 v22, v196, v196 :: v_dual_max_f32 v21, v21, v21
	;; [unrolled: 46-line block ×3, first 2 shown]
	v_add_co_u32 v25, vcc_lo, v16, v14
	v_add_co_ci_u32_e32 v26, vcc_lo, v17, v15, vcc_lo
	v_dual_min_f32 v19, v19, v20 :: v_dual_add_nc_u32 v20, 0xe0, v18
	s_delay_alu instid0(VALU_DEP_1) | instskip(NEXT) | instid1(VALU_DEP_2)
	v_cvt_f64_f32_e32 v[21:22], v19
	v_mad_i64_i32 v[18:19], null, v20, s4, 0
	v_mad_i64_i32 v[23:24], null, v20, s3, 0
	v_max_f32_e32 v20, v129, v129
	s_delay_alu instid0(VALU_DEP_3) | instskip(NEXT) | instid1(VALU_DEP_3)
	v_lshlrev_b64 v[18:19], 3, v[18:19]
	v_lshlrev_b64 v[23:24], 3, v[23:24]
	s_delay_alu instid0(VALU_DEP_2) | instskip(NEXT) | instid1(VALU_DEP_3)
	v_add_co_u32 v16, vcc_lo, s5, v18
	v_add_co_ci_u32_e32 v17, vcc_lo, s6, v19, vcc_lo
	s_delay_alu instid0(VALU_DEP_3) | instskip(NEXT) | instid1(VALU_DEP_4)
	v_add_co_u32 v18, vcc_lo, s10, v23
	v_add_co_ci_u32_e32 v19, vcc_lo, s11, v24, vcc_lo
	s_mov_b32 vcc_lo, s2
	global_store_b64 v[25:26], v[21:22], off
	s_cbranch_vccz .LBB168_201
; %bb.199:
	v_min_f32_e32 v21, 0, v20
	v_add_co_u32 v23, vcc_lo, v16, v0
	v_add_co_ci_u32_e32 v24, vcc_lo, v17, v1, vcc_lo
	s_delay_alu instid0(VALU_DEP_3)
	v_cvt_f64_f32_e32 v[21:22], v21
	s_mov_b32 s0, 0
	global_store_b64 v[23:24], v[21:22], off
	s_cbranch_execz .LBB168_202
; %bb.200:
	v_mov_b32_e32 v0, s0
	s_branch .LBB168_203
.LBB168_201:
	s_mov_b32 s0, -1
.LBB168_202:
	v_add_co_u32 v21, vcc_lo, v18, v0
	v_add_co_ci_u32_e32 v22, vcc_lo, v19, v1, vcc_lo
	v_add_co_u32 v0, vcc_lo, v16, v0
	v_add_co_ci_u32_e32 v1, vcc_lo, v17, v1, vcc_lo
	flat_load_b64 v[21:22], v[21:22]
	s_waitcnt vmcnt(0) lgkmcnt(0)
	v_mul_f64 v[21:22], s[8:9], v[21:22]
	s_delay_alu instid0(VALU_DEP_1) | instskip(SKIP_2) | instid1(VALU_DEP_3)
	v_cvt_f32_f64_e32 v21, v[21:22]
	v_add_co_u32 v22, vcc_lo, v18, v2
	v_add_co_ci_u32_e32 v23, vcc_lo, v19, v3, vcc_lo
	v_min_f32_e32 v20, v21, v20
	s_delay_alu instid0(VALU_DEP_1) | instskip(SKIP_4) | instid1(VALU_DEP_1)
	v_cvt_f64_f32_e32 v[20:21], v20
	global_store_b64 v[0:1], v[20:21], off
	flat_load_b64 v[0:1], v[22:23]
	s_waitcnt vmcnt(0) lgkmcnt(0)
	v_mul_f64 v[0:1], s[8:9], v[0:1]
	v_cvt_f32_f64_e32 v0, v[0:1]
.LBB168_203:
	v_max_f32_e32 v1, v124, v124
	s_delay_alu instid0(VALU_DEP_2) | instskip(NEXT) | instid1(VALU_DEP_1)
	v_max_f32_e32 v0, v0, v0
	v_min_f32_e32 v0, v0, v1
	v_add_co_u32 v1, vcc_lo, v16, v2
	v_add_co_ci_u32_e32 v2, vcc_lo, v17, v3, vcc_lo
	s_delay_alu instid0(VALU_DEP_3)
	v_cvt_f64_f32_e32 v[20:21], v0
	v_max_f32_e32 v0, v127, v127
	s_mov_b32 vcc_lo, s2
	global_store_b64 v[1:2], v[20:21], off
	s_cbranch_vccz .LBB168_206
; %bb.204:
	v_min_f32_e32 v1, 0, v0
	v_add_co_u32 v20, vcc_lo, v16, v4
	v_add_co_ci_u32_e32 v21, vcc_lo, v17, v5, vcc_lo
	s_delay_alu instid0(VALU_DEP_3)
	v_cvt_f64_f32_e32 v[1:2], v1
	s_mov_b32 s0, 0
	global_store_b64 v[20:21], v[1:2], off
	s_cbranch_execz .LBB168_207
; %bb.205:
	v_mov_b32_e32 v0, s0
	s_branch .LBB168_208
.LBB168_206:
	s_mov_b32 s0, -1
.LBB168_207:
	v_add_co_u32 v1, vcc_lo, v18, v4
	v_add_co_ci_u32_e32 v2, vcc_lo, v19, v5, vcc_lo
	flat_load_b64 v[1:2], v[1:2]
	s_waitcnt vmcnt(0) lgkmcnt(0)
	v_mul_f64 v[1:2], s[8:9], v[1:2]
	s_delay_alu instid0(VALU_DEP_1)
	v_cvt_f32_f64_e32 v1, v[1:2]
	v_add_co_u32 v2, vcc_lo, v16, v4
	v_add_co_ci_u32_e32 v3, vcc_lo, v17, v5, vcc_lo
	v_add_co_u32 v4, vcc_lo, v18, v6
	v_add_co_ci_u32_e32 v5, vcc_lo, v19, v7, vcc_lo
	v_min_f32_e32 v0, v1, v0
	s_delay_alu instid0(VALU_DEP_1) | instskip(SKIP_4) | instid1(VALU_DEP_1)
	v_cvt_f64_f32_e32 v[0:1], v0
	global_store_b64 v[2:3], v[0:1], off
	flat_load_b64 v[0:1], v[4:5]
	s_waitcnt vmcnt(0) lgkmcnt(0)
	v_mul_f64 v[0:1], s[8:9], v[0:1]
	v_cvt_f32_f64_e32 v0, v[0:1]
.LBB168_208:
	s_delay_alu instid0(VALU_DEP_1) | instskip(SKIP_2) | instid1(VALU_DEP_3)
	v_dual_max_f32 v1, v122, v122 :: v_dual_max_f32 v0, v0, v0
	v_add_co_u32 v3, vcc_lo, v16, v6
	v_add_co_ci_u32_e32 v4, vcc_lo, v17, v7, vcc_lo
	v_min_f32_e32 v0, v0, v1
	s_mov_b32 vcc_lo, s2
	s_delay_alu instid0(VALU_DEP_1)
	v_cvt_f64_f32_e32 v[1:2], v0
	v_max_f32_e32 v0, v118, v118
	global_store_b64 v[3:4], v[1:2], off
	s_cbranch_vccz .LBB168_211
; %bb.209:
	v_min_f32_e32 v1, 0, v0
	v_add_co_u32 v3, vcc_lo, v16, v8
	v_add_co_ci_u32_e32 v4, vcc_lo, v17, v9, vcc_lo
	s_delay_alu instid0(VALU_DEP_3)
	v_cvt_f64_f32_e32 v[1:2], v1
	s_mov_b32 s0, 0
	global_store_b64 v[3:4], v[1:2], off
	s_cbranch_execz .LBB168_212
; %bb.210:
	v_mov_b32_e32 v0, s0
	s_branch .LBB168_213
.LBB168_211:
	s_mov_b32 s0, -1
.LBB168_212:
	v_add_co_u32 v1, vcc_lo, v18, v8
	v_add_co_ci_u32_e32 v2, vcc_lo, v19, v9, vcc_lo
	flat_load_b64 v[1:2], v[1:2]
	s_waitcnt vmcnt(0) lgkmcnt(0)
	v_mul_f64 v[1:2], s[8:9], v[1:2]
	s_delay_alu instid0(VALU_DEP_1)
	v_cvt_f32_f64_e32 v1, v[1:2]
	v_add_co_u32 v2, vcc_lo, v16, v8
	v_add_co_ci_u32_e32 v3, vcc_lo, v17, v9, vcc_lo
	v_add_co_u32 v4, vcc_lo, v18, v10
	v_add_co_ci_u32_e32 v5, vcc_lo, v19, v11, vcc_lo
	v_min_f32_e32 v0, v1, v0
	s_delay_alu instid0(VALU_DEP_1) | instskip(SKIP_4) | instid1(VALU_DEP_1)
	v_cvt_f64_f32_e32 v[0:1], v0
	global_store_b64 v[2:3], v[0:1], off
	flat_load_b64 v[0:1], v[4:5]
	s_waitcnt vmcnt(0) lgkmcnt(0)
	v_mul_f64 v[0:1], s[8:9], v[0:1]
	v_cvt_f32_f64_e32 v0, v[0:1]
.LBB168_213:
	v_max_f32_e32 v1, v76, v76
	s_delay_alu instid0(VALU_DEP_2) | instskip(SKIP_2) | instid1(VALU_DEP_3)
	v_max_f32_e32 v0, v0, v0
	v_add_co_u32 v3, vcc_lo, v16, v10
	v_add_co_ci_u32_e32 v4, vcc_lo, v17, v11, vcc_lo
	v_min_f32_e32 v0, v0, v1
	s_mov_b32 vcc_lo, s2
	s_delay_alu instid0(VALU_DEP_1)
	v_cvt_f64_f32_e32 v[1:2], v0
	v_max_f32_e32 v0, v120, v120
	global_store_b64 v[3:4], v[1:2], off
	s_cbranch_vccz .LBB168_216
; %bb.214:
	v_min_f32_e32 v1, 0, v0
	v_add_co_u32 v3, vcc_lo, v16, v12
	v_add_co_ci_u32_e32 v4, vcc_lo, v17, v13, vcc_lo
	s_delay_alu instid0(VALU_DEP_3)
	v_cvt_f64_f32_e32 v[1:2], v1
	s_mov_b32 s0, 0
	global_store_b64 v[3:4], v[1:2], off
	s_cbranch_execz .LBB168_217
; %bb.215:
	v_mov_b32_e32 v0, s0
	s_branch .LBB168_218
.LBB168_216:
	s_mov_b32 s0, -1
.LBB168_217:
	v_add_co_u32 v1, vcc_lo, v18, v12
	v_add_co_ci_u32_e32 v2, vcc_lo, v19, v13, vcc_lo
	flat_load_b64 v[1:2], v[1:2]
	s_waitcnt vmcnt(0) lgkmcnt(0)
	v_mul_f64 v[1:2], s[8:9], v[1:2]
	s_delay_alu instid0(VALU_DEP_1)
	v_cvt_f32_f64_e32 v1, v[1:2]
	v_add_co_u32 v2, vcc_lo, v16, v12
	v_add_co_ci_u32_e32 v3, vcc_lo, v17, v13, vcc_lo
	v_add_co_u32 v4, vcc_lo, v18, v14
	v_add_co_ci_u32_e32 v5, vcc_lo, v19, v15, vcc_lo
	v_min_f32_e32 v0, v1, v0
	s_delay_alu instid0(VALU_DEP_1) | instskip(SKIP_4) | instid1(VALU_DEP_1)
	v_cvt_f64_f32_e32 v[0:1], v0
	global_store_b64 v[2:3], v[0:1], off
	flat_load_b64 v[0:1], v[4:5]
	s_waitcnt vmcnt(0) lgkmcnt(0)
	v_mul_f64 v[0:1], s[8:9], v[0:1]
	v_cvt_f32_f64_e32 v0, v[0:1]
.LBB168_218:
	s_delay_alu instid0(VALU_DEP_1) | instskip(SKIP_2) | instid1(VALU_DEP_3)
	v_dual_max_f32 v1, v113, v113 :: v_dual_max_f32 v0, v0, v0
	v_add_co_u32 v2, vcc_lo, v16, v14
	v_add_co_ci_u32_e32 v3, vcc_lo, v17, v15, vcc_lo
	v_min_f32_e32 v0, v0, v1
	s_delay_alu instid0(VALU_DEP_1)
	v_cvt_f64_f32_e32 v[0:1], v0
	global_store_b64 v[2:3], v[0:1], off
	s_endpgm
	.section	.rodata,"a",@progbits
	.p2align	6, 0x0
	.amdhsa_kernel _ZN12_GLOBAL__N_120geam_min_plus_kernelId15HIP_vector_typeIdLj2EEdLi8ELi32ELi64ELi256ELi4ELi64ELi4ELi64ELi4ELc78ELc84ELb0ELb0ELb1EPKdS3_dEEviiiT16_PT17_ilS7_ilS5_S7_ilPT18_ili26rocblas_geam_ex_operation_
		.amdhsa_group_segment_fixed_size 20480
		.amdhsa_private_segment_fixed_size 396
		.amdhsa_kernarg_size 136
		.amdhsa_user_sgpr_count 14
		.amdhsa_user_sgpr_dispatch_ptr 0
		.amdhsa_user_sgpr_queue_ptr 0
		.amdhsa_user_sgpr_kernarg_segment_ptr 1
		.amdhsa_user_sgpr_dispatch_id 0
		.amdhsa_user_sgpr_private_segment_size 0
		.amdhsa_wavefront_size32 1
		.amdhsa_uses_dynamic_stack 0
		.amdhsa_enable_private_segment 1
		.amdhsa_system_sgpr_workgroup_id_x 1
		.amdhsa_system_sgpr_workgroup_id_y 0
		.amdhsa_system_sgpr_workgroup_id_z 1
		.amdhsa_system_sgpr_workgroup_info 0
		.amdhsa_system_vgpr_workitem_id 1
		.amdhsa_next_free_vgpr 256
		.amdhsa_next_free_sgpr 26
		.amdhsa_reserve_vcc 1
		.amdhsa_float_round_mode_32 0
		.amdhsa_float_round_mode_16_64 0
		.amdhsa_float_denorm_mode_32 3
		.amdhsa_float_denorm_mode_16_64 3
		.amdhsa_dx10_clamp 1
		.amdhsa_ieee_mode 1
		.amdhsa_fp16_overflow 0
		.amdhsa_workgroup_processor_mode 1
		.amdhsa_memory_ordered 1
		.amdhsa_forward_progress 0
		.amdhsa_shared_vgpr_count 0
		.amdhsa_exception_fp_ieee_invalid_op 0
		.amdhsa_exception_fp_denorm_src 0
		.amdhsa_exception_fp_ieee_div_zero 0
		.amdhsa_exception_fp_ieee_overflow 0
		.amdhsa_exception_fp_ieee_underflow 0
		.amdhsa_exception_fp_ieee_inexact 0
		.amdhsa_exception_int_div_zero 0
	.end_amdhsa_kernel
	.section	.text._ZN12_GLOBAL__N_120geam_min_plus_kernelId15HIP_vector_typeIdLj2EEdLi8ELi32ELi64ELi256ELi4ELi64ELi4ELi64ELi4ELc78ELc84ELb0ELb0ELb1EPKdS3_dEEviiiT16_PT17_ilS7_ilS5_S7_ilPT18_ili26rocblas_geam_ex_operation_,"axG",@progbits,_ZN12_GLOBAL__N_120geam_min_plus_kernelId15HIP_vector_typeIdLj2EEdLi8ELi32ELi64ELi256ELi4ELi64ELi4ELi64ELi4ELc78ELc84ELb0ELb0ELb1EPKdS3_dEEviiiT16_PT17_ilS7_ilS5_S7_ilPT18_ili26rocblas_geam_ex_operation_,comdat
.Lfunc_end168:
	.size	_ZN12_GLOBAL__N_120geam_min_plus_kernelId15HIP_vector_typeIdLj2EEdLi8ELi32ELi64ELi256ELi4ELi64ELi4ELi64ELi4ELc78ELc84ELb0ELb0ELb1EPKdS3_dEEviiiT16_PT17_ilS7_ilS5_S7_ilPT18_ili26rocblas_geam_ex_operation_, .Lfunc_end168-_ZN12_GLOBAL__N_120geam_min_plus_kernelId15HIP_vector_typeIdLj2EEdLi8ELi32ELi64ELi256ELi4ELi64ELi4ELi64ELi4ELc78ELc84ELb0ELb0ELb1EPKdS3_dEEviiiT16_PT17_ilS7_ilS5_S7_ilPT18_ili26rocblas_geam_ex_operation_
                                        ; -- End function
	.section	.AMDGPU.csdata,"",@progbits
; Kernel info:
; codeLenInByte = 24136
; NumSgprs: 28
; NumVgprs: 256
; ScratchSize: 396
; MemoryBound: 1
; FloatMode: 240
; IeeeMode: 1
; LDSByteSize: 20480 bytes/workgroup (compile time only)
; SGPRBlocks: 3
; VGPRBlocks: 31
; NumSGPRsForWavesPerEU: 28
; NumVGPRsForWavesPerEU: 256
; Occupancy: 5
; WaveLimiterHint : 1
; COMPUTE_PGM_RSRC2:SCRATCH_EN: 1
; COMPUTE_PGM_RSRC2:USER_SGPR: 14
; COMPUTE_PGM_RSRC2:TRAP_HANDLER: 0
; COMPUTE_PGM_RSRC2:TGID_X_EN: 1
; COMPUTE_PGM_RSRC2:TGID_Y_EN: 0
; COMPUTE_PGM_RSRC2:TGID_Z_EN: 1
; COMPUTE_PGM_RSRC2:TIDIG_COMP_CNT: 1
	.section	.text._ZN12_GLOBAL__N_120geam_min_plus_kernelId15HIP_vector_typeIdLj2EEdLi8ELi32ELi64ELi256ELi4ELi64ELi4ELi64ELi4ELc78ELc84ELb1ELb0ELb1EdKddEEviiiT16_PT17_ilS6_ilS4_S6_ilPT18_ili26rocblas_geam_ex_operation_,"axG",@progbits,_ZN12_GLOBAL__N_120geam_min_plus_kernelId15HIP_vector_typeIdLj2EEdLi8ELi32ELi64ELi256ELi4ELi64ELi4ELi64ELi4ELc78ELc84ELb1ELb0ELb1EdKddEEviiiT16_PT17_ilS6_ilS4_S6_ilPT18_ili26rocblas_geam_ex_operation_,comdat
	.globl	_ZN12_GLOBAL__N_120geam_min_plus_kernelId15HIP_vector_typeIdLj2EEdLi8ELi32ELi64ELi256ELi4ELi64ELi4ELi64ELi4ELc78ELc84ELb1ELb0ELb1EdKddEEviiiT16_PT17_ilS6_ilS4_S6_ilPT18_ili26rocblas_geam_ex_operation_ ; -- Begin function _ZN12_GLOBAL__N_120geam_min_plus_kernelId15HIP_vector_typeIdLj2EEdLi8ELi32ELi64ELi256ELi4ELi64ELi4ELi64ELi4ELc78ELc84ELb1ELb0ELb1EdKddEEviiiT16_PT17_ilS6_ilS4_S6_ilPT18_ili26rocblas_geam_ex_operation_
	.p2align	8
	.type	_ZN12_GLOBAL__N_120geam_min_plus_kernelId15HIP_vector_typeIdLj2EEdLi8ELi32ELi64ELi256ELi4ELi64ELi4ELi64ELi4ELc78ELc84ELb1ELb0ELb1EdKddEEviiiT16_PT17_ilS6_ilS4_S6_ilPT18_ili26rocblas_geam_ex_operation_,@function
_ZN12_GLOBAL__N_120geam_min_plus_kernelId15HIP_vector_typeIdLj2EEdLi8ELi32ELi64ELi256ELi4ELi64ELi4ELi64ELi4ELc78ELc84ELb1ELb0ELb1EdKddEEviiiT16_PT17_ilS6_ilS4_S6_ilPT18_ili26rocblas_geam_ex_operation_: ; @_ZN12_GLOBAL__N_120geam_min_plus_kernelId15HIP_vector_typeIdLj2EEdLi8ELi32ELi64ELi256ELi4ELi64ELi4ELi64ELi4ELc78ELc84ELb1ELb0ELb1EdKddEEviiiT16_PT17_ilS6_ilS4_S6_ilPT18_ili26rocblas_geam_ex_operation_
; %bb.0:
	s_clause 0x1
	s_load_b128 s[4:7], s[0:1], 0x10
	s_load_b128 s[8:11], s[0:1], 0x28
	s_mov_b64 s[12:13], 0
	s_waitcnt lgkmcnt(0)
	v_cmp_eq_f64_e64 s2, s[4:5], 0
	s_delay_alu instid0(VALU_DEP_1)
	s_and_b32 vcc_lo, exec_lo, s2
	s_cbranch_vccnz .LBB169_2
; %bb.1:
	s_mul_i32 s3, s15, s9
	s_mul_hi_u32 s4, s15, s8
	s_delay_alu instid0(SALU_CYCLE_1) | instskip(SKIP_1) | instid1(SALU_CYCLE_1)
	s_add_i32 s5, s4, s3
	s_mul_i32 s4, s15, s8
	s_lshl_b64 s[4:5], s[4:5], 3
	s_delay_alu instid0(SALU_CYCLE_1)
	s_add_u32 s12, s6, s4
	s_addc_u32 s13, s7, s5
.LBB169_2:
	s_clause 0x1
	s_load_b128 s[4:7], s[0:1], 0x40
	s_load_b64 s[18:19], s[0:1], 0x50
	s_and_not1_b32 vcc_lo, exec_lo, s2
	s_cbranch_vccnz .LBB169_4
; %bb.3:
	s_mov_b32 s3, 0
	s_mov_b64 s[16:17], 0
	s_cbranch_execz .LBB169_5
	s_branch .LBB169_6
.LBB169_4:
	s_mov_b32 s3, -1
                                        ; implicit-def: $sgpr16_sgpr17
.LBB169_5:
	s_waitcnt lgkmcnt(0)
	s_mul_i32 s2, s15, s5
	s_mul_hi_u32 s3, s15, s4
	s_delay_alu instid0(SALU_CYCLE_1) | instskip(SKIP_1) | instid1(SALU_CYCLE_1)
	s_add_i32 s3, s3, s2
	s_mul_i32 s2, s15, s4
	s_lshl_b64 s[4:5], s[2:3], 3
	s_mov_b32 s3, 0
	s_add_u32 s16, s10, s4
	s_addc_u32 s17, s11, s5
.LBB169_6:
	s_waitcnt lgkmcnt(0)
	v_cmp_eq_f64_e64 s2, s[6:7], 0
	s_load_b128 s[8:11], s[0:1], 0x60
	s_mov_b64 s[4:5], 0
	s_delay_alu instid0(VALU_DEP_1) | instskip(NEXT) | instid1(SALU_CYCLE_1)
	s_and_b32 s2, exec_lo, s2
	s_mov_b32 vcc_lo, s2
	s_cbranch_vccnz .LBB169_8
; %bb.7:
	s_waitcnt lgkmcnt(0)
	s_mul_i32 s4, s15, s9
	s_mul_hi_u32 s5, s15, s8
	s_mul_i32 s9, s3, s8
	s_add_i32 s4, s5, s4
	s_delay_alu instid0(SALU_CYCLE_1) | instskip(SKIP_1) | instid1(SALU_CYCLE_1)
	s_add_i32 s5, s4, s9
	s_mul_i32 s4, s15, s8
	s_lshl_b64 s[4:5], s[4:5], 3
	s_delay_alu instid0(SALU_CYCLE_1)
	s_add_u32 s4, s18, s4
	s_addc_u32 s5, s19, s5
.LBB169_8:
	s_waitcnt lgkmcnt(0)
	s_clause 0x2
	s_load_b32 s8, s[0:1], 0x0
	s_load_b32 s18, s[0:1], 0x20
	;; [unrolled: 1-line block ×3, first 2 shown]
	v_and_b32_e32 v147, 0x3ff, v0
	v_bfe_u32 v241, v0, 10, 10
	v_dual_mov_b32 v115, 0x7f800000 :: v_dual_mov_b32 v120, 0x7f800000
	v_dual_mov_b32 v122, 0x7f800000 :: v_dual_mov_b32 v123, 0x7f800000
	s_delay_alu instid0(VALU_DEP_3) | instskip(SKIP_3) | instid1(VALU_DEP_4)
	v_lshl_add_u32 v0, v241, 3, v147
	v_dual_mov_b32 v134, 0x7f800000 :: v_dual_mov_b32 v125, 0x7f800000
	v_mov_b32_e32 v114, 0x7f800000
	v_dual_mov_b32 v124, 0x7f800000 :: v_dual_mov_b32 v237, 0x7f800000
	v_lshrrev_b32_e32 v12, 6, v0
	v_and_b32_e32 v73, 63, v0
	v_dual_mov_b32 v135, 0x7f800000 :: v_dual_mov_b32 v190, 0x7f800000
	v_mov_b32_e32 v219, 0x7f800000
	s_waitcnt lgkmcnt(0)
	s_add_i32 s8, s8, -1
	s_ashr_i32 s20, s18, 31
	s_ashr_i32 s9, s8, 31
	;; [unrolled: 1-line block ×3, first 2 shown]
	s_lshr_b32 s9, s9, 26
	v_mad_i64_i32 v[2:3], null, s19, v12, 0
	s_add_i32 s8, s8, s9
	v_dual_mov_b32 v194, 0x7f800000 :: v_dual_mov_b32 v239, 0x7f800000
	s_ashr_i32 s8, s8, 6
	v_dual_mov_b32 v236, 0x7f800000 :: v_dual_mov_b32 v127, 0x7f800000
	s_add_i32 s9, s8, 1
	s_not_b32 s8, s8
	v_cvt_f32_u32_e32 v1, s9
	v_lshlrev_b64 v[2:3], 3, v[2:3]
	v_dual_mov_b32 v244, 0x7f800000 :: v_dual_mov_b32 v243, 0x7f800000
	v_dual_mov_b32 v238, 0x7f800000 :: v_dual_mov_b32 v245, 0x7f800000
	s_delay_alu instid0(VALU_DEP_4)
	v_rcp_iflag_f32_e32 v1, v1
	v_dual_mov_b32 v126, 0x7f800000 :: v_dual_mov_b32 v247, 0x7f800000
	v_dual_mov_b32 v232, 0x7f800000 :: v_dual_mov_b32 v69, 0x7f800000
	v_dual_mov_b32 v246, 0x7f800000 :: v_dual_mov_b32 v197, 0x7f800000
	v_add_nc_u32_e32 v8, 4, v12
	v_dual_mov_b32 v206, 0x7f800000 :: v_dual_mov_b32 v199, 0x7f800000
	s_waitcnt_depctr 0xfff
	v_mul_f32_e32 v1, 0x4f7ffffe, v1
	v_dual_mov_b32 v200, 0x7f800000 :: v_dual_mov_b32 v201, 0x7f800000
	v_mad_i64_i32 v[4:5], null, s18, v8, 0
	s_delay_alu instid0(VALU_DEP_3)
	v_cvt_u32_f32_e32 v1, v1
	v_mad_i64_i32 v[6:7], null, s19, v8, 0
	scratch_store_b32 off, v8, off offset:376 ; 4-byte Folded Spill
	v_dual_mov_b32 v196, 0x7f800000 :: v_dual_mov_b32 v203, 0x7f800000
	v_readfirstlane_b32 s22, v1
	v_mad_i64_i32 v[0:1], null, s18, v12, 0
	v_lshlrev_b64 v[4:5], 3, v[4:5]
	v_lshlrev_b64 v[6:7], 3, v[6:7]
	s_delay_alu instid0(VALU_DEP_4) | instskip(SKIP_2) | instid1(VALU_DEP_4)
	s_mul_i32 s8, s8, s22
	v_dual_mov_b32 v198, 0x7f800000 :: v_dual_mov_b32 v53, 0x7f800000
	s_mul_hi_u32 s8, s22, s8
	v_lshlrev_b64 v[0:1], 3, v[0:1]
	s_add_i32 s22, s22, s8
	v_dual_mov_b32 v202, 0x7f800000 :: v_dual_mov_b32 v205, 0x7f800000
	s_mul_hi_u32 s8, s14, s22
	v_dual_mov_b32 v204, 0x7f800000 :: v_dual_mov_b32 v207, 0x7f800000
	s_mul_i32 s22, s8, s9
	s_add_i32 s23, s8, 1
	s_sub_i32 s22, s14, s22
	v_add_co_u32 v8, vcc_lo, s12, v0
	s_sub_i32 s24, s22, s9
	s_cmp_ge_u32 s22, s9
	v_add_co_ci_u32_e32 v9, vcc_lo, s13, v1, vcc_lo
	s_cselect_b32 s8, s23, s8
	s_cselect_b32 s22, s24, s22
	s_add_i32 s23, s8, 1
	s_cmp_ge_u32 s22, s9
	v_add_co_u32 v10, vcc_lo, s16, v2
	s_cselect_b32 s8, s23, s8
	v_add_co_ci_u32_e32 v11, vcc_lo, s17, v3, vcc_lo
	s_mul_i32 s9, s8, s9
	s_lshl_b32 s8, s8, 8
	s_sub_i32 s9, s14, s9
	v_or_b32_e32 v0, s8, v73
	s_lshl_b32 s9, s9, 6
	v_add_co_u32 v4, vcc_lo, s12, v4
	v_or_b32_e32 v2, s9, v73
	s_delay_alu instid0(VALU_DEP_3) | instskip(SKIP_2) | instid1(VALU_DEP_3)
	v_ashrrev_i32_e32 v1, 31, v0
	v_add_co_ci_u32_e32 v5, vcc_lo, s13, v5, vcc_lo
	v_add_co_u32 v6, vcc_lo, s16, v6
	v_lshlrev_b64 v[13:14], 3, v[0:1]
	v_ashrrev_i32_e32 v3, 31, v2
	v_add_co_ci_u32_e32 v7, vcc_lo, s17, v7, vcc_lo
	v_dual_mov_b32 v208, 0x7f800000 :: v_dual_mov_b32 v209, 0x7f800000
	s_delay_alu instid0(VALU_DEP_3)
	v_lshlrev_b64 v[17:18], 3, v[2:3]
	v_add_co_u32 v0, vcc_lo, v10, v13
	v_add_co_ci_u32_e32 v1, vcc_lo, v11, v14, vcc_lo
	v_add_co_u32 v2, vcc_lo, v6, v13
	v_add_co_ci_u32_e32 v3, vcc_lo, v7, v14, vcc_lo
	;; [unrolled: 2-line block ×3, first 2 shown]
	v_add_co_u32 v16, vcc_lo, v4, v17
	s_clause 0x1
	scratch_store_b64 off, v[13:14], off offset:332
	scratch_store_b64 off, v[17:18], off offset:340
	v_add_co_ci_u32_e32 v17, vcc_lo, v5, v18, vcc_lo
	s_clause 0x3
	flat_load_b64 v[19:20], v[0:1]
	flat_load_b64 v[21:22], v[0:1] offset:512
	flat_load_b64 v[4:5], v[0:1] offset:1024
	flat_load_b64 v[0:1], v[0:1] offset:1536
	flat_load_b64 v[6:7], v[8:9]
	flat_load_b64 v[8:9], v[2:3]
	v_dual_mov_b32 v85, 0x7f800000 :: v_dual_mov_b32 v84, 0x7f800000
	v_dual_mov_b32 v83, 0x7f800000 :: v_dual_mov_b32 v82, 0x7f800000
	;; [unrolled: 1-line block ×11, first 2 shown]
	v_mov_b32_e32 v137, 0x7f800000
	v_mov_b32_e32 v139, 0x7f800000
	s_mov_b32 s14, -1
	s_mov_b32 s22, 0
	s_waitcnt vmcnt(0) lgkmcnt(0)
	scratch_store_b64 off, v[8:9], off offset:288 ; 8-byte Folded Spill
	flat_load_b64 v[8:9], v[2:3] offset:512
	s_waitcnt vmcnt(0) lgkmcnt(0)
	scratch_store_b64 off, v[8:9], off offset:300 ; 8-byte Folded Spill
	s_clause 0x1
	flat_load_b64 v[8:9], v[2:3] offset:1024
	flat_load_b64 v[2:3], v[2:3] offset:1536
	s_waitcnt vmcnt(1) lgkmcnt(1)
	scratch_store_b64 off, v[8:9], off offset:308 ; 8-byte Folded Spill
	s_waitcnt vmcnt(0) lgkmcnt(0)
	scratch_store_b64 off, v[2:3], off offset:316 ; 8-byte Folded Spill
	flat_load_b64 v[2:3], v[16:17]
	s_waitcnt vmcnt(0) lgkmcnt(0)
	scratch_store_b64 off, v[2:3], off offset:324 ; 8-byte Folded Spill
	v_lshlrev_b32_e32 v2, 3, v12
	s_delay_alu instid0(VALU_DEP_1) | instskip(NEXT) | instid1(VALU_DEP_1)
	v_lshl_add_u32 v2, v73, 5, v2
	v_or_b32_e32 v3, 0x4000, v2
	s_clause 0x1
	scratch_store_b32 off, v12, off offset:372
	scratch_store_b32 off, v3, off offset:384
	ds_store_2addr_stride64_b64 v2, v[19:20], v[21:22] offset1:4
	ds_store_2addr_stride64_b64 v2, v[4:5], v[0:1] offset0:8 offset1:12
	scratch_store_b32 off, v2, off offset:380 ; 4-byte Folded Spill
	ds_store_b64 v2, v[6:7] offset:16384
	s_waitcnt lgkmcnt(0)
	s_waitcnt_vscnt null, 0x0
	s_barrier
	buffer_gl0_inv
	scratch_store_b32 off, v147, off offset:296 ; 4-byte Folded Spill
.LBB169_9:                              ; =>This Inner Loop Header: Depth=1
	s_lshl_b32 s22, s22, 3
	v_dual_mov_b32 v18, v53 :: v_dual_mov_b32 v213, v82
	v_lshl_add_u32 v4, v241, 5, s22
	s_waitcnt vmcnt(0)
	v_lshl_add_u32 v5, v147, 5, s22
	v_dual_mov_b32 v217, v105 :: v_dual_mov_b32 v212, v83
	ds_load_b128 v[19:22], v4
	ds_load_b128 v[0:3], v5 offset:16384
	ds_load_b128 v[186:189], v5 offset:16640
	;; [unrolled: 1-line block ×3, first 2 shown]
	v_dual_mov_b32 v210, v85 :: v_dual_mov_b32 v211, v84
	v_dual_mov_b32 v118, v243 :: v_dual_mov_b32 v119, v69
	s_mov_b32 s22, 2
	s_and_not1_b32 vcc_lo, exec_lo, s14
	s_mov_b32 s14, 0
	s_waitcnt lgkmcnt(2)
	v_add_f64 v[6:7], v[2:3], v[21:22]
	scratch_store_b64 off, v[6:7], off offset:32 ; 8-byte Folded Spill
	v_add_f64 v[6:7], v[0:1], v[19:20]
	scratch_store_b64 off, v[6:7], off offset:96 ; 8-byte Folded Spill
	s_waitcnt lgkmcnt(1)
	v_add_f64 v[6:7], v[188:189], v[21:22]
	scratch_store_b64 off, v[6:7], off      ; 8-byte Folded Spill
	v_add_f64 v[6:7], v[186:187], v[19:20]
	scratch_store_b64 off, v[6:7], off offset:64 ; 8-byte Folded Spill
	ds_load_b128 v[31:34], v5 offset:16896
	ds_load_b128 v[35:38], v5 offset:17152
	s_waitcnt lgkmcnt(1)
	v_add_f64 v[6:7], v[33:34], v[21:22]
	scratch_store_b64 off, v[6:7], off offset:40 ; 8-byte Folded Spill
	v_add_f64 v[6:7], v[31:32], v[19:20]
	scratch_store_b64 off, v[6:7], off offset:104 ; 8-byte Folded Spill
	s_waitcnt lgkmcnt(0)
	v_add_f64 v[6:7], v[37:38], v[21:22]
	scratch_store_b64 off, v[6:7], off offset:8 ; 8-byte Folded Spill
	v_add_f64 v[6:7], v[35:36], v[19:20]
	scratch_store_b64 off, v[6:7], off offset:72 ; 8-byte Folded Spill
	ds_load_b128 v[39:42], v5 offset:17408
	ds_load_b128 v[43:46], v5 offset:17664
	;; [unrolled: 1-line block ×4, first 2 shown]
	s_waitcnt lgkmcnt(3)
	v_add_f64 v[6:7], v[41:42], v[21:22]
	scratch_store_b64 off, v[6:7], off offset:48 ; 8-byte Folded Spill
	v_add_f64 v[6:7], v[39:40], v[19:20]
	scratch_store_b64 off, v[6:7], off offset:112 ; 8-byte Folded Spill
	s_waitcnt lgkmcnt(2)
	v_add_f64 v[6:7], v[45:46], v[21:22]
	scratch_store_b64 off, v[6:7], off offset:16 ; 8-byte Folded Spill
	v_add_f64 v[6:7], v[43:44], v[19:20]
	scratch_store_b64 off, v[6:7], off offset:80 ; 8-byte Folded Spill
	;; [unrolled: 5-line block ×4, first 2 shown]
	v_add_f64 v[5:6], v[2:3], v[29:30]
	scratch_store_b64 off, v[5:6], off offset:128 ; 8-byte Folded Spill
	v_add_f64 v[5:6], v[0:1], v[27:28]
	scratch_store_b64 off, v[5:6], off offset:136 ; 8-byte Folded Spill
	;; [unrolled: 2-line block ×16, first 2 shown]
	ds_load_b128 v[19:22], v4 offset:2048
	ds_load_b128 v[27:30], v4 offset:3072
	s_waitcnt lgkmcnt(1)
	v_add_f64 v[5:6], v[45:46], v[21:22]
	v_add_f64 v[102:103], v[2:3], v[21:22]
	;; [unrolled: 1-line block ×13, first 2 shown]
	s_waitcnt lgkmcnt(0)
	v_add_f64 v[222:223], v[2:3], v[29:30]
	v_add_f64 v[224:225], v[0:1], v[27:28]
	;; [unrolled: 1-line block ×16, first 2 shown]
	scratch_store_b64 off, v[5:6], off offset:272 ; 8-byte Folded Spill
	v_add_f64 v[5:6], v[49:50], v[21:22]
	scratch_store_b64 off, v[5:6], off offset:264 ; 8-byte Folded Spill
	v_add_f64 v[5:6], v[53:54], v[21:22]
	;; [unrolled: 2-line block ×3, first 2 shown]
	scratch_store_b64 off, v[5:6], off offset:280 ; 8-byte Folded Spill
	ds_load_b128 v[19:22], v4 offset:4096
	ds_load_b128 v[27:30], v4 offset:5120
	s_waitcnt lgkmcnt(1)
	v_add_f64 v[254:255], v[2:3], v[21:22]
	v_add_f64 v[128:129], v[0:1], v[19:20]
	;; [unrolled: 1-line block ×16, first 2 shown]
	s_waitcnt lgkmcnt(0)
	v_add_f64 v[182:183], v[2:3], v[29:30]
	v_add_f64 v[178:179], v[0:1], v[27:28]
	;; [unrolled: 1-line block ×16, first 2 shown]
	ds_load_b128 v[19:22], v4 offset:6144
	ds_load_b128 v[27:30], v4 offset:7168
	v_cvt_f32_f64_e32 v23, v[23:24]
	s_waitcnt lgkmcnt(1)
	v_add_f64 v[65:66], v[0:1], v[19:20]
	v_add_f64 v[100:101], v[186:187], v[19:20]
	;; [unrolled: 1-line block ×8, first 2 shown]
	s_waitcnt lgkmcnt(0)
	v_add_f64 v[0:1], v[0:1], v[27:28]
	v_add_f64 v[186:187], v[186:187], v[27:28]
	;; [unrolled: 1-line block ×8, first 2 shown]
	scratch_load_b64 v[51:52], off, off offset:96 ; 8-byte Folded Reload
	v_add_f64 v[4:5], v[2:3], v[21:22]
	v_add_f64 v[6:7], v[188:189], v[21:22]
	v_add_f64 v[8:9], v[33:34], v[21:22]
	v_add_f64 v[10:11], v[37:38], v[21:22]
	v_add_f64 v[12:13], v[41:42], v[21:22]
	v_add_f64 v[14:15], v[45:46], v[21:22]
	v_add_f64 v[16:17], v[49:50], v[21:22]
	v_add_f64 v[21:22], v[53:54], v[21:22]
	v_add_f64 v[2:3], v[2:3], v[29:30]
	v_add_f64 v[25:26], v[188:189], v[29:30]
	v_add_f64 v[33:34], v[33:34], v[29:30]
	v_add_f64 v[37:38], v[37:38], v[29:30]
	v_add_f64 v[41:42], v[41:42], v[29:30]
	v_add_f64 v[45:46], v[45:46], v[29:30]
	v_add_f64 v[49:50], v[49:50], v[29:30]
	v_add_f64 v[29:30], v[53:54], v[29:30]
	v_mov_b32_e32 v53, v18
	v_cvt_f32_f64_e32 v0, v[0:1]
	v_cvt_f32_f64_e32 v4, v[4:5]
	;; [unrolled: 1-line block ×4, first 2 shown]
	s_delay_alu instid0(VALU_DEP_1) | instskip(SKIP_2) | instid1(VALU_DEP_1)
	v_min3_f32 v190, v0, v1, v190
	v_cvt_f32_f64_e32 v0, v[186:187]
	v_cvt_f32_f64_e32 v1, v[25:26]
	v_min3_f32 v124, v0, v1, v124
	v_cvt_f32_f64_e32 v0, v[31:32]
	v_cvt_f32_f64_e32 v1, v[33:34]
	s_delay_alu instid0(VALU_DEP_1) | instskip(SKIP_2) | instid1(VALU_DEP_1)
	v_min3_f32 v134, v0, v1, v134
	v_cvt_f32_f64_e32 v0, v[35:36]
	v_cvt_f32_f64_e32 v1, v[37:38]
	v_min3_f32 v123, v0, v1, v123
	v_cvt_f32_f64_e32 v0, v[39:40]
	v_cvt_f32_f64_e32 v1, v[41:42]
	s_delay_alu instid0(VALU_DEP_1) | instskip(SKIP_2) | instid1(VALU_DEP_1)
	v_min3_f32 v122, v0, v1, v122
	v_cvt_f32_f64_e32 v0, v[43:44]
	v_cvt_f32_f64_e32 v1, v[45:46]
	v_min3_f32 v120, v0, v1, v120
	v_cvt_f32_f64_e32 v0, v[47:48]
	v_cvt_f32_f64_e32 v1, v[49:50]
	s_waitcnt vmcnt(0)
	v_cvt_f32_f64_e32 v18, v[51:52]
	scratch_load_b64 v[51:52], off, off offset:32 ; 8-byte Folded Reload
	v_min3_f32 v115, v0, v1, v115
	v_cvt_f32_f64_e32 v0, v[27:28]
	v_cvt_f32_f64_e32 v1, v[29:30]
	s_delay_alu instid0(VALU_DEP_1) | instskip(SKIP_2) | instid1(VALU_DEP_1)
	v_min3_f32 v114, v0, v1, v114
	s_waitcnt vmcnt(0)
	v_cvt_f32_f64_e32 v51, v[51:52]
	v_min3_f32 v139, v18, v51, v139
	scratch_load_b64 v[51:52], off, off offset:64 ; 8-byte Folded Reload
	s_waitcnt vmcnt(0)
	v_cvt_f32_f64_e32 v18, v[51:52]
	scratch_load_b64 v[51:52], off, off     ; 8-byte Folded Reload
	s_waitcnt vmcnt(0)
	v_cvt_f32_f64_e32 v51, v[51:52]
	s_delay_alu instid0(VALU_DEP_1)
	v_min3_f32 v138, v18, v51, v138
	scratch_load_b64 v[51:52], off, off offset:104 ; 8-byte Folded Reload
	s_waitcnt vmcnt(0)
	v_cvt_f32_f64_e32 v18, v[51:52]
	scratch_load_b64 v[51:52], off, off offset:40 ; 8-byte Folded Reload
	s_waitcnt vmcnt(0)
	v_cvt_f32_f64_e32 v51, v[51:52]
	s_delay_alu instid0(VALU_DEP_1)
	v_min3_f32 v137, v18, v51, v137
	scratch_load_b64 v[51:52], off, off offset:72 ; 8-byte Folded Reload
	s_waitcnt vmcnt(0)
	v_cvt_f32_f64_e32 v18, v[51:52]
	scratch_load_b64 v[51:52], off, off offset:8 ; 8-byte Folded Reload
	;; [unrolled: 8-line block ×14, first 2 shown]
	s_waitcnt vmcnt(0)
	v_cvt_f32_f64_e32 v51, v[51:52]
	s_delay_alu instid0(VALU_DEP_1) | instskip(SKIP_2) | instid1(VALU_DEP_1)
	v_min3_f32 v121, v18, v51, v121
	v_cvt_f32_f64_e32 v18, v[90:91]
	v_cvt_f32_f64_e32 v51, v[102:103]
	v_min3_f32 v218, v18, v51, v218
	v_cvt_f32_f64_e32 v18, v[86:87]
	v_cvt_f32_f64_e32 v51, v[104:105]
	v_mov_b32_e32 v105, v217
	s_delay_alu instid0(VALU_DEP_1) | instskip(SKIP_3) | instid1(VALU_DEP_2)
	v_min3_f32 v105, v18, v51, v105
	v_cvt_f32_f64_e32 v18, v[82:83]
	v_cvt_f32_f64_e32 v51, v[96:97]
	v_dual_mov_b32 v82, v213 :: v_dual_mov_b32 v83, v212
	v_min3_f32 v216, v18, v51, v216
	v_cvt_f32_f64_e32 v18, v[78:79]
	v_cvt_f32_f64_e32 v51, v[92:93]
	s_delay_alu instid0(VALU_DEP_1) | instskip(SKIP_2) | instid1(VALU_DEP_1)
	v_min3_f32 v215, v18, v51, v215
	v_cvt_f32_f64_e32 v18, v[88:89]
	v_cvt_f32_f64_e32 v51, v[184:185]
	v_min3_f32 v214, v18, v51, v214
	scratch_load_b64 v[51:52], off, off offset:272 ; 8-byte Folded Reload
	v_cvt_f32_f64_e32 v18, v[84:85]
	v_dual_mov_b32 v84, v211 :: v_dual_mov_b32 v85, v210
	s_waitcnt vmcnt(0)
	v_cvt_f32_f64_e32 v51, v[51:52]
	s_delay_alu instid0(VALU_DEP_1) | instskip(SKIP_4) | instid1(VALU_DEP_1)
	v_min3_f32 v82, v18, v51, v82
	scratch_load_b64 v[51:52], off, off offset:264 ; 8-byte Folded Reload
	v_cvt_f32_f64_e32 v18, v[80:81]
	s_waitcnt vmcnt(0)
	v_cvt_f32_f64_e32 v51, v[51:52]
	v_min3_f32 v83, v18, v51, v83
	scratch_load_b64 v[51:52], off, off offset:280 ; 8-byte Folded Reload
	s_waitcnt vmcnt(0)
	v_cvt_f32_f64_e32 v18, v[51:52]
	scratch_load_b64 v[51:52], off, off offset:256 ; 8-byte Folded Reload
	s_waitcnt vmcnt(0)
	v_cvt_f32_f64_e32 v51, v[51:52]
	s_delay_alu instid0(VALU_DEP_1) | instskip(SKIP_2) | instid1(VALU_DEP_1)
	v_min3_f32 v84, v18, v51, v84
	v_cvt_f32_f64_e32 v18, v[224:225]
	v_cvt_f32_f64_e32 v51, v[222:223]
	v_min3_f32 v85, v18, v51, v85
	v_cvt_f32_f64_e32 v18, v[228:229]
	v_cvt_f32_f64_e32 v51, v[226:227]
	s_delay_alu instid0(VALU_DEP_1) | instskip(SKIP_2) | instid1(VALU_DEP_1)
	v_min3_f32 v209, v18, v51, v209
	v_cvt_f32_f64_e32 v18, v[192:193]
	v_cvt_f32_f64_e32 v51, v[230:231]
	v_min3_f32 v208, v18, v51, v208
	v_cvt_f32_f64_e32 v18, v[112:113]
	;; [unrolled: 7-line block ×3, first 2 shown]
	v_cvt_f32_f64_e32 v51, v[242:243]
	v_mov_b32_e32 v243, v118
	s_delay_alu instid0(VALU_DEP_2) | instskip(SKIP_2) | instid1(VALU_DEP_1)
	v_min3_f32 v53, v18, v51, v53
	v_cvt_f32_f64_e32 v18, v[248:249]
	v_cvt_f32_f64_e32 v51, v[108:109]
	v_min3_f32 v204, v18, v51, v204
	v_cvt_f32_f64_e32 v18, v[252:253]
	v_cvt_f32_f64_e32 v51, v[250:251]
	s_delay_alu instid0(VALU_DEP_1) | instskip(SKIP_2) | instid1(VALU_DEP_1)
	v_min3_f32 v203, v18, v51, v203
	v_cvt_f32_f64_e32 v18, v[128:129]
	v_cvt_f32_f64_e32 v51, v[254:255]
	v_min3_f32 v202, v18, v51, v202
	v_cvt_f32_f64_e32 v18, v[76:77]
	s_delay_alu instid0(VALU_DEP_1) | instskip(SKIP_2) | instid1(VALU_DEP_1)
	v_min3_f32 v201, v18, v23, v201
	v_cvt_f32_f64_e32 v18, v[55:56]
	v_cvt_f32_f64_e32 v23, v[63:64]
	v_min3_f32 v199, v18, v23, v199
	v_cvt_f32_f64_e32 v18, v[57:58]
	v_cvt_f32_f64_e32 v23, v[69:70]
	v_mov_b32_e32 v69, v119
	s_delay_alu instid0(VALU_DEP_2) | instskip(SKIP_2) | instid1(VALU_DEP_1)
	v_min3_f32 v197, v18, v23, v197
	v_cvt_f32_f64_e32 v18, v[142:143]
	v_cvt_f32_f64_e32 v23, v[140:141]
	v_min3_f32 v198, v18, v23, v198
	v_cvt_f32_f64_e32 v18, v[67:68]
	v_cvt_f32_f64_e32 v23, v[146:147]
	scratch_load_b32 v147, off, off offset:296 ; 4-byte Folded Reload
	v_min3_f32 v69, v18, v23, v69
	v_cvt_f32_f64_e32 v18, v[59:60]
	v_cvt_f32_f64_e32 v23, v[148:149]
	s_delay_alu instid0(VALU_DEP_1) | instskip(SKIP_2) | instid1(VALU_DEP_1)
	v_min3_f32 v196, v18, v23, v196
	v_cvt_f32_f64_e32 v18, v[144:145]
	v_cvt_f32_f64_e32 v23, v[150:151]
	v_min3_f32 v200, v18, v23, v200
	v_cvt_f32_f64_e32 v18, v[178:179]
	v_cvt_f32_f64_e32 v23, v[182:183]
	s_delay_alu instid0(VALU_DEP_1) | instskip(SKIP_2) | instid1(VALU_DEP_1)
	v_min3_f32 v206, v18, v23, v206
	v_cvt_f32_f64_e32 v18, v[174:175]
	v_cvt_f32_f64_e32 v23, v[180:181]
	;; [unrolled: 7-line block ×5, first 2 shown]
	v_min3_f32 v243, v18, v23, v243
	v_cvt_f32_f64_e32 v18, v[65:66]
	s_delay_alu instid0(VALU_DEP_1) | instskip(SKIP_1) | instid1(VALU_DEP_1)
	v_min3_f32 v244, v18, v4, v244
	v_cvt_f32_f64_e32 v4, v[100:101]
	v_min3_f32 v127, v4, v5, v127
	v_cvt_f32_f64_e32 v4, v[94:95]
	v_cvt_f32_f64_e32 v5, v[8:9]
	s_delay_alu instid0(VALU_DEP_1) | instskip(SKIP_2) | instid1(VALU_DEP_1)
	v_min3_f32 v239, v4, v5, v239
	v_cvt_f32_f64_e32 v4, v[98:99]
	v_cvt_f32_f64_e32 v5, v[10:11]
	v_min3_f32 v236, v4, v5, v236
	v_cvt_f32_f64_e32 v4, v[61:62]
	v_cvt_f32_f64_e32 v5, v[12:13]
	s_delay_alu instid0(VALU_DEP_1) | instskip(SKIP_2) | instid1(VALU_DEP_1)
	v_min3_f32 v219, v4, v5, v219
	v_cvt_f32_f64_e32 v4, v[71:72]
	;; [unrolled: 7-line block ×3, first 2 shown]
	v_cvt_f32_f64_e32 v5, v[21:22]
	v_min3_f32 v125, v4, v5, v125
	s_cbranch_vccz .LBB169_9
; %bb.10:
	scratch_load_b32 v1, off, off offset:372 ; 4-byte Folded Reload
	v_dual_mov_b32 v47, v214 :: v_dual_lshlrev_b32 v0, 5, v73
	s_load_b32 s14, s[0:1], 0x8
	v_dual_mov_b32 v230, v216 :: v_dual_mov_b32 v229, v215
	v_mov_b32_e32 v51, v209
	v_mov_b32_e32 v49, v207
	;; [unrolled: 1-line block ×5, first 2 shown]
	s_waitcnt lgkmcnt(0)
	s_cmp_lt_i32 s14, 9
	s_waitcnt vmcnt(0)
	v_lshl_add_u32 v0, v1, 3, v0
	scratch_load_b64 v[1:2], off, off offset:324 ; 8-byte Folded Reload
	s_waitcnt vmcnt(0)
	ds_store_b64 v0, v[1:2] offset:18432
	s_clause 0x1
	scratch_load_b64 v[1:2], off, off offset:288
	scratch_load_b64 v[3:4], off, off offset:300
	s_waitcnt vmcnt(0)
	ds_store_2addr_stride64_b64 v0, v[1:2], v[3:4] offset0:16 offset1:20
	s_clause 0x1
	scratch_load_b64 v[1:2], off, off offset:308
	scratch_load_b64 v[3:4], off, off offset:316
	s_waitcnt vmcnt(0)
	ds_store_2addr_stride64_b64 v0, v[1:2], v[3:4] offset0:24 offset1:28
	s_waitcnt lgkmcnt(0)
	s_waitcnt_vscnt null, 0x0
	s_barrier
	buffer_gl0_inv
	scratch_store_b32 off, v241, off        ; 4-byte Folded Spill
	s_cbranch_scc1 .LBB169_18
; %bb.11:
	v_dual_mov_b32 v46, v82 :: v_dual_add_nc_u32 v1, 0x4800, v0
	v_or_b32_e32 v0, 0x2000, v0
	v_dual_mov_b32 v146, v105 :: v_dual_mov_b32 v207, v199
	v_mov_b32_e32 v50, v208
	s_clause 0x1
	scratch_store_b32 off, v1, off offset:388
	scratch_store_b32 off, v0, off offset:392
	scratch_load_b64 v[0:1], off, off offset:340 ; 8-byte Folded Reload
	v_mov_b32_e32 v48, v205
	v_mov_b32_e32 v52, v204
	;; [unrolled: 1-line block ×6, first 2 shown]
	s_waitcnt vmcnt(0)
	v_add_co_u32 v0, vcc_lo, s12, v0
	s_add_i32 s12, s14, -8
	s_mov_b32 s14, 0
	scratch_store_b32 off, v0, off offset:300 ; 4-byte Folded Spill
	v_add_co_ci_u32_e32 v0, vcc_lo, s13, v1, vcc_lo
	s_mov_b32 s13, 8
	scratch_store_b32 off, v0, off offset:308 ; 4-byte Folded Spill
	scratch_load_b64 v[0:1], off, off offset:332 ; 8-byte Folded Reload
	s_waitcnt vmcnt(0)
	v_add_co_u32 v0, vcc_lo, s16, v0
	scratch_store_b32 off, v0, off offset:316 ; 4-byte Folded Spill
	v_add_co_ci_u32_e32 v0, vcc_lo, s17, v1, vcc_lo
	scratch_store_b32 off, v0, off offset:324 ; 4-byte Folded Spill
.LBB169_12:                             ; =>This Loop Header: Depth=1
                                        ;     Child Loop BB169_13 Depth 2
                                        ;     Child Loop BB169_15 Depth 2
	scratch_load_b32 v0, off, off offset:372 ; 4-byte Folded Reload
	v_mov_b32_e32 v9, v83
	s_mov_b32 s16, -1
	s_mov_b32 s17, 0
	s_waitcnt vmcnt(0)
	v_dual_mov_b32 v228, v230 :: v_dual_add_nc_u32 v7, s13, v0
	s_delay_alu instid0(VALU_DEP_1) | instskip(SKIP_1) | instid1(VALU_DEP_1)
	v_mad_u64_u32 v[0:1], null, v7, s18, 0
	v_mad_u64_u32 v[2:3], null, v7, s19, 0
	;; [unrolled: 1-line block ×3, first 2 shown]
	s_delay_alu instid0(VALU_DEP_1) | instskip(SKIP_4) | instid1(VALU_DEP_1)
	v_mad_u64_u32 v[5:6], null, v7, s21, v[3:4]
	v_mov_b32_e32 v1, v4
	scratch_load_b32 v4, off, off offset:300 ; 4-byte Folded Reload
	v_lshlrev_b64 v[0:1], 3, v[0:1]
	v_mov_b32_e32 v3, v5
	v_lshlrev_b64 v[2:3], 3, v[2:3]
	s_waitcnt vmcnt(0)
	s_delay_alu instid0(VALU_DEP_3)
	v_add_co_u32 v0, vcc_lo, v4, v0
	scratch_load_b32 v4, off, off offset:308 ; 4-byte Folded Reload
	s_waitcnt vmcnt(0)
	v_add_co_ci_u32_e32 v1, vcc_lo, v4, v1, vcc_lo
	scratch_load_b32 v4, off, off offset:316 ; 4-byte Folded Reload
	flat_load_b64 v[0:1], v[0:1]
	s_waitcnt vmcnt(1)
	v_add_co_u32 v2, vcc_lo, v4, v2
	scratch_load_b32 v4, off, off offset:324 ; 4-byte Folded Reload
	s_waitcnt vmcnt(1) lgkmcnt(0)
	scratch_store_b64 off, v[0:1], off offset:332 ; 8-byte Folded Spill
	s_waitcnt vmcnt(0)
	v_add_co_ci_u32_e32 v3, vcc_lo, v4, v3, vcc_lo
	flat_load_b64 v[0:1], v[2:3]
	s_waitcnt vmcnt(0) lgkmcnt(0)
	scratch_store_b64 off, v[0:1], off offset:340 ; 8-byte Folded Spill
	flat_load_b64 v[0:1], v[2:3] offset:512
	s_waitcnt vmcnt(0) lgkmcnt(0)
	scratch_store_b64 off, v[0:1], off offset:348 ; 8-byte Folded Spill
	flat_load_b64 v[0:1], v[2:3] offset:1024
	;; [unrolled: 3-line block ×3, first 2 shown]
	s_waitcnt vmcnt(0) lgkmcnt(0)
	scratch_store_b64 off, v[0:1], off offset:364 ; 8-byte Folded Spill
.LBB169_13:                             ;   Parent Loop BB169_12 Depth=1
                                        ; =>  This Inner Loop Header: Depth=2
	s_lshl_b32 s17, s17, 3
	s_and_not1_b32 vcc_lo, exec_lo, s16
	s_waitcnt vmcnt(0)
	v_lshl_add_u32 v24, v241, 5, s17
	v_lshl_add_u32 v4, v147, 5, s17
	v_dual_mov_b32 v241, v126 :: v_dual_mov_b32 v126, v237
	v_mov_b32_e32 v237, v243
	ds_load_b128 v[42:45], v24 offset:8192
	ds_load_b128 v[0:3], v4 offset:18432
	;; [unrolled: 1-line block ×4, first 2 shown]
	s_mov_b32 s17, 2
	s_mov_b32 s16, 0
	s_waitcnt lgkmcnt(2)
	v_add_f64 v[20:21], v[0:1], v[42:43]
	s_waitcnt lgkmcnt(1)
	v_add_f64 v[5:6], v[152:153], v[44:45]
	v_add_f64 v[66:67], v[2:3], v[44:45]
	scratch_store_b64 off, v[5:6], off offset:8 ; 8-byte Folded Spill
	v_add_f64 v[5:6], v[150:151], v[42:43]
	v_cvt_f32_f64_e32 v27, v[66:67]
	scratch_store_b64 off, v[5:6], off offset:64 ; 8-byte Folded Spill
	ds_load_b128 v[158:161], v4 offset:18944
	ds_load_b128 v[162:165], v4 offset:19200
	s_waitcnt lgkmcnt(1)
	v_add_f64 v[5:6], v[160:161], v[44:45]
	scratch_store_b64 off, v[5:6], off offset:40 ; 8-byte Folded Spill
	v_add_f64 v[5:6], v[158:159], v[42:43]
	scratch_store_b64 off, v[5:6], off offset:96 ; 8-byte Folded Spill
	s_waitcnt lgkmcnt(0)
	v_add_f64 v[5:6], v[164:165], v[44:45]
	scratch_store_b64 off, v[5:6], off offset:16 ; 8-byte Folded Spill
	v_add_f64 v[5:6], v[162:163], v[42:43]
	scratch_store_b64 off, v[5:6], off offset:72 ; 8-byte Folded Spill
	ds_load_b128 v[166:169], v4 offset:19456
	ds_load_b128 v[170:173], v4 offset:19712
	s_waitcnt lgkmcnt(1)
	v_add_f64 v[5:6], v[168:169], v[44:45]
	scratch_store_b64 off, v[5:6], off offset:48 ; 8-byte Folded Spill
	v_add_f64 v[5:6], v[166:167], v[42:43]
	scratch_store_b64 off, v[5:6], off offset:104 ; 8-byte Folded Spill
	s_waitcnt lgkmcnt(0)
	v_add_f64 v[5:6], v[172:173], v[44:45]
	scratch_store_b64 off, v[5:6], off offset:24 ; 8-byte Folded Spill
	v_add_f64 v[5:6], v[170:171], v[42:43]
	;; [unrolled: 12-line block ×3, first 2 shown]
	scratch_store_b64 off, v[4:5], off offset:88 ; 8-byte Folded Spill
	v_add_f64 v[4:5], v[2:3], v[156:157]
	scratch_store_b64 off, v[4:5], off offset:120 ; 8-byte Folded Spill
	v_add_f64 v[4:5], v[0:1], v[154:155]
	;; [unrolled: 2-line block ×16, first 2 shown]
	scratch_store_b64 off, v[4:5], off offset:240 ; 8-byte Folded Spill
	ds_load_b128 v[154:157], v24 offset:10240
	ds_load_b128 v[182:185], v24 offset:11264
	s_waitcnt lgkmcnt(1)
	v_add_f64 v[4:5], v[168:169], v[156:157]
	v_add_f64 v[36:37], v[2:3], v[156:157]
	v_add_f64 v[100:101], v[0:1], v[154:155]
	v_add_f64 v[38:39], v[152:153], v[156:157]
	v_add_f64 v[102:103], v[150:151], v[154:155]
	v_add_f64 v[44:45], v[160:161], v[156:157]
	v_add_f64 v[104:105], v[158:159], v[154:155]
	v_add_f64 v[106:107], v[164:165], v[156:157]
	v_add_f64 v[186:187], v[162:163], v[154:155]
	v_add_f64 v[42:43], v[166:167], v[154:155]
	v_add_f64 v[64:65], v[170:171], v[154:155]
	s_waitcnt lgkmcnt(0)
	v_add_f64 v[40:41], v[2:3], v[184:185]
	v_add_f64 v[220:221], v[0:1], v[182:183]
	;; [unrolled: 1-line block ×16, first 2 shown]
	scratch_store_b64 off, v[4:5], off offset:280 ; 8-byte Folded Spill
	v_add_f64 v[5:6], v[172:173], v[156:157]
	scratch_store_b64 off, v[5:6], off offset:264 ; 8-byte Folded Spill
	v_add_f64 v[5:6], v[176:177], v[156:157]
	;; [unrolled: 2-line block ×5, first 2 shown]
	scratch_store_b64 off, v[5:6], off offset:272 ; 8-byte Folded Spill
	ds_load_b128 v[154:157], v24 offset:12288
	ds_load_b128 v[182:185], v24 offset:13312
	s_waitcnt lgkmcnt(1)
	v_add_f64 v[250:251], v[2:3], v[156:157]
	v_add_f64 v[252:253], v[0:1], v[154:155]
	;; [unrolled: 1-line block ×16, first 2 shown]
	s_waitcnt lgkmcnt(0)
	v_add_f64 v[76:77], v[2:3], v[184:185]
	v_add_f64 v[78:79], v[0:1], v[182:183]
	v_add_f64 v[80:81], v[152:153], v[184:185]
	v_add_f64 v[54:55], v[150:151], v[182:183]
	v_add_f64 v[82:83], v[160:161], v[184:185]
	v_add_f64 v[56:57], v[158:159], v[182:183]
	v_add_f64 v[58:59], v[164:165], v[184:185]
	v_add_f64 v[60:61], v[162:163], v[182:183]
	v_add_f64 v[62:63], v[168:169], v[184:185]
	v_add_f64 v[7:8], v[166:167], v[182:183]
	v_add_f64 v[72:73], v[172:173], v[184:185]
	v_add_f64 v[86:87], v[170:171], v[182:183]
	v_add_f64 v[88:89], v[176:177], v[184:185]
	v_add_f64 v[90:91], v[174:175], v[182:183]
	v_add_f64 v[92:93], v[180:181], v[184:185]
	v_add_f64 v[94:95], v[178:179], v[182:183]
	ds_load_b128 v[154:157], v24 offset:14336
	ds_load_b128 v[182:185], v24 offset:15360
	v_cvt_f32_f64_e32 v24, v[20:21]
	scratch_load_b64 v[20:21], off, off offset:64 ; 8-byte Folded Reload
	v_cvt_f32_f64_e32 v4, v[16:17]
	v_cvt_f32_f64_e32 v6, v[5:6]
	;; [unrolled: 1-line block ×3, first 2 shown]
	s_waitcnt lgkmcnt(1)
	v_add_f64 v[96:97], v[2:3], v[156:157]
	v_add_f64 v[98:99], v[0:1], v[154:155]
	s_waitcnt lgkmcnt(0)
	v_add_f64 v[2:3], v[2:3], v[184:185]
	v_add_f64 v[0:1], v[0:1], v[182:183]
	;; [unrolled: 1-line block ×18, first 2 shown]
	v_min3_f32 v139, v24, v27, v139
	v_add_f64 v[192:193], v[172:173], v[156:157]
	v_add_f64 v[202:203], v[170:171], v[154:155]
	;; [unrolled: 1-line block ×11, first 2 shown]
	v_min3_f32 v71, v6, v4, v71
	v_cvt_f32_f64_e32 v4, v[10:11]
	v_add_f64 v[178:179], v[178:179], v[182:183]
	v_cvt_f32_f64_e32 v0, v[0:1]
	v_cvt_f32_f64_e32 v1, v[2:3]
	s_delay_alu instid0(VALU_DEP_4) | instskip(SKIP_2) | instid1(VALU_DEP_4)
	v_min3_f32 v70, v4, v5, v70
	v_cvt_f32_f64_e32 v4, v[14:15]
	v_cvt_f32_f64_e32 v5, v[22:23]
	v_min3_f32 v190, v0, v1, v190
	v_cvt_f32_f64_e32 v0, v[150:151]
	v_cvt_f32_f64_e32 v1, v[152:153]
	s_delay_alu instid0(VALU_DEP_4) | instskip(SKIP_2) | instid1(VALU_DEP_4)
	v_min3_f32 v69, v4, v5, v69
	v_cvt_f32_f64_e32 v4, v[128:129]
	v_cvt_f32_f64_e32 v5, v[28:29]
	v_min3_f32 v124, v0, v1, v124
	;; [unrolled: 7-line block ×6, first 2 shown]
	v_cvt_f32_f64_e32 v0, v[174:175]
	v_cvt_f32_f64_e32 v1, v[176:177]
	s_waitcnt vmcnt(0)
	v_cvt_f32_f64_e32 v24, v[20:21]
	scratch_load_b64 v[20:21], off, off offset:8 ; 8-byte Folded Reload
	v_min3_f32 v247, v4, v5, v247
	v_cvt_f32_f64_e32 v4, v[60:61]
	v_cvt_f32_f64_e32 v5, v[58:59]
	v_min3_f32 v115, v0, v1, v115
	v_cvt_f32_f64_e32 v0, v[178:179]
	v_cvt_f32_f64_e32 v1, v[180:181]
	s_delay_alu instid0(VALU_DEP_4) | instskip(SKIP_2) | instid1(VALU_DEP_4)
	v_min3_f32 v232, v4, v5, v232
	v_cvt_f32_f64_e32 v4, v[7:8]
	v_cvt_f32_f64_e32 v5, v[62:63]
	v_min3_f32 v114, v0, v1, v114
	s_delay_alu instid0(VALU_DEP_2)
	v_min3_f32 v245, v4, v5, v245
	v_cvt_f32_f64_e32 v4, v[86:87]
	v_cvt_f32_f64_e32 v5, v[72:73]
	s_waitcnt vmcnt(0)
	v_cvt_f32_f64_e32 v27, v[20:21]
	scratch_load_b64 v[20:21], off, off offset:96 ; 8-byte Folded Reload
	v_min3_f32 v138, v24, v27, v138
	s_waitcnt vmcnt(0)
	v_cvt_f32_f64_e32 v24, v[20:21]
	scratch_load_b64 v[20:21], off, off offset:40 ; 8-byte Folded Reload
	s_waitcnt vmcnt(0)
	v_cvt_f32_f64_e32 v27, v[20:21]
	scratch_load_b64 v[20:21], off, off offset:72 ; 8-byte Folded Reload
	v_min3_f32 v137, v24, v27, v137
	s_waitcnt vmcnt(0)
	v_cvt_f32_f64_e32 v24, v[20:21]
	scratch_load_b64 v[20:21], off, off offset:16 ; 8-byte Folded Reload
	;; [unrolled: 7-line block ×14, first 2 shown]
	s_waitcnt vmcnt(0)
	v_cvt_f32_f64_e32 v27, v[20:21]
	v_cvt_f32_f64_e32 v20, v[38:39]
	;; [unrolled: 1-line block ×3, first 2 shown]
	s_delay_alu instid0(VALU_DEP_3) | instskip(SKIP_3) | instid1(VALU_DEP_1)
	v_min3_f32 v121, v24, v27, v121
	v_cvt_f32_f64_e32 v27, v[36:37]
	scratch_load_b64 v[36:37], off, off offset:280 ; 8-byte Folded Reload
	v_cvt_f32_f64_e32 v24, v[100:101]
	v_min3_f32 v218, v24, v27, v218
	v_cvt_f32_f64_e32 v24, v[102:103]
	s_delay_alu instid0(VALU_DEP_1) | instskip(SKIP_1) | instid1(VALU_DEP_1)
	v_min3_f32 v146, v24, v20, v146
	v_cvt_f32_f64_e32 v20, v[104:105]
	v_min3_f32 v228, v20, v21, v228
	v_cvt_f32_f64_e32 v20, v[186:187]
	v_cvt_f32_f64_e32 v21, v[106:107]
	s_delay_alu instid0(VALU_DEP_1)
	v_min3_f32 v229, v20, v21, v229
	v_cvt_f32_f64_e32 v20, v[42:43]
	s_waitcnt vmcnt(0)
	v_cvt_f32_f64_e32 v21, v[36:37]
	scratch_load_b64 v[36:37], off, off offset:264 ; 8-byte Folded Reload
	v_min3_f32 v47, v20, v21, v47
	v_cvt_f32_f64_e32 v20, v[64:65]
	s_waitcnt vmcnt(0)
	v_cvt_f32_f64_e32 v21, v[36:37]
	scratch_load_b64 v[36:37], off, off offset:256 ; 8-byte Folded Reload
	v_min3_f32 v46, v20, v21, v46
	scratch_load_b64 v[20:21], off, off offset:288 ; 8-byte Folded Reload
	s_waitcnt vmcnt(0)
	v_cvt_f32_f64_e32 v20, v[20:21]
	v_cvt_f32_f64_e32 v21, v[36:37]
	scratch_load_b64 v[36:37], off, off offset:248 ; 8-byte Folded Reload
	v_min3_f32 v9, v20, v21, v9
	scratch_load_b64 v[20:21], off, off offset:272 ; 8-byte Folded Reload
	s_waitcnt vmcnt(0)
	v_cvt_f32_f64_e32 v20, v[20:21]
	v_cvt_f32_f64_e32 v21, v[36:37]
	s_delay_alu instid0(VALU_DEP_1) | instskip(SKIP_2) | instid1(VALU_DEP_1)
	v_min3_f32 v84, v20, v21, v84
	v_cvt_f32_f64_e32 v20, v[220:221]
	v_cvt_f32_f64_e32 v21, v[40:41]
	v_min3_f32 v85, v20, v21, v85
	v_cvt_f32_f64_e32 v20, v[224:225]
	v_cvt_f32_f64_e32 v21, v[222:223]
	s_delay_alu instid0(VALU_DEP_1) | instskip(SKIP_2) | instid1(VALU_DEP_1)
	v_min3_f32 v51, v20, v21, v51
	v_cvt_f32_f64_e32 v20, v[34:35]
	v_cvt_f32_f64_e32 v21, v[226:227]
	v_min3_f32 v50, v20, v21, v50
	;; [unrolled: 7-line block ×3, first 2 shown]
	v_cvt_f32_f64_e32 v20, v[112:113]
	v_cvt_f32_f64_e32 v21, v[118:119]
	s_delay_alu instid0(VALU_DEP_1)
	v_min3_f32 v53, v20, v21, v53
	v_cvt_f32_f64_e32 v21, v[242:243]
	v_mov_b32_e32 v243, v237
	v_dual_mov_b32 v237, v126 :: v_dual_mov_b32 v126, v241
	scratch_load_b32 v241, off, off         ; 4-byte Folded Reload
	v_cvt_f32_f64_e32 v20, v[108:109]
	v_min3_f32 v126, v4, v5, v126
	v_cvt_f32_f64_e32 v4, v[90:91]
	v_cvt_f32_f64_e32 v5, v[88:89]
	s_delay_alu instid0(VALU_DEP_4) | instskip(SKIP_2) | instid1(VALU_DEP_4)
	v_min3_f32 v52, v20, v21, v52
	v_cvt_f32_f64_e32 v20, v[248:249]
	v_cvt_f32_f64_e32 v21, v[110:111]
	v_min3_f32 v238, v4, v5, v238
	v_cvt_f32_f64_e32 v4, v[94:95]
	v_cvt_f32_f64_e32 v5, v[92:93]
	s_delay_alu instid0(VALU_DEP_4) | instskip(SKIP_2) | instid1(VALU_DEP_4)
	v_min3_f32 v141, v20, v21, v141
	v_cvt_f32_f64_e32 v20, v[252:253]
	;; [unrolled: 7-line block ×4, first 2 shown]
	v_cvt_f32_f64_e32 v21, v[12:13]
	v_min3_f32 v127, v4, v5, v127
	v_cvt_f32_f64_e32 v4, v[216:217]
	v_cvt_f32_f64_e32 v5, v[204:205]
	s_delay_alu instid0(VALU_DEP_4) | instskip(NEXT) | instid1(VALU_DEP_2)
	v_min3_f32 v207, v20, v21, v207
	v_min3_f32 v239, v4, v5, v239
	v_cvt_f32_f64_e32 v4, v[212:213]
	v_cvt_f32_f64_e32 v5, v[200:201]
	s_delay_alu instid0(VALU_DEP_1) | instskip(SKIP_2) | instid1(VALU_DEP_1)
	v_min3_f32 v236, v4, v5, v236
	v_cvt_f32_f64_e32 v4, v[208:209]
	v_cvt_f32_f64_e32 v5, v[196:197]
	v_min3_f32 v219, v4, v5, v219
	v_cvt_f32_f64_e32 v4, v[202:203]
	v_cvt_f32_f64_e32 v5, v[192:193]
	s_delay_alu instid0(VALU_DEP_1) | instskip(SKIP_2) | instid1(VALU_DEP_1)
	v_min3_f32 v237, v4, v5, v237
	v_cvt_f32_f64_e32 v4, v[198:199]
	v_cvt_f32_f64_e32 v5, v[188:189]
	v_min3_f32 v194, v4, v5, v194
	v_cvt_f32_f64_e32 v4, v[154:155]
	v_cvt_f32_f64_e32 v5, v[156:157]
	s_delay_alu instid0(VALU_DEP_1)
	v_min3_f32 v125, v4, v5, v125
	s_cbranch_vccz .LBB169_13
; %bb.14:                               ;   in Loop: Header=BB169_12 Depth=1
	scratch_load_b32 v0, off, off offset:376 ; 4-byte Folded Reload
	v_mov_b32_e32 v83, v9
	s_mov_b32 s17, 0
	s_mov_b32 s16, -1
	v_mov_b32_e32 v230, v228
	s_waitcnt vmcnt(0)
	v_add_nc_u32_e32 v4, s13, v0
	s_delay_alu instid0(VALU_DEP_1) | instskip(SKIP_1) | instid1(VALU_DEP_1)
	v_mad_u64_u32 v[0:1], null, v4, s18, 0
	v_mad_u64_u32 v[2:3], null, v4, s19, 0
	v_mad_u64_u32 v[14:15], null, v4, s20, v[1:2]
	s_delay_alu instid0(VALU_DEP_1) | instskip(NEXT) | instid1(VALU_DEP_3)
	v_mov_b32_e32 v1, v14
	v_mad_u64_u32 v[15:16], null, v4, s21, v[3:4]
	s_clause 0x1
	scratch_load_b32 v4, off, off offset:384
	scratch_load_b64 v[5:6], off, off offset:332
	v_lshlrev_b64 v[0:1], 3, v[0:1]
	v_mov_b32_e32 v3, v15
	s_delay_alu instid0(VALU_DEP_1)
	v_lshlrev_b64 v[2:3], 3, v[2:3]
	s_waitcnt vmcnt(0)
	ds_store_b64 v4, v[5:6]
	s_clause 0x2
	scratch_load_b32 v4, off, off offset:380
	scratch_load_b64 v[5:6], off, off offset:340
	scratch_load_b64 v[7:8], off, off offset:348
	s_waitcnt vmcnt(0)
	ds_store_2addr_stride64_b64 v4, v[5:6], v[7:8] offset1:4
	s_clause 0x1
	scratch_load_b64 v[5:6], off, off offset:356
	scratch_load_b64 v[7:8], off, off offset:364
	s_waitcnt vmcnt(0)
	ds_store_2addr_stride64_b64 v4, v[5:6], v[7:8] offset0:8 offset1:12
	scratch_load_b32 v4, off, off offset:300 ; 4-byte Folded Reload
	s_waitcnt vmcnt(0)
	v_add_co_u32 v0, vcc_lo, v4, v0
	scratch_load_b32 v4, off, off offset:308 ; 4-byte Folded Reload
	s_waitcnt vmcnt(0)
	v_add_co_ci_u32_e32 v1, vcc_lo, v4, v1, vcc_lo
	scratch_load_b32 v4, off, off offset:316 ; 4-byte Folded Reload
	s_waitcnt vmcnt(0)
	v_add_co_u32 v2, vcc_lo, v4, v2
	scratch_load_b32 v4, off, off offset:324 ; 4-byte Folded Reload
	s_waitcnt vmcnt(0) lgkmcnt(0)
	s_waitcnt_vscnt null, 0x0
	s_barrier
	buffer_gl0_inv
	flat_load_b64 v[0:1], v[0:1]
	v_add_co_ci_u32_e32 v3, vcc_lo, v4, v3, vcc_lo
	s_waitcnt vmcnt(0) lgkmcnt(0)
	scratch_store_b64 off, v[0:1], off offset:288 ; 8-byte Folded Spill
	flat_load_b64 v[0:1], v[2:3]
	s_waitcnt vmcnt(0) lgkmcnt(0)
	scratch_store_b64 off, v[0:1], off offset:332 ; 8-byte Folded Spill
	flat_load_b64 v[0:1], v[2:3] offset:512
	s_waitcnt vmcnt(0) lgkmcnt(0)
	scratch_store_b64 off, v[0:1], off offset:340 ; 8-byte Folded Spill
	flat_load_b64 v[0:1], v[2:3] offset:1024
	;; [unrolled: 3-line block ×3, first 2 shown]
	s_waitcnt vmcnt(0) lgkmcnt(0)
	scratch_store_b64 off, v[0:1], off offset:356 ; 8-byte Folded Spill
.LBB169_15:                             ;   Parent Loop BB169_12 Depth=1
                                        ; =>  This Inner Loop Header: Depth=2
	s_lshl_b32 s17, s17, 3
	s_delay_alu instid0(VALU_DEP_2)
	v_dual_mov_b32 v234, v232 :: v_dual_mov_b32 v255, v114
	s_waitcnt vmcnt(0)
	v_lshl_add_u32 v24, v241, 5, s17
	v_lshl_add_u32 v4, v147, 5, s17
	v_mov_b32_e32 v220, v236
	v_mov_b32_e32 v248, v123
	ds_load_b128 v[42:45], v24
	ds_load_b128 v[0:3], v4 offset:16384
	ds_load_b128 v[150:153], v4 offset:16640
	;; [unrolled: 1-line block ×3, first 2 shown]
	v_mov_b32_e32 v114, v122
	s_mov_b32 s17, 2
	s_and_not1_b32 vcc_lo, exec_lo, s16
	s_mov_b32 s16, 0
	s_waitcnt lgkmcnt(2)
	v_add_f64 v[18:19], v[0:1], v[42:43]
	s_waitcnt lgkmcnt(1)
	v_add_f64 v[5:6], v[152:153], v[44:45]
	v_add_f64 v[72:73], v[2:3], v[44:45]
	s_delay_alu instid0(VALU_DEP_3)
	v_cvt_f32_f64_e32 v76, v[18:19]
	scratch_store_b64 off, v[5:6], off offset:8 ; 8-byte Folded Spill
	v_add_f64 v[5:6], v[150:151], v[42:43]
	v_cvt_f32_f64_e32 v72, v[72:73]
	scratch_store_b64 off, v[5:6], off offset:64 ; 8-byte Folded Spill
	ds_load_b128 v[158:161], v4 offset:16896
	ds_load_b128 v[162:165], v4 offset:17152
	v_min3_f32 v139, v76, v72, v139
	s_waitcnt lgkmcnt(1)
	v_add_f64 v[5:6], v[160:161], v[44:45]
	s_waitcnt lgkmcnt(0)
	v_add_f64 v[36:37], v[162:163], v[154:155]
	scratch_store_b64 off, v[5:6], off offset:40 ; 8-byte Folded Spill
	v_add_f64 v[5:6], v[158:159], v[42:43]
	scratch_store_b64 off, v[5:6], off offset:96 ; 8-byte Folded Spill
	;; [unrolled: 2-line block ×4, first 2 shown]
	ds_load_b128 v[166:169], v4 offset:17408
	ds_load_b128 v[170:173], v4 offset:17664
	s_waitcnt lgkmcnt(1)
	v_add_f64 v[5:6], v[168:169], v[44:45]
	s_waitcnt lgkmcnt(0)
	v_add_f64 v[34:35], v[170:171], v[154:155]
	v_add_f64 v[38:39], v[166:167], v[42:43]
	scratch_store_b64 off, v[5:6], off offset:48 ; 8-byte Folded Spill
	v_add_f64 v[5:6], v[172:173], v[44:45]
	v_cvt_f32_f64_e32 v38, v[38:39]
	v_cvt_f32_f64_e32 v34, v[34:35]
	scratch_store_b64 off, v[5:6], off offset:24 ; 8-byte Folded Spill
	v_add_f64 v[5:6], v[170:171], v[42:43]
	scratch_store_b64 off, v[5:6], off offset:80 ; 8-byte Folded Spill
	ds_load_b128 v[174:177], v4 offset:17920
	ds_load_b128 v[178:181], v4 offset:18176
	s_waitcnt lgkmcnt(1)
	v_add_f64 v[4:5], v[176:177], v[44:45]
	v_add_f64 v[32:33], v[174:175], v[154:155]
	scratch_store_b64 off, v[4:5], off offset:56 ; 8-byte Folded Spill
	v_add_f64 v[4:5], v[174:175], v[42:43]
	scratch_store_b64 off, v[4:5], off offset:104 ; 8-byte Folded Spill
	s_waitcnt lgkmcnt(0)
	v_add_f64 v[4:5], v[180:181], v[44:45]
	scratch_store_b64 off, v[4:5], off offset:32 ; 8-byte Folded Spill
	v_add_f64 v[4:5], v[178:179], v[42:43]
	scratch_store_b64 off, v[4:5], off offset:88 ; 8-byte Folded Spill
	;; [unrolled: 2-line block ×15, first 2 shown]
	ds_load_b128 v[154:157], v24 offset:2048
	ds_load_b128 v[182:185], v24 offset:3072
	s_waitcnt lgkmcnt(1)
	v_add_f64 v[4:5], v[160:161], v[156:157]
	v_add_f64 v[94:95], v[2:3], v[156:157]
	;; [unrolled: 1-line block ×8, first 2 shown]
	s_waitcnt lgkmcnt(0)
	v_add_f64 v[148:149], v[2:3], v[184:185]
	v_add_f64 v[28:29], v[0:1], v[182:183]
	;; [unrolled: 1-line block ×16, first 2 shown]
	scratch_store_b64 off, v[4:5], off offset:280 ; 8-byte Folded Spill
	v_add_f64 v[4:5], v[164:165], v[156:157]
	v_cvt_f32_f64_e32 v28, v[28:29]
	v_cvt_f32_f64_e32 v29, v[148:149]
	;; [unrolled: 1-line block ×4, first 2 shown]
	scratch_store_b64 off, v[4:5], off offset:264 ; 8-byte Folded Spill
	v_add_f64 v[4:5], v[168:169], v[156:157]
	v_min3_f32 v85, v28, v29, v85
	v_min3_f32 v51, v20, v21, v51
	scratch_store_b64 off, v[4:5], off offset:248 ; 8-byte Folded Spill
	v_add_f64 v[4:5], v[172:173], v[156:157]
	scratch_store_b64 off, v[4:5], off offset:232 ; 8-byte Folded Spill
	v_add_f64 v[4:5], v[170:171], v[154:155]
	;; [unrolled: 2-line block ×6, first 2 shown]
	scratch_store_b64 off, v[4:5], off offset:240 ; 8-byte Folded Spill
	ds_load_b128 v[154:157], v24 offset:4096
	ds_load_b128 v[182:185], v24 offset:5120
	s_waitcnt lgkmcnt(1)
	v_add_f64 v[216:217], v[2:3], v[156:157]
	v_add_f64 v[14:15], v[0:1], v[154:155]
	;; [unrolled: 1-line block ×16, first 2 shown]
	s_waitcnt lgkmcnt(0)
	v_add_f64 v[249:250], v[2:3], v[184:185]
	v_add_f64 v[251:252], v[0:1], v[182:183]
	;; [unrolled: 1-line block ×16, first 2 shown]
	ds_load_b128 v[154:157], v24 offset:6144
	ds_load_b128 v[182:185], v24 offset:7168
	scratch_load_b64 v[18:19], off, off offset:64 ; 8-byte Folded Reload
	s_waitcnt lgkmcnt(1)
	v_add_f64 v[24:25], v[2:3], v[156:157]
	v_add_f64 v[106:107], v[0:1], v[154:155]
	;; [unrolled: 1-line block ×6, first 2 shown]
	v_cvt_f32_f64_e32 v4, v[4:5]
	v_cvt_f32_f64_e32 v5, v[253:254]
	v_add_f64 v[112:113], v[164:165], v[156:157]
	v_add_f64 v[122:123], v[162:163], v[154:155]
	;; [unrolled: 1-line block ×7, first 2 shown]
	s_waitcnt lgkmcnt(0)
	v_add_f64 v[2:3], v[2:3], v[184:185]
	v_add_f64 v[0:1], v[0:1], v[182:183]
	;; [unrolled: 1-line block ×19, first 2 shown]
	v_min3_f32 v246, v4, v5, v246
	v_cvt_f32_f64_e32 v4, v[42:43]
	v_cvt_f32_f64_e32 v5, v[44:45]
	v_cvt_f32_f64_e32 v0, v[0:1]
	v_cvt_f32_f64_e32 v1, v[2:3]
	s_delay_alu instid0(VALU_DEP_3) | instskip(SKIP_2) | instid1(VALU_DEP_4)
	v_min3_f32 v247, v4, v5, v247
	v_cvt_f32_f64_e32 v4, v[16:17]
	v_cvt_f32_f64_e32 v5, v[40:41]
	v_min3_f32 v190, v0, v1, v190
	v_cvt_f32_f64_e32 v0, v[150:151]
	v_cvt_f32_f64_e32 v1, v[152:153]
	s_delay_alu instid0(VALU_DEP_1) | instskip(SKIP_2) | instid1(VALU_DEP_1)
	v_min3_f32 v124, v0, v1, v124
	v_cvt_f32_f64_e32 v0, v[158:159]
	v_cvt_f32_f64_e32 v1, v[160:161]
	v_min3_f32 v134, v0, v1, v134
	v_cvt_f32_f64_e32 v0, v[162:163]
	v_cvt_f32_f64_e32 v1, v[164:165]
	s_waitcnt vmcnt(0)
	v_cvt_f32_f64_e32 v72, v[18:19]
	scratch_load_b64 v[18:19], off, off offset:8 ; 8-byte Folded Reload
	s_waitcnt vmcnt(0)
	v_cvt_f32_f64_e32 v73, v[18:19]
	scratch_load_b64 v[18:19], off, off offset:96 ; 8-byte Folded Reload
	v_min3_f32 v138, v72, v73, v138
	s_waitcnt vmcnt(0)
	v_cvt_f32_f64_e32 v72, v[18:19]
	scratch_load_b64 v[18:19], off, off offset:40 ; 8-byte Folded Reload
	s_waitcnt vmcnt(0)
	v_cvt_f32_f64_e32 v73, v[18:19]
	scratch_load_b64 v[18:19], off, off offset:72 ; 8-byte Folded Reload
	v_min3_f32 v137, v72, v73, v137
	;; [unrolled: 7-line block ×3, first 2 shown]
	s_waitcnt vmcnt(0)
	v_cvt_f32_f64_e32 v39, v[18:19]
	scratch_load_b64 v[18:19], off, off offset:80 ; 8-byte Folded Reload
	v_min3_f32 v133, v38, v39, v133
	s_waitcnt vmcnt(0)
	v_cvt_f32_f64_e32 v38, v[18:19]
	scratch_load_b64 v[18:19], off, off offset:24 ; 8-byte Folded Reload
	s_waitcnt vmcnt(0)
	v_cvt_f32_f64_e32 v39, v[18:19]
	scratch_load_b64 v[18:19], off, off offset:104 ; 8-byte Folded Reload
	v_min3_f32 v132, v38, v39, v132
	s_waitcnt vmcnt(0)
	v_cvt_f32_f64_e32 v38, v[18:19]
	scratch_load_b64 v[18:19], off, off offset:56 ; 8-byte Folded Reload
	s_waitcnt vmcnt(0)
	v_cvt_f32_f64_e32 v39, v[18:19]
	scratch_load_b64 v[18:19], off, off offset:88 ; 8-byte Folded Reload
	v_min3_f32 v131, v38, v39, v131
	s_waitcnt vmcnt(0)
	v_cvt_f32_f64_e32 v38, v[18:19]
	scratch_load_b64 v[18:19], off, off offset:32 ; 8-byte Folded Reload
	s_waitcnt vmcnt(0)
	v_cvt_f32_f64_e32 v39, v[18:19]
	scratch_load_b64 v[18:19], off, off offset:120 ; 8-byte Folded Reload
	v_min3_f32 v130, v38, v39, v130
	s_waitcnt vmcnt(0)
	v_cvt_f32_f64_e32 v38, v[18:19]
	scratch_load_b64 v[18:19], off, off offset:112 ; 8-byte Folded Reload
	s_waitcnt vmcnt(0)
	v_cvt_f32_f64_e32 v39, v[18:19]
	scratch_load_b64 v[18:19], off, off offset:136 ; 8-byte Folded Reload
	v_min3_f32 v75, v38, v39, v75
	s_waitcnt vmcnt(0)
	v_cvt_f32_f64_e32 v38, v[18:19]
	scratch_load_b64 v[18:19], off, off offset:128 ; 8-byte Folded Reload
	s_waitcnt vmcnt(0)
	v_cvt_f32_f64_e32 v39, v[18:19]
	scratch_load_b64 v[18:19], off, off offset:152 ; 8-byte Folded Reload
	v_min3_f32 v74, v38, v39, v74
	s_waitcnt vmcnt(0)
	v_cvt_f32_f64_e32 v38, v[18:19]
	scratch_load_b64 v[18:19], off, off offset:144 ; 8-byte Folded Reload
	s_waitcnt vmcnt(0)
	v_cvt_f32_f64_e32 v39, v[18:19]
	scratch_load_b64 v[18:19], off, off offset:160 ; 8-byte Folded Reload
	v_min3_f32 v240, v38, v39, v240
	v_cvt_f32_f64_e32 v38, v[36:37]
	s_waitcnt vmcnt(0)
	v_cvt_f32_f64_e32 v36, v[18:19]
	scratch_load_b64 v[18:19], off, off offset:176 ; 8-byte Folded Reload
	v_min3_f32 v191, v38, v36, v191
	s_waitcnt vmcnt(0)
	v_cvt_f32_f64_e32 v36, v[18:19]
	scratch_load_b64 v[18:19], off, off offset:168 ; 8-byte Folded Reload
	s_waitcnt vmcnt(0)
	v_cvt_f32_f64_e32 v37, v[18:19]
	scratch_load_b64 v[18:19], off, off offset:184 ; 8-byte Folded Reload
	v_min3_f32 v135, v36, v37, v135
	s_waitcnt vmcnt(0)
	v_cvt_f32_f64_e32 v35, v[18:19]
	scratch_load_b64 v[18:19], off, off offset:192 ; 8-byte Folded Reload
	v_min3_f32 v195, v34, v35, v195
	v_cvt_f32_f64_e32 v34, v[32:33]
	s_waitcnt vmcnt(0)
	v_cvt_f32_f64_e32 v32, v[18:19]
	scratch_load_b64 v[18:19], off, off offset:208 ; 8-byte Folded Reload
	v_min3_f32 v233, v34, v32, v233
	s_waitcnt vmcnt(0)
	v_cvt_f32_f64_e32 v32, v[18:19]
	scratch_load_b64 v[18:19], off, off offset:200 ; 8-byte Folded Reload
	s_waitcnt vmcnt(0)
	v_cvt_f32_f64_e32 v33, v[18:19]
	scratch_load_b64 v[18:19], off, off offset:280 ; 8-byte Folded Reload
	v_min3_f32 v121, v32, v33, v121
	v_cvt_f32_f64_e32 v32, v[30:31]
	v_cvt_f32_f64_e32 v33, v[94:95]
	s_delay_alu instid0(VALU_DEP_1) | instskip(SKIP_2) | instid1(VALU_DEP_1)
	v_min3_f32 v218, v32, v33, v218
	v_cvt_f32_f64_e32 v32, v[90:91]
	v_cvt_f32_f64_e32 v33, v[96:97]
	v_min3_f32 v146, v32, v33, v146
	v_cvt_f32_f64_e32 v32, v[92:93]
	s_waitcnt vmcnt(0)
	v_cvt_f32_f64_e32 v33, v[18:19]
	scratch_load_b64 v[18:19], off, off offset:264 ; 8-byte Folded Reload
	v_min3_f32 v230, v32, v33, v230
	v_cvt_f32_f64_e32 v32, v[98:99]
	s_waitcnt vmcnt(0)
	v_cvt_f32_f64_e32 v33, v[18:19]
	scratch_load_b64 v[18:19], off, off offset:248 ; 8-byte Folded Reload
	;; [unrolled: 5-line block ×3, first 2 shown]
	v_min3_f32 v47, v32, v33, v47
	s_waitcnt vmcnt(0)
	v_cvt_f32_f64_e32 v30, v[18:19]
	scratch_load_b64 v[18:19], off, off offset:232 ; 8-byte Folded Reload
	s_waitcnt vmcnt(0)
	v_cvt_f32_f64_e32 v31, v[18:19]
	scratch_load_b64 v[18:19], off, off offset:256 ; 8-byte Folded Reload
	v_min3_f32 v46, v30, v31, v46
	s_waitcnt vmcnt(0)
	v_cvt_f32_f64_e32 v30, v[18:19]
	scratch_load_b64 v[18:19], off, off offset:224 ; 8-byte Folded Reload
	s_waitcnt vmcnt(0)
	v_cvt_f32_f64_e32 v31, v[18:19]
	scratch_load_b64 v[18:19], off, off offset:240 ; 8-byte Folded Reload
	v_min3_f32 v83, v30, v31, v83
	s_waitcnt vmcnt(0)
	v_cvt_f32_f64_e32 v30, v[18:19]
	scratch_load_b64 v[18:19], off, off offset:216 ; 8-byte Folded Reload
	s_waitcnt vmcnt(0)
	v_cvt_f32_f64_e32 v31, v[18:19]
	v_cvt_f32_f64_e32 v18, v[88:89]
	;; [unrolled: 1-line block ×3, first 2 shown]
	s_delay_alu instid0(VALU_DEP_3) | instskip(NEXT) | instid1(VALU_DEP_2)
	v_min3_f32 v84, v30, v31, v84
	v_min3_f32 v50, v18, v19, v50
	v_cvt_f32_f64_e32 v18, v[198:199]
	v_cvt_f32_f64_e32 v19, v[196:197]
	s_delay_alu instid0(VALU_DEP_1) | instskip(SKIP_2) | instid1(VALU_DEP_1)
	v_min3_f32 v49, v18, v19, v49
	v_cvt_f32_f64_e32 v18, v[202:203]
	v_cvt_f32_f64_e32 v19, v[200:201]
	v_min3_f32 v48, v18, v19, v48
	v_cvt_f32_f64_e32 v18, v[86:87]
	v_cvt_f32_f64_e32 v19, v[204:205]
	s_delay_alu instid0(VALU_DEP_1) | instskip(SKIP_2) | instid1(VALU_DEP_1)
	v_min3_f32 v53, v18, v19, v53
	v_cvt_f32_f64_e32 v18, v[210:211]
	v_cvt_f32_f64_e32 v19, v[208:209]
	v_min3_f32 v52, v18, v19, v52
	v_cvt_f32_f64_e32 v18, v[214:215]
	v_cvt_f32_f64_e32 v19, v[212:213]
	s_delay_alu instid0(VALU_DEP_1) | instskip(SKIP_4) | instid1(VALU_DEP_3)
	v_min3_f32 v141, v18, v19, v141
	v_cvt_f32_f64_e32 v18, v[14:15]
	v_cvt_f32_f64_e32 v19, v[216:217]
	;; [unrolled: 1-line block ×4, first 2 shown]
	v_min3_f32 v140, v18, v19, v140
	v_cvt_f32_f64_e32 v18, v[223:224]
	v_cvt_f32_f64_e32 v19, v[221:222]
	s_delay_alu instid0(VALU_DEP_1) | instskip(SKIP_2) | instid1(VALU_DEP_1)
	v_min3_f32 v143, v18, v19, v143
	v_cvt_f32_f64_e32 v18, v[227:228]
	v_cvt_f32_f64_e32 v19, v[225:226]
	v_min3_f32 v207, v18, v19, v207
	v_cvt_f32_f64_e32 v18, v[231:232]
	v_mov_b32_e32 v232, v234
	v_cvt_f32_f64_e32 v19, v[56:57]
	s_delay_alu instid0(VALU_DEP_2) | instskip(SKIP_2) | instid1(VALU_DEP_4)
	v_min3_f32 v232, v4, v5, v232
	v_cvt_f32_f64_e32 v4, v[186:187]
	v_cvt_f32_f64_e32 v5, v[100:101]
	v_min3_f32 v71, v18, v19, v71
	v_cvt_f32_f64_e32 v18, v[235:236]
	v_mov_b32_e32 v236, v220
	v_cvt_f32_f64_e32 v19, v[58:59]
	v_min3_f32 v245, v4, v5, v245
	v_cvt_f32_f64_e32 v4, v[12:13]
	v_cvt_f32_f64_e32 v5, v[102:103]
	s_delay_alu instid0(VALU_DEP_4) | instskip(SKIP_2) | instid1(VALU_DEP_4)
	v_min3_f32 v70, v18, v19, v70
	v_cvt_f32_f64_e32 v18, v[54:55]
	v_cvt_f32_f64_e32 v19, v[62:63]
	v_min3_f32 v126, v4, v5, v126
	v_cvt_f32_f64_e32 v4, v[10:11]
	v_cvt_f32_f64_e32 v5, v[104:105]
	s_delay_alu instid0(VALU_DEP_4) | instskip(SKIP_1) | instid1(VALU_DEP_3)
	v_min3_f32 v69, v18, v19, v69
	v_cvt_f32_f64_e32 v18, v[60:61]
	v_min3_f32 v238, v4, v5, v238
	v_cvt_f32_f64_e32 v4, v[26:27]
	v_cvt_f32_f64_e32 v5, v[22:23]
	s_delay_alu instid0(VALU_DEP_4) | instskip(SKIP_1) | instid1(VALU_DEP_3)
	v_min3_f32 v68, v18, v14, v68
	v_cvt_f32_f64_e32 v14, v[77:78]
	v_min3_f32 v243, v4, v5, v243
	v_cvt_f32_f64_e32 v4, v[106:107]
	v_cvt_f32_f64_e32 v5, v[24:25]
	s_delay_alu instid0(VALU_DEP_4) | instskip(SKIP_2) | instid1(VALU_DEP_4)
	v_min3_f32 v142, v14, v15, v142
	v_cvt_f32_f64_e32 v14, v[251:252]
	v_cvt_f32_f64_e32 v15, v[249:250]
	v_min3_f32 v244, v4, v5, v244
	v_cvt_f32_f64_e32 v4, v[66:67]
	v_cvt_f32_f64_e32 v5, v[64:65]
	s_delay_alu instid0(VALU_DEP_4) | instskip(NEXT) | instid1(VALU_DEP_2)
	v_min3_f32 v206, v14, v15, v206
	v_min3_f32 v127, v4, v5, v127
	v_cvt_f32_f64_e32 v4, v[110:111]
	v_cvt_f32_f64_e32 v5, v[108:109]
	s_delay_alu instid0(VALU_DEP_1)
	v_min3_f32 v239, v4, v5, v239
	v_cvt_f32_f64_e32 v4, v[122:123]
	v_mov_b32_e32 v123, v248
	v_cvt_f32_f64_e32 v5, v[112:113]
	v_mov_b32_e32 v122, v114
	v_mov_b32_e32 v114, v255
	s_delay_alu instid0(VALU_DEP_4)
	v_min3_f32 v123, v0, v1, v123
	v_cvt_f32_f64_e32 v0, v[166:167]
	v_cvt_f32_f64_e32 v1, v[168:169]
	v_min3_f32 v236, v4, v5, v236
	v_cvt_f32_f64_e32 v4, v[118:119]
	v_cvt_f32_f64_e32 v5, v[116:117]
	s_delay_alu instid0(VALU_DEP_4) | instskip(SKIP_2) | instid1(VALU_DEP_4)
	v_min3_f32 v122, v0, v1, v122
	v_cvt_f32_f64_e32 v0, v[170:171]
	v_cvt_f32_f64_e32 v1, v[172:173]
	v_min3_f32 v219, v4, v5, v219
	v_cvt_f32_f64_e32 v4, v[128:129]
	v_cvt_f32_f64_e32 v5, v[6:7]
	s_delay_alu instid0(VALU_DEP_4) | instskip(SKIP_2) | instid1(VALU_DEP_4)
	v_min3_f32 v120, v0, v1, v120
	v_cvt_f32_f64_e32 v0, v[174:175]
	v_cvt_f32_f64_e32 v1, v[176:177]
	v_min3_f32 v237, v4, v5, v237
	v_cvt_f32_f64_e32 v4, v[241:242]
	scratch_load_b32 v241, off, off         ; 4-byte Folded Reload
	v_cvt_f32_f64_e32 v5, v[8:9]
	v_min3_f32 v115, v0, v1, v115
	v_cvt_f32_f64_e32 v0, v[178:179]
	v_cvt_f32_f64_e32 v1, v[180:181]
	s_delay_alu instid0(VALU_DEP_4) | instskip(SKIP_2) | instid1(VALU_DEP_4)
	v_min3_f32 v194, v4, v5, v194
	v_cvt_f32_f64_e32 v4, v[154:155]
	v_cvt_f32_f64_e32 v5, v[156:157]
	v_min3_f32 v114, v0, v1, v114
	s_delay_alu instid0(VALU_DEP_2)
	v_min3_f32 v125, v4, v5, v125
	s_cbranch_vccz .LBB169_15
; %bb.16:                               ;   in Loop: Header=BB169_12 Depth=1
	s_clause 0x1
	scratch_load_b32 v0, off, off offset:388
	scratch_load_b64 v[1:2], off, off offset:288
	s_add_i32 s14, s14, 8
	s_add_i32 s13, s13, 8
	s_cmp_ge_i32 s14, s12
	s_waitcnt vmcnt(0)
	ds_store_b64 v0, v[1:2]
	s_clause 0x2
	scratch_load_b32 v0, off, off offset:392
	scratch_load_b64 v[1:2], off, off offset:332
	scratch_load_b64 v[3:4], off, off offset:340
	s_waitcnt vmcnt(0)
	ds_store_2addr_stride64_b64 v0, v[1:2], v[3:4] offset1:4
	s_clause 0x1
	scratch_load_b64 v[1:2], off, off offset:348
	scratch_load_b64 v[3:4], off, off offset:356
	s_waitcnt vmcnt(0)
	ds_store_2addr_stride64_b64 v0, v[1:2], v[3:4] offset0:8 offset1:12
	s_waitcnt lgkmcnt(0)
	s_waitcnt_vscnt null, 0x0
	s_barrier
	buffer_gl0_inv
	s_cbranch_scc0 .LBB169_12
; %bb.17:
	v_dual_mov_b32 v196, v68 :: v_dual_mov_b32 v105, v146
	v_mov_b32_e32 v198, v70
	v_mov_b32_e32 v200, v142
	;; [unrolled: 1-line block ×3, first 2 shown]
	s_branch .LBB169_19
.LBB169_18:
	v_dual_mov_b32 v50, v208 :: v_dual_mov_b32 v207, v199
	v_mov_b32_e32 v48, v205
	v_mov_b32_e32 v52, v204
	;; [unrolled: 1-line block ×3, first 2 shown]
.LBB169_19:
	v_dual_mov_b32 v100, v47 :: v_dual_mov_b32 v101, v229
	v_dual_mov_b32 v72, v245 :: v_dual_mov_b32 v199, v71
	;; [unrolled: 1-line block ×3, first 2 shown]
	s_delay_alu instid0(VALU_DEP_4)
	v_dual_mov_b32 v201, v143 :: v_dual_mov_b32 v128, v140
	v_dual_mov_b32 v129, v141 :: v_dual_mov_b32 v106, v52
	;; [unrolled: 1-line block ×4, first 2 shown]
	v_mov_b32_e32 v104, v230
	s_mov_b32 s13, 0
	s_mov_b32 s12, -1
.LBB169_20:                             ; =>This Inner Loop Header: Depth=1
	s_lshl_b32 s13, s13, 3
	v_mov_b32_e32 v109, v51
	s_waitcnt vmcnt(0)
	v_lshl_add_u32 v4, v241, 5, s13
	v_lshl_add_u32 v5, v147, 5, s13
	v_dual_mov_b32 v255, v114 :: v_dual_mov_b32 v248, v123
	v_mov_b32_e32 v114, v122
	ds_load_b128 v[32:35], v4 offset:8192
	ds_load_b128 v[0:3], v5 offset:18432
	;; [unrolled: 1-line block ×4, first 2 shown]
	v_mov_b32_e32 v73, v232
	v_mov_b32_e32 v220, v236
	s_mov_b32 s13, 2
	s_and_not1_b32 vcc_lo, exec_lo, s12
	s_mov_b32 s12, 0
	s_waitcnt lgkmcnt(1)
	v_add_f64 v[6:7], v[50:51], v[34:35]
	v_add_f64 v[64:65], v[2:3], v[34:35]
	;; [unrolled: 1-line block ×3, first 2 shown]
	scratch_store_b64 off, v[6:7], off offset:8 ; 8-byte Folded Spill
	v_add_f64 v[6:7], v[48:49], v[32:33]
	v_cvt_f32_f64_e32 v66, v[66:67]
	v_cvt_f32_f64_e32 v64, v[64:65]
	scratch_store_b64 off, v[6:7], off offset:64 ; 8-byte Folded Spill
	ds_load_b128 v[140:143], v5 offset:18944
	ds_load_b128 v[144:147], v5 offset:19200
	v_min3_f32 v139, v66, v64, v139
	s_waitcnt lgkmcnt(1)
	v_add_f64 v[6:7], v[142:143], v[34:35]
	v_add_f64 v[62:63], v[140:141], v[32:33]
	scratch_store_b64 off, v[6:7], off offset:40 ; 8-byte Folded Spill
	s_waitcnt lgkmcnt(0)
	v_add_f64 v[6:7], v[146:147], v[34:35]
	v_cvt_f32_f64_e32 v62, v[62:63]
	scratch_store_b64 off, v[6:7], off offset:16 ; 8-byte Folded Spill
	v_add_f64 v[6:7], v[144:145], v[32:33]
	scratch_store_b64 off, v[6:7], off offset:72 ; 8-byte Folded Spill
	ds_load_b128 v[148:151], v5 offset:19456
	ds_load_b128 v[152:155], v5 offset:19712
	s_waitcnt lgkmcnt(1)
	v_add_f64 v[6:7], v[150:151], v[34:35]
	s_waitcnt lgkmcnt(0)
	v_add_f64 v[28:29], v[152:153], v[68:69]
	scratch_store_b64 off, v[6:7], off offset:48 ; 8-byte Folded Spill
	v_add_f64 v[6:7], v[148:149], v[32:33]
	v_cvt_f32_f64_e32 v28, v[28:29]
	scratch_store_b64 off, v[6:7], off offset:96 ; 8-byte Folded Spill
	v_add_f64 v[6:7], v[154:155], v[34:35]
	scratch_store_b64 off, v[6:7], off offset:24 ; 8-byte Folded Spill
	v_add_f64 v[6:7], v[152:153], v[32:33]
	scratch_store_b64 off, v[6:7], off offset:80 ; 8-byte Folded Spill
	ds_load_b128 v[156:159], v5 offset:19968
	ds_load_b128 v[160:163], v5 offset:20224
	s_waitcnt lgkmcnt(1)
	v_add_f64 v[5:6], v[158:159], v[34:35]
	v_add_f64 v[30:31], v[156:157], v[32:33]
	scratch_store_b64 off, v[5:6], off offset:56 ; 8-byte Folded Spill
	s_waitcnt lgkmcnt(0)
	v_add_f64 v[5:6], v[162:163], v[34:35]
	v_cvt_f32_f64_e32 v30, v[30:31]
	scratch_store_b64 off, v[5:6], off offset:32 ; 8-byte Folded Spill
	v_add_f64 v[5:6], v[160:161], v[32:33]
	scratch_store_b64 off, v[5:6], off offset:88 ; 8-byte Folded Spill
	v_add_f64 v[5:6], v[2:3], v[70:71]
	;; [unrolled: 2-line block ×16, first 2 shown]
	scratch_store_b64 off, v[5:6], off offset:216 ; 8-byte Folded Spill
	ds_load_b128 v[68:71], v4 offset:10240
	ds_load_b128 v[164:167], v4 offset:11264
	s_waitcnt lgkmcnt(1)
	v_add_f64 v[5:6], v[146:147], v[70:71]
	v_add_f64 v[90:91], v[2:3], v[70:71]
	;; [unrolled: 1-line block ×9, first 2 shown]
	s_waitcnt lgkmcnt(0)
	v_add_f64 v[110:111], v[2:3], v[166:167]
	v_add_f64 v[112:113], v[0:1], v[164:165]
	;; [unrolled: 1-line block ×16, first 2 shown]
	scratch_store_b64 off, v[5:6], off offset:272 ; 8-byte Folded Spill
	v_add_f64 v[5:6], v[150:151], v[70:71]
	scratch_store_b64 off, v[5:6], off offset:256 ; 8-byte Folded Spill
	v_add_f64 v[5:6], v[154:155], v[70:71]
	;; [unrolled: 2-line block ×7, first 2 shown]
	scratch_store_b64 off, v[5:6], off offset:248 ; 8-byte Folded Spill
	ds_load_b128 v[68:71], v4 offset:12288
	ds_load_b128 v[164:167], v4 offset:13312
	s_waitcnt lgkmcnt(1)
	v_add_f64 v[186:187], v[2:3], v[70:71]
	v_add_f64 v[188:189], v[0:1], v[68:69]
	;; [unrolled: 1-line block ×16, first 2 shown]
	s_waitcnt lgkmcnt(0)
	v_add_f64 v[46:47], v[2:3], v[166:167]
	v_add_f64 v[221:222], v[0:1], v[164:165]
	;; [unrolled: 1-line block ×16, first 2 shown]
	ds_load_b128 v[68:71], v4 offset:14336
	ds_load_b128 v[164:167], v4 offset:15360
	scratch_load_b64 v[64:65], off, off offset:64 ; 8-byte Folded Reload
	s_waitcnt lgkmcnt(1)
	v_add_f64 v[8:9], v[50:51], v[70:71]
	s_waitcnt lgkmcnt(0)
	v_add_f64 v[76:77], v[50:51], v[166:167]
	v_mov_b32_e32 v51, v109
	v_add_f64 v[251:252], v[2:3], v[70:71]
	v_add_f64 v[253:254], v[0:1], v[68:69]
	;; [unrolled: 1-line block ×30, first 2 shown]
	v_cvt_f32_f64_e32 v0, v[0:1]
	v_cvt_f32_f64_e32 v1, v[2:3]
	;; [unrolled: 1-line block ×4, first 2 shown]
	s_delay_alu instid0(VALU_DEP_3) | instskip(SKIP_2) | instid1(VALU_DEP_4)
	v_min3_f32 v190, v0, v1, v190
	v_cvt_f32_f64_e32 v0, v[48:49]
	v_cvt_f32_f64_e32 v1, v[76:77]
	v_min3_f32 v127, v4, v5, v127
	v_cvt_f32_f64_e32 v4, v[6:7]
	v_cvt_f32_f64_e32 v5, v[12:13]
	s_delay_alu instid0(VALU_DEP_4) | instskip(SKIP_2) | instid1(VALU_DEP_4)
	v_min3_f32 v124, v0, v1, v124
	v_cvt_f32_f64_e32 v0, v[140:141]
	v_cvt_f32_f64_e32 v1, v[142:143]
	v_min3_f32 v239, v4, v5, v239
	v_cvt_f32_f64_e32 v4, v[10:11]
	v_cvt_f32_f64_e32 v5, v[16:17]
	s_delay_alu instid0(VALU_DEP_4)
	v_min3_f32 v134, v0, v1, v134
	v_cvt_f32_f64_e32 v1, v[146:147]
	v_cvt_f32_f64_e32 v0, v[144:145]
	scratch_load_b32 v147, off, off offset:296 ; 4-byte Folded Reload
	s_waitcnt vmcnt(1)
	v_cvt_f32_f64_e32 v64, v[64:65]
	scratch_load_b64 v[65:66], off, off offset:8 ; 8-byte Folded Reload
	s_waitcnt vmcnt(0)
	v_cvt_f32_f64_e32 v65, v[65:66]
	s_delay_alu instid0(VALU_DEP_1) | instskip(SKIP_3) | instid1(VALU_DEP_1)
	v_min3_f32 v138, v64, v65, v138
	scratch_load_b64 v[63:64], off, off offset:40 ; 8-byte Folded Reload
	s_waitcnt vmcnt(0)
	v_cvt_f32_f64_e32 v63, v[63:64]
	v_min3_f32 v137, v62, v63, v137
	scratch_load_b64 v[62:63], off, off offset:72 ; 8-byte Folded Reload
	s_waitcnt vmcnt(0)
	v_cvt_f32_f64_e32 v62, v[62:63]
	scratch_load_b64 v[63:64], off, off offset:16 ; 8-byte Folded Reload
	s_waitcnt vmcnt(0)
	v_cvt_f32_f64_e32 v63, v[63:64]
	s_delay_alu instid0(VALU_DEP_1)
	v_min3_f32 v136, v62, v63, v136
	scratch_load_b64 v[62:63], off, off offset:96 ; 8-byte Folded Reload
	s_waitcnt vmcnt(0)
	v_cvt_f32_f64_e32 v62, v[62:63]
	scratch_load_b64 v[63:64], off, off offset:48 ; 8-byte Folded Reload
	s_waitcnt vmcnt(0)
	v_cvt_f32_f64_e32 v63, v[63:64]
	s_delay_alu instid0(VALU_DEP_1)
	;; [unrolled: 8-line block ×3, first 2 shown]
	v_min3_f32 v132, v62, v63, v132
	scratch_load_b64 v[62:63], off, off offset:56 ; 8-byte Folded Reload
	s_waitcnt vmcnt(0)
	v_cvt_f32_f64_e32 v31, v[62:63]
	scratch_load_b64 v[62:63], off, off offset:32 ; 8-byte Folded Reload
	v_min3_f32 v131, v30, v31, v131
	scratch_load_b64 v[30:31], off, off offset:88 ; 8-byte Folded Reload
	s_waitcnt vmcnt(0)
	v_cvt_f32_f64_e32 v30, v[30:31]
	v_cvt_f32_f64_e32 v31, v[62:63]
	scratch_load_b64 v[62:63], off, off offset:104 ; 8-byte Folded Reload
	v_min3_f32 v130, v30, v31, v130
	scratch_load_b64 v[30:31], off, off offset:112 ; 8-byte Folded Reload
	s_waitcnt vmcnt(0)
	v_cvt_f32_f64_e32 v30, v[30:31]
	;; [unrolled: 6-line block ×6, first 2 shown]
	v_cvt_f32_f64_e32 v31, v[62:63]
	s_delay_alu instid0(VALU_DEP_1) | instskip(SKIP_3) | instid1(VALU_DEP_1)
	v_min3_f32 v135, v30, v31, v135
	scratch_load_b64 v[29:30], off, off offset:184 ; 8-byte Folded Reload
	s_waitcnt vmcnt(0)
	v_cvt_f32_f64_e32 v29, v[29:30]
	v_min3_f32 v195, v28, v29, v195
	scratch_load_b64 v[28:29], off, off offset:200 ; 8-byte Folded Reload
	s_waitcnt vmcnt(0)
	v_cvt_f32_f64_e32 v28, v[28:29]
	scratch_load_b64 v[29:30], off, off offset:192 ; 8-byte Folded Reload
	s_waitcnt vmcnt(0)
	v_cvt_f32_f64_e32 v29, v[29:30]
	s_delay_alu instid0(VALU_DEP_1)
	v_min3_f32 v233, v28, v29, v233
	scratch_load_b64 v[28:29], off, off offset:216 ; 8-byte Folded Reload
	s_waitcnt vmcnt(0)
	v_cvt_f32_f64_e32 v28, v[28:29]
	scratch_load_b64 v[29:30], off, off offset:208 ; 8-byte Folded Reload
	s_waitcnt vmcnt(0)
	v_cvt_f32_f64_e32 v29, v[29:30]
	s_delay_alu instid0(VALU_DEP_1) | instskip(SKIP_2) | instid1(VALU_DEP_1)
	v_min3_f32 v121, v28, v29, v121
	v_cvt_f32_f64_e32 v28, v[80:81]
	v_cvt_f32_f64_e32 v29, v[90:91]
	v_min3_f32 v218, v28, v29, v218
	v_cvt_f32_f64_e32 v28, v[86:87]
	v_cvt_f32_f64_e32 v29, v[94:95]
	s_delay_alu instid0(VALU_DEP_1) | instskip(SKIP_2) | instid1(VALU_DEP_1)
	v_min3_f32 v105, v28, v29, v105
	v_cvt_f32_f64_e32 v28, v[88:89]
	v_cvt_f32_f64_e32 v29, v[98:99]
	v_min3_f32 v104, v28, v29, v104
	scratch_load_b64 v[29:30], off, off offset:272 ; 8-byte Folded Reload
	v_cvt_f32_f64_e32 v28, v[92:93]
	s_waitcnt vmcnt(0)
	v_cvt_f32_f64_e32 v29, v[29:30]
	s_delay_alu instid0(VALU_DEP_1) | instskip(SKIP_4) | instid1(VALU_DEP_1)
	v_min3_f32 v101, v28, v29, v101
	scratch_load_b64 v[29:30], off, off offset:256 ; 8-byte Folded Reload
	v_cvt_f32_f64_e32 v28, v[96:97]
	s_waitcnt vmcnt(0)
	v_cvt_f32_f64_e32 v29, v[29:30]
	v_min3_f32 v100, v28, v29, v100
	scratch_load_b64 v[28:29], off, off offset:280 ; 8-byte Folded Reload
	s_waitcnt vmcnt(0)
	v_cvt_f32_f64_e32 v28, v[28:29]
	scratch_load_b64 v[29:30], off, off offset:240 ; 8-byte Folded Reload
	s_waitcnt vmcnt(0)
	v_cvt_f32_f64_e32 v29, v[29:30]
	s_delay_alu instid0(VALU_DEP_1)
	v_min3_f32 v82, v28, v29, v82
	scratch_load_b64 v[28:29], off, off offset:264 ; 8-byte Folded Reload
	s_waitcnt vmcnt(0)
	v_cvt_f32_f64_e32 v28, v[28:29]
	scratch_load_b64 v[29:30], off, off offset:232 ; 8-byte Folded Reload
	s_waitcnt vmcnt(0)
	v_cvt_f32_f64_e32 v29, v[29:30]
	s_delay_alu instid0(VALU_DEP_1)
	v_min3_f32 v83, v28, v29, v83
	scratch_load_b64 v[28:29], off, off offset:248 ; 8-byte Folded Reload
	s_waitcnt vmcnt(0)
	v_cvt_f32_f64_e32 v28, v[28:29]
	scratch_load_b64 v[29:30], off, off offset:224 ; 8-byte Folded Reload
	s_waitcnt vmcnt(0)
	v_cvt_f32_f64_e32 v29, v[29:30]
	s_delay_alu instid0(VALU_DEP_1) | instskip(SKIP_2) | instid1(VALU_DEP_1)
	v_min3_f32 v84, v28, v29, v84
	v_cvt_f32_f64_e32 v28, v[112:113]
	v_cvt_f32_f64_e32 v29, v[110:111]
	v_min3_f32 v85, v28, v29, v85
	v_cvt_f32_f64_e32 v28, v[116:117]
	v_cvt_f32_f64_e32 v29, v[122:123]
	v_dual_mov_b32 v122, v114 :: v_dual_mov_b32 v123, v248
	v_mov_b32_e32 v114, v255
	s_delay_alu instid0(VALU_DEP_2)
	v_min3_f32 v123, v0, v1, v123
	v_cvt_f32_f64_e32 v0, v[148:149]
	v_cvt_f32_f64_e32 v1, v[150:151]
	v_min3_f32 v51, v28, v29, v51
	v_cvt_f32_f64_e32 v28, v[60:61]
	v_cvt_f32_f64_e32 v29, v[118:119]
	s_delay_alu instid0(VALU_DEP_4) | instskip(SKIP_2) | instid1(VALU_DEP_4)
	v_min3_f32 v122, v0, v1, v122
	v_cvt_f32_f64_e32 v0, v[152:153]
	v_cvt_f32_f64_e32 v1, v[154:155]
	v_min3_f32 v108, v28, v29, v108
	v_cvt_f32_f64_e32 v28, v[168:169]
	v_cvt_f32_f64_e32 v29, v[78:79]
	s_delay_alu instid0(VALU_DEP_4) | instskip(SKIP_2) | instid1(VALU_DEP_4)
	;; [unrolled: 7-line block ×3, first 2 shown]
	v_min3_f32 v115, v0, v1, v115
	v_cvt_f32_f64_e32 v0, v[160:161]
	v_cvt_f32_f64_e32 v1, v[162:163]
	v_min3_f32 v102, v28, v29, v102
	v_cvt_f32_f64_e32 v28, v[176:177]
	v_cvt_f32_f64_e32 v29, v[174:175]
	s_delay_alu instid0(VALU_DEP_4) | instskip(NEXT) | instid1(VALU_DEP_2)
	v_min3_f32 v114, v0, v1, v114
	v_min3_f32 v107, v28, v29, v107
	v_cvt_f32_f64_e32 v28, v[180:181]
	v_cvt_f32_f64_e32 v29, v[178:179]
	s_delay_alu instid0(VALU_DEP_1) | instskip(SKIP_2) | instid1(VALU_DEP_1)
	v_min3_f32 v106, v28, v29, v106
	v_cvt_f32_f64_e32 v28, v[184:185]
	v_cvt_f32_f64_e32 v29, v[182:183]
	v_min3_f32 v129, v28, v29, v129
	v_cvt_f32_f64_e32 v28, v[188:189]
	v_cvt_f32_f64_e32 v29, v[186:187]
	s_delay_alu instid0(VALU_DEP_1) | instskip(SKIP_2) | instid1(VALU_DEP_1)
	v_min3_f32 v128, v28, v29, v128
	v_cvt_f32_f64_e32 v28, v[192:193]
	v_cvt_f32_f64_e32 v29, v[44:45]
	;; [unrolled: 7-line block ×6, first 2 shown]
	v_min3_f32 v234, v28, v29, v234
	v_cvt_f32_f64_e32 v28, v[229:230]
	v_cvt_f32_f64_e32 v29, v[227:228]
	s_delay_alu instid0(VALU_DEP_1) | instskip(SKIP_3) | instid1(VALU_DEP_1)
	v_min3_f32 v247, v28, v29, v247
	v_cvt_f32_f64_e32 v28, v[40:41]
	v_cvt_f32_f64_e32 v29, v[231:232]
	v_mov_b32_e32 v232, v73
	v_min3_f32 v232, v28, v29, v232
	v_cvt_f32_f64_e32 v28, v[38:39]
	v_cvt_f32_f64_e32 v29, v[235:236]
	v_mov_b32_e32 v236, v220
	s_delay_alu instid0(VALU_DEP_1)
	v_min3_f32 v236, v4, v5, v236
	v_cvt_f32_f64_e32 v4, v[14:15]
	v_cvt_f32_f64_e32 v5, v[20:21]
	v_min3_f32 v72, v28, v29, v72
	v_cvt_f32_f64_e32 v28, v[241:242]
	scratch_load_b32 v241, off, off         ; 4-byte Folded Reload
	v_cvt_f32_f64_e32 v29, v[36:37]
	v_min3_f32 v219, v4, v5, v219
	v_cvt_f32_f64_e32 v4, v[18:19]
	v_cvt_f32_f64_e32 v5, v[24:25]
	s_delay_alu instid0(VALU_DEP_4) | instskip(SKIP_2) | instid1(VALU_DEP_4)
	v_min3_f32 v126, v28, v29, v126
	v_cvt_f32_f64_e32 v28, v[245:246]
	v_cvt_f32_f64_e32 v29, v[34:35]
	v_min3_f32 v237, v4, v5, v237
	v_cvt_f32_f64_e32 v4, v[22:23]
	v_cvt_f32_f64_e32 v5, v[26:27]
	s_delay_alu instid0(VALU_DEP_4) | instskip(SKIP_2) | instid1(VALU_DEP_4)
	v_min3_f32 v238, v28, v29, v238
	v_cvt_f32_f64_e32 v28, v[249:250]
	;; [unrolled: 7-line block ×3, first 2 shown]
	v_cvt_f32_f64_e32 v29, v[251:252]
	v_min3_f32 v125, v4, v5, v125
	s_delay_alu instid0(VALU_DEP_2)
	v_min3_f32 v244, v28, v29, v244
	s_cbranch_vccz .LBB169_20
; %bb.21:
	s_clause 0x2
	s_load_b64 s[16:17], s[0:1], 0x78
	s_load_b32 s13, s[0:1], 0x70
	s_load_b32 s12, s[0:1], 0x58
	s_waitcnt vmcnt(0)
	v_add_nc_u32_e32 v18, s8, v241
	v_add_nc_u32_e32 v12, s9, v147
	v_mov_b32_e32 v40, v103
	v_mov_b32_e32 v36, v129
	;; [unrolled: 1-line block ×4, first 2 shown]
	v_ashrrev_i32_e32 v13, 31, v12
	v_add_nc_u32_e32 v2, 8, v12
	s_delay_alu instid0(VALU_DEP_1)
	v_ashrrev_i32_e32 v3, 31, v2
	s_waitcnt lgkmcnt(0)
	s_mul_i32 s0, s15, s17
	v_mad_i64_i32 v[0:1], null, v18, s13, 0
	v_mad_i64_i32 v[4:5], null, v18, s12, 0
	s_mul_hi_u32 s1, s15, s16
	s_mul_i32 s3, s3, s16
	s_add_i32 s1, s1, s0
	s_mul_i32 s0, s15, s16
	s_add_i32 s1, s1, s3
	s_delay_alu instid0(VALU_DEP_2)
	v_lshlrev_b64 v[6:7], 3, v[0:1]
	s_lshl_b64 s[0:1], s[0:1], 3
	v_lshlrev_b64 v[4:5], 3, v[4:5]
	s_add_u32 s3, s10, s0
	s_addc_u32 s8, s11, s1
	v_lshlrev_b64 v[0:1], 3, v[12:13]
	v_add_co_u32 v19, vcc_lo, s3, v6
	v_add_co_ci_u32_e32 v20, vcc_lo, s8, v7, vcc_lo
	v_add_co_u32 v16, vcc_lo, s4, v4
	v_add_co_ci_u32_e32 v17, vcc_lo, s5, v5, vcc_lo
	v_max_f32_e32 v4, v139, v139
	s_mov_b32 vcc_lo, s2
	s_cbranch_vccz .LBB169_23
; %bb.22:
	s_delay_alu instid0(VALU_DEP_1) | instskip(SKIP_2) | instid1(VALU_DEP_3)
	v_min_f32_e32 v5, 0, v4
	v_add_co_u32 v7, vcc_lo, v19, v0
	v_add_co_ci_u32_e32 v8, vcc_lo, v20, v1, vcc_lo
	v_cvt_f64_f32_e32 v[5:6], v5
	s_mov_b32 s9, 0
	s_mov_b64 s[0:1], 0
	global_store_b64 v[7:8], v[5:6], off
	s_branch .LBB169_24
.LBB169_23:
	s_mov_b32 s9, -1
                                        ; implicit-def: $sgpr0_sgpr1
.LBB169_24:
	v_lshlrev_b64 v[2:3], 3, v[2:3]
	v_dual_mov_b32 v30, v234 :: v_dual_mov_b32 v31, v197
	v_mov_b32_e32 v38, v107
	s_and_not1_b32 vcc_lo, exec_lo, s9
	s_cbranch_vccnz .LBB169_26
; %bb.25:
	v_add_co_u32 v5, vcc_lo, v16, v0
	v_add_co_ci_u32_e32 v6, vcc_lo, v17, v1, vcc_lo
	flat_load_b64 v[5:6], v[5:6]
	s_waitcnt vmcnt(0) lgkmcnt(0)
	v_mul_f64 v[5:6], v[5:6], s[6:7]
	s_delay_alu instid0(VALU_DEP_1)
	v_cvt_f32_f64_e32 v5, v[5:6]
	v_add_co_u32 v6, vcc_lo, v19, v0
	v_add_co_ci_u32_e32 v7, vcc_lo, v20, v1, vcc_lo
	v_add_co_u32 v8, vcc_lo, v16, v2
	v_add_co_ci_u32_e32 v9, vcc_lo, v17, v3, vcc_lo
	v_min_f32_e32 v4, v5, v4
	s_delay_alu instid0(VALU_DEP_1)
	v_cvt_f64_f32_e32 v[4:5], v4
	global_store_b64 v[6:7], v[4:5], off
	flat_load_b64 v[4:5], v[8:9]
	s_waitcnt vmcnt(0) lgkmcnt(0)
	v_mul_f64 v[4:5], v[4:5], s[6:7]
	s_branch .LBB169_27
.LBB169_26:
	v_dual_mov_b32 v5, s1 :: v_dual_mov_b32 v4, s0
.LBB169_27:
	s_delay_alu instid0(VALU_DEP_1) | instskip(SKIP_4) | instid1(VALU_DEP_4)
	v_cvt_f32_f64_e32 v4, v[4:5]
	v_dual_max_f32 v5, v138, v138 :: v_dual_add_nc_u32 v6, 24, v12
	v_add_co_u32 v13, vcc_lo, v19, v2
	v_add_co_ci_u32_e32 v14, vcc_lo, v20, v3, vcc_lo
	v_max_f32_e32 v8, v137, v137
	v_ashrrev_i32_e32 v7, 31, v6
	s_mov_b32 vcc_lo, s2
	v_min_f32_e32 v4, v4, v5
	s_delay_alu instid0(VALU_DEP_1) | instskip(SKIP_1) | instid1(VALU_DEP_1)
	v_cvt_f64_f32_e32 v[9:10], v4
	v_add_nc_u32_e32 v4, 16, v12
	v_ashrrev_i32_e32 v5, 31, v4
	s_delay_alu instid0(VALU_DEP_1)
	v_lshlrev_b64 v[4:5], 3, v[4:5]
	global_store_b64 v[13:14], v[9:10], off
	s_cbranch_vccz .LBB169_30
; %bb.28:
	v_min_f32_e32 v9, 0, v8
	v_add_co_u32 v13, vcc_lo, v19, v4
	v_add_co_ci_u32_e32 v14, vcc_lo, v20, v5, vcc_lo
	s_delay_alu instid0(VALU_DEP_3)
	v_cvt_f64_f32_e32 v[9:10], v9
	s_mov_b64 s[0:1], 0
	global_store_b64 v[13:14], v[9:10], off
	v_lshlrev_b64 v[6:7], 3, v[6:7]
	s_cbranch_execz .LBB169_31
; %bb.29:
	v_dual_mov_b32 v9, s1 :: v_dual_mov_b32 v8, s0
	s_branch .LBB169_32
.LBB169_30:
                                        ; implicit-def: $sgpr0_sgpr1
	v_lshlrev_b64 v[6:7], 3, v[6:7]
.LBB169_31:
	v_add_co_u32 v9, vcc_lo, v16, v4
	v_add_co_ci_u32_e32 v10, vcc_lo, v17, v5, vcc_lo
	flat_load_b64 v[9:10], v[9:10]
	s_waitcnt vmcnt(0) lgkmcnt(0)
	v_mul_f64 v[9:10], v[9:10], s[6:7]
	s_delay_alu instid0(VALU_DEP_1)
	v_cvt_f32_f64_e32 v9, v[9:10]
	v_add_co_u32 v10, vcc_lo, v19, v4
	v_add_co_ci_u32_e32 v11, vcc_lo, v20, v5, vcc_lo
	v_add_co_u32 v13, vcc_lo, v16, v6
	v_add_co_ci_u32_e32 v14, vcc_lo, v17, v7, vcc_lo
	v_min_f32_e32 v8, v9, v8
	s_delay_alu instid0(VALU_DEP_1)
	v_cvt_f64_f32_e32 v[8:9], v8
	global_store_b64 v[10:11], v[8:9], off
	flat_load_b64 v[8:9], v[13:14]
	s_waitcnt vmcnt(0) lgkmcnt(0)
	v_mul_f64 v[8:9], v[8:9], s[6:7]
.LBB169_32:
	s_delay_alu instid0(VALU_DEP_1) | instskip(SKIP_4) | instid1(VALU_DEP_3)
	v_cvt_f32_f64_e32 v8, v[8:9]
	v_max_f32_e32 v9, v136, v136
	v_add_nc_u32_e32 v10, 40, v12
	v_add_co_u32 v21, vcc_lo, v19, v6
	v_add_co_ci_u32_e32 v22, vcc_lo, v20, v7, vcc_lo
	v_ashrrev_i32_e32 v11, 31, v10
	s_mov_b32 vcc_lo, s2
	v_max_f32_e32 v13, v133, v133
	v_min_f32_e32 v8, v8, v9
	s_delay_alu instid0(VALU_DEP_1) | instskip(SKIP_1) | instid1(VALU_DEP_1)
	v_cvt_f64_f32_e32 v[14:15], v8
	v_add_nc_u32_e32 v8, 32, v12
	v_ashrrev_i32_e32 v9, 31, v8
	s_delay_alu instid0(VALU_DEP_1)
	v_lshlrev_b64 v[8:9], 3, v[8:9]
	global_store_b64 v[21:22], v[14:15], off
	s_cbranch_vccz .LBB169_35
; %bb.33:
	v_min_f32_e32 v14, 0, v13
	v_add_co_u32 v21, vcc_lo, v19, v8
	v_add_co_ci_u32_e32 v22, vcc_lo, v20, v9, vcc_lo
	s_delay_alu instid0(VALU_DEP_3)
	v_cvt_f64_f32_e32 v[14:15], v14
	s_mov_b64 s[0:1], 0
	global_store_b64 v[21:22], v[14:15], off
	v_lshlrev_b64 v[10:11], 3, v[10:11]
	s_cbranch_execz .LBB169_36
; %bb.34:
	v_dual_mov_b32 v14, s1 :: v_dual_mov_b32 v13, s0
	s_branch .LBB169_37
.LBB169_35:
                                        ; implicit-def: $sgpr0_sgpr1
	v_lshlrev_b64 v[10:11], 3, v[10:11]
.LBB169_36:
	v_add_co_u32 v14, vcc_lo, v16, v8
	v_add_co_ci_u32_e32 v15, vcc_lo, v17, v9, vcc_lo
	v_add_co_u32 v21, vcc_lo, v19, v8
	v_add_co_ci_u32_e32 v22, vcc_lo, v20, v9, vcc_lo
	flat_load_b64 v[14:15], v[14:15]
	v_add_co_u32 v23, vcc_lo, v16, v10
	v_add_co_ci_u32_e32 v24, vcc_lo, v17, v11, vcc_lo
	s_waitcnt vmcnt(0) lgkmcnt(0)
	v_mul_f64 v[14:15], v[14:15], s[6:7]
	s_delay_alu instid0(VALU_DEP_1) | instskip(NEXT) | instid1(VALU_DEP_1)
	v_cvt_f32_f64_e32 v14, v[14:15]
	v_min_f32_e32 v13, v14, v13
	s_delay_alu instid0(VALU_DEP_1)
	v_cvt_f64_f32_e32 v[13:14], v13
	global_store_b64 v[21:22], v[13:14], off
	flat_load_b64 v[13:14], v[23:24]
	s_waitcnt vmcnt(0) lgkmcnt(0)
	v_mul_f64 v[13:14], v[13:14], s[6:7]
.LBB169_37:
	s_delay_alu instid0(VALU_DEP_1)
	v_cvt_f32_f64_e32 v13, v[13:14]
	v_dual_max_f32 v14, v132, v132 :: v_dual_max_f32 v21, v131, v131
	v_add_co_u32 v26, vcc_lo, v19, v10
	v_add_co_ci_u32_e32 v27, vcc_lo, v20, v11, vcc_lo
	s_mov_b32 vcc_lo, s2
	v_add_nc_u32_e32 v24, 48, v12
	s_delay_alu instid0(VALU_DEP_1) | instskip(SKIP_1) | instid1(VALU_DEP_1)
	v_ashrrev_i32_e32 v25, 31, v24
	v_dual_min_f32 v13, v13, v14 :: v_dual_add_nc_u32 v14, 56, v12
	v_cvt_f64_f32_e32 v[22:23], v13
	s_delay_alu instid0(VALU_DEP_2) | instskip(NEXT) | instid1(VALU_DEP_4)
	v_ashrrev_i32_e32 v15, 31, v14
	v_lshlrev_b64 v[12:13], 3, v[24:25]
	global_store_b64 v[26:27], v[22:23], off
	s_cbranch_vccz .LBB169_40
; %bb.38:
	v_min_f32_e32 v22, 0, v21
	v_add_co_u32 v24, vcc_lo, v19, v12
	v_add_co_ci_u32_e32 v25, vcc_lo, v20, v13, vcc_lo
	s_delay_alu instid0(VALU_DEP_3)
	v_cvt_f64_f32_e32 v[22:23], v22
	s_mov_b64 s[0:1], 0
	global_store_b64 v[24:25], v[22:23], off
	v_lshlrev_b64 v[14:15], 3, v[14:15]
	s_cbranch_execz .LBB169_41
; %bb.39:
	v_dual_mov_b32 v17, s1 :: v_dual_mov_b32 v16, s0
	s_branch .LBB169_42
.LBB169_40:
                                        ; implicit-def: $sgpr0_sgpr1
	v_lshlrev_b64 v[14:15], 3, v[14:15]
.LBB169_41:
	v_add_co_u32 v22, vcc_lo, v16, v12
	v_add_co_ci_u32_e32 v23, vcc_lo, v17, v13, vcc_lo
	flat_load_b64 v[22:23], v[22:23]
	s_waitcnt vmcnt(0) lgkmcnt(0)
	v_mul_f64 v[22:23], v[22:23], s[6:7]
	s_delay_alu instid0(VALU_DEP_1)
	v_cvt_f32_f64_e32 v22, v[22:23]
	v_add_co_u32 v23, vcc_lo, v19, v12
	v_add_co_ci_u32_e32 v24, vcc_lo, v20, v13, vcc_lo
	v_add_co_u32 v16, vcc_lo, v16, v14
	v_add_co_ci_u32_e32 v17, vcc_lo, v17, v15, vcc_lo
	v_min_f32_e32 v21, v22, v21
	s_delay_alu instid0(VALU_DEP_1)
	v_cvt_f64_f32_e32 v[21:22], v21
	global_store_b64 v[23:24], v[21:22], off
	flat_load_b64 v[16:17], v[16:17]
	s_waitcnt vmcnt(0) lgkmcnt(0)
	v_mul_f64 v[16:17], v[16:17], s[6:7]
.LBB169_42:
	s_delay_alu instid0(VALU_DEP_1) | instskip(SKIP_4) | instid1(VALU_DEP_1)
	v_cvt_f32_f64_e32 v16, v[16:17]
	v_max_f32_e32 v17, v130, v130
	v_add_co_u32 v27, vcc_lo, v19, v14
	v_add_co_ci_u32_e32 v28, vcc_lo, v20, v15, vcc_lo
	v_add_nc_u32_e32 v25, 32, v18
	v_mad_i64_i32 v[21:22], null, v25, s12, 0
	s_delay_alu instid0(VALU_DEP_1) | instskip(SKIP_1) | instid1(VALU_DEP_1)
	v_lshlrev_b64 v[21:22], 3, v[21:22]
	v_min_f32_e32 v16, v16, v17
	v_cvt_f64_f32_e32 v[23:24], v16
	v_mad_i64_i32 v[16:17], null, v25, s13, 0
	s_delay_alu instid0(VALU_DEP_1) | instskip(SKIP_1) | instid1(VALU_DEP_2)
	v_lshlrev_b64 v[25:26], 3, v[16:17]
	v_max_f32_e32 v16, v75, v75
	v_add_co_u32 v19, vcc_lo, s3, v25
	s_delay_alu instid0(VALU_DEP_3)
	v_add_co_ci_u32_e32 v20, vcc_lo, s8, v26, vcc_lo
	v_add_co_u32 v21, vcc_lo, s4, v21
	v_add_co_ci_u32_e32 v22, vcc_lo, s5, v22, vcc_lo
	s_mov_b32 vcc_lo, s2
	global_store_b64 v[27:28], v[23:24], off
	s_cbranch_vccz .LBB169_45
; %bb.43:
	v_min_f32_e32 v17, 0, v16
	v_add_co_u32 v25, vcc_lo, v19, v0
	v_add_co_ci_u32_e32 v26, vcc_lo, v20, v1, vcc_lo
	s_delay_alu instid0(VALU_DEP_3)
	v_cvt_f64_f32_e32 v[23:24], v17
	s_mov_b64 s[0:1], 0
	global_store_b64 v[25:26], v[23:24], off
	s_cbranch_execz .LBB169_46
; %bb.44:
	v_dual_mov_b32 v17, s1 :: v_dual_mov_b32 v16, s0
	s_branch .LBB169_47
.LBB169_45:
                                        ; implicit-def: $sgpr0_sgpr1
.LBB169_46:
	v_add_co_u32 v23, vcc_lo, v21, v0
	v_add_co_ci_u32_e32 v24, vcc_lo, v22, v1, vcc_lo
	flat_load_b64 v[23:24], v[23:24]
	s_waitcnt vmcnt(0) lgkmcnt(0)
	v_mul_f64 v[23:24], v[23:24], s[6:7]
	s_delay_alu instid0(VALU_DEP_1)
	v_cvt_f32_f64_e32 v17, v[23:24]
	v_add_co_u32 v23, vcc_lo, v19, v0
	v_add_co_ci_u32_e32 v24, vcc_lo, v20, v1, vcc_lo
	v_add_co_u32 v25, vcc_lo, v21, v2
	v_add_co_ci_u32_e32 v26, vcc_lo, v22, v3, vcc_lo
	v_min_f32_e32 v16, v17, v16
	s_delay_alu instid0(VALU_DEP_1)
	v_cvt_f64_f32_e32 v[16:17], v16
	global_store_b64 v[23:24], v[16:17], off
	flat_load_b64 v[16:17], v[25:26]
	s_waitcnt vmcnt(0) lgkmcnt(0)
	v_mul_f64 v[16:17], v[16:17], s[6:7]
.LBB169_47:
	s_delay_alu instid0(VALU_DEP_1) | instskip(SKIP_4) | instid1(VALU_DEP_3)
	v_cvt_f32_f64_e32 v16, v[16:17]
	v_max_f32_e32 v17, v74, v74
	v_add_co_u32 v25, vcc_lo, v19, v2
	v_add_co_ci_u32_e32 v26, vcc_lo, v20, v3, vcc_lo
	s_mov_b32 vcc_lo, s2
	v_min_f32_e32 v16, v16, v17
	s_delay_alu instid0(VALU_DEP_1)
	v_cvt_f64_f32_e32 v[23:24], v16
	v_max_f32_e32 v16, v240, v240
	global_store_b64 v[25:26], v[23:24], off
	s_cbranch_vccz .LBB169_50
; %bb.48:
	v_min_f32_e32 v17, 0, v16
	v_add_co_u32 v25, vcc_lo, v19, v4
	v_add_co_ci_u32_e32 v26, vcc_lo, v20, v5, vcc_lo
	s_delay_alu instid0(VALU_DEP_3)
	v_cvt_f64_f32_e32 v[23:24], v17
	s_mov_b64 s[0:1], 0
	global_store_b64 v[25:26], v[23:24], off
	s_cbranch_execz .LBB169_51
; %bb.49:
	v_dual_mov_b32 v17, s1 :: v_dual_mov_b32 v16, s0
	s_branch .LBB169_52
.LBB169_50:
                                        ; implicit-def: $sgpr0_sgpr1
.LBB169_51:
	v_add_co_u32 v23, vcc_lo, v21, v4
	v_add_co_ci_u32_e32 v24, vcc_lo, v22, v5, vcc_lo
	flat_load_b64 v[23:24], v[23:24]
	s_waitcnt vmcnt(0) lgkmcnt(0)
	v_mul_f64 v[23:24], v[23:24], s[6:7]
	s_delay_alu instid0(VALU_DEP_1)
	v_cvt_f32_f64_e32 v17, v[23:24]
	v_add_co_u32 v23, vcc_lo, v19, v4
	v_add_co_ci_u32_e32 v24, vcc_lo, v20, v5, vcc_lo
	v_add_co_u32 v25, vcc_lo, v21, v6
	v_add_co_ci_u32_e32 v26, vcc_lo, v22, v7, vcc_lo
	v_min_f32_e32 v16, v17, v16
	s_delay_alu instid0(VALU_DEP_1)
	v_cvt_f64_f32_e32 v[16:17], v16
	global_store_b64 v[23:24], v[16:17], off
	flat_load_b64 v[16:17], v[25:26]
	s_waitcnt vmcnt(0) lgkmcnt(0)
	v_mul_f64 v[16:17], v[16:17], s[6:7]
.LBB169_52:
	s_delay_alu instid0(VALU_DEP_1) | instskip(SKIP_4) | instid1(VALU_DEP_3)
	v_cvt_f32_f64_e32 v16, v[16:17]
	v_max_f32_e32 v17, v191, v191
	v_add_co_u32 v25, vcc_lo, v19, v6
	v_add_co_ci_u32_e32 v26, vcc_lo, v20, v7, vcc_lo
	s_mov_b32 vcc_lo, s2
	v_min_f32_e32 v16, v16, v17
	s_delay_alu instid0(VALU_DEP_1)
	v_cvt_f64_f32_e32 v[23:24], v16
	v_max_f32_e32 v16, v135, v135
	;; [unrolled: 46-line block ×3, first 2 shown]
	global_store_b64 v[25:26], v[23:24], off
	s_cbranch_vccz .LBB169_60
; %bb.58:
	v_min_f32_e32 v17, 0, v16
	v_add_co_u32 v25, vcc_lo, v19, v12
	v_add_co_ci_u32_e32 v26, vcc_lo, v20, v13, vcc_lo
	s_delay_alu instid0(VALU_DEP_3)
	v_cvt_f64_f32_e32 v[23:24], v17
	s_mov_b64 s[0:1], 0
	global_store_b64 v[25:26], v[23:24], off
	s_cbranch_execz .LBB169_61
; %bb.59:
	v_dual_mov_b32 v17, s1 :: v_dual_mov_b32 v16, s0
	s_branch .LBB169_62
.LBB169_60:
                                        ; implicit-def: $sgpr0_sgpr1
.LBB169_61:
	v_add_co_u32 v23, vcc_lo, v21, v12
	v_add_co_ci_u32_e32 v24, vcc_lo, v22, v13, vcc_lo
	flat_load_b64 v[23:24], v[23:24]
	s_waitcnt vmcnt(0) lgkmcnt(0)
	v_mul_f64 v[23:24], v[23:24], s[6:7]
	s_delay_alu instid0(VALU_DEP_1)
	v_cvt_f32_f64_e32 v17, v[23:24]
	v_add_co_u32 v23, vcc_lo, v19, v12
	v_add_co_ci_u32_e32 v24, vcc_lo, v20, v13, vcc_lo
	v_add_co_u32 v21, vcc_lo, v21, v14
	v_add_co_ci_u32_e32 v22, vcc_lo, v22, v15, vcc_lo
	v_min_f32_e32 v16, v17, v16
	s_delay_alu instid0(VALU_DEP_1)
	v_cvt_f64_f32_e32 v[16:17], v16
	global_store_b64 v[23:24], v[16:17], off
	flat_load_b64 v[16:17], v[21:22]
	s_waitcnt vmcnt(0) lgkmcnt(0)
	v_mul_f64 v[16:17], v[16:17], s[6:7]
.LBB169_62:
	s_delay_alu instid0(VALU_DEP_1) | instskip(SKIP_4) | instid1(VALU_DEP_1)
	v_cvt_f32_f64_e32 v16, v[16:17]
	v_max_f32_e32 v17, v121, v121
	v_add_co_u32 v27, vcc_lo, v19, v14
	v_add_co_ci_u32_e32 v28, vcc_lo, v20, v15, vcc_lo
	v_add_nc_u32_e32 v25, 64, v18
	v_mad_i64_i32 v[21:22], null, v25, s12, 0
	s_delay_alu instid0(VALU_DEP_1) | instskip(SKIP_1) | instid1(VALU_DEP_1)
	v_lshlrev_b64 v[21:22], 3, v[21:22]
	v_min_f32_e32 v16, v16, v17
	v_cvt_f64_f32_e32 v[23:24], v16
	v_mad_i64_i32 v[16:17], null, v25, s13, 0
	s_delay_alu instid0(VALU_DEP_1) | instskip(SKIP_1) | instid1(VALU_DEP_2)
	v_lshlrev_b64 v[25:26], 3, v[16:17]
	v_max_f32_e32 v16, v218, v218
	v_add_co_u32 v19, vcc_lo, s3, v25
	s_delay_alu instid0(VALU_DEP_3)
	v_add_co_ci_u32_e32 v20, vcc_lo, s8, v26, vcc_lo
	v_add_co_u32 v21, vcc_lo, s4, v21
	v_add_co_ci_u32_e32 v22, vcc_lo, s5, v22, vcc_lo
	s_mov_b32 vcc_lo, s2
	global_store_b64 v[27:28], v[23:24], off
	s_cbranch_vccz .LBB169_65
; %bb.63:
	v_min_f32_e32 v17, 0, v16
	v_add_co_u32 v25, vcc_lo, v19, v0
	v_add_co_ci_u32_e32 v26, vcc_lo, v20, v1, vcc_lo
	s_delay_alu instid0(VALU_DEP_3)
	v_cvt_f64_f32_e32 v[23:24], v17
	s_mov_b64 s[0:1], 0
	global_store_b64 v[25:26], v[23:24], off
	s_cbranch_execz .LBB169_66
; %bb.64:
	v_dual_mov_b32 v17, s1 :: v_dual_mov_b32 v16, s0
	s_branch .LBB169_67
.LBB169_65:
                                        ; implicit-def: $sgpr0_sgpr1
.LBB169_66:
	v_add_co_u32 v23, vcc_lo, v21, v0
	v_add_co_ci_u32_e32 v24, vcc_lo, v22, v1, vcc_lo
	flat_load_b64 v[23:24], v[23:24]
	s_waitcnt vmcnt(0) lgkmcnt(0)
	v_mul_f64 v[23:24], v[23:24], s[6:7]
	s_delay_alu instid0(VALU_DEP_1)
	v_cvt_f32_f64_e32 v17, v[23:24]
	v_add_co_u32 v23, vcc_lo, v19, v0
	v_add_co_ci_u32_e32 v24, vcc_lo, v20, v1, vcc_lo
	v_add_co_u32 v25, vcc_lo, v21, v2
	v_add_co_ci_u32_e32 v26, vcc_lo, v22, v3, vcc_lo
	v_min_f32_e32 v16, v17, v16
	s_delay_alu instid0(VALU_DEP_1)
	v_cvt_f64_f32_e32 v[16:17], v16
	global_store_b64 v[23:24], v[16:17], off
	flat_load_b64 v[16:17], v[25:26]
	s_waitcnt vmcnt(0) lgkmcnt(0)
	v_mul_f64 v[16:17], v[16:17], s[6:7]
.LBB169_67:
	s_delay_alu instid0(VALU_DEP_1) | instskip(SKIP_4) | instid1(VALU_DEP_3)
	v_cvt_f32_f64_e32 v16, v[16:17]
	v_max_f32_e32 v17, v105, v105
	v_add_co_u32 v25, vcc_lo, v19, v2
	v_add_co_ci_u32_e32 v26, vcc_lo, v20, v3, vcc_lo
	s_mov_b32 vcc_lo, s2
	v_min_f32_e32 v16, v16, v17
	s_delay_alu instid0(VALU_DEP_1)
	v_cvt_f64_f32_e32 v[23:24], v16
	v_max_f32_e32 v16, v104, v104
	global_store_b64 v[25:26], v[23:24], off
	s_cbranch_vccz .LBB169_70
; %bb.68:
	v_min_f32_e32 v17, 0, v16
	v_add_co_u32 v25, vcc_lo, v19, v4
	v_add_co_ci_u32_e32 v26, vcc_lo, v20, v5, vcc_lo
	s_delay_alu instid0(VALU_DEP_3)
	v_cvt_f64_f32_e32 v[23:24], v17
	s_mov_b64 s[0:1], 0
	global_store_b64 v[25:26], v[23:24], off
	s_cbranch_execz .LBB169_71
; %bb.69:
	v_dual_mov_b32 v17, s1 :: v_dual_mov_b32 v16, s0
	s_branch .LBB169_72
.LBB169_70:
                                        ; implicit-def: $sgpr0_sgpr1
.LBB169_71:
	v_add_co_u32 v23, vcc_lo, v21, v4
	v_add_co_ci_u32_e32 v24, vcc_lo, v22, v5, vcc_lo
	flat_load_b64 v[23:24], v[23:24]
	s_waitcnt vmcnt(0) lgkmcnt(0)
	v_mul_f64 v[23:24], v[23:24], s[6:7]
	s_delay_alu instid0(VALU_DEP_1)
	v_cvt_f32_f64_e32 v17, v[23:24]
	v_add_co_u32 v23, vcc_lo, v19, v4
	v_add_co_ci_u32_e32 v24, vcc_lo, v20, v5, vcc_lo
	v_add_co_u32 v25, vcc_lo, v21, v6
	v_add_co_ci_u32_e32 v26, vcc_lo, v22, v7, vcc_lo
	v_min_f32_e32 v16, v17, v16
	s_delay_alu instid0(VALU_DEP_1)
	v_cvt_f64_f32_e32 v[16:17], v16
	global_store_b64 v[23:24], v[16:17], off
	flat_load_b64 v[16:17], v[25:26]
	s_waitcnt vmcnt(0) lgkmcnt(0)
	v_mul_f64 v[16:17], v[16:17], s[6:7]
.LBB169_72:
	s_delay_alu instid0(VALU_DEP_1) | instskip(SKIP_4) | instid1(VALU_DEP_3)
	v_cvt_f32_f64_e32 v16, v[16:17]
	v_max_f32_e32 v17, v101, v101
	v_add_co_u32 v25, vcc_lo, v19, v6
	v_add_co_ci_u32_e32 v26, vcc_lo, v20, v7, vcc_lo
	s_mov_b32 vcc_lo, s2
	v_min_f32_e32 v16, v16, v17
	s_delay_alu instid0(VALU_DEP_1)
	v_cvt_f64_f32_e32 v[23:24], v16
	v_max_f32_e32 v16, v100, v100
	;; [unrolled: 46-line block ×3, first 2 shown]
	global_store_b64 v[25:26], v[23:24], off
	s_cbranch_vccz .LBB169_80
; %bb.78:
	v_min_f32_e32 v17, 0, v16
	v_add_co_u32 v25, vcc_lo, v19, v12
	v_add_co_ci_u32_e32 v26, vcc_lo, v20, v13, vcc_lo
	s_delay_alu instid0(VALU_DEP_3)
	v_cvt_f64_f32_e32 v[23:24], v17
	s_mov_b64 s[0:1], 0
	global_store_b64 v[25:26], v[23:24], off
	s_cbranch_execz .LBB169_81
; %bb.79:
	v_dual_mov_b32 v17, s1 :: v_dual_mov_b32 v16, s0
	s_branch .LBB169_82
.LBB169_80:
                                        ; implicit-def: $sgpr0_sgpr1
.LBB169_81:
	v_add_co_u32 v23, vcc_lo, v21, v12
	v_add_co_ci_u32_e32 v24, vcc_lo, v22, v13, vcc_lo
	flat_load_b64 v[23:24], v[23:24]
	s_waitcnt vmcnt(0) lgkmcnt(0)
	v_mul_f64 v[23:24], v[23:24], s[6:7]
	s_delay_alu instid0(VALU_DEP_1)
	v_cvt_f32_f64_e32 v17, v[23:24]
	v_add_co_u32 v23, vcc_lo, v19, v12
	v_add_co_ci_u32_e32 v24, vcc_lo, v20, v13, vcc_lo
	v_add_co_u32 v21, vcc_lo, v21, v14
	v_add_co_ci_u32_e32 v22, vcc_lo, v22, v15, vcc_lo
	v_min_f32_e32 v16, v17, v16
	s_delay_alu instid0(VALU_DEP_1)
	v_cvt_f64_f32_e32 v[16:17], v16
	global_store_b64 v[23:24], v[16:17], off
	flat_load_b64 v[16:17], v[21:22]
	s_waitcnt vmcnt(0) lgkmcnt(0)
	v_mul_f64 v[16:17], v[16:17], s[6:7]
.LBB169_82:
	s_delay_alu instid0(VALU_DEP_1) | instskip(SKIP_4) | instid1(VALU_DEP_1)
	v_cvt_f32_f64_e32 v16, v[16:17]
	v_max_f32_e32 v17, v84, v84
	v_add_co_u32 v27, vcc_lo, v19, v14
	v_add_co_ci_u32_e32 v28, vcc_lo, v20, v15, vcc_lo
	v_add_nc_u32_e32 v25, 0x60, v18
	v_mad_i64_i32 v[21:22], null, v25, s12, 0
	s_delay_alu instid0(VALU_DEP_1) | instskip(SKIP_1) | instid1(VALU_DEP_1)
	v_lshlrev_b64 v[21:22], 3, v[21:22]
	v_min_f32_e32 v16, v16, v17
	v_cvt_f64_f32_e32 v[23:24], v16
	v_mad_i64_i32 v[16:17], null, v25, s13, 0
	s_delay_alu instid0(VALU_DEP_1) | instskip(SKIP_1) | instid1(VALU_DEP_2)
	v_lshlrev_b64 v[25:26], 3, v[16:17]
	v_max_f32_e32 v16, v85, v85
	v_add_co_u32 v19, vcc_lo, s3, v25
	s_delay_alu instid0(VALU_DEP_3)
	v_add_co_ci_u32_e32 v20, vcc_lo, s8, v26, vcc_lo
	v_add_co_u32 v21, vcc_lo, s4, v21
	v_add_co_ci_u32_e32 v22, vcc_lo, s5, v22, vcc_lo
	s_mov_b32 vcc_lo, s2
	global_store_b64 v[27:28], v[23:24], off
	s_cbranch_vccz .LBB169_85
; %bb.83:
	v_min_f32_e32 v17, 0, v16
	v_add_co_u32 v25, vcc_lo, v19, v0
	v_add_co_ci_u32_e32 v26, vcc_lo, v20, v1, vcc_lo
	s_delay_alu instid0(VALU_DEP_3)
	v_cvt_f64_f32_e32 v[23:24], v17
	s_mov_b64 s[0:1], 0
	global_store_b64 v[25:26], v[23:24], off
	s_cbranch_execz .LBB169_86
; %bb.84:
	v_dual_mov_b32 v17, s1 :: v_dual_mov_b32 v16, s0
	s_branch .LBB169_87
.LBB169_85:
                                        ; implicit-def: $sgpr0_sgpr1
.LBB169_86:
	v_add_co_u32 v23, vcc_lo, v21, v0
	v_add_co_ci_u32_e32 v24, vcc_lo, v22, v1, vcc_lo
	flat_load_b64 v[23:24], v[23:24]
	s_waitcnt vmcnt(0) lgkmcnt(0)
	v_mul_f64 v[23:24], v[23:24], s[6:7]
	s_delay_alu instid0(VALU_DEP_1)
	v_cvt_f32_f64_e32 v17, v[23:24]
	v_add_co_u32 v23, vcc_lo, v19, v0
	v_add_co_ci_u32_e32 v24, vcc_lo, v20, v1, vcc_lo
	v_add_co_u32 v25, vcc_lo, v21, v2
	v_add_co_ci_u32_e32 v26, vcc_lo, v22, v3, vcc_lo
	v_min_f32_e32 v16, v17, v16
	s_delay_alu instid0(VALU_DEP_1)
	v_cvt_f64_f32_e32 v[16:17], v16
	global_store_b64 v[23:24], v[16:17], off
	flat_load_b64 v[16:17], v[25:26]
	s_waitcnt vmcnt(0) lgkmcnt(0)
	v_mul_f64 v[16:17], v[16:17], s[6:7]
.LBB169_87:
	s_delay_alu instid0(VALU_DEP_1) | instskip(SKIP_4) | instid1(VALU_DEP_3)
	v_cvt_f32_f64_e32 v16, v[16:17]
	v_max_f32_e32 v17, v51, v51
	v_add_co_u32 v25, vcc_lo, v19, v2
	v_add_co_ci_u32_e32 v26, vcc_lo, v20, v3, vcc_lo
	s_mov_b32 vcc_lo, s2
	v_min_f32_e32 v16, v16, v17
	s_delay_alu instid0(VALU_DEP_1)
	v_cvt_f64_f32_e32 v[23:24], v16
	v_max_f32_e32 v16, v108, v108
	global_store_b64 v[25:26], v[23:24], off
	s_cbranch_vccz .LBB169_90
; %bb.88:
	v_min_f32_e32 v17, 0, v16
	v_add_co_u32 v25, vcc_lo, v19, v4
	v_add_co_ci_u32_e32 v26, vcc_lo, v20, v5, vcc_lo
	s_delay_alu instid0(VALU_DEP_3)
	v_cvt_f64_f32_e32 v[23:24], v17
	s_mov_b64 s[0:1], 0
	global_store_b64 v[25:26], v[23:24], off
	s_cbranch_execz .LBB169_91
; %bb.89:
	v_dual_mov_b32 v17, s1 :: v_dual_mov_b32 v16, s0
	s_branch .LBB169_92
.LBB169_90:
                                        ; implicit-def: $sgpr0_sgpr1
.LBB169_91:
	v_add_co_u32 v23, vcc_lo, v21, v4
	v_add_co_ci_u32_e32 v24, vcc_lo, v22, v5, vcc_lo
	flat_load_b64 v[23:24], v[23:24]
	s_waitcnt vmcnt(0) lgkmcnt(0)
	v_mul_f64 v[23:24], v[23:24], s[6:7]
	s_delay_alu instid0(VALU_DEP_1)
	v_cvt_f32_f64_e32 v17, v[23:24]
	v_add_co_u32 v23, vcc_lo, v19, v4
	v_add_co_ci_u32_e32 v24, vcc_lo, v20, v5, vcc_lo
	v_add_co_u32 v25, vcc_lo, v21, v6
	v_add_co_ci_u32_e32 v26, vcc_lo, v22, v7, vcc_lo
	v_min_f32_e32 v16, v17, v16
	s_delay_alu instid0(VALU_DEP_1)
	v_cvt_f64_f32_e32 v[16:17], v16
	global_store_b64 v[23:24], v[16:17], off
	flat_load_b64 v[16:17], v[25:26]
	s_waitcnt vmcnt(0) lgkmcnt(0)
	v_mul_f64 v[16:17], v[16:17], s[6:7]
.LBB169_92:
	s_delay_alu instid0(VALU_DEP_1) | instskip(SKIP_4) | instid1(VALU_DEP_3)
	v_cvt_f32_f64_e32 v16, v[16:17]
	v_max_f32_e32 v17, v40, v40
	v_add_co_u32 v25, vcc_lo, v19, v6
	v_add_co_ci_u32_e32 v26, vcc_lo, v20, v7, vcc_lo
	s_mov_b32 vcc_lo, s2
	v_min_f32_e32 v16, v16, v17
	s_delay_alu instid0(VALU_DEP_1)
	v_cvt_f64_f32_e32 v[23:24], v16
	v_max_f32_e32 v16, v102, v102
	;; [unrolled: 46-line block ×3, first 2 shown]
	global_store_b64 v[25:26], v[23:24], off
	s_cbranch_vccz .LBB169_100
; %bb.98:
	v_min_f32_e32 v17, 0, v16
	v_add_co_u32 v25, vcc_lo, v19, v12
	v_add_co_ci_u32_e32 v26, vcc_lo, v20, v13, vcc_lo
	s_delay_alu instid0(VALU_DEP_3)
	v_cvt_f64_f32_e32 v[23:24], v17
	s_mov_b64 s[0:1], 0
	global_store_b64 v[25:26], v[23:24], off
	s_cbranch_execz .LBB169_101
; %bb.99:
	v_dual_mov_b32 v17, s1 :: v_dual_mov_b32 v16, s0
	s_branch .LBB169_102
.LBB169_100:
                                        ; implicit-def: $sgpr0_sgpr1
.LBB169_101:
	v_add_co_u32 v23, vcc_lo, v21, v12
	v_add_co_ci_u32_e32 v24, vcc_lo, v22, v13, vcc_lo
	flat_load_b64 v[23:24], v[23:24]
	s_waitcnt vmcnt(0) lgkmcnt(0)
	v_mul_f64 v[23:24], v[23:24], s[6:7]
	s_delay_alu instid0(VALU_DEP_1)
	v_cvt_f32_f64_e32 v17, v[23:24]
	v_add_co_u32 v23, vcc_lo, v19, v12
	v_add_co_ci_u32_e32 v24, vcc_lo, v20, v13, vcc_lo
	v_add_co_u32 v21, vcc_lo, v21, v14
	v_add_co_ci_u32_e32 v22, vcc_lo, v22, v15, vcc_lo
	v_min_f32_e32 v16, v17, v16
	s_delay_alu instid0(VALU_DEP_1)
	v_cvt_f64_f32_e32 v[16:17], v16
	global_store_b64 v[23:24], v[16:17], off
	flat_load_b64 v[16:17], v[21:22]
	s_waitcnt vmcnt(0) lgkmcnt(0)
	v_mul_f64 v[16:17], v[16:17], s[6:7]
.LBB169_102:
	s_delay_alu instid0(VALU_DEP_1) | instskip(SKIP_4) | instid1(VALU_DEP_1)
	v_cvt_f32_f64_e32 v16, v[16:17]
	v_max_f32_e32 v17, v36, v36
	v_add_co_u32 v27, vcc_lo, v19, v14
	v_add_co_ci_u32_e32 v28, vcc_lo, v20, v15, vcc_lo
	v_add_nc_u32_e32 v25, 0x80, v18
	v_mad_i64_i32 v[21:22], null, v25, s12, 0
	s_delay_alu instid0(VALU_DEP_1) | instskip(SKIP_1) | instid1(VALU_DEP_1)
	v_lshlrev_b64 v[21:22], 3, v[21:22]
	v_min_f32_e32 v16, v16, v17
	v_cvt_f64_f32_e32 v[23:24], v16
	v_mad_i64_i32 v[16:17], null, v25, s13, 0
	s_delay_alu instid0(VALU_DEP_1) | instskip(SKIP_1) | instid1(VALU_DEP_2)
	v_lshlrev_b64 v[25:26], 3, v[16:17]
	v_max_f32_e32 v16, v128, v128
	v_add_co_u32 v19, vcc_lo, s3, v25
	s_delay_alu instid0(VALU_DEP_3)
	v_add_co_ci_u32_e32 v20, vcc_lo, s8, v26, vcc_lo
	v_add_co_u32 v21, vcc_lo, s4, v21
	v_add_co_ci_u32_e32 v22, vcc_lo, s5, v22, vcc_lo
	s_mov_b32 vcc_lo, s2
	global_store_b64 v[27:28], v[23:24], off
	s_cbranch_vccz .LBB169_105
; %bb.103:
	v_min_f32_e32 v17, 0, v16
	v_add_co_u32 v25, vcc_lo, v19, v0
	v_add_co_ci_u32_e32 v26, vcc_lo, v20, v1, vcc_lo
	s_delay_alu instid0(VALU_DEP_3)
	v_cvt_f64_f32_e32 v[23:24], v17
	s_mov_b64 s[0:1], 0
	global_store_b64 v[25:26], v[23:24], off
	s_cbranch_execz .LBB169_106
; %bb.104:
	v_dual_mov_b32 v17, s1 :: v_dual_mov_b32 v16, s0
	s_branch .LBB169_107
.LBB169_105:
                                        ; implicit-def: $sgpr0_sgpr1
.LBB169_106:
	v_add_co_u32 v23, vcc_lo, v21, v0
	v_add_co_ci_u32_e32 v24, vcc_lo, v22, v1, vcc_lo
	flat_load_b64 v[23:24], v[23:24]
	s_waitcnt vmcnt(0) lgkmcnt(0)
	v_mul_f64 v[23:24], v[23:24], s[6:7]
	s_delay_alu instid0(VALU_DEP_1)
	v_cvt_f32_f64_e32 v17, v[23:24]
	v_add_co_u32 v23, vcc_lo, v19, v0
	v_add_co_ci_u32_e32 v24, vcc_lo, v20, v1, vcc_lo
	v_add_co_u32 v25, vcc_lo, v21, v2
	v_add_co_ci_u32_e32 v26, vcc_lo, v22, v3, vcc_lo
	v_min_f32_e32 v16, v17, v16
	s_delay_alu instid0(VALU_DEP_1)
	v_cvt_f64_f32_e32 v[16:17], v16
	global_store_b64 v[23:24], v[16:17], off
	flat_load_b64 v[16:17], v[25:26]
	s_waitcnt vmcnt(0) lgkmcnt(0)
	v_mul_f64 v[16:17], v[16:17], s[6:7]
.LBB169_107:
	s_delay_alu instid0(VALU_DEP_1) | instskip(SKIP_4) | instid1(VALU_DEP_3)
	v_cvt_f32_f64_e32 v16, v[16:17]
	v_max_f32_e32 v17, v34, v34
	v_add_co_u32 v25, vcc_lo, v19, v2
	v_add_co_ci_u32_e32 v26, vcc_lo, v20, v3, vcc_lo
	s_mov_b32 vcc_lo, s2
	v_min_f32_e32 v16, v16, v17
	s_delay_alu instid0(VALU_DEP_1)
	v_cvt_f64_f32_e32 v[23:24], v16
	v_max_f32_e32 v16, v207, v207
	global_store_b64 v[25:26], v[23:24], off
	s_cbranch_vccz .LBB169_110
; %bb.108:
	v_min_f32_e32 v17, 0, v16
	v_add_co_u32 v25, vcc_lo, v19, v4
	v_add_co_ci_u32_e32 v26, vcc_lo, v20, v5, vcc_lo
	s_delay_alu instid0(VALU_DEP_3)
	v_cvt_f64_f32_e32 v[23:24], v17
	s_mov_b64 s[0:1], 0
	global_store_b64 v[25:26], v[23:24], off
	s_cbranch_execz .LBB169_111
; %bb.109:
	v_dual_mov_b32 v17, s1 :: v_dual_mov_b32 v16, s0
	s_branch .LBB169_112
.LBB169_110:
                                        ; implicit-def: $sgpr0_sgpr1
.LBB169_111:
	v_add_co_u32 v23, vcc_lo, v21, v4
	v_add_co_ci_u32_e32 v24, vcc_lo, v22, v5, vcc_lo
	flat_load_b64 v[23:24], v[23:24]
	s_waitcnt vmcnt(0) lgkmcnt(0)
	v_mul_f64 v[23:24], v[23:24], s[6:7]
	s_delay_alu instid0(VALU_DEP_1)
	v_cvt_f32_f64_e32 v17, v[23:24]
	v_add_co_u32 v23, vcc_lo, v19, v4
	v_add_co_ci_u32_e32 v24, vcc_lo, v20, v5, vcc_lo
	v_add_co_u32 v25, vcc_lo, v21, v6
	v_add_co_ci_u32_e32 v26, vcc_lo, v22, v7, vcc_lo
	v_min_f32_e32 v16, v17, v16
	s_delay_alu instid0(VALU_DEP_1)
	v_cvt_f64_f32_e32 v[16:17], v16
	global_store_b64 v[23:24], v[16:17], off
	flat_load_b64 v[16:17], v[25:26]
	s_waitcnt vmcnt(0) lgkmcnt(0)
	v_mul_f64 v[16:17], v[16:17], s[6:7]
.LBB169_112:
	s_delay_alu instid0(VALU_DEP_1) | instskip(SKIP_4) | instid1(VALU_DEP_3)
	v_cvt_f32_f64_e32 v16, v[16:17]
	v_max_f32_e32 v17, v32, v32
	v_add_co_u32 v25, vcc_lo, v19, v6
	v_add_co_ci_u32_e32 v26, vcc_lo, v20, v7, vcc_lo
	s_mov_b32 vcc_lo, s2
	v_min_f32_e32 v16, v16, v17
	s_delay_alu instid0(VALU_DEP_1)
	v_cvt_f64_f32_e32 v[23:24], v16
	v_max_f32_e32 v16, v198, v198
	;; [unrolled: 46-line block ×3, first 2 shown]
	global_store_b64 v[25:26], v[23:24], off
	s_cbranch_vccz .LBB169_120
; %bb.118:
	v_min_f32_e32 v17, 0, v16
	v_add_co_u32 v25, vcc_lo, v19, v12
	v_add_co_ci_u32_e32 v26, vcc_lo, v20, v13, vcc_lo
	s_delay_alu instid0(VALU_DEP_3)
	v_cvt_f64_f32_e32 v[23:24], v17
	s_mov_b64 s[0:1], 0
	global_store_b64 v[25:26], v[23:24], off
	s_cbranch_execz .LBB169_121
; %bb.119:
	v_dual_mov_b32 v17, s1 :: v_dual_mov_b32 v16, s0
	s_branch .LBB169_122
.LBB169_120:
                                        ; implicit-def: $sgpr0_sgpr1
.LBB169_121:
	v_add_co_u32 v23, vcc_lo, v21, v12
	v_add_co_ci_u32_e32 v24, vcc_lo, v22, v13, vcc_lo
	flat_load_b64 v[23:24], v[23:24]
	s_waitcnt vmcnt(0) lgkmcnt(0)
	v_mul_f64 v[23:24], v[23:24], s[6:7]
	s_delay_alu instid0(VALU_DEP_1)
	v_cvt_f32_f64_e32 v17, v[23:24]
	v_add_co_u32 v23, vcc_lo, v19, v12
	v_add_co_ci_u32_e32 v24, vcc_lo, v20, v13, vcc_lo
	v_add_co_u32 v21, vcc_lo, v21, v14
	v_add_co_ci_u32_e32 v22, vcc_lo, v22, v15, vcc_lo
	v_min_f32_e32 v16, v17, v16
	s_delay_alu instid0(VALU_DEP_1)
	v_cvt_f64_f32_e32 v[16:17], v16
	global_store_b64 v[23:24], v[16:17], off
	flat_load_b64 v[16:17], v[21:22]
	s_waitcnt vmcnt(0) lgkmcnt(0)
	v_mul_f64 v[16:17], v[16:17], s[6:7]
.LBB169_122:
	s_delay_alu instid0(VALU_DEP_1) | instskip(SKIP_4) | instid1(VALU_DEP_1)
	v_cvt_f32_f64_e32 v16, v[16:17]
	v_max_f32_e32 v17, v200, v200
	v_add_co_u32 v27, vcc_lo, v19, v14
	v_add_co_ci_u32_e32 v28, vcc_lo, v20, v15, vcc_lo
	v_add_nc_u32_e32 v25, 0xa0, v18
	v_mad_i64_i32 v[21:22], null, v25, s12, 0
	s_delay_alu instid0(VALU_DEP_1) | instskip(SKIP_1) | instid1(VALU_DEP_1)
	v_lshlrev_b64 v[21:22], 3, v[21:22]
	v_min_f32_e32 v16, v16, v17
	v_cvt_f64_f32_e32 v[23:24], v16
	v_mad_i64_i32 v[16:17], null, v25, s13, 0
	s_delay_alu instid0(VALU_DEP_1) | instskip(SKIP_1) | instid1(VALU_DEP_2)
	v_lshlrev_b64 v[25:26], 3, v[16:17]
	v_max_f32_e32 v16, v206, v206
	v_add_co_u32 v19, vcc_lo, s3, v25
	s_delay_alu instid0(VALU_DEP_3)
	v_add_co_ci_u32_e32 v20, vcc_lo, s8, v26, vcc_lo
	v_add_co_u32 v21, vcc_lo, s4, v21
	v_add_co_ci_u32_e32 v22, vcc_lo, s5, v22, vcc_lo
	s_mov_b32 vcc_lo, s2
	global_store_b64 v[27:28], v[23:24], off
	s_cbranch_vccz .LBB169_125
; %bb.123:
	v_min_f32_e32 v17, 0, v16
	v_add_co_u32 v25, vcc_lo, v19, v0
	v_add_co_ci_u32_e32 v26, vcc_lo, v20, v1, vcc_lo
	s_delay_alu instid0(VALU_DEP_3)
	v_cvt_f64_f32_e32 v[23:24], v17
	s_mov_b64 s[0:1], 0
	global_store_b64 v[25:26], v[23:24], off
	s_cbranch_execz .LBB169_126
; %bb.124:
	v_dual_mov_b32 v17, s1 :: v_dual_mov_b32 v16, s0
	s_branch .LBB169_127
.LBB169_125:
                                        ; implicit-def: $sgpr0_sgpr1
.LBB169_126:
	v_add_co_u32 v23, vcc_lo, v21, v0
	v_add_co_ci_u32_e32 v24, vcc_lo, v22, v1, vcc_lo
	flat_load_b64 v[23:24], v[23:24]
	s_waitcnt vmcnt(0) lgkmcnt(0)
	v_mul_f64 v[23:24], v[23:24], s[6:7]
	s_delay_alu instid0(VALU_DEP_1)
	v_cvt_f32_f64_e32 v17, v[23:24]
	v_add_co_u32 v23, vcc_lo, v19, v0
	v_add_co_ci_u32_e32 v24, vcc_lo, v20, v1, vcc_lo
	v_add_co_u32 v25, vcc_lo, v21, v2
	v_add_co_ci_u32_e32 v26, vcc_lo, v22, v3, vcc_lo
	v_min_f32_e32 v16, v17, v16
	s_delay_alu instid0(VALU_DEP_1)
	v_cvt_f64_f32_e32 v[16:17], v16
	global_store_b64 v[23:24], v[16:17], off
	flat_load_b64 v[16:17], v[25:26]
	s_waitcnt vmcnt(0) lgkmcnt(0)
	v_mul_f64 v[16:17], v[16:17], s[6:7]
.LBB169_127:
	s_delay_alu instid0(VALU_DEP_1) | instskip(SKIP_4) | instid1(VALU_DEP_3)
	v_cvt_f32_f64_e32 v16, v[16:17]
	v_max_f32_e32 v17, v30, v30
	v_add_co_u32 v25, vcc_lo, v19, v2
	v_add_co_ci_u32_e32 v26, vcc_lo, v20, v3, vcc_lo
	s_mov_b32 vcc_lo, s2
	v_min_f32_e32 v16, v16, v17
	s_delay_alu instid0(VALU_DEP_1)
	v_cvt_f64_f32_e32 v[23:24], v16
	v_max_f32_e32 v16, v247, v247
	global_store_b64 v[25:26], v[23:24], off
	s_cbranch_vccz .LBB169_130
; %bb.128:
	v_min_f32_e32 v17, 0, v16
	v_add_co_u32 v25, vcc_lo, v19, v4
	v_add_co_ci_u32_e32 v26, vcc_lo, v20, v5, vcc_lo
	s_delay_alu instid0(VALU_DEP_3)
	v_cvt_f64_f32_e32 v[23:24], v17
	s_mov_b32 s0, 0
	global_store_b64 v[25:26], v[23:24], off
	s_cbranch_execz .LBB169_131
; %bb.129:
	v_mov_b32_e32 v16, s0
	s_branch .LBB169_132
.LBB169_130:
	s_mov_b32 s0, -1
.LBB169_131:
	v_add_co_u32 v23, vcc_lo, v21, v4
	v_add_co_ci_u32_e32 v24, vcc_lo, v22, v5, vcc_lo
	flat_load_b64 v[23:24], v[23:24]
	s_waitcnt vmcnt(0) lgkmcnt(0)
	v_mul_f64 v[23:24], v[23:24], s[6:7]
	s_delay_alu instid0(VALU_DEP_1)
	v_cvt_f32_f64_e32 v17, v[23:24]
	v_add_co_u32 v23, vcc_lo, v19, v4
	v_add_co_ci_u32_e32 v24, vcc_lo, v20, v5, vcc_lo
	v_add_co_u32 v25, vcc_lo, v21, v6
	v_add_co_ci_u32_e32 v26, vcc_lo, v22, v7, vcc_lo
	v_min_f32_e32 v16, v17, v16
	s_delay_alu instid0(VALU_DEP_1) | instskip(SKIP_4) | instid1(VALU_DEP_1)
	v_cvt_f64_f32_e32 v[16:17], v16
	global_store_b64 v[23:24], v[16:17], off
	flat_load_b64 v[16:17], v[25:26]
	s_waitcnt vmcnt(0) lgkmcnt(0)
	v_mul_f64 v[16:17], v[16:17], s[6:7]
	v_cvt_f32_f64_e32 v16, v[16:17]
.LBB169_132:
	v_max_f32_e32 v17, v232, v232
	s_delay_alu instid0(VALU_DEP_2) | instskip(SKIP_2) | instid1(VALU_DEP_3)
	v_max_f32_e32 v16, v16, v16
	v_add_co_u32 v25, vcc_lo, v19, v6
	v_add_co_ci_u32_e32 v26, vcc_lo, v20, v7, vcc_lo
	v_min_f32_e32 v16, v16, v17
	s_mov_b32 vcc_lo, s2
	s_delay_alu instid0(VALU_DEP_1)
	v_cvt_f64_f32_e32 v[23:24], v16
	v_max_f32_e32 v16, v72, v72
	global_store_b64 v[25:26], v[23:24], off
	s_cbranch_vccz .LBB169_135
; %bb.133:
	v_min_f32_e32 v17, 0, v16
	v_add_co_u32 v25, vcc_lo, v19, v8
	v_add_co_ci_u32_e32 v26, vcc_lo, v20, v9, vcc_lo
	s_delay_alu instid0(VALU_DEP_3)
	v_cvt_f64_f32_e32 v[23:24], v17
	s_mov_b32 s0, 0
	global_store_b64 v[25:26], v[23:24], off
	s_cbranch_execz .LBB169_136
; %bb.134:
	v_mov_b32_e32 v16, s0
	s_branch .LBB169_137
.LBB169_135:
	s_mov_b32 s0, -1
.LBB169_136:
	v_add_co_u32 v23, vcc_lo, v21, v8
	v_add_co_ci_u32_e32 v24, vcc_lo, v22, v9, vcc_lo
	flat_load_b64 v[23:24], v[23:24]
	s_waitcnt vmcnt(0) lgkmcnt(0)
	v_mul_f64 v[23:24], v[23:24], s[6:7]
	s_delay_alu instid0(VALU_DEP_1)
	v_cvt_f32_f64_e32 v17, v[23:24]
	v_add_co_u32 v23, vcc_lo, v19, v8
	v_add_co_ci_u32_e32 v24, vcc_lo, v20, v9, vcc_lo
	v_add_co_u32 v25, vcc_lo, v21, v10
	v_add_co_ci_u32_e32 v26, vcc_lo, v22, v11, vcc_lo
	v_min_f32_e32 v16, v17, v16
	s_delay_alu instid0(VALU_DEP_1) | instskip(SKIP_4) | instid1(VALU_DEP_1)
	v_cvt_f64_f32_e32 v[16:17], v16
	global_store_b64 v[23:24], v[16:17], off
	flat_load_b64 v[16:17], v[25:26]
	s_waitcnt vmcnt(0) lgkmcnt(0)
	v_mul_f64 v[16:17], v[16:17], s[6:7]
	v_cvt_f32_f64_e32 v16, v[16:17]
.LBB169_137:
	s_delay_alu instid0(VALU_DEP_1) | instskip(SKIP_2) | instid1(VALU_DEP_3)
	v_dual_max_f32 v17, v126, v126 :: v_dual_max_f32 v16, v16, v16
	v_add_co_u32 v25, vcc_lo, v19, v10
	v_add_co_ci_u32_e32 v26, vcc_lo, v20, v11, vcc_lo
	v_min_f32_e32 v16, v16, v17
	s_mov_b32 vcc_lo, s2
	s_delay_alu instid0(VALU_DEP_1)
	v_cvt_f64_f32_e32 v[23:24], v16
	v_max_f32_e32 v16, v238, v238
	global_store_b64 v[25:26], v[23:24], off
	s_cbranch_vccz .LBB169_140
; %bb.138:
	v_min_f32_e32 v17, 0, v16
	v_add_co_u32 v25, vcc_lo, v19, v12
	v_add_co_ci_u32_e32 v26, vcc_lo, v20, v13, vcc_lo
	s_delay_alu instid0(VALU_DEP_3)
	v_cvt_f64_f32_e32 v[23:24], v17
	s_mov_b32 s0, 0
	global_store_b64 v[25:26], v[23:24], off
	s_cbranch_execz .LBB169_141
; %bb.139:
	v_mov_b32_e32 v16, s0
	s_branch .LBB169_142
.LBB169_140:
	s_mov_b32 s0, -1
.LBB169_141:
	v_add_co_u32 v23, vcc_lo, v21, v12
	v_add_co_ci_u32_e32 v24, vcc_lo, v22, v13, vcc_lo
	flat_load_b64 v[23:24], v[23:24]
	s_waitcnt vmcnt(0) lgkmcnt(0)
	v_mul_f64 v[23:24], v[23:24], s[6:7]
	s_delay_alu instid0(VALU_DEP_1)
	v_cvt_f32_f64_e32 v17, v[23:24]
	v_add_co_u32 v23, vcc_lo, v19, v12
	v_add_co_ci_u32_e32 v24, vcc_lo, v20, v13, vcc_lo
	v_add_co_u32 v21, vcc_lo, v21, v14
	v_add_co_ci_u32_e32 v22, vcc_lo, v22, v15, vcc_lo
	v_min_f32_e32 v16, v17, v16
	s_delay_alu instid0(VALU_DEP_1) | instskip(SKIP_4) | instid1(VALU_DEP_1)
	v_cvt_f64_f32_e32 v[16:17], v16
	global_store_b64 v[23:24], v[16:17], off
	flat_load_b64 v[16:17], v[21:22]
	s_waitcnt vmcnt(0) lgkmcnt(0)
	v_mul_f64 v[16:17], v[16:17], s[6:7]
	v_cvt_f32_f64_e32 v16, v[16:17]
.LBB169_142:
	s_delay_alu instid0(VALU_DEP_1) | instskip(SKIP_2) | instid1(VALU_DEP_3)
	v_dual_max_f32 v17, v243, v243 :: v_dual_max_f32 v16, v16, v16
	v_add_co_u32 v26, vcc_lo, v19, v14
	v_add_co_ci_u32_e32 v27, vcc_lo, v20, v15, vcc_lo
	v_dual_min_f32 v16, v16, v17 :: v_dual_add_nc_u32 v21, 0xc0, v18
	s_delay_alu instid0(VALU_DEP_1) | instskip(NEXT) | instid1(VALU_DEP_2)
	v_cvt_f64_f32_e32 v[22:23], v16
	v_mad_i64_i32 v[16:17], null, v21, s13, 0
	v_mad_i64_i32 v[24:25], null, v21, s12, 0
	v_max_f32_e32 v21, v244, v244
	s_delay_alu instid0(VALU_DEP_3) | instskip(NEXT) | instid1(VALU_DEP_3)
	v_lshlrev_b64 v[16:17], 3, v[16:17]
	v_lshlrev_b64 v[19:20], 3, v[24:25]
	s_delay_alu instid0(VALU_DEP_2) | instskip(NEXT) | instid1(VALU_DEP_3)
	v_add_co_u32 v16, vcc_lo, s3, v16
	v_add_co_ci_u32_e32 v17, vcc_lo, s8, v17, vcc_lo
	s_delay_alu instid0(VALU_DEP_3) | instskip(NEXT) | instid1(VALU_DEP_4)
	v_add_co_u32 v19, vcc_lo, s4, v19
	v_add_co_ci_u32_e32 v20, vcc_lo, s5, v20, vcc_lo
	s_mov_b32 vcc_lo, s2
	global_store_b64 v[26:27], v[22:23], off
	s_cbranch_vccz .LBB169_145
; %bb.143:
	v_min_f32_e32 v22, 0, v21
	v_add_co_u32 v24, vcc_lo, v16, v0
	v_add_co_ci_u32_e32 v25, vcc_lo, v17, v1, vcc_lo
	s_delay_alu instid0(VALU_DEP_3)
	v_cvt_f64_f32_e32 v[22:23], v22
	s_mov_b32 s0, 0
	global_store_b64 v[24:25], v[22:23], off
	s_cbranch_execz .LBB169_146
; %bb.144:
	v_mov_b32_e32 v21, s0
	s_branch .LBB169_147
.LBB169_145:
	s_mov_b32 s0, -1
.LBB169_146:
	v_add_co_u32 v22, vcc_lo, v19, v0
	v_add_co_ci_u32_e32 v23, vcc_lo, v20, v1, vcc_lo
	flat_load_b64 v[22:23], v[22:23]
	s_waitcnt vmcnt(0) lgkmcnt(0)
	v_mul_f64 v[22:23], v[22:23], s[6:7]
	s_delay_alu instid0(VALU_DEP_1)
	v_cvt_f32_f64_e32 v22, v[22:23]
	v_add_co_u32 v23, vcc_lo, v16, v0
	v_add_co_ci_u32_e32 v24, vcc_lo, v17, v1, vcc_lo
	v_add_co_u32 v25, vcc_lo, v19, v2
	v_add_co_ci_u32_e32 v26, vcc_lo, v20, v3, vcc_lo
	v_min_f32_e32 v21, v22, v21
	s_delay_alu instid0(VALU_DEP_1) | instskip(SKIP_4) | instid1(VALU_DEP_1)
	v_cvt_f64_f32_e32 v[21:22], v21
	global_store_b64 v[23:24], v[21:22], off
	flat_load_b64 v[21:22], v[25:26]
	s_waitcnt vmcnt(0) lgkmcnt(0)
	v_mul_f64 v[21:22], v[21:22], s[6:7]
	v_cvt_f32_f64_e32 v21, v[21:22]
.LBB169_147:
	s_delay_alu instid0(VALU_DEP_1) | instskip(SKIP_2) | instid1(VALU_DEP_3)
	v_dual_max_f32 v22, v127, v127 :: v_dual_max_f32 v21, v21, v21
	v_add_co_u32 v24, vcc_lo, v16, v2
	v_add_co_ci_u32_e32 v25, vcc_lo, v17, v3, vcc_lo
	v_min_f32_e32 v21, v21, v22
	s_mov_b32 vcc_lo, s2
	s_delay_alu instid0(VALU_DEP_1)
	v_cvt_f64_f32_e32 v[22:23], v21
	v_max_f32_e32 v21, v239, v239
	global_store_b64 v[24:25], v[22:23], off
	s_cbranch_vccz .LBB169_150
; %bb.148:
	v_min_f32_e32 v22, 0, v21
	v_add_co_u32 v24, vcc_lo, v16, v4
	v_add_co_ci_u32_e32 v25, vcc_lo, v17, v5, vcc_lo
	s_delay_alu instid0(VALU_DEP_3)
	v_cvt_f64_f32_e32 v[22:23], v22
	s_mov_b32 s0, 0
	global_store_b64 v[24:25], v[22:23], off
	s_cbranch_execz .LBB169_151
; %bb.149:
	v_mov_b32_e32 v21, s0
	s_branch .LBB169_152
.LBB169_150:
	s_mov_b32 s0, -1
.LBB169_151:
	v_add_co_u32 v22, vcc_lo, v19, v4
	v_add_co_ci_u32_e32 v23, vcc_lo, v20, v5, vcc_lo
	flat_load_b64 v[22:23], v[22:23]
	s_waitcnt vmcnt(0) lgkmcnt(0)
	v_mul_f64 v[22:23], v[22:23], s[6:7]
	s_delay_alu instid0(VALU_DEP_1)
	v_cvt_f32_f64_e32 v22, v[22:23]
	v_add_co_u32 v23, vcc_lo, v16, v4
	v_add_co_ci_u32_e32 v24, vcc_lo, v17, v5, vcc_lo
	v_add_co_u32 v25, vcc_lo, v19, v6
	v_add_co_ci_u32_e32 v26, vcc_lo, v20, v7, vcc_lo
	v_min_f32_e32 v21, v22, v21
	s_delay_alu instid0(VALU_DEP_1) | instskip(SKIP_4) | instid1(VALU_DEP_1)
	v_cvt_f64_f32_e32 v[21:22], v21
	global_store_b64 v[23:24], v[21:22], off
	flat_load_b64 v[21:22], v[25:26]
	s_waitcnt vmcnt(0) lgkmcnt(0)
	v_mul_f64 v[21:22], v[21:22], s[6:7]
	v_cvt_f32_f64_e32 v21, v[21:22]
.LBB169_152:
	s_delay_alu instid0(VALU_DEP_1) | instskip(SKIP_2) | instid1(VALU_DEP_3)
	v_dual_max_f32 v22, v236, v236 :: v_dual_max_f32 v21, v21, v21
	v_add_co_u32 v24, vcc_lo, v16, v6
	v_add_co_ci_u32_e32 v25, vcc_lo, v17, v7, vcc_lo
	v_min_f32_e32 v21, v21, v22
	s_mov_b32 vcc_lo, s2
	s_delay_alu instid0(VALU_DEP_1)
	v_cvt_f64_f32_e32 v[22:23], v21
	v_max_f32_e32 v21, v219, v219
	global_store_b64 v[24:25], v[22:23], off
	s_cbranch_vccz .LBB169_155
; %bb.153:
	v_min_f32_e32 v22, 0, v21
	v_add_co_u32 v24, vcc_lo, v16, v8
	v_add_co_ci_u32_e32 v25, vcc_lo, v17, v9, vcc_lo
	s_delay_alu instid0(VALU_DEP_3)
	v_cvt_f64_f32_e32 v[22:23], v22
	s_mov_b32 s0, 0
	global_store_b64 v[24:25], v[22:23], off
	s_cbranch_execz .LBB169_156
; %bb.154:
	v_mov_b32_e32 v21, s0
	s_branch .LBB169_157
.LBB169_155:
	s_mov_b32 s0, -1
.LBB169_156:
	v_add_co_u32 v22, vcc_lo, v19, v8
	v_add_co_ci_u32_e32 v23, vcc_lo, v20, v9, vcc_lo
	flat_load_b64 v[22:23], v[22:23]
	s_waitcnt vmcnt(0) lgkmcnt(0)
	v_mul_f64 v[22:23], v[22:23], s[6:7]
	s_delay_alu instid0(VALU_DEP_1)
	v_cvt_f32_f64_e32 v22, v[22:23]
	v_add_co_u32 v23, vcc_lo, v16, v8
	v_add_co_ci_u32_e32 v24, vcc_lo, v17, v9, vcc_lo
	v_add_co_u32 v25, vcc_lo, v19, v10
	v_add_co_ci_u32_e32 v26, vcc_lo, v20, v11, vcc_lo
	v_min_f32_e32 v21, v22, v21
	s_delay_alu instid0(VALU_DEP_1) | instskip(SKIP_4) | instid1(VALU_DEP_1)
	v_cvt_f64_f32_e32 v[21:22], v21
	global_store_b64 v[23:24], v[21:22], off
	flat_load_b64 v[21:22], v[25:26]
	s_waitcnt vmcnt(0) lgkmcnt(0)
	v_mul_f64 v[21:22], v[21:22], s[6:7]
	v_cvt_f32_f64_e32 v21, v[21:22]
.LBB169_157:
	v_max_f32_e32 v22, v237, v237
	s_delay_alu instid0(VALU_DEP_2) | instskip(SKIP_2) | instid1(VALU_DEP_3)
	v_max_f32_e32 v21, v21, v21
	v_add_co_u32 v24, vcc_lo, v16, v10
	v_add_co_ci_u32_e32 v25, vcc_lo, v17, v11, vcc_lo
	v_min_f32_e32 v21, v21, v22
	s_mov_b32 vcc_lo, s2
	s_delay_alu instid0(VALU_DEP_1)
	v_cvt_f64_f32_e32 v[22:23], v21
	v_max_f32_e32 v21, v194, v194
	global_store_b64 v[24:25], v[22:23], off
	s_cbranch_vccz .LBB169_160
; %bb.158:
	v_min_f32_e32 v22, 0, v21
	v_add_co_u32 v24, vcc_lo, v16, v12
	v_add_co_ci_u32_e32 v25, vcc_lo, v17, v13, vcc_lo
	s_delay_alu instid0(VALU_DEP_3)
	v_cvt_f64_f32_e32 v[22:23], v22
	s_mov_b32 s0, 0
	global_store_b64 v[24:25], v[22:23], off
	s_cbranch_execz .LBB169_161
; %bb.159:
	v_mov_b32_e32 v19, s0
	s_branch .LBB169_162
.LBB169_160:
	s_mov_b32 s0, -1
.LBB169_161:
	v_add_co_u32 v22, vcc_lo, v19, v12
	v_add_co_ci_u32_e32 v23, vcc_lo, v20, v13, vcc_lo
	flat_load_b64 v[22:23], v[22:23]
	s_waitcnt vmcnt(0) lgkmcnt(0)
	v_mul_f64 v[22:23], v[22:23], s[6:7]
	s_delay_alu instid0(VALU_DEP_1)
	v_cvt_f32_f64_e32 v22, v[22:23]
	v_add_co_u32 v23, vcc_lo, v16, v12
	v_add_co_ci_u32_e32 v24, vcc_lo, v17, v13, vcc_lo
	v_add_co_u32 v19, vcc_lo, v19, v14
	v_add_co_ci_u32_e32 v20, vcc_lo, v20, v15, vcc_lo
	v_min_f32_e32 v21, v22, v21
	s_delay_alu instid0(VALU_DEP_1) | instskip(SKIP_4) | instid1(VALU_DEP_1)
	v_cvt_f64_f32_e32 v[21:22], v21
	global_store_b64 v[23:24], v[21:22], off
	flat_load_b64 v[19:20], v[19:20]
	s_waitcnt vmcnt(0) lgkmcnt(0)
	v_mul_f64 v[19:20], v[19:20], s[6:7]
	v_cvt_f32_f64_e32 v19, v[19:20]
.LBB169_162:
	s_delay_alu instid0(VALU_DEP_1) | instskip(SKIP_2) | instid1(VALU_DEP_3)
	v_dual_max_f32 v20, v125, v125 :: v_dual_max_f32 v19, v19, v19
	v_add_co_u32 v26, vcc_lo, v16, v14
	v_add_co_ci_u32_e32 v27, vcc_lo, v17, v15, vcc_lo
	v_dual_min_f32 v19, v19, v20 :: v_dual_add_nc_u32 v20, 0xe0, v18
	s_delay_alu instid0(VALU_DEP_1) | instskip(NEXT) | instid1(VALU_DEP_2)
	v_cvt_f64_f32_e32 v[22:23], v19
	v_mad_i64_i32 v[18:19], null, v20, s13, 0
	v_mad_i64_i32 v[24:25], null, v20, s12, 0
	v_max_f32_e32 v20, v190, v190
	s_delay_alu instid0(VALU_DEP_3) | instskip(NEXT) | instid1(VALU_DEP_3)
	v_lshlrev_b64 v[18:19], 3, v[18:19]
	v_lshlrev_b64 v[24:25], 3, v[24:25]
	s_delay_alu instid0(VALU_DEP_2) | instskip(NEXT) | instid1(VALU_DEP_3)
	v_add_co_u32 v16, vcc_lo, s3, v18
	v_add_co_ci_u32_e32 v17, vcc_lo, s8, v19, vcc_lo
	s_delay_alu instid0(VALU_DEP_3) | instskip(NEXT) | instid1(VALU_DEP_4)
	v_add_co_u32 v21, vcc_lo, s4, v24
	v_add_co_ci_u32_e32 v19, vcc_lo, s5, v25, vcc_lo
	s_mov_b32 vcc_lo, s2
	global_store_b64 v[26:27], v[22:23], off
	s_cbranch_vccz .LBB169_165
; %bb.163:
	v_min_f32_e32 v18, 0, v20
	v_add_co_u32 v24, vcc_lo, v16, v0
	v_add_co_ci_u32_e32 v25, vcc_lo, v17, v1, vcc_lo
	s_delay_alu instid0(VALU_DEP_3)
	v_cvt_f64_f32_e32 v[22:23], v18
	s_mov_b32 s0, 0
	global_store_b64 v[24:25], v[22:23], off
	s_cbranch_execz .LBB169_166
; %bb.164:
	v_mov_b32_e32 v0, s0
	s_branch .LBB169_167
.LBB169_165:
	s_mov_b32 s0, -1
.LBB169_166:
	v_add_co_u32 v22, vcc_lo, v21, v0
	v_add_co_ci_u32_e32 v23, vcc_lo, v19, v1, vcc_lo
	v_add_co_u32 v0, vcc_lo, v16, v0
	v_add_co_ci_u32_e32 v1, vcc_lo, v17, v1, vcc_lo
	flat_load_b64 v[22:23], v[22:23]
	v_add_co_u32 v24, vcc_lo, v21, v2
	v_add_co_ci_u32_e32 v25, vcc_lo, v19, v3, vcc_lo
	s_waitcnt vmcnt(0) lgkmcnt(0)
	v_mul_f64 v[22:23], v[22:23], s[6:7]
	s_delay_alu instid0(VALU_DEP_1) | instskip(NEXT) | instid1(VALU_DEP_1)
	v_cvt_f32_f64_e32 v18, v[22:23]
	v_min_f32_e32 v18, v18, v20
	s_delay_alu instid0(VALU_DEP_1) | instskip(SKIP_4) | instid1(VALU_DEP_1)
	v_cvt_f64_f32_e32 v[22:23], v18
	global_store_b64 v[0:1], v[22:23], off
	flat_load_b64 v[0:1], v[24:25]
	s_waitcnt vmcnt(0) lgkmcnt(0)
	v_mul_f64 v[0:1], v[0:1], s[6:7]
	v_cvt_f32_f64_e32 v0, v[0:1]
.LBB169_167:
	v_max_f32_e32 v1, v124, v124
	s_delay_alu instid0(VALU_DEP_2) | instskip(NEXT) | instid1(VALU_DEP_1)
	v_max_f32_e32 v0, v0, v0
	v_min_f32_e32 v0, v0, v1
	v_add_co_u32 v1, vcc_lo, v16, v2
	v_add_co_ci_u32_e32 v2, vcc_lo, v17, v3, vcc_lo
	s_delay_alu instid0(VALU_DEP_3)
	v_cvt_f64_f32_e32 v[22:23], v0
	v_max_f32_e32 v0, v134, v134
	s_mov_b32 vcc_lo, s2
	global_store_b64 v[1:2], v[22:23], off
	s_cbranch_vccz .LBB169_170
; %bb.168:
	v_min_f32_e32 v1, 0, v0
	v_add_co_u32 v22, vcc_lo, v16, v4
	v_add_co_ci_u32_e32 v23, vcc_lo, v17, v5, vcc_lo
	s_delay_alu instid0(VALU_DEP_3)
	v_cvt_f64_f32_e32 v[1:2], v1
	s_mov_b32 s0, 0
	global_store_b64 v[22:23], v[1:2], off
	s_cbranch_execz .LBB169_171
; %bb.169:
	v_mov_b32_e32 v0, s0
	s_branch .LBB169_172
.LBB169_170:
	s_mov_b32 s0, -1
.LBB169_171:
	v_add_co_u32 v1, vcc_lo, v21, v4
	v_add_co_ci_u32_e32 v2, vcc_lo, v19, v5, vcc_lo
	flat_load_b64 v[1:2], v[1:2]
	s_waitcnt vmcnt(0) lgkmcnt(0)
	v_mul_f64 v[1:2], v[1:2], s[6:7]
	s_delay_alu instid0(VALU_DEP_1)
	v_cvt_f32_f64_e32 v1, v[1:2]
	v_add_co_u32 v2, vcc_lo, v16, v4
	v_add_co_ci_u32_e32 v3, vcc_lo, v17, v5, vcc_lo
	v_add_co_u32 v4, vcc_lo, v21, v6
	v_add_co_ci_u32_e32 v5, vcc_lo, v19, v7, vcc_lo
	v_min_f32_e32 v0, v1, v0
	s_delay_alu instid0(VALU_DEP_1) | instskip(SKIP_4) | instid1(VALU_DEP_1)
	v_cvt_f64_f32_e32 v[0:1], v0
	global_store_b64 v[2:3], v[0:1], off
	flat_load_b64 v[0:1], v[4:5]
	s_waitcnt vmcnt(0) lgkmcnt(0)
	v_mul_f64 v[0:1], v[0:1], s[6:7]
	v_cvt_f32_f64_e32 v0, v[0:1]
.LBB169_172:
	s_delay_alu instid0(VALU_DEP_1) | instskip(SKIP_2) | instid1(VALU_DEP_3)
	v_dual_max_f32 v1, v123, v123 :: v_dual_max_f32 v0, v0, v0
	v_add_co_u32 v3, vcc_lo, v16, v6
	v_add_co_ci_u32_e32 v4, vcc_lo, v17, v7, vcc_lo
	v_min_f32_e32 v0, v0, v1
	s_mov_b32 vcc_lo, s2
	s_delay_alu instid0(VALU_DEP_1)
	v_cvt_f64_f32_e32 v[1:2], v0
	v_max_f32_e32 v0, v122, v122
	global_store_b64 v[3:4], v[1:2], off
	s_cbranch_vccz .LBB169_175
; %bb.173:
	v_min_f32_e32 v1, 0, v0
	v_add_co_u32 v3, vcc_lo, v16, v8
	v_add_co_ci_u32_e32 v4, vcc_lo, v17, v9, vcc_lo
	s_delay_alu instid0(VALU_DEP_3)
	v_cvt_f64_f32_e32 v[1:2], v1
	s_mov_b32 s0, 0
	global_store_b64 v[3:4], v[1:2], off
	s_cbranch_execz .LBB169_176
; %bb.174:
	v_mov_b32_e32 v0, s0
	s_branch .LBB169_177
.LBB169_175:
	s_mov_b32 s0, -1
.LBB169_176:
	v_add_co_u32 v1, vcc_lo, v21, v8
	v_add_co_ci_u32_e32 v2, vcc_lo, v19, v9, vcc_lo
	flat_load_b64 v[1:2], v[1:2]
	s_waitcnt vmcnt(0) lgkmcnt(0)
	v_mul_f64 v[1:2], v[1:2], s[6:7]
	s_delay_alu instid0(VALU_DEP_1)
	v_cvt_f32_f64_e32 v1, v[1:2]
	v_add_co_u32 v2, vcc_lo, v16, v8
	v_add_co_ci_u32_e32 v3, vcc_lo, v17, v9, vcc_lo
	v_add_co_u32 v4, vcc_lo, v21, v10
	v_add_co_ci_u32_e32 v5, vcc_lo, v19, v11, vcc_lo
	v_min_f32_e32 v0, v1, v0
	s_delay_alu instid0(VALU_DEP_1) | instskip(SKIP_4) | instid1(VALU_DEP_1)
	v_cvt_f64_f32_e32 v[0:1], v0
	global_store_b64 v[2:3], v[0:1], off
	flat_load_b64 v[0:1], v[4:5]
	s_waitcnt vmcnt(0) lgkmcnt(0)
	v_mul_f64 v[0:1], v[0:1], s[6:7]
	v_cvt_f32_f64_e32 v0, v[0:1]
.LBB169_177:
	v_max_f32_e32 v1, v120, v120
	s_delay_alu instid0(VALU_DEP_2) | instskip(SKIP_2) | instid1(VALU_DEP_3)
	v_max_f32_e32 v0, v0, v0
	v_add_co_u32 v3, vcc_lo, v16, v10
	v_add_co_ci_u32_e32 v4, vcc_lo, v17, v11, vcc_lo
	v_min_f32_e32 v0, v0, v1
	s_mov_b32 vcc_lo, s2
	s_delay_alu instid0(VALU_DEP_1)
	v_cvt_f64_f32_e32 v[1:2], v0
	v_max_f32_e32 v0, v115, v115
	global_store_b64 v[3:4], v[1:2], off
	s_cbranch_vccz .LBB169_180
; %bb.178:
	v_min_f32_e32 v1, 0, v0
	v_add_co_u32 v3, vcc_lo, v16, v12
	v_add_co_ci_u32_e32 v4, vcc_lo, v17, v13, vcc_lo
	s_delay_alu instid0(VALU_DEP_3)
	v_cvt_f64_f32_e32 v[1:2], v1
	s_mov_b32 s0, 0
	global_store_b64 v[3:4], v[1:2], off
	s_cbranch_execz .LBB169_181
; %bb.179:
	v_mov_b32_e32 v0, s0
	s_branch .LBB169_182
.LBB169_180:
	s_mov_b32 s0, -1
.LBB169_181:
	v_add_co_u32 v1, vcc_lo, v21, v12
	v_add_co_ci_u32_e32 v2, vcc_lo, v19, v13, vcc_lo
	flat_load_b64 v[1:2], v[1:2]
	s_waitcnt vmcnt(0) lgkmcnt(0)
	v_mul_f64 v[1:2], v[1:2], s[6:7]
	s_delay_alu instid0(VALU_DEP_1)
	v_cvt_f32_f64_e32 v1, v[1:2]
	v_add_co_u32 v2, vcc_lo, v16, v12
	v_add_co_ci_u32_e32 v3, vcc_lo, v17, v13, vcc_lo
	v_add_co_u32 v4, vcc_lo, v21, v14
	v_add_co_ci_u32_e32 v5, vcc_lo, v19, v15, vcc_lo
	v_min_f32_e32 v0, v1, v0
	s_delay_alu instid0(VALU_DEP_1) | instskip(SKIP_4) | instid1(VALU_DEP_1)
	v_cvt_f64_f32_e32 v[0:1], v0
	global_store_b64 v[2:3], v[0:1], off
	flat_load_b64 v[0:1], v[4:5]
	s_waitcnt vmcnt(0) lgkmcnt(0)
	v_mul_f64 v[0:1], v[0:1], s[6:7]
	v_cvt_f32_f64_e32 v0, v[0:1]
.LBB169_182:
	s_delay_alu instid0(VALU_DEP_1) | instskip(SKIP_2) | instid1(VALU_DEP_3)
	v_dual_max_f32 v1, v114, v114 :: v_dual_max_f32 v0, v0, v0
	v_add_co_u32 v2, vcc_lo, v16, v14
	v_add_co_ci_u32_e32 v3, vcc_lo, v17, v15, vcc_lo
	v_min_f32_e32 v0, v0, v1
	s_delay_alu instid0(VALU_DEP_1)
	v_cvt_f64_f32_e32 v[0:1], v0
	global_store_b64 v[2:3], v[0:1], off
	s_endpgm
	.section	.rodata,"a",@progbits
	.p2align	6, 0x0
	.amdhsa_kernel _ZN12_GLOBAL__N_120geam_min_plus_kernelId15HIP_vector_typeIdLj2EEdLi8ELi32ELi64ELi256ELi4ELi64ELi4ELi64ELi4ELc78ELc84ELb1ELb0ELb1EdKddEEviiiT16_PT17_ilS6_ilS4_S6_ilPT18_ili26rocblas_geam_ex_operation_
		.amdhsa_group_segment_fixed_size 20480
		.amdhsa_private_segment_fixed_size 400
		.amdhsa_kernarg_size 136
		.amdhsa_user_sgpr_count 14
		.amdhsa_user_sgpr_dispatch_ptr 0
		.amdhsa_user_sgpr_queue_ptr 0
		.amdhsa_user_sgpr_kernarg_segment_ptr 1
		.amdhsa_user_sgpr_dispatch_id 0
		.amdhsa_user_sgpr_private_segment_size 0
		.amdhsa_wavefront_size32 1
		.amdhsa_uses_dynamic_stack 0
		.amdhsa_enable_private_segment 1
		.amdhsa_system_sgpr_workgroup_id_x 1
		.amdhsa_system_sgpr_workgroup_id_y 0
		.amdhsa_system_sgpr_workgroup_id_z 1
		.amdhsa_system_sgpr_workgroup_info 0
		.amdhsa_system_vgpr_workitem_id 1
		.amdhsa_next_free_vgpr 256
		.amdhsa_next_free_sgpr 25
		.amdhsa_reserve_vcc 1
		.amdhsa_float_round_mode_32 0
		.amdhsa_float_round_mode_16_64 0
		.amdhsa_float_denorm_mode_32 3
		.amdhsa_float_denorm_mode_16_64 3
		.amdhsa_dx10_clamp 1
		.amdhsa_ieee_mode 1
		.amdhsa_fp16_overflow 0
		.amdhsa_workgroup_processor_mode 1
		.amdhsa_memory_ordered 1
		.amdhsa_forward_progress 0
		.amdhsa_shared_vgpr_count 0
		.amdhsa_exception_fp_ieee_invalid_op 0
		.amdhsa_exception_fp_denorm_src 0
		.amdhsa_exception_fp_ieee_div_zero 0
		.amdhsa_exception_fp_ieee_overflow 0
		.amdhsa_exception_fp_ieee_underflow 0
		.amdhsa_exception_fp_ieee_inexact 0
		.amdhsa_exception_int_div_zero 0
	.end_amdhsa_kernel
	.section	.text._ZN12_GLOBAL__N_120geam_min_plus_kernelId15HIP_vector_typeIdLj2EEdLi8ELi32ELi64ELi256ELi4ELi64ELi4ELi64ELi4ELc78ELc84ELb1ELb0ELb1EdKddEEviiiT16_PT17_ilS6_ilS4_S6_ilPT18_ili26rocblas_geam_ex_operation_,"axG",@progbits,_ZN12_GLOBAL__N_120geam_min_plus_kernelId15HIP_vector_typeIdLj2EEdLi8ELi32ELi64ELi256ELi4ELi64ELi4ELi64ELi4ELc78ELc84ELb1ELb0ELb1EdKddEEviiiT16_PT17_ilS6_ilS4_S6_ilPT18_ili26rocblas_geam_ex_operation_,comdat
.Lfunc_end169:
	.size	_ZN12_GLOBAL__N_120geam_min_plus_kernelId15HIP_vector_typeIdLj2EEdLi8ELi32ELi64ELi256ELi4ELi64ELi4ELi64ELi4ELc78ELc84ELb1ELb0ELb1EdKddEEviiiT16_PT17_ilS6_ilS4_S6_ilPT18_ili26rocblas_geam_ex_operation_, .Lfunc_end169-_ZN12_GLOBAL__N_120geam_min_plus_kernelId15HIP_vector_typeIdLj2EEdLi8ELi32ELi64ELi256ELi4ELi64ELi4ELi64ELi4ELc78ELc84ELb1ELb0ELb1EdKddEEviiiT16_PT17_ilS6_ilS4_S6_ilPT18_ili26rocblas_geam_ex_operation_
                                        ; -- End function
	.section	.AMDGPU.csdata,"",@progbits
; Kernel info:
; codeLenInByte = 22892
; NumSgprs: 27
; NumVgprs: 256
; ScratchSize: 400
; MemoryBound: 0
; FloatMode: 240
; IeeeMode: 1
; LDSByteSize: 20480 bytes/workgroup (compile time only)
; SGPRBlocks: 3
; VGPRBlocks: 31
; NumSGPRsForWavesPerEU: 27
; NumVGPRsForWavesPerEU: 256
; Occupancy: 5
; WaveLimiterHint : 1
; COMPUTE_PGM_RSRC2:SCRATCH_EN: 1
; COMPUTE_PGM_RSRC2:USER_SGPR: 14
; COMPUTE_PGM_RSRC2:TRAP_HANDLER: 0
; COMPUTE_PGM_RSRC2:TGID_X_EN: 1
; COMPUTE_PGM_RSRC2:TGID_Y_EN: 0
; COMPUTE_PGM_RSRC2:TGID_Z_EN: 1
; COMPUTE_PGM_RSRC2:TIDIG_COMP_CNT: 1
	.section	.text._ZN12_GLOBAL__N_120geam_min_plus_kernelId15HIP_vector_typeIdLj2EEdLi8ELi32ELi64ELi256ELi4ELi64ELi4ELi64ELi4ELc78ELc84ELb0ELb0ELb1EdKddEEviiiT16_PT17_ilS6_ilS4_S6_ilPT18_ili26rocblas_geam_ex_operation_,"axG",@progbits,_ZN12_GLOBAL__N_120geam_min_plus_kernelId15HIP_vector_typeIdLj2EEdLi8ELi32ELi64ELi256ELi4ELi64ELi4ELi64ELi4ELc78ELc84ELb0ELb0ELb1EdKddEEviiiT16_PT17_ilS6_ilS4_S6_ilPT18_ili26rocblas_geam_ex_operation_,comdat
	.globl	_ZN12_GLOBAL__N_120geam_min_plus_kernelId15HIP_vector_typeIdLj2EEdLi8ELi32ELi64ELi256ELi4ELi64ELi4ELi64ELi4ELc78ELc84ELb0ELb0ELb1EdKddEEviiiT16_PT17_ilS6_ilS4_S6_ilPT18_ili26rocblas_geam_ex_operation_ ; -- Begin function _ZN12_GLOBAL__N_120geam_min_plus_kernelId15HIP_vector_typeIdLj2EEdLi8ELi32ELi64ELi256ELi4ELi64ELi4ELi64ELi4ELc78ELc84ELb0ELb0ELb1EdKddEEviiiT16_PT17_ilS6_ilS4_S6_ilPT18_ili26rocblas_geam_ex_operation_
	.p2align	8
	.type	_ZN12_GLOBAL__N_120geam_min_plus_kernelId15HIP_vector_typeIdLj2EEdLi8ELi32ELi64ELi256ELi4ELi64ELi4ELi64ELi4ELc78ELc84ELb0ELb0ELb1EdKddEEviiiT16_PT17_ilS6_ilS4_S6_ilPT18_ili26rocblas_geam_ex_operation_,@function
_ZN12_GLOBAL__N_120geam_min_plus_kernelId15HIP_vector_typeIdLj2EEdLi8ELi32ELi64ELi256ELi4ELi64ELi4ELi64ELi4ELc78ELc84ELb0ELb0ELb1EdKddEEviiiT16_PT17_ilS6_ilS4_S6_ilPT18_ili26rocblas_geam_ex_operation_: ; @_ZN12_GLOBAL__N_120geam_min_plus_kernelId15HIP_vector_typeIdLj2EEdLi8ELi32ELi64ELi256ELi4ELi64ELi4ELi64ELi4ELc78ELc84ELb0ELb0ELb1EdKddEEviiiT16_PT17_ilS6_ilS4_S6_ilPT18_ili26rocblas_geam_ex_operation_
; %bb.0:
	s_clause 0x1
	s_load_b128 s[20:23], s[0:1], 0x10
	s_load_b128 s[4:7], s[0:1], 0x28
	s_mov_b64 s[24:25], 0
	s_waitcnt lgkmcnt(0)
	v_cmp_eq_f64_e64 s2, s[20:21], 0
	s_delay_alu instid0(VALU_DEP_1)
	s_and_b32 vcc_lo, exec_lo, s2
	s_cbranch_vccnz .LBB170_2
; %bb.1:
	s_mul_i32 s3, s15, s5
	s_mul_hi_u32 s5, s15, s4
	s_mul_i32 s4, s15, s4
	s_add_i32 s5, s5, s3
	s_delay_alu instid0(SALU_CYCLE_1) | instskip(NEXT) | instid1(SALU_CYCLE_1)
	s_lshl_b64 s[4:5], s[4:5], 3
	s_add_u32 s24, s22, s4
	s_addc_u32 s25, s23, s5
.LBB170_2:
	s_clause 0x1
	s_load_b128 s[8:11], s[0:1], 0x40
	s_load_b64 s[22:23], s[0:1], 0x50
	v_cndmask_b32_e64 v1, 0, 1, s2
	s_and_not1_b32 vcc_lo, exec_lo, s2
	s_delay_alu instid0(VALU_DEP_1)
	v_cmp_ne_u32_e64 s4, 1, v1
	s_cbranch_vccnz .LBB170_4
; %bb.3:
	s_mov_b32 s26, 0
	s_mov_b64 s[12:13], 0
	s_cbranch_execz .LBB170_5
	s_branch .LBB170_6
.LBB170_4:
	s_mov_b32 s26, -1
                                        ; implicit-def: $sgpr12_sgpr13
.LBB170_5:
	s_waitcnt lgkmcnt(0)
	s_mul_i32 s2, s15, s9
	s_mul_hi_u32 s3, s15, s8
	s_mov_b32 s26, 0
	s_add_i32 s3, s3, s2
	s_mul_i32 s2, s15, s8
	s_delay_alu instid0(SALU_CYCLE_1) | instskip(NEXT) | instid1(SALU_CYCLE_1)
	s_lshl_b64 s[2:3], s[2:3], 3
	s_add_u32 s12, s6, s2
	s_addc_u32 s13, s7, s3
.LBB170_6:
	s_waitcnt lgkmcnt(0)
	v_cmp_eq_f64_e64 s2, s[10:11], 0
	s_load_b128 s[16:19], s[0:1], 0x60
	s_mov_b64 s[6:7], 0
	s_delay_alu instid0(VALU_DEP_1) | instskip(NEXT) | instid1(SALU_CYCLE_1)
	s_and_b32 s2, exec_lo, s2
	s_mov_b32 vcc_lo, s2
	s_cbranch_vccnz .LBB170_8
; %bb.7:
	s_waitcnt lgkmcnt(0)
	s_mul_i32 s3, s15, s17
	s_mul_hi_u32 s5, s15, s16
	s_mul_i32 s6, s26, s16
	s_add_i32 s3, s5, s3
	s_delay_alu instid0(SALU_CYCLE_1) | instskip(SKIP_1) | instid1(SALU_CYCLE_1)
	s_add_i32 s7, s3, s6
	s_mul_i32 s6, s15, s16
	s_lshl_b64 s[6:7], s[6:7], 3
	s_delay_alu instid0(SALU_CYCLE_1)
	s_add_u32 s6, s22, s6
	s_addc_u32 s7, s23, s7
.LBB170_8:
	s_load_b32 s3, s[0:1], 0x0
	s_waitcnt lgkmcnt(0)
	s_load_b32 s16, s[0:1], 0x20
	v_bfe_u32 v232, v0, 10, 10
	s_add_i32 s3, s3, -1
	s_waitcnt lgkmcnt(0)
	s_ashr_i32 s17, s16, 31
	s_ashr_i32 s5, s3, 31
	s_delay_alu instid0(SALU_CYCLE_1) | instskip(NEXT) | instid1(SALU_CYCLE_1)
	s_lshr_b32 s5, s5, 26
	s_add_i32 s3, s3, s5
	s_delay_alu instid0(SALU_CYCLE_1) | instskip(NEXT) | instid1(SALU_CYCLE_1)
	s_ashr_i32 s3, s3, 6
	s_add_i32 s5, s3, 1
	s_not_b32 s3, s3
	v_cvt_f32_u32_e32 v1, s5
	s_delay_alu instid0(VALU_DEP_1) | instskip(SKIP_2) | instid1(VALU_DEP_1)
	v_rcp_iflag_f32_e32 v1, v1
	s_waitcnt_depctr 0xfff
	v_mul_f32_e32 v1, 0x4f7ffffe, v1
	v_cvt_u32_f32_e32 v1, v1
	s_delay_alu instid0(VALU_DEP_1) | instskip(SKIP_1) | instid1(VALU_DEP_2)
	v_readfirstlane_b32 s8, v1
	v_and_b32_e32 v1, 0x3ff, v0
	s_mul_i32 s3, s3, s8
	s_delay_alu instid0(VALU_DEP_1)
	v_lshl_add_u32 v0, v232, 3, v1
	s_mul_hi_u32 s3, s8, s3
	scratch_store_b32 off, v1, off          ; 4-byte Folded Spill
	s_add_i32 s8, s8, s3
	v_and_b32_e32 v112, 63, v0
	s_mul_hi_u32 s3, s14, s8
	v_lshrrev_b32_e32 v243, 6, v0
	s_mul_i32 s8, s3, s5
	s_add_i32 s9, s3, 1
	s_sub_i32 s8, s14, s8
	s_delay_alu instid0(SALU_CYCLE_1)
	s_sub_i32 s22, s8, s5
	s_cmp_ge_u32 s8, s5
	s_cselect_b32 s3, s9, s3
	s_cselect_b32 s8, s22, s8
	s_add_i32 s9, s3, 1
	s_cmp_ge_u32 s8, s5
	s_mov_b32 s22, -1
	s_cselect_b32 s3, s9, s3
	s_and_b32 vcc_lo, exec_lo, s4
	s_mul_i32 s5, s3, s5
	s_delay_alu instid0(SALU_CYCLE_1) | instskip(NEXT) | instid1(SALU_CYCLE_1)
	s_sub_i32 s5, s14, s5
	s_lshl_b32 s14, s5, 6
	s_cbranch_vccnz .LBB170_10
; %bb.9:
	v_mov_b32_e32 v2, 0
	s_mov_b32 s22, 0
	s_mov_b64 s[8:9], 0
	s_branch .LBB170_11
.LBB170_10:
                                        ; implicit-def: $sgpr8_sgpr9
                                        ; implicit-def: $vgpr1_vgpr2
.LBB170_11:
	v_cmp_neq_f64_e64 s5, s[20:21], 0
	v_or_b32_e32 v14, s14, v112
	s_and_not1_b32 vcc_lo, exec_lo, s22
	s_delay_alu instid0(VALU_DEP_1)
	v_ashrrev_i32_e32 v15, 31, v14
	s_cbranch_vccnz .LBB170_13
; %bb.12:
	v_mad_i64_i32 v[0:1], null, s16, v243, 0
	s_delay_alu instid0(VALU_DEP_2) | instskip(NEXT) | instid1(VALU_DEP_2)
	v_lshlrev_b64 v[2:3], 3, v[14:15]
	v_lshlrev_b64 v[0:1], 3, v[0:1]
	s_delay_alu instid0(VALU_DEP_1) | instskip(NEXT) | instid1(VALU_DEP_2)
	v_add_co_u32 v0, vcc_lo, s24, v0
	v_add_co_ci_u32_e32 v1, vcc_lo, s25, v1, vcc_lo
	s_delay_alu instid0(VALU_DEP_2) | instskip(NEXT) | instid1(VALU_DEP_2)
	v_add_co_u32 v0, vcc_lo, v0, v2
	v_add_co_ci_u32_e32 v1, vcc_lo, v1, v3, vcc_lo
	v_mov_b32_e32 v2, 0
	flat_load_b64 v[0:1], v[0:1]
	s_waitcnt vmcnt(0) lgkmcnt(0)
	v_mul_f64 v[0:1], v[0:1], s[20:21]
	s_branch .LBB170_14
.LBB170_13:
	v_dual_mov_b32 v0, s8 :: v_dual_mov_b32 v1, s9
.LBB170_14:
	s_load_b32 s9, s[0:1], 0x38
	s_lshl_b32 s8, s3, 8
	s_delay_alu instid0(SALU_CYCLE_1) | instskip(NEXT) | instid1(VALU_DEP_1)
	v_or_b32_e32 v24, s8, v112
	v_ashrrev_i32_e32 v25, 31, v24
	s_waitcnt lgkmcnt(0)
	s_ashr_i32 s22, s9, 31
	v_mul_lo_u32 v4, v2, s9
	v_mad_u64_u32 v[2:3], null, v243, s9, 0
	v_mul_lo_u32 v5, v243, s22
	s_delay_alu instid0(VALU_DEP_1) | instskip(SKIP_1) | instid1(VALU_DEP_2)
	v_add3_u32 v3, v3, v5, v4
	v_cndmask_b32_e64 v4, 0, 1, s5
	v_lshlrev_b64 v[2:3], 3, v[2:3]
	s_delay_alu instid0(VALU_DEP_2) | instskip(NEXT) | instid1(VALU_DEP_2)
	v_cmp_ne_u32_e64 s3, 1, v4
	v_add_co_u32 v8, vcc_lo, s12, v2
	s_delay_alu instid0(VALU_DEP_3)
	v_add_co_ci_u32_e32 v9, vcc_lo, s13, v3, vcc_lo
	s_and_not1_b32 vcc_lo, exec_lo, s5
	s_cbranch_vccnz .LBB170_19
; %bb.15:
	v_lshlrev_b64 v[2:3], 3, v[24:25]
	s_delay_alu instid0(VALU_DEP_1) | instskip(NEXT) | instid1(VALU_DEP_2)
	v_add_co_u32 v2, vcc_lo, v8, v2
	v_add_co_ci_u32_e32 v3, vcc_lo, v9, v3, vcc_lo
	s_clause 0x1
	flat_load_b64 v[10:11], v[2:3]
	flat_load_b64 v[12:13], v[2:3] offset:512
	s_waitcnt vmcnt(1) lgkmcnt(1)
	v_mul_f64 v[2:3], v[10:11], s[20:21]
	s_waitcnt vmcnt(0) lgkmcnt(0)
	v_mul_f64 v[18:19], v[12:13], s[20:21]
	s_and_b32 vcc_lo, exec_lo, s3
	s_cbranch_vccnz .LBB170_20
.LBB170_16:
	v_lshlrev_b64 v[10:11], 3, v[24:25]
	s_delay_alu instid0(VALU_DEP_1) | instskip(NEXT) | instid1(VALU_DEP_2)
	v_add_co_u32 v8, vcc_lo, v8, v10
	v_add_co_ci_u32_e32 v9, vcc_lo, v9, v11, vcc_lo
	s_clause 0x1
	flat_load_b64 v[10:11], v[8:9] offset:1024
	flat_load_b64 v[8:9], v[8:9] offset:1536
	s_waitcnt vmcnt(1) lgkmcnt(1)
	v_mul_f64 v[20:21], v[10:11], s[20:21]
	s_waitcnt vmcnt(0) lgkmcnt(0)
	v_mul_f64 v[22:23], v[8:9], s[20:21]
	v_add_nc_u32_e32 v6, 4, v243
	s_and_b32 vcc_lo, exec_lo, s4
	s_cbranch_vccnz .LBB170_21
.LBB170_17:
	v_mov_b32_e32 v10, 0
	s_mov_b64 s[4:5], 0
	scratch_store_b64 off, v[14:15], off offset:348 ; 8-byte Folded Spill
	s_cbranch_execz .LBB170_22
; %bb.18:
	v_dual_mov_b32 v4, s4 :: v_dual_mov_b32 v5, s5
	s_branch .LBB170_23
.LBB170_19:
	v_mov_b32_e32 v2, 0
	v_dual_mov_b32 v3, 0 :: v_dual_mov_b32 v18, 0
	v_mov_b32_e32 v19, 0
	s_and_b32 vcc_lo, exec_lo, s3
	s_cbranch_vccz .LBB170_16
.LBB170_20:
	v_mov_b32_e32 v20, 0
	v_dual_mov_b32 v21, 0 :: v_dual_mov_b32 v22, 0
	v_dual_mov_b32 v23, 0 :: v_dual_add_nc_u32 v6, 4, v243
	s_and_b32 vcc_lo, exec_lo, s4
	s_cbranch_vccz .LBB170_17
.LBB170_21:
                                        ; implicit-def: $sgpr4_sgpr5
                                        ; implicit-def: $vgpr9_vgpr10
	scratch_store_b64 off, v[14:15], off offset:348 ; 8-byte Folded Spill
.LBB170_22:
	v_mad_i64_i32 v[8:9], null, s16, v6, 0
	v_lshlrev_b64 v[10:11], 3, v[14:15]
	s_delay_alu instid0(VALU_DEP_2) | instskip(NEXT) | instid1(VALU_DEP_1)
	v_lshlrev_b64 v[8:9], 3, v[8:9]
	v_add_co_u32 v4, vcc_lo, s24, v8
	s_delay_alu instid0(VALU_DEP_2) | instskip(NEXT) | instid1(VALU_DEP_2)
	v_add_co_ci_u32_e32 v5, vcc_lo, s25, v9, vcc_lo
	v_add_co_u32 v8, vcc_lo, v4, v10
	s_delay_alu instid0(VALU_DEP_2)
	v_add_co_ci_u32_e32 v9, vcc_lo, v5, v11, vcc_lo
	v_mov_b32_e32 v10, 0
	flat_load_b64 v[8:9], v[8:9]
	s_waitcnt vmcnt(0) lgkmcnt(0)
	v_mul_f64 v[4:5], v[8:9], s[20:21]
.LBB170_23:
	scratch_store_b64 off, v[4:5], off offset:308 ; 8-byte Folded Spill
	v_mul_lo_u32 v4, v10, s9
	v_mul_lo_u32 v5, v6, s22
	v_mad_u64_u32 v[10:11], null, v6, s9, 0
	s_delay_alu instid0(VALU_DEP_1) | instskip(NEXT) | instid1(VALU_DEP_1)
	v_add3_u32 v11, v11, v5, v4
	v_lshlrev_b64 v[10:11], 3, v[10:11]
	s_delay_alu instid0(VALU_DEP_1) | instskip(NEXT) | instid1(VALU_DEP_2)
	v_add_co_u32 v14, vcc_lo, s12, v10
	v_add_co_ci_u32_e32 v15, vcc_lo, s13, v11, vcc_lo
	s_and_b32 vcc_lo, exec_lo, s3
	s_cbranch_vccnz .LBB170_25
; %bb.24:
	v_lshlrev_b64 v[10:11], 3, v[24:25]
	s_delay_alu instid0(VALU_DEP_1) | instskip(NEXT) | instid1(VALU_DEP_2)
	v_add_co_u32 v10, vcc_lo, v14, v10
	v_add_co_ci_u32_e32 v11, vcc_lo, v15, v11, vcc_lo
	s_clause 0x1
	flat_load_b64 v[12:13], v[10:11]
	flat_load_b64 v[16:17], v[10:11] offset:512
	s_waitcnt vmcnt(1) lgkmcnt(1)
	v_mul_f64 v[4:5], v[12:13], s[20:21]
	scratch_store_b64 off, v[4:5], off offset:316 ; 8-byte Folded Spill
	s_waitcnt vmcnt(0) lgkmcnt(0)
	v_mul_f64 v[4:5], v[16:17], s[20:21]
	s_branch .LBB170_26
.LBB170_25:
	v_mov_b32_e32 v4, 0
	v_mov_b32_e32 v5, 0
	scratch_store_b64 off, v[4:5], off offset:316 ; 8-byte Folded Spill
	v_mov_b32_e32 v4, 0
	v_mov_b32_e32 v5, 0
.LBB170_26:
	s_and_b32 vcc_lo, exec_lo, s3
	s_clause 0x2
	scratch_store_b64 off, v[4:5], off offset:324
	scratch_store_b32 off, v6, off offset:356
	scratch_store_b64 off, v[24:25], off offset:376
	s_cbranch_vccnz .LBB170_28
; %bb.27:
	v_lshlrev_b64 v[16:17], 3, v[24:25]
	s_delay_alu instid0(VALU_DEP_1) | instskip(NEXT) | instid1(VALU_DEP_2)
	v_add_co_u32 v14, vcc_lo, v14, v16
	v_add_co_ci_u32_e32 v15, vcc_lo, v15, v17, vcc_lo
	s_clause 0x1
	flat_load_b64 v[16:17], v[14:15] offset:1024
	flat_load_b64 v[25:26], v[14:15] offset:1536
	s_waitcnt vmcnt(1) lgkmcnt(1)
	v_mul_f64 v[4:5], v[16:17], s[20:21]
	scratch_store_b64 off, v[4:5], off offset:332 ; 8-byte Folded Spill
	s_waitcnt vmcnt(0) lgkmcnt(0)
	v_mul_f64 v[4:5], v[25:26], s[20:21]
	s_branch .LBB170_29
.LBB170_28:
	v_mov_b32_e32 v4, 0
	v_mov_b32_e32 v5, 0
	scratch_store_b64 off, v[4:5], off offset:332 ; 8-byte Folded Spill
	v_mov_b32_e32 v4, 0
	v_mov_b32_e32 v5, 0
.LBB170_29:
	scratch_store_b64 off, v[4:5], off offset:340 ; 8-byte Folded Spill
	v_dual_mov_b32 v113, 0x7f800000 :: v_dual_lshlrev_b32 v4, 3, v243
	v_dual_mov_b32 v120, 0x7f800000 :: v_dual_mov_b32 v129, 0x7f800000
	v_dual_mov_b32 v76, 0x7f800000 :: v_dual_mov_b32 v135, 0x7f800000
	s_delay_alu instid0(VALU_DEP_3) | instskip(SKIP_2) | instid1(VALU_DEP_3)
	v_lshl_add_u32 v4, v112, 5, v4
	v_dual_mov_b32 v118, 0x7f800000 :: v_dual_mov_b32 v247, 0x7f800000
	v_dual_mov_b32 v122, 0x7f800000 :: v_dual_mov_b32 v7, 0x7f800000
	v_or_b32_e32 v5, 0x4000, v4
	v_dual_mov_b32 v126, 0x7f800000 :: v_dual_mov_b32 v117, 0x7f800000
	v_dual_mov_b32 v124, 0x7f800000 :: v_dual_mov_b32 v191, 0x7f800000
	;; [unrolled: 1-line block ×27, first 2 shown]
	v_mov_b32_e32 v141, 0x7f800000
	s_mov_b32 s5, 0
	s_mov_b32 s4, -1
	scratch_store_b32 off, v5, off offset:364 ; 4-byte Folded Spill
	ds_store_b64 v4, v[0:1] offset:16384
	ds_store_2addr_stride64_b64 v4, v[2:3], v[18:19] offset1:4
	scratch_store_b32 off, v4, off offset:360 ; 4-byte Folded Spill
	ds_store_2addr_stride64_b64 v4, v[20:21], v[22:23] offset0:8 offset1:12
	s_waitcnt lgkmcnt(0)
	s_waitcnt_vscnt null, 0x0
	s_barrier
	buffer_gl0_inv
.LBB170_30:                             ; =>This Inner Loop Header: Depth=1
	scratch_load_b32 v0, off, off           ; 4-byte Folded Reload
	s_lshl_b32 s5, s5, 3
	v_dual_mov_b32 v217, v7 :: v_dual_mov_b32 v116, v76
	v_lshl_add_u32 v24, v232, 5, s5
	v_mov_b32_e32 v28, v55
	s_and_not1_b32 vcc_lo, exec_lo, s4
	s_mov_b32 s4, 0
	s_waitcnt vmcnt(0)
	v_lshl_add_u32 v4, v0, 5, s5
	s_mov_b32 s5, 2
	ds_load_b128 v[18:21], v24
	ds_load_b128 v[0:3], v4 offset:16384
	ds_load_b128 v[186:189], v4 offset:16640
	;; [unrolled: 1-line block ×3, first 2 shown]
	s_waitcnt lgkmcnt(2)
	v_add_f64 v[5:6], v[2:3], v[20:21]
	scratch_store_b64 off, v[5:6], off offset:36 ; 8-byte Folded Spill
	v_add_f64 v[5:6], v[0:1], v[18:19]
	scratch_store_b64 off, v[5:6], off offset:100 ; 8-byte Folded Spill
	s_waitcnt lgkmcnt(1)
	v_add_f64 v[5:6], v[188:189], v[20:21]
	scratch_store_b64 off, v[5:6], off offset:4 ; 8-byte Folded Spill
	v_add_f64 v[5:6], v[186:187], v[18:19]
	scratch_store_b64 off, v[5:6], off offset:68 ; 8-byte Folded Spill
	ds_load_b128 v[33:36], v4 offset:16896
	ds_load_b128 v[37:40], v4 offset:17152
	s_waitcnt lgkmcnt(1)
	v_add_f64 v[5:6], v[35:36], v[20:21]
	scratch_store_b64 off, v[5:6], off offset:44 ; 8-byte Folded Spill
	v_add_f64 v[5:6], v[33:34], v[18:19]
	scratch_store_b64 off, v[5:6], off offset:108 ; 8-byte Folded Spill
	s_waitcnt lgkmcnt(0)
	v_add_f64 v[5:6], v[39:40], v[20:21]
	scratch_store_b64 off, v[5:6], off offset:12 ; 8-byte Folded Spill
	v_add_f64 v[5:6], v[37:38], v[18:19]
	scratch_store_b64 off, v[5:6], off offset:76 ; 8-byte Folded Spill
	ds_load_b128 v[41:44], v4 offset:17408
	ds_load_b128 v[45:48], v4 offset:17664
	;; [unrolled: 1-line block ×4, first 2 shown]
	s_waitcnt lgkmcnt(3)
	v_add_f64 v[5:6], v[43:44], v[20:21]
	scratch_store_b64 off, v[5:6], off offset:52 ; 8-byte Folded Spill
	v_add_f64 v[5:6], v[41:42], v[18:19]
	scratch_store_b64 off, v[5:6], off offset:116 ; 8-byte Folded Spill
	s_waitcnt lgkmcnt(2)
	v_add_f64 v[5:6], v[47:48], v[20:21]
	scratch_store_b64 off, v[5:6], off offset:20 ; 8-byte Folded Spill
	v_add_f64 v[5:6], v[45:46], v[18:19]
	scratch_store_b64 off, v[5:6], off offset:84 ; 8-byte Folded Spill
	s_waitcnt lgkmcnt(1)
	v_add_f64 v[4:5], v[51:52], v[20:21]
	scratch_store_b64 off, v[4:5], off offset:60 ; 8-byte Folded Spill
	v_add_f64 v[4:5], v[49:50], v[18:19]
	scratch_store_b64 off, v[4:5], off offset:124 ; 8-byte Folded Spill
	s_waitcnt lgkmcnt(0)
	v_add_f64 v[4:5], v[55:56], v[20:21]
	scratch_store_b64 off, v[4:5], off offset:28 ; 8-byte Folded Spill
	v_add_f64 v[4:5], v[53:54], v[18:19]
	scratch_store_b64 off, v[4:5], off offset:92 ; 8-byte Folded Spill
	v_add_f64 v[4:5], v[2:3], v[31:32]
	scratch_store_b64 off, v[4:5], off offset:132 ; 8-byte Folded Spill
	v_add_f64 v[4:5], v[0:1], v[29:30]
	scratch_store_b64 off, v[4:5], off offset:140 ; 8-byte Folded Spill
	;; [unrolled: 2-line block ×16, first 2 shown]
	ds_load_b128 v[18:21], v24 offset:2048
	ds_load_b128 v[29:32], v24 offset:3072
	s_waitcnt lgkmcnt(1)
	v_add_f64 v[4:5], v[43:44], v[20:21]
	v_add_f64 v[170:171], v[2:3], v[20:21]
	v_add_f64 v[106:107], v[0:1], v[18:19]
	v_add_f64 v[172:173], v[188:189], v[20:21]
	v_add_f64 v[166:167], v[186:187], v[18:19]
	v_add_f64 v[178:179], v[35:36], v[20:21]
	v_add_f64 v[168:169], v[33:34], v[18:19]
	v_add_f64 v[182:183], v[39:40], v[20:21]
	v_add_f64 v[174:175], v[37:38], v[18:19]
	v_add_f64 v[180:181], v[41:42], v[18:19]
	v_add_f64 v[184:185], v[45:46], v[18:19]
	s_waitcnt lgkmcnt(0)
	v_add_f64 v[176:177], v[2:3], v[31:32]
	v_add_f64 v[224:225], v[0:1], v[29:30]
	;; [unrolled: 1-line block ×16, first 2 shown]
	scratch_store_b64 off, v[4:5], off offset:292 ; 8-byte Folded Spill
	v_add_f64 v[4:5], v[47:48], v[20:21]
	scratch_store_b64 off, v[4:5], off offset:276 ; 8-byte Folded Spill
	v_add_f64 v[4:5], v[51:52], v[20:21]
	scratch_store_b64 off, v[4:5], off offset:268 ; 8-byte Folded Spill
	v_add_f64 v[4:5], v[49:50], v[18:19]
	scratch_store_b64 off, v[4:5], off offset:300 ; 8-byte Folded Spill
	v_add_f64 v[4:5], v[55:56], v[20:21]
	scratch_store_b64 off, v[4:5], off offset:260 ; 8-byte Folded Spill
	v_add_f64 v[4:5], v[53:54], v[18:19]
	scratch_store_b64 off, v[4:5], off offset:284 ; 8-byte Folded Spill
	ds_load_b128 v[18:21], v24 offset:4096
	ds_load_b128 v[29:32], v24 offset:5120
	s_waitcnt lgkmcnt(1)
	v_add_f64 v[254:255], v[2:3], v[20:21]
	v_add_f64 v[8:9], v[0:1], v[18:19]
	;; [unrolled: 1-line block ×16, first 2 shown]
	s_waitcnt lgkmcnt(0)
	v_add_f64 v[164:165], v[2:3], v[31:32]
	v_add_f64 v[162:163], v[0:1], v[29:30]
	;; [unrolled: 1-line block ×16, first 2 shown]
	ds_load_b128 v[18:21], v24 offset:6144
	ds_load_b128 v[29:32], v24 offset:7168
	v_cvt_f32_f64_e32 v8, v[8:9]
	v_cvt_f32_f64_e32 v9, v[254:255]
	;; [unrolled: 1-line block ×4, first 2 shown]
	v_mov_b32_e32 v7, v217
	v_cvt_f32_f64_e32 v5, v[144:145]
	s_waitcnt lgkmcnt(1)
	v_add_f64 v[100:101], v[0:1], v[18:19]
	v_add_f64 v[61:62], v[186:187], v[18:19]
	;; [unrolled: 1-line block ×8, first 2 shown]
	s_waitcnt lgkmcnt(0)
	v_add_f64 v[0:1], v[0:1], v[29:30]
	v_add_f64 v[24:25], v[186:187], v[29:30]
	;; [unrolled: 1-line block ×8, first 2 shown]
	scratch_load_b64 v[53:54], off, off offset:100 ; 8-byte Folded Reload
	v_add_f64 v[96:97], v[2:3], v[20:21]
	v_add_f64 v[59:60], v[188:189], v[20:21]
	;; [unrolled: 1-line block ×16, first 2 shown]
	v_mov_b32_e32 v55, v28
	v_min3_f32 v198, v6, v4, v198
	v_cvt_f32_f64_e32 v4, v[142:143]
	v_min3_f32 v201, v8, v9, v201
	v_cvt_f32_f64_e32 v8, v[12:13]
	v_cvt_f32_f64_e32 v9, v[10:11]
	;; [unrolled: 1-line block ×4, first 2 shown]
	v_min3_f32 v195, v4, v5, v195
	v_cvt_f32_f64_e32 v4, v[65:66]
	v_cvt_f32_f64_e32 v5, v[75:76]
	v_mov_b32_e32 v76, v116
	v_min3_f32 v200, v8, v9, v200
	v_cvt_f32_f64_e32 v8, v[16:17]
	v_cvt_f32_f64_e32 v9, v[14:15]
	v_min3_f32 v129, v0, v1, v129
	v_cvt_f32_f64_e32 v0, v[24:25]
	v_cvt_f32_f64_e32 v1, v[26:27]
	;; [unrolled: 3-line block ×3, first 2 shown]
	v_min3_f32 v199, v8, v9, v199
	v_min3_f32 v124, v0, v1, v124
	v_cvt_f32_f64_e32 v0, v[33:34]
	v_cvt_f32_f64_e32 v1, v[35:36]
	v_min3_f32 v193, v4, v5, v193
	v_cvt_f32_f64_e32 v4, v[22:23]
	v_cvt_f32_f64_e32 v5, v[57:58]
	s_delay_alu instid0(VALU_DEP_4) | instskip(SKIP_2) | instid1(VALU_DEP_4)
	v_min3_f32 v126, v0, v1, v126
	v_cvt_f32_f64_e32 v0, v[37:38]
	v_cvt_f32_f64_e32 v1, v[39:40]
	v_min3_f32 v229, v4, v5, v229
	v_cvt_f32_f64_e32 v4, v[162:163]
	v_cvt_f32_f64_e32 v5, v[164:165]
	s_delay_alu instid0(VALU_DEP_4) | instskip(SKIP_2) | instid1(VALU_DEP_4)
	;; [unrolled: 7-line block ×4, first 2 shown]
	v_min3_f32 v76, v0, v1, v76
	v_cvt_f32_f64_e32 v0, v[49:50]
	v_cvt_f32_f64_e32 v1, v[51:52]
	v_min3_f32 v117, v4, v5, v117
	v_cvt_f32_f64_e32 v4, v[150:151]
	v_cvt_f32_f64_e32 v5, v[152:153]
	s_waitcnt vmcnt(0)
	v_cvt_f32_f64_e32 v28, v[53:54]
	scratch_load_b64 v[53:54], off, off offset:36 ; 8-byte Folded Reload
	v_min3_f32 v120, v0, v1, v120
	v_cvt_f32_f64_e32 v0, v[29:30]
	v_cvt_f32_f64_e32 v1, v[31:32]
	v_min3_f32 v190, v4, v5, v190
	v_cvt_f32_f64_e32 v4, v[146:147]
	v_cvt_f32_f64_e32 v5, v[148:149]
	s_delay_alu instid0(VALU_DEP_4) | instskip(NEXT) | instid1(VALU_DEP_2)
	v_min3_f32 v113, v0, v1, v113
	v_min3_f32 v222, v4, v5, v222
	v_cvt_f32_f64_e32 v4, v[71:72]
	v_cvt_f32_f64_e32 v5, v[73:74]
	s_delay_alu instid0(VALU_DEP_1) | instskip(SKIP_2) | instid1(VALU_DEP_1)
	v_min3_f32 v7, v4, v5, v7
	v_cvt_f32_f64_e32 v4, v[67:68]
	v_cvt_f32_f64_e32 v5, v[69:70]
	v_min3_f32 v247, v4, v5, v247
	v_cvt_f32_f64_e32 v4, v[108:109]
	v_cvt_f32_f64_e32 v5, v[63:64]
	s_delay_alu instid0(VALU_DEP_1) | instskip(SKIP_2) | instid1(VALU_DEP_1)
	v_min3_f32 v228, v4, v5, v228
	v_cvt_f32_f64_e32 v4, v[100:101]
	v_cvt_f32_f64_e32 v5, v[96:97]
	;; [unrolled: 7-line block ×3, first 2 shown]
	v_min3_f32 v136, v4, v5, v136
	v_cvt_f32_f64_e32 v4, v[84:85]
	v_cvt_f32_f64_e32 v5, v[82:83]
	s_waitcnt vmcnt(0)
	v_cvt_f32_f64_e32 v53, v[53:54]
	s_delay_alu instid0(VALU_DEP_2) | instskip(SKIP_2) | instid1(VALU_DEP_4)
	v_min3_f32 v135, v4, v5, v135
	v_cvt_f32_f64_e32 v4, v[88:89]
	v_cvt_f32_f64_e32 v5, v[86:87]
	v_min3_f32 v141, v28, v53, v141
	scratch_load_b64 v[53:54], off, off offset:68 ; 8-byte Folded Reload
	v_min3_f32 v218, v4, v5, v218
	v_cvt_f32_f64_e32 v4, v[92:93]
	v_cvt_f32_f64_e32 v5, v[90:91]
	s_delay_alu instid0(VALU_DEP_1) | instskip(SKIP_2) | instid1(VALU_DEP_1)
	v_min3_f32 v196, v4, v5, v196
	v_cvt_f32_f64_e32 v4, v[215:216]
	v_cvt_f32_f64_e32 v5, v[94:95]
	v_min3_f32 v80, v4, v5, v80
	v_cvt_f32_f64_e32 v4, v[18:19]
	v_cvt_f32_f64_e32 v5, v[20:21]
	s_delay_alu instid0(VALU_DEP_1)
	v_min3_f32 v128, v4, v5, v128
	s_waitcnt vmcnt(0)
	v_cvt_f32_f64_e32 v28, v[53:54]
	scratch_load_b64 v[53:54], off, off offset:4 ; 8-byte Folded Reload
	s_waitcnt vmcnt(0)
	v_cvt_f32_f64_e32 v53, v[53:54]
	s_delay_alu instid0(VALU_DEP_1)
	v_min3_f32 v140, v28, v53, v140
	scratch_load_b64 v[53:54], off, off offset:108 ; 8-byte Folded Reload
	s_waitcnt vmcnt(0)
	v_cvt_f32_f64_e32 v28, v[53:54]
	scratch_load_b64 v[53:54], off, off offset:44 ; 8-byte Folded Reload
	s_waitcnt vmcnt(0)
	v_cvt_f32_f64_e32 v53, v[53:54]
	s_delay_alu instid0(VALU_DEP_1)
	v_min3_f32 v139, v28, v53, v139
	scratch_load_b64 v[53:54], off, off offset:76 ; 8-byte Folded Reload
	;; [unrolled: 8-line block ×14, first 2 shown]
	s_waitcnt vmcnt(0)
	v_cvt_f32_f64_e32 v28, v[53:54]
	scratch_load_b64 v[53:54], off, off offset:244 ; 8-byte Folded Reload
	s_waitcnt vmcnt(0)
	v_cvt_f32_f64_e32 v53, v[53:54]
	s_delay_alu instid0(VALU_DEP_1) | instskip(SKIP_2) | instid1(VALU_DEP_1)
	v_min3_f32 v233, v28, v53, v233
	v_cvt_f32_f64_e32 v28, v[106:107]
	v_cvt_f32_f64_e32 v53, v[170:171]
	v_min3_f32 v236, v28, v53, v236
	v_cvt_f32_f64_e32 v28, v[166:167]
	v_cvt_f32_f64_e32 v53, v[172:173]
	s_delay_alu instid0(VALU_DEP_1) | instskip(SKIP_2) | instid1(VALU_DEP_1)
	v_min3_f32 v223, v28, v53, v223
	v_cvt_f32_f64_e32 v28, v[168:169]
	v_cvt_f32_f64_e32 v53, v[178:179]
	v_min3_f32 v226, v28, v53, v226
	v_cvt_f32_f64_e32 v28, v[174:175]
	v_cvt_f32_f64_e32 v53, v[182:183]
	s_delay_alu instid0(VALU_DEP_1) | instskip(SKIP_4) | instid1(VALU_DEP_1)
	v_min3_f32 v237, v28, v53, v237
	scratch_load_b64 v[53:54], off, off offset:292 ; 8-byte Folded Reload
	v_cvt_f32_f64_e32 v28, v[180:181]
	s_waitcnt vmcnt(0)
	v_cvt_f32_f64_e32 v53, v[53:54]
	v_min3_f32 v240, v28, v53, v240
	scratch_load_b64 v[53:54], off, off offset:276 ; 8-byte Folded Reload
	v_cvt_f32_f64_e32 v28, v[184:185]
	s_waitcnt vmcnt(0)
	v_cvt_f32_f64_e32 v53, v[53:54]
	s_delay_alu instid0(VALU_DEP_1)
	v_min3_f32 v227, v28, v53, v227
	scratch_load_b64 v[53:54], off, off offset:300 ; 8-byte Folded Reload
	s_waitcnt vmcnt(0)
	v_cvt_f32_f64_e32 v28, v[53:54]
	scratch_load_b64 v[53:54], off, off offset:268 ; 8-byte Folded Reload
	s_waitcnt vmcnt(0)
	v_cvt_f32_f64_e32 v53, v[53:54]
	s_delay_alu instid0(VALU_DEP_1)
	v_min3_f32 v230, v28, v53, v230
	scratch_load_b64 v[53:54], off, off offset:284 ; 8-byte Folded Reload
	s_waitcnt vmcnt(0)
	v_cvt_f32_f64_e32 v28, v[53:54]
	scratch_load_b64 v[53:54], off, off offset:260 ; 8-byte Folded Reload
	s_waitcnt vmcnt(0)
	v_cvt_f32_f64_e32 v53, v[53:54]
	s_delay_alu instid0(VALU_DEP_1) | instskip(SKIP_2) | instid1(VALU_DEP_1)
	v_min3_f32 v241, v28, v53, v241
	v_cvt_f32_f64_e32 v28, v[224:225]
	v_cvt_f32_f64_e32 v53, v[176:177]
	v_min3_f32 v78, v28, v53, v78
	v_cvt_f32_f64_e32 v28, v[104:105]
	v_cvt_f32_f64_e32 v53, v[211:212]
	s_delay_alu instid0(VALU_DEP_1) | instskip(SKIP_2) | instid1(VALU_DEP_1)
	v_min3_f32 v231, v28, v53, v231
	v_cvt_f32_f64_e32 v28, v[238:239]
	v_cvt_f32_f64_e32 v53, v[207:208]
	v_min3_f32 v119, v28, v53, v119
	v_cvt_f32_f64_e32 v28, v[213:214]
	v_cvt_f32_f64_e32 v53, v[133:134]
	s_delay_alu instid0(VALU_DEP_1) | instskip(SKIP_2) | instid1(VALU_DEP_1)
	v_min3_f32 v79, v28, v53, v79
	v_cvt_f32_f64_e32 v28, v[209:210]
	v_cvt_f32_f64_e32 v53, v[114:115]
	v_min3_f32 v242, v28, v53, v242
	v_cvt_f32_f64_e32 v28, v[137:138]
	v_cvt_f32_f64_e32 v53, v[110:111]
	s_delay_alu instid0(VALU_DEP_1) | instskip(SKIP_2) | instid1(VALU_DEP_1)
	v_min3_f32 v55, v28, v53, v55
	v_cvt_f32_f64_e32 v28, v[248:249]
	v_cvt_f32_f64_e32 v53, v[98:99]
	v_min3_f32 v245, v28, v53, v245
	v_cvt_f32_f64_e32 v28, v[252:253]
	v_cvt_f32_f64_e32 v53, v[250:251]
	s_delay_alu instid0(VALU_DEP_1)
	v_min3_f32 v202, v28, v53, v202
	s_cbranch_vccz .LBB170_30
; %bb.31:
	scratch_load_b64 v[1:2], off, off offset:308 ; 8-byte Folded Reload
	v_dual_mov_b32 v239, v195 :: v_dual_lshlrev_b32 v0, 5, v112
	s_load_b32 s5, s[0:1], 0x8
	v_dual_mov_b32 v75, v202 :: v_dual_mov_b32 v74, v201
	v_dual_mov_b32 v73, v200 :: v_dual_mov_b32 v72, v199
	s_delay_alu instid0(VALU_DEP_3)
	v_lshl_add_u32 v0, v243, 3, v0
	v_dual_mov_b32 v71, v198 :: v_dual_mov_b32 v60, v191
	v_mov_b32_e32 v69, v193
	v_mov_b32_e32 v61, v192
	v_mov_b32_e32 v191, v117
	s_mov_b32 s4, 8
	s_waitcnt lgkmcnt(0)
	s_cmp_gt_i32 s5, 8
	s_waitcnt vmcnt(0)
	ds_store_b64 v0, v[1:2] offset:18432
	s_clause 0x1
	scratch_load_b64 v[1:2], off, off offset:316
	scratch_load_b64 v[3:4], off, off offset:324
	s_waitcnt vmcnt(0)
	ds_store_2addr_stride64_b64 v0, v[1:2], v[3:4] offset0:16 offset1:20
	s_clause 0x1
	scratch_load_b64 v[1:2], off, off offset:332
	scratch_load_b64 v[3:4], off, off offset:340
	s_waitcnt vmcnt(0)
	ds_store_2addr_stride64_b64 v0, v[1:2], v[3:4] offset0:24 offset1:28
	s_waitcnt lgkmcnt(0)
	s_waitcnt_vscnt null, 0x0
	s_barrier
	buffer_gl0_inv
	s_cbranch_scc0 .LBB170_57
; %bb.32:
	scratch_load_b64 v[1:2], off, off offset:348 ; 8-byte Folded Reload
	v_dual_mov_b32 v68, v194 :: v_dual_add_nc_u32 v3, 0x4800, v0
	v_or_b32_e32 v0, 0x2000, v0
	v_mov_b32_e32 v105, v61
	s_add_i32 s5, s5, -8
	scratch_store_b32 off, v3, off offset:368 ; 4-byte Folded Spill
	scratch_load_b64 v[3:4], off, off offset:376 ; 8-byte Folded Reload
	scratch_store_b32 off, v0, off offset:372 ; 4-byte Folded Spill
	s_mov_b32 s23, 0
	scratch_store_b32 off, v243, off offset:376 ; 4-byte Folded Spill
	s_waitcnt vmcnt(1)
	v_lshlrev_b64 v[1:2], 3, v[1:2]
	s_delay_alu instid0(VALU_DEP_1)
	v_add_co_u32 v0, vcc_lo, s24, v1
	s_waitcnt vmcnt(0)
	v_lshlrev_b64 v[3:4], 3, v[3:4]
	scratch_store_b32 off, v0, off offset:340 ; 4-byte Folded Spill
	v_add_co_ci_u32_e32 v0, vcc_lo, s25, v2, vcc_lo
	s_clause 0x1
	scratch_store_b64 off, v[3:4], off offset:292
	scratch_store_b32 off, v0, off offset:348
	v_mov_b32_e32 v4, v7
	v_add_nc_u32_e32 v0, s4, v243
	s_and_b32 vcc_lo, exec_lo, s3
	s_cbranch_vccz .LBB170_35
	s_branch .LBB170_34
.LBB170_33:
	scratch_load_b32 v243, off, off offset:376 ; 4-byte Folded Reload
	v_mov_b32_e32 v68, v194
	v_mov_b32_e32 v242, v102
	;; [unrolled: 1-line block ×3, first 2 shown]
	s_waitcnt vmcnt(0)
	v_add_nc_u32_e32 v0, s4, v243
	s_and_b32 vcc_lo, exec_lo, s3
	s_cbranch_vccz .LBB170_35
.LBB170_34:
	v_mov_b32_e32 v1, 0
	v_mov_b32_e32 v2, 0
	s_branch .LBB170_36
.LBB170_35:
	s_delay_alu instid0(VALU_DEP_1) | instskip(NEXT) | instid1(VALU_DEP_1)
	v_mad_u64_u32 v[1:2], null, v0, s16, 0
	v_mad_u64_u32 v[6:7], null, v0, s17, v[2:3]
	scratch_load_b32 v3, off, off offset:340 ; 4-byte Folded Reload
	v_mov_b32_e32 v2, v6
	s_delay_alu instid0(VALU_DEP_1) | instskip(SKIP_1) | instid1(VALU_DEP_1)
	v_lshlrev_b64 v[1:2], 3, v[1:2]
	s_waitcnt vmcnt(0)
	v_add_co_u32 v1, vcc_lo, v3, v1
	scratch_load_b32 v3, off, off offset:348 ; 4-byte Folded Reload
	s_waitcnt vmcnt(0)
	v_add_co_ci_u32_e32 v2, vcc_lo, v3, v2, vcc_lo
	flat_load_b64 v[1:2], v[1:2]
	s_waitcnt vmcnt(0) lgkmcnt(0)
	v_mul_f64 v[1:2], v[1:2], s[20:21]
.LBB170_36:
	scratch_store_b64 off, v[1:2], off offset:284 ; 8-byte Folded Spill
	v_mad_u64_u32 v[1:2], null, v0, s9, 0
	s_delay_alu instid0(VALU_DEP_1) | instskip(NEXT) | instid1(VALU_DEP_1)
	v_mad_u64_u32 v[8:9], null, v0, s22, v[2:3]
	v_mov_b32_e32 v2, v8
	s_delay_alu instid0(VALU_DEP_1) | instskip(NEXT) | instid1(VALU_DEP_1)
	v_lshlrev_b64 v[0:1], 3, v[1:2]
	v_add_co_u32 v0, vcc_lo, s12, v0
	s_delay_alu instid0(VALU_DEP_2)
	v_add_co_ci_u32_e32 v1, vcc_lo, s13, v1, vcc_lo
	s_and_b32 vcc_lo, exec_lo, s3
	s_cbranch_vccnz .LBB170_38
; %bb.37:
	scratch_load_b64 v[2:3], off, off offset:292 ; 8-byte Folded Reload
	s_waitcnt vmcnt(0)
	v_add_co_u32 v2, vcc_lo, v0, v2
	v_add_co_ci_u32_e32 v3, vcc_lo, v1, v3, vcc_lo
	s_clause 0x1
	flat_load_b64 v[8:9], v[2:3]
	flat_load_b64 v[2:3], v[2:3] offset:512
	s_waitcnt vmcnt(1) lgkmcnt(1)
	v_mul_f64 v[5:6], v[8:9], s[20:21]
	s_waitcnt vmcnt(0) lgkmcnt(0)
	v_mul_f64 v[2:3], v[2:3], s[20:21]
	scratch_store_b64 off, v[5:6], off offset:300 ; 8-byte Folded Spill
	s_branch .LBB170_39
.LBB170_38:
	v_mov_b32_e32 v2, 0
	v_mov_b32_e32 v3, 0
	scratch_store_b64 off, v[2:3], off offset:300 ; 8-byte Folded Spill
	v_mov_b32_e32 v2, 0
	v_mov_b32_e32 v3, 0
.LBB170_39:
	v_dual_mov_b32 v7, v4 :: v_dual_mov_b32 v238, v105
	s_and_b32 vcc_lo, exec_lo, s3
	scratch_store_b64 off, v[2:3], off offset:308 ; 8-byte Folded Spill
	s_cbranch_vccnz .LBB170_41
; %bb.40:
	scratch_load_b64 v[2:3], off, off offset:292 ; 8-byte Folded Reload
	s_waitcnt vmcnt(0)
	v_add_co_u32 v0, vcc_lo, v0, v2
	v_add_co_ci_u32_e32 v1, vcc_lo, v1, v3, vcc_lo
	s_clause 0x1
	flat_load_b64 v[2:3], v[0:1] offset:1024
	flat_load_b64 v[0:1], v[0:1] offset:1536
	s_waitcnt vmcnt(1) lgkmcnt(1)
	v_mul_f64 v[2:3], v[2:3], s[20:21]
	s_waitcnt vmcnt(0) lgkmcnt(0)
	v_mul_f64 v[0:1], v[0:1], s[20:21]
	scratch_store_b64 off, v[2:3], off offset:316 ; 8-byte Folded Spill
	s_branch .LBB170_42
.LBB170_41:
	v_mov_b32_e32 v0, 0
	v_mov_b32_e32 v1, 0
	scratch_store_b64 off, v[0:1], off offset:316 ; 8-byte Folded Spill
	v_mov_b32_e32 v0, 0
	v_mov_b32_e32 v1, 0
.LBB170_42:
	v_mov_b32_e32 v243, v60
	v_mov_b32_e32 v70, v72
	;; [unrolled: 1-line block ×3, first 2 shown]
	v_dual_mov_b32 v74, v245 :: v_dual_mov_b32 v245, v204
	s_mov_b32 s25, 0
	s_mov_b32 s24, -1
	scratch_store_b64 off, v[0:1], off offset:324 ; 8-byte Folded Spill
.LBB170_43:                             ; =>This Inner Loop Header: Depth=1
	scratch_load_b32 v0, off, off           ; 4-byte Folded Reload
	s_lshl_b32 s25, s25, 3
	s_and_not1_b32 vcc_lo, exec_lo, s24
	v_lshl_add_u32 v102, v232, 5, s25
	s_mov_b32 s24, 0
	s_waitcnt vmcnt(0)
	v_lshl_add_u32 v4, v0, 5, s25
	s_mov_b32 s25, 2
	ds_load_b128 v[44:47], v102 offset:8192
	ds_load_b128 v[0:3], v4 offset:18432
	;; [unrolled: 1-line block ×4, first 2 shown]
	s_waitcnt lgkmcnt(2)
	v_add_f64 v[66:67], v[2:3], v[46:47]
	s_waitcnt lgkmcnt(1)
	v_add_f64 v[5:6], v[152:153], v[46:47]
	v_add_f64 v[142:143], v[0:1], v[44:45]
	s_delay_alu instid0(VALU_DEP_3)
	v_cvt_f32_f64_e32 v66, v[66:67]
	scratch_store_b64 off, v[5:6], off offset:4 ; 8-byte Folded Spill
	v_add_f64 v[5:6], v[150:151], v[44:45]
	v_cvt_f32_f64_e32 v112, v[142:143]
	scratch_store_b64 off, v[5:6], off offset:60 ; 8-byte Folded Spill
	ds_load_b128 v[158:161], v4 offset:18944
	ds_load_b128 v[162:165], v4 offset:19200
	v_min3_f32 v141, v112, v66, v141
	s_waitcnt lgkmcnt(1)
	v_add_f64 v[5:6], v[160:161], v[46:47]
	s_waitcnt lgkmcnt(0)
	v_add_f64 v[50:51], v[162:163], v[154:155]
	scratch_store_b64 off, v[5:6], off offset:36 ; 8-byte Folded Spill
	v_add_f64 v[5:6], v[158:159], v[44:45]
	v_cvt_f32_f64_e32 v50, v[50:51]
	scratch_store_b64 off, v[5:6], off offset:92 ; 8-byte Folded Spill
	v_add_f64 v[5:6], v[164:165], v[46:47]
	scratch_store_b64 off, v[5:6], off offset:12 ; 8-byte Folded Spill
	v_add_f64 v[5:6], v[162:163], v[44:45]
	scratch_store_b64 off, v[5:6], off offset:68 ; 8-byte Folded Spill
	ds_load_b128 v[166:169], v4 offset:19456
	ds_load_b128 v[170:173], v4 offset:19712
	s_waitcnt lgkmcnt(1)
	v_add_f64 v[5:6], v[168:169], v[46:47]
	v_add_f64 v[48:49], v[166:167], v[154:155]
	s_waitcnt lgkmcnt(0)
	v_add_f64 v[28:29], v[170:171], v[154:155]
	scratch_store_b64 off, v[5:6], off offset:44 ; 8-byte Folded Spill
	v_add_f64 v[5:6], v[166:167], v[44:45]
	v_cvt_f32_f64_e32 v48, v[48:49]
	scratch_store_b64 off, v[5:6], off offset:100 ; 8-byte Folded Spill
	v_add_f64 v[5:6], v[172:173], v[46:47]
	scratch_store_b64 off, v[5:6], off offset:20 ; 8-byte Folded Spill
	v_add_f64 v[5:6], v[170:171], v[44:45]
	scratch_store_b64 off, v[5:6], off offset:76 ; 8-byte Folded Spill
	ds_load_b128 v[174:177], v4 offset:19968
	ds_load_b128 v[178:181], v4 offset:20224
	s_waitcnt lgkmcnt(1)
	v_add_f64 v[4:5], v[176:177], v[46:47]
	scratch_store_b64 off, v[4:5], off offset:52 ; 8-byte Folded Spill
	v_add_f64 v[4:5], v[174:175], v[44:45]
	scratch_store_b64 off, v[4:5], off offset:108 ; 8-byte Folded Spill
	s_waitcnt lgkmcnt(0)
	v_add_f64 v[4:5], v[180:181], v[46:47]
	scratch_store_b64 off, v[4:5], off offset:28 ; 8-byte Folded Spill
	v_add_f64 v[4:5], v[178:179], v[44:45]
	scratch_store_b64 off, v[4:5], off offset:84 ; 8-byte Folded Spill
	;; [unrolled: 2-line block ×7, first 2 shown]
	v_add_f64 v[5:6], v[164:165], v[156:157]
	v_mov_b32_e32 v4, v246
	v_dual_mov_b32 v246, v247 :: v_dual_mov_b32 v247, v228
	v_dual_mov_b32 v228, v229 :: v_dual_mov_b32 v229, v232
	;; [unrolled: 1-line block ×8, first 2 shown]
	v_mov_b32_e32 v78, v79
	v_mov_b32_e32 v79, v119
	v_dual_mov_b32 v119, v242 :: v_dual_mov_b32 v242, v55
	v_add_f64 v[54:55], v[158:159], v[154:155]
	scratch_store_b64 off, v[5:6], off offset:156 ; 8-byte Folded Spill
	v_add_f64 v[5:6], v[168:169], v[156:157]
	v_cvt_f32_f64_e32 v54, v[54:55]
	scratch_store_b64 off, v[5:6], off offset:164 ; 8-byte Folded Spill
	v_add_f64 v[5:6], v[172:173], v[156:157]
	scratch_store_b64 off, v[5:6], off offset:172 ; 8-byte Folded Spill
	v_add_f64 v[5:6], v[176:177], v[156:157]
	scratch_store_b64 off, v[5:6], off offset:180 ; 8-byte Folded Spill
	v_add_f64 v[5:6], v[174:175], v[154:155]
	scratch_store_b64 off, v[5:6], off offset:188 ; 8-byte Folded Spill
	v_add_f64 v[5:6], v[180:181], v[156:157]
	scratch_store_b64 off, v[5:6], off offset:196 ; 8-byte Folded Spill
	v_add_f64 v[5:6], v[178:179], v[154:155]
	scratch_store_b64 off, v[5:6], off offset:204 ; 8-byte Folded Spill
	ds_load_b128 v[154:157], v102 offset:10240
	ds_load_b128 v[182:185], v102 offset:11264
	s_waitcnt lgkmcnt(1)
	v_add_f64 v[5:6], v[164:165], v[156:157]
	v_add_f64 v[144:145], v[2:3], v[156:157]
	;; [unrolled: 1-line block ×8, first 2 shown]
	s_waitcnt lgkmcnt(0)
	v_add_f64 v[192:193], v[2:3], v[184:185]
	v_add_f64 v[220:221], v[0:1], v[182:183]
	;; [unrolled: 1-line block ×16, first 2 shown]
	scratch_store_b64 off, v[5:6], off offset:260 ; 8-byte Folded Spill
	v_add_f64 v[5:6], v[168:169], v[156:157]
	v_cvt_f32_f64_e32 v18, v[18:19]
	v_cvt_f32_f64_e32 v19, v[64:65]
	scratch_store_b64 off, v[5:6], off offset:244 ; 8-byte Folded Spill
	v_add_f64 v[5:6], v[166:167], v[154:155]
	scratch_store_b64 off, v[5:6], off offset:276 ; 8-byte Folded Spill
	v_add_f64 v[5:6], v[172:173], v[156:157]
	;; [unrolled: 2-line block ×7, first 2 shown]
	scratch_store_b64 off, v[5:6], off offset:236 ; 8-byte Folded Spill
	ds_load_b128 v[154:157], v102 offset:12288
	ds_load_b128 v[182:185], v102 offset:13312
	s_waitcnt lgkmcnt(1)
	v_add_f64 v[250:251], v[2:3], v[156:157]
	v_add_f64 v[252:253], v[0:1], v[154:155]
	v_add_f64 v[254:255], v[152:153], v[156:157]
	v_add_f64 v[146:147], v[150:151], v[154:155]
	v_add_f64 v[148:149], v[160:161], v[156:157]
	v_add_f64 v[5:6], v[158:159], v[154:155]
	v_add_f64 v[14:15], v[164:165], v[156:157]
	v_add_f64 v[8:9], v[162:163], v[154:155]
	v_add_f64 v[20:21], v[168:169], v[156:157]
	v_add_f64 v[12:13], v[166:167], v[154:155]
	v_add_f64 v[26:27], v[172:173], v[156:157]
	v_add_f64 v[10:11], v[170:171], v[154:155]
	v_add_f64 v[116:117], v[176:177], v[156:157]
	v_add_f64 v[16:17], v[174:175], v[154:155]
	v_add_f64 v[30:31], v[180:181], v[156:157]
	v_add_f64 v[130:131], v[178:179], v[154:155]
	s_waitcnt lgkmcnt(0)
	v_add_f64 v[22:23], v[2:3], v[184:185]
	v_add_f64 v[24:25], v[0:1], v[182:183]
	;; [unrolled: 1-line block ×16, first 2 shown]
	ds_load_b128 v[154:157], v102 offset:14336
	ds_load_b128 v[182:185], v102 offset:15360
	s_clause 0x1
	scratch_load_b64 v[66:67], off, off offset:60
	scratch_load_b64 v[142:143], off, off offset:4
	s_waitcnt lgkmcnt(1)
	v_add_f64 v[102:103], v[2:3], v[156:157]
	v_add_f64 v[214:215], v[0:1], v[154:155]
	s_waitcnt lgkmcnt(0)
	v_add_f64 v[2:3], v[2:3], v[184:185]
	v_add_f64 v[0:1], v[0:1], v[182:183]
	;; [unrolled: 1-line block ×30, first 2 shown]
	v_cvt_f32_f64_e32 v0, v[0:1]
	v_cvt_f32_f64_e32 v1, v[2:3]
	s_delay_alu instid0(VALU_DEP_1) | instskip(SKIP_2) | instid1(VALU_DEP_1)
	v_min3_f32 v129, v0, v1, v129
	v_cvt_f32_f64_e32 v0, v[150:151]
	v_cvt_f32_f64_e32 v1, v[152:153]
	v_min3_f32 v124, v0, v1, v124
	v_cvt_f32_f64_e32 v0, v[158:159]
	v_cvt_f32_f64_e32 v1, v[160:161]
	s_delay_alu instid0(VALU_DEP_1) | instskip(SKIP_2) | instid1(VALU_DEP_1)
	v_min3_f32 v126, v0, v1, v126
	v_cvt_f32_f64_e32 v0, v[162:163]
	v_cvt_f32_f64_e32 v1, v[164:165]
	v_min3_f32 v122, v0, v1, v122
	;; [unrolled: 7-line block ×3, first 2 shown]
	v_cvt_f32_f64_e32 v0, v[174:175]
	v_cvt_f32_f64_e32 v1, v[176:177]
	s_waitcnt vmcnt(1)
	v_cvt_f32_f64_e32 v66, v[66:67]
	s_waitcnt vmcnt(0)
	v_cvt_f32_f64_e32 v67, v[142:143]
	scratch_load_b64 v[142:143], off, off offset:36 ; 8-byte Folded Reload
	v_min3_f32 v120, v0, v1, v120
	v_cvt_f32_f64_e32 v0, v[178:179]
	v_cvt_f32_f64_e32 v1, v[180:181]
	v_min3_f32 v140, v66, v67, v140
	scratch_load_b64 v[66:67], off, off offset:92 ; 8-byte Folded Reload
	v_min3_f32 v113, v0, v1, v113
	s_waitcnt vmcnt(0)
	v_cvt_f32_f64_e32 v66, v[66:67]
	v_cvt_f32_f64_e32 v67, v[142:143]
	scratch_load_b64 v[142:143], off, off offset:12 ; 8-byte Folded Reload
	v_min3_f32 v139, v66, v67, v139
	scratch_load_b64 v[66:67], off, off offset:68 ; 8-byte Folded Reload
	s_waitcnt vmcnt(0)
	v_cvt_f32_f64_e32 v66, v[66:67]
	v_cvt_f32_f64_e32 v67, v[142:143]
	scratch_load_b64 v[142:143], off, off offset:44 ; 8-byte Folded Reload
	v_min3_f32 v244, v66, v67, v244
	scratch_load_b64 v[66:67], off, off offset:100 ; 8-byte Folded Reload
	;; [unrolled: 6-line block ×7, first 2 shown]
	s_waitcnt vmcnt(0)
	v_cvt_f32_f64_e32 v66, v[66:67]
	v_cvt_f32_f64_e32 v67, v[142:143]
	s_delay_alu instid0(VALU_DEP_1)
	v_min3_f32 v127, v66, v67, v127
	scratch_load_b64 v[66:67], off, off offset:148 ; 8-byte Folded Reload
	s_waitcnt vmcnt(0)
	v_cvt_f32_f64_e32 v55, v[66:67]
	scratch_load_b64 v[66:67], off, off offset:156 ; 8-byte Folded Reload
	v_min3_f32 v123, v54, v55, v123
	v_dual_mov_b32 v55, v242 :: v_dual_mov_b32 v242, v119
	v_mov_b32_e32 v119, v79
	v_dual_mov_b32 v79, v78 :: v_dual_mov_b32 v78, v231
	v_dual_mov_b32 v231, v230 :: v_dual_mov_b32 v230, v241
	v_dual_mov_b32 v241, v240 :: v_dual_mov_b32 v240, v227
	v_dual_mov_b32 v227, v226 :: v_dual_mov_b32 v226, v237
	v_dual_mov_b32 v237, v236 :: v_dual_mov_b32 v236, v223
	v_dual_mov_b32 v223, v222 :: v_dual_mov_b32 v222, v233
	v_dual_mov_b32 v233, v232 :: v_dual_mov_b32 v232, v229
	v_dual_mov_b32 v229, v228 :: v_dual_mov_b32 v228, v247
	v_dual_mov_b32 v247, v246 :: v_dual_mov_b32 v246, v4
	v_cvt_f32_f64_e32 v4, v[5:6]
	v_cvt_f32_f64_e32 v5, v[148:149]
	s_delay_alu instid0(VALU_DEP_1) | instskip(SKIP_2) | instid1(VALU_DEP_1)
	v_min3_f32 v70, v4, v5, v70
	v_cvt_f32_f64_e32 v4, v[8:9]
	v_cvt_f32_f64_e32 v5, v[14:15]
	v_min3_f32 v71, v4, v5, v71
	v_cvt_f32_f64_e32 v4, v[12:13]
	v_cvt_f32_f64_e32 v5, v[20:21]
	s_delay_alu instid0(VALU_DEP_1) | instskip(SKIP_2) | instid1(VALU_DEP_1)
	v_min3_f32 v239, v4, v5, v239
	v_cvt_f32_f64_e32 v4, v[10:11]
	v_cvt_f32_f64_e32 v5, v[26:27]
	v_min3_f32 v68, v4, v5, v68
	;; [unrolled: 7-line block ×3, first 2 shown]
	v_cvt_f32_f64_e32 v4, v[24:25]
	v_cvt_f32_f64_e32 v5, v[22:23]
	s_waitcnt vmcnt(0)
	v_cvt_f32_f64_e32 v51, v[66:67]
	s_delay_alu instid0(VALU_DEP_2) | instskip(SKIP_2) | instid1(VALU_DEP_4)
	v_min3_f32 v238, v4, v5, v238
	v_cvt_f32_f64_e32 v4, v[84:85]
	v_cvt_f32_f64_e32 v5, v[82:83]
	v_min3_f32 v125, v50, v51, v125
	scratch_load_b64 v[49:50], off, off offset:164 ; 8-byte Folded Reload
	v_min3_f32 v243, v4, v5, v243
	v_cvt_f32_f64_e32 v4, v[86:87]
	v_cvt_f32_f64_e32 v5, v[56:57]
	s_delay_alu instid0(VALU_DEP_1) | instskip(SKIP_2) | instid1(VALU_DEP_1)
	v_min3_f32 v191, v4, v5, v191
	v_cvt_f32_f64_e32 v4, v[60:61]
	v_cvt_f32_f64_e32 v5, v[58:59]
	v_min3_f32 v190, v4, v5, v190
	v_cvt_f32_f64_e32 v4, v[88:89]
	v_cvt_f32_f64_e32 v5, v[62:63]
	s_delay_alu instid0(VALU_DEP_1) | instskip(SKIP_2) | instid1(VALU_DEP_1)
	v_min3_f32 v222, v4, v5, v222
	v_cvt_f32_f64_e32 v4, v[92:93]
	v_cvt_f32_f64_e32 v5, v[90:91]
	;; [unrolled: 7-line block ×3, first 2 shown]
	v_min3_f32 v228, v4, v5, v228
	v_cvt_f32_f64_e32 v4, v[214:215]
	v_cvt_f32_f64_e32 v5, v[102:103]
	s_delay_alu instid0(VALU_DEP_1) | instskip(SKIP_4) | instid1(VALU_DEP_2)
	v_min3_f32 v245, v4, v5, v245
	v_cvt_f32_f64_e32 v4, v[206:207]
	v_cvt_f32_f64_e32 v5, v[210:211]
	s_waitcnt vmcnt(0)
	v_cvt_f32_f64_e32 v49, v[49:50]
	v_min3_f32 v234, v4, v5, v234
	v_cvt_f32_f64_e32 v4, v[202:203]
	v_cvt_f32_f64_e32 v5, v[216:217]
	s_delay_alu instid0(VALU_DEP_4)
	v_min3_f32 v77, v48, v49, v77
	v_cvt_f32_f64_e32 v48, v[28:29]
	scratch_load_b64 v[28:29], off, off offset:172 ; 8-byte Folded Reload
	v_min3_f32 v136, v4, v5, v136
	v_cvt_f32_f64_e32 v4, v[198:199]
	v_cvt_f32_f64_e32 v5, v[212:213]
	s_delay_alu instid0(VALU_DEP_1) | instskip(SKIP_2) | instid1(VALU_DEP_1)
	v_min3_f32 v135, v4, v5, v135
	v_cvt_f32_f64_e32 v4, v[194:195]
	v_cvt_f32_f64_e32 v5, v[208:209]
	v_min3_f32 v218, v4, v5, v218
	v_cvt_f32_f64_e32 v4, v[104:105]
	v_cvt_f32_f64_e32 v5, v[204:205]
	s_delay_alu instid0(VALU_DEP_1) | instskip(SKIP_2) | instid1(VALU_DEP_1)
	v_min3_f32 v196, v4, v5, v196
	v_cvt_f32_f64_e32 v4, v[200:201]
	v_cvt_f32_f64_e32 v5, v[188:189]
	v_min3_f32 v80, v4, v5, v80
	v_cvt_f32_f64_e32 v4, v[154:155]
	v_cvt_f32_f64_e32 v5, v[156:157]
	s_delay_alu instid0(VALU_DEP_1) | instskip(SKIP_2) | instid1(VALU_DEP_1)
	v_min3_f32 v128, v4, v5, v128
	s_waitcnt vmcnt(0)
	v_cvt_f32_f64_e32 v28, v[28:29]
	v_min3_f32 v121, v48, v28, v121
	s_clause 0x1
	scratch_load_b64 v[28:29], off, off offset:188
	scratch_load_b64 v[48:49], off, off offset:180
	s_waitcnt vmcnt(1)
	v_cvt_f32_f64_e32 v28, v[28:29]
	s_waitcnt vmcnt(0)
	v_cvt_f32_f64_e32 v29, v[48:49]
	scratch_load_b64 v[48:49], off, off offset:196 ; 8-byte Folded Reload
	v_min3_f32 v246, v28, v29, v246
	scratch_load_b64 v[28:29], off, off offset:204 ; 8-byte Folded Reload
	s_waitcnt vmcnt(0)
	v_cvt_f32_f64_e32 v28, v[28:29]
	v_cvt_f32_f64_e32 v29, v[48:49]
	s_delay_alu instid0(VALU_DEP_1) | instskip(SKIP_2) | instid1(VALU_DEP_1)
	v_min3_f32 v233, v28, v29, v233
	v_cvt_f32_f64_e32 v28, v[106:107]
	v_cvt_f32_f64_e32 v29, v[144:145]
	v_min3_f32 v236, v28, v29, v236
	v_cvt_f32_f64_e32 v28, v[186:187]
	s_delay_alu instid0(VALU_DEP_1) | instskip(SKIP_2) | instid1(VALU_DEP_1)
	v_min3_f32 v223, v28, v18, v223
	scratch_load_b64 v[28:29], off, off offset:260 ; 8-byte Folded Reload
	v_cvt_f32_f64_e32 v18, v[108:109]
	v_min3_f32 v226, v18, v19, v226
	v_cvt_f32_f64_e32 v18, v[52:53]
	s_waitcnt vmcnt(0)
	v_cvt_f32_f64_e32 v19, v[28:29]
	scratch_load_b64 v[28:29], off, off offset:244 ; 8-byte Folded Reload
	v_min3_f32 v237, v18, v19, v237
	scratch_load_b64 v[18:19], off, off offset:276 ; 8-byte Folded Reload
	s_waitcnt vmcnt(0)
	v_cvt_f32_f64_e32 v18, v[18:19]
	v_cvt_f32_f64_e32 v19, v[28:29]
	scratch_load_b64 v[28:29], off, off offset:228 ; 8-byte Folded Reload
	v_min3_f32 v240, v18, v19, v240
	scratch_load_b64 v[18:19], off, off offset:268 ; 8-byte Folded Reload
	s_waitcnt vmcnt(0)
	v_cvt_f32_f64_e32 v18, v[18:19]
	;; [unrolled: 6-line block ×4, first 2 shown]
	v_cvt_f32_f64_e32 v19, v[28:29]
	s_delay_alu instid0(VALU_DEP_1) | instskip(SKIP_2) | instid1(VALU_DEP_1)
	v_min3_f32 v241, v18, v19, v241
	v_cvt_f32_f64_e32 v18, v[220:221]
	v_cvt_f32_f64_e32 v19, v[192:193]
	v_min3_f32 v78, v18, v19, v78
	v_cvt_f32_f64_e32 v18, v[224:225]
	v_cvt_f32_f64_e32 v19, v[46:47]
	s_delay_alu instid0(VALU_DEP_1) | instskip(SKIP_2) | instid1(VALU_DEP_1)
	v_min3_f32 v231, v18, v19, v231
	v_cvt_f32_f64_e32 v18, v[42:43]
	v_cvt_f32_f64_e32 v19, v[44:45]
	v_min3_f32 v119, v18, v19, v119
	v_cvt_f32_f64_e32 v18, v[38:39]
	;; [unrolled: 7-line block ×5, first 2 shown]
	v_cvt_f32_f64_e32 v19, v[254:255]
	s_delay_alu instid0(VALU_DEP_1)
	v_min3_f32 v73, v18, v19, v73
	s_cbranch_vccz .LBB170_43
; %bb.44:
	s_clause 0x1
	scratch_load_b32 v0, off, off offset:364
	scratch_load_b64 v[1:2], off, off offset:284
	v_mov_b32_e32 v58, v7
	v_dual_mov_b32 v54, v245 :: v_dual_mov_b32 v245, v74
	v_mov_b32_e32 v74, v72
	v_mov_b32_e32 v72, v70
	;; [unrolled: 1-line block ×4, first 2 shown]
	s_and_b32 vcc_lo, exec_lo, s3
	s_waitcnt vmcnt(0)
	ds_store_b64 v0, v[1:2]
	s_clause 0x2
	scratch_load_b32 v0, off, off offset:360
	scratch_load_b64 v[1:2], off, off offset:300
	scratch_load_b64 v[5:6], off, off offset:308
	s_waitcnt vmcnt(0)
	ds_store_2addr_stride64_b64 v0, v[1:2], v[5:6] offset1:4
	s_clause 0x1
	scratch_load_b64 v[1:2], off, off offset:316
	scratch_load_b64 v[5:6], off, off offset:324
	s_waitcnt vmcnt(0)
	ds_store_2addr_stride64_b64 v0, v[1:2], v[5:6] offset0:8 offset1:12
	scratch_load_b32 v0, off, off offset:356 ; 4-byte Folded Reload
	s_waitcnt vmcnt(0) lgkmcnt(0)
	s_waitcnt_vscnt null, 0x0
	s_barrier
	buffer_gl0_inv
	v_add_nc_u32_e32 v0, s4, v0
	s_cbranch_vccnz .LBB170_46
; %bb.45:
	s_delay_alu instid0(VALU_DEP_1) | instskip(NEXT) | instid1(VALU_DEP_1)
	v_mad_u64_u32 v[1:2], null, v0, s16, 0
	v_mad_u64_u32 v[6:7], null, v0, s17, v[2:3]
	scratch_load_b32 v3, off, off offset:340 ; 4-byte Folded Reload
	v_mov_b32_e32 v2, v6
	s_delay_alu instid0(VALU_DEP_1) | instskip(SKIP_1) | instid1(VALU_DEP_1)
	v_lshlrev_b64 v[1:2], 3, v[1:2]
	s_waitcnt vmcnt(0)
	v_add_co_u32 v1, vcc_lo, v3, v1
	scratch_load_b32 v3, off, off offset:348 ; 4-byte Folded Reload
	s_waitcnt vmcnt(0)
	v_add_co_ci_u32_e32 v2, vcc_lo, v3, v2, vcc_lo
	flat_load_b64 v[1:2], v[1:2]
	s_waitcnt vmcnt(0) lgkmcnt(0)
	v_mul_f64 v[1:2], v[1:2], s[20:21]
	s_branch .LBB170_47
.LBB170_46:
	v_mov_b32_e32 v1, 0
	v_mov_b32_e32 v2, 0
.LBB170_47:
	scratch_store_b64 off, v[1:2], off offset:300 ; 8-byte Folded Spill
	v_mad_u64_u32 v[1:2], null, v0, s9, 0
	v_mov_b32_e32 v61, v68
	s_delay_alu instid0(VALU_DEP_2) | instskip(NEXT) | instid1(VALU_DEP_1)
	v_mad_u64_u32 v[8:9], null, v0, s22, v[2:3]
	v_dual_mov_b32 v105, v238 :: v_dual_mov_b32 v2, v8
	s_delay_alu instid0(VALU_DEP_1) | instskip(NEXT) | instid1(VALU_DEP_1)
	v_lshlrev_b64 v[0:1], 3, v[1:2]
	v_add_co_u32 v0, vcc_lo, s12, v0
	s_delay_alu instid0(VALU_DEP_2)
	v_add_co_ci_u32_e32 v1, vcc_lo, s13, v1, vcc_lo
	s_and_b32 vcc_lo, exec_lo, s3
	s_cbranch_vccnz .LBB170_49
; %bb.48:
	scratch_load_b64 v[2:3], off, off offset:292 ; 8-byte Folded Reload
	s_waitcnt vmcnt(0)
	v_add_co_u32 v2, vcc_lo, v0, v2
	v_add_co_ci_u32_e32 v3, vcc_lo, v1, v3, vcc_lo
	s_clause 0x1
	flat_load_b64 v[8:9], v[2:3]
	flat_load_b64 v[2:3], v[2:3] offset:512
	s_waitcnt vmcnt(1) lgkmcnt(1)
	v_mul_f64 v[5:6], v[8:9], s[20:21]
	s_waitcnt vmcnt(0) lgkmcnt(0)
	v_mul_f64 v[2:3], v[2:3], s[20:21]
	scratch_store_b64 off, v[5:6], off offset:308 ; 8-byte Folded Spill
	s_branch .LBB170_50
.LBB170_49:
	v_mov_b32_e32 v2, 0
	v_mov_b32_e32 v3, 0
	scratch_store_b64 off, v[2:3], off offset:308 ; 8-byte Folded Spill
	v_mov_b32_e32 v2, 0
	v_mov_b32_e32 v3, 0
.LBB170_50:
	v_dual_mov_b32 v102, v242 :: v_dual_mov_b32 v239, v247
	v_dual_mov_b32 v68, v229 :: v_dual_mov_b32 v59, v222
	v_mov_b32_e32 v56, v228
	s_and_b32 vcc_lo, exec_lo, s3
	scratch_store_b64 off, v[2:3], off offset:316 ; 8-byte Folded Spill
	s_cbranch_vccnz .LBB170_52
; %bb.51:
	scratch_load_b64 v[2:3], off, off offset:292 ; 8-byte Folded Reload
	s_waitcnt vmcnt(0)
	v_add_co_u32 v0, vcc_lo, v0, v2
	v_add_co_ci_u32_e32 v1, vcc_lo, v1, v3, vcc_lo
	s_clause 0x1
	flat_load_b64 v[2:3], v[0:1] offset:1024
	flat_load_b64 v[0:1], v[0:1] offset:1536
	s_waitcnt vmcnt(1) lgkmcnt(1)
	v_mul_f64 v[2:3], v[2:3], s[20:21]
	s_waitcnt vmcnt(0) lgkmcnt(0)
	v_mul_f64 v[0:1], v[0:1], s[20:21]
	scratch_store_b64 off, v[2:3], off offset:324 ; 8-byte Folded Spill
	s_branch .LBB170_53
.LBB170_52:
	v_mov_b32_e32 v0, 0
	v_mov_b32_e32 v1, 0
	scratch_store_b64 off, v[0:1], off offset:324 ; 8-byte Folded Spill
	v_mov_b32_e32 v0, 0
	v_mov_b32_e32 v1, 0
.LBB170_53:
	v_mov_b32_e32 v57, v239
	s_mov_b32 s25, 0
	s_mov_b32 s24, -1
	scratch_store_b64 off, v[0:1], off offset:332 ; 8-byte Folded Spill
.LBB170_54:                             ; =>This Inner Loop Header: Depth=1
	scratch_load_b32 v0, off, off           ; 4-byte Folded Reload
	s_lshl_b32 s25, s25, 3
	v_mov_b32_e32 v112, v76
	v_lshl_add_u32 v26, v232, 5, s25
	s_and_not1_b32 vcc_lo, exec_lo, s24
	s_mov_b32 s24, 0
	s_waitcnt vmcnt(0)
	v_lshl_add_u32 v4, v0, 5, s25
	s_mov_b32 s25, 2
	ds_load_b128 v[44:47], v26
	ds_load_b128 v[0:3], v4 offset:16384
	ds_load_b128 v[150:153], v4 offset:16640
	;; [unrolled: 1-line block ×3, first 2 shown]
	s_waitcnt lgkmcnt(2)
	v_add_f64 v[18:19], v[0:1], v[44:45]
	s_waitcnt lgkmcnt(1)
	v_add_f64 v[5:6], v[152:153], v[46:47]
	v_add_f64 v[62:63], v[2:3], v[46:47]
	s_delay_alu instid0(VALU_DEP_3)
	v_cvt_f32_f64_e32 v76, v[18:19]
	scratch_store_b64 off, v[5:6], off offset:4 ; 8-byte Folded Spill
	v_add_f64 v[5:6], v[150:151], v[44:45]
	v_cvt_f32_f64_e32 v62, v[62:63]
	scratch_store_b64 off, v[5:6], off offset:60 ; 8-byte Folded Spill
	ds_load_b128 v[158:161], v4 offset:16896
	ds_load_b128 v[162:165], v4 offset:17152
	v_min3_f32 v141, v76, v62, v141
	v_mov_b32_e32 v76, v112
	s_waitcnt lgkmcnt(1)
	v_add_f64 v[5:6], v[160:161], v[46:47]
	s_waitcnt lgkmcnt(0)
	v_add_f64 v[34:35], v[162:163], v[154:155]
	v_add_f64 v[38:39], v[158:159], v[44:45]
	scratch_store_b64 off, v[5:6], off offset:36 ; 8-byte Folded Spill
	v_add_f64 v[5:6], v[164:165], v[46:47]
	v_cvt_f32_f64_e32 v38, v[38:39]
	scratch_store_b64 off, v[5:6], off offset:12 ; 8-byte Folded Spill
	v_add_f64 v[5:6], v[162:163], v[44:45]
	scratch_store_b64 off, v[5:6], off offset:68 ; 8-byte Folded Spill
	ds_load_b128 v[166:169], v4 offset:17408
	ds_load_b128 v[170:173], v4 offset:17664
	s_waitcnt lgkmcnt(1)
	v_add_f64 v[5:6], v[168:169], v[46:47]
	s_waitcnt lgkmcnt(0)
	v_add_f64 v[30:31], v[170:171], v[154:155]
	v_add_f64 v[36:37], v[166:167], v[44:45]
	scratch_store_b64 off, v[5:6], off offset:44 ; 8-byte Folded Spill
	v_add_f64 v[5:6], v[172:173], v[46:47]
	v_cvt_f32_f64_e32 v30, v[30:31]
	scratch_store_b64 off, v[5:6], off offset:20 ; 8-byte Folded Spill
	v_add_f64 v[5:6], v[170:171], v[44:45]
	scratch_store_b64 off, v[5:6], off offset:76 ; 8-byte Folded Spill
	ds_load_b128 v[174:177], v4 offset:17920
	ds_load_b128 v[178:181], v4 offset:18176
	s_waitcnt lgkmcnt(1)
	v_add_f64 v[4:5], v[176:177], v[46:47]
	scratch_store_b64 off, v[4:5], off offset:52 ; 8-byte Folded Spill
	v_add_f64 v[4:5], v[174:175], v[44:45]
	scratch_store_b64 off, v[4:5], off offset:92 ; 8-byte Folded Spill
	s_waitcnt lgkmcnt(0)
	v_add_f64 v[4:5], v[180:181], v[46:47]
	scratch_store_b64 off, v[4:5], off offset:28 ; 8-byte Folded Spill
	v_add_f64 v[4:5], v[178:179], v[44:45]
	scratch_store_b64 off, v[4:5], off offset:84 ; 8-byte Folded Spill
	;; [unrolled: 2-line block ×16, first 2 shown]
	ds_load_b128 v[154:157], v26 offset:2048
	ds_load_b128 v[182:185], v26 offset:3072
	s_waitcnt lgkmcnt(1)
	v_add_f64 v[4:5], v[160:161], v[156:157]
	v_add_f64 v[98:99], v[2:3], v[156:157]
	v_add_f64 v[24:25], v[0:1], v[154:155]
	v_add_f64 v[103:104], v[152:153], v[156:157]
	v_add_f64 v[96:97], v[150:151], v[154:155]
	v_add_f64 v[100:101], v[158:159], v[154:155]
	v_add_f64 v[142:143], v[162:163], v[154:155]
	s_waitcnt lgkmcnt(0)
	v_add_f64 v[144:145], v[2:3], v[184:185]
	v_add_f64 v[146:147], v[0:1], v[182:183]
	;; [unrolled: 1-line block ×16, first 2 shown]
	scratch_store_b64 off, v[4:5], off offset:276 ; 8-byte Folded Spill
	v_add_f64 v[4:5], v[164:165], v[156:157]
	v_cvt_f32_f64_e32 v22, v[22:23]
	v_cvt_f32_f64_e32 v23, v[148:149]
	;; [unrolled: 1-line block ×3, first 2 shown]
	scratch_store_b64 off, v[4:5], off offset:260 ; 8-byte Folded Spill
	v_add_f64 v[4:5], v[168:169], v[156:157]
	v_min3_f32 v231, v22, v23, v231
	v_cvt_f32_f64_e32 v22, v[94:95]
	v_cvt_f32_f64_e32 v23, v[188:189]
	scratch_store_b64 off, v[4:5], off offset:244 ; 8-byte Folded Spill
	v_add_f64 v[4:5], v[166:167], v[154:155]
	v_min3_f32 v119, v22, v23, v119
	v_cvt_f32_f64_e32 v22, v[194:195]
	scratch_store_b64 off, v[4:5], off offset:284 ; 8-byte Folded Spill
	v_add_f64 v[4:5], v[172:173], v[156:157]
	v_min3_f32 v79, v22, v20, v79
	v_cvt_f32_f64_e32 v20, v[198:199]
	scratch_store_b64 off, v[4:5], off offset:228 ; 8-byte Folded Spill
	v_add_f64 v[4:5], v[170:171], v[154:155]
	scratch_store_b64 off, v[4:5], off offset:268 ; 8-byte Folded Spill
	v_add_f64 v[4:5], v[176:177], v[156:157]
	;; [unrolled: 2-line block ×5, first 2 shown]
	scratch_store_b64 off, v[4:5], off offset:236 ; 8-byte Folded Spill
	ds_load_b128 v[154:157], v26 offset:4096
	ds_load_b128 v[182:185], v26 offset:5120
	s_waitcnt lgkmcnt(1)
	v_add_f64 v[212:213], v[2:3], v[156:157]
	v_add_f64 v[214:215], v[0:1], v[154:155]
	v_add_f64 v[216:217], v[152:153], v[156:157]
	v_add_f64 v[220:221], v[150:151], v[154:155]
	v_add_f64 v[46:47], v[160:161], v[156:157]
	v_add_f64 v[224:225], v[158:159], v[154:155]
	v_add_f64 v[50:51], v[164:165], v[156:157]
	v_add_f64 v[16:17], v[162:163], v[154:155]
	v_add_f64 v[82:83], v[168:169], v[156:157]
	v_add_f64 v[44:45], v[166:167], v[154:155]
	v_add_f64 v[86:87], v[172:173], v[156:157]
	v_add_f64 v[48:49], v[170:171], v[154:155]
	v_add_f64 v[88:89], v[176:177], v[156:157]
	v_add_f64 v[52:53], v[174:175], v[154:155]
	v_add_f64 v[90:91], v[180:181], v[156:157]
	v_add_f64 v[84:85], v[178:179], v[154:155]
	s_waitcnt lgkmcnt(0)
	v_add_f64 v[228:229], v[2:3], v[184:185]
	v_add_f64 v[248:249], v[0:1], v[182:183]
	v_add_f64 v[250:251], v[152:153], v[184:185]
	v_add_f64 v[252:253], v[150:151], v[182:183]
	v_add_f64 v[254:255], v[160:161], v[184:185]
	v_add_f64 v[6:7], v[158:159], v[182:183]
	v_add_f64 v[42:43], v[164:165], v[184:185]
	v_add_f64 v[32:33], v[162:163], v[182:183]
	v_add_f64 v[40:41], v[168:169], v[184:185]
	v_add_f64 v[14:15], v[166:167], v[182:183]
	v_add_f64 v[12:13], v[172:173], v[184:185]
	v_add_f64 v[4:5], v[170:171], v[182:183]
	v_add_f64 v[106:107], v[176:177], v[184:185]
	v_add_f64 v[186:187], v[174:175], v[182:183]
	v_add_f64 v[192:193], v[180:181], v[184:185]
	v_add_f64 v[108:109], v[178:179], v[182:183]
	ds_load_b128 v[154:157], v26 offset:6144
	ds_load_b128 v[182:185], v26 offset:7168
	scratch_load_b64 v[18:19], off, off offset:60 ; 8-byte Folded Reload
	s_waitcnt lgkmcnt(1)
	v_add_f64 v[137:138], v[2:3], v[156:157]
	v_add_f64 v[26:27], v[0:1], v[154:155]
	s_waitcnt lgkmcnt(0)
	v_add_f64 v[2:3], v[2:3], v[184:185]
	v_add_f64 v[0:1], v[0:1], v[182:183]
	;; [unrolled: 1-line block ×6, first 2 shown]
	v_cvt_f32_f64_e32 v6, v[6:7]
	v_cvt_f32_f64_e32 v7, v[254:255]
	v_add_f64 v[64:65], v[160:161], v[156:157]
	v_add_f64 v[66:67], v[158:159], v[154:155]
	;; [unrolled: 1-line block ×24, first 2 shown]
	v_cvt_f32_f64_e32 v0, v[0:1]
	v_cvt_f32_f64_e32 v1, v[2:3]
	v_min3_f32 v191, v6, v7, v191
	v_cvt_f32_f64_e32 v6, v[32:33]
	v_cvt_f32_f64_e32 v7, v[42:43]
	s_delay_alu instid0(VALU_DEP_4) | instskip(SKIP_2) | instid1(VALU_DEP_4)
	v_min3_f32 v129, v0, v1, v129
	v_cvt_f32_f64_e32 v0, v[150:151]
	v_cvt_f32_f64_e32 v1, v[152:153]
	v_min3_f32 v190, v6, v7, v190
	v_cvt_f32_f64_e32 v6, v[14:15]
	v_cvt_f32_f64_e32 v7, v[40:41]
	s_delay_alu instid0(VALU_DEP_4) | instskip(SKIP_2) | instid1(VALU_DEP_4)
	v_min3_f32 v124, v0, v1, v124
	v_cvt_f32_f64_e32 v0, v[158:159]
	v_cvt_f32_f64_e32 v1, v[160:161]
	v_min3_f32 v59, v6, v7, v59
	v_cvt_f32_f64_e32 v6, v[4:5]
	v_cvt_f32_f64_e32 v4, v[12:13]
	;; [unrolled: 1-line block ×3, first 2 shown]
	v_min3_f32 v126, v0, v1, v126
	v_cvt_f32_f64_e32 v0, v[162:163]
	v_cvt_f32_f64_e32 v1, v[164:165]
	v_min3_f32 v58, v6, v4, v58
	v_cvt_f32_f64_e32 v4, v[186:187]
	s_delay_alu instid0(VALU_DEP_3) | instskip(SKIP_2) | instid1(VALU_DEP_4)
	v_min3_f32 v122, v0, v1, v122
	v_cvt_f32_f64_e32 v0, v[166:167]
	v_cvt_f32_f64_e32 v1, v[168:169]
	v_min3_f32 v57, v4, v5, v57
	v_cvt_f32_f64_e32 v4, v[108:109]
	v_cvt_f32_f64_e32 v5, v[192:193]
	s_delay_alu instid0(VALU_DEP_4) | instskip(SKIP_2) | instid1(VALU_DEP_4)
	v_min3_f32 v118, v0, v1, v118
	v_cvt_f32_f64_e32 v0, v[170:171]
	v_cvt_f32_f64_e32 v1, v[172:173]
	v_min3_f32 v56, v4, v5, v56
	v_cvt_f32_f64_e32 v4, v[26:27]
	v_cvt_f32_f64_e32 v5, v[137:138]
	s_delay_alu instid0(VALU_DEP_4) | instskip(SKIP_2) | instid1(VALU_DEP_4)
	v_min3_f32 v76, v0, v1, v76
	v_cvt_f32_f64_e32 v0, v[174:175]
	v_cvt_f32_f64_e32 v1, v[176:177]
	v_min3_f32 v54, v4, v5, v54
	v_cvt_f32_f64_e32 v4, v[110:111]
	v_cvt_f32_f64_e32 v5, v[28:29]
	s_waitcnt vmcnt(0)
	v_cvt_f32_f64_e32 v62, v[18:19]
	scratch_load_b64 v[18:19], off, off offset:4 ; 8-byte Folded Reload
	v_min3_f32 v120, v0, v1, v120
	v_cvt_f32_f64_e32 v0, v[178:179]
	v_cvt_f32_f64_e32 v1, v[180:181]
	v_min3_f32 v234, v4, v5, v234
	v_cvt_f32_f64_e32 v4, v[66:67]
	v_cvt_f32_f64_e32 v5, v[64:65]
	s_delay_alu instid0(VALU_DEP_4) | instskip(NEXT) | instid1(VALU_DEP_2)
	v_min3_f32 v113, v0, v1, v113
	v_min3_f32 v136, v4, v5, v136
	v_cvt_f32_f64_e32 v4, v[114:115]
	v_cvt_f32_f64_e32 v5, v[242:243]
	s_delay_alu instid0(VALU_DEP_1) | instskip(SKIP_2) | instid1(VALU_DEP_1)
	v_min3_f32 v135, v4, v5, v135
	v_cvt_f32_f64_e32 v4, v[238:239]
	v_cvt_f32_f64_e32 v5, v[116:117]
	v_min3_f32 v218, v4, v5, v218
	v_cvt_f32_f64_e32 v4, v[8:9]
	v_cvt_f32_f64_e32 v5, v[10:11]
	s_delay_alu instid0(VALU_DEP_1) | instskip(SKIP_2) | instid1(VALU_DEP_1)
	v_min3_f32 v196, v4, v5, v196
	v_cvt_f32_f64_e32 v4, v[130:131]
	v_cvt_f32_f64_e32 v5, v[133:134]
	v_min3_f32 v80, v4, v5, v80
	v_cvt_f32_f64_e32 v4, v[154:155]
	v_cvt_f32_f64_e32 v5, v[156:157]
	s_delay_alu instid0(VALU_DEP_1)
	v_min3_f32 v128, v4, v5, v128
	s_waitcnt vmcnt(0)
	v_cvt_f32_f64_e32 v63, v[18:19]
	scratch_load_b64 v[18:19], off, off offset:36 ; 8-byte Folded Reload
	v_min3_f32 v140, v62, v63, v140
	s_waitcnt vmcnt(0)
	v_cvt_f32_f64_e32 v39, v[18:19]
	scratch_load_b64 v[18:19], off, off offset:68 ; 8-byte Folded Reload
	;; [unrolled: 4-line block ×3, first 2 shown]
	s_waitcnt vmcnt(0)
	v_cvt_f32_f64_e32 v39, v[18:19]
	scratch_load_b64 v[18:19], off, off offset:44 ; 8-byte Folded Reload
	v_min3_f32 v244, v38, v39, v244
	v_cvt_f32_f64_e32 v38, v[36:37]
	s_waitcnt vmcnt(0)
	v_cvt_f32_f64_e32 v39, v[18:19]
	scratch_load_b64 v[18:19], off, off offset:76 ; 8-byte Folded Reload
	v_min3_f32 v219, v38, v39, v219
	s_waitcnt vmcnt(0)
	v_cvt_f32_f64_e32 v38, v[18:19]
	scratch_load_b64 v[18:19], off, off offset:20 ; 8-byte Folded Reload
	s_waitcnt vmcnt(0)
	v_cvt_f32_f64_e32 v39, v[18:19]
	scratch_load_b64 v[18:19], off, off offset:92 ; 8-byte Folded Reload
	v_min3_f32 v235, v38, v39, v235
	s_waitcnt vmcnt(0)
	v_cvt_f32_f64_e32 v38, v[18:19]
	scratch_load_b64 v[18:19], off, off offset:52 ; 8-byte Folded Reload
	;; [unrolled: 7-line block ×6, first 2 shown]
	s_waitcnt vmcnt(0)
	v_cvt_f32_f64_e32 v37, v[18:19]
	scratch_load_b64 v[18:19], off, off offset:148 ; 8-byte Folded Reload
	v_min3_f32 v123, v36, v37, v123
	v_cvt_f32_f64_e32 v36, v[34:35]
	s_waitcnt vmcnt(0)
	v_cvt_f32_f64_e32 v34, v[18:19]
	scratch_load_b64 v[18:19], off, off offset:164 ; 8-byte Folded Reload
	v_min3_f32 v125, v36, v34, v125
	s_waitcnt vmcnt(0)
	v_cvt_f32_f64_e32 v34, v[18:19]
	scratch_load_b64 v[18:19], off, off offset:156 ; 8-byte Folded Reload
	s_waitcnt vmcnt(0)
	v_cvt_f32_f64_e32 v35, v[18:19]
	scratch_load_b64 v[18:19], off, off offset:172 ; 8-byte Folded Reload
	v_min3_f32 v77, v34, v35, v77
	s_waitcnt vmcnt(0)
	v_cvt_f32_f64_e32 v31, v[18:19]
	scratch_load_b64 v[18:19], off, off offset:188 ; 8-byte Folded Reload
	v_min3_f32 v121, v30, v31, v121
	s_waitcnt vmcnt(0)
	v_cvt_f32_f64_e32 v30, v[18:19]
	scratch_load_b64 v[18:19], off, off offset:180 ; 8-byte Folded Reload
	s_waitcnt vmcnt(0)
	v_cvt_f32_f64_e32 v31, v[18:19]
	scratch_load_b64 v[18:19], off, off offset:204 ; 8-byte Folded Reload
	v_min3_f32 v246, v30, v31, v246
	s_waitcnt vmcnt(0)
	v_cvt_f32_f64_e32 v30, v[18:19]
	scratch_load_b64 v[18:19], off, off offset:196 ; 8-byte Folded Reload
	s_waitcnt vmcnt(0)
	v_cvt_f32_f64_e32 v31, v[18:19]
	scratch_load_b64 v[18:19], off, off offset:276 ; 8-byte Folded Reload
	v_min3_f32 v233, v30, v31, v233
	v_cvt_f32_f64_e32 v30, v[24:25]
	v_cvt_f32_f64_e32 v31, v[98:99]
	;; [unrolled: 1-line block ×3, first 2 shown]
	s_delay_alu instid0(VALU_DEP_2) | instskip(SKIP_2) | instid1(VALU_DEP_1)
	v_min3_f32 v236, v30, v31, v236
	v_cvt_f32_f64_e32 v30, v[96:97]
	v_cvt_f32_f64_e32 v31, v[103:104]
	v_min3_f32 v223, v30, v31, v223
	v_cvt_f32_f64_e32 v30, v[100:101]
	s_waitcnt vmcnt(0)
	v_cvt_f32_f64_e32 v31, v[18:19]
	scratch_load_b64 v[18:19], off, off offset:260 ; 8-byte Folded Reload
	v_min3_f32 v226, v30, v31, v226
	v_cvt_f32_f64_e32 v30, v[142:143]
	s_waitcnt vmcnt(0)
	v_cvt_f32_f64_e32 v31, v[18:19]
	scratch_load_b64 v[18:19], off, off offset:284 ; 8-byte Folded Reload
	v_min3_f32 v237, v30, v31, v237
	s_waitcnt vmcnt(0)
	v_cvt_f32_f64_e32 v30, v[18:19]
	scratch_load_b64 v[18:19], off, off offset:244 ; 8-byte Folded Reload
	s_waitcnt vmcnt(0)
	v_cvt_f32_f64_e32 v31, v[18:19]
	scratch_load_b64 v[18:19], off, off offset:268 ; 8-byte Folded Reload
	v_min3_f32 v240, v30, v31, v240
	s_waitcnt vmcnt(0)
	v_cvt_f32_f64_e32 v30, v[18:19]
	scratch_load_b64 v[18:19], off, off offset:228 ; 8-byte Folded Reload
	;; [unrolled: 7-line block ×4, first 2 shown]
	s_waitcnt vmcnt(0)
	v_cvt_f32_f64_e32 v24, v[18:19]
	v_cvt_f32_f64_e32 v18, v[92:93]
	;; [unrolled: 1-line block ×3, first 2 shown]
	s_delay_alu instid0(VALU_DEP_3) | instskip(NEXT) | instid1(VALU_DEP_3)
	v_min3_f32 v241, v30, v24, v241
	v_min3_f32 v102, v20, v18, v102
	v_cvt_f32_f64_e32 v18, v[202:203]
	v_cvt_f32_f64_e32 v24, v[146:147]
	s_delay_alu instid0(VALU_DEP_2) | instskip(SKIP_2) | instid1(VALU_DEP_4)
	v_min3_f32 v55, v18, v19, v55
	v_cvt_f32_f64_e32 v18, v[206:207]
	v_cvt_f32_f64_e32 v19, v[204:205]
	v_min3_f32 v78, v24, v25, v78
	s_delay_alu instid0(VALU_DEP_2) | instskip(SKIP_2) | instid1(VALU_DEP_1)
	v_min3_f32 v245, v18, v19, v245
	v_cvt_f32_f64_e32 v18, v[210:211]
	v_cvt_f32_f64_e32 v19, v[208:209]
	v_min3_f32 v75, v18, v19, v75
	v_cvt_f32_f64_e32 v18, v[214:215]
	v_cvt_f32_f64_e32 v19, v[212:213]
	s_delay_alu instid0(VALU_DEP_1) | instskip(SKIP_2) | instid1(VALU_DEP_1)
	v_min3_f32 v74, v18, v19, v74
	v_cvt_f32_f64_e32 v18, v[220:221]
	v_cvt_f32_f64_e32 v19, v[216:217]
	v_min3_f32 v73, v18, v19, v73
	v_cvt_f32_f64_e32 v18, v[224:225]
	v_cvt_f32_f64_e32 v19, v[46:47]
	s_delay_alu instid0(VALU_DEP_1) | instskip(SKIP_4) | instid1(VALU_DEP_3)
	v_min3_f32 v72, v18, v19, v72
	v_cvt_f32_f64_e32 v18, v[16:17]
	v_cvt_f32_f64_e32 v19, v[50:51]
	;; [unrolled: 1-line block ×4, first 2 shown]
	v_min3_f32 v71, v18, v19, v71
	v_cvt_f32_f64_e32 v18, v[44:45]
	v_cvt_f32_f64_e32 v19, v[82:83]
	s_delay_alu instid0(VALU_DEP_1) | instskip(SKIP_2) | instid1(VALU_DEP_1)
	v_min3_f32 v70, v18, v19, v70
	v_cvt_f32_f64_e32 v18, v[48:49]
	v_cvt_f32_f64_e32 v19, v[86:87]
	v_min3_f32 v61, v18, v19, v61
	v_cvt_f32_f64_e32 v18, v[52:53]
	v_cvt_f32_f64_e32 v19, v[88:89]
	s_delay_alu instid0(VALU_DEP_1) | instskip(SKIP_1) | instid1(VALU_DEP_1)
	v_min3_f32 v69, v18, v19, v69
	v_cvt_f32_f64_e32 v18, v[84:85]
	v_min3_f32 v68, v18, v16, v68
	v_cvt_f32_f64_e32 v16, v[248:249]
	s_delay_alu instid0(VALU_DEP_1) | instskip(SKIP_2) | instid1(VALU_DEP_1)
	v_min3_f32 v105, v16, v17, v105
	v_cvt_f32_f64_e32 v16, v[252:253]
	v_cvt_f32_f64_e32 v17, v[250:251]
	v_min3_f32 v60, v16, v17, v60
	s_cbranch_vccz .LBB170_54
; %bb.55:
	s_clause 0x1
	scratch_load_b32 v0, off, off offset:368
	scratch_load_b64 v[1:2], off, off offset:300
	v_dual_mov_b32 v204, v54 :: v_dual_mov_b32 v247, v57
	v_dual_mov_b32 v239, v70 :: v_dual_mov_b32 v194, v61
	;; [unrolled: 1-line block ×4, first 2 shown]
	s_add_i32 s23, s23, 8
	s_add_i32 s4, s4, 8
	s_cmp_ge_i32 s23, s5
	s_waitcnt vmcnt(0)
	ds_store_b64 v0, v[1:2]
	s_clause 0x2
	scratch_load_b32 v0, off, off offset:372
	scratch_load_b64 v[1:2], off, off offset:308
	scratch_load_b64 v[3:4], off, off offset:316
	s_waitcnt vmcnt(0)
	ds_store_2addr_stride64_b64 v0, v[1:2], v[3:4] offset1:4
	s_clause 0x1
	scratch_load_b64 v[1:2], off, off offset:324
	scratch_load_b64 v[3:4], off, off offset:332
	s_waitcnt vmcnt(0)
	ds_store_2addr_stride64_b64 v0, v[1:2], v[3:4] offset0:8 offset1:12
	s_waitcnt lgkmcnt(0)
	s_waitcnt_vscnt null, 0x0
	s_barrier
	buffer_gl0_inv
	s_cbranch_scc0 .LBB170_33
; %bb.56:
	v_mov_b32_e32 v62, v239
	v_mov_b32_e32 v242, v102
	s_branch .LBB170_58
.LBB170_57:
	v_dual_mov_b32 v105, v61 :: v_dual_mov_b32 v62, v239
.LBB170_58:
	v_dual_mov_b32 v0, v55 :: v_dual_mov_b32 v131, v194
	v_dual_mov_b32 v238, v191 :: v_dual_mov_b32 v57, v73
	v_dual_mov_b32 v130, v69 :: v_dual_mov_b32 v63, v71
	v_dual_mov_b32 v56, v72 :: v_dual_mov_b32 v59, v75
	v_dual_mov_b32 v58, v74 :: v_dual_mov_b32 v55, v204
	v_dual_mov_b32 v54, v245 :: v_dual_mov_b32 v245, v0
	v_mov_b32_e32 v61, v7
	s_mov_b32 s4, 0
	s_mov_b32 s3, -1
.LBB170_59:                             ; =>This Inner Loop Header: Depth=1
	scratch_load_b32 v0, off, off           ; 4-byte Folded Reload
	s_lshl_b32 s4, s4, 3
	v_dual_mov_b32 v243, v105 :: v_dual_mov_b32 v112, v118
	v_lshl_add_u32 v4, v232, 5, s4
	v_dual_mov_b32 v118, v228 :: v_dual_mov_b32 v191, v229
	s_and_not1_b32 vcc_lo, exec_lo, s3
	s_mov_b32 s3, 0
	s_waitcnt vmcnt(0)
	v_lshl_add_u32 v5, v0, 5, s4
	s_mov_b32 s4, 2
	ds_load_b128 v[32:35], v4 offset:8192
	ds_load_b128 v[0:3], v5 offset:18432
	;; [unrolled: 1-line block ×4, first 2 shown]
	s_waitcnt lgkmcnt(2)
	v_add_f64 v[24:25], v[0:1], v[32:33]
	s_waitcnt lgkmcnt(1)
	v_add_f64 v[6:7], v[40:41], v[34:35]
	v_add_f64 v[28:29], v[2:3], v[34:35]
	s_delay_alu instid0(VALU_DEP_3)
	v_cvt_f32_f64_e32 v64, v[24:25]
	scratch_store_b64 off, v[6:7], off offset:4 ; 8-byte Folded Spill
	v_add_f64 v[6:7], v[38:39], v[32:33]
	v_cvt_f32_f64_e32 v28, v[28:29]
	scratch_store_b64 off, v[6:7], off offset:60 ; 8-byte Folded Spill
	ds_load_b128 v[72:75], v5 offset:18944
	ds_load_b128 v[142:145], v5 offset:19200
	v_min3_f32 v141, v64, v28, v141
	s_waitcnt lgkmcnt(1)
	v_add_f64 v[6:7], v[74:75], v[34:35]
	scratch_store_b64 off, v[6:7], off offset:36 ; 8-byte Folded Spill
	v_add_f64 v[6:7], v[72:73], v[32:33]
	scratch_store_b64 off, v[6:7], off offset:92 ; 8-byte Folded Spill
	s_waitcnt lgkmcnt(0)
	v_add_f64 v[6:7], v[144:145], v[34:35]
	scratch_store_b64 off, v[6:7], off offset:12 ; 8-byte Folded Spill
	v_add_f64 v[6:7], v[142:143], v[32:33]
	scratch_store_b64 off, v[6:7], off offset:68 ; 8-byte Folded Spill
	ds_load_b128 v[146:149], v5 offset:19456
	ds_load_b128 v[150:153], v5 offset:19712
	s_waitcnt lgkmcnt(1)
	v_add_f64 v[6:7], v[148:149], v[34:35]
	v_add_f64 v[26:27], v[146:147], v[32:33]
	scratch_store_b64 off, v[6:7], off offset:44 ; 8-byte Folded Spill
	s_waitcnt lgkmcnt(0)
	v_add_f64 v[6:7], v[152:153], v[34:35]
	v_cvt_f32_f64_e32 v26, v[26:27]
	scratch_store_b64 off, v[6:7], off offset:20 ; 8-byte Folded Spill
	v_add_f64 v[6:7], v[150:151], v[32:33]
	scratch_store_b64 off, v[6:7], off offset:76 ; 8-byte Folded Spill
	ds_load_b128 v[154:157], v5 offset:19968
	ds_load_b128 v[158:161], v5 offset:20224
	s_waitcnt lgkmcnt(1)
	v_add_f64 v[5:6], v[156:157], v[34:35]
	scratch_store_b64 off, v[5:6], off offset:52 ; 8-byte Folded Spill
	v_add_f64 v[5:6], v[154:155], v[32:33]
	scratch_store_b64 off, v[5:6], off offset:100 ; 8-byte Folded Spill
	s_waitcnt lgkmcnt(0)
	v_add_f64 v[5:6], v[160:161], v[34:35]
	scratch_store_b64 off, v[5:6], off offset:28 ; 8-byte Folded Spill
	v_add_f64 v[5:6], v[158:159], v[32:33]
	scratch_store_b64 off, v[5:6], off offset:84 ; 8-byte Folded Spill
	v_add_f64 v[5:6], v[2:3], v[70:71]
	scratch_store_b64 off, v[5:6], off offset:108 ; 8-byte Folded Spill
	v_add_f64 v[5:6], v[0:1], v[68:69]
	scratch_store_b64 off, v[5:6], off offset:116 ; 8-byte Folded Spill
	v_add_f64 v[5:6], v[40:41], v[70:71]
	scratch_store_b64 off, v[5:6], off offset:124 ; 8-byte Folded Spill
	v_add_f64 v[5:6], v[38:39], v[68:69]
	scratch_store_b64 off, v[5:6], off offset:132 ; 8-byte Folded Spill
	v_add_f64 v[5:6], v[74:75], v[70:71]
	scratch_store_b64 off, v[5:6], off offset:140 ; 8-byte Folded Spill
	v_add_f64 v[5:6], v[72:73], v[68:69]
	scratch_store_b64 off, v[5:6], off offset:148 ; 8-byte Folded Spill
	v_add_f64 v[5:6], v[144:145], v[70:71]
	scratch_store_b64 off, v[5:6], off offset:156 ; 8-byte Folded Spill
	v_add_f64 v[5:6], v[142:143], v[68:69]
	scratch_store_b64 off, v[5:6], off offset:164 ; 8-byte Folded Spill
	v_add_f64 v[5:6], v[148:149], v[70:71]
	scratch_store_b64 off, v[5:6], off offset:172 ; 8-byte Folded Spill
	v_add_f64 v[5:6], v[146:147], v[68:69]
	scratch_store_b64 off, v[5:6], off offset:180 ; 8-byte Folded Spill
	v_add_f64 v[5:6], v[152:153], v[70:71]
	scratch_store_b64 off, v[5:6], off offset:188 ; 8-byte Folded Spill
	v_add_f64 v[5:6], v[150:151], v[68:69]
	scratch_store_b64 off, v[5:6], off offset:196 ; 8-byte Folded Spill
	v_add_f64 v[5:6], v[156:157], v[70:71]
	scratch_store_b64 off, v[5:6], off offset:204 ; 8-byte Folded Spill
	v_add_f64 v[5:6], v[154:155], v[68:69]
	scratch_store_b64 off, v[5:6], off offset:212 ; 8-byte Folded Spill
	v_add_f64 v[5:6], v[160:161], v[70:71]
	scratch_store_b64 off, v[5:6], off offset:220 ; 8-byte Folded Spill
	v_add_f64 v[5:6], v[158:159], v[68:69]
	scratch_store_b64 off, v[5:6], off offset:228 ; 8-byte Folded Spill
	ds_load_b128 v[68:71], v4 offset:10240
	ds_load_b128 v[162:165], v4 offset:11264
	s_waitcnt lgkmcnt(1)
	v_add_f64 v[5:6], v[144:145], v[70:71]
	v_add_f64 v[96:97], v[2:3], v[70:71]
	;; [unrolled: 1-line block ×10, first 2 shown]
	s_waitcnt lgkmcnt(0)
	v_add_f64 v[102:103], v[2:3], v[164:165]
	v_add_f64 v[114:115], v[0:1], v[162:163]
	;; [unrolled: 1-line block ×16, first 2 shown]
	scratch_store_b64 off, v[5:6], off offset:284 ; 8-byte Folded Spill
	v_add_f64 v[5:6], v[148:149], v[70:71]
	scratch_store_b64 off, v[5:6], off offset:268 ; 8-byte Folded Spill
	v_add_f64 v[5:6], v[152:153], v[70:71]
	;; [unrolled: 2-line block ×6, first 2 shown]
	scratch_store_b64 off, v[5:6], off offset:260 ; 8-byte Folded Spill
	ds_load_b128 v[68:71], v4 offset:12288
	ds_load_b128 v[162:165], v4 offset:13312
	s_waitcnt lgkmcnt(1)
	v_add_f64 v[182:183], v[2:3], v[70:71]
	v_add_f64 v[184:185], v[0:1], v[68:69]
	;; [unrolled: 1-line block ×16, first 2 shown]
	s_waitcnt lgkmcnt(0)
	v_add_f64 v[214:215], v[2:3], v[164:165]
	v_add_f64 v[216:217], v[0:1], v[162:163]
	;; [unrolled: 1-line block ×16, first 2 shown]
	ds_load_b128 v[68:71], v4 offset:14336
	ds_load_b128 v[162:165], v4 offset:15360
	scratch_load_b64 v[24:25], off, off offset:60 ; 8-byte Folded Reload
	s_waitcnt lgkmcnt(1)
	v_add_f64 v[248:249], v[2:3], v[70:71]
	v_add_f64 v[250:251], v[0:1], v[68:69]
	s_waitcnt lgkmcnt(0)
	v_add_f64 v[2:3], v[2:3], v[164:165]
	v_add_f64 v[0:1], v[0:1], v[162:163]
	;; [unrolled: 1-line block ×30, first 2 shown]
	v_cvt_f32_f64_e32 v0, v[0:1]
	v_cvt_f32_f64_e32 v1, v[2:3]
	;; [unrolled: 1-line block ×4, first 2 shown]
	s_delay_alu instid0(VALU_DEP_3) | instskip(SKIP_2) | instid1(VALU_DEP_4)
	v_min3_f32 v129, v0, v1, v129
	v_cvt_f32_f64_e32 v0, v[38:39]
	v_cvt_f32_f64_e32 v1, v[40:41]
	v_min3_f32 v136, v4, v5, v136
	v_cvt_f32_f64_e32 v4, v[6:7]
	v_cvt_f32_f64_e32 v5, v[12:13]
	s_delay_alu instid0(VALU_DEP_4) | instskip(SKIP_2) | instid1(VALU_DEP_4)
	v_min3_f32 v124, v0, v1, v124
	v_cvt_f32_f64_e32 v0, v[72:73]
	v_cvt_f32_f64_e32 v1, v[74:75]
	v_min3_f32 v135, v4, v5, v135
	v_cvt_f32_f64_e32 v4, v[10:11]
	v_cvt_f32_f64_e32 v5, v[16:17]
	s_delay_alu instid0(VALU_DEP_4) | instskip(SKIP_2) | instid1(VALU_DEP_4)
	;; [unrolled: 7-line block ×3, first 2 shown]
	v_min3_f32 v122, v0, v1, v122
	v_cvt_f32_f64_e32 v0, v[146:147]
	v_cvt_f32_f64_e32 v1, v[148:149]
	v_min3_f32 v196, v4, v5, v196
	v_cvt_f32_f64_e32 v4, v[18:19]
	v_cvt_f32_f64_e32 v5, v[22:23]
	s_delay_alu instid0(VALU_DEP_1) | instskip(SKIP_2) | instid1(VALU_DEP_1)
	v_min3_f32 v80, v4, v5, v80
	v_cvt_f32_f64_e32 v4, v[68:69]
	v_cvt_f32_f64_e32 v5, v[70:71]
	v_min3_f32 v128, v4, v5, v128
	s_waitcnt vmcnt(0)
	v_cvt_f32_f64_e32 v28, v[24:25]
	scratch_load_b64 v[24:25], off, off offset:4 ; 8-byte Folded Reload
	s_waitcnt vmcnt(0)
	v_cvt_f32_f64_e32 v29, v[24:25]
	scratch_load_b64 v[24:25], off, off offset:92 ; 8-byte Folded Reload
	v_min3_f32 v140, v28, v29, v140
	s_waitcnt vmcnt(0)
	v_cvt_f32_f64_e32 v28, v[24:25]
	scratch_load_b64 v[24:25], off, off offset:36 ; 8-byte Folded Reload
	s_waitcnt vmcnt(0)
	v_cvt_f32_f64_e32 v29, v[24:25]
	scratch_load_b64 v[24:25], off, off offset:68 ; 8-byte Folded Reload
	;; [unrolled: 7-line block ×3, first 2 shown]
	v_min3_f32 v244, v28, v29, v244
	s_waitcnt vmcnt(0)
	v_cvt_f32_f64_e32 v27, v[24:25]
	scratch_load_b64 v[24:25], off, off offset:76 ; 8-byte Folded Reload
	v_min3_f32 v219, v26, v27, v219
	s_waitcnt vmcnt(0)
	v_cvt_f32_f64_e32 v26, v[24:25]
	scratch_load_b64 v[24:25], off, off offset:20 ; 8-byte Folded Reload
	s_waitcnt vmcnt(0)
	v_cvt_f32_f64_e32 v27, v[24:25]
	scratch_load_b64 v[24:25], off, off offset:100 ; 8-byte Folded Reload
	v_min3_f32 v235, v26, v27, v235
	s_waitcnt vmcnt(0)
	v_cvt_f32_f64_e32 v26, v[24:25]
	scratch_load_b64 v[24:25], off, off offset:52 ; 8-byte Folded Reload
	;; [unrolled: 7-line block ×10, first 2 shown]
	s_waitcnt vmcnt(0)
	v_cvt_f32_f64_e32 v24, v[24:25]
	s_delay_alu instid0(VALU_DEP_1)
	v_min3_f32 v246, v26, v24, v246
	scratch_load_b64 v[24:25], off, off offset:228 ; 8-byte Folded Reload
	s_waitcnt vmcnt(0)
	v_cvt_f32_f64_e32 v24, v[24:25]
	scratch_load_b64 v[25:26], off, off offset:220 ; 8-byte Folded Reload
	s_waitcnt vmcnt(0)
	v_cvt_f32_f64_e32 v25, v[25:26]
	s_delay_alu instid0(VALU_DEP_1) | instskip(SKIP_2) | instid1(VALU_DEP_1)
	v_min3_f32 v233, v24, v25, v233
	v_cvt_f32_f64_e32 v24, v[92:93]
	v_cvt_f32_f64_e32 v25, v[96:97]
	v_min3_f32 v236, v24, v25, v236
	v_cvt_f32_f64_e32 v24, v[94:95]
	v_cvt_f32_f64_e32 v25, v[104:105]
	v_mov_b32_e32 v105, v243
	s_delay_alu instid0(VALU_DEP_2) | instskip(SKIP_2) | instid1(VALU_DEP_1)
	v_min3_f32 v223, v24, v25, v223
	v_cvt_f32_f64_e32 v24, v[98:99]
	v_cvt_f32_f64_e32 v25, v[108:109]
	v_min3_f32 v226, v24, v25, v226
	scratch_load_b64 v[25:26], off, off offset:284 ; 8-byte Folded Reload
	v_cvt_f32_f64_e32 v24, v[100:101]
	s_waitcnt vmcnt(0)
	v_cvt_f32_f64_e32 v25, v[25:26]
	s_delay_alu instid0(VALU_DEP_1) | instskip(SKIP_4) | instid1(VALU_DEP_1)
	v_min3_f32 v237, v24, v25, v237
	scratch_load_b64 v[25:26], off, off offset:268 ; 8-byte Folded Reload
	v_cvt_f32_f64_e32 v24, v[106:107]
	s_waitcnt vmcnt(0)
	v_cvt_f32_f64_e32 v25, v[25:26]
	v_min3_f32 v240, v24, v25, v240
	scratch_load_b64 v[25:26], off, off offset:252 ; 8-byte Folded Reload
	v_cvt_f32_f64_e32 v24, v[110:111]
	s_waitcnt vmcnt(0)
	v_cvt_f32_f64_e32 v25, v[25:26]
	s_delay_alu instid0(VALU_DEP_1)
	v_min3_f32 v227, v24, v25, v227
	scratch_load_b64 v[24:25], off, off offset:276 ; 8-byte Folded Reload
	s_waitcnt vmcnt(0)
	v_cvt_f32_f64_e32 v24, v[24:25]
	scratch_load_b64 v[25:26], off, off offset:244 ; 8-byte Folded Reload
	s_waitcnt vmcnt(0)
	v_cvt_f32_f64_e32 v25, v[25:26]
	s_delay_alu instid0(VALU_DEP_1)
	v_min3_f32 v230, v24, v25, v230
	scratch_load_b64 v[24:25], off, off offset:260 ; 8-byte Folded Reload
	s_waitcnt vmcnt(0)
	v_cvt_f32_f64_e32 v24, v[24:25]
	scratch_load_b64 v[25:26], off, off offset:236 ; 8-byte Folded Reload
	s_waitcnt vmcnt(0)
	v_cvt_f32_f64_e32 v25, v[25:26]
	v_mov_b32_e32 v26, v118
	s_delay_alu instid0(VALU_DEP_2) | instskip(SKIP_2) | instid1(VALU_DEP_1)
	v_min3_f32 v241, v24, v25, v241
	v_cvt_f32_f64_e32 v24, v[114:115]
	v_cvt_f32_f64_e32 v25, v[102:103]
	v_min3_f32 v78, v24, v25, v78
	v_cvt_f32_f64_e32 v24, v[90:91]
	v_cvt_f32_f64_e32 v25, v[116:117]
	s_delay_alu instid0(VALU_DEP_1) | instskip(SKIP_2) | instid1(VALU_DEP_1)
	v_min3_f32 v231, v24, v25, v231
	v_cvt_f32_f64_e32 v24, v[86:87]
	v_cvt_f32_f64_e32 v25, v[88:89]
	v_min3_f32 v119, v24, v25, v119
	v_cvt_f32_f64_e32 v24, v[133:134]
	v_cvt_f32_f64_e32 v25, v[84:85]
	s_delay_alu instid0(VALU_DEP_1) | instskip(SKIP_2) | instid1(VALU_DEP_1)
	;; [unrolled: 7-line block ×7, first 2 shown]
	v_min3_f32 v131, v24, v25, v131
	v_cvt_f32_f64_e32 v24, v[208:209]
	v_cvt_f32_f64_e32 v25, v[206:207]
	v_min3_f32 v130, v24, v25, v130
	v_cvt_f32_f64_e32 v24, v[212:213]
	v_cvt_f32_f64_e32 v25, v[210:211]
	s_delay_alu instid0(VALU_DEP_1) | instskip(SKIP_3) | instid1(VALU_DEP_2)
	v_min3_f32 v191, v24, v25, v191
	v_cvt_f32_f64_e32 v24, v[216:217]
	v_cvt_f32_f64_e32 v25, v[214:215]
	v_mov_b32_e32 v118, v112
	v_min3_f32 v105, v24, v25, v105
	v_cvt_f32_f64_e32 v24, v[220:221]
	v_cvt_f32_f64_e32 v25, v[65:66]
	s_delay_alu instid0(VALU_DEP_1) | instskip(SKIP_2) | instid1(VALU_DEP_1)
	v_min3_f32 v60, v24, v25, v60
	v_cvt_f32_f64_e32 v24, v[224:225]
	v_cvt_f32_f64_e32 v25, v[52:53]
	v_min3_f32 v238, v24, v25, v238
	v_cvt_f32_f64_e32 v24, v[48:49]
	v_cvt_f32_f64_e32 v25, v[50:51]
	s_delay_alu instid0(VALU_DEP_1) | instskip(SKIP_2) | instid1(VALU_DEP_1)
	v_min3_f32 v190, v24, v25, v190
	v_cvt_f32_f64_e32 v24, v[44:45]
	v_cvt_f32_f64_e32 v25, v[46:47]
	;; [unrolled: 7-line block ×3, first 2 shown]
	v_min3_f32 v247, v24, v25, v247
	v_cvt_f32_f64_e32 v24, v[228:229]
	v_mov_b32_e32 v229, v191
	v_cvt_f32_f64_e32 v25, v[30:31]
	v_min3_f32 v118, v0, v1, v118
	v_cvt_f32_f64_e32 v0, v[150:151]
	v_cvt_f32_f64_e32 v1, v[152:153]
	v_mov_b32_e32 v228, v26
	s_delay_alu instid0(VALU_DEP_1)
	v_min3_f32 v228, v24, v25, v228
	v_cvt_f32_f64_e32 v24, v[250:251]
	v_cvt_f32_f64_e32 v25, v[248:249]
	v_min3_f32 v76, v0, v1, v76
	v_cvt_f32_f64_e32 v0, v[154:155]
	v_cvt_f32_f64_e32 v1, v[156:157]
	s_delay_alu instid0(VALU_DEP_4) | instskip(SKIP_2) | instid1(VALU_DEP_4)
	v_min3_f32 v55, v24, v25, v55
	v_cvt_f32_f64_e32 v24, v[254:255]
	v_cvt_f32_f64_e32 v25, v[252:253]
	v_min3_f32 v120, v0, v1, v120
	v_cvt_f32_f64_e32 v0, v[158:159]
	v_cvt_f32_f64_e32 v1, v[160:161]
	s_delay_alu instid0(VALU_DEP_4) | instskip(NEXT) | instid1(VALU_DEP_2)
	v_min3_f32 v234, v24, v25, v234
	v_min3_f32 v113, v0, v1, v113
	s_cbranch_vccz .LBB170_59
; %bb.60:
	s_clause 0x2
	s_load_b64 s[12:13], s[0:1], 0x78
	s_load_b32 s4, s[0:1], 0x70
	s_load_b32 s3, s[0:1], 0x58
	scratch_load_b32 v0, off, off           ; 4-byte Folded Reload
	v_add_nc_u32_e32 v18, s8, v232
	v_dual_mov_b32 v38, v245 :: v_dual_mov_b32 v31, v131
	v_dual_mov_b32 v36, v59 :: v_dual_mov_b32 v29, v238
	v_mov_b32_e32 v34, v57
	v_mov_b32_e32 v32, v63
	s_waitcnt lgkmcnt(0)
	s_mul_i32 s0, s15, s13
	s_mul_hi_u32 s1, s15, s12
	v_mad_i64_i32 v[4:5], null, v18, s3, 0
	s_mul_i32 s5, s26, s12
	s_add_i32 s1, s1, s0
	s_mul_i32 s0, s15, s12
	s_add_i32 s1, s1, s5
	s_delay_alu instid0(SALU_CYCLE_1) | instskip(NEXT) | instid1(VALU_DEP_1)
	s_lshl_b64 s[0:1], s[0:1], 3
	v_lshlrev_b64 v[4:5], 3, v[4:5]
	s_add_u32 s5, s18, s0
	s_addc_u32 s8, s19, s1
	s_waitcnt vmcnt(0)
	v_add_nc_u32_e32 v12, s14, v0
	v_mad_i64_i32 v[0:1], null, v18, s4, 0
	s_delay_alu instid0(VALU_DEP_2) | instskip(SKIP_1) | instid1(VALU_DEP_3)
	v_ashrrev_i32_e32 v13, 31, v12
	v_add_nc_u32_e32 v2, 8, v12
	v_lshlrev_b64 v[6:7], 3, v[0:1]
	s_delay_alu instid0(VALU_DEP_3) | instskip(NEXT) | instid1(VALU_DEP_3)
	v_lshlrev_b64 v[0:1], 3, v[12:13]
	v_ashrrev_i32_e32 v3, 31, v2
	s_delay_alu instid0(VALU_DEP_3) | instskip(NEXT) | instid1(VALU_DEP_4)
	v_add_co_u32 v19, vcc_lo, s5, v6
	v_add_co_ci_u32_e32 v20, vcc_lo, s8, v7, vcc_lo
	v_add_co_u32 v16, vcc_lo, s6, v4
	v_add_co_ci_u32_e32 v17, vcc_lo, s7, v5, vcc_lo
	v_max_f32_e32 v4, v141, v141
	s_mov_b32 vcc_lo, s2
	s_cbranch_vccz .LBB170_63
; %bb.61:
	s_delay_alu instid0(VALU_DEP_1) | instskip(SKIP_2) | instid1(VALU_DEP_3)
	v_min_f32_e32 v5, 0, v4
	v_add_co_u32 v7, vcc_lo, v19, v0
	v_add_co_ci_u32_e32 v8, vcc_lo, v20, v1, vcc_lo
	v_cvt_f64_f32_e32 v[5:6], v5
	s_mov_b64 s[0:1], 0
	global_store_b64 v[7:8], v[5:6], off
	v_lshlrev_b64 v[2:3], 3, v[2:3]
	s_cbranch_execz .LBB170_64
; %bb.62:
	v_dual_mov_b32 v5, s1 :: v_dual_mov_b32 v4, s0
	s_branch .LBB170_65
.LBB170_63:
                                        ; implicit-def: $sgpr0_sgpr1
	v_lshlrev_b64 v[2:3], 3, v[2:3]
.LBB170_64:
	v_add_co_u32 v5, vcc_lo, v16, v0
	v_add_co_ci_u32_e32 v6, vcc_lo, v17, v1, vcc_lo
	flat_load_b64 v[5:6], v[5:6]
	s_waitcnt vmcnt(0) lgkmcnt(0)
	v_mul_f64 v[5:6], v[5:6], s[10:11]
	s_delay_alu instid0(VALU_DEP_1)
	v_cvt_f32_f64_e32 v5, v[5:6]
	v_add_co_u32 v6, vcc_lo, v19, v0
	v_add_co_ci_u32_e32 v7, vcc_lo, v20, v1, vcc_lo
	v_add_co_u32 v8, vcc_lo, v16, v2
	v_add_co_ci_u32_e32 v9, vcc_lo, v17, v3, vcc_lo
	v_min_f32_e32 v4, v5, v4
	s_delay_alu instid0(VALU_DEP_1)
	v_cvt_f64_f32_e32 v[4:5], v4
	global_store_b64 v[6:7], v[4:5], off
	flat_load_b64 v[4:5], v[8:9]
	s_waitcnt vmcnt(0) lgkmcnt(0)
	v_mul_f64 v[4:5], v[4:5], s[10:11]
.LBB170_65:
	s_delay_alu instid0(VALU_DEP_1) | instskip(SKIP_4) | instid1(VALU_DEP_3)
	v_cvt_f32_f64_e32 v4, v[4:5]
	v_dual_max_f32 v5, v140, v140 :: v_dual_max_f32 v8, v139, v139
	v_add_nc_u32_e32 v6, 24, v12
	v_add_co_u32 v13, vcc_lo, v19, v2
	v_add_co_ci_u32_e32 v14, vcc_lo, v20, v3, vcc_lo
	v_ashrrev_i32_e32 v7, 31, v6
	s_mov_b32 vcc_lo, s2
	v_min_f32_e32 v4, v4, v5
	s_delay_alu instid0(VALU_DEP_1) | instskip(SKIP_1) | instid1(VALU_DEP_1)
	v_cvt_f64_f32_e32 v[9:10], v4
	v_add_nc_u32_e32 v4, 16, v12
	v_ashrrev_i32_e32 v5, 31, v4
	s_delay_alu instid0(VALU_DEP_1)
	v_lshlrev_b64 v[4:5], 3, v[4:5]
	global_store_b64 v[13:14], v[9:10], off
	s_cbranch_vccz .LBB170_68
; %bb.66:
	v_min_f32_e32 v9, 0, v8
	v_add_co_u32 v13, vcc_lo, v19, v4
	v_add_co_ci_u32_e32 v14, vcc_lo, v20, v5, vcc_lo
	s_delay_alu instid0(VALU_DEP_3)
	v_cvt_f64_f32_e32 v[9:10], v9
	s_mov_b64 s[0:1], 0
	global_store_b64 v[13:14], v[9:10], off
	v_lshlrev_b64 v[6:7], 3, v[6:7]
	s_cbranch_execz .LBB170_69
; %bb.67:
	v_dual_mov_b32 v9, s1 :: v_dual_mov_b32 v8, s0
	s_branch .LBB170_70
.LBB170_68:
                                        ; implicit-def: $sgpr0_sgpr1
	v_lshlrev_b64 v[6:7], 3, v[6:7]
.LBB170_69:
	v_add_co_u32 v9, vcc_lo, v16, v4
	v_add_co_ci_u32_e32 v10, vcc_lo, v17, v5, vcc_lo
	flat_load_b64 v[9:10], v[9:10]
	s_waitcnt vmcnt(0) lgkmcnt(0)
	v_mul_f64 v[9:10], v[9:10], s[10:11]
	s_delay_alu instid0(VALU_DEP_1)
	v_cvt_f32_f64_e32 v9, v[9:10]
	v_add_co_u32 v10, vcc_lo, v19, v4
	v_add_co_ci_u32_e32 v11, vcc_lo, v20, v5, vcc_lo
	v_add_co_u32 v13, vcc_lo, v16, v6
	v_add_co_ci_u32_e32 v14, vcc_lo, v17, v7, vcc_lo
	v_min_f32_e32 v8, v9, v8
	s_delay_alu instid0(VALU_DEP_1)
	v_cvt_f64_f32_e32 v[8:9], v8
	global_store_b64 v[10:11], v[8:9], off
	flat_load_b64 v[8:9], v[13:14]
	s_waitcnt vmcnt(0) lgkmcnt(0)
	v_mul_f64 v[8:9], v[8:9], s[10:11]
.LBB170_70:
	s_delay_alu instid0(VALU_DEP_1) | instskip(SKIP_4) | instid1(VALU_DEP_3)
	v_cvt_f32_f64_e32 v8, v[8:9]
	v_max_f32_e32 v9, v244, v244
	v_add_nc_u32_e32 v10, 40, v12
	v_add_co_u32 v21, vcc_lo, v19, v6
	v_add_co_ci_u32_e32 v22, vcc_lo, v20, v7, vcc_lo
	v_ashrrev_i32_e32 v11, 31, v10
	s_mov_b32 vcc_lo, s2
	v_dual_max_f32 v13, v219, v219 :: v_dual_min_f32 v8, v8, v9
	s_delay_alu instid0(VALU_DEP_1) | instskip(SKIP_1) | instid1(VALU_DEP_1)
	v_cvt_f64_f32_e32 v[14:15], v8
	v_add_nc_u32_e32 v8, 32, v12
	v_ashrrev_i32_e32 v9, 31, v8
	s_delay_alu instid0(VALU_DEP_1)
	v_lshlrev_b64 v[8:9], 3, v[8:9]
	global_store_b64 v[21:22], v[14:15], off
	s_cbranch_vccz .LBB170_73
; %bb.71:
	v_min_f32_e32 v14, 0, v13
	v_add_co_u32 v21, vcc_lo, v19, v8
	v_add_co_ci_u32_e32 v22, vcc_lo, v20, v9, vcc_lo
	s_delay_alu instid0(VALU_DEP_3)
	v_cvt_f64_f32_e32 v[14:15], v14
	s_mov_b64 s[0:1], 0
	global_store_b64 v[21:22], v[14:15], off
	v_lshlrev_b64 v[10:11], 3, v[10:11]
	s_cbranch_execz .LBB170_74
; %bb.72:
	v_dual_mov_b32 v14, s1 :: v_dual_mov_b32 v13, s0
	s_branch .LBB170_75
.LBB170_73:
                                        ; implicit-def: $sgpr0_sgpr1
	v_lshlrev_b64 v[10:11], 3, v[10:11]
.LBB170_74:
	v_add_co_u32 v14, vcc_lo, v16, v8
	v_add_co_ci_u32_e32 v15, vcc_lo, v17, v9, vcc_lo
	v_add_co_u32 v21, vcc_lo, v19, v8
	v_add_co_ci_u32_e32 v22, vcc_lo, v20, v9, vcc_lo
	flat_load_b64 v[14:15], v[14:15]
	v_add_co_u32 v23, vcc_lo, v16, v10
	v_add_co_ci_u32_e32 v24, vcc_lo, v17, v11, vcc_lo
	s_waitcnt vmcnt(0) lgkmcnt(0)
	v_mul_f64 v[14:15], v[14:15], s[10:11]
	s_delay_alu instid0(VALU_DEP_1) | instskip(NEXT) | instid1(VALU_DEP_1)
	v_cvt_f32_f64_e32 v14, v[14:15]
	v_min_f32_e32 v13, v14, v13
	s_delay_alu instid0(VALU_DEP_1)
	v_cvt_f64_f32_e32 v[13:14], v13
	global_store_b64 v[21:22], v[13:14], off
	flat_load_b64 v[13:14], v[23:24]
	s_waitcnt vmcnt(0) lgkmcnt(0)
	v_mul_f64 v[13:14], v[13:14], s[10:11]
.LBB170_75:
	s_delay_alu instid0(VALU_DEP_1)
	v_cvt_f32_f64_e32 v13, v[13:14]
	v_dual_max_f32 v14, v235, v235 :: v_dual_max_f32 v21, v81, v81
	v_add_co_u32 v26, vcc_lo, v19, v10
	v_add_co_ci_u32_e32 v27, vcc_lo, v20, v11, vcc_lo
	s_mov_b32 vcc_lo, s2
	v_add_nc_u32_e32 v24, 48, v12
	s_delay_alu instid0(VALU_DEP_1) | instskip(SKIP_1) | instid1(VALU_DEP_1)
	v_ashrrev_i32_e32 v25, 31, v24
	v_dual_min_f32 v13, v13, v14 :: v_dual_add_nc_u32 v14, 56, v12
	v_cvt_f64_f32_e32 v[22:23], v13
	s_delay_alu instid0(VALU_DEP_2) | instskip(NEXT) | instid1(VALU_DEP_4)
	v_ashrrev_i32_e32 v15, 31, v14
	v_lshlrev_b64 v[12:13], 3, v[24:25]
	global_store_b64 v[26:27], v[22:23], off
	s_cbranch_vccz .LBB170_78
; %bb.76:
	v_min_f32_e32 v22, 0, v21
	v_add_co_u32 v24, vcc_lo, v19, v12
	v_add_co_ci_u32_e32 v25, vcc_lo, v20, v13, vcc_lo
	s_delay_alu instid0(VALU_DEP_3)
	v_cvt_f64_f32_e32 v[22:23], v22
	s_mov_b64 s[0:1], 0
	global_store_b64 v[24:25], v[22:23], off
	v_lshlrev_b64 v[14:15], 3, v[14:15]
	s_cbranch_execz .LBB170_79
; %bb.77:
	v_dual_mov_b32 v17, s1 :: v_dual_mov_b32 v16, s0
	s_branch .LBB170_80
.LBB170_78:
                                        ; implicit-def: $sgpr0_sgpr1
	v_lshlrev_b64 v[14:15], 3, v[14:15]
.LBB170_79:
	v_add_co_u32 v22, vcc_lo, v16, v12
	v_add_co_ci_u32_e32 v23, vcc_lo, v17, v13, vcc_lo
	flat_load_b64 v[22:23], v[22:23]
	s_waitcnt vmcnt(0) lgkmcnt(0)
	v_mul_f64 v[22:23], v[22:23], s[10:11]
	s_delay_alu instid0(VALU_DEP_1)
	v_cvt_f32_f64_e32 v22, v[22:23]
	v_add_co_u32 v23, vcc_lo, v19, v12
	v_add_co_ci_u32_e32 v24, vcc_lo, v20, v13, vcc_lo
	v_add_co_u32 v16, vcc_lo, v16, v14
	v_add_co_ci_u32_e32 v17, vcc_lo, v17, v15, vcc_lo
	v_min_f32_e32 v21, v22, v21
	s_delay_alu instid0(VALU_DEP_1)
	v_cvt_f64_f32_e32 v[21:22], v21
	global_store_b64 v[23:24], v[21:22], off
	flat_load_b64 v[16:17], v[16:17]
	s_waitcnt vmcnt(0) lgkmcnt(0)
	v_mul_f64 v[16:17], v[16:17], s[10:11]
.LBB170_80:
	s_delay_alu instid0(VALU_DEP_1) | instskip(SKIP_4) | instid1(VALU_DEP_1)
	v_cvt_f32_f64_e32 v16, v[16:17]
	v_max_f32_e32 v17, v132, v132
	v_add_co_u32 v27, vcc_lo, v19, v14
	v_add_co_ci_u32_e32 v28, vcc_lo, v20, v15, vcc_lo
	v_add_nc_u32_e32 v25, 32, v18
	v_mad_i64_i32 v[21:22], null, v25, s3, 0
	s_delay_alu instid0(VALU_DEP_1) | instskip(SKIP_1) | instid1(VALU_DEP_1)
	v_lshlrev_b64 v[21:22], 3, v[21:22]
	v_min_f32_e32 v16, v16, v17
	v_cvt_f64_f32_e32 v[23:24], v16
	v_mad_i64_i32 v[16:17], null, v25, s4, 0
	s_delay_alu instid0(VALU_DEP_1) | instskip(SKIP_1) | instid1(VALU_DEP_2)
	v_lshlrev_b64 v[25:26], 3, v[16:17]
	v_max_f32_e32 v16, v197, v197
	v_add_co_u32 v19, vcc_lo, s5, v25
	s_delay_alu instid0(VALU_DEP_3)
	v_add_co_ci_u32_e32 v20, vcc_lo, s8, v26, vcc_lo
	v_add_co_u32 v21, vcc_lo, s6, v21
	v_add_co_ci_u32_e32 v22, vcc_lo, s7, v22, vcc_lo
	s_mov_b32 vcc_lo, s2
	global_store_b64 v[27:28], v[23:24], off
	s_cbranch_vccz .LBB170_83
; %bb.81:
	v_min_f32_e32 v17, 0, v16
	v_add_co_u32 v25, vcc_lo, v19, v0
	v_add_co_ci_u32_e32 v26, vcc_lo, v20, v1, vcc_lo
	s_delay_alu instid0(VALU_DEP_3)
	v_cvt_f64_f32_e32 v[23:24], v17
	s_mov_b64 s[0:1], 0
	global_store_b64 v[25:26], v[23:24], off
	s_cbranch_execz .LBB170_84
; %bb.82:
	v_dual_mov_b32 v17, s1 :: v_dual_mov_b32 v16, s0
	s_branch .LBB170_85
.LBB170_83:
                                        ; implicit-def: $sgpr0_sgpr1
.LBB170_84:
	v_add_co_u32 v23, vcc_lo, v21, v0
	v_add_co_ci_u32_e32 v24, vcc_lo, v22, v1, vcc_lo
	flat_load_b64 v[23:24], v[23:24]
	s_waitcnt vmcnt(0) lgkmcnt(0)
	v_mul_f64 v[23:24], v[23:24], s[10:11]
	s_delay_alu instid0(VALU_DEP_1)
	v_cvt_f32_f64_e32 v17, v[23:24]
	v_add_co_u32 v23, vcc_lo, v19, v0
	v_add_co_ci_u32_e32 v24, vcc_lo, v20, v1, vcc_lo
	v_add_co_u32 v25, vcc_lo, v21, v2
	v_add_co_ci_u32_e32 v26, vcc_lo, v22, v3, vcc_lo
	v_min_f32_e32 v16, v17, v16
	s_delay_alu instid0(VALU_DEP_1)
	v_cvt_f64_f32_e32 v[16:17], v16
	global_store_b64 v[23:24], v[16:17], off
	flat_load_b64 v[16:17], v[25:26]
	s_waitcnt vmcnt(0) lgkmcnt(0)
	v_mul_f64 v[16:17], v[16:17], s[10:11]
.LBB170_85:
	s_delay_alu instid0(VALU_DEP_1) | instskip(SKIP_4) | instid1(VALU_DEP_3)
	v_cvt_f32_f64_e32 v16, v[16:17]
	v_max_f32_e32 v17, v127, v127
	v_add_co_u32 v25, vcc_lo, v19, v2
	v_add_co_ci_u32_e32 v26, vcc_lo, v20, v3, vcc_lo
	s_mov_b32 vcc_lo, s2
	v_min_f32_e32 v16, v16, v17
	s_delay_alu instid0(VALU_DEP_1)
	v_cvt_f64_f32_e32 v[23:24], v16
	v_max_f32_e32 v16, v123, v123
	global_store_b64 v[25:26], v[23:24], off
	s_cbranch_vccz .LBB170_88
; %bb.86:
	v_min_f32_e32 v17, 0, v16
	v_add_co_u32 v25, vcc_lo, v19, v4
	v_add_co_ci_u32_e32 v26, vcc_lo, v20, v5, vcc_lo
	s_delay_alu instid0(VALU_DEP_3)
	v_cvt_f64_f32_e32 v[23:24], v17
	s_mov_b64 s[0:1], 0
	global_store_b64 v[25:26], v[23:24], off
	s_cbranch_execz .LBB170_89
; %bb.87:
	v_dual_mov_b32 v17, s1 :: v_dual_mov_b32 v16, s0
	s_branch .LBB170_90
.LBB170_88:
                                        ; implicit-def: $sgpr0_sgpr1
.LBB170_89:
	v_add_co_u32 v23, vcc_lo, v21, v4
	v_add_co_ci_u32_e32 v24, vcc_lo, v22, v5, vcc_lo
	flat_load_b64 v[23:24], v[23:24]
	s_waitcnt vmcnt(0) lgkmcnt(0)
	v_mul_f64 v[23:24], v[23:24], s[10:11]
	s_delay_alu instid0(VALU_DEP_1)
	v_cvt_f32_f64_e32 v17, v[23:24]
	v_add_co_u32 v23, vcc_lo, v19, v4
	v_add_co_ci_u32_e32 v24, vcc_lo, v20, v5, vcc_lo
	v_add_co_u32 v25, vcc_lo, v21, v6
	v_add_co_ci_u32_e32 v26, vcc_lo, v22, v7, vcc_lo
	v_min_f32_e32 v16, v17, v16
	s_delay_alu instid0(VALU_DEP_1)
	v_cvt_f64_f32_e32 v[16:17], v16
	global_store_b64 v[23:24], v[16:17], off
	flat_load_b64 v[16:17], v[25:26]
	s_waitcnt vmcnt(0) lgkmcnt(0)
	v_mul_f64 v[16:17], v[16:17], s[10:11]
.LBB170_90:
	s_delay_alu instid0(VALU_DEP_1) | instskip(SKIP_4) | instid1(VALU_DEP_3)
	v_cvt_f32_f64_e32 v16, v[16:17]
	v_max_f32_e32 v17, v125, v125
	v_add_co_u32 v25, vcc_lo, v19, v6
	v_add_co_ci_u32_e32 v26, vcc_lo, v20, v7, vcc_lo
	s_mov_b32 vcc_lo, s2
	v_min_f32_e32 v16, v16, v17
	s_delay_alu instid0(VALU_DEP_1)
	v_cvt_f64_f32_e32 v[23:24], v16
	v_max_f32_e32 v16, v77, v77
	;; [unrolled: 46-line block ×3, first 2 shown]
	global_store_b64 v[25:26], v[23:24], off
	s_cbranch_vccz .LBB170_98
; %bb.96:
	v_min_f32_e32 v17, 0, v16
	v_add_co_u32 v25, vcc_lo, v19, v12
	v_add_co_ci_u32_e32 v26, vcc_lo, v20, v13, vcc_lo
	s_delay_alu instid0(VALU_DEP_3)
	v_cvt_f64_f32_e32 v[23:24], v17
	s_mov_b64 s[0:1], 0
	global_store_b64 v[25:26], v[23:24], off
	s_cbranch_execz .LBB170_99
; %bb.97:
	v_dual_mov_b32 v17, s1 :: v_dual_mov_b32 v16, s0
	s_branch .LBB170_100
.LBB170_98:
                                        ; implicit-def: $sgpr0_sgpr1
.LBB170_99:
	v_add_co_u32 v23, vcc_lo, v21, v12
	v_add_co_ci_u32_e32 v24, vcc_lo, v22, v13, vcc_lo
	flat_load_b64 v[23:24], v[23:24]
	s_waitcnt vmcnt(0) lgkmcnt(0)
	v_mul_f64 v[23:24], v[23:24], s[10:11]
	s_delay_alu instid0(VALU_DEP_1)
	v_cvt_f32_f64_e32 v17, v[23:24]
	v_add_co_u32 v23, vcc_lo, v19, v12
	v_add_co_ci_u32_e32 v24, vcc_lo, v20, v13, vcc_lo
	v_add_co_u32 v21, vcc_lo, v21, v14
	v_add_co_ci_u32_e32 v22, vcc_lo, v22, v15, vcc_lo
	v_min_f32_e32 v16, v17, v16
	s_delay_alu instid0(VALU_DEP_1)
	v_cvt_f64_f32_e32 v[16:17], v16
	global_store_b64 v[23:24], v[16:17], off
	flat_load_b64 v[16:17], v[21:22]
	s_waitcnt vmcnt(0) lgkmcnt(0)
	v_mul_f64 v[16:17], v[16:17], s[10:11]
.LBB170_100:
	s_delay_alu instid0(VALU_DEP_1) | instskip(SKIP_4) | instid1(VALU_DEP_1)
	v_cvt_f32_f64_e32 v16, v[16:17]
	v_max_f32_e32 v17, v233, v233
	v_add_co_u32 v27, vcc_lo, v19, v14
	v_add_co_ci_u32_e32 v28, vcc_lo, v20, v15, vcc_lo
	v_add_nc_u32_e32 v25, 64, v18
	v_mad_i64_i32 v[21:22], null, v25, s3, 0
	s_delay_alu instid0(VALU_DEP_1) | instskip(SKIP_1) | instid1(VALU_DEP_1)
	v_lshlrev_b64 v[21:22], 3, v[21:22]
	v_min_f32_e32 v16, v16, v17
	v_cvt_f64_f32_e32 v[23:24], v16
	v_mad_i64_i32 v[16:17], null, v25, s4, 0
	s_delay_alu instid0(VALU_DEP_1) | instskip(SKIP_1) | instid1(VALU_DEP_2)
	v_lshlrev_b64 v[25:26], 3, v[16:17]
	v_max_f32_e32 v16, v236, v236
	v_add_co_u32 v19, vcc_lo, s5, v25
	s_delay_alu instid0(VALU_DEP_3)
	v_add_co_ci_u32_e32 v20, vcc_lo, s8, v26, vcc_lo
	v_add_co_u32 v21, vcc_lo, s6, v21
	v_add_co_ci_u32_e32 v22, vcc_lo, s7, v22, vcc_lo
	s_mov_b32 vcc_lo, s2
	global_store_b64 v[27:28], v[23:24], off
	s_cbranch_vccz .LBB170_103
; %bb.101:
	v_min_f32_e32 v17, 0, v16
	v_add_co_u32 v25, vcc_lo, v19, v0
	v_add_co_ci_u32_e32 v26, vcc_lo, v20, v1, vcc_lo
	s_delay_alu instid0(VALU_DEP_3)
	v_cvt_f64_f32_e32 v[23:24], v17
	s_mov_b64 s[0:1], 0
	global_store_b64 v[25:26], v[23:24], off
	s_cbranch_execz .LBB170_104
; %bb.102:
	v_dual_mov_b32 v17, s1 :: v_dual_mov_b32 v16, s0
	s_branch .LBB170_105
.LBB170_103:
                                        ; implicit-def: $sgpr0_sgpr1
.LBB170_104:
	v_add_co_u32 v23, vcc_lo, v21, v0
	v_add_co_ci_u32_e32 v24, vcc_lo, v22, v1, vcc_lo
	flat_load_b64 v[23:24], v[23:24]
	s_waitcnt vmcnt(0) lgkmcnt(0)
	v_mul_f64 v[23:24], v[23:24], s[10:11]
	s_delay_alu instid0(VALU_DEP_1)
	v_cvt_f32_f64_e32 v17, v[23:24]
	v_add_co_u32 v23, vcc_lo, v19, v0
	v_add_co_ci_u32_e32 v24, vcc_lo, v20, v1, vcc_lo
	v_add_co_u32 v25, vcc_lo, v21, v2
	v_add_co_ci_u32_e32 v26, vcc_lo, v22, v3, vcc_lo
	v_min_f32_e32 v16, v17, v16
	s_delay_alu instid0(VALU_DEP_1)
	v_cvt_f64_f32_e32 v[16:17], v16
	global_store_b64 v[23:24], v[16:17], off
	flat_load_b64 v[16:17], v[25:26]
	s_waitcnt vmcnt(0) lgkmcnt(0)
	v_mul_f64 v[16:17], v[16:17], s[10:11]
.LBB170_105:
	s_delay_alu instid0(VALU_DEP_1) | instskip(SKIP_4) | instid1(VALU_DEP_3)
	v_cvt_f32_f64_e32 v16, v[16:17]
	v_max_f32_e32 v17, v223, v223
	v_add_co_u32 v25, vcc_lo, v19, v2
	v_add_co_ci_u32_e32 v26, vcc_lo, v20, v3, vcc_lo
	s_mov_b32 vcc_lo, s2
	v_min_f32_e32 v16, v16, v17
	s_delay_alu instid0(VALU_DEP_1)
	v_cvt_f64_f32_e32 v[23:24], v16
	v_max_f32_e32 v16, v226, v226
	global_store_b64 v[25:26], v[23:24], off
	s_cbranch_vccz .LBB170_108
; %bb.106:
	v_min_f32_e32 v17, 0, v16
	v_add_co_u32 v25, vcc_lo, v19, v4
	v_add_co_ci_u32_e32 v26, vcc_lo, v20, v5, vcc_lo
	s_delay_alu instid0(VALU_DEP_3)
	v_cvt_f64_f32_e32 v[23:24], v17
	s_mov_b64 s[0:1], 0
	global_store_b64 v[25:26], v[23:24], off
	s_cbranch_execz .LBB170_109
; %bb.107:
	v_dual_mov_b32 v17, s1 :: v_dual_mov_b32 v16, s0
	s_branch .LBB170_110
.LBB170_108:
                                        ; implicit-def: $sgpr0_sgpr1
.LBB170_109:
	v_add_co_u32 v23, vcc_lo, v21, v4
	v_add_co_ci_u32_e32 v24, vcc_lo, v22, v5, vcc_lo
	flat_load_b64 v[23:24], v[23:24]
	s_waitcnt vmcnt(0) lgkmcnt(0)
	v_mul_f64 v[23:24], v[23:24], s[10:11]
	s_delay_alu instid0(VALU_DEP_1)
	v_cvt_f32_f64_e32 v17, v[23:24]
	v_add_co_u32 v23, vcc_lo, v19, v4
	v_add_co_ci_u32_e32 v24, vcc_lo, v20, v5, vcc_lo
	v_add_co_u32 v25, vcc_lo, v21, v6
	v_add_co_ci_u32_e32 v26, vcc_lo, v22, v7, vcc_lo
	v_min_f32_e32 v16, v17, v16
	s_delay_alu instid0(VALU_DEP_1)
	v_cvt_f64_f32_e32 v[16:17], v16
	global_store_b64 v[23:24], v[16:17], off
	flat_load_b64 v[16:17], v[25:26]
	s_waitcnt vmcnt(0) lgkmcnt(0)
	v_mul_f64 v[16:17], v[16:17], s[10:11]
.LBB170_110:
	s_delay_alu instid0(VALU_DEP_1) | instskip(SKIP_4) | instid1(VALU_DEP_3)
	v_cvt_f32_f64_e32 v16, v[16:17]
	v_max_f32_e32 v17, v237, v237
	v_add_co_u32 v25, vcc_lo, v19, v6
	v_add_co_ci_u32_e32 v26, vcc_lo, v20, v7, vcc_lo
	s_mov_b32 vcc_lo, s2
	v_min_f32_e32 v16, v16, v17
	s_delay_alu instid0(VALU_DEP_1)
	v_cvt_f64_f32_e32 v[23:24], v16
	v_max_f32_e32 v16, v240, v240
	;; [unrolled: 46-line block ×3, first 2 shown]
	global_store_b64 v[25:26], v[23:24], off
	s_cbranch_vccz .LBB170_118
; %bb.116:
	v_min_f32_e32 v17, 0, v16
	v_add_co_u32 v25, vcc_lo, v19, v12
	v_add_co_ci_u32_e32 v26, vcc_lo, v20, v13, vcc_lo
	s_delay_alu instid0(VALU_DEP_3)
	v_cvt_f64_f32_e32 v[23:24], v17
	s_mov_b64 s[0:1], 0
	global_store_b64 v[25:26], v[23:24], off
	s_cbranch_execz .LBB170_119
; %bb.117:
	v_dual_mov_b32 v17, s1 :: v_dual_mov_b32 v16, s0
	s_branch .LBB170_120
.LBB170_118:
                                        ; implicit-def: $sgpr0_sgpr1
.LBB170_119:
	v_add_co_u32 v23, vcc_lo, v21, v12
	v_add_co_ci_u32_e32 v24, vcc_lo, v22, v13, vcc_lo
	flat_load_b64 v[23:24], v[23:24]
	s_waitcnt vmcnt(0) lgkmcnt(0)
	v_mul_f64 v[23:24], v[23:24], s[10:11]
	s_delay_alu instid0(VALU_DEP_1)
	v_cvt_f32_f64_e32 v17, v[23:24]
	v_add_co_u32 v23, vcc_lo, v19, v12
	v_add_co_ci_u32_e32 v24, vcc_lo, v20, v13, vcc_lo
	v_add_co_u32 v21, vcc_lo, v21, v14
	v_add_co_ci_u32_e32 v22, vcc_lo, v22, v15, vcc_lo
	v_min_f32_e32 v16, v17, v16
	s_delay_alu instid0(VALU_DEP_1)
	v_cvt_f64_f32_e32 v[16:17], v16
	global_store_b64 v[23:24], v[16:17], off
	flat_load_b64 v[16:17], v[21:22]
	s_waitcnt vmcnt(0) lgkmcnt(0)
	v_mul_f64 v[16:17], v[16:17], s[10:11]
.LBB170_120:
	s_delay_alu instid0(VALU_DEP_1) | instskip(SKIP_4) | instid1(VALU_DEP_1)
	v_cvt_f32_f64_e32 v16, v[16:17]
	v_max_f32_e32 v17, v241, v241
	v_add_co_u32 v27, vcc_lo, v19, v14
	v_add_co_ci_u32_e32 v28, vcc_lo, v20, v15, vcc_lo
	v_add_nc_u32_e32 v25, 0x60, v18
	v_mad_i64_i32 v[21:22], null, v25, s3, 0
	s_delay_alu instid0(VALU_DEP_1) | instskip(SKIP_1) | instid1(VALU_DEP_1)
	v_lshlrev_b64 v[21:22], 3, v[21:22]
	v_min_f32_e32 v16, v16, v17
	v_cvt_f64_f32_e32 v[23:24], v16
	v_mad_i64_i32 v[16:17], null, v25, s4, 0
	s_delay_alu instid0(VALU_DEP_1) | instskip(SKIP_1) | instid1(VALU_DEP_2)
	v_lshlrev_b64 v[25:26], 3, v[16:17]
	v_max_f32_e32 v16, v78, v78
	v_add_co_u32 v19, vcc_lo, s5, v25
	s_delay_alu instid0(VALU_DEP_3)
	v_add_co_ci_u32_e32 v20, vcc_lo, s8, v26, vcc_lo
	v_add_co_u32 v21, vcc_lo, s6, v21
	v_add_co_ci_u32_e32 v22, vcc_lo, s7, v22, vcc_lo
	s_mov_b32 vcc_lo, s2
	global_store_b64 v[27:28], v[23:24], off
	s_cbranch_vccz .LBB170_123
; %bb.121:
	v_min_f32_e32 v17, 0, v16
	v_add_co_u32 v25, vcc_lo, v19, v0
	v_add_co_ci_u32_e32 v26, vcc_lo, v20, v1, vcc_lo
	s_delay_alu instid0(VALU_DEP_3)
	v_cvt_f64_f32_e32 v[23:24], v17
	s_mov_b64 s[0:1], 0
	global_store_b64 v[25:26], v[23:24], off
	s_cbranch_execz .LBB170_124
; %bb.122:
	v_dual_mov_b32 v17, s1 :: v_dual_mov_b32 v16, s0
	s_branch .LBB170_125
.LBB170_123:
                                        ; implicit-def: $sgpr0_sgpr1
.LBB170_124:
	v_add_co_u32 v23, vcc_lo, v21, v0
	v_add_co_ci_u32_e32 v24, vcc_lo, v22, v1, vcc_lo
	flat_load_b64 v[23:24], v[23:24]
	s_waitcnt vmcnt(0) lgkmcnt(0)
	v_mul_f64 v[23:24], v[23:24], s[10:11]
	s_delay_alu instid0(VALU_DEP_1)
	v_cvt_f32_f64_e32 v17, v[23:24]
	v_add_co_u32 v23, vcc_lo, v19, v0
	v_add_co_ci_u32_e32 v24, vcc_lo, v20, v1, vcc_lo
	v_add_co_u32 v25, vcc_lo, v21, v2
	v_add_co_ci_u32_e32 v26, vcc_lo, v22, v3, vcc_lo
	v_min_f32_e32 v16, v17, v16
	s_delay_alu instid0(VALU_DEP_1)
	v_cvt_f64_f32_e32 v[16:17], v16
	global_store_b64 v[23:24], v[16:17], off
	flat_load_b64 v[16:17], v[25:26]
	s_waitcnt vmcnt(0) lgkmcnt(0)
	v_mul_f64 v[16:17], v[16:17], s[10:11]
.LBB170_125:
	s_delay_alu instid0(VALU_DEP_1) | instskip(SKIP_4) | instid1(VALU_DEP_3)
	v_cvt_f32_f64_e32 v16, v[16:17]
	v_max_f32_e32 v17, v231, v231
	v_add_co_u32 v25, vcc_lo, v19, v2
	v_add_co_ci_u32_e32 v26, vcc_lo, v20, v3, vcc_lo
	s_mov_b32 vcc_lo, s2
	v_min_f32_e32 v16, v16, v17
	s_delay_alu instid0(VALU_DEP_1)
	v_cvt_f64_f32_e32 v[23:24], v16
	v_max_f32_e32 v16, v119, v119
	global_store_b64 v[25:26], v[23:24], off
	s_cbranch_vccz .LBB170_128
; %bb.126:
	v_min_f32_e32 v17, 0, v16
	v_add_co_u32 v25, vcc_lo, v19, v4
	v_add_co_ci_u32_e32 v26, vcc_lo, v20, v5, vcc_lo
	s_delay_alu instid0(VALU_DEP_3)
	v_cvt_f64_f32_e32 v[23:24], v17
	s_mov_b64 s[0:1], 0
	global_store_b64 v[25:26], v[23:24], off
	s_cbranch_execz .LBB170_129
; %bb.127:
	v_dual_mov_b32 v17, s1 :: v_dual_mov_b32 v16, s0
	s_branch .LBB170_130
.LBB170_128:
                                        ; implicit-def: $sgpr0_sgpr1
.LBB170_129:
	v_add_co_u32 v23, vcc_lo, v21, v4
	v_add_co_ci_u32_e32 v24, vcc_lo, v22, v5, vcc_lo
	flat_load_b64 v[23:24], v[23:24]
	s_waitcnt vmcnt(0) lgkmcnt(0)
	v_mul_f64 v[23:24], v[23:24], s[10:11]
	s_delay_alu instid0(VALU_DEP_1)
	v_cvt_f32_f64_e32 v17, v[23:24]
	v_add_co_u32 v23, vcc_lo, v19, v4
	v_add_co_ci_u32_e32 v24, vcc_lo, v20, v5, vcc_lo
	v_add_co_u32 v25, vcc_lo, v21, v6
	v_add_co_ci_u32_e32 v26, vcc_lo, v22, v7, vcc_lo
	v_min_f32_e32 v16, v17, v16
	s_delay_alu instid0(VALU_DEP_1)
	v_cvt_f64_f32_e32 v[16:17], v16
	global_store_b64 v[23:24], v[16:17], off
	flat_load_b64 v[16:17], v[25:26]
	s_waitcnt vmcnt(0) lgkmcnt(0)
	v_mul_f64 v[16:17], v[16:17], s[10:11]
.LBB170_130:
	s_delay_alu instid0(VALU_DEP_1) | instskip(SKIP_4) | instid1(VALU_DEP_3)
	v_cvt_f32_f64_e32 v16, v[16:17]
	v_max_f32_e32 v17, v79, v79
	v_add_co_u32 v25, vcc_lo, v19, v6
	v_add_co_ci_u32_e32 v26, vcc_lo, v20, v7, vcc_lo
	s_mov_b32 vcc_lo, s2
	v_min_f32_e32 v16, v16, v17
	s_delay_alu instid0(VALU_DEP_1)
	v_cvt_f64_f32_e32 v[23:24], v16
	v_max_f32_e32 v16, v242, v242
	;; [unrolled: 46-line block ×3, first 2 shown]
	global_store_b64 v[25:26], v[23:24], off
	s_cbranch_vccz .LBB170_138
; %bb.136:
	v_min_f32_e32 v17, 0, v16
	v_add_co_u32 v25, vcc_lo, v19, v12
	v_add_co_ci_u32_e32 v26, vcc_lo, v20, v13, vcc_lo
	s_delay_alu instid0(VALU_DEP_3)
	v_cvt_f64_f32_e32 v[23:24], v17
	s_mov_b64 s[0:1], 0
	global_store_b64 v[25:26], v[23:24], off
	s_cbranch_execz .LBB170_139
; %bb.137:
	v_dual_mov_b32 v17, s1 :: v_dual_mov_b32 v16, s0
	s_branch .LBB170_140
.LBB170_138:
                                        ; implicit-def: $sgpr0_sgpr1
.LBB170_139:
	v_add_co_u32 v23, vcc_lo, v21, v12
	v_add_co_ci_u32_e32 v24, vcc_lo, v22, v13, vcc_lo
	flat_load_b64 v[23:24], v[23:24]
	s_waitcnt vmcnt(0) lgkmcnt(0)
	v_mul_f64 v[23:24], v[23:24], s[10:11]
	s_delay_alu instid0(VALU_DEP_1)
	v_cvt_f32_f64_e32 v17, v[23:24]
	v_add_co_u32 v23, vcc_lo, v19, v12
	v_add_co_ci_u32_e32 v24, vcc_lo, v20, v13, vcc_lo
	v_add_co_u32 v21, vcc_lo, v21, v14
	v_add_co_ci_u32_e32 v22, vcc_lo, v22, v15, vcc_lo
	v_min_f32_e32 v16, v17, v16
	s_delay_alu instid0(VALU_DEP_1)
	v_cvt_f64_f32_e32 v[16:17], v16
	global_store_b64 v[23:24], v[16:17], off
	flat_load_b64 v[16:17], v[21:22]
	s_waitcnt vmcnt(0) lgkmcnt(0)
	v_mul_f64 v[16:17], v[16:17], s[10:11]
.LBB170_140:
	s_delay_alu instid0(VALU_DEP_1) | instskip(SKIP_4) | instid1(VALU_DEP_1)
	v_cvt_f32_f64_e32 v16, v[16:17]
	v_max_f32_e32 v17, v36, v36
	v_add_co_u32 v27, vcc_lo, v19, v14
	v_add_co_ci_u32_e32 v28, vcc_lo, v20, v15, vcc_lo
	v_add_nc_u32_e32 v25, 0x80, v18
	v_mad_i64_i32 v[21:22], null, v25, s3, 0
	s_delay_alu instid0(VALU_DEP_1) | instskip(SKIP_1) | instid1(VALU_DEP_1)
	v_lshlrev_b64 v[21:22], 3, v[21:22]
	v_min_f32_e32 v16, v16, v17
	v_cvt_f64_f32_e32 v[23:24], v16
	v_mad_i64_i32 v[16:17], null, v25, s4, 0
	s_delay_alu instid0(VALU_DEP_1) | instskip(SKIP_1) | instid1(VALU_DEP_2)
	v_lshlrev_b64 v[25:26], 3, v[16:17]
	v_max_f32_e32 v16, v58, v58
	v_add_co_u32 v19, vcc_lo, s5, v25
	s_delay_alu instid0(VALU_DEP_3)
	v_add_co_ci_u32_e32 v20, vcc_lo, s8, v26, vcc_lo
	v_add_co_u32 v21, vcc_lo, s6, v21
	v_add_co_ci_u32_e32 v22, vcc_lo, s7, v22, vcc_lo
	s_mov_b32 vcc_lo, s2
	global_store_b64 v[27:28], v[23:24], off
	s_cbranch_vccz .LBB170_143
; %bb.141:
	v_min_f32_e32 v17, 0, v16
	v_add_co_u32 v25, vcc_lo, v19, v0
	v_add_co_ci_u32_e32 v26, vcc_lo, v20, v1, vcc_lo
	s_delay_alu instid0(VALU_DEP_3)
	v_cvt_f64_f32_e32 v[23:24], v17
	s_mov_b64 s[0:1], 0
	global_store_b64 v[25:26], v[23:24], off
	s_cbranch_execz .LBB170_144
; %bb.142:
	v_dual_mov_b32 v17, s1 :: v_dual_mov_b32 v16, s0
	s_branch .LBB170_145
.LBB170_143:
                                        ; implicit-def: $sgpr0_sgpr1
.LBB170_144:
	v_add_co_u32 v23, vcc_lo, v21, v0
	v_add_co_ci_u32_e32 v24, vcc_lo, v22, v1, vcc_lo
	flat_load_b64 v[23:24], v[23:24]
	s_waitcnt vmcnt(0) lgkmcnt(0)
	v_mul_f64 v[23:24], v[23:24], s[10:11]
	s_delay_alu instid0(VALU_DEP_1)
	v_cvt_f32_f64_e32 v17, v[23:24]
	v_add_co_u32 v23, vcc_lo, v19, v0
	v_add_co_ci_u32_e32 v24, vcc_lo, v20, v1, vcc_lo
	v_add_co_u32 v25, vcc_lo, v21, v2
	v_add_co_ci_u32_e32 v26, vcc_lo, v22, v3, vcc_lo
	v_min_f32_e32 v16, v17, v16
	s_delay_alu instid0(VALU_DEP_1)
	v_cvt_f64_f32_e32 v[16:17], v16
	global_store_b64 v[23:24], v[16:17], off
	flat_load_b64 v[16:17], v[25:26]
	s_waitcnt vmcnt(0) lgkmcnt(0)
	v_mul_f64 v[16:17], v[16:17], s[10:11]
.LBB170_145:
	s_delay_alu instid0(VALU_DEP_1) | instskip(SKIP_4) | instid1(VALU_DEP_3)
	v_cvt_f32_f64_e32 v16, v[16:17]
	v_max_f32_e32 v17, v34, v34
	v_add_co_u32 v25, vcc_lo, v19, v2
	v_add_co_ci_u32_e32 v26, vcc_lo, v20, v3, vcc_lo
	s_mov_b32 vcc_lo, s2
	v_min_f32_e32 v16, v16, v17
	s_delay_alu instid0(VALU_DEP_1)
	v_cvt_f64_f32_e32 v[23:24], v16
	v_max_f32_e32 v16, v56, v56
	global_store_b64 v[25:26], v[23:24], off
	s_cbranch_vccz .LBB170_148
; %bb.146:
	v_min_f32_e32 v17, 0, v16
	v_add_co_u32 v25, vcc_lo, v19, v4
	v_add_co_ci_u32_e32 v26, vcc_lo, v20, v5, vcc_lo
	s_delay_alu instid0(VALU_DEP_3)
	v_cvt_f64_f32_e32 v[23:24], v17
	s_mov_b64 s[0:1], 0
	global_store_b64 v[25:26], v[23:24], off
	s_cbranch_execz .LBB170_149
; %bb.147:
	v_dual_mov_b32 v17, s1 :: v_dual_mov_b32 v16, s0
	s_branch .LBB170_150
.LBB170_148:
                                        ; implicit-def: $sgpr0_sgpr1
.LBB170_149:
	v_add_co_u32 v23, vcc_lo, v21, v4
	v_add_co_ci_u32_e32 v24, vcc_lo, v22, v5, vcc_lo
	flat_load_b64 v[23:24], v[23:24]
	s_waitcnt vmcnt(0) lgkmcnt(0)
	v_mul_f64 v[23:24], v[23:24], s[10:11]
	s_delay_alu instid0(VALU_DEP_1)
	v_cvt_f32_f64_e32 v17, v[23:24]
	v_add_co_u32 v23, vcc_lo, v19, v4
	v_add_co_ci_u32_e32 v24, vcc_lo, v20, v5, vcc_lo
	v_add_co_u32 v25, vcc_lo, v21, v6
	v_add_co_ci_u32_e32 v26, vcc_lo, v22, v7, vcc_lo
	v_min_f32_e32 v16, v17, v16
	s_delay_alu instid0(VALU_DEP_1)
	v_cvt_f64_f32_e32 v[16:17], v16
	global_store_b64 v[23:24], v[16:17], off
	flat_load_b64 v[16:17], v[25:26]
	s_waitcnt vmcnt(0) lgkmcnt(0)
	v_mul_f64 v[16:17], v[16:17], s[10:11]
.LBB170_150:
	s_delay_alu instid0(VALU_DEP_1) | instskip(SKIP_4) | instid1(VALU_DEP_3)
	v_cvt_f32_f64_e32 v16, v[16:17]
	v_max_f32_e32 v17, v32, v32
	v_add_co_u32 v25, vcc_lo, v19, v6
	v_add_co_ci_u32_e32 v26, vcc_lo, v20, v7, vcc_lo
	s_mov_b32 vcc_lo, s2
	v_min_f32_e32 v16, v16, v17
	s_delay_alu instid0(VALU_DEP_1)
	v_cvt_f64_f32_e32 v[23:24], v16
	v_max_f32_e32 v16, v62, v62
	;; [unrolled: 46-line block ×3, first 2 shown]
	global_store_b64 v[25:26], v[23:24], off
	s_cbranch_vccz .LBB170_158
; %bb.156:
	v_min_f32_e32 v17, 0, v16
	v_add_co_u32 v25, vcc_lo, v19, v12
	v_add_co_ci_u32_e32 v26, vcc_lo, v20, v13, vcc_lo
	s_delay_alu instid0(VALU_DEP_3)
	v_cvt_f64_f32_e32 v[23:24], v17
	s_mov_b64 s[0:1], 0
	global_store_b64 v[25:26], v[23:24], off
	s_cbranch_execz .LBB170_159
; %bb.157:
	v_dual_mov_b32 v17, s1 :: v_dual_mov_b32 v16, s0
	s_branch .LBB170_160
.LBB170_158:
                                        ; implicit-def: $sgpr0_sgpr1
.LBB170_159:
	v_add_co_u32 v23, vcc_lo, v21, v12
	v_add_co_ci_u32_e32 v24, vcc_lo, v22, v13, vcc_lo
	flat_load_b64 v[23:24], v[23:24]
	s_waitcnt vmcnt(0) lgkmcnt(0)
	v_mul_f64 v[23:24], v[23:24], s[10:11]
	s_delay_alu instid0(VALU_DEP_1)
	v_cvt_f32_f64_e32 v17, v[23:24]
	v_add_co_u32 v23, vcc_lo, v19, v12
	v_add_co_ci_u32_e32 v24, vcc_lo, v20, v13, vcc_lo
	v_add_co_u32 v21, vcc_lo, v21, v14
	v_add_co_ci_u32_e32 v22, vcc_lo, v22, v15, vcc_lo
	v_min_f32_e32 v16, v17, v16
	s_delay_alu instid0(VALU_DEP_1)
	v_cvt_f64_f32_e32 v[16:17], v16
	global_store_b64 v[23:24], v[16:17], off
	flat_load_b64 v[16:17], v[21:22]
	s_waitcnt vmcnt(0) lgkmcnt(0)
	v_mul_f64 v[16:17], v[16:17], s[10:11]
.LBB170_160:
	s_delay_alu instid0(VALU_DEP_1) | instskip(SKIP_4) | instid1(VALU_DEP_1)
	v_cvt_f32_f64_e32 v16, v[16:17]
	v_max_f32_e32 v17, v229, v229
	v_add_co_u32 v27, vcc_lo, v19, v14
	v_add_co_ci_u32_e32 v28, vcc_lo, v20, v15, vcc_lo
	v_add_nc_u32_e32 v25, 0xa0, v18
	v_mad_i64_i32 v[21:22], null, v25, s3, 0
	s_delay_alu instid0(VALU_DEP_1) | instskip(SKIP_1) | instid1(VALU_DEP_1)
	v_lshlrev_b64 v[21:22], 3, v[21:22]
	v_min_f32_e32 v16, v16, v17
	v_cvt_f64_f32_e32 v[23:24], v16
	v_mad_i64_i32 v[16:17], null, v25, s4, 0
	s_delay_alu instid0(VALU_DEP_1) | instskip(SKIP_1) | instid1(VALU_DEP_2)
	v_lshlrev_b64 v[25:26], 3, v[16:17]
	v_max_f32_e32 v16, v105, v105
	v_add_co_u32 v19, vcc_lo, s5, v25
	s_delay_alu instid0(VALU_DEP_3)
	v_add_co_ci_u32_e32 v20, vcc_lo, s8, v26, vcc_lo
	v_add_co_u32 v21, vcc_lo, s6, v21
	v_add_co_ci_u32_e32 v22, vcc_lo, s7, v22, vcc_lo
	s_mov_b32 vcc_lo, s2
	global_store_b64 v[27:28], v[23:24], off
	s_cbranch_vccz .LBB170_163
; %bb.161:
	v_min_f32_e32 v17, 0, v16
	v_add_co_u32 v25, vcc_lo, v19, v0
	v_add_co_ci_u32_e32 v26, vcc_lo, v20, v1, vcc_lo
	s_delay_alu instid0(VALU_DEP_3)
	v_cvt_f64_f32_e32 v[23:24], v17
	s_mov_b64 s[0:1], 0
	global_store_b64 v[25:26], v[23:24], off
	s_cbranch_execz .LBB170_164
; %bb.162:
	v_dual_mov_b32 v17, s1 :: v_dual_mov_b32 v16, s0
	s_branch .LBB170_165
.LBB170_163:
                                        ; implicit-def: $sgpr0_sgpr1
.LBB170_164:
	v_add_co_u32 v23, vcc_lo, v21, v0
	v_add_co_ci_u32_e32 v24, vcc_lo, v22, v1, vcc_lo
	flat_load_b64 v[23:24], v[23:24]
	s_waitcnt vmcnt(0) lgkmcnt(0)
	v_mul_f64 v[23:24], v[23:24], s[10:11]
	s_delay_alu instid0(VALU_DEP_1)
	v_cvt_f32_f64_e32 v17, v[23:24]
	v_add_co_u32 v23, vcc_lo, v19, v0
	v_add_co_ci_u32_e32 v24, vcc_lo, v20, v1, vcc_lo
	v_add_co_u32 v25, vcc_lo, v21, v2
	v_add_co_ci_u32_e32 v26, vcc_lo, v22, v3, vcc_lo
	v_min_f32_e32 v16, v17, v16
	s_delay_alu instid0(VALU_DEP_1)
	v_cvt_f64_f32_e32 v[16:17], v16
	global_store_b64 v[23:24], v[16:17], off
	flat_load_b64 v[16:17], v[25:26]
	s_waitcnt vmcnt(0) lgkmcnt(0)
	v_mul_f64 v[16:17], v[16:17], s[10:11]
.LBB170_165:
	s_delay_alu instid0(VALU_DEP_1) | instskip(SKIP_4) | instid1(VALU_DEP_3)
	v_cvt_f32_f64_e32 v16, v[16:17]
	v_max_f32_e32 v17, v60, v60
	v_add_co_u32 v25, vcc_lo, v19, v2
	v_add_co_ci_u32_e32 v26, vcc_lo, v20, v3, vcc_lo
	s_mov_b32 vcc_lo, s2
	v_min_f32_e32 v16, v16, v17
	s_delay_alu instid0(VALU_DEP_1)
	v_cvt_f64_f32_e32 v[23:24], v16
	v_max_f32_e32 v16, v29, v29
	global_store_b64 v[25:26], v[23:24], off
	s_cbranch_vccz .LBB170_168
; %bb.166:
	v_min_f32_e32 v17, 0, v16
	v_add_co_u32 v25, vcc_lo, v19, v4
	v_add_co_ci_u32_e32 v26, vcc_lo, v20, v5, vcc_lo
	s_delay_alu instid0(VALU_DEP_3)
	v_cvt_f64_f32_e32 v[23:24], v17
	s_mov_b32 s0, 0
	global_store_b64 v[25:26], v[23:24], off
	s_cbranch_execz .LBB170_169
; %bb.167:
	v_mov_b32_e32 v16, s0
	s_branch .LBB170_170
.LBB170_168:
	s_mov_b32 s0, -1
.LBB170_169:
	v_add_co_u32 v23, vcc_lo, v21, v4
	v_add_co_ci_u32_e32 v24, vcc_lo, v22, v5, vcc_lo
	flat_load_b64 v[23:24], v[23:24]
	s_waitcnt vmcnt(0) lgkmcnt(0)
	v_mul_f64 v[23:24], v[23:24], s[10:11]
	s_delay_alu instid0(VALU_DEP_1)
	v_cvt_f32_f64_e32 v17, v[23:24]
	v_add_co_u32 v23, vcc_lo, v19, v4
	v_add_co_ci_u32_e32 v24, vcc_lo, v20, v5, vcc_lo
	v_add_co_u32 v25, vcc_lo, v21, v6
	v_add_co_ci_u32_e32 v26, vcc_lo, v22, v7, vcc_lo
	v_min_f32_e32 v16, v17, v16
	s_delay_alu instid0(VALU_DEP_1) | instskip(SKIP_4) | instid1(VALU_DEP_1)
	v_cvt_f64_f32_e32 v[16:17], v16
	global_store_b64 v[23:24], v[16:17], off
	flat_load_b64 v[16:17], v[25:26]
	s_waitcnt vmcnt(0) lgkmcnt(0)
	v_mul_f64 v[16:17], v[16:17], s[10:11]
	v_cvt_f32_f64_e32 v16, v[16:17]
.LBB170_170:
	s_delay_alu instid0(VALU_DEP_1) | instskip(SKIP_2) | instid1(VALU_DEP_3)
	v_dual_max_f32 v17, v190, v190 :: v_dual_max_f32 v16, v16, v16
	v_add_co_u32 v25, vcc_lo, v19, v6
	v_add_co_ci_u32_e32 v26, vcc_lo, v20, v7, vcc_lo
	v_min_f32_e32 v16, v16, v17
	s_mov_b32 vcc_lo, s2
	s_delay_alu instid0(VALU_DEP_1)
	v_cvt_f64_f32_e32 v[23:24], v16
	v_max_f32_e32 v16, v222, v222
	global_store_b64 v[25:26], v[23:24], off
	s_cbranch_vccz .LBB170_173
; %bb.171:
	v_min_f32_e32 v17, 0, v16
	v_add_co_u32 v25, vcc_lo, v19, v8
	v_add_co_ci_u32_e32 v26, vcc_lo, v20, v9, vcc_lo
	s_delay_alu instid0(VALU_DEP_3)
	v_cvt_f64_f32_e32 v[23:24], v17
	s_mov_b32 s0, 0
	global_store_b64 v[25:26], v[23:24], off
	s_cbranch_execz .LBB170_174
; %bb.172:
	v_mov_b32_e32 v16, s0
	s_branch .LBB170_175
.LBB170_173:
	s_mov_b32 s0, -1
.LBB170_174:
	v_add_co_u32 v23, vcc_lo, v21, v8
	v_add_co_ci_u32_e32 v24, vcc_lo, v22, v9, vcc_lo
	flat_load_b64 v[23:24], v[23:24]
	s_waitcnt vmcnt(0) lgkmcnt(0)
	v_mul_f64 v[23:24], v[23:24], s[10:11]
	s_delay_alu instid0(VALU_DEP_1)
	v_cvt_f32_f64_e32 v17, v[23:24]
	v_add_co_u32 v23, vcc_lo, v19, v8
	v_add_co_ci_u32_e32 v24, vcc_lo, v20, v9, vcc_lo
	v_add_co_u32 v25, vcc_lo, v21, v10
	v_add_co_ci_u32_e32 v26, vcc_lo, v22, v11, vcc_lo
	v_min_f32_e32 v16, v17, v16
	s_delay_alu instid0(VALU_DEP_1) | instskip(SKIP_4) | instid1(VALU_DEP_1)
	v_cvt_f64_f32_e32 v[16:17], v16
	global_store_b64 v[23:24], v[16:17], off
	flat_load_b64 v[16:17], v[25:26]
	s_waitcnt vmcnt(0) lgkmcnt(0)
	v_mul_f64 v[16:17], v[16:17], s[10:11]
	v_cvt_f32_f64_e32 v16, v[16:17]
.LBB170_175:
	s_delay_alu instid0(VALU_DEP_1) | instskip(SKIP_2) | instid1(VALU_DEP_3)
	v_dual_max_f32 v17, v61, v61 :: v_dual_max_f32 v16, v16, v16
	v_add_co_u32 v25, vcc_lo, v19, v10
	v_add_co_ci_u32_e32 v26, vcc_lo, v20, v11, vcc_lo
	v_min_f32_e32 v16, v16, v17
	s_mov_b32 vcc_lo, s2
	s_delay_alu instid0(VALU_DEP_1)
	v_cvt_f64_f32_e32 v[23:24], v16
	v_max_f32_e32 v16, v247, v247
	global_store_b64 v[25:26], v[23:24], off
	s_cbranch_vccz .LBB170_178
; %bb.176:
	v_min_f32_e32 v17, 0, v16
	v_add_co_u32 v25, vcc_lo, v19, v12
	v_add_co_ci_u32_e32 v26, vcc_lo, v20, v13, vcc_lo
	s_delay_alu instid0(VALU_DEP_3)
	v_cvt_f64_f32_e32 v[23:24], v17
	s_mov_b32 s0, 0
	global_store_b64 v[25:26], v[23:24], off
	s_cbranch_execz .LBB170_179
; %bb.177:
	v_mov_b32_e32 v16, s0
	s_branch .LBB170_180
.LBB170_178:
	s_mov_b32 s0, -1
.LBB170_179:
	v_add_co_u32 v23, vcc_lo, v21, v12
	v_add_co_ci_u32_e32 v24, vcc_lo, v22, v13, vcc_lo
	flat_load_b64 v[23:24], v[23:24]
	s_waitcnt vmcnt(0) lgkmcnt(0)
	v_mul_f64 v[23:24], v[23:24], s[10:11]
	s_delay_alu instid0(VALU_DEP_1)
	v_cvt_f32_f64_e32 v17, v[23:24]
	v_add_co_u32 v23, vcc_lo, v19, v12
	v_add_co_ci_u32_e32 v24, vcc_lo, v20, v13, vcc_lo
	v_add_co_u32 v21, vcc_lo, v21, v14
	v_add_co_ci_u32_e32 v22, vcc_lo, v22, v15, vcc_lo
	v_min_f32_e32 v16, v17, v16
	s_delay_alu instid0(VALU_DEP_1) | instskip(SKIP_4) | instid1(VALU_DEP_1)
	v_cvt_f64_f32_e32 v[16:17], v16
	global_store_b64 v[23:24], v[16:17], off
	flat_load_b64 v[16:17], v[21:22]
	s_waitcnt vmcnt(0) lgkmcnt(0)
	v_mul_f64 v[16:17], v[16:17], s[10:11]
	v_cvt_f32_f64_e32 v16, v[16:17]
.LBB170_180:
	v_max_f32_e32 v17, v228, v228
	s_delay_alu instid0(VALU_DEP_2) | instskip(SKIP_2) | instid1(VALU_DEP_3)
	v_dual_max_f32 v16, v16, v16 :: v_dual_add_nc_u32 v21, 0xc0, v18
	v_add_co_u32 v26, vcc_lo, v19, v14
	v_add_co_ci_u32_e32 v27, vcc_lo, v20, v15, vcc_lo
	v_min_f32_e32 v16, v16, v17
	s_delay_alu instid0(VALU_DEP_4) | instskip(NEXT) | instid1(VALU_DEP_2)
	v_mad_i64_i32 v[24:25], null, v21, s3, 0
	v_cvt_f64_f32_e32 v[22:23], v16
	v_mad_i64_i32 v[16:17], null, v21, s4, 0
	v_max_f32_e32 v21, v55, v55
	s_delay_alu instid0(VALU_DEP_4) | instskip(NEXT) | instid1(VALU_DEP_3)
	v_lshlrev_b64 v[19:20], 3, v[24:25]
	v_lshlrev_b64 v[16:17], 3, v[16:17]
	s_delay_alu instid0(VALU_DEP_1) | instskip(NEXT) | instid1(VALU_DEP_2)
	v_add_co_u32 v16, vcc_lo, s5, v16
	v_add_co_ci_u32_e32 v17, vcc_lo, s8, v17, vcc_lo
	s_delay_alu instid0(VALU_DEP_4)
	v_add_co_u32 v19, vcc_lo, s6, v19
	v_add_co_ci_u32_e32 v20, vcc_lo, s7, v20, vcc_lo
	s_mov_b32 vcc_lo, s2
	global_store_b64 v[26:27], v[22:23], off
	s_cbranch_vccz .LBB170_183
; %bb.181:
	v_min_f32_e32 v22, 0, v21
	v_add_co_u32 v24, vcc_lo, v16, v0
	v_add_co_ci_u32_e32 v25, vcc_lo, v17, v1, vcc_lo
	s_delay_alu instid0(VALU_DEP_3)
	v_cvt_f64_f32_e32 v[22:23], v22
	s_mov_b32 s0, 0
	global_store_b64 v[24:25], v[22:23], off
	s_cbranch_execz .LBB170_184
; %bb.182:
	v_mov_b32_e32 v21, s0
	s_branch .LBB170_185
.LBB170_183:
	s_mov_b32 s0, -1
.LBB170_184:
	v_add_co_u32 v22, vcc_lo, v19, v0
	v_add_co_ci_u32_e32 v23, vcc_lo, v20, v1, vcc_lo
	flat_load_b64 v[22:23], v[22:23]
	s_waitcnt vmcnt(0) lgkmcnt(0)
	v_mul_f64 v[22:23], v[22:23], s[10:11]
	s_delay_alu instid0(VALU_DEP_1)
	v_cvt_f32_f64_e32 v22, v[22:23]
	v_add_co_u32 v23, vcc_lo, v16, v0
	v_add_co_ci_u32_e32 v24, vcc_lo, v17, v1, vcc_lo
	v_add_co_u32 v25, vcc_lo, v19, v2
	v_add_co_ci_u32_e32 v26, vcc_lo, v20, v3, vcc_lo
	v_min_f32_e32 v21, v22, v21
	s_delay_alu instid0(VALU_DEP_1) | instskip(SKIP_4) | instid1(VALU_DEP_1)
	v_cvt_f64_f32_e32 v[21:22], v21
	global_store_b64 v[23:24], v[21:22], off
	flat_load_b64 v[21:22], v[25:26]
	s_waitcnt vmcnt(0) lgkmcnt(0)
	v_mul_f64 v[21:22], v[21:22], s[10:11]
	v_cvt_f32_f64_e32 v21, v[21:22]
.LBB170_185:
	s_delay_alu instid0(VALU_DEP_1) | instskip(SKIP_2) | instid1(VALU_DEP_3)
	v_dual_max_f32 v22, v234, v234 :: v_dual_max_f32 v21, v21, v21
	v_add_co_u32 v24, vcc_lo, v16, v2
	v_add_co_ci_u32_e32 v25, vcc_lo, v17, v3, vcc_lo
	v_min_f32_e32 v21, v21, v22
	s_mov_b32 vcc_lo, s2
	s_delay_alu instid0(VALU_DEP_1)
	v_cvt_f64_f32_e32 v[22:23], v21
	v_max_f32_e32 v21, v136, v136
	global_store_b64 v[24:25], v[22:23], off
	s_cbranch_vccz .LBB170_188
; %bb.186:
	v_min_f32_e32 v22, 0, v21
	v_add_co_u32 v24, vcc_lo, v16, v4
	v_add_co_ci_u32_e32 v25, vcc_lo, v17, v5, vcc_lo
	s_delay_alu instid0(VALU_DEP_3)
	v_cvt_f64_f32_e32 v[22:23], v22
	s_mov_b32 s0, 0
	global_store_b64 v[24:25], v[22:23], off
	s_cbranch_execz .LBB170_189
; %bb.187:
	v_mov_b32_e32 v21, s0
	s_branch .LBB170_190
.LBB170_188:
	s_mov_b32 s0, -1
.LBB170_189:
	v_add_co_u32 v22, vcc_lo, v19, v4
	v_add_co_ci_u32_e32 v23, vcc_lo, v20, v5, vcc_lo
	flat_load_b64 v[22:23], v[22:23]
	s_waitcnt vmcnt(0) lgkmcnt(0)
	v_mul_f64 v[22:23], v[22:23], s[10:11]
	s_delay_alu instid0(VALU_DEP_1)
	v_cvt_f32_f64_e32 v22, v[22:23]
	v_add_co_u32 v23, vcc_lo, v16, v4
	v_add_co_ci_u32_e32 v24, vcc_lo, v17, v5, vcc_lo
	v_add_co_u32 v25, vcc_lo, v19, v6
	v_add_co_ci_u32_e32 v26, vcc_lo, v20, v7, vcc_lo
	v_min_f32_e32 v21, v22, v21
	s_delay_alu instid0(VALU_DEP_1) | instskip(SKIP_4) | instid1(VALU_DEP_1)
	v_cvt_f64_f32_e32 v[21:22], v21
	global_store_b64 v[23:24], v[21:22], off
	flat_load_b64 v[21:22], v[25:26]
	s_waitcnt vmcnt(0) lgkmcnt(0)
	v_mul_f64 v[21:22], v[21:22], s[10:11]
	v_cvt_f32_f64_e32 v21, v[21:22]
.LBB170_190:
	s_delay_alu instid0(VALU_DEP_1) | instskip(SKIP_2) | instid1(VALU_DEP_3)
	v_dual_max_f32 v22, v135, v135 :: v_dual_max_f32 v21, v21, v21
	v_add_co_u32 v24, vcc_lo, v16, v6
	v_add_co_ci_u32_e32 v25, vcc_lo, v17, v7, vcc_lo
	v_min_f32_e32 v21, v21, v22
	s_mov_b32 vcc_lo, s2
	s_delay_alu instid0(VALU_DEP_1)
	v_cvt_f64_f32_e32 v[22:23], v21
	v_max_f32_e32 v21, v218, v218
	;; [unrolled: 46-line block ×3, first 2 shown]
	global_store_b64 v[24:25], v[22:23], off
	s_cbranch_vccz .LBB170_198
; %bb.196:
	v_min_f32_e32 v22, 0, v21
	v_add_co_u32 v24, vcc_lo, v16, v12
	v_add_co_ci_u32_e32 v25, vcc_lo, v17, v13, vcc_lo
	s_delay_alu instid0(VALU_DEP_3)
	v_cvt_f64_f32_e32 v[22:23], v22
	s_mov_b32 s0, 0
	global_store_b64 v[24:25], v[22:23], off
	s_cbranch_execz .LBB170_199
; %bb.197:
	v_mov_b32_e32 v19, s0
	s_branch .LBB170_200
.LBB170_198:
	s_mov_b32 s0, -1
.LBB170_199:
	v_add_co_u32 v22, vcc_lo, v19, v12
	v_add_co_ci_u32_e32 v23, vcc_lo, v20, v13, vcc_lo
	flat_load_b64 v[22:23], v[22:23]
	s_waitcnt vmcnt(0) lgkmcnt(0)
	v_mul_f64 v[22:23], v[22:23], s[10:11]
	s_delay_alu instid0(VALU_DEP_1)
	v_cvt_f32_f64_e32 v22, v[22:23]
	v_add_co_u32 v23, vcc_lo, v16, v12
	v_add_co_ci_u32_e32 v24, vcc_lo, v17, v13, vcc_lo
	v_add_co_u32 v19, vcc_lo, v19, v14
	v_add_co_ci_u32_e32 v20, vcc_lo, v20, v15, vcc_lo
	v_min_f32_e32 v21, v22, v21
	s_delay_alu instid0(VALU_DEP_1) | instskip(SKIP_4) | instid1(VALU_DEP_1)
	v_cvt_f64_f32_e32 v[21:22], v21
	global_store_b64 v[23:24], v[21:22], off
	flat_load_b64 v[19:20], v[19:20]
	s_waitcnt vmcnt(0) lgkmcnt(0)
	v_mul_f64 v[19:20], v[19:20], s[10:11]
	v_cvt_f32_f64_e32 v19, v[19:20]
.LBB170_200:
	s_delay_alu instid0(VALU_DEP_1) | instskip(SKIP_2) | instid1(VALU_DEP_3)
	v_dual_max_f32 v20, v128, v128 :: v_dual_max_f32 v19, v19, v19
	v_add_co_u32 v25, vcc_lo, v16, v14
	v_add_co_ci_u32_e32 v26, vcc_lo, v17, v15, vcc_lo
	v_dual_min_f32 v19, v19, v20 :: v_dual_add_nc_u32 v20, 0xe0, v18
	s_delay_alu instid0(VALU_DEP_1) | instskip(NEXT) | instid1(VALU_DEP_2)
	v_cvt_f64_f32_e32 v[21:22], v19
	v_mad_i64_i32 v[18:19], null, v20, s4, 0
	v_mad_i64_i32 v[23:24], null, v20, s3, 0
	v_max_f32_e32 v20, v129, v129
	s_delay_alu instid0(VALU_DEP_3) | instskip(NEXT) | instid1(VALU_DEP_3)
	v_lshlrev_b64 v[18:19], 3, v[18:19]
	v_lshlrev_b64 v[23:24], 3, v[23:24]
	s_delay_alu instid0(VALU_DEP_2) | instskip(NEXT) | instid1(VALU_DEP_3)
	v_add_co_u32 v16, vcc_lo, s5, v18
	v_add_co_ci_u32_e32 v17, vcc_lo, s8, v19, vcc_lo
	s_delay_alu instid0(VALU_DEP_3) | instskip(NEXT) | instid1(VALU_DEP_4)
	v_add_co_u32 v18, vcc_lo, s6, v23
	v_add_co_ci_u32_e32 v19, vcc_lo, s7, v24, vcc_lo
	s_mov_b32 vcc_lo, s2
	global_store_b64 v[25:26], v[21:22], off
	s_cbranch_vccz .LBB170_203
; %bb.201:
	v_min_f32_e32 v21, 0, v20
	v_add_co_u32 v23, vcc_lo, v16, v0
	v_add_co_ci_u32_e32 v24, vcc_lo, v17, v1, vcc_lo
	s_delay_alu instid0(VALU_DEP_3)
	v_cvt_f64_f32_e32 v[21:22], v21
	s_mov_b32 s0, 0
	global_store_b64 v[23:24], v[21:22], off
	s_cbranch_execz .LBB170_204
; %bb.202:
	v_mov_b32_e32 v0, s0
	s_branch .LBB170_205
.LBB170_203:
	s_mov_b32 s0, -1
.LBB170_204:
	v_add_co_u32 v21, vcc_lo, v18, v0
	v_add_co_ci_u32_e32 v22, vcc_lo, v19, v1, vcc_lo
	v_add_co_u32 v0, vcc_lo, v16, v0
	v_add_co_ci_u32_e32 v1, vcc_lo, v17, v1, vcc_lo
	flat_load_b64 v[21:22], v[21:22]
	s_waitcnt vmcnt(0) lgkmcnt(0)
	v_mul_f64 v[21:22], v[21:22], s[10:11]
	s_delay_alu instid0(VALU_DEP_1) | instskip(SKIP_2) | instid1(VALU_DEP_3)
	v_cvt_f32_f64_e32 v21, v[21:22]
	v_add_co_u32 v22, vcc_lo, v18, v2
	v_add_co_ci_u32_e32 v23, vcc_lo, v19, v3, vcc_lo
	v_min_f32_e32 v20, v21, v20
	s_delay_alu instid0(VALU_DEP_1) | instskip(SKIP_4) | instid1(VALU_DEP_1)
	v_cvt_f64_f32_e32 v[20:21], v20
	global_store_b64 v[0:1], v[20:21], off
	flat_load_b64 v[0:1], v[22:23]
	s_waitcnt vmcnt(0) lgkmcnt(0)
	v_mul_f64 v[0:1], v[0:1], s[10:11]
	v_cvt_f32_f64_e32 v0, v[0:1]
.LBB170_205:
	v_max_f32_e32 v1, v124, v124
	s_delay_alu instid0(VALU_DEP_2) | instskip(NEXT) | instid1(VALU_DEP_1)
	v_max_f32_e32 v0, v0, v0
	v_min_f32_e32 v0, v0, v1
	v_add_co_u32 v1, vcc_lo, v16, v2
	v_add_co_ci_u32_e32 v2, vcc_lo, v17, v3, vcc_lo
	s_delay_alu instid0(VALU_DEP_3)
	v_cvt_f64_f32_e32 v[20:21], v0
	v_max_f32_e32 v0, v126, v126
	s_mov_b32 vcc_lo, s2
	global_store_b64 v[1:2], v[20:21], off
	s_cbranch_vccz .LBB170_208
; %bb.206:
	v_min_f32_e32 v1, 0, v0
	v_add_co_u32 v20, vcc_lo, v16, v4
	v_add_co_ci_u32_e32 v21, vcc_lo, v17, v5, vcc_lo
	s_delay_alu instid0(VALU_DEP_3)
	v_cvt_f64_f32_e32 v[1:2], v1
	s_mov_b32 s0, 0
	global_store_b64 v[20:21], v[1:2], off
	s_cbranch_execz .LBB170_209
; %bb.207:
	v_mov_b32_e32 v0, s0
	s_branch .LBB170_210
.LBB170_208:
	s_mov_b32 s0, -1
.LBB170_209:
	v_add_co_u32 v1, vcc_lo, v18, v4
	v_add_co_ci_u32_e32 v2, vcc_lo, v19, v5, vcc_lo
	flat_load_b64 v[1:2], v[1:2]
	s_waitcnt vmcnt(0) lgkmcnt(0)
	v_mul_f64 v[1:2], v[1:2], s[10:11]
	s_delay_alu instid0(VALU_DEP_1)
	v_cvt_f32_f64_e32 v1, v[1:2]
	v_add_co_u32 v2, vcc_lo, v16, v4
	v_add_co_ci_u32_e32 v3, vcc_lo, v17, v5, vcc_lo
	v_add_co_u32 v4, vcc_lo, v18, v6
	v_add_co_ci_u32_e32 v5, vcc_lo, v19, v7, vcc_lo
	v_min_f32_e32 v0, v1, v0
	s_delay_alu instid0(VALU_DEP_1) | instskip(SKIP_4) | instid1(VALU_DEP_1)
	v_cvt_f64_f32_e32 v[0:1], v0
	global_store_b64 v[2:3], v[0:1], off
	flat_load_b64 v[0:1], v[4:5]
	s_waitcnt vmcnt(0) lgkmcnt(0)
	v_mul_f64 v[0:1], v[0:1], s[10:11]
	v_cvt_f32_f64_e32 v0, v[0:1]
.LBB170_210:
	s_delay_alu instid0(VALU_DEP_1) | instskip(SKIP_2) | instid1(VALU_DEP_3)
	v_dual_max_f32 v1, v122, v122 :: v_dual_max_f32 v0, v0, v0
	v_add_co_u32 v3, vcc_lo, v16, v6
	v_add_co_ci_u32_e32 v4, vcc_lo, v17, v7, vcc_lo
	v_min_f32_e32 v0, v0, v1
	s_mov_b32 vcc_lo, s2
	s_delay_alu instid0(VALU_DEP_1)
	v_cvt_f64_f32_e32 v[1:2], v0
	v_max_f32_e32 v0, v118, v118
	global_store_b64 v[3:4], v[1:2], off
	s_cbranch_vccz .LBB170_213
; %bb.211:
	v_min_f32_e32 v1, 0, v0
	v_add_co_u32 v3, vcc_lo, v16, v8
	v_add_co_ci_u32_e32 v4, vcc_lo, v17, v9, vcc_lo
	s_delay_alu instid0(VALU_DEP_3)
	v_cvt_f64_f32_e32 v[1:2], v1
	s_mov_b32 s0, 0
	global_store_b64 v[3:4], v[1:2], off
	s_cbranch_execz .LBB170_214
; %bb.212:
	v_mov_b32_e32 v0, s0
	s_branch .LBB170_215
.LBB170_213:
	s_mov_b32 s0, -1
.LBB170_214:
	v_add_co_u32 v1, vcc_lo, v18, v8
	v_add_co_ci_u32_e32 v2, vcc_lo, v19, v9, vcc_lo
	flat_load_b64 v[1:2], v[1:2]
	s_waitcnt vmcnt(0) lgkmcnt(0)
	v_mul_f64 v[1:2], v[1:2], s[10:11]
	s_delay_alu instid0(VALU_DEP_1)
	v_cvt_f32_f64_e32 v1, v[1:2]
	v_add_co_u32 v2, vcc_lo, v16, v8
	v_add_co_ci_u32_e32 v3, vcc_lo, v17, v9, vcc_lo
	v_add_co_u32 v4, vcc_lo, v18, v10
	v_add_co_ci_u32_e32 v5, vcc_lo, v19, v11, vcc_lo
	v_min_f32_e32 v0, v1, v0
	s_delay_alu instid0(VALU_DEP_1) | instskip(SKIP_4) | instid1(VALU_DEP_1)
	v_cvt_f64_f32_e32 v[0:1], v0
	global_store_b64 v[2:3], v[0:1], off
	flat_load_b64 v[0:1], v[4:5]
	s_waitcnt vmcnt(0) lgkmcnt(0)
	v_mul_f64 v[0:1], v[0:1], s[10:11]
	v_cvt_f32_f64_e32 v0, v[0:1]
.LBB170_215:
	v_max_f32_e32 v1, v76, v76
	s_delay_alu instid0(VALU_DEP_2) | instskip(SKIP_2) | instid1(VALU_DEP_3)
	v_max_f32_e32 v0, v0, v0
	v_add_co_u32 v3, vcc_lo, v16, v10
	v_add_co_ci_u32_e32 v4, vcc_lo, v17, v11, vcc_lo
	v_min_f32_e32 v0, v0, v1
	s_mov_b32 vcc_lo, s2
	s_delay_alu instid0(VALU_DEP_1)
	v_cvt_f64_f32_e32 v[1:2], v0
	v_max_f32_e32 v0, v120, v120
	global_store_b64 v[3:4], v[1:2], off
	s_cbranch_vccz .LBB170_218
; %bb.216:
	v_min_f32_e32 v1, 0, v0
	v_add_co_u32 v3, vcc_lo, v16, v12
	v_add_co_ci_u32_e32 v4, vcc_lo, v17, v13, vcc_lo
	s_delay_alu instid0(VALU_DEP_3)
	v_cvt_f64_f32_e32 v[1:2], v1
	s_mov_b32 s0, 0
	global_store_b64 v[3:4], v[1:2], off
	s_cbranch_execz .LBB170_219
; %bb.217:
	v_mov_b32_e32 v0, s0
	s_branch .LBB170_220
.LBB170_218:
	s_mov_b32 s0, -1
.LBB170_219:
	v_add_co_u32 v1, vcc_lo, v18, v12
	v_add_co_ci_u32_e32 v2, vcc_lo, v19, v13, vcc_lo
	flat_load_b64 v[1:2], v[1:2]
	s_waitcnt vmcnt(0) lgkmcnt(0)
	v_mul_f64 v[1:2], v[1:2], s[10:11]
	s_delay_alu instid0(VALU_DEP_1)
	v_cvt_f32_f64_e32 v1, v[1:2]
	v_add_co_u32 v2, vcc_lo, v16, v12
	v_add_co_ci_u32_e32 v3, vcc_lo, v17, v13, vcc_lo
	v_add_co_u32 v4, vcc_lo, v18, v14
	v_add_co_ci_u32_e32 v5, vcc_lo, v19, v15, vcc_lo
	v_min_f32_e32 v0, v1, v0
	s_delay_alu instid0(VALU_DEP_1) | instskip(SKIP_4) | instid1(VALU_DEP_1)
	v_cvt_f64_f32_e32 v[0:1], v0
	global_store_b64 v[2:3], v[0:1], off
	flat_load_b64 v[0:1], v[4:5]
	s_waitcnt vmcnt(0) lgkmcnt(0)
	v_mul_f64 v[0:1], v[0:1], s[10:11]
	v_cvt_f32_f64_e32 v0, v[0:1]
.LBB170_220:
	s_delay_alu instid0(VALU_DEP_1) | instskip(SKIP_2) | instid1(VALU_DEP_3)
	v_dual_max_f32 v1, v113, v113 :: v_dual_max_f32 v0, v0, v0
	v_add_co_u32 v2, vcc_lo, v16, v14
	v_add_co_ci_u32_e32 v3, vcc_lo, v17, v15, vcc_lo
	v_min_f32_e32 v0, v0, v1
	s_delay_alu instid0(VALU_DEP_1)
	v_cvt_f64_f32_e32 v[0:1], v0
	global_store_b64 v[2:3], v[0:1], off
	s_endpgm
	.section	.rodata,"a",@progbits
	.p2align	6, 0x0
	.amdhsa_kernel _ZN12_GLOBAL__N_120geam_min_plus_kernelId15HIP_vector_typeIdLj2EEdLi8ELi32ELi64ELi256ELi4ELi64ELi4ELi64ELi4ELc78ELc84ELb0ELb0ELb1EdKddEEviiiT16_PT17_ilS6_ilS4_S6_ilPT18_ili26rocblas_geam_ex_operation_
		.amdhsa_group_segment_fixed_size 20480
		.amdhsa_private_segment_fixed_size 388
		.amdhsa_kernarg_size 136
		.amdhsa_user_sgpr_count 14
		.amdhsa_user_sgpr_dispatch_ptr 0
		.amdhsa_user_sgpr_queue_ptr 0
		.amdhsa_user_sgpr_kernarg_segment_ptr 1
		.amdhsa_user_sgpr_dispatch_id 0
		.amdhsa_user_sgpr_private_segment_size 0
		.amdhsa_wavefront_size32 1
		.amdhsa_uses_dynamic_stack 0
		.amdhsa_enable_private_segment 1
		.amdhsa_system_sgpr_workgroup_id_x 1
		.amdhsa_system_sgpr_workgroup_id_y 0
		.amdhsa_system_sgpr_workgroup_id_z 1
		.amdhsa_system_sgpr_workgroup_info 0
		.amdhsa_system_vgpr_workitem_id 1
		.amdhsa_next_free_vgpr 256
		.amdhsa_next_free_sgpr 27
		.amdhsa_reserve_vcc 1
		.amdhsa_float_round_mode_32 0
		.amdhsa_float_round_mode_16_64 0
		.amdhsa_float_denorm_mode_32 3
		.amdhsa_float_denorm_mode_16_64 3
		.amdhsa_dx10_clamp 1
		.amdhsa_ieee_mode 1
		.amdhsa_fp16_overflow 0
		.amdhsa_workgroup_processor_mode 1
		.amdhsa_memory_ordered 1
		.amdhsa_forward_progress 0
		.amdhsa_shared_vgpr_count 0
		.amdhsa_exception_fp_ieee_invalid_op 0
		.amdhsa_exception_fp_denorm_src 0
		.amdhsa_exception_fp_ieee_div_zero 0
		.amdhsa_exception_fp_ieee_overflow 0
		.amdhsa_exception_fp_ieee_underflow 0
		.amdhsa_exception_fp_ieee_inexact 0
		.amdhsa_exception_int_div_zero 0
	.end_amdhsa_kernel
	.section	.text._ZN12_GLOBAL__N_120geam_min_plus_kernelId15HIP_vector_typeIdLj2EEdLi8ELi32ELi64ELi256ELi4ELi64ELi4ELi64ELi4ELc78ELc84ELb0ELb0ELb1EdKddEEviiiT16_PT17_ilS6_ilS4_S6_ilPT18_ili26rocblas_geam_ex_operation_,"axG",@progbits,_ZN12_GLOBAL__N_120geam_min_plus_kernelId15HIP_vector_typeIdLj2EEdLi8ELi32ELi64ELi256ELi4ELi64ELi4ELi64ELi4ELc78ELc84ELb0ELb0ELb1EdKddEEviiiT16_PT17_ilS6_ilS4_S6_ilPT18_ili26rocblas_geam_ex_operation_,comdat
.Lfunc_end170:
	.size	_ZN12_GLOBAL__N_120geam_min_plus_kernelId15HIP_vector_typeIdLj2EEdLi8ELi32ELi64ELi256ELi4ELi64ELi4ELi64ELi4ELc78ELc84ELb0ELb0ELb1EdKddEEviiiT16_PT17_ilS6_ilS4_S6_ilPT18_ili26rocblas_geam_ex_operation_, .Lfunc_end170-_ZN12_GLOBAL__N_120geam_min_plus_kernelId15HIP_vector_typeIdLj2EEdLi8ELi32ELi64ELi256ELi4ELi64ELi4ELi64ELi4ELc78ELc84ELb0ELb0ELb1EdKddEEviiiT16_PT17_ilS6_ilS4_S6_ilPT18_ili26rocblas_geam_ex_operation_
                                        ; -- End function
	.section	.AMDGPU.csdata,"",@progbits
; Kernel info:
; codeLenInByte = 23920
; NumSgprs: 29
; NumVgprs: 256
; ScratchSize: 388
; MemoryBound: 1
; FloatMode: 240
; IeeeMode: 1
; LDSByteSize: 20480 bytes/workgroup (compile time only)
; SGPRBlocks: 3
; VGPRBlocks: 31
; NumSGPRsForWavesPerEU: 29
; NumVGPRsForWavesPerEU: 256
; Occupancy: 5
; WaveLimiterHint : 1
; COMPUTE_PGM_RSRC2:SCRATCH_EN: 1
; COMPUTE_PGM_RSRC2:USER_SGPR: 14
; COMPUTE_PGM_RSRC2:TRAP_HANDLER: 0
; COMPUTE_PGM_RSRC2:TGID_X_EN: 1
; COMPUTE_PGM_RSRC2:TGID_Y_EN: 0
; COMPUTE_PGM_RSRC2:TGID_Z_EN: 1
; COMPUTE_PGM_RSRC2:TIDIG_COMP_CNT: 1
	.section	.text._ZN12_GLOBAL__N_120geam_min_plus_kernelId15HIP_vector_typeIdLj2EEdLi8ELi32ELi64ELi256ELi4ELi64ELi4ELi64ELi4ELc78ELc84ELb0ELb1ELb1EPKdS3_dEEviiiT16_PT17_ilS7_ilS5_S7_ilPT18_ili26rocblas_geam_ex_operation_,"axG",@progbits,_ZN12_GLOBAL__N_120geam_min_plus_kernelId15HIP_vector_typeIdLj2EEdLi8ELi32ELi64ELi256ELi4ELi64ELi4ELi64ELi4ELc78ELc84ELb0ELb1ELb1EPKdS3_dEEviiiT16_PT17_ilS7_ilS5_S7_ilPT18_ili26rocblas_geam_ex_operation_,comdat
	.globl	_ZN12_GLOBAL__N_120geam_min_plus_kernelId15HIP_vector_typeIdLj2EEdLi8ELi32ELi64ELi256ELi4ELi64ELi4ELi64ELi4ELc78ELc84ELb0ELb1ELb1EPKdS3_dEEviiiT16_PT17_ilS7_ilS5_S7_ilPT18_ili26rocblas_geam_ex_operation_ ; -- Begin function _ZN12_GLOBAL__N_120geam_min_plus_kernelId15HIP_vector_typeIdLj2EEdLi8ELi32ELi64ELi256ELi4ELi64ELi4ELi64ELi4ELc78ELc84ELb0ELb1ELb1EPKdS3_dEEviiiT16_PT17_ilS7_ilS5_S7_ilPT18_ili26rocblas_geam_ex_operation_
	.p2align	8
	.type	_ZN12_GLOBAL__N_120geam_min_plus_kernelId15HIP_vector_typeIdLj2EEdLi8ELi32ELi64ELi256ELi4ELi64ELi4ELi64ELi4ELc78ELc84ELb0ELb1ELb1EPKdS3_dEEviiiT16_PT17_ilS7_ilS5_S7_ilPT18_ili26rocblas_geam_ex_operation_,@function
_ZN12_GLOBAL__N_120geam_min_plus_kernelId15HIP_vector_typeIdLj2EEdLi8ELi32ELi64ELi256ELi4ELi64ELi4ELi64ELi4ELc78ELc84ELb0ELb1ELb1EPKdS3_dEEviiiT16_PT17_ilS7_ilS5_S7_ilPT18_ili26rocblas_geam_ex_operation_: ; @_ZN12_GLOBAL__N_120geam_min_plus_kernelId15HIP_vector_typeIdLj2EEdLi8ELi32ELi64ELi256ELi4ELi64ELi4ELi64ELi4ELc78ELc84ELb0ELb1ELb1EPKdS3_dEEviiiT16_PT17_ilS7_ilS5_S7_ilPT18_ili26rocblas_geam_ex_operation_
; %bb.0:
	s_clause 0x1
	s_load_b128 s[8:11], s[0:1], 0x10
	s_load_b128 s[4:7], s[0:1], 0x28
	s_mov_b32 s22, s15
	s_mov_b32 s23, 0
	s_mov_b64 s[26:27], 0
	s_lshl_b64 s[12:13], s[22:23], 3
	s_mov_b64 s[28:29], 0
	s_waitcnt lgkmcnt(0)
	s_add_u32 s2, s8, s12
	s_addc_u32 s3, s9, s13
	s_load_b64 s[24:25], s[2:3], 0x0
	s_clause 0x1
	s_load_b128 s[16:19], s[0:1], 0x40
	s_load_b64 s[2:3], s[0:1], 0x50
	s_waitcnt lgkmcnt(0)
	s_add_u32 s8, s18, s12
	v_cmp_eq_f64_e64 s23, s[24:25], 0
	v_cmp_neq_f64_e64 s15, s[24:25], 0
	s_addc_u32 s9, s19, s13
	s_delay_alu instid0(VALU_DEP_2)
	s_and_b32 vcc_lo, exec_lo, s23
	s_cbranch_vccnz .LBB171_2
; %bb.1:
	s_mul_i32 s5, s22, s5
	s_mul_hi_u32 s12, s22, s4
	s_mul_i32 s4, s22, s4
	s_add_i32 s5, s12, s5
	s_delay_alu instid0(SALU_CYCLE_1) | instskip(NEXT) | instid1(SALU_CYCLE_1)
	s_lshl_b64 s[4:5], s[4:5], 3
	s_add_u32 s28, s10, s4
	s_addc_u32 s29, s11, s5
.LBB171_2:
	s_load_b64 s[12:13], s[8:9], 0x0
	s_delay_alu instid0(VALU_DEP_1)
	s_and_not1_b32 vcc_lo, exec_lo, s15
	s_cbranch_vccnz .LBB171_4
; %bb.3:
	s_mul_i32 s4, s22, s17
	s_mul_hi_u32 s5, s22, s16
	s_delay_alu instid0(SALU_CYCLE_1) | instskip(SKIP_1) | instid1(SALU_CYCLE_1)
	s_add_i32 s5, s5, s4
	s_mul_i32 s4, s22, s16
	s_lshl_b64 s[4:5], s[4:5], 3
	s_delay_alu instid0(SALU_CYCLE_1)
	s_add_u32 s26, s6, s4
	s_addc_u32 s27, s7, s5
.LBB171_4:
	s_waitcnt lgkmcnt(0)
	v_cmp_eq_f64_e64 s4, s[12:13], 0
	v_cmp_neq_f64_e64 s15, s[12:13], 0
	s_load_b128 s[8:11], s[0:1], 0x60
	s_mov_b64 s[20:21], 0
	s_delay_alu instid0(VALU_DEP_2)
	s_and_b32 vcc_lo, exec_lo, s4
	s_cbranch_vccnz .LBB171_6
; %bb.5:
	s_waitcnt lgkmcnt(0)
	s_mul_i32 s4, s22, s9
	s_mul_hi_u32 s5, s22, s8
	s_delay_alu instid0(SALU_CYCLE_1) | instskip(SKIP_1) | instid1(SALU_CYCLE_1)
	s_add_i32 s5, s5, s4
	s_mul_i32 s4, s22, s8
	s_lshl_b64 s[4:5], s[4:5], 3
	s_delay_alu instid0(SALU_CYCLE_1)
	s_add_u32 s20, s2, s4
	s_addc_u32 s21, s3, s5
.LBB171_6:
	s_load_b128 s[16:19], s[0:1], 0x0
	s_waitcnt lgkmcnt(0)
	s_load_b32 s19, s[0:1], 0x20
	v_and_b32_e32 v120, 0x3ff, v0
	v_bfe_u32 v121, v0, 10, 10
	s_delay_alu instid0(VALU_DEP_1) | instskip(NEXT) | instid1(VALU_DEP_1)
	v_lshl_add_u32 v0, v121, 3, v120
	v_and_b32_e32 v135, 63, v0
	v_lshrrev_b32_e32 v132, 6, v0
	s_add_i32 s3, s16, -1
	s_waitcnt lgkmcnt(0)
	s_ashr_i32 s30, s19, 31
	s_ashr_i32 s2, s3, 31
	v_cmp_le_i32_e32 vcc_lo, s18, v132
	s_lshr_b32 s2, s2, 26
	s_delay_alu instid0(SALU_CYCLE_1) | instskip(NEXT) | instid1(SALU_CYCLE_1)
	s_add_i32 s2, s3, s2
	s_ashr_i32 s2, s2, 6
	s_delay_alu instid0(SALU_CYCLE_1) | instskip(SKIP_2) | instid1(VALU_DEP_1)
	s_add_i32 s5, s2, 1
	s_not_b32 s2, s2
	v_cvt_f32_u32_e32 v1, s5
	v_rcp_iflag_f32_e32 v1, v1
	s_waitcnt_depctr 0xfff
	v_mul_f32_e32 v1, 0x4f7ffffe, v1
	s_delay_alu instid0(VALU_DEP_1) | instskip(NEXT) | instid1(VALU_DEP_1)
	v_cvt_u32_f32_e32 v1, v1
	v_readfirstlane_b32 s4, v1
	s_delay_alu instid0(VALU_DEP_1) | instskip(NEXT) | instid1(SALU_CYCLE_1)
	s_mul_i32 s2, s2, s4
	s_mul_hi_u32 s2, s4, s2
	s_delay_alu instid0(SALU_CYCLE_1) | instskip(NEXT) | instid1(SALU_CYCLE_1)
	s_add_i32 s4, s4, s2
	s_mul_hi_u32 s2, s14, s4
	s_delay_alu instid0(SALU_CYCLE_1) | instskip(SKIP_2) | instid1(SALU_CYCLE_1)
	s_mul_i32 s4, s2, s5
	s_add_i32 s6, s2, 1
	s_sub_i32 s4, s14, s4
	s_sub_i32 s7, s4, s5
	s_cmp_ge_u32 s4, s5
	s_cselect_b32 s2, s6, s2
	s_cselect_b32 s4, s7, s4
	s_add_i32 s6, s2, 1
	s_cmp_ge_u32 s4, s5
	s_cselect_b32 s4, s6, s2
	s_delay_alu instid0(SALU_CYCLE_1) | instskip(NEXT) | instid1(SALU_CYCLE_1)
	s_mul_i32 s2, s4, s5
	s_sub_i32 s2, s14, s2
	s_add_i32 s14, s18, -1
	s_lshl_b32 s8, s2, 6
	v_min_i32_e32 v2, s14, v132
	v_or_b32_e32 v0, s8, v135
	s_delay_alu instid0(VALU_DEP_2) | instskip(NEXT) | instid1(VALU_DEP_2)
	v_ashrrev_i32_e32 v3, 31, v2
	v_cmp_le_i32_e64 s2, s16, v0
	v_min_i32_e32 v52, s3, v0
                                        ; implicit-def: $vgpr0_vgpr1
	s_delay_alu instid0(VALU_DEP_2) | instskip(NEXT) | instid1(VALU_DEP_1)
	s_or_b32 s5, s2, vcc_lo
	v_ashrrev_i32_e32 v53, 31, v52
	s_or_b32 s3, s23, s5
	s_delay_alu instid0(SALU_CYCLE_1) | instskip(NEXT) | instid1(SALU_CYCLE_1)
	s_xor_b32 s3, s3, -1
	s_and_saveexec_b32 s6, s3
	s_delay_alu instid0(SALU_CYCLE_1)
	s_xor_b32 s6, exec_lo, s6
	s_cbranch_execz .LBB171_8
; %bb.7:
	v_mad_i64_i32 v[0:1], null, s19, v2, 0
	v_lshlrev_b64 v[4:5], 3, v[52:53]
	s_delay_alu instid0(VALU_DEP_2) | instskip(NEXT) | instid1(VALU_DEP_1)
	v_lshlrev_b64 v[0:1], 3, v[0:1]
	v_add_co_u32 v0, s3, s28, v0
	s_delay_alu instid0(VALU_DEP_1) | instskip(NEXT) | instid1(VALU_DEP_2)
	v_add_co_ci_u32_e64 v1, s3, s29, v1, s3
	v_add_co_u32 v0, s3, v0, v4
	s_delay_alu instid0(VALU_DEP_1)
	v_add_co_ci_u32_e64 v1, s3, v1, v5, s3
	flat_load_b64 v[0:1], v[0:1]
	s_waitcnt vmcnt(0) lgkmcnt(0)
	v_mul_f64 v[0:1], s[24:25], v[0:1]
.LBB171_8:
	s_and_not1_saveexec_b32 s3, s6
; %bb.9:
	v_cndmask_b32_e64 v1, 0, 0x7fefffff, s5
	v_cndmask_b32_e64 v0, 0, -1, s5
; %bb.10:
	s_or_b32 exec_lo, exec_lo, s3
	s_load_b32 s31, s[0:1], 0x38
	s_lshl_b32 s9, s4, 8
	s_delay_alu instid0(SALU_CYCLE_1) | instskip(NEXT) | instid1(VALU_DEP_1)
	v_or_b32_e32 v54, s9, v135
	v_cmp_le_i32_e64 s3, s17, v54
	v_ashrrev_i32_e32 v55, 31, v54
	s_delay_alu instid0(VALU_DEP_2)
	s_or_b32 s5, s3, vcc_lo
	s_waitcnt lgkmcnt(0)
	s_ashr_i32 s33, s31, 31
	v_mul_lo_u32 v5, v3, s31
	v_mad_u64_u32 v[3:4], null, v2, s31, 0
	v_mul_lo_u32 v2, v2, s33
	s_delay_alu instid0(VALU_DEP_1) | instskip(SKIP_1) | instid1(VALU_DEP_2)
	v_add3_u32 v4, v4, v2, v5
	v_cndmask_b32_e64 v2, 0, -1, s5
	v_lshlrev_b64 v[4:5], 3, v[3:4]
	v_cndmask_b32_e64 v3, 0, 0x7fefffff, s5
	s_delay_alu instid0(VALU_DEP_2) | instskip(NEXT) | instid1(VALU_DEP_1)
	v_add_co_u32 v10, s4, s26, v4
	v_add_co_ci_u32_e64 v11, s4, s27, v5, s4
	s_or_b32 s4, s23, s5
	s_delay_alu instid0(SALU_CYCLE_1) | instskip(NEXT) | instid1(SALU_CYCLE_1)
	s_xor_b32 s4, s4, -1
	s_and_saveexec_b32 s5, s4
	s_cbranch_execz .LBB171_12
; %bb.11:
	v_lshlrev_b64 v[2:3], 3, v[54:55]
	s_delay_alu instid0(VALU_DEP_1) | instskip(NEXT) | instid1(VALU_DEP_1)
	v_add_co_u32 v2, s4, v10, v2
	v_add_co_ci_u32_e64 v3, s4, v11, v3, s4
	flat_load_b64 v[2:3], v[2:3]
	s_waitcnt vmcnt(0) lgkmcnt(0)
	v_mul_f64 v[2:3], s[24:25], v[2:3]
.LBB171_12:
	s_or_b32 exec_lo, exec_lo, s5
	v_or_b32_e32 v4, 64, v54
	s_delay_alu instid0(VALU_DEP_1) | instskip(NEXT) | instid1(VALU_DEP_1)
	v_cmp_le_i32_e64 s4, s17, v4
	s_or_b32 s5, s4, vcc_lo
	s_delay_alu instid0(SALU_CYCLE_1) | instskip(SKIP_2) | instid1(SALU_CYCLE_1)
	v_cndmask_b32_e64 v5, 0, 0x7fefffff, s5
	v_cndmask_b32_e64 v4, 0, -1, s5
	s_or_b32 s5, s23, s5
	s_xor_b32 s5, s5, -1
	s_delay_alu instid0(SALU_CYCLE_1)
	s_and_saveexec_b32 s6, s5
	s_cbranch_execz .LBB171_14
; %bb.13:
	v_lshlrev_b64 v[4:5], 3, v[54:55]
	s_delay_alu instid0(VALU_DEP_1) | instskip(NEXT) | instid1(VALU_DEP_1)
	v_add_co_u32 v4, s5, v10, v4
	v_add_co_ci_u32_e64 v5, s5, v11, v5, s5
	flat_load_b64 v[4:5], v[4:5] offset:512
	s_waitcnt vmcnt(0) lgkmcnt(0)
	v_mul_f64 v[4:5], s[24:25], v[4:5]
.LBB171_14:
	s_or_b32 exec_lo, exec_lo, s6
	v_or_b32_e32 v6, 0x80, v54
	s_delay_alu instid0(VALU_DEP_1) | instskip(NEXT) | instid1(VALU_DEP_1)
	v_cmp_le_i32_e64 s5, s17, v6
	s_or_b32 s6, s5, vcc_lo
	s_delay_alu instid0(SALU_CYCLE_1) | instskip(SKIP_2) | instid1(SALU_CYCLE_1)
	v_cndmask_b32_e64 v7, 0, 0x7fefffff, s6
	v_cndmask_b32_e64 v6, 0, -1, s6
	s_or_b32 s6, s23, s6
	s_xor_b32 s6, s6, -1
	s_delay_alu instid0(SALU_CYCLE_1)
	s_and_saveexec_b32 s7, s6
	s_cbranch_execz .LBB171_16
; %bb.15:
	v_lshlrev_b64 v[6:7], 3, v[54:55]
	s_delay_alu instid0(VALU_DEP_1) | instskip(NEXT) | instid1(VALU_DEP_1)
	v_add_co_u32 v6, s6, v10, v6
	v_add_co_ci_u32_e64 v7, s6, v11, v7, s6
	flat_load_b64 v[6:7], v[6:7] offset:1024
	s_waitcnt vmcnt(0) lgkmcnt(0)
	v_mul_f64 v[6:7], s[24:25], v[6:7]
.LBB171_16:
	s_or_b32 exec_lo, exec_lo, s7
	v_or_b32_e32 v8, 0xc0, v54
	s_delay_alu instid0(VALU_DEP_1) | instskip(NEXT) | instid1(VALU_DEP_1)
	v_cmp_le_i32_e64 s6, s17, v8
	s_or_b32 s7, s6, vcc_lo
	s_delay_alu instid0(SALU_CYCLE_1) | instskip(SKIP_2) | instid1(SALU_CYCLE_1)
	v_cndmask_b32_e64 v9, 0, 0x7fefffff, s7
	v_cndmask_b32_e64 v8, 0, -1, s7
	s_or_b32 s7, s23, s7
	s_xor_b32 s34, s7, -1
	s_delay_alu instid0(SALU_CYCLE_1)
	s_and_saveexec_b32 s7, s34
	s_cbranch_execz .LBB171_18
; %bb.17:
	v_lshlrev_b64 v[8:9], 3, v[54:55]
	s_delay_alu instid0(VALU_DEP_1) | instskip(NEXT) | instid1(VALU_DEP_2)
	v_add_co_u32 v8, vcc_lo, v10, v8
	v_add_co_ci_u32_e32 v9, vcc_lo, v11, v9, vcc_lo
	flat_load_b64 v[8:9], v[8:9] offset:1536
	s_waitcnt vmcnt(0) lgkmcnt(0)
	v_mul_f64 v[8:9], s[24:25], v[8:9]
.LBB171_18:
	s_or_b32 exec_lo, exec_lo, s7
	v_add_nc_u32_e32 v10, 4, v132
                                        ; implicit-def: $vgpr56_vgpr57
	s_delay_alu instid0(VALU_DEP_1) | instskip(SKIP_2) | instid1(VALU_DEP_1)
	v_cmp_le_i32_e32 vcc_lo, s18, v10
	v_min_i32_e32 v10, s14, v10
	s_or_b32 s34, s2, vcc_lo
	v_ashrrev_i32_e32 v11, 31, v10
	s_or_b32 s7, s23, s34
	s_delay_alu instid0(SALU_CYCLE_1) | instskip(NEXT) | instid1(SALU_CYCLE_1)
	s_xor_b32 s7, s7, -1
	s_and_saveexec_b32 s35, s7
	s_delay_alu instid0(SALU_CYCLE_1)
	s_xor_b32 s35, exec_lo, s35
	s_cbranch_execz .LBB171_20
; %bb.19:
	v_mad_i64_i32 v[12:13], null, s19, v10, 0
	v_lshlrev_b64 v[14:15], 3, v[52:53]
	s_delay_alu instid0(VALU_DEP_2) | instskip(NEXT) | instid1(VALU_DEP_1)
	v_lshlrev_b64 v[12:13], 3, v[12:13]
	v_add_co_u32 v12, s7, s28, v12
	s_delay_alu instid0(VALU_DEP_1) | instskip(NEXT) | instid1(VALU_DEP_2)
	v_add_co_ci_u32_e64 v13, s7, s29, v13, s7
	v_add_co_u32 v12, s7, v12, v14
	s_delay_alu instid0(VALU_DEP_1)
	v_add_co_ci_u32_e64 v13, s7, v13, v15, s7
	flat_load_b64 v[12:13], v[12:13]
	s_waitcnt vmcnt(0) lgkmcnt(0)
	v_mul_f64 v[56:57], s[24:25], v[12:13]
.LBB171_20:
	s_and_not1_saveexec_b32 s7, s35
; %bb.21:
	v_cndmask_b32_e64 v57, 0, 0x7fefffff, s34
	v_cndmask_b32_e64 v56, 0, -1, s34
; %bb.22:
	s_or_b32 exec_lo, exec_lo, s7
	v_mul_lo_u32 v13, v11, s31
	v_mul_lo_u32 v14, v10, s33
	v_mad_u64_u32 v[11:12], null, v10, s31, 0
	s_or_b32 s33, s3, vcc_lo
	s_delay_alu instid0(SALU_CYCLE_1) | instskip(SKIP_1) | instid1(VALU_DEP_3)
	v_cndmask_b32_e64 v59, 0, 0x7fefffff, s33
	v_cndmask_b32_e64 v58, 0, -1, s33
	v_add3_u32 v12, v12, v14, v13
	s_delay_alu instid0(VALU_DEP_1) | instskip(NEXT) | instid1(VALU_DEP_1)
	v_lshlrev_b64 v[10:11], 3, v[11:12]
	v_add_co_u32 v10, s7, s26, v10
	s_delay_alu instid0(VALU_DEP_1) | instskip(SKIP_1) | instid1(SALU_CYCLE_1)
	v_add_co_ci_u32_e64 v11, s7, s27, v11, s7
	s_or_b32 s7, s23, s33
	s_xor_b32 s7, s7, -1
	s_delay_alu instid0(SALU_CYCLE_1)
	s_and_saveexec_b32 s33, s7
	s_cbranch_execz .LBB171_24
; %bb.23:
	v_lshlrev_b64 v[12:13], 3, v[54:55]
	s_delay_alu instid0(VALU_DEP_1) | instskip(NEXT) | instid1(VALU_DEP_1)
	v_add_co_u32 v12, s7, v10, v12
	v_add_co_ci_u32_e64 v13, s7, v11, v13, s7
	flat_load_b64 v[12:13], v[12:13]
	s_waitcnt vmcnt(0) lgkmcnt(0)
	v_mul_f64 v[58:59], s[24:25], v[12:13]
.LBB171_24:
	s_or_b32 exec_lo, exec_lo, s33
	s_or_b32 s7, s4, vcc_lo
	s_delay_alu instid0(SALU_CYCLE_1) | instskip(SKIP_2) | instid1(SALU_CYCLE_1)
	v_cndmask_b32_e64 v61, 0, 0x7fefffff, s7
	v_cndmask_b32_e64 v60, 0, -1, s7
	s_or_b32 s7, s23, s7
	s_xor_b32 s7, s7, -1
	s_delay_alu instid0(SALU_CYCLE_1)
	s_and_saveexec_b32 s33, s7
	s_cbranch_execz .LBB171_26
; %bb.25:
	v_lshlrev_b64 v[12:13], 3, v[54:55]
	s_delay_alu instid0(VALU_DEP_1) | instskip(NEXT) | instid1(VALU_DEP_1)
	v_add_co_u32 v12, s7, v10, v12
	v_add_co_ci_u32_e64 v13, s7, v11, v13, s7
	flat_load_b64 v[12:13], v[12:13] offset:512
	s_waitcnt vmcnt(0) lgkmcnt(0)
	v_mul_f64 v[60:61], s[24:25], v[12:13]
.LBB171_26:
	s_or_b32 exec_lo, exec_lo, s33
	s_or_b32 s7, s5, vcc_lo
	s_delay_alu instid0(SALU_CYCLE_1) | instskip(SKIP_2) | instid1(SALU_CYCLE_1)
	v_cndmask_b32_e64 v63, 0, 0x7fefffff, s7
	v_cndmask_b32_e64 v62, 0, -1, s7
	s_or_b32 s7, s23, s7
	s_xor_b32 s7, s7, -1
	s_delay_alu instid0(SALU_CYCLE_1)
	s_and_saveexec_b32 s33, s7
	s_cbranch_execz .LBB171_28
; %bb.27:
	v_lshlrev_b64 v[12:13], 3, v[54:55]
	s_delay_alu instid0(VALU_DEP_1) | instskip(NEXT) | instid1(VALU_DEP_1)
	v_add_co_u32 v12, s7, v10, v12
	v_add_co_ci_u32_e64 v13, s7, v11, v13, s7
	flat_load_b64 v[12:13], v[12:13] offset:1024
	s_waitcnt vmcnt(0) lgkmcnt(0)
	v_mul_f64 v[62:63], s[24:25], v[12:13]
.LBB171_28:
	s_or_b32 exec_lo, exec_lo, s33
	s_or_b32 s7, s6, vcc_lo
	s_delay_alu instid0(SALU_CYCLE_1) | instskip(SKIP_4) | instid1(SALU_CYCLE_1)
	v_cndmask_b32_e64 v65, 0, 0x7fefffff, s7
	v_cndmask_b32_e64 v64, 0, -1, s7
	s_or_b32 s33, s23, s7
	s_mov_b32 s7, -1
	s_xor_b32 s34, s33, -1
	s_and_saveexec_b32 s33, s34
	s_cbranch_execz .LBB171_30
; %bb.29:
	v_lshlrev_b64 v[12:13], 3, v[54:55]
	s_delay_alu instid0(VALU_DEP_1) | instskip(NEXT) | instid1(VALU_DEP_2)
	v_add_co_u32 v10, vcc_lo, v10, v12
	v_add_co_ci_u32_e32 v11, vcc_lo, v11, v13, vcc_lo
	flat_load_b64 v[10:11], v[10:11] offset:1536
	s_waitcnt vmcnt(0) lgkmcnt(0)
	v_mul_f64 v[64:65], s[24:25], v[10:11]
.LBB171_30:
	s_or_b32 exec_lo, exec_lo, s33
	v_dual_mov_b32 v67, 0x7f800000 :: v_dual_lshlrev_b32 v10, 3, v132
	v_dual_mov_b32 v66, 0x7f800000 :: v_dual_mov_b32 v69, 0x7f800000
	v_dual_mov_b32 v68, 0x7f800000 :: v_dual_mov_b32 v71, 0x7f800000
	s_delay_alu instid0(VALU_DEP_3) | instskip(SKIP_2) | instid1(VALU_DEP_3)
	v_lshl_add_u32 v133, v135, 5, v10
	v_dual_mov_b32 v70, 0x7f800000 :: v_dual_mov_b32 v73, 0x7f800000
	v_dual_mov_b32 v72, 0x7f800000 :: v_dual_mov_b32 v75, 0x7f800000
	v_or_b32_e32 v134, 0x4000, v133
	v_dual_mov_b32 v74, 0x7f800000 :: v_dual_mov_b32 v77, 0x7f800000
	v_dual_mov_b32 v76, 0x7f800000 :: v_dual_mov_b32 v79, 0x7f800000
	;; [unrolled: 1-line block ×27, first 2 shown]
	v_mov_b32_e32 v130, 0x7f800000
	s_mov_b32 s33, 0
	ds_store_b64 v133, v[0:1] offset:16384
	ds_store_2addr_stride64_b64 v133, v[2:3], v[4:5] offset1:4
	ds_store_2addr_stride64_b64 v133, v[6:7], v[8:9] offset0:8 offset1:12
	s_waitcnt lgkmcnt(0)
	s_barrier
	buffer_gl0_inv
.LBB171_31:                             ; =>This Inner Loop Header: Depth=1
	s_lshl_b32 s33, s33, 3
	s_and_not1_b32 vcc_lo, exec_lo, s7
	v_lshl_add_u32 v0, v120, 5, s33
	v_lshl_add_u32 v16, v121, 5, s33
	s_mov_b32 s33, 2
	s_mov_b32 s7, 0
	ds_load_b128 v[32:35], v0 offset:16384
	ds_load_b128 v[28:31], v0 offset:16640
	;; [unrolled: 1-line block ×8, first 2 shown]
	ds_load_b128 v[136:139], v16
	ds_load_b128 v[140:143], v16 offset:1024
	ds_load_b128 v[144:147], v16 offset:2048
	ds_load_b128 v[48:51], v16 offset:3072
	ds_load_b128 v[44:47], v16 offset:4096
	ds_load_b128 v[40:43], v16 offset:5120
	ds_load_b128 v[36:39], v16 offset:6144
	ds_load_b128 v[16:19], v16 offset:7168
	s_waitcnt lgkmcnt(7)
	v_add_f64 v[148:149], v[34:35], v[138:139]
	v_add_f64 v[150:151], v[32:33], v[136:137]
	s_delay_alu instid0(VALU_DEP_2) | instskip(NEXT) | instid1(VALU_DEP_2)
	v_cvt_f32_f64_e32 v148, v[148:149]
	v_cvt_f32_f64_e32 v150, v[150:151]
	s_delay_alu instid0(VALU_DEP_1) | instskip(SKIP_2) | instid1(VALU_DEP_2)
	v_min3_f32 v131, v150, v148, v131
	v_add_f64 v[148:149], v[30:31], v[138:139]
	v_add_f64 v[150:151], v[28:29], v[136:137]
	v_cvt_f32_f64_e32 v148, v[148:149]
	s_delay_alu instid0(VALU_DEP_2) | instskip(NEXT) | instid1(VALU_DEP_1)
	v_cvt_f32_f64_e32 v150, v[150:151]
	v_min3_f32 v130, v150, v148, v130
	v_add_f64 v[148:149], v[26:27], v[138:139]
	v_add_f64 v[150:151], v[24:25], v[136:137]
	s_delay_alu instid0(VALU_DEP_2) | instskip(NEXT) | instid1(VALU_DEP_2)
	v_cvt_f32_f64_e32 v148, v[148:149]
	v_cvt_f32_f64_e32 v150, v[150:151]
	s_delay_alu instid0(VALU_DEP_1) | instskip(SKIP_2) | instid1(VALU_DEP_2)
	v_min3_f32 v129, v150, v148, v129
	v_add_f64 v[148:149], v[22:23], v[138:139]
	v_add_f64 v[150:151], v[20:21], v[136:137]
	v_cvt_f32_f64_e32 v148, v[148:149]
	s_delay_alu instid0(VALU_DEP_2) | instskip(NEXT) | instid1(VALU_DEP_1)
	v_cvt_f32_f64_e32 v150, v[150:151]
	v_min3_f32 v128, v150, v148, v128
	;; [unrolled: 13-line block ×3, first 2 shown]
	v_add_f64 v[148:149], v[6:7], v[138:139]
	v_add_f64 v[150:151], v[4:5], v[136:137]
	v_add_f64 v[138:139], v[2:3], v[138:139]
	v_add_f64 v[136:137], v[0:1], v[136:137]
	s_delay_alu instid0(VALU_DEP_4) | instskip(NEXT) | instid1(VALU_DEP_4)
	v_cvt_f32_f64_e32 v148, v[148:149]
	v_cvt_f32_f64_e32 v150, v[150:151]
	s_delay_alu instid0(VALU_DEP_3) | instskip(SKIP_3) | instid1(VALU_DEP_4)
	v_cvt_f32_f64_e32 v136, v[136:137]
	v_cvt_f32_f64_e32 v137, v[138:139]
	s_waitcnt lgkmcnt(6)
	v_add_f64 v[138:139], v[32:33], v[140:141]
	v_min3_f32 v125, v150, v148, v125
	s_delay_alu instid0(VALU_DEP_3) | instskip(SKIP_1) | instid1(VALU_DEP_4)
	v_min3_f32 v124, v136, v137, v124
	v_add_f64 v[136:137], v[34:35], v[142:143]
	v_cvt_f32_f64_e32 v138, v[138:139]
	s_delay_alu instid0(VALU_DEP_2) | instskip(NEXT) | instid1(VALU_DEP_1)
	v_cvt_f32_f64_e32 v136, v[136:137]
	v_min3_f32 v123, v138, v136, v123
	v_add_f64 v[136:137], v[30:31], v[142:143]
	v_add_f64 v[138:139], v[28:29], v[140:141]
	s_delay_alu instid0(VALU_DEP_2) | instskip(NEXT) | instid1(VALU_DEP_2)
	v_cvt_f32_f64_e32 v136, v[136:137]
	v_cvt_f32_f64_e32 v138, v[138:139]
	s_delay_alu instid0(VALU_DEP_1) | instskip(SKIP_2) | instid1(VALU_DEP_2)
	v_min3_f32 v122, v138, v136, v122
	v_add_f64 v[136:137], v[26:27], v[142:143]
	v_add_f64 v[138:139], v[24:25], v[140:141]
	v_cvt_f32_f64_e32 v136, v[136:137]
	s_delay_alu instid0(VALU_DEP_2) | instskip(NEXT) | instid1(VALU_DEP_1)
	v_cvt_f32_f64_e32 v138, v[138:139]
	v_min3_f32 v119, v138, v136, v119
	v_add_f64 v[136:137], v[22:23], v[142:143]
	v_add_f64 v[138:139], v[20:21], v[140:141]
	s_delay_alu instid0(VALU_DEP_2) | instskip(NEXT) | instid1(VALU_DEP_2)
	v_cvt_f32_f64_e32 v136, v[136:137]
	v_cvt_f32_f64_e32 v138, v[138:139]
	s_delay_alu instid0(VALU_DEP_1) | instskip(SKIP_2) | instid1(VALU_DEP_2)
	v_min3_f32 v118, v138, v136, v118
	v_add_f64 v[136:137], v[14:15], v[142:143]
	v_add_f64 v[138:139], v[12:13], v[140:141]
	v_cvt_f32_f64_e32 v136, v[136:137]
	s_delay_alu instid0(VALU_DEP_2) | instskip(NEXT) | instid1(VALU_DEP_1)
	v_cvt_f32_f64_e32 v138, v[138:139]
	v_min3_f32 v117, v138, v136, v117
	v_add_f64 v[136:137], v[10:11], v[142:143]
	v_add_f64 v[138:139], v[8:9], v[140:141]
	s_delay_alu instid0(VALU_DEP_2) | instskip(NEXT) | instid1(VALU_DEP_2)
	v_cvt_f32_f64_e32 v136, v[136:137]
	v_cvt_f32_f64_e32 v138, v[138:139]
	s_delay_alu instid0(VALU_DEP_1) | instskip(SKIP_2) | instid1(VALU_DEP_2)
	v_min3_f32 v116, v138, v136, v116
	v_add_f64 v[136:137], v[6:7], v[142:143]
	v_add_f64 v[138:139], v[4:5], v[140:141]
	v_cvt_f32_f64_e32 v136, v[136:137]
	s_delay_alu instid0(VALU_DEP_2) | instskip(NEXT) | instid1(VALU_DEP_1)
	v_cvt_f32_f64_e32 v138, v[138:139]
	v_min3_f32 v115, v138, v136, v115
	v_add_f64 v[136:137], v[2:3], v[142:143]
	v_add_f64 v[138:139], v[0:1], v[140:141]
	s_delay_alu instid0(VALU_DEP_2) | instskip(NEXT) | instid1(VALU_DEP_2)
	v_cvt_f32_f64_e32 v136, v[136:137]
	v_cvt_f32_f64_e32 v138, v[138:139]
	s_delay_alu instid0(VALU_DEP_1) | instskip(SKIP_3) | instid1(VALU_DEP_2)
	v_min3_f32 v114, v138, v136, v114
	s_waitcnt lgkmcnt(5)
	v_add_f64 v[136:137], v[34:35], v[146:147]
	v_add_f64 v[138:139], v[32:33], v[144:145]
	v_cvt_f32_f64_e32 v136, v[136:137]
	s_delay_alu instid0(VALU_DEP_2) | instskip(NEXT) | instid1(VALU_DEP_1)
	v_cvt_f32_f64_e32 v138, v[138:139]
	v_min3_f32 v113, v138, v136, v113
	v_add_f64 v[136:137], v[30:31], v[146:147]
	v_add_f64 v[138:139], v[28:29], v[144:145]
	s_delay_alu instid0(VALU_DEP_2) | instskip(NEXT) | instid1(VALU_DEP_2)
	v_cvt_f32_f64_e32 v136, v[136:137]
	v_cvt_f32_f64_e32 v138, v[138:139]
	s_delay_alu instid0(VALU_DEP_1) | instskip(SKIP_2) | instid1(VALU_DEP_2)
	v_min3_f32 v112, v138, v136, v112
	v_add_f64 v[136:137], v[26:27], v[146:147]
	v_add_f64 v[138:139], v[24:25], v[144:145]
	v_cvt_f32_f64_e32 v136, v[136:137]
	s_delay_alu instid0(VALU_DEP_2) | instskip(NEXT) | instid1(VALU_DEP_1)
	v_cvt_f32_f64_e32 v138, v[138:139]
	v_min3_f32 v111, v138, v136, v111
	v_add_f64 v[136:137], v[22:23], v[146:147]
	v_add_f64 v[138:139], v[20:21], v[144:145]
	s_delay_alu instid0(VALU_DEP_2) | instskip(NEXT) | instid1(VALU_DEP_2)
	v_cvt_f32_f64_e32 v136, v[136:137]
	v_cvt_f32_f64_e32 v138, v[138:139]
	s_delay_alu instid0(VALU_DEP_1) | instskip(SKIP_2) | instid1(VALU_DEP_2)
	v_min3_f32 v110, v138, v136, v110
	;; [unrolled: 13-line block ×3, first 2 shown]
	v_add_f64 v[136:137], v[6:7], v[146:147]
	v_add_f64 v[138:139], v[4:5], v[144:145]
	v_cvt_f32_f64_e32 v136, v[136:137]
	s_delay_alu instid0(VALU_DEP_2) | instskip(NEXT) | instid1(VALU_DEP_1)
	v_cvt_f32_f64_e32 v138, v[138:139]
	v_min3_f32 v107, v138, v136, v107
	v_add_f64 v[136:137], v[2:3], v[146:147]
	v_add_f64 v[138:139], v[0:1], v[144:145]
	s_delay_alu instid0(VALU_DEP_2) | instskip(NEXT) | instid1(VALU_DEP_2)
	v_cvt_f32_f64_e32 v136, v[136:137]
	v_cvt_f32_f64_e32 v138, v[138:139]
	s_delay_alu instid0(VALU_DEP_1) | instskip(SKIP_3) | instid1(VALU_DEP_2)
	v_min3_f32 v106, v138, v136, v106
	s_waitcnt lgkmcnt(4)
	v_add_f64 v[136:137], v[34:35], v[50:51]
	v_add_f64 v[138:139], v[32:33], v[48:49]
	v_cvt_f32_f64_e32 v136, v[136:137]
	s_delay_alu instid0(VALU_DEP_2) | instskip(NEXT) | instid1(VALU_DEP_1)
	v_cvt_f32_f64_e32 v138, v[138:139]
	v_min3_f32 v105, v138, v136, v105
	v_add_f64 v[136:137], v[30:31], v[50:51]
	v_add_f64 v[138:139], v[28:29], v[48:49]
	s_delay_alu instid0(VALU_DEP_2) | instskip(NEXT) | instid1(VALU_DEP_2)
	v_cvt_f32_f64_e32 v136, v[136:137]
	v_cvt_f32_f64_e32 v138, v[138:139]
	s_delay_alu instid0(VALU_DEP_1) | instskip(SKIP_2) | instid1(VALU_DEP_2)
	v_min3_f32 v104, v138, v136, v104
	v_add_f64 v[136:137], v[26:27], v[50:51]
	v_add_f64 v[138:139], v[24:25], v[48:49]
	v_cvt_f32_f64_e32 v136, v[136:137]
	s_delay_alu instid0(VALU_DEP_2) | instskip(NEXT) | instid1(VALU_DEP_1)
	v_cvt_f32_f64_e32 v138, v[138:139]
	v_min3_f32 v103, v138, v136, v103
	v_add_f64 v[136:137], v[22:23], v[50:51]
	v_add_f64 v[138:139], v[20:21], v[48:49]
	s_delay_alu instid0(VALU_DEP_2) | instskip(NEXT) | instid1(VALU_DEP_2)
	v_cvt_f32_f64_e32 v136, v[136:137]
	v_cvt_f32_f64_e32 v138, v[138:139]
	s_delay_alu instid0(VALU_DEP_1) | instskip(SKIP_2) | instid1(VALU_DEP_2)
	v_min3_f32 v102, v138, v136, v102
	v_add_f64 v[136:137], v[14:15], v[50:51]
	v_add_f64 v[138:139], v[12:13], v[48:49]
	v_cvt_f32_f64_e32 v136, v[136:137]
	s_delay_alu instid0(VALU_DEP_2) | instskip(NEXT) | instid1(VALU_DEP_1)
	v_cvt_f32_f64_e32 v138, v[138:139]
	v_min3_f32 v101, v138, v136, v101
	v_add_f64 v[136:137], v[10:11], v[50:51]
	v_add_f64 v[138:139], v[8:9], v[48:49]
	s_delay_alu instid0(VALU_DEP_2) | instskip(NEXT) | instid1(VALU_DEP_2)
	v_cvt_f32_f64_e32 v136, v[136:137]
	v_cvt_f32_f64_e32 v138, v[138:139]
	s_delay_alu instid0(VALU_DEP_1) | instskip(SKIP_4) | instid1(VALU_DEP_4)
	v_min3_f32 v100, v138, v136, v100
	v_add_f64 v[136:137], v[6:7], v[50:51]
	v_add_f64 v[138:139], v[4:5], v[48:49]
	;; [unrolled: 1-line block ×4, first 2 shown]
	v_cvt_f32_f64_e32 v136, v[136:137]
	s_delay_alu instid0(VALU_DEP_4) | instskip(NEXT) | instid1(VALU_DEP_3)
	v_cvt_f32_f64_e32 v138, v[138:139]
	v_cvt_f32_f64_e32 v48, v[48:49]
	;; [unrolled: 1-line block ×3, first 2 shown]
	s_waitcnt lgkmcnt(3)
	v_add_f64 v[50:51], v[32:33], v[44:45]
	s_delay_alu instid0(VALU_DEP_4) | instskip(NEXT) | instid1(VALU_DEP_3)
	v_min3_f32 v99, v138, v136, v99
	v_min3_f32 v98, v48, v49, v98
	v_add_f64 v[48:49], v[34:35], v[46:47]
	s_delay_alu instid0(VALU_DEP_4) | instskip(NEXT) | instid1(VALU_DEP_2)
	v_cvt_f32_f64_e32 v50, v[50:51]
	v_cvt_f32_f64_e32 v48, v[48:49]
	s_delay_alu instid0(VALU_DEP_1) | instskip(SKIP_2) | instid1(VALU_DEP_2)
	v_min3_f32 v97, v50, v48, v97
	v_add_f64 v[48:49], v[30:31], v[46:47]
	v_add_f64 v[50:51], v[28:29], v[44:45]
	v_cvt_f32_f64_e32 v48, v[48:49]
	s_delay_alu instid0(VALU_DEP_2) | instskip(NEXT) | instid1(VALU_DEP_1)
	v_cvt_f32_f64_e32 v50, v[50:51]
	v_min3_f32 v96, v50, v48, v96
	v_add_f64 v[48:49], v[26:27], v[46:47]
	v_add_f64 v[50:51], v[24:25], v[44:45]
	s_delay_alu instid0(VALU_DEP_2) | instskip(NEXT) | instid1(VALU_DEP_2)
	v_cvt_f32_f64_e32 v48, v[48:49]
	v_cvt_f32_f64_e32 v50, v[50:51]
	s_delay_alu instid0(VALU_DEP_1) | instskip(SKIP_2) | instid1(VALU_DEP_2)
	v_min3_f32 v95, v50, v48, v95
	v_add_f64 v[48:49], v[22:23], v[46:47]
	v_add_f64 v[50:51], v[20:21], v[44:45]
	v_cvt_f32_f64_e32 v48, v[48:49]
	s_delay_alu instid0(VALU_DEP_2) | instskip(NEXT) | instid1(VALU_DEP_1)
	v_cvt_f32_f64_e32 v50, v[50:51]
	v_min3_f32 v94, v50, v48, v94
	v_add_f64 v[48:49], v[14:15], v[46:47]
	v_add_f64 v[50:51], v[12:13], v[44:45]
	s_delay_alu instid0(VALU_DEP_2) | instskip(NEXT) | instid1(VALU_DEP_2)
	v_cvt_f32_f64_e32 v48, v[48:49]
	v_cvt_f32_f64_e32 v50, v[50:51]
	s_delay_alu instid0(VALU_DEP_1) | instskip(SKIP_2) | instid1(VALU_DEP_2)
	v_min3_f32 v93, v50, v48, v93
	v_add_f64 v[48:49], v[10:11], v[46:47]
	v_add_f64 v[50:51], v[8:9], v[44:45]
	v_cvt_f32_f64_e32 v48, v[48:49]
	s_delay_alu instid0(VALU_DEP_2) | instskip(NEXT) | instid1(VALU_DEP_1)
	v_cvt_f32_f64_e32 v50, v[50:51]
	v_min3_f32 v92, v50, v48, v92
	v_add_f64 v[48:49], v[6:7], v[46:47]
	v_add_f64 v[50:51], v[4:5], v[44:45]
	;; [unrolled: 1-line block ×4, first 2 shown]
	s_delay_alu instid0(VALU_DEP_4) | instskip(NEXT) | instid1(VALU_DEP_4)
	v_cvt_f32_f64_e32 v48, v[48:49]
	v_cvt_f32_f64_e32 v50, v[50:51]
	s_delay_alu instid0(VALU_DEP_3) | instskip(SKIP_3) | instid1(VALU_DEP_4)
	v_cvt_f32_f64_e32 v44, v[44:45]
	v_cvt_f32_f64_e32 v45, v[46:47]
	s_waitcnt lgkmcnt(2)
	v_add_f64 v[46:47], v[32:33], v[40:41]
	v_min3_f32 v91, v50, v48, v91
	s_delay_alu instid0(VALU_DEP_3) | instskip(SKIP_1) | instid1(VALU_DEP_4)
	v_min3_f32 v90, v44, v45, v90
	v_add_f64 v[44:45], v[34:35], v[42:43]
	v_cvt_f32_f64_e32 v46, v[46:47]
	s_delay_alu instid0(VALU_DEP_2) | instskip(NEXT) | instid1(VALU_DEP_1)
	v_cvt_f32_f64_e32 v44, v[44:45]
	v_min3_f32 v89, v46, v44, v89
	v_add_f64 v[44:45], v[30:31], v[42:43]
	v_add_f64 v[46:47], v[28:29], v[40:41]
	s_delay_alu instid0(VALU_DEP_2) | instskip(NEXT) | instid1(VALU_DEP_2)
	v_cvt_f32_f64_e32 v44, v[44:45]
	v_cvt_f32_f64_e32 v46, v[46:47]
	s_delay_alu instid0(VALU_DEP_1) | instskip(SKIP_2) | instid1(VALU_DEP_2)
	v_min3_f32 v88, v46, v44, v88
	v_add_f64 v[44:45], v[26:27], v[42:43]
	v_add_f64 v[46:47], v[24:25], v[40:41]
	v_cvt_f32_f64_e32 v44, v[44:45]
	s_delay_alu instid0(VALU_DEP_2) | instskip(NEXT) | instid1(VALU_DEP_1)
	v_cvt_f32_f64_e32 v46, v[46:47]
	v_min3_f32 v87, v46, v44, v87
	v_add_f64 v[44:45], v[22:23], v[42:43]
	v_add_f64 v[46:47], v[20:21], v[40:41]
	s_delay_alu instid0(VALU_DEP_2) | instskip(NEXT) | instid1(VALU_DEP_2)
	v_cvt_f32_f64_e32 v44, v[44:45]
	v_cvt_f32_f64_e32 v46, v[46:47]
	s_delay_alu instid0(VALU_DEP_1) | instskip(SKIP_2) | instid1(VALU_DEP_2)
	v_min3_f32 v86, v46, v44, v86
	v_add_f64 v[44:45], v[14:15], v[42:43]
	v_add_f64 v[46:47], v[12:13], v[40:41]
	v_cvt_f32_f64_e32 v44, v[44:45]
	s_delay_alu instid0(VALU_DEP_2) | instskip(NEXT) | instid1(VALU_DEP_1)
	v_cvt_f32_f64_e32 v46, v[46:47]
	v_min3_f32 v85, v46, v44, v85
	v_add_f64 v[44:45], v[10:11], v[42:43]
	v_add_f64 v[46:47], v[8:9], v[40:41]
	s_delay_alu instid0(VALU_DEP_2) | instskip(NEXT) | instid1(VALU_DEP_2)
	v_cvt_f32_f64_e32 v44, v[44:45]
	v_cvt_f32_f64_e32 v46, v[46:47]
	s_delay_alu instid0(VALU_DEP_1) | instskip(SKIP_4) | instid1(VALU_DEP_4)
	v_min3_f32 v84, v46, v44, v84
	v_add_f64 v[44:45], v[6:7], v[42:43]
	v_add_f64 v[46:47], v[4:5], v[40:41]
	;; [unrolled: 1-line block ×4, first 2 shown]
	v_cvt_f32_f64_e32 v44, v[44:45]
	s_delay_alu instid0(VALU_DEP_4) | instskip(NEXT) | instid1(VALU_DEP_3)
	v_cvt_f32_f64_e32 v46, v[46:47]
	v_cvt_f32_f64_e32 v40, v[40:41]
	;; [unrolled: 1-line block ×3, first 2 shown]
	s_waitcnt lgkmcnt(1)
	v_add_f64 v[42:43], v[32:33], v[36:37]
	s_waitcnt lgkmcnt(0)
	v_add_f64 v[32:33], v[32:33], v[16:17]
	v_min3_f32 v83, v46, v44, v83
	s_delay_alu instid0(VALU_DEP_4) | instskip(SKIP_4) | instid1(VALU_DEP_4)
	v_min3_f32 v82, v40, v41, v82
	v_add_f64 v[40:41], v[34:35], v[38:39]
	v_cvt_f32_f64_e32 v42, v[42:43]
	v_add_f64 v[34:35], v[34:35], v[18:19]
	v_cvt_f32_f64_e32 v32, v[32:33]
	v_cvt_f32_f64_e32 v40, v[40:41]
	s_delay_alu instid0(VALU_DEP_3) | instskip(NEXT) | instid1(VALU_DEP_2)
	v_cvt_f32_f64_e32 v33, v[34:35]
	v_min3_f32 v81, v42, v40, v81
	v_add_f64 v[40:41], v[30:31], v[38:39]
	v_add_f64 v[42:43], v[28:29], v[36:37]
	v_add_f64 v[30:31], v[30:31], v[18:19]
	v_add_f64 v[28:29], v[28:29], v[16:17]
	v_min3_f32 v73, v32, v33, v73
	v_cvt_f32_f64_e32 v40, v[40:41]
	v_cvt_f32_f64_e32 v42, v[42:43]
	s_delay_alu instid0(VALU_DEP_4) | instskip(SKIP_1) | instid1(VALU_DEP_3)
	v_cvt_f32_f64_e32 v28, v[28:29]
	v_cvt_f32_f64_e32 v29, v[30:31]
	v_min3_f32 v80, v42, v40, v80
	v_add_f64 v[40:41], v[26:27], v[38:39]
	v_add_f64 v[42:43], v[24:25], v[36:37]
	v_add_f64 v[26:27], v[26:27], v[18:19]
	v_add_f64 v[24:25], v[24:25], v[16:17]
	v_min3_f32 v72, v28, v29, v72
	v_cvt_f32_f64_e32 v40, v[40:41]
	v_cvt_f32_f64_e32 v42, v[42:43]
	s_delay_alu instid0(VALU_DEP_4) | instskip(SKIP_1) | instid1(VALU_DEP_3)
	v_cvt_f32_f64_e32 v24, v[24:25]
	v_cvt_f32_f64_e32 v25, v[26:27]
	v_min3_f32 v79, v42, v40, v79
	v_add_f64 v[40:41], v[22:23], v[38:39]
	v_add_f64 v[42:43], v[20:21], v[36:37]
	v_add_f64 v[22:23], v[22:23], v[18:19]
	v_add_f64 v[20:21], v[20:21], v[16:17]
	v_min3_f32 v71, v24, v25, v71
	v_cvt_f32_f64_e32 v40, v[40:41]
	v_cvt_f32_f64_e32 v42, v[42:43]
	s_delay_alu instid0(VALU_DEP_4) | instskip(SKIP_1) | instid1(VALU_DEP_3)
	v_cvt_f32_f64_e32 v20, v[20:21]
	v_cvt_f32_f64_e32 v21, v[22:23]
	v_min3_f32 v78, v42, v40, v78
	v_add_f64 v[40:41], v[14:15], v[38:39]
	v_add_f64 v[42:43], v[12:13], v[36:37]
	v_add_f64 v[14:15], v[14:15], v[18:19]
	v_add_f64 v[12:13], v[12:13], v[16:17]
	v_min3_f32 v70, v20, v21, v70
	v_cvt_f32_f64_e32 v40, v[40:41]
	v_cvt_f32_f64_e32 v42, v[42:43]
	s_delay_alu instid0(VALU_DEP_4) | instskip(SKIP_1) | instid1(VALU_DEP_3)
	v_cvt_f32_f64_e32 v12, v[12:13]
	v_cvt_f32_f64_e32 v13, v[14:15]
	v_min3_f32 v77, v42, v40, v77
	v_add_f64 v[40:41], v[10:11], v[38:39]
	v_add_f64 v[42:43], v[8:9], v[36:37]
	v_add_f64 v[10:11], v[10:11], v[18:19]
	v_add_f64 v[8:9], v[8:9], v[16:17]
	v_min3_f32 v69, v12, v13, v69
	v_cvt_f32_f64_e32 v40, v[40:41]
	v_cvt_f32_f64_e32 v42, v[42:43]
	s_delay_alu instid0(VALU_DEP_4) | instskip(SKIP_1) | instid1(VALU_DEP_3)
	v_cvt_f32_f64_e32 v8, v[8:9]
	v_cvt_f32_f64_e32 v9, v[10:11]
	v_min3_f32 v76, v42, v40, v76
	v_add_f64 v[40:41], v[6:7], v[38:39]
	v_add_f64 v[42:43], v[4:5], v[36:37]
	;; [unrolled: 1-line block ×8, first 2 shown]
	v_min3_f32 v68, v8, v9, v68
	v_cvt_f32_f64_e32 v40, v[40:41]
	v_cvt_f32_f64_e32 v42, v[42:43]
	;; [unrolled: 1-line block ×8, first 2 shown]
	v_min3_f32 v75, v42, v40, v75
	v_min3_f32 v74, v36, v37, v74
	;; [unrolled: 1-line block ×3, first 2 shown]
	s_delay_alu instid0(VALU_DEP_4)
	v_min3_f32 v66, v0, v1, v66
	s_cbranch_vccz .LBB171_31
; %bb.32:
	v_lshlrev_b32_e32 v0, 5, v135
	s_mov_b32 s33, 8
	s_cmp_gt_i32 s18, 8
	s_delay_alu instid0(VALU_DEP_1)
	v_lshl_add_u32 v0, v132, 3, v0
	ds_store_b64 v0, v[56:57] offset:18432
	ds_store_2addr_stride64_b64 v0, v[58:59], v[60:61] offset0:16 offset1:20
	ds_store_2addr_stride64_b64 v0, v[62:63], v[64:65] offset0:24 offset1:28
	s_waitcnt lgkmcnt(0)
	s_barrier
	buffer_gl0_inv
	s_cbranch_scc0 .LBB171_59
; %bb.33:
	v_lshlrev_b64 v[1:2], 3, v[52:53]
	v_lshlrev_b64 v[52:53], 3, v[54:55]
	v_add_nc_u32_e32 v64, 0x4800, v0
	v_or_b32_e32 v65, 0x2000, v0
	s_delay_alu instid0(VALU_DEP_4)
	v_add_co_u32 v135, vcc_lo, s28, v1
	v_add_co_ci_u32_e32 v136, vcc_lo, s29, v2, vcc_lo
	s_add_i32 s28, s18, -8
	s_mov_b32 s29, 0
.LBB171_34:                             ; =>This Loop Header: Depth=1
                                        ;     Child Loop BB171_45 Depth 2
                                        ;     Child Loop BB171_57 Depth 2
	v_add_nc_u32_e32 v0, s33, v132
	s_delay_alu instid0(VALU_DEP_1) | instskip(SKIP_1) | instid1(SALU_CYCLE_1)
	v_cmp_le_i32_e32 vcc_lo, s18, v0
	s_or_b32 s7, s2, vcc_lo
	v_cndmask_b32_e64 v55, 0, 0x7fefffff, s7
	v_cndmask_b32_e64 v54, 0, -1, s7
	s_or_b32 s7, s23, s7
	s_delay_alu instid0(SALU_CYCLE_1) | instskip(NEXT) | instid1(SALU_CYCLE_1)
	s_xor_b32 s7, s7, -1
	s_and_saveexec_b32 s34, s7
	s_cbranch_execz .LBB171_36
; %bb.35:                               ;   in Loop: Header=BB171_34 Depth=1
	v_mad_u64_u32 v[1:2], null, v0, s19, 0
	s_delay_alu instid0(VALU_DEP_1) | instskip(NEXT) | instid1(VALU_DEP_1)
	v_mad_u64_u32 v[3:4], null, v0, s30, v[2:3]
	v_mov_b32_e32 v2, v3
	s_delay_alu instid0(VALU_DEP_1) | instskip(NEXT) | instid1(VALU_DEP_1)
	v_lshlrev_b64 v[1:2], 3, v[1:2]
	v_add_co_u32 v1, s7, v135, v1
	s_delay_alu instid0(VALU_DEP_1)
	v_add_co_ci_u32_e64 v2, s7, v136, v2, s7
	flat_load_b64 v[1:2], v[1:2]
	s_waitcnt vmcnt(0) lgkmcnt(0)
	v_mul_f64 v[54:55], s[24:25], v[1:2]
.LBB171_36:                             ;   in Loop: Header=BB171_34 Depth=1
	s_or_b32 exec_lo, exec_lo, s34
	v_min_i32_e32 v2, s14, v0
	s_or_b32 s34, s3, vcc_lo
	s_delay_alu instid0(SALU_CYCLE_1) | instskip(SKIP_1) | instid1(VALU_DEP_3)
	v_cndmask_b32_e64 v57, 0, 0x7fefffff, s34
	v_cndmask_b32_e64 v56, 0, -1, s34
	v_mad_i64_i32 v[0:1], null, v2, s31, 0
	s_delay_alu instid0(VALU_DEP_1) | instskip(NEXT) | instid1(VALU_DEP_1)
	v_lshlrev_b64 v[0:1], 3, v[0:1]
	v_add_co_u32 v0, s7, s26, v0
	s_delay_alu instid0(VALU_DEP_1) | instskip(SKIP_1) | instid1(SALU_CYCLE_1)
	v_add_co_ci_u32_e64 v1, s7, s27, v1, s7
	s_or_b32 s7, s23, s34
	s_xor_b32 s7, s7, -1
	s_delay_alu instid0(SALU_CYCLE_1)
	s_and_saveexec_b32 s34, s7
	s_cbranch_execz .LBB171_38
; %bb.37:                               ;   in Loop: Header=BB171_34 Depth=1
	v_add_co_u32 v2, s7, v0, v52
	s_delay_alu instid0(VALU_DEP_1)
	v_add_co_ci_u32_e64 v3, s7, v1, v53, s7
	flat_load_b64 v[2:3], v[2:3]
	s_waitcnt vmcnt(0) lgkmcnt(0)
	v_mul_f64 v[56:57], s[24:25], v[2:3]
.LBB171_38:                             ;   in Loop: Header=BB171_34 Depth=1
	s_or_b32 exec_lo, exec_lo, s34
	s_or_b32 s7, s4, vcc_lo
	s_delay_alu instid0(SALU_CYCLE_1) | instskip(SKIP_2) | instid1(SALU_CYCLE_1)
	v_cndmask_b32_e64 v59, 0, 0x7fefffff, s7
	v_cndmask_b32_e64 v58, 0, -1, s7
	s_or_b32 s7, s23, s7
	s_xor_b32 s7, s7, -1
	s_delay_alu instid0(SALU_CYCLE_1)
	s_and_saveexec_b32 s34, s7
	s_cbranch_execz .LBB171_40
; %bb.39:                               ;   in Loop: Header=BB171_34 Depth=1
	v_add_co_u32 v2, s7, v0, v52
	s_delay_alu instid0(VALU_DEP_1)
	v_add_co_ci_u32_e64 v3, s7, v1, v53, s7
	flat_load_b64 v[2:3], v[2:3] offset:512
	s_waitcnt vmcnt(0) lgkmcnt(0)
	v_mul_f64 v[58:59], s[24:25], v[2:3]
.LBB171_40:                             ;   in Loop: Header=BB171_34 Depth=1
	s_or_b32 exec_lo, exec_lo, s34
	s_or_b32 s7, s5, vcc_lo
	s_delay_alu instid0(SALU_CYCLE_1) | instskip(SKIP_2) | instid1(SALU_CYCLE_1)
	v_cndmask_b32_e64 v61, 0, 0x7fefffff, s7
	v_cndmask_b32_e64 v60, 0, -1, s7
	s_or_b32 s7, s23, s7
	s_xor_b32 s7, s7, -1
	s_delay_alu instid0(SALU_CYCLE_1)
	s_and_saveexec_b32 s34, s7
	s_cbranch_execz .LBB171_42
; %bb.41:                               ;   in Loop: Header=BB171_34 Depth=1
	v_add_co_u32 v2, s7, v0, v52
	s_delay_alu instid0(VALU_DEP_1)
	v_add_co_ci_u32_e64 v3, s7, v1, v53, s7
	flat_load_b64 v[2:3], v[2:3] offset:1024
	s_waitcnt vmcnt(0) lgkmcnt(0)
	v_mul_f64 v[60:61], s[24:25], v[2:3]
.LBB171_42:                             ;   in Loop: Header=BB171_34 Depth=1
	s_or_b32 exec_lo, exec_lo, s34
	s_or_b32 s7, s6, vcc_lo
	s_delay_alu instid0(SALU_CYCLE_1) | instskip(SKIP_2) | instid1(SALU_CYCLE_1)
	v_cndmask_b32_e64 v63, 0, 0x7fefffff, s7
	v_cndmask_b32_e64 v62, 0, -1, s7
	s_or_b32 s7, s23, s7
	s_xor_b32 s34, s7, -1
	s_delay_alu instid0(SALU_CYCLE_1)
	s_and_saveexec_b32 s7, s34
	s_cbranch_execz .LBB171_44
; %bb.43:                               ;   in Loop: Header=BB171_34 Depth=1
	v_add_co_u32 v0, vcc_lo, v0, v52
	v_add_co_ci_u32_e32 v1, vcc_lo, v1, v53, vcc_lo
	flat_load_b64 v[0:1], v[0:1] offset:1536
	s_waitcnt vmcnt(0) lgkmcnt(0)
	v_mul_f64 v[62:63], s[24:25], v[0:1]
.LBB171_44:                             ;   in Loop: Header=BB171_34 Depth=1
	s_or_b32 exec_lo, exec_lo, s7
	s_mov_b32 s34, 0
	s_mov_b32 s7, -1
.LBB171_45:                             ;   Parent Loop BB171_34 Depth=1
                                        ; =>  This Inner Loop Header: Depth=2
	s_lshl_b32 s34, s34, 3
	s_and_not1_b32 vcc_lo, exec_lo, s7
	v_lshl_add_u32 v0, v120, 5, s34
	v_lshl_add_u32 v16, v121, 5, s34
	s_mov_b32 s34, 2
	s_mov_b32 s7, 0
	ds_load_b128 v[32:35], v0 offset:18432
	ds_load_b128 v[28:31], v0 offset:18688
	;; [unrolled: 1-line block ×16, first 2 shown]
	s_waitcnt lgkmcnt(7)
	v_add_f64 v[149:150], v[34:35], v[139:140]
	v_add_f64 v[151:152], v[32:33], v[137:138]
	s_delay_alu instid0(VALU_DEP_2) | instskip(NEXT) | instid1(VALU_DEP_2)
	v_cvt_f32_f64_e32 v149, v[149:150]
	v_cvt_f32_f64_e32 v151, v[151:152]
	s_delay_alu instid0(VALU_DEP_1) | instskip(SKIP_2) | instid1(VALU_DEP_2)
	v_min3_f32 v131, v151, v149, v131
	v_add_f64 v[149:150], v[30:31], v[139:140]
	v_add_f64 v[151:152], v[28:29], v[137:138]
	v_cvt_f32_f64_e32 v149, v[149:150]
	s_delay_alu instid0(VALU_DEP_2) | instskip(NEXT) | instid1(VALU_DEP_1)
	v_cvt_f32_f64_e32 v151, v[151:152]
	v_min3_f32 v130, v151, v149, v130
	v_add_f64 v[149:150], v[26:27], v[139:140]
	v_add_f64 v[151:152], v[24:25], v[137:138]
	s_delay_alu instid0(VALU_DEP_2) | instskip(NEXT) | instid1(VALU_DEP_2)
	v_cvt_f32_f64_e32 v149, v[149:150]
	v_cvt_f32_f64_e32 v151, v[151:152]
	s_delay_alu instid0(VALU_DEP_1) | instskip(SKIP_2) | instid1(VALU_DEP_2)
	v_min3_f32 v129, v151, v149, v129
	v_add_f64 v[149:150], v[22:23], v[139:140]
	v_add_f64 v[151:152], v[20:21], v[137:138]
	v_cvt_f32_f64_e32 v149, v[149:150]
	s_delay_alu instid0(VALU_DEP_2) | instskip(NEXT) | instid1(VALU_DEP_1)
	v_cvt_f32_f64_e32 v151, v[151:152]
	v_min3_f32 v128, v151, v149, v128
	;; [unrolled: 13-line block ×3, first 2 shown]
	v_add_f64 v[149:150], v[6:7], v[139:140]
	v_add_f64 v[151:152], v[4:5], v[137:138]
	;; [unrolled: 1-line block ×4, first 2 shown]
	s_delay_alu instid0(VALU_DEP_4) | instskip(NEXT) | instid1(VALU_DEP_4)
	v_cvt_f32_f64_e32 v149, v[149:150]
	v_cvt_f32_f64_e32 v151, v[151:152]
	s_delay_alu instid0(VALU_DEP_3) | instskip(SKIP_3) | instid1(VALU_DEP_4)
	v_cvt_f32_f64_e32 v137, v[137:138]
	v_cvt_f32_f64_e32 v138, v[139:140]
	s_waitcnt lgkmcnt(6)
	v_add_f64 v[139:140], v[32:33], v[141:142]
	v_min3_f32 v125, v151, v149, v125
	s_delay_alu instid0(VALU_DEP_3) | instskip(SKIP_1) | instid1(VALU_DEP_4)
	v_min3_f32 v124, v137, v138, v124
	v_add_f64 v[137:138], v[34:35], v[143:144]
	v_cvt_f32_f64_e32 v139, v[139:140]
	s_delay_alu instid0(VALU_DEP_2) | instskip(NEXT) | instid1(VALU_DEP_1)
	v_cvt_f32_f64_e32 v137, v[137:138]
	v_min3_f32 v123, v139, v137, v123
	v_add_f64 v[137:138], v[30:31], v[143:144]
	v_add_f64 v[139:140], v[28:29], v[141:142]
	s_delay_alu instid0(VALU_DEP_2) | instskip(NEXT) | instid1(VALU_DEP_2)
	v_cvt_f32_f64_e32 v137, v[137:138]
	v_cvt_f32_f64_e32 v139, v[139:140]
	s_delay_alu instid0(VALU_DEP_1) | instskip(SKIP_2) | instid1(VALU_DEP_2)
	v_min3_f32 v122, v139, v137, v122
	v_add_f64 v[137:138], v[26:27], v[143:144]
	v_add_f64 v[139:140], v[24:25], v[141:142]
	v_cvt_f32_f64_e32 v137, v[137:138]
	s_delay_alu instid0(VALU_DEP_2) | instskip(NEXT) | instid1(VALU_DEP_1)
	v_cvt_f32_f64_e32 v139, v[139:140]
	v_min3_f32 v119, v139, v137, v119
	v_add_f64 v[137:138], v[22:23], v[143:144]
	v_add_f64 v[139:140], v[20:21], v[141:142]
	s_delay_alu instid0(VALU_DEP_2) | instskip(NEXT) | instid1(VALU_DEP_2)
	v_cvt_f32_f64_e32 v137, v[137:138]
	v_cvt_f32_f64_e32 v139, v[139:140]
	s_delay_alu instid0(VALU_DEP_1) | instskip(SKIP_2) | instid1(VALU_DEP_2)
	v_min3_f32 v118, v139, v137, v118
	v_add_f64 v[137:138], v[14:15], v[143:144]
	;; [unrolled: 13-line block ×3, first 2 shown]
	v_add_f64 v[139:140], v[4:5], v[141:142]
	v_cvt_f32_f64_e32 v137, v[137:138]
	s_delay_alu instid0(VALU_DEP_2) | instskip(NEXT) | instid1(VALU_DEP_1)
	v_cvt_f32_f64_e32 v139, v[139:140]
	v_min3_f32 v115, v139, v137, v115
	v_add_f64 v[137:138], v[2:3], v[143:144]
	v_add_f64 v[139:140], v[0:1], v[141:142]
	s_delay_alu instid0(VALU_DEP_2) | instskip(NEXT) | instid1(VALU_DEP_2)
	v_cvt_f32_f64_e32 v137, v[137:138]
	v_cvt_f32_f64_e32 v139, v[139:140]
	s_delay_alu instid0(VALU_DEP_1) | instskip(SKIP_3) | instid1(VALU_DEP_2)
	v_min3_f32 v114, v139, v137, v114
	s_waitcnt lgkmcnt(5)
	v_add_f64 v[137:138], v[34:35], v[147:148]
	v_add_f64 v[139:140], v[32:33], v[145:146]
	v_cvt_f32_f64_e32 v137, v[137:138]
	s_delay_alu instid0(VALU_DEP_2) | instskip(NEXT) | instid1(VALU_DEP_1)
	v_cvt_f32_f64_e32 v139, v[139:140]
	v_min3_f32 v113, v139, v137, v113
	v_add_f64 v[137:138], v[30:31], v[147:148]
	v_add_f64 v[139:140], v[28:29], v[145:146]
	s_delay_alu instid0(VALU_DEP_2) | instskip(NEXT) | instid1(VALU_DEP_2)
	v_cvt_f32_f64_e32 v137, v[137:138]
	v_cvt_f32_f64_e32 v139, v[139:140]
	s_delay_alu instid0(VALU_DEP_1) | instskip(SKIP_2) | instid1(VALU_DEP_2)
	v_min3_f32 v112, v139, v137, v112
	v_add_f64 v[137:138], v[26:27], v[147:148]
	v_add_f64 v[139:140], v[24:25], v[145:146]
	v_cvt_f32_f64_e32 v137, v[137:138]
	s_delay_alu instid0(VALU_DEP_2) | instskip(NEXT) | instid1(VALU_DEP_1)
	v_cvt_f32_f64_e32 v139, v[139:140]
	v_min3_f32 v111, v139, v137, v111
	v_add_f64 v[137:138], v[22:23], v[147:148]
	v_add_f64 v[139:140], v[20:21], v[145:146]
	s_delay_alu instid0(VALU_DEP_2) | instskip(NEXT) | instid1(VALU_DEP_2)
	v_cvt_f32_f64_e32 v137, v[137:138]
	v_cvt_f32_f64_e32 v139, v[139:140]
	s_delay_alu instid0(VALU_DEP_1) | instskip(SKIP_2) | instid1(VALU_DEP_2)
	v_min3_f32 v110, v139, v137, v110
	v_add_f64 v[137:138], v[14:15], v[147:148]
	v_add_f64 v[139:140], v[12:13], v[145:146]
	v_cvt_f32_f64_e32 v137, v[137:138]
	s_delay_alu instid0(VALU_DEP_2) | instskip(NEXT) | instid1(VALU_DEP_1)
	v_cvt_f32_f64_e32 v139, v[139:140]
	v_min3_f32 v109, v139, v137, v109
	v_add_f64 v[137:138], v[10:11], v[147:148]
	v_add_f64 v[139:140], v[8:9], v[145:146]
	s_delay_alu instid0(VALU_DEP_2) | instskip(NEXT) | instid1(VALU_DEP_2)
	v_cvt_f32_f64_e32 v137, v[137:138]
	v_cvt_f32_f64_e32 v139, v[139:140]
	s_delay_alu instid0(VALU_DEP_1) | instskip(SKIP_2) | instid1(VALU_DEP_2)
	v_min3_f32 v108, v139, v137, v108
	v_add_f64 v[137:138], v[6:7], v[147:148]
	v_add_f64 v[139:140], v[4:5], v[145:146]
	v_cvt_f32_f64_e32 v137, v[137:138]
	s_delay_alu instid0(VALU_DEP_2) | instskip(NEXT) | instid1(VALU_DEP_1)
	v_cvt_f32_f64_e32 v139, v[139:140]
	v_min3_f32 v107, v139, v137, v107
	v_add_f64 v[137:138], v[2:3], v[147:148]
	v_add_f64 v[139:140], v[0:1], v[145:146]
	s_delay_alu instid0(VALU_DEP_2) | instskip(NEXT) | instid1(VALU_DEP_2)
	v_cvt_f32_f64_e32 v137, v[137:138]
	v_cvt_f32_f64_e32 v139, v[139:140]
	s_delay_alu instid0(VALU_DEP_1) | instskip(SKIP_3) | instid1(VALU_DEP_2)
	v_min3_f32 v106, v139, v137, v106
	s_waitcnt lgkmcnt(4)
	v_add_f64 v[137:138], v[34:35], v[50:51]
	v_add_f64 v[139:140], v[32:33], v[48:49]
	v_cvt_f32_f64_e32 v137, v[137:138]
	s_delay_alu instid0(VALU_DEP_2) | instskip(NEXT) | instid1(VALU_DEP_1)
	v_cvt_f32_f64_e32 v139, v[139:140]
	v_min3_f32 v105, v139, v137, v105
	v_add_f64 v[137:138], v[30:31], v[50:51]
	v_add_f64 v[139:140], v[28:29], v[48:49]
	s_delay_alu instid0(VALU_DEP_2) | instskip(NEXT) | instid1(VALU_DEP_2)
	v_cvt_f32_f64_e32 v137, v[137:138]
	v_cvt_f32_f64_e32 v139, v[139:140]
	s_delay_alu instid0(VALU_DEP_1) | instskip(SKIP_2) | instid1(VALU_DEP_2)
	v_min3_f32 v104, v139, v137, v104
	v_add_f64 v[137:138], v[26:27], v[50:51]
	v_add_f64 v[139:140], v[24:25], v[48:49]
	v_cvt_f32_f64_e32 v137, v[137:138]
	s_delay_alu instid0(VALU_DEP_2) | instskip(NEXT) | instid1(VALU_DEP_1)
	v_cvt_f32_f64_e32 v139, v[139:140]
	v_min3_f32 v103, v139, v137, v103
	v_add_f64 v[137:138], v[22:23], v[50:51]
	v_add_f64 v[139:140], v[20:21], v[48:49]
	s_delay_alu instid0(VALU_DEP_2) | instskip(NEXT) | instid1(VALU_DEP_2)
	v_cvt_f32_f64_e32 v137, v[137:138]
	v_cvt_f32_f64_e32 v139, v[139:140]
	s_delay_alu instid0(VALU_DEP_1) | instskip(SKIP_2) | instid1(VALU_DEP_2)
	v_min3_f32 v102, v139, v137, v102
	v_add_f64 v[137:138], v[14:15], v[50:51]
	v_add_f64 v[139:140], v[12:13], v[48:49]
	v_cvt_f32_f64_e32 v137, v[137:138]
	s_delay_alu instid0(VALU_DEP_2) | instskip(NEXT) | instid1(VALU_DEP_1)
	v_cvt_f32_f64_e32 v139, v[139:140]
	v_min3_f32 v101, v139, v137, v101
	v_add_f64 v[137:138], v[10:11], v[50:51]
	v_add_f64 v[139:140], v[8:9], v[48:49]
	s_delay_alu instid0(VALU_DEP_2) | instskip(NEXT) | instid1(VALU_DEP_2)
	v_cvt_f32_f64_e32 v137, v[137:138]
	v_cvt_f32_f64_e32 v139, v[139:140]
	s_delay_alu instid0(VALU_DEP_1) | instskip(SKIP_4) | instid1(VALU_DEP_4)
	v_min3_f32 v100, v139, v137, v100
	v_add_f64 v[137:138], v[6:7], v[50:51]
	v_add_f64 v[139:140], v[4:5], v[48:49]
	;; [unrolled: 1-line block ×4, first 2 shown]
	v_cvt_f32_f64_e32 v137, v[137:138]
	s_delay_alu instid0(VALU_DEP_4) | instskip(NEXT) | instid1(VALU_DEP_3)
	v_cvt_f32_f64_e32 v139, v[139:140]
	v_cvt_f32_f64_e32 v48, v[48:49]
	;; [unrolled: 1-line block ×3, first 2 shown]
	s_waitcnt lgkmcnt(3)
	v_add_f64 v[50:51], v[32:33], v[44:45]
	s_delay_alu instid0(VALU_DEP_4) | instskip(NEXT) | instid1(VALU_DEP_3)
	v_min3_f32 v99, v139, v137, v99
	v_min3_f32 v98, v48, v49, v98
	v_add_f64 v[48:49], v[34:35], v[46:47]
	s_delay_alu instid0(VALU_DEP_4) | instskip(NEXT) | instid1(VALU_DEP_2)
	v_cvt_f32_f64_e32 v50, v[50:51]
	v_cvt_f32_f64_e32 v48, v[48:49]
	s_delay_alu instid0(VALU_DEP_1) | instskip(SKIP_2) | instid1(VALU_DEP_2)
	v_min3_f32 v97, v50, v48, v97
	v_add_f64 v[48:49], v[30:31], v[46:47]
	v_add_f64 v[50:51], v[28:29], v[44:45]
	v_cvt_f32_f64_e32 v48, v[48:49]
	s_delay_alu instid0(VALU_DEP_2) | instskip(NEXT) | instid1(VALU_DEP_1)
	v_cvt_f32_f64_e32 v50, v[50:51]
	v_min3_f32 v96, v50, v48, v96
	v_add_f64 v[48:49], v[26:27], v[46:47]
	v_add_f64 v[50:51], v[24:25], v[44:45]
	s_delay_alu instid0(VALU_DEP_2) | instskip(NEXT) | instid1(VALU_DEP_2)
	v_cvt_f32_f64_e32 v48, v[48:49]
	v_cvt_f32_f64_e32 v50, v[50:51]
	s_delay_alu instid0(VALU_DEP_1) | instskip(SKIP_2) | instid1(VALU_DEP_2)
	v_min3_f32 v95, v50, v48, v95
	v_add_f64 v[48:49], v[22:23], v[46:47]
	v_add_f64 v[50:51], v[20:21], v[44:45]
	v_cvt_f32_f64_e32 v48, v[48:49]
	s_delay_alu instid0(VALU_DEP_2) | instskip(NEXT) | instid1(VALU_DEP_1)
	v_cvt_f32_f64_e32 v50, v[50:51]
	v_min3_f32 v94, v50, v48, v94
	v_add_f64 v[48:49], v[14:15], v[46:47]
	v_add_f64 v[50:51], v[12:13], v[44:45]
	s_delay_alu instid0(VALU_DEP_2) | instskip(NEXT) | instid1(VALU_DEP_2)
	v_cvt_f32_f64_e32 v48, v[48:49]
	v_cvt_f32_f64_e32 v50, v[50:51]
	s_delay_alu instid0(VALU_DEP_1) | instskip(SKIP_2) | instid1(VALU_DEP_2)
	v_min3_f32 v93, v50, v48, v93
	v_add_f64 v[48:49], v[10:11], v[46:47]
	v_add_f64 v[50:51], v[8:9], v[44:45]
	v_cvt_f32_f64_e32 v48, v[48:49]
	s_delay_alu instid0(VALU_DEP_2) | instskip(NEXT) | instid1(VALU_DEP_1)
	v_cvt_f32_f64_e32 v50, v[50:51]
	v_min3_f32 v92, v50, v48, v92
	v_add_f64 v[48:49], v[6:7], v[46:47]
	v_add_f64 v[50:51], v[4:5], v[44:45]
	;; [unrolled: 1-line block ×4, first 2 shown]
	s_delay_alu instid0(VALU_DEP_4) | instskip(NEXT) | instid1(VALU_DEP_4)
	v_cvt_f32_f64_e32 v48, v[48:49]
	v_cvt_f32_f64_e32 v50, v[50:51]
	s_delay_alu instid0(VALU_DEP_3) | instskip(SKIP_3) | instid1(VALU_DEP_4)
	v_cvt_f32_f64_e32 v44, v[44:45]
	v_cvt_f32_f64_e32 v45, v[46:47]
	s_waitcnt lgkmcnt(2)
	v_add_f64 v[46:47], v[32:33], v[40:41]
	v_min3_f32 v91, v50, v48, v91
	s_delay_alu instid0(VALU_DEP_3) | instskip(SKIP_1) | instid1(VALU_DEP_4)
	v_min3_f32 v90, v44, v45, v90
	v_add_f64 v[44:45], v[34:35], v[42:43]
	v_cvt_f32_f64_e32 v46, v[46:47]
	s_delay_alu instid0(VALU_DEP_2) | instskip(NEXT) | instid1(VALU_DEP_1)
	v_cvt_f32_f64_e32 v44, v[44:45]
	v_min3_f32 v89, v46, v44, v89
	v_add_f64 v[44:45], v[30:31], v[42:43]
	v_add_f64 v[46:47], v[28:29], v[40:41]
	s_delay_alu instid0(VALU_DEP_2) | instskip(NEXT) | instid1(VALU_DEP_2)
	v_cvt_f32_f64_e32 v44, v[44:45]
	v_cvt_f32_f64_e32 v46, v[46:47]
	s_delay_alu instid0(VALU_DEP_1) | instskip(SKIP_2) | instid1(VALU_DEP_2)
	v_min3_f32 v88, v46, v44, v88
	v_add_f64 v[44:45], v[26:27], v[42:43]
	v_add_f64 v[46:47], v[24:25], v[40:41]
	v_cvt_f32_f64_e32 v44, v[44:45]
	s_delay_alu instid0(VALU_DEP_2) | instskip(NEXT) | instid1(VALU_DEP_1)
	v_cvt_f32_f64_e32 v46, v[46:47]
	v_min3_f32 v87, v46, v44, v87
	v_add_f64 v[44:45], v[22:23], v[42:43]
	v_add_f64 v[46:47], v[20:21], v[40:41]
	s_delay_alu instid0(VALU_DEP_2) | instskip(NEXT) | instid1(VALU_DEP_2)
	v_cvt_f32_f64_e32 v44, v[44:45]
	v_cvt_f32_f64_e32 v46, v[46:47]
	s_delay_alu instid0(VALU_DEP_1) | instskip(SKIP_2) | instid1(VALU_DEP_2)
	v_min3_f32 v86, v46, v44, v86
	v_add_f64 v[44:45], v[14:15], v[42:43]
	v_add_f64 v[46:47], v[12:13], v[40:41]
	v_cvt_f32_f64_e32 v44, v[44:45]
	s_delay_alu instid0(VALU_DEP_2) | instskip(NEXT) | instid1(VALU_DEP_1)
	v_cvt_f32_f64_e32 v46, v[46:47]
	v_min3_f32 v85, v46, v44, v85
	v_add_f64 v[44:45], v[10:11], v[42:43]
	v_add_f64 v[46:47], v[8:9], v[40:41]
	s_delay_alu instid0(VALU_DEP_2) | instskip(NEXT) | instid1(VALU_DEP_2)
	v_cvt_f32_f64_e32 v44, v[44:45]
	v_cvt_f32_f64_e32 v46, v[46:47]
	s_delay_alu instid0(VALU_DEP_1) | instskip(SKIP_4) | instid1(VALU_DEP_4)
	v_min3_f32 v84, v46, v44, v84
	v_add_f64 v[44:45], v[6:7], v[42:43]
	v_add_f64 v[46:47], v[4:5], v[40:41]
	;; [unrolled: 1-line block ×4, first 2 shown]
	v_cvt_f32_f64_e32 v44, v[44:45]
	s_delay_alu instid0(VALU_DEP_4) | instskip(NEXT) | instid1(VALU_DEP_3)
	v_cvt_f32_f64_e32 v46, v[46:47]
	v_cvt_f32_f64_e32 v40, v[40:41]
	;; [unrolled: 1-line block ×3, first 2 shown]
	s_waitcnt lgkmcnt(1)
	v_add_f64 v[42:43], v[32:33], v[36:37]
	s_waitcnt lgkmcnt(0)
	v_add_f64 v[32:33], v[32:33], v[16:17]
	v_min3_f32 v83, v46, v44, v83
	s_delay_alu instid0(VALU_DEP_4) | instskip(SKIP_4) | instid1(VALU_DEP_4)
	v_min3_f32 v82, v40, v41, v82
	v_add_f64 v[40:41], v[34:35], v[38:39]
	v_cvt_f32_f64_e32 v42, v[42:43]
	v_add_f64 v[34:35], v[34:35], v[18:19]
	v_cvt_f32_f64_e32 v32, v[32:33]
	v_cvt_f32_f64_e32 v40, v[40:41]
	s_delay_alu instid0(VALU_DEP_3) | instskip(NEXT) | instid1(VALU_DEP_2)
	v_cvt_f32_f64_e32 v33, v[34:35]
	v_min3_f32 v81, v42, v40, v81
	v_add_f64 v[40:41], v[30:31], v[38:39]
	v_add_f64 v[42:43], v[28:29], v[36:37]
	v_add_f64 v[30:31], v[30:31], v[18:19]
	v_add_f64 v[28:29], v[28:29], v[16:17]
	v_min3_f32 v73, v32, v33, v73
	v_cvt_f32_f64_e32 v40, v[40:41]
	v_cvt_f32_f64_e32 v42, v[42:43]
	s_delay_alu instid0(VALU_DEP_4) | instskip(SKIP_1) | instid1(VALU_DEP_3)
	v_cvt_f32_f64_e32 v28, v[28:29]
	v_cvt_f32_f64_e32 v29, v[30:31]
	v_min3_f32 v80, v42, v40, v80
	v_add_f64 v[40:41], v[26:27], v[38:39]
	v_add_f64 v[42:43], v[24:25], v[36:37]
	v_add_f64 v[26:27], v[26:27], v[18:19]
	v_add_f64 v[24:25], v[24:25], v[16:17]
	v_min3_f32 v72, v28, v29, v72
	v_cvt_f32_f64_e32 v40, v[40:41]
	v_cvt_f32_f64_e32 v42, v[42:43]
	s_delay_alu instid0(VALU_DEP_4) | instskip(SKIP_1) | instid1(VALU_DEP_3)
	v_cvt_f32_f64_e32 v24, v[24:25]
	;; [unrolled: 11-line block ×5, first 2 shown]
	v_cvt_f32_f64_e32 v9, v[10:11]
	v_min3_f32 v76, v42, v40, v76
	v_add_f64 v[40:41], v[6:7], v[38:39]
	v_add_f64 v[42:43], v[4:5], v[36:37]
	;; [unrolled: 1-line block ×8, first 2 shown]
	v_min3_f32 v68, v8, v9, v68
	v_cvt_f32_f64_e32 v40, v[40:41]
	v_cvt_f32_f64_e32 v42, v[42:43]
	;; [unrolled: 1-line block ×8, first 2 shown]
	v_min3_f32 v75, v42, v40, v75
	v_min3_f32 v74, v36, v37, v74
	;; [unrolled: 1-line block ×3, first 2 shown]
	s_delay_alu instid0(VALU_DEP_4)
	v_min3_f32 v66, v0, v1, v66
	s_cbranch_vccz .LBB171_45
; %bb.46:                               ;   in Loop: Header=BB171_34 Depth=1
	v_add3_u32 v0, v132, s33, 4
	ds_store_b64 v134, v[54:55]
	ds_store_2addr_stride64_b64 v133, v[56:57], v[58:59] offset1:4
	ds_store_2addr_stride64_b64 v133, v[60:61], v[62:63] offset0:8 offset1:12
	s_waitcnt lgkmcnt(0)
	s_barrier
	buffer_gl0_inv
	v_cmp_le_i32_e32 vcc_lo, s18, v0
	s_or_b32 s7, s2, vcc_lo
	s_delay_alu instid0(SALU_CYCLE_1) | instskip(SKIP_2) | instid1(SALU_CYCLE_1)
	v_cndmask_b32_e64 v55, 0, 0x7fefffff, s7
	v_cndmask_b32_e64 v54, 0, -1, s7
	s_or_b32 s7, s23, s7
	s_xor_b32 s7, s7, -1
	s_delay_alu instid0(SALU_CYCLE_1)
	s_and_saveexec_b32 s34, s7
	s_cbranch_execz .LBB171_48
; %bb.47:                               ;   in Loop: Header=BB171_34 Depth=1
	v_mad_u64_u32 v[1:2], null, v0, s19, 0
	s_delay_alu instid0(VALU_DEP_1) | instskip(NEXT) | instid1(VALU_DEP_1)
	v_mad_u64_u32 v[3:4], null, v0, s30, v[2:3]
	v_mov_b32_e32 v2, v3
	s_delay_alu instid0(VALU_DEP_1) | instskip(NEXT) | instid1(VALU_DEP_1)
	v_lshlrev_b64 v[1:2], 3, v[1:2]
	v_add_co_u32 v1, s7, v135, v1
	s_delay_alu instid0(VALU_DEP_1)
	v_add_co_ci_u32_e64 v2, s7, v136, v2, s7
	flat_load_b64 v[1:2], v[1:2]
	s_waitcnt vmcnt(0) lgkmcnt(0)
	v_mul_f64 v[54:55], s[24:25], v[1:2]
.LBB171_48:                             ;   in Loop: Header=BB171_34 Depth=1
	s_or_b32 exec_lo, exec_lo, s34
	v_min_i32_e32 v2, s14, v0
	s_or_b32 s34, s3, vcc_lo
	s_delay_alu instid0(SALU_CYCLE_1) | instskip(SKIP_1) | instid1(VALU_DEP_3)
	v_cndmask_b32_e64 v57, 0, 0x7fefffff, s34
	v_cndmask_b32_e64 v56, 0, -1, s34
	v_mad_i64_i32 v[0:1], null, v2, s31, 0
	s_delay_alu instid0(VALU_DEP_1) | instskip(NEXT) | instid1(VALU_DEP_1)
	v_lshlrev_b64 v[0:1], 3, v[0:1]
	v_add_co_u32 v0, s7, s26, v0
	s_delay_alu instid0(VALU_DEP_1) | instskip(SKIP_1) | instid1(SALU_CYCLE_1)
	v_add_co_ci_u32_e64 v1, s7, s27, v1, s7
	s_or_b32 s7, s23, s34
	s_xor_b32 s7, s7, -1
	s_delay_alu instid0(SALU_CYCLE_1)
	s_and_saveexec_b32 s34, s7
	s_cbranch_execz .LBB171_50
; %bb.49:                               ;   in Loop: Header=BB171_34 Depth=1
	v_add_co_u32 v2, s7, v0, v52
	s_delay_alu instid0(VALU_DEP_1)
	v_add_co_ci_u32_e64 v3, s7, v1, v53, s7
	flat_load_b64 v[2:3], v[2:3]
	s_waitcnt vmcnt(0) lgkmcnt(0)
	v_mul_f64 v[56:57], s[24:25], v[2:3]
.LBB171_50:                             ;   in Loop: Header=BB171_34 Depth=1
	s_or_b32 exec_lo, exec_lo, s34
	s_or_b32 s7, s4, vcc_lo
	s_delay_alu instid0(SALU_CYCLE_1) | instskip(SKIP_2) | instid1(SALU_CYCLE_1)
	v_cndmask_b32_e64 v59, 0, 0x7fefffff, s7
	v_cndmask_b32_e64 v58, 0, -1, s7
	s_or_b32 s7, s23, s7
	s_xor_b32 s7, s7, -1
	s_delay_alu instid0(SALU_CYCLE_1)
	s_and_saveexec_b32 s34, s7
	s_cbranch_execz .LBB171_52
; %bb.51:                               ;   in Loop: Header=BB171_34 Depth=1
	v_add_co_u32 v2, s7, v0, v52
	s_delay_alu instid0(VALU_DEP_1)
	v_add_co_ci_u32_e64 v3, s7, v1, v53, s7
	flat_load_b64 v[2:3], v[2:3] offset:512
	s_waitcnt vmcnt(0) lgkmcnt(0)
	v_mul_f64 v[58:59], s[24:25], v[2:3]
.LBB171_52:                             ;   in Loop: Header=BB171_34 Depth=1
	s_or_b32 exec_lo, exec_lo, s34
	s_or_b32 s7, s5, vcc_lo
	s_delay_alu instid0(SALU_CYCLE_1) | instskip(SKIP_2) | instid1(SALU_CYCLE_1)
	v_cndmask_b32_e64 v61, 0, 0x7fefffff, s7
	v_cndmask_b32_e64 v60, 0, -1, s7
	s_or_b32 s7, s23, s7
	s_xor_b32 s7, s7, -1
	s_delay_alu instid0(SALU_CYCLE_1)
	s_and_saveexec_b32 s34, s7
	s_cbranch_execz .LBB171_54
; %bb.53:                               ;   in Loop: Header=BB171_34 Depth=1
	v_add_co_u32 v2, s7, v0, v52
	s_delay_alu instid0(VALU_DEP_1)
	v_add_co_ci_u32_e64 v3, s7, v1, v53, s7
	flat_load_b64 v[2:3], v[2:3] offset:1024
	s_waitcnt vmcnt(0) lgkmcnt(0)
	v_mul_f64 v[60:61], s[24:25], v[2:3]
.LBB171_54:                             ;   in Loop: Header=BB171_34 Depth=1
	s_or_b32 exec_lo, exec_lo, s34
	s_or_b32 s7, s6, vcc_lo
	s_delay_alu instid0(SALU_CYCLE_1) | instskip(SKIP_2) | instid1(SALU_CYCLE_1)
	v_cndmask_b32_e64 v63, 0, 0x7fefffff, s7
	v_cndmask_b32_e64 v62, 0, -1, s7
	s_or_b32 s7, s23, s7
	s_xor_b32 s34, s7, -1
	s_delay_alu instid0(SALU_CYCLE_1)
	s_and_saveexec_b32 s7, s34
	s_cbranch_execz .LBB171_56
; %bb.55:                               ;   in Loop: Header=BB171_34 Depth=1
	v_add_co_u32 v0, vcc_lo, v0, v52
	v_add_co_ci_u32_e32 v1, vcc_lo, v1, v53, vcc_lo
	flat_load_b64 v[0:1], v[0:1] offset:1536
	s_waitcnt vmcnt(0) lgkmcnt(0)
	v_mul_f64 v[62:63], s[24:25], v[0:1]
.LBB171_56:                             ;   in Loop: Header=BB171_34 Depth=1
	s_or_b32 exec_lo, exec_lo, s7
	s_mov_b32 s34, 0
	s_mov_b32 s7, -1
.LBB171_57:                             ;   Parent Loop BB171_34 Depth=1
                                        ; =>  This Inner Loop Header: Depth=2
	s_lshl_b32 s34, s34, 3
	s_and_not1_b32 vcc_lo, exec_lo, s7
	v_lshl_add_u32 v0, v120, 5, s34
	v_lshl_add_u32 v16, v121, 5, s34
	s_mov_b32 s34, 2
	s_mov_b32 s7, 0
	ds_load_b128 v[32:35], v0 offset:16384
	ds_load_b128 v[28:31], v0 offset:16640
	;; [unrolled: 1-line block ×8, first 2 shown]
	ds_load_b128 v[137:140], v16
	ds_load_b128 v[141:144], v16 offset:1024
	ds_load_b128 v[145:148], v16 offset:2048
	;; [unrolled: 1-line block ×7, first 2 shown]
	s_waitcnt lgkmcnt(7)
	v_add_f64 v[149:150], v[34:35], v[139:140]
	v_add_f64 v[151:152], v[32:33], v[137:138]
	s_delay_alu instid0(VALU_DEP_2) | instskip(NEXT) | instid1(VALU_DEP_2)
	v_cvt_f32_f64_e32 v149, v[149:150]
	v_cvt_f32_f64_e32 v151, v[151:152]
	s_delay_alu instid0(VALU_DEP_1) | instskip(SKIP_2) | instid1(VALU_DEP_2)
	v_min3_f32 v131, v151, v149, v131
	v_add_f64 v[149:150], v[30:31], v[139:140]
	v_add_f64 v[151:152], v[28:29], v[137:138]
	v_cvt_f32_f64_e32 v149, v[149:150]
	s_delay_alu instid0(VALU_DEP_2) | instskip(NEXT) | instid1(VALU_DEP_1)
	v_cvt_f32_f64_e32 v151, v[151:152]
	v_min3_f32 v130, v151, v149, v130
	v_add_f64 v[149:150], v[26:27], v[139:140]
	v_add_f64 v[151:152], v[24:25], v[137:138]
	s_delay_alu instid0(VALU_DEP_2) | instskip(NEXT) | instid1(VALU_DEP_2)
	v_cvt_f32_f64_e32 v149, v[149:150]
	v_cvt_f32_f64_e32 v151, v[151:152]
	s_delay_alu instid0(VALU_DEP_1) | instskip(SKIP_2) | instid1(VALU_DEP_2)
	v_min3_f32 v129, v151, v149, v129
	v_add_f64 v[149:150], v[22:23], v[139:140]
	v_add_f64 v[151:152], v[20:21], v[137:138]
	v_cvt_f32_f64_e32 v149, v[149:150]
	s_delay_alu instid0(VALU_DEP_2) | instskip(NEXT) | instid1(VALU_DEP_1)
	v_cvt_f32_f64_e32 v151, v[151:152]
	v_min3_f32 v128, v151, v149, v128
	;; [unrolled: 13-line block ×3, first 2 shown]
	v_add_f64 v[149:150], v[6:7], v[139:140]
	v_add_f64 v[151:152], v[4:5], v[137:138]
	;; [unrolled: 1-line block ×4, first 2 shown]
	s_delay_alu instid0(VALU_DEP_4) | instskip(NEXT) | instid1(VALU_DEP_4)
	v_cvt_f32_f64_e32 v149, v[149:150]
	v_cvt_f32_f64_e32 v151, v[151:152]
	s_delay_alu instid0(VALU_DEP_3) | instskip(SKIP_3) | instid1(VALU_DEP_4)
	v_cvt_f32_f64_e32 v137, v[137:138]
	v_cvt_f32_f64_e32 v138, v[139:140]
	s_waitcnt lgkmcnt(6)
	v_add_f64 v[139:140], v[32:33], v[141:142]
	v_min3_f32 v125, v151, v149, v125
	s_delay_alu instid0(VALU_DEP_3) | instskip(SKIP_1) | instid1(VALU_DEP_4)
	v_min3_f32 v124, v137, v138, v124
	v_add_f64 v[137:138], v[34:35], v[143:144]
	v_cvt_f32_f64_e32 v139, v[139:140]
	s_delay_alu instid0(VALU_DEP_2) | instskip(NEXT) | instid1(VALU_DEP_1)
	v_cvt_f32_f64_e32 v137, v[137:138]
	v_min3_f32 v123, v139, v137, v123
	v_add_f64 v[137:138], v[30:31], v[143:144]
	v_add_f64 v[139:140], v[28:29], v[141:142]
	s_delay_alu instid0(VALU_DEP_2) | instskip(NEXT) | instid1(VALU_DEP_2)
	v_cvt_f32_f64_e32 v137, v[137:138]
	v_cvt_f32_f64_e32 v139, v[139:140]
	s_delay_alu instid0(VALU_DEP_1) | instskip(SKIP_2) | instid1(VALU_DEP_2)
	v_min3_f32 v122, v139, v137, v122
	v_add_f64 v[137:138], v[26:27], v[143:144]
	v_add_f64 v[139:140], v[24:25], v[141:142]
	v_cvt_f32_f64_e32 v137, v[137:138]
	s_delay_alu instid0(VALU_DEP_2) | instskip(NEXT) | instid1(VALU_DEP_1)
	v_cvt_f32_f64_e32 v139, v[139:140]
	v_min3_f32 v119, v139, v137, v119
	v_add_f64 v[137:138], v[22:23], v[143:144]
	v_add_f64 v[139:140], v[20:21], v[141:142]
	s_delay_alu instid0(VALU_DEP_2) | instskip(NEXT) | instid1(VALU_DEP_2)
	v_cvt_f32_f64_e32 v137, v[137:138]
	v_cvt_f32_f64_e32 v139, v[139:140]
	s_delay_alu instid0(VALU_DEP_1) | instskip(SKIP_2) | instid1(VALU_DEP_2)
	v_min3_f32 v118, v139, v137, v118
	v_add_f64 v[137:138], v[14:15], v[143:144]
	;; [unrolled: 13-line block ×3, first 2 shown]
	v_add_f64 v[139:140], v[4:5], v[141:142]
	v_cvt_f32_f64_e32 v137, v[137:138]
	s_delay_alu instid0(VALU_DEP_2) | instskip(NEXT) | instid1(VALU_DEP_1)
	v_cvt_f32_f64_e32 v139, v[139:140]
	v_min3_f32 v115, v139, v137, v115
	v_add_f64 v[137:138], v[2:3], v[143:144]
	v_add_f64 v[139:140], v[0:1], v[141:142]
	s_delay_alu instid0(VALU_DEP_2) | instskip(NEXT) | instid1(VALU_DEP_2)
	v_cvt_f32_f64_e32 v137, v[137:138]
	v_cvt_f32_f64_e32 v139, v[139:140]
	s_delay_alu instid0(VALU_DEP_1) | instskip(SKIP_3) | instid1(VALU_DEP_2)
	v_min3_f32 v114, v139, v137, v114
	s_waitcnt lgkmcnt(5)
	v_add_f64 v[137:138], v[34:35], v[147:148]
	v_add_f64 v[139:140], v[32:33], v[145:146]
	v_cvt_f32_f64_e32 v137, v[137:138]
	s_delay_alu instid0(VALU_DEP_2) | instskip(NEXT) | instid1(VALU_DEP_1)
	v_cvt_f32_f64_e32 v139, v[139:140]
	v_min3_f32 v113, v139, v137, v113
	v_add_f64 v[137:138], v[30:31], v[147:148]
	v_add_f64 v[139:140], v[28:29], v[145:146]
	s_delay_alu instid0(VALU_DEP_2) | instskip(NEXT) | instid1(VALU_DEP_2)
	v_cvt_f32_f64_e32 v137, v[137:138]
	v_cvt_f32_f64_e32 v139, v[139:140]
	s_delay_alu instid0(VALU_DEP_1) | instskip(SKIP_2) | instid1(VALU_DEP_2)
	v_min3_f32 v112, v139, v137, v112
	v_add_f64 v[137:138], v[26:27], v[147:148]
	v_add_f64 v[139:140], v[24:25], v[145:146]
	v_cvt_f32_f64_e32 v137, v[137:138]
	s_delay_alu instid0(VALU_DEP_2) | instskip(NEXT) | instid1(VALU_DEP_1)
	v_cvt_f32_f64_e32 v139, v[139:140]
	v_min3_f32 v111, v139, v137, v111
	v_add_f64 v[137:138], v[22:23], v[147:148]
	v_add_f64 v[139:140], v[20:21], v[145:146]
	s_delay_alu instid0(VALU_DEP_2) | instskip(NEXT) | instid1(VALU_DEP_2)
	v_cvt_f32_f64_e32 v137, v[137:138]
	v_cvt_f32_f64_e32 v139, v[139:140]
	s_delay_alu instid0(VALU_DEP_1) | instskip(SKIP_2) | instid1(VALU_DEP_2)
	v_min3_f32 v110, v139, v137, v110
	;; [unrolled: 13-line block ×3, first 2 shown]
	v_add_f64 v[137:138], v[6:7], v[147:148]
	v_add_f64 v[139:140], v[4:5], v[145:146]
	v_cvt_f32_f64_e32 v137, v[137:138]
	s_delay_alu instid0(VALU_DEP_2) | instskip(NEXT) | instid1(VALU_DEP_1)
	v_cvt_f32_f64_e32 v139, v[139:140]
	v_min3_f32 v107, v139, v137, v107
	v_add_f64 v[137:138], v[2:3], v[147:148]
	v_add_f64 v[139:140], v[0:1], v[145:146]
	s_delay_alu instid0(VALU_DEP_2) | instskip(NEXT) | instid1(VALU_DEP_2)
	v_cvt_f32_f64_e32 v137, v[137:138]
	v_cvt_f32_f64_e32 v139, v[139:140]
	s_delay_alu instid0(VALU_DEP_1) | instskip(SKIP_3) | instid1(VALU_DEP_2)
	v_min3_f32 v106, v139, v137, v106
	s_waitcnt lgkmcnt(4)
	v_add_f64 v[137:138], v[34:35], v[50:51]
	v_add_f64 v[139:140], v[32:33], v[48:49]
	v_cvt_f32_f64_e32 v137, v[137:138]
	s_delay_alu instid0(VALU_DEP_2) | instskip(NEXT) | instid1(VALU_DEP_1)
	v_cvt_f32_f64_e32 v139, v[139:140]
	v_min3_f32 v105, v139, v137, v105
	v_add_f64 v[137:138], v[30:31], v[50:51]
	v_add_f64 v[139:140], v[28:29], v[48:49]
	s_delay_alu instid0(VALU_DEP_2) | instskip(NEXT) | instid1(VALU_DEP_2)
	v_cvt_f32_f64_e32 v137, v[137:138]
	v_cvt_f32_f64_e32 v139, v[139:140]
	s_delay_alu instid0(VALU_DEP_1) | instskip(SKIP_2) | instid1(VALU_DEP_2)
	v_min3_f32 v104, v139, v137, v104
	v_add_f64 v[137:138], v[26:27], v[50:51]
	v_add_f64 v[139:140], v[24:25], v[48:49]
	v_cvt_f32_f64_e32 v137, v[137:138]
	s_delay_alu instid0(VALU_DEP_2) | instskip(NEXT) | instid1(VALU_DEP_1)
	v_cvt_f32_f64_e32 v139, v[139:140]
	v_min3_f32 v103, v139, v137, v103
	v_add_f64 v[137:138], v[22:23], v[50:51]
	v_add_f64 v[139:140], v[20:21], v[48:49]
	s_delay_alu instid0(VALU_DEP_2) | instskip(NEXT) | instid1(VALU_DEP_2)
	v_cvt_f32_f64_e32 v137, v[137:138]
	v_cvt_f32_f64_e32 v139, v[139:140]
	s_delay_alu instid0(VALU_DEP_1) | instskip(SKIP_2) | instid1(VALU_DEP_2)
	v_min3_f32 v102, v139, v137, v102
	v_add_f64 v[137:138], v[14:15], v[50:51]
	v_add_f64 v[139:140], v[12:13], v[48:49]
	v_cvt_f32_f64_e32 v137, v[137:138]
	s_delay_alu instid0(VALU_DEP_2) | instskip(NEXT) | instid1(VALU_DEP_1)
	v_cvt_f32_f64_e32 v139, v[139:140]
	v_min3_f32 v101, v139, v137, v101
	v_add_f64 v[137:138], v[10:11], v[50:51]
	v_add_f64 v[139:140], v[8:9], v[48:49]
	s_delay_alu instid0(VALU_DEP_2) | instskip(NEXT) | instid1(VALU_DEP_2)
	v_cvt_f32_f64_e32 v137, v[137:138]
	v_cvt_f32_f64_e32 v139, v[139:140]
	s_delay_alu instid0(VALU_DEP_1) | instskip(SKIP_4) | instid1(VALU_DEP_4)
	v_min3_f32 v100, v139, v137, v100
	v_add_f64 v[137:138], v[6:7], v[50:51]
	v_add_f64 v[139:140], v[4:5], v[48:49]
	v_add_f64 v[50:51], v[2:3], v[50:51]
	v_add_f64 v[48:49], v[0:1], v[48:49]
	v_cvt_f32_f64_e32 v137, v[137:138]
	s_delay_alu instid0(VALU_DEP_4) | instskip(NEXT) | instid1(VALU_DEP_3)
	v_cvt_f32_f64_e32 v139, v[139:140]
	v_cvt_f32_f64_e32 v48, v[48:49]
	;; [unrolled: 1-line block ×3, first 2 shown]
	s_waitcnt lgkmcnt(3)
	v_add_f64 v[50:51], v[32:33], v[44:45]
	s_delay_alu instid0(VALU_DEP_4) | instskip(NEXT) | instid1(VALU_DEP_3)
	v_min3_f32 v99, v139, v137, v99
	v_min3_f32 v98, v48, v49, v98
	v_add_f64 v[48:49], v[34:35], v[46:47]
	s_delay_alu instid0(VALU_DEP_4) | instskip(NEXT) | instid1(VALU_DEP_2)
	v_cvt_f32_f64_e32 v50, v[50:51]
	v_cvt_f32_f64_e32 v48, v[48:49]
	s_delay_alu instid0(VALU_DEP_1) | instskip(SKIP_2) | instid1(VALU_DEP_2)
	v_min3_f32 v97, v50, v48, v97
	v_add_f64 v[48:49], v[30:31], v[46:47]
	v_add_f64 v[50:51], v[28:29], v[44:45]
	v_cvt_f32_f64_e32 v48, v[48:49]
	s_delay_alu instid0(VALU_DEP_2) | instskip(NEXT) | instid1(VALU_DEP_1)
	v_cvt_f32_f64_e32 v50, v[50:51]
	v_min3_f32 v96, v50, v48, v96
	v_add_f64 v[48:49], v[26:27], v[46:47]
	v_add_f64 v[50:51], v[24:25], v[44:45]
	s_delay_alu instid0(VALU_DEP_2) | instskip(NEXT) | instid1(VALU_DEP_2)
	v_cvt_f32_f64_e32 v48, v[48:49]
	v_cvt_f32_f64_e32 v50, v[50:51]
	s_delay_alu instid0(VALU_DEP_1) | instskip(SKIP_2) | instid1(VALU_DEP_2)
	v_min3_f32 v95, v50, v48, v95
	v_add_f64 v[48:49], v[22:23], v[46:47]
	v_add_f64 v[50:51], v[20:21], v[44:45]
	v_cvt_f32_f64_e32 v48, v[48:49]
	s_delay_alu instid0(VALU_DEP_2) | instskip(NEXT) | instid1(VALU_DEP_1)
	v_cvt_f32_f64_e32 v50, v[50:51]
	v_min3_f32 v94, v50, v48, v94
	v_add_f64 v[48:49], v[14:15], v[46:47]
	v_add_f64 v[50:51], v[12:13], v[44:45]
	s_delay_alu instid0(VALU_DEP_2) | instskip(NEXT) | instid1(VALU_DEP_2)
	v_cvt_f32_f64_e32 v48, v[48:49]
	v_cvt_f32_f64_e32 v50, v[50:51]
	s_delay_alu instid0(VALU_DEP_1) | instskip(SKIP_2) | instid1(VALU_DEP_2)
	v_min3_f32 v93, v50, v48, v93
	v_add_f64 v[48:49], v[10:11], v[46:47]
	v_add_f64 v[50:51], v[8:9], v[44:45]
	v_cvt_f32_f64_e32 v48, v[48:49]
	s_delay_alu instid0(VALU_DEP_2) | instskip(NEXT) | instid1(VALU_DEP_1)
	v_cvt_f32_f64_e32 v50, v[50:51]
	v_min3_f32 v92, v50, v48, v92
	v_add_f64 v[48:49], v[6:7], v[46:47]
	v_add_f64 v[50:51], v[4:5], v[44:45]
	;; [unrolled: 1-line block ×4, first 2 shown]
	s_delay_alu instid0(VALU_DEP_4) | instskip(NEXT) | instid1(VALU_DEP_4)
	v_cvt_f32_f64_e32 v48, v[48:49]
	v_cvt_f32_f64_e32 v50, v[50:51]
	s_delay_alu instid0(VALU_DEP_3) | instskip(SKIP_3) | instid1(VALU_DEP_4)
	v_cvt_f32_f64_e32 v44, v[44:45]
	v_cvt_f32_f64_e32 v45, v[46:47]
	s_waitcnt lgkmcnt(2)
	v_add_f64 v[46:47], v[32:33], v[40:41]
	v_min3_f32 v91, v50, v48, v91
	s_delay_alu instid0(VALU_DEP_3) | instskip(SKIP_1) | instid1(VALU_DEP_4)
	v_min3_f32 v90, v44, v45, v90
	v_add_f64 v[44:45], v[34:35], v[42:43]
	v_cvt_f32_f64_e32 v46, v[46:47]
	s_delay_alu instid0(VALU_DEP_2) | instskip(NEXT) | instid1(VALU_DEP_1)
	v_cvt_f32_f64_e32 v44, v[44:45]
	v_min3_f32 v89, v46, v44, v89
	v_add_f64 v[44:45], v[30:31], v[42:43]
	v_add_f64 v[46:47], v[28:29], v[40:41]
	s_delay_alu instid0(VALU_DEP_2) | instskip(NEXT) | instid1(VALU_DEP_2)
	v_cvt_f32_f64_e32 v44, v[44:45]
	v_cvt_f32_f64_e32 v46, v[46:47]
	s_delay_alu instid0(VALU_DEP_1) | instskip(SKIP_2) | instid1(VALU_DEP_2)
	v_min3_f32 v88, v46, v44, v88
	v_add_f64 v[44:45], v[26:27], v[42:43]
	v_add_f64 v[46:47], v[24:25], v[40:41]
	v_cvt_f32_f64_e32 v44, v[44:45]
	s_delay_alu instid0(VALU_DEP_2) | instskip(NEXT) | instid1(VALU_DEP_1)
	v_cvt_f32_f64_e32 v46, v[46:47]
	v_min3_f32 v87, v46, v44, v87
	v_add_f64 v[44:45], v[22:23], v[42:43]
	v_add_f64 v[46:47], v[20:21], v[40:41]
	s_delay_alu instid0(VALU_DEP_2) | instskip(NEXT) | instid1(VALU_DEP_2)
	v_cvt_f32_f64_e32 v44, v[44:45]
	v_cvt_f32_f64_e32 v46, v[46:47]
	s_delay_alu instid0(VALU_DEP_1) | instskip(SKIP_2) | instid1(VALU_DEP_2)
	v_min3_f32 v86, v46, v44, v86
	v_add_f64 v[44:45], v[14:15], v[42:43]
	v_add_f64 v[46:47], v[12:13], v[40:41]
	v_cvt_f32_f64_e32 v44, v[44:45]
	s_delay_alu instid0(VALU_DEP_2) | instskip(NEXT) | instid1(VALU_DEP_1)
	v_cvt_f32_f64_e32 v46, v[46:47]
	v_min3_f32 v85, v46, v44, v85
	v_add_f64 v[44:45], v[10:11], v[42:43]
	v_add_f64 v[46:47], v[8:9], v[40:41]
	s_delay_alu instid0(VALU_DEP_2) | instskip(NEXT) | instid1(VALU_DEP_2)
	v_cvt_f32_f64_e32 v44, v[44:45]
	v_cvt_f32_f64_e32 v46, v[46:47]
	s_delay_alu instid0(VALU_DEP_1) | instskip(SKIP_4) | instid1(VALU_DEP_4)
	v_min3_f32 v84, v46, v44, v84
	v_add_f64 v[44:45], v[6:7], v[42:43]
	v_add_f64 v[46:47], v[4:5], v[40:41]
	;; [unrolled: 1-line block ×4, first 2 shown]
	v_cvt_f32_f64_e32 v44, v[44:45]
	s_delay_alu instid0(VALU_DEP_4) | instskip(NEXT) | instid1(VALU_DEP_3)
	v_cvt_f32_f64_e32 v46, v[46:47]
	v_cvt_f32_f64_e32 v40, v[40:41]
	v_cvt_f32_f64_e32 v41, v[42:43]
	s_waitcnt lgkmcnt(1)
	v_add_f64 v[42:43], v[32:33], v[36:37]
	s_waitcnt lgkmcnt(0)
	v_add_f64 v[32:33], v[32:33], v[16:17]
	v_min3_f32 v83, v46, v44, v83
	s_delay_alu instid0(VALU_DEP_4) | instskip(SKIP_4) | instid1(VALU_DEP_4)
	v_min3_f32 v82, v40, v41, v82
	v_add_f64 v[40:41], v[34:35], v[38:39]
	v_cvt_f32_f64_e32 v42, v[42:43]
	v_add_f64 v[34:35], v[34:35], v[18:19]
	v_cvt_f32_f64_e32 v32, v[32:33]
	v_cvt_f32_f64_e32 v40, v[40:41]
	s_delay_alu instid0(VALU_DEP_3) | instskip(NEXT) | instid1(VALU_DEP_2)
	v_cvt_f32_f64_e32 v33, v[34:35]
	v_min3_f32 v81, v42, v40, v81
	v_add_f64 v[40:41], v[30:31], v[38:39]
	v_add_f64 v[42:43], v[28:29], v[36:37]
	v_add_f64 v[30:31], v[30:31], v[18:19]
	v_add_f64 v[28:29], v[28:29], v[16:17]
	v_min3_f32 v73, v32, v33, v73
	v_cvt_f32_f64_e32 v40, v[40:41]
	v_cvt_f32_f64_e32 v42, v[42:43]
	s_delay_alu instid0(VALU_DEP_4) | instskip(SKIP_1) | instid1(VALU_DEP_3)
	v_cvt_f32_f64_e32 v28, v[28:29]
	v_cvt_f32_f64_e32 v29, v[30:31]
	v_min3_f32 v80, v42, v40, v80
	v_add_f64 v[40:41], v[26:27], v[38:39]
	v_add_f64 v[42:43], v[24:25], v[36:37]
	v_add_f64 v[26:27], v[26:27], v[18:19]
	v_add_f64 v[24:25], v[24:25], v[16:17]
	v_min3_f32 v72, v28, v29, v72
	v_cvt_f32_f64_e32 v40, v[40:41]
	v_cvt_f32_f64_e32 v42, v[42:43]
	s_delay_alu instid0(VALU_DEP_4) | instskip(SKIP_1) | instid1(VALU_DEP_3)
	v_cvt_f32_f64_e32 v24, v[24:25]
	;; [unrolled: 11-line block ×5, first 2 shown]
	v_cvt_f32_f64_e32 v9, v[10:11]
	v_min3_f32 v76, v42, v40, v76
	v_add_f64 v[40:41], v[6:7], v[38:39]
	v_add_f64 v[42:43], v[4:5], v[36:37]
	v_add_f64 v[38:39], v[2:3], v[38:39]
	v_add_f64 v[36:37], v[0:1], v[36:37]
	v_add_f64 v[6:7], v[6:7], v[18:19]
	v_add_f64 v[4:5], v[4:5], v[16:17]
	v_add_f64 v[2:3], v[2:3], v[18:19]
	v_add_f64 v[0:1], v[0:1], v[16:17]
	v_min3_f32 v68, v8, v9, v68
	v_cvt_f32_f64_e32 v40, v[40:41]
	v_cvt_f32_f64_e32 v42, v[42:43]
	;; [unrolled: 1-line block ×8, first 2 shown]
	v_min3_f32 v75, v42, v40, v75
	v_min3_f32 v74, v36, v37, v74
	;; [unrolled: 1-line block ×3, first 2 shown]
	s_delay_alu instid0(VALU_DEP_4)
	v_min3_f32 v66, v0, v1, v66
	s_cbranch_vccz .LBB171_57
; %bb.58:                               ;   in Loop: Header=BB171_34 Depth=1
	s_add_i32 s29, s29, 8
	s_add_i32 s33, s33, 8
	s_cmp_ge_i32 s29, s28
	ds_store_b64 v64, v[54:55]
	ds_store_2addr_stride64_b64 v65, v[56:57], v[58:59] offset1:4
	ds_store_2addr_stride64_b64 v65, v[60:61], v[62:63] offset0:8 offset1:12
	s_waitcnt lgkmcnt(0)
	s_barrier
	buffer_gl0_inv
	s_cbranch_scc0 .LBB171_34
.LBB171_59:
	s_mov_b32 s3, 0
	s_mov_b32 s2, -1
.LBB171_60:                             ; =>This Inner Loop Header: Depth=1
	s_lshl_b32 s3, s3, 3
	s_and_not1_b32 vcc_lo, exec_lo, s2
	v_lshl_add_u32 v0, v120, 5, s3
	v_lshl_add_u32 v16, v121, 5, s3
	s_mov_b32 s3, 2
	s_mov_b32 s2, 0
	ds_load_b128 v[32:35], v0 offset:18432
	ds_load_b128 v[28:31], v0 offset:18688
	;; [unrolled: 1-line block ×16, first 2 shown]
	s_waitcnt lgkmcnt(7)
	v_add_f64 v[64:65], v[34:35], v[54:55]
	v_add_f64 v[132:133], v[32:33], v[52:53]
	s_delay_alu instid0(VALU_DEP_2) | instskip(NEXT) | instid1(VALU_DEP_2)
	v_cvt_f32_f64_e32 v64, v[64:65]
	v_cvt_f32_f64_e32 v132, v[132:133]
	s_delay_alu instid0(VALU_DEP_1) | instskip(SKIP_2) | instid1(VALU_DEP_2)
	v_min3_f32 v131, v132, v64, v131
	v_add_f64 v[64:65], v[30:31], v[54:55]
	v_add_f64 v[132:133], v[28:29], v[52:53]
	v_cvt_f32_f64_e32 v64, v[64:65]
	s_delay_alu instid0(VALU_DEP_2) | instskip(NEXT) | instid1(VALU_DEP_1)
	v_cvt_f32_f64_e32 v132, v[132:133]
	v_min3_f32 v130, v132, v64, v130
	v_add_f64 v[64:65], v[26:27], v[54:55]
	v_add_f64 v[132:133], v[24:25], v[52:53]
	s_delay_alu instid0(VALU_DEP_2) | instskip(NEXT) | instid1(VALU_DEP_2)
	v_cvt_f32_f64_e32 v64, v[64:65]
	v_cvt_f32_f64_e32 v132, v[132:133]
	s_delay_alu instid0(VALU_DEP_1) | instskip(SKIP_2) | instid1(VALU_DEP_2)
	v_min3_f32 v129, v132, v64, v129
	v_add_f64 v[64:65], v[22:23], v[54:55]
	v_add_f64 v[132:133], v[20:21], v[52:53]
	v_cvt_f32_f64_e32 v64, v[64:65]
	s_delay_alu instid0(VALU_DEP_2) | instskip(NEXT) | instid1(VALU_DEP_1)
	v_cvt_f32_f64_e32 v132, v[132:133]
	v_min3_f32 v128, v132, v64, v128
	v_add_f64 v[64:65], v[14:15], v[54:55]
	v_add_f64 v[132:133], v[12:13], v[52:53]
	s_delay_alu instid0(VALU_DEP_2) | instskip(NEXT) | instid1(VALU_DEP_2)
	v_cvt_f32_f64_e32 v64, v[64:65]
	v_cvt_f32_f64_e32 v132, v[132:133]
	s_delay_alu instid0(VALU_DEP_1) | instskip(SKIP_2) | instid1(VALU_DEP_2)
	v_min3_f32 v127, v132, v64, v127
	v_add_f64 v[64:65], v[10:11], v[54:55]
	v_add_f64 v[132:133], v[8:9], v[52:53]
	v_cvt_f32_f64_e32 v64, v[64:65]
	s_delay_alu instid0(VALU_DEP_2) | instskip(NEXT) | instid1(VALU_DEP_1)
	v_cvt_f32_f64_e32 v132, v[132:133]
	v_min3_f32 v126, v132, v64, v126
	v_add_f64 v[64:65], v[6:7], v[54:55]
	v_add_f64 v[132:133], v[4:5], v[52:53]
	;; [unrolled: 1-line block ×4, first 2 shown]
	s_delay_alu instid0(VALU_DEP_4) | instskip(NEXT) | instid1(VALU_DEP_4)
	v_cvt_f32_f64_e32 v64, v[64:65]
	v_cvt_f32_f64_e32 v132, v[132:133]
	s_delay_alu instid0(VALU_DEP_3) | instskip(SKIP_3) | instid1(VALU_DEP_4)
	v_cvt_f32_f64_e32 v52, v[52:53]
	v_cvt_f32_f64_e32 v53, v[54:55]
	s_waitcnt lgkmcnt(6)
	v_add_f64 v[54:55], v[32:33], v[56:57]
	v_min3_f32 v125, v132, v64, v125
	s_delay_alu instid0(VALU_DEP_3) | instskip(SKIP_1) | instid1(VALU_DEP_4)
	v_min3_f32 v124, v52, v53, v124
	v_add_f64 v[52:53], v[34:35], v[58:59]
	v_cvt_f32_f64_e32 v54, v[54:55]
	s_delay_alu instid0(VALU_DEP_2) | instskip(NEXT) | instid1(VALU_DEP_1)
	v_cvt_f32_f64_e32 v52, v[52:53]
	v_min3_f32 v123, v54, v52, v123
	v_add_f64 v[52:53], v[30:31], v[58:59]
	v_add_f64 v[54:55], v[28:29], v[56:57]
	s_delay_alu instid0(VALU_DEP_2) | instskip(NEXT) | instid1(VALU_DEP_2)
	v_cvt_f32_f64_e32 v52, v[52:53]
	v_cvt_f32_f64_e32 v54, v[54:55]
	s_delay_alu instid0(VALU_DEP_1) | instskip(SKIP_2) | instid1(VALU_DEP_2)
	v_min3_f32 v122, v54, v52, v122
	v_add_f64 v[52:53], v[26:27], v[58:59]
	v_add_f64 v[54:55], v[24:25], v[56:57]
	v_cvt_f32_f64_e32 v52, v[52:53]
	s_delay_alu instid0(VALU_DEP_2) | instskip(NEXT) | instid1(VALU_DEP_1)
	v_cvt_f32_f64_e32 v54, v[54:55]
	v_min3_f32 v119, v54, v52, v119
	v_add_f64 v[52:53], v[22:23], v[58:59]
	v_add_f64 v[54:55], v[20:21], v[56:57]
	s_delay_alu instid0(VALU_DEP_2) | instskip(NEXT) | instid1(VALU_DEP_2)
	v_cvt_f32_f64_e32 v52, v[52:53]
	v_cvt_f32_f64_e32 v54, v[54:55]
	s_delay_alu instid0(VALU_DEP_1) | instskip(SKIP_2) | instid1(VALU_DEP_2)
	v_min3_f32 v118, v54, v52, v118
	v_add_f64 v[52:53], v[14:15], v[58:59]
	;; [unrolled: 13-line block ×3, first 2 shown]
	v_add_f64 v[54:55], v[4:5], v[56:57]
	v_cvt_f32_f64_e32 v52, v[52:53]
	s_delay_alu instid0(VALU_DEP_2) | instskip(NEXT) | instid1(VALU_DEP_1)
	v_cvt_f32_f64_e32 v54, v[54:55]
	v_min3_f32 v115, v54, v52, v115
	v_add_f64 v[52:53], v[2:3], v[58:59]
	v_add_f64 v[54:55], v[0:1], v[56:57]
	s_delay_alu instid0(VALU_DEP_2) | instskip(NEXT) | instid1(VALU_DEP_2)
	v_cvt_f32_f64_e32 v52, v[52:53]
	v_cvt_f32_f64_e32 v54, v[54:55]
	s_delay_alu instid0(VALU_DEP_1) | instskip(SKIP_3) | instid1(VALU_DEP_2)
	v_min3_f32 v114, v54, v52, v114
	s_waitcnt lgkmcnt(5)
	v_add_f64 v[52:53], v[34:35], v[62:63]
	v_add_f64 v[54:55], v[32:33], v[60:61]
	v_cvt_f32_f64_e32 v52, v[52:53]
	s_delay_alu instid0(VALU_DEP_2) | instskip(NEXT) | instid1(VALU_DEP_1)
	v_cvt_f32_f64_e32 v54, v[54:55]
	v_min3_f32 v113, v54, v52, v113
	v_add_f64 v[52:53], v[30:31], v[62:63]
	v_add_f64 v[54:55], v[28:29], v[60:61]
	s_delay_alu instid0(VALU_DEP_2) | instskip(NEXT) | instid1(VALU_DEP_2)
	v_cvt_f32_f64_e32 v52, v[52:53]
	v_cvt_f32_f64_e32 v54, v[54:55]
	s_delay_alu instid0(VALU_DEP_1) | instskip(SKIP_2) | instid1(VALU_DEP_2)
	v_min3_f32 v112, v54, v52, v112
	v_add_f64 v[52:53], v[26:27], v[62:63]
	v_add_f64 v[54:55], v[24:25], v[60:61]
	v_cvt_f32_f64_e32 v52, v[52:53]
	s_delay_alu instid0(VALU_DEP_2) | instskip(NEXT) | instid1(VALU_DEP_1)
	v_cvt_f32_f64_e32 v54, v[54:55]
	v_min3_f32 v111, v54, v52, v111
	v_add_f64 v[52:53], v[22:23], v[62:63]
	v_add_f64 v[54:55], v[20:21], v[60:61]
	s_delay_alu instid0(VALU_DEP_2) | instskip(NEXT) | instid1(VALU_DEP_2)
	v_cvt_f32_f64_e32 v52, v[52:53]
	v_cvt_f32_f64_e32 v54, v[54:55]
	s_delay_alu instid0(VALU_DEP_1) | instskip(SKIP_2) | instid1(VALU_DEP_2)
	v_min3_f32 v110, v54, v52, v110
	;; [unrolled: 13-line block ×3, first 2 shown]
	v_add_f64 v[52:53], v[6:7], v[62:63]
	v_add_f64 v[54:55], v[4:5], v[60:61]
	v_cvt_f32_f64_e32 v52, v[52:53]
	s_delay_alu instid0(VALU_DEP_2) | instskip(NEXT) | instid1(VALU_DEP_1)
	v_cvt_f32_f64_e32 v54, v[54:55]
	v_min3_f32 v107, v54, v52, v107
	v_add_f64 v[52:53], v[2:3], v[62:63]
	v_add_f64 v[54:55], v[0:1], v[60:61]
	s_delay_alu instid0(VALU_DEP_2) | instskip(NEXT) | instid1(VALU_DEP_2)
	v_cvt_f32_f64_e32 v52, v[52:53]
	v_cvt_f32_f64_e32 v54, v[54:55]
	s_delay_alu instid0(VALU_DEP_1) | instskip(SKIP_3) | instid1(VALU_DEP_2)
	v_min3_f32 v106, v54, v52, v106
	s_waitcnt lgkmcnt(4)
	v_add_f64 v[52:53], v[34:35], v[50:51]
	v_add_f64 v[54:55], v[32:33], v[48:49]
	v_cvt_f32_f64_e32 v52, v[52:53]
	s_delay_alu instid0(VALU_DEP_2) | instskip(NEXT) | instid1(VALU_DEP_1)
	v_cvt_f32_f64_e32 v54, v[54:55]
	v_min3_f32 v105, v54, v52, v105
	v_add_f64 v[52:53], v[30:31], v[50:51]
	v_add_f64 v[54:55], v[28:29], v[48:49]
	s_delay_alu instid0(VALU_DEP_2) | instskip(NEXT) | instid1(VALU_DEP_2)
	v_cvt_f32_f64_e32 v52, v[52:53]
	v_cvt_f32_f64_e32 v54, v[54:55]
	s_delay_alu instid0(VALU_DEP_1) | instskip(SKIP_2) | instid1(VALU_DEP_2)
	v_min3_f32 v104, v54, v52, v104
	v_add_f64 v[52:53], v[26:27], v[50:51]
	v_add_f64 v[54:55], v[24:25], v[48:49]
	v_cvt_f32_f64_e32 v52, v[52:53]
	s_delay_alu instid0(VALU_DEP_2) | instskip(NEXT) | instid1(VALU_DEP_1)
	v_cvt_f32_f64_e32 v54, v[54:55]
	v_min3_f32 v103, v54, v52, v103
	v_add_f64 v[52:53], v[22:23], v[50:51]
	v_add_f64 v[54:55], v[20:21], v[48:49]
	s_delay_alu instid0(VALU_DEP_2) | instskip(NEXT) | instid1(VALU_DEP_2)
	v_cvt_f32_f64_e32 v52, v[52:53]
	v_cvt_f32_f64_e32 v54, v[54:55]
	s_delay_alu instid0(VALU_DEP_1) | instskip(SKIP_2) | instid1(VALU_DEP_2)
	v_min3_f32 v102, v54, v52, v102
	v_add_f64 v[52:53], v[14:15], v[50:51]
	v_add_f64 v[54:55], v[12:13], v[48:49]
	v_cvt_f32_f64_e32 v52, v[52:53]
	s_delay_alu instid0(VALU_DEP_2) | instskip(NEXT) | instid1(VALU_DEP_1)
	v_cvt_f32_f64_e32 v54, v[54:55]
	v_min3_f32 v101, v54, v52, v101
	v_add_f64 v[52:53], v[10:11], v[50:51]
	v_add_f64 v[54:55], v[8:9], v[48:49]
	s_delay_alu instid0(VALU_DEP_2) | instskip(NEXT) | instid1(VALU_DEP_2)
	v_cvt_f32_f64_e32 v52, v[52:53]
	v_cvt_f32_f64_e32 v54, v[54:55]
	s_delay_alu instid0(VALU_DEP_1) | instskip(SKIP_4) | instid1(VALU_DEP_4)
	v_min3_f32 v100, v54, v52, v100
	v_add_f64 v[52:53], v[6:7], v[50:51]
	v_add_f64 v[54:55], v[4:5], v[48:49]
	;; [unrolled: 1-line block ×4, first 2 shown]
	v_cvt_f32_f64_e32 v52, v[52:53]
	s_delay_alu instid0(VALU_DEP_4) | instskip(NEXT) | instid1(VALU_DEP_3)
	v_cvt_f32_f64_e32 v54, v[54:55]
	v_cvt_f32_f64_e32 v48, v[48:49]
	;; [unrolled: 1-line block ×3, first 2 shown]
	s_waitcnt lgkmcnt(3)
	v_add_f64 v[50:51], v[32:33], v[44:45]
	s_delay_alu instid0(VALU_DEP_4) | instskip(NEXT) | instid1(VALU_DEP_3)
	v_min3_f32 v99, v54, v52, v99
	v_min3_f32 v98, v48, v49, v98
	v_add_f64 v[48:49], v[34:35], v[46:47]
	s_delay_alu instid0(VALU_DEP_4) | instskip(NEXT) | instid1(VALU_DEP_2)
	v_cvt_f32_f64_e32 v50, v[50:51]
	v_cvt_f32_f64_e32 v48, v[48:49]
	s_delay_alu instid0(VALU_DEP_1) | instskip(SKIP_2) | instid1(VALU_DEP_2)
	v_min3_f32 v97, v50, v48, v97
	v_add_f64 v[48:49], v[30:31], v[46:47]
	v_add_f64 v[50:51], v[28:29], v[44:45]
	v_cvt_f32_f64_e32 v48, v[48:49]
	s_delay_alu instid0(VALU_DEP_2) | instskip(NEXT) | instid1(VALU_DEP_1)
	v_cvt_f32_f64_e32 v50, v[50:51]
	v_min3_f32 v96, v50, v48, v96
	v_add_f64 v[48:49], v[26:27], v[46:47]
	v_add_f64 v[50:51], v[24:25], v[44:45]
	s_delay_alu instid0(VALU_DEP_2) | instskip(NEXT) | instid1(VALU_DEP_2)
	v_cvt_f32_f64_e32 v48, v[48:49]
	v_cvt_f32_f64_e32 v50, v[50:51]
	s_delay_alu instid0(VALU_DEP_1) | instskip(SKIP_2) | instid1(VALU_DEP_2)
	v_min3_f32 v95, v50, v48, v95
	v_add_f64 v[48:49], v[22:23], v[46:47]
	v_add_f64 v[50:51], v[20:21], v[44:45]
	v_cvt_f32_f64_e32 v48, v[48:49]
	s_delay_alu instid0(VALU_DEP_2) | instskip(NEXT) | instid1(VALU_DEP_1)
	v_cvt_f32_f64_e32 v50, v[50:51]
	v_min3_f32 v94, v50, v48, v94
	v_add_f64 v[48:49], v[14:15], v[46:47]
	v_add_f64 v[50:51], v[12:13], v[44:45]
	s_delay_alu instid0(VALU_DEP_2) | instskip(NEXT) | instid1(VALU_DEP_2)
	v_cvt_f32_f64_e32 v48, v[48:49]
	v_cvt_f32_f64_e32 v50, v[50:51]
	s_delay_alu instid0(VALU_DEP_1) | instskip(SKIP_2) | instid1(VALU_DEP_2)
	v_min3_f32 v93, v50, v48, v93
	v_add_f64 v[48:49], v[10:11], v[46:47]
	v_add_f64 v[50:51], v[8:9], v[44:45]
	v_cvt_f32_f64_e32 v48, v[48:49]
	s_delay_alu instid0(VALU_DEP_2) | instskip(NEXT) | instid1(VALU_DEP_1)
	v_cvt_f32_f64_e32 v50, v[50:51]
	v_min3_f32 v92, v50, v48, v92
	v_add_f64 v[48:49], v[6:7], v[46:47]
	v_add_f64 v[50:51], v[4:5], v[44:45]
	;; [unrolled: 1-line block ×4, first 2 shown]
	s_delay_alu instid0(VALU_DEP_4) | instskip(NEXT) | instid1(VALU_DEP_4)
	v_cvt_f32_f64_e32 v48, v[48:49]
	v_cvt_f32_f64_e32 v50, v[50:51]
	s_delay_alu instid0(VALU_DEP_3) | instskip(SKIP_3) | instid1(VALU_DEP_4)
	v_cvt_f32_f64_e32 v44, v[44:45]
	v_cvt_f32_f64_e32 v45, v[46:47]
	s_waitcnt lgkmcnt(2)
	v_add_f64 v[46:47], v[32:33], v[40:41]
	v_min3_f32 v91, v50, v48, v91
	s_delay_alu instid0(VALU_DEP_3) | instskip(SKIP_1) | instid1(VALU_DEP_4)
	v_min3_f32 v90, v44, v45, v90
	v_add_f64 v[44:45], v[34:35], v[42:43]
	v_cvt_f32_f64_e32 v46, v[46:47]
	s_delay_alu instid0(VALU_DEP_2) | instskip(NEXT) | instid1(VALU_DEP_1)
	v_cvt_f32_f64_e32 v44, v[44:45]
	v_min3_f32 v89, v46, v44, v89
	v_add_f64 v[44:45], v[30:31], v[42:43]
	v_add_f64 v[46:47], v[28:29], v[40:41]
	s_delay_alu instid0(VALU_DEP_2) | instskip(NEXT) | instid1(VALU_DEP_2)
	v_cvt_f32_f64_e32 v44, v[44:45]
	v_cvt_f32_f64_e32 v46, v[46:47]
	s_delay_alu instid0(VALU_DEP_1) | instskip(SKIP_2) | instid1(VALU_DEP_2)
	v_min3_f32 v88, v46, v44, v88
	v_add_f64 v[44:45], v[26:27], v[42:43]
	v_add_f64 v[46:47], v[24:25], v[40:41]
	v_cvt_f32_f64_e32 v44, v[44:45]
	s_delay_alu instid0(VALU_DEP_2) | instskip(NEXT) | instid1(VALU_DEP_1)
	v_cvt_f32_f64_e32 v46, v[46:47]
	v_min3_f32 v87, v46, v44, v87
	v_add_f64 v[44:45], v[22:23], v[42:43]
	v_add_f64 v[46:47], v[20:21], v[40:41]
	s_delay_alu instid0(VALU_DEP_2) | instskip(NEXT) | instid1(VALU_DEP_2)
	v_cvt_f32_f64_e32 v44, v[44:45]
	v_cvt_f32_f64_e32 v46, v[46:47]
	s_delay_alu instid0(VALU_DEP_1) | instskip(SKIP_2) | instid1(VALU_DEP_2)
	v_min3_f32 v86, v46, v44, v86
	v_add_f64 v[44:45], v[14:15], v[42:43]
	v_add_f64 v[46:47], v[12:13], v[40:41]
	v_cvt_f32_f64_e32 v44, v[44:45]
	s_delay_alu instid0(VALU_DEP_2) | instskip(NEXT) | instid1(VALU_DEP_1)
	v_cvt_f32_f64_e32 v46, v[46:47]
	v_min3_f32 v85, v46, v44, v85
	v_add_f64 v[44:45], v[10:11], v[42:43]
	v_add_f64 v[46:47], v[8:9], v[40:41]
	s_delay_alu instid0(VALU_DEP_2) | instskip(NEXT) | instid1(VALU_DEP_2)
	v_cvt_f32_f64_e32 v44, v[44:45]
	v_cvt_f32_f64_e32 v46, v[46:47]
	s_delay_alu instid0(VALU_DEP_1) | instskip(SKIP_4) | instid1(VALU_DEP_4)
	v_min3_f32 v84, v46, v44, v84
	v_add_f64 v[44:45], v[6:7], v[42:43]
	v_add_f64 v[46:47], v[4:5], v[40:41]
	;; [unrolled: 1-line block ×4, first 2 shown]
	v_cvt_f32_f64_e32 v44, v[44:45]
	s_delay_alu instid0(VALU_DEP_4) | instskip(NEXT) | instid1(VALU_DEP_3)
	v_cvt_f32_f64_e32 v46, v[46:47]
	v_cvt_f32_f64_e32 v40, v[40:41]
	;; [unrolled: 1-line block ×3, first 2 shown]
	s_waitcnt lgkmcnt(1)
	v_add_f64 v[42:43], v[32:33], v[36:37]
	s_waitcnt lgkmcnt(0)
	v_add_f64 v[32:33], v[32:33], v[16:17]
	v_min3_f32 v83, v46, v44, v83
	s_delay_alu instid0(VALU_DEP_4) | instskip(SKIP_4) | instid1(VALU_DEP_4)
	v_min3_f32 v82, v40, v41, v82
	v_add_f64 v[40:41], v[34:35], v[38:39]
	v_cvt_f32_f64_e32 v42, v[42:43]
	v_add_f64 v[34:35], v[34:35], v[18:19]
	v_cvt_f32_f64_e32 v32, v[32:33]
	v_cvt_f32_f64_e32 v40, v[40:41]
	s_delay_alu instid0(VALU_DEP_3) | instskip(NEXT) | instid1(VALU_DEP_2)
	v_cvt_f32_f64_e32 v33, v[34:35]
	v_min3_f32 v81, v42, v40, v81
	v_add_f64 v[40:41], v[30:31], v[38:39]
	v_add_f64 v[42:43], v[28:29], v[36:37]
	v_add_f64 v[30:31], v[30:31], v[18:19]
	v_add_f64 v[28:29], v[28:29], v[16:17]
	v_min3_f32 v73, v32, v33, v73
	v_cvt_f32_f64_e32 v40, v[40:41]
	v_cvt_f32_f64_e32 v42, v[42:43]
	s_delay_alu instid0(VALU_DEP_4) | instskip(SKIP_1) | instid1(VALU_DEP_3)
	v_cvt_f32_f64_e32 v28, v[28:29]
	v_cvt_f32_f64_e32 v29, v[30:31]
	v_min3_f32 v80, v42, v40, v80
	v_add_f64 v[40:41], v[26:27], v[38:39]
	v_add_f64 v[42:43], v[24:25], v[36:37]
	v_add_f64 v[26:27], v[26:27], v[18:19]
	v_add_f64 v[24:25], v[24:25], v[16:17]
	v_min3_f32 v72, v28, v29, v72
	v_cvt_f32_f64_e32 v40, v[40:41]
	v_cvt_f32_f64_e32 v42, v[42:43]
	s_delay_alu instid0(VALU_DEP_4) | instskip(SKIP_1) | instid1(VALU_DEP_3)
	v_cvt_f32_f64_e32 v24, v[24:25]
	;; [unrolled: 11-line block ×5, first 2 shown]
	v_cvt_f32_f64_e32 v9, v[10:11]
	v_min3_f32 v76, v42, v40, v76
	v_add_f64 v[40:41], v[6:7], v[38:39]
	v_add_f64 v[42:43], v[4:5], v[36:37]
	;; [unrolled: 1-line block ×8, first 2 shown]
	v_min3_f32 v68, v8, v9, v68
	v_cvt_f32_f64_e32 v40, v[40:41]
	v_cvt_f32_f64_e32 v42, v[42:43]
	;; [unrolled: 1-line block ×8, first 2 shown]
	v_min3_f32 v75, v42, v40, v75
	v_min3_f32 v74, v36, v37, v74
	v_min3_f32 v67, v4, v5, v67
	s_delay_alu instid0(VALU_DEP_4)
	v_min3_f32 v66, v0, v1, v66
	s_cbranch_vccz .LBB171_60
; %bb.61:
	s_clause 0x2
	s_load_b64 s[2:3], s[0:1], 0x78
	s_load_b32 s18, s[0:1], 0x58
	s_load_b32 s14, s[0:1], 0x70
	v_add_nc_u32_e32 v19, s9, v121
	v_add_nc_u32_e32 v0, s8, v120
	v_cndmask_b32_e64 v18, 0, 1, s15
	s_delay_alu instid0(VALU_DEP_3) | instskip(NEXT) | instid1(VALU_DEP_3)
	v_cmp_gt_i32_e64 s8, s17, v19
	v_cmp_gt_i32_e64 s0, s16, v0
	v_ashrrev_i32_e32 v1, 31, v0
	s_waitcnt lgkmcnt(0)
	s_mul_i32 s1, s22, s3
	v_mad_i64_i32 v[2:3], null, v19, s18, 0
	v_mad_i64_i32 v[4:5], null, v19, s14, 0
	s_mul_hi_u32 s3, s22, s2
	s_mul_i32 s2, s22, s2
	s_add_i32 s3, s3, s1
	s_delay_alu instid0(SALU_CYCLE_1) | instskip(NEXT) | instid1(VALU_DEP_2)
	s_lshl_b64 s[2:3], s[2:3], 3
	v_lshlrev_b64 v[2:3], 3, v[2:3]
	s_delay_alu instid0(VALU_DEP_2) | instskip(SKIP_3) | instid1(VALU_DEP_2)
	v_lshlrev_b64 v[4:5], 3, v[4:5]
	s_add_u32 s9, s10, s2
	s_addc_u32 s10, s11, s3
	s_and_b32 s2, s0, s8
	v_add_co_u32 v16, vcc_lo, s20, v2
	v_add_co_ci_u32_e32 v17, vcc_lo, s21, v3, vcc_lo
	v_add_co_u32 v20, vcc_lo, s9, v4
	v_add_co_ci_u32_e32 v21, vcc_lo, s10, v5, vcc_lo
	s_and_saveexec_b32 s1, s2
	s_cbranch_execz .LBB171_66
; %bb.62:
	s_and_not1_b32 vcc_lo, exec_lo, s15
	s_cbranch_vccnz .LBB171_64
; %bb.63:
	v_lshlrev_b64 v[2:3], 3, v[0:1]
	s_delay_alu instid0(VALU_DEP_1) | instskip(NEXT) | instid1(VALU_DEP_2)
	v_add_co_u32 v2, vcc_lo, v16, v2
	v_add_co_ci_u32_e32 v3, vcc_lo, v17, v3, vcc_lo
	flat_load_b64 v[2:3], v[2:3]
	s_waitcnt vmcnt(0) lgkmcnt(0)
	v_mul_f64 v[2:3], s[12:13], v[2:3]
	s_branch .LBB171_65
.LBB171_64:
	v_mov_b32_e32 v2, 0
	v_mov_b32_e32 v3, 0
.LBB171_65:
	s_delay_alu instid0(VALU_DEP_1) | instskip(SKIP_2) | instid1(VALU_DEP_1)
	v_cvt_f32_f64_e32 v2, v[2:3]
	v_max_f32_e32 v3, v131, v131
	v_lshlrev_b64 v[4:5], 3, v[0:1]
	v_add_co_u32 v4, vcc_lo, v20, v4
	s_delay_alu instid0(VALU_DEP_2) | instskip(NEXT) | instid1(VALU_DEP_4)
	v_add_co_ci_u32_e32 v5, vcc_lo, v21, v5, vcc_lo
	v_min_f32_e32 v2, v2, v3
	s_delay_alu instid0(VALU_DEP_1)
	v_cvt_f64_f32_e32 v[2:3], v2
	global_store_b64 v[4:5], v[2:3], off
.LBB171_66:
	s_or_b32 exec_lo, exec_lo, s1
	v_add_nc_u32_e32 v2, 8, v0
	s_delay_alu instid0(VALU_DEP_1) | instskip(SKIP_1) | instid1(VALU_DEP_2)
	v_cmp_gt_i32_e64 s1, s16, v2
	v_ashrrev_i32_e32 v3, 31, v2
	s_and_b32 s3, s1, s8
	s_delay_alu instid0(SALU_CYCLE_1)
	s_and_saveexec_b32 s2, s3
	s_cbranch_execz .LBB171_71
; %bb.67:
	v_cmp_ne_u32_e32 vcc_lo, 1, v18
	s_cbranch_vccnz .LBB171_69
; %bb.68:
	v_lshlrev_b64 v[4:5], 3, v[2:3]
	s_delay_alu instid0(VALU_DEP_1) | instskip(NEXT) | instid1(VALU_DEP_2)
	v_add_co_u32 v4, vcc_lo, v16, v4
	v_add_co_ci_u32_e32 v5, vcc_lo, v17, v5, vcc_lo
	flat_load_b64 v[4:5], v[4:5]
	s_waitcnt vmcnt(0) lgkmcnt(0)
	v_mul_f64 v[4:5], s[12:13], v[4:5]
	s_branch .LBB171_70
.LBB171_69:
	v_mov_b32_e32 v4, 0
	v_mov_b32_e32 v5, 0
.LBB171_70:
	s_delay_alu instid0(VALU_DEP_1) | instskip(SKIP_2) | instid1(VALU_DEP_1)
	v_cvt_f32_f64_e32 v4, v[4:5]
	v_max_f32_e32 v5, v130, v130
	v_lshlrev_b64 v[6:7], 3, v[2:3]
	v_add_co_u32 v6, vcc_lo, v20, v6
	s_delay_alu instid0(VALU_DEP_2) | instskip(NEXT) | instid1(VALU_DEP_4)
	v_add_co_ci_u32_e32 v7, vcc_lo, v21, v7, vcc_lo
	v_min_f32_e32 v4, v4, v5
	s_delay_alu instid0(VALU_DEP_1)
	v_cvt_f64_f32_e32 v[4:5], v4
	global_store_b64 v[6:7], v[4:5], off
.LBB171_71:
	s_or_b32 exec_lo, exec_lo, s2
	v_add_nc_u32_e32 v4, 16, v0
	s_delay_alu instid0(VALU_DEP_1) | instskip(SKIP_1) | instid1(VALU_DEP_2)
	v_cmp_gt_i32_e64 s2, s16, v4
	v_ashrrev_i32_e32 v5, 31, v4
	s_and_b32 s4, s2, s8
	s_delay_alu instid0(SALU_CYCLE_1)
	s_and_saveexec_b32 s3, s4
	s_cbranch_execz .LBB171_76
; %bb.72:
	v_cmp_ne_u32_e32 vcc_lo, 1, v18
	s_cbranch_vccnz .LBB171_74
; %bb.73:
	v_lshlrev_b64 v[6:7], 3, v[4:5]
	s_delay_alu instid0(VALU_DEP_1) | instskip(NEXT) | instid1(VALU_DEP_2)
	v_add_co_u32 v6, vcc_lo, v16, v6
	v_add_co_ci_u32_e32 v7, vcc_lo, v17, v7, vcc_lo
	flat_load_b64 v[6:7], v[6:7]
	s_waitcnt vmcnt(0) lgkmcnt(0)
	v_mul_f64 v[6:7], s[12:13], v[6:7]
	s_branch .LBB171_75
.LBB171_74:
	v_mov_b32_e32 v6, 0
	v_mov_b32_e32 v7, 0
.LBB171_75:
	s_delay_alu instid0(VALU_DEP_1) | instskip(SKIP_2) | instid1(VALU_DEP_1)
	v_cvt_f32_f64_e32 v6, v[6:7]
	v_max_f32_e32 v7, v129, v129
	v_lshlrev_b64 v[8:9], 3, v[4:5]
	v_add_co_u32 v8, vcc_lo, v20, v8
	s_delay_alu instid0(VALU_DEP_2) | instskip(NEXT) | instid1(VALU_DEP_4)
	v_add_co_ci_u32_e32 v9, vcc_lo, v21, v9, vcc_lo
	v_min_f32_e32 v6, v6, v7
	s_delay_alu instid0(VALU_DEP_1)
	v_cvt_f64_f32_e32 v[6:7], v6
	global_store_b64 v[8:9], v[6:7], off
.LBB171_76:
	;; [unrolled: 37-line block ×7, first 2 shown]
	s_or_b32 exec_lo, exec_lo, s8
	v_add_nc_u32_e32 v22, 32, v19
	s_delay_alu instid0(VALU_DEP_1) | instskip(SKIP_2) | instid1(VALU_DEP_3)
	v_mad_i64_i32 v[16:17], null, v22, s18, 0
	v_mad_i64_i32 v[20:21], null, v22, s14, 0
	v_cmp_gt_i32_e64 s8, s17, v22
	v_lshlrev_b64 v[16:17], 3, v[16:17]
	s_delay_alu instid0(VALU_DEP_2) | instskip(NEXT) | instid1(VALU_DEP_3)
	s_and_b32 s15, s0, s8
	v_lshlrev_b64 v[20:21], 3, v[20:21]
	s_delay_alu instid0(VALU_DEP_2) | instskip(NEXT) | instid1(VALU_DEP_3)
	v_add_co_u32 v22, vcc_lo, s20, v16
	v_add_co_ci_u32_e32 v23, vcc_lo, s21, v17, vcc_lo
	s_delay_alu instid0(VALU_DEP_3) | instskip(NEXT) | instid1(VALU_DEP_4)
	v_add_co_u32 v20, vcc_lo, s9, v20
	v_add_co_ci_u32_e32 v21, vcc_lo, s10, v21, vcc_lo
	s_and_saveexec_b32 s11, s15
	s_cbranch_execnz .LBB171_109
; %bb.102:
	s_or_b32 exec_lo, exec_lo, s11
	s_and_b32 s15, s1, s8
	s_delay_alu instid0(SALU_CYCLE_1)
	s_and_saveexec_b32 s11, s15
	s_cbranch_execnz .LBB171_113
.LBB171_103:
	s_or_b32 exec_lo, exec_lo, s11
	s_and_b32 s15, s2, s8
	s_delay_alu instid0(SALU_CYCLE_1)
	s_and_saveexec_b32 s11, s15
	s_cbranch_execnz .LBB171_117
.LBB171_104:
	s_or_b32 exec_lo, exec_lo, s11
	s_and_b32 s15, s3, s8
	s_delay_alu instid0(SALU_CYCLE_1)
	s_and_saveexec_b32 s11, s15
	s_cbranch_execnz .LBB171_121
.LBB171_105:
	s_or_b32 exec_lo, exec_lo, s11
	s_and_b32 s15, s4, s8
	s_delay_alu instid0(SALU_CYCLE_1)
	s_and_saveexec_b32 s11, s15
	s_cbranch_execnz .LBB171_125
.LBB171_106:
	s_or_b32 exec_lo, exec_lo, s11
	s_and_b32 s15, s5, s8
	s_delay_alu instid0(SALU_CYCLE_1)
	s_and_saveexec_b32 s11, s15
	s_cbranch_execnz .LBB171_129
.LBB171_107:
	s_or_b32 exec_lo, exec_lo, s11
	s_and_b32 s15, s6, s8
	s_delay_alu instid0(SALU_CYCLE_1)
	s_and_saveexec_b32 s11, s15
	s_cbranch_execnz .LBB171_133
.LBB171_108:
	s_or_b32 exec_lo, exec_lo, s11
	s_and_b32 s11, s7, s8
	s_delay_alu instid0(SALU_CYCLE_1)
	s_and_saveexec_b32 s8, s11
	s_cbranch_execnz .LBB171_137
	s_branch .LBB171_141
.LBB171_109:
	v_cmp_ne_u32_e32 vcc_lo, 1, v18
	s_cbranch_vccnz .LBB171_111
; %bb.110:
	v_lshlrev_b64 v[16:17], 3, v[0:1]
	s_delay_alu instid0(VALU_DEP_1) | instskip(NEXT) | instid1(VALU_DEP_2)
	v_add_co_u32 v16, vcc_lo, v22, v16
	v_add_co_ci_u32_e32 v17, vcc_lo, v23, v17, vcc_lo
	flat_load_b64 v[16:17], v[16:17]
	s_waitcnt vmcnt(0) lgkmcnt(0)
	v_mul_f64 v[16:17], s[12:13], v[16:17]
	s_branch .LBB171_112
.LBB171_111:
	v_mov_b32_e32 v16, 0
	v_mov_b32_e32 v17, 0
.LBB171_112:
	s_delay_alu instid0(VALU_DEP_1) | instskip(SKIP_2) | instid1(VALU_DEP_1)
	v_cvt_f32_f64_e32 v16, v[16:17]
	v_max_f32_e32 v17, v123, v123
	v_lshlrev_b64 v[24:25], 3, v[0:1]
	v_add_co_u32 v24, vcc_lo, v20, v24
	s_delay_alu instid0(VALU_DEP_2) | instskip(NEXT) | instid1(VALU_DEP_4)
	v_add_co_ci_u32_e32 v25, vcc_lo, v21, v25, vcc_lo
	v_min_f32_e32 v16, v16, v17
	s_delay_alu instid0(VALU_DEP_1) | instskip(SKIP_3) | instid1(SALU_CYCLE_1)
	v_cvt_f64_f32_e32 v[16:17], v16
	global_store_b64 v[24:25], v[16:17], off
	s_or_b32 exec_lo, exec_lo, s11
	s_and_b32 s15, s1, s8
	s_and_saveexec_b32 s11, s15
	s_cbranch_execz .LBB171_103
.LBB171_113:
	v_cmp_ne_u32_e32 vcc_lo, 1, v18
	s_cbranch_vccnz .LBB171_115
; %bb.114:
	v_lshlrev_b64 v[16:17], 3, v[2:3]
	s_delay_alu instid0(VALU_DEP_1) | instskip(NEXT) | instid1(VALU_DEP_2)
	v_add_co_u32 v16, vcc_lo, v22, v16
	v_add_co_ci_u32_e32 v17, vcc_lo, v23, v17, vcc_lo
	flat_load_b64 v[16:17], v[16:17]
	s_waitcnt vmcnt(0) lgkmcnt(0)
	v_mul_f64 v[16:17], s[12:13], v[16:17]
	s_branch .LBB171_116
.LBB171_115:
	v_mov_b32_e32 v16, 0
	v_mov_b32_e32 v17, 0
.LBB171_116:
	s_delay_alu instid0(VALU_DEP_1) | instskip(SKIP_2) | instid1(VALU_DEP_1)
	v_cvt_f32_f64_e32 v16, v[16:17]
	v_max_f32_e32 v17, v122, v122
	v_lshlrev_b64 v[24:25], 3, v[2:3]
	v_add_co_u32 v24, vcc_lo, v20, v24
	s_delay_alu instid0(VALU_DEP_2) | instskip(NEXT) | instid1(VALU_DEP_4)
	v_add_co_ci_u32_e32 v25, vcc_lo, v21, v25, vcc_lo
	v_min_f32_e32 v16, v16, v17
	s_delay_alu instid0(VALU_DEP_1) | instskip(SKIP_3) | instid1(SALU_CYCLE_1)
	v_cvt_f64_f32_e32 v[16:17], v16
	global_store_b64 v[24:25], v[16:17], off
	s_or_b32 exec_lo, exec_lo, s11
	s_and_b32 s15, s2, s8
	s_and_saveexec_b32 s11, s15
	s_cbranch_execz .LBB171_104
.LBB171_117:
	v_cmp_ne_u32_e32 vcc_lo, 1, v18
	s_cbranch_vccnz .LBB171_119
; %bb.118:
	v_lshlrev_b64 v[16:17], 3, v[4:5]
	s_delay_alu instid0(VALU_DEP_1) | instskip(NEXT) | instid1(VALU_DEP_2)
	v_add_co_u32 v16, vcc_lo, v22, v16
	v_add_co_ci_u32_e32 v17, vcc_lo, v23, v17, vcc_lo
	flat_load_b64 v[16:17], v[16:17]
	s_waitcnt vmcnt(0) lgkmcnt(0)
	v_mul_f64 v[16:17], s[12:13], v[16:17]
	s_branch .LBB171_120
.LBB171_119:
	v_mov_b32_e32 v16, 0
	v_mov_b32_e32 v17, 0
.LBB171_120:
	s_delay_alu instid0(VALU_DEP_1) | instskip(SKIP_2) | instid1(VALU_DEP_1)
	v_cvt_f32_f64_e32 v16, v[16:17]
	v_max_f32_e32 v17, v119, v119
	v_lshlrev_b64 v[24:25], 3, v[4:5]
	v_add_co_u32 v24, vcc_lo, v20, v24
	s_delay_alu instid0(VALU_DEP_2) | instskip(NEXT) | instid1(VALU_DEP_4)
	v_add_co_ci_u32_e32 v25, vcc_lo, v21, v25, vcc_lo
	v_min_f32_e32 v16, v16, v17
	s_delay_alu instid0(VALU_DEP_1) | instskip(SKIP_3) | instid1(SALU_CYCLE_1)
	v_cvt_f64_f32_e32 v[16:17], v16
	global_store_b64 v[24:25], v[16:17], off
	s_or_b32 exec_lo, exec_lo, s11
	s_and_b32 s15, s3, s8
	s_and_saveexec_b32 s11, s15
	s_cbranch_execz .LBB171_105
.LBB171_121:
	v_cmp_ne_u32_e32 vcc_lo, 1, v18
	s_cbranch_vccnz .LBB171_123
; %bb.122:
	v_lshlrev_b64 v[16:17], 3, v[6:7]
	s_delay_alu instid0(VALU_DEP_1) | instskip(NEXT) | instid1(VALU_DEP_2)
	v_add_co_u32 v16, vcc_lo, v22, v16
	v_add_co_ci_u32_e32 v17, vcc_lo, v23, v17, vcc_lo
	flat_load_b64 v[16:17], v[16:17]
	s_waitcnt vmcnt(0) lgkmcnt(0)
	v_mul_f64 v[16:17], s[12:13], v[16:17]
	s_branch .LBB171_124
.LBB171_123:
	v_mov_b32_e32 v16, 0
	v_mov_b32_e32 v17, 0
.LBB171_124:
	s_delay_alu instid0(VALU_DEP_1) | instskip(SKIP_2) | instid1(VALU_DEP_1)
	v_cvt_f32_f64_e32 v16, v[16:17]
	v_max_f32_e32 v17, v118, v118
	v_lshlrev_b64 v[24:25], 3, v[6:7]
	v_add_co_u32 v24, vcc_lo, v20, v24
	s_delay_alu instid0(VALU_DEP_2) | instskip(NEXT) | instid1(VALU_DEP_4)
	v_add_co_ci_u32_e32 v25, vcc_lo, v21, v25, vcc_lo
	v_min_f32_e32 v16, v16, v17
	s_delay_alu instid0(VALU_DEP_1) | instskip(SKIP_3) | instid1(SALU_CYCLE_1)
	v_cvt_f64_f32_e32 v[16:17], v16
	global_store_b64 v[24:25], v[16:17], off
	s_or_b32 exec_lo, exec_lo, s11
	s_and_b32 s15, s4, s8
	s_and_saveexec_b32 s11, s15
	s_cbranch_execz .LBB171_106
.LBB171_125:
	v_cmp_ne_u32_e32 vcc_lo, 1, v18
	s_cbranch_vccnz .LBB171_127
; %bb.126:
	v_lshlrev_b64 v[16:17], 3, v[8:9]
	s_delay_alu instid0(VALU_DEP_1) | instskip(NEXT) | instid1(VALU_DEP_2)
	v_add_co_u32 v16, vcc_lo, v22, v16
	v_add_co_ci_u32_e32 v17, vcc_lo, v23, v17, vcc_lo
	flat_load_b64 v[16:17], v[16:17]
	s_waitcnt vmcnt(0) lgkmcnt(0)
	v_mul_f64 v[16:17], s[12:13], v[16:17]
	s_branch .LBB171_128
.LBB171_127:
	v_mov_b32_e32 v16, 0
	v_mov_b32_e32 v17, 0
.LBB171_128:
	s_delay_alu instid0(VALU_DEP_1) | instskip(SKIP_2) | instid1(VALU_DEP_1)
	v_cvt_f32_f64_e32 v16, v[16:17]
	v_max_f32_e32 v17, v117, v117
	v_lshlrev_b64 v[24:25], 3, v[8:9]
	v_add_co_u32 v24, vcc_lo, v20, v24
	s_delay_alu instid0(VALU_DEP_2) | instskip(NEXT) | instid1(VALU_DEP_4)
	v_add_co_ci_u32_e32 v25, vcc_lo, v21, v25, vcc_lo
	v_min_f32_e32 v16, v16, v17
	s_delay_alu instid0(VALU_DEP_1) | instskip(SKIP_3) | instid1(SALU_CYCLE_1)
	v_cvt_f64_f32_e32 v[16:17], v16
	global_store_b64 v[24:25], v[16:17], off
	s_or_b32 exec_lo, exec_lo, s11
	s_and_b32 s15, s5, s8
	s_and_saveexec_b32 s11, s15
	s_cbranch_execz .LBB171_107
.LBB171_129:
	v_cmp_ne_u32_e32 vcc_lo, 1, v18
	s_cbranch_vccnz .LBB171_131
; %bb.130:
	v_lshlrev_b64 v[16:17], 3, v[10:11]
	s_delay_alu instid0(VALU_DEP_1) | instskip(NEXT) | instid1(VALU_DEP_2)
	v_add_co_u32 v16, vcc_lo, v22, v16
	v_add_co_ci_u32_e32 v17, vcc_lo, v23, v17, vcc_lo
	flat_load_b64 v[16:17], v[16:17]
	s_waitcnt vmcnt(0) lgkmcnt(0)
	v_mul_f64 v[16:17], s[12:13], v[16:17]
	s_branch .LBB171_132
.LBB171_131:
	v_mov_b32_e32 v16, 0
	v_mov_b32_e32 v17, 0
.LBB171_132:
	s_delay_alu instid0(VALU_DEP_1) | instskip(SKIP_2) | instid1(VALU_DEP_1)
	v_cvt_f32_f64_e32 v16, v[16:17]
	v_max_f32_e32 v17, v116, v116
	v_lshlrev_b64 v[24:25], 3, v[10:11]
	v_add_co_u32 v24, vcc_lo, v20, v24
	s_delay_alu instid0(VALU_DEP_2) | instskip(NEXT) | instid1(VALU_DEP_4)
	v_add_co_ci_u32_e32 v25, vcc_lo, v21, v25, vcc_lo
	v_min_f32_e32 v16, v16, v17
	s_delay_alu instid0(VALU_DEP_1) | instskip(SKIP_3) | instid1(SALU_CYCLE_1)
	v_cvt_f64_f32_e32 v[16:17], v16
	global_store_b64 v[24:25], v[16:17], off
	s_or_b32 exec_lo, exec_lo, s11
	s_and_b32 s15, s6, s8
	s_and_saveexec_b32 s11, s15
	s_cbranch_execz .LBB171_108
.LBB171_133:
	v_cmp_ne_u32_e32 vcc_lo, 1, v18
	s_cbranch_vccnz .LBB171_135
; %bb.134:
	v_lshlrev_b64 v[16:17], 3, v[12:13]
	s_delay_alu instid0(VALU_DEP_1) | instskip(NEXT) | instid1(VALU_DEP_2)
	v_add_co_u32 v16, vcc_lo, v22, v16
	v_add_co_ci_u32_e32 v17, vcc_lo, v23, v17, vcc_lo
	flat_load_b64 v[16:17], v[16:17]
	s_waitcnt vmcnt(0) lgkmcnt(0)
	v_mul_f64 v[16:17], s[12:13], v[16:17]
	s_branch .LBB171_136
.LBB171_135:
	v_mov_b32_e32 v16, 0
	v_mov_b32_e32 v17, 0
.LBB171_136:
	s_delay_alu instid0(VALU_DEP_1) | instskip(SKIP_2) | instid1(VALU_DEP_1)
	v_cvt_f32_f64_e32 v16, v[16:17]
	v_max_f32_e32 v17, v115, v115
	v_lshlrev_b64 v[24:25], 3, v[12:13]
	v_add_co_u32 v24, vcc_lo, v20, v24
	s_delay_alu instid0(VALU_DEP_2) | instskip(NEXT) | instid1(VALU_DEP_4)
	v_add_co_ci_u32_e32 v25, vcc_lo, v21, v25, vcc_lo
	v_min_f32_e32 v16, v16, v17
	s_delay_alu instid0(VALU_DEP_1) | instskip(SKIP_3) | instid1(SALU_CYCLE_1)
	v_cvt_f64_f32_e32 v[16:17], v16
	global_store_b64 v[24:25], v[16:17], off
	s_or_b32 exec_lo, exec_lo, s11
	s_and_b32 s11, s7, s8
	s_and_saveexec_b32 s8, s11
	s_cbranch_execz .LBB171_141
.LBB171_137:
	v_cmp_ne_u32_e32 vcc_lo, 1, v18
	s_cbranch_vccnz .LBB171_139
; %bb.138:
	v_lshlrev_b64 v[16:17], 3, v[14:15]
	s_delay_alu instid0(VALU_DEP_1) | instskip(NEXT) | instid1(VALU_DEP_2)
	v_add_co_u32 v16, vcc_lo, v22, v16
	v_add_co_ci_u32_e32 v17, vcc_lo, v23, v17, vcc_lo
	flat_load_b64 v[16:17], v[16:17]
	s_waitcnt vmcnt(0) lgkmcnt(0)
	v_mul_f64 v[16:17], s[12:13], v[16:17]
	s_branch .LBB171_140
.LBB171_139:
	v_mov_b32_e32 v16, 0
	v_mov_b32_e32 v17, 0
.LBB171_140:
	s_delay_alu instid0(VALU_DEP_1) | instskip(SKIP_2) | instid1(VALU_DEP_1)
	v_cvt_f32_f64_e32 v16, v[16:17]
	v_max_f32_e32 v17, v114, v114
	v_lshlrev_b64 v[22:23], 3, v[14:15]
	v_add_co_u32 v20, vcc_lo, v20, v22
	s_delay_alu instid0(VALU_DEP_2) | instskip(NEXT) | instid1(VALU_DEP_4)
	v_add_co_ci_u32_e32 v21, vcc_lo, v21, v23, vcc_lo
	v_min_f32_e32 v16, v16, v17
	s_delay_alu instid0(VALU_DEP_1)
	v_cvt_f64_f32_e32 v[16:17], v16
	global_store_b64 v[20:21], v[16:17], off
.LBB171_141:
	s_or_b32 exec_lo, exec_lo, s8
	v_add_nc_u32_e32 v22, 64, v19
	s_delay_alu instid0(VALU_DEP_1) | instskip(SKIP_2) | instid1(VALU_DEP_3)
	v_mad_i64_i32 v[16:17], null, v22, s18, 0
	v_mad_i64_i32 v[20:21], null, v22, s14, 0
	v_cmp_gt_i32_e64 s8, s17, v22
	v_lshlrev_b64 v[16:17], 3, v[16:17]
	s_delay_alu instid0(VALU_DEP_2) | instskip(NEXT) | instid1(VALU_DEP_3)
	s_and_b32 s15, s0, s8
	v_lshlrev_b64 v[20:21], 3, v[20:21]
	s_delay_alu instid0(VALU_DEP_2) | instskip(NEXT) | instid1(VALU_DEP_3)
	v_add_co_u32 v22, vcc_lo, s20, v16
	v_add_co_ci_u32_e32 v23, vcc_lo, s21, v17, vcc_lo
	s_delay_alu instid0(VALU_DEP_3) | instskip(NEXT) | instid1(VALU_DEP_4)
	v_add_co_u32 v20, vcc_lo, s9, v20
	v_add_co_ci_u32_e32 v21, vcc_lo, s10, v21, vcc_lo
	s_and_saveexec_b32 s11, s15
	s_cbranch_execnz .LBB171_149
; %bb.142:
	s_or_b32 exec_lo, exec_lo, s11
	s_and_b32 s15, s1, s8
	s_delay_alu instid0(SALU_CYCLE_1)
	s_and_saveexec_b32 s11, s15
	s_cbranch_execnz .LBB171_153
.LBB171_143:
	s_or_b32 exec_lo, exec_lo, s11
	s_and_b32 s15, s2, s8
	s_delay_alu instid0(SALU_CYCLE_1)
	s_and_saveexec_b32 s11, s15
	s_cbranch_execnz .LBB171_157
.LBB171_144:
	s_or_b32 exec_lo, exec_lo, s11
	s_and_b32 s15, s3, s8
	s_delay_alu instid0(SALU_CYCLE_1)
	s_and_saveexec_b32 s11, s15
	s_cbranch_execnz .LBB171_161
.LBB171_145:
	s_or_b32 exec_lo, exec_lo, s11
	s_and_b32 s15, s4, s8
	s_delay_alu instid0(SALU_CYCLE_1)
	s_and_saveexec_b32 s11, s15
	s_cbranch_execnz .LBB171_165
.LBB171_146:
	s_or_b32 exec_lo, exec_lo, s11
	s_and_b32 s15, s5, s8
	s_delay_alu instid0(SALU_CYCLE_1)
	s_and_saveexec_b32 s11, s15
	s_cbranch_execnz .LBB171_169
.LBB171_147:
	s_or_b32 exec_lo, exec_lo, s11
	s_and_b32 s15, s6, s8
	s_delay_alu instid0(SALU_CYCLE_1)
	s_and_saveexec_b32 s11, s15
	s_cbranch_execnz .LBB171_173
.LBB171_148:
	s_or_b32 exec_lo, exec_lo, s11
	s_and_b32 s11, s7, s8
	s_delay_alu instid0(SALU_CYCLE_1)
	s_and_saveexec_b32 s8, s11
	s_cbranch_execnz .LBB171_177
	s_branch .LBB171_181
.LBB171_149:
	v_cmp_ne_u32_e32 vcc_lo, 1, v18
	s_cbranch_vccnz .LBB171_151
; %bb.150:
	v_lshlrev_b64 v[16:17], 3, v[0:1]
	s_delay_alu instid0(VALU_DEP_1) | instskip(NEXT) | instid1(VALU_DEP_2)
	v_add_co_u32 v16, vcc_lo, v22, v16
	v_add_co_ci_u32_e32 v17, vcc_lo, v23, v17, vcc_lo
	flat_load_b64 v[16:17], v[16:17]
	s_waitcnt vmcnt(0) lgkmcnt(0)
	v_mul_f64 v[16:17], s[12:13], v[16:17]
	s_branch .LBB171_152
.LBB171_151:
	v_mov_b32_e32 v16, 0
	v_mov_b32_e32 v17, 0
.LBB171_152:
	s_delay_alu instid0(VALU_DEP_1) | instskip(SKIP_2) | instid1(VALU_DEP_1)
	v_cvt_f32_f64_e32 v16, v[16:17]
	v_max_f32_e32 v17, v113, v113
	v_lshlrev_b64 v[24:25], 3, v[0:1]
	v_add_co_u32 v24, vcc_lo, v20, v24
	s_delay_alu instid0(VALU_DEP_2) | instskip(NEXT) | instid1(VALU_DEP_4)
	v_add_co_ci_u32_e32 v25, vcc_lo, v21, v25, vcc_lo
	v_min_f32_e32 v16, v16, v17
	s_delay_alu instid0(VALU_DEP_1) | instskip(SKIP_3) | instid1(SALU_CYCLE_1)
	v_cvt_f64_f32_e32 v[16:17], v16
	global_store_b64 v[24:25], v[16:17], off
	s_or_b32 exec_lo, exec_lo, s11
	s_and_b32 s15, s1, s8
	s_and_saveexec_b32 s11, s15
	s_cbranch_execz .LBB171_143
.LBB171_153:
	v_cmp_ne_u32_e32 vcc_lo, 1, v18
	s_cbranch_vccnz .LBB171_155
; %bb.154:
	v_lshlrev_b64 v[16:17], 3, v[2:3]
	s_delay_alu instid0(VALU_DEP_1) | instskip(NEXT) | instid1(VALU_DEP_2)
	v_add_co_u32 v16, vcc_lo, v22, v16
	v_add_co_ci_u32_e32 v17, vcc_lo, v23, v17, vcc_lo
	flat_load_b64 v[16:17], v[16:17]
	s_waitcnt vmcnt(0) lgkmcnt(0)
	v_mul_f64 v[16:17], s[12:13], v[16:17]
	s_branch .LBB171_156
.LBB171_155:
	v_mov_b32_e32 v16, 0
	v_mov_b32_e32 v17, 0
.LBB171_156:
	s_delay_alu instid0(VALU_DEP_1) | instskip(SKIP_2) | instid1(VALU_DEP_1)
	v_cvt_f32_f64_e32 v16, v[16:17]
	v_max_f32_e32 v17, v112, v112
	v_lshlrev_b64 v[24:25], 3, v[2:3]
	v_add_co_u32 v24, vcc_lo, v20, v24
	s_delay_alu instid0(VALU_DEP_2) | instskip(NEXT) | instid1(VALU_DEP_4)
	v_add_co_ci_u32_e32 v25, vcc_lo, v21, v25, vcc_lo
	v_min_f32_e32 v16, v16, v17
	s_delay_alu instid0(VALU_DEP_1) | instskip(SKIP_3) | instid1(SALU_CYCLE_1)
	v_cvt_f64_f32_e32 v[16:17], v16
	global_store_b64 v[24:25], v[16:17], off
	s_or_b32 exec_lo, exec_lo, s11
	s_and_b32 s15, s2, s8
	s_and_saveexec_b32 s11, s15
	s_cbranch_execz .LBB171_144
.LBB171_157:
	v_cmp_ne_u32_e32 vcc_lo, 1, v18
	s_cbranch_vccnz .LBB171_159
; %bb.158:
	v_lshlrev_b64 v[16:17], 3, v[4:5]
	s_delay_alu instid0(VALU_DEP_1) | instskip(NEXT) | instid1(VALU_DEP_2)
	v_add_co_u32 v16, vcc_lo, v22, v16
	v_add_co_ci_u32_e32 v17, vcc_lo, v23, v17, vcc_lo
	flat_load_b64 v[16:17], v[16:17]
	s_waitcnt vmcnt(0) lgkmcnt(0)
	v_mul_f64 v[16:17], s[12:13], v[16:17]
	s_branch .LBB171_160
.LBB171_159:
	v_mov_b32_e32 v16, 0
	v_mov_b32_e32 v17, 0
.LBB171_160:
	s_delay_alu instid0(VALU_DEP_1) | instskip(SKIP_2) | instid1(VALU_DEP_1)
	v_cvt_f32_f64_e32 v16, v[16:17]
	v_max_f32_e32 v17, v111, v111
	v_lshlrev_b64 v[24:25], 3, v[4:5]
	v_add_co_u32 v24, vcc_lo, v20, v24
	s_delay_alu instid0(VALU_DEP_2) | instskip(NEXT) | instid1(VALU_DEP_4)
	v_add_co_ci_u32_e32 v25, vcc_lo, v21, v25, vcc_lo
	v_min_f32_e32 v16, v16, v17
	s_delay_alu instid0(VALU_DEP_1) | instskip(SKIP_3) | instid1(SALU_CYCLE_1)
	v_cvt_f64_f32_e32 v[16:17], v16
	global_store_b64 v[24:25], v[16:17], off
	s_or_b32 exec_lo, exec_lo, s11
	s_and_b32 s15, s3, s8
	s_and_saveexec_b32 s11, s15
	s_cbranch_execz .LBB171_145
.LBB171_161:
	v_cmp_ne_u32_e32 vcc_lo, 1, v18
	s_cbranch_vccnz .LBB171_163
; %bb.162:
	v_lshlrev_b64 v[16:17], 3, v[6:7]
	s_delay_alu instid0(VALU_DEP_1) | instskip(NEXT) | instid1(VALU_DEP_2)
	v_add_co_u32 v16, vcc_lo, v22, v16
	v_add_co_ci_u32_e32 v17, vcc_lo, v23, v17, vcc_lo
	flat_load_b64 v[16:17], v[16:17]
	s_waitcnt vmcnt(0) lgkmcnt(0)
	v_mul_f64 v[16:17], s[12:13], v[16:17]
	s_branch .LBB171_164
.LBB171_163:
	v_mov_b32_e32 v16, 0
	v_mov_b32_e32 v17, 0
.LBB171_164:
	s_delay_alu instid0(VALU_DEP_1) | instskip(SKIP_2) | instid1(VALU_DEP_1)
	v_cvt_f32_f64_e32 v16, v[16:17]
	v_max_f32_e32 v17, v110, v110
	v_lshlrev_b64 v[24:25], 3, v[6:7]
	v_add_co_u32 v24, vcc_lo, v20, v24
	s_delay_alu instid0(VALU_DEP_2) | instskip(NEXT) | instid1(VALU_DEP_4)
	v_add_co_ci_u32_e32 v25, vcc_lo, v21, v25, vcc_lo
	v_min_f32_e32 v16, v16, v17
	s_delay_alu instid0(VALU_DEP_1) | instskip(SKIP_3) | instid1(SALU_CYCLE_1)
	v_cvt_f64_f32_e32 v[16:17], v16
	global_store_b64 v[24:25], v[16:17], off
	s_or_b32 exec_lo, exec_lo, s11
	s_and_b32 s15, s4, s8
	s_and_saveexec_b32 s11, s15
	s_cbranch_execz .LBB171_146
.LBB171_165:
	v_cmp_ne_u32_e32 vcc_lo, 1, v18
	s_cbranch_vccnz .LBB171_167
; %bb.166:
	v_lshlrev_b64 v[16:17], 3, v[8:9]
	s_delay_alu instid0(VALU_DEP_1) | instskip(NEXT) | instid1(VALU_DEP_2)
	v_add_co_u32 v16, vcc_lo, v22, v16
	v_add_co_ci_u32_e32 v17, vcc_lo, v23, v17, vcc_lo
	flat_load_b64 v[16:17], v[16:17]
	s_waitcnt vmcnt(0) lgkmcnt(0)
	v_mul_f64 v[16:17], s[12:13], v[16:17]
	s_branch .LBB171_168
.LBB171_167:
	v_mov_b32_e32 v16, 0
	v_mov_b32_e32 v17, 0
.LBB171_168:
	s_delay_alu instid0(VALU_DEP_1) | instskip(SKIP_2) | instid1(VALU_DEP_1)
	v_cvt_f32_f64_e32 v16, v[16:17]
	v_max_f32_e32 v17, v109, v109
	v_lshlrev_b64 v[24:25], 3, v[8:9]
	v_add_co_u32 v24, vcc_lo, v20, v24
	s_delay_alu instid0(VALU_DEP_2) | instskip(NEXT) | instid1(VALU_DEP_4)
	v_add_co_ci_u32_e32 v25, vcc_lo, v21, v25, vcc_lo
	v_min_f32_e32 v16, v16, v17
	s_delay_alu instid0(VALU_DEP_1) | instskip(SKIP_3) | instid1(SALU_CYCLE_1)
	v_cvt_f64_f32_e32 v[16:17], v16
	global_store_b64 v[24:25], v[16:17], off
	s_or_b32 exec_lo, exec_lo, s11
	s_and_b32 s15, s5, s8
	s_and_saveexec_b32 s11, s15
	s_cbranch_execz .LBB171_147
.LBB171_169:
	v_cmp_ne_u32_e32 vcc_lo, 1, v18
	s_cbranch_vccnz .LBB171_171
; %bb.170:
	v_lshlrev_b64 v[16:17], 3, v[10:11]
	s_delay_alu instid0(VALU_DEP_1) | instskip(NEXT) | instid1(VALU_DEP_2)
	v_add_co_u32 v16, vcc_lo, v22, v16
	v_add_co_ci_u32_e32 v17, vcc_lo, v23, v17, vcc_lo
	flat_load_b64 v[16:17], v[16:17]
	s_waitcnt vmcnt(0) lgkmcnt(0)
	v_mul_f64 v[16:17], s[12:13], v[16:17]
	s_branch .LBB171_172
.LBB171_171:
	v_mov_b32_e32 v16, 0
	v_mov_b32_e32 v17, 0
.LBB171_172:
	s_delay_alu instid0(VALU_DEP_1) | instskip(SKIP_2) | instid1(VALU_DEP_1)
	v_cvt_f32_f64_e32 v16, v[16:17]
	v_max_f32_e32 v17, v108, v108
	v_lshlrev_b64 v[24:25], 3, v[10:11]
	v_add_co_u32 v24, vcc_lo, v20, v24
	s_delay_alu instid0(VALU_DEP_2) | instskip(NEXT) | instid1(VALU_DEP_4)
	v_add_co_ci_u32_e32 v25, vcc_lo, v21, v25, vcc_lo
	v_min_f32_e32 v16, v16, v17
	s_delay_alu instid0(VALU_DEP_1) | instskip(SKIP_3) | instid1(SALU_CYCLE_1)
	v_cvt_f64_f32_e32 v[16:17], v16
	global_store_b64 v[24:25], v[16:17], off
	s_or_b32 exec_lo, exec_lo, s11
	s_and_b32 s15, s6, s8
	s_and_saveexec_b32 s11, s15
	s_cbranch_execz .LBB171_148
.LBB171_173:
	v_cmp_ne_u32_e32 vcc_lo, 1, v18
	s_cbranch_vccnz .LBB171_175
; %bb.174:
	v_lshlrev_b64 v[16:17], 3, v[12:13]
	s_delay_alu instid0(VALU_DEP_1) | instskip(NEXT) | instid1(VALU_DEP_2)
	v_add_co_u32 v16, vcc_lo, v22, v16
	v_add_co_ci_u32_e32 v17, vcc_lo, v23, v17, vcc_lo
	flat_load_b64 v[16:17], v[16:17]
	s_waitcnt vmcnt(0) lgkmcnt(0)
	v_mul_f64 v[16:17], s[12:13], v[16:17]
	s_branch .LBB171_176
.LBB171_175:
	v_mov_b32_e32 v16, 0
	v_mov_b32_e32 v17, 0
.LBB171_176:
	s_delay_alu instid0(VALU_DEP_1) | instskip(SKIP_2) | instid1(VALU_DEP_1)
	v_cvt_f32_f64_e32 v16, v[16:17]
	v_max_f32_e32 v17, v107, v107
	v_lshlrev_b64 v[24:25], 3, v[12:13]
	v_add_co_u32 v24, vcc_lo, v20, v24
	s_delay_alu instid0(VALU_DEP_2) | instskip(NEXT) | instid1(VALU_DEP_4)
	v_add_co_ci_u32_e32 v25, vcc_lo, v21, v25, vcc_lo
	v_min_f32_e32 v16, v16, v17
	s_delay_alu instid0(VALU_DEP_1) | instskip(SKIP_3) | instid1(SALU_CYCLE_1)
	v_cvt_f64_f32_e32 v[16:17], v16
	global_store_b64 v[24:25], v[16:17], off
	s_or_b32 exec_lo, exec_lo, s11
	s_and_b32 s11, s7, s8
	s_and_saveexec_b32 s8, s11
	s_cbranch_execz .LBB171_181
.LBB171_177:
	v_cmp_ne_u32_e32 vcc_lo, 1, v18
	s_cbranch_vccnz .LBB171_179
; %bb.178:
	v_lshlrev_b64 v[16:17], 3, v[14:15]
	s_delay_alu instid0(VALU_DEP_1) | instskip(NEXT) | instid1(VALU_DEP_2)
	v_add_co_u32 v16, vcc_lo, v22, v16
	v_add_co_ci_u32_e32 v17, vcc_lo, v23, v17, vcc_lo
	flat_load_b64 v[16:17], v[16:17]
	s_waitcnt vmcnt(0) lgkmcnt(0)
	v_mul_f64 v[16:17], s[12:13], v[16:17]
	s_branch .LBB171_180
.LBB171_179:
	v_mov_b32_e32 v16, 0
	v_mov_b32_e32 v17, 0
.LBB171_180:
	s_delay_alu instid0(VALU_DEP_1) | instskip(SKIP_2) | instid1(VALU_DEP_1)
	v_cvt_f32_f64_e32 v16, v[16:17]
	v_max_f32_e32 v17, v106, v106
	v_lshlrev_b64 v[22:23], 3, v[14:15]
	v_add_co_u32 v20, vcc_lo, v20, v22
	s_delay_alu instid0(VALU_DEP_2) | instskip(NEXT) | instid1(VALU_DEP_4)
	v_add_co_ci_u32_e32 v21, vcc_lo, v21, v23, vcc_lo
	v_min_f32_e32 v16, v16, v17
	s_delay_alu instid0(VALU_DEP_1)
	v_cvt_f64_f32_e32 v[16:17], v16
	global_store_b64 v[20:21], v[16:17], off
.LBB171_181:
	s_or_b32 exec_lo, exec_lo, s8
	v_add_nc_u32_e32 v22, 0x60, v19
	s_delay_alu instid0(VALU_DEP_1) | instskip(SKIP_2) | instid1(VALU_DEP_3)
	v_mad_i64_i32 v[16:17], null, v22, s18, 0
	v_mad_i64_i32 v[20:21], null, v22, s14, 0
	v_cmp_gt_i32_e64 s8, s17, v22
	v_lshlrev_b64 v[16:17], 3, v[16:17]
	s_delay_alu instid0(VALU_DEP_2) | instskip(NEXT) | instid1(VALU_DEP_3)
	s_and_b32 s15, s0, s8
	v_lshlrev_b64 v[20:21], 3, v[20:21]
	s_delay_alu instid0(VALU_DEP_2) | instskip(NEXT) | instid1(VALU_DEP_3)
	v_add_co_u32 v22, vcc_lo, s20, v16
	v_add_co_ci_u32_e32 v23, vcc_lo, s21, v17, vcc_lo
	s_delay_alu instid0(VALU_DEP_3) | instskip(NEXT) | instid1(VALU_DEP_4)
	v_add_co_u32 v20, vcc_lo, s9, v20
	v_add_co_ci_u32_e32 v21, vcc_lo, s10, v21, vcc_lo
	s_and_saveexec_b32 s11, s15
	s_cbranch_execnz .LBB171_189
; %bb.182:
	s_or_b32 exec_lo, exec_lo, s11
	s_and_b32 s15, s1, s8
	s_delay_alu instid0(SALU_CYCLE_1)
	s_and_saveexec_b32 s11, s15
	s_cbranch_execnz .LBB171_193
.LBB171_183:
	s_or_b32 exec_lo, exec_lo, s11
	s_and_b32 s15, s2, s8
	s_delay_alu instid0(SALU_CYCLE_1)
	s_and_saveexec_b32 s11, s15
	s_cbranch_execnz .LBB171_197
.LBB171_184:
	s_or_b32 exec_lo, exec_lo, s11
	s_and_b32 s15, s3, s8
	s_delay_alu instid0(SALU_CYCLE_1)
	s_and_saveexec_b32 s11, s15
	s_cbranch_execnz .LBB171_201
.LBB171_185:
	s_or_b32 exec_lo, exec_lo, s11
	s_and_b32 s15, s4, s8
	s_delay_alu instid0(SALU_CYCLE_1)
	s_and_saveexec_b32 s11, s15
	s_cbranch_execnz .LBB171_205
.LBB171_186:
	s_or_b32 exec_lo, exec_lo, s11
	s_and_b32 s15, s5, s8
	s_delay_alu instid0(SALU_CYCLE_1)
	s_and_saveexec_b32 s11, s15
	s_cbranch_execnz .LBB171_209
.LBB171_187:
	s_or_b32 exec_lo, exec_lo, s11
	s_and_b32 s15, s6, s8
	s_delay_alu instid0(SALU_CYCLE_1)
	s_and_saveexec_b32 s11, s15
	s_cbranch_execnz .LBB171_213
.LBB171_188:
	s_or_b32 exec_lo, exec_lo, s11
	s_and_b32 s11, s7, s8
	s_delay_alu instid0(SALU_CYCLE_1)
	s_and_saveexec_b32 s8, s11
	s_cbranch_execnz .LBB171_217
	s_branch .LBB171_221
.LBB171_189:
	v_cmp_ne_u32_e32 vcc_lo, 1, v18
	s_cbranch_vccnz .LBB171_191
; %bb.190:
	v_lshlrev_b64 v[16:17], 3, v[0:1]
	s_delay_alu instid0(VALU_DEP_1) | instskip(NEXT) | instid1(VALU_DEP_2)
	v_add_co_u32 v16, vcc_lo, v22, v16
	v_add_co_ci_u32_e32 v17, vcc_lo, v23, v17, vcc_lo
	flat_load_b64 v[16:17], v[16:17]
	s_waitcnt vmcnt(0) lgkmcnt(0)
	v_mul_f64 v[16:17], s[12:13], v[16:17]
	s_branch .LBB171_192
.LBB171_191:
	v_mov_b32_e32 v16, 0
	v_mov_b32_e32 v17, 0
.LBB171_192:
	s_delay_alu instid0(VALU_DEP_1) | instskip(SKIP_2) | instid1(VALU_DEP_1)
	v_cvt_f32_f64_e32 v16, v[16:17]
	v_max_f32_e32 v17, v105, v105
	v_lshlrev_b64 v[24:25], 3, v[0:1]
	v_add_co_u32 v24, vcc_lo, v20, v24
	s_delay_alu instid0(VALU_DEP_2) | instskip(NEXT) | instid1(VALU_DEP_4)
	v_add_co_ci_u32_e32 v25, vcc_lo, v21, v25, vcc_lo
	v_min_f32_e32 v16, v16, v17
	s_delay_alu instid0(VALU_DEP_1) | instskip(SKIP_3) | instid1(SALU_CYCLE_1)
	v_cvt_f64_f32_e32 v[16:17], v16
	global_store_b64 v[24:25], v[16:17], off
	s_or_b32 exec_lo, exec_lo, s11
	s_and_b32 s15, s1, s8
	s_and_saveexec_b32 s11, s15
	s_cbranch_execz .LBB171_183
.LBB171_193:
	v_cmp_ne_u32_e32 vcc_lo, 1, v18
	s_cbranch_vccnz .LBB171_195
; %bb.194:
	v_lshlrev_b64 v[16:17], 3, v[2:3]
	s_delay_alu instid0(VALU_DEP_1) | instskip(NEXT) | instid1(VALU_DEP_2)
	v_add_co_u32 v16, vcc_lo, v22, v16
	v_add_co_ci_u32_e32 v17, vcc_lo, v23, v17, vcc_lo
	flat_load_b64 v[16:17], v[16:17]
	s_waitcnt vmcnt(0) lgkmcnt(0)
	v_mul_f64 v[16:17], s[12:13], v[16:17]
	s_branch .LBB171_196
.LBB171_195:
	v_mov_b32_e32 v16, 0
	v_mov_b32_e32 v17, 0
.LBB171_196:
	s_delay_alu instid0(VALU_DEP_1) | instskip(SKIP_2) | instid1(VALU_DEP_1)
	v_cvt_f32_f64_e32 v16, v[16:17]
	v_max_f32_e32 v17, v104, v104
	v_lshlrev_b64 v[24:25], 3, v[2:3]
	v_add_co_u32 v24, vcc_lo, v20, v24
	s_delay_alu instid0(VALU_DEP_2) | instskip(NEXT) | instid1(VALU_DEP_4)
	v_add_co_ci_u32_e32 v25, vcc_lo, v21, v25, vcc_lo
	v_min_f32_e32 v16, v16, v17
	s_delay_alu instid0(VALU_DEP_1) | instskip(SKIP_3) | instid1(SALU_CYCLE_1)
	v_cvt_f64_f32_e32 v[16:17], v16
	global_store_b64 v[24:25], v[16:17], off
	s_or_b32 exec_lo, exec_lo, s11
	s_and_b32 s15, s2, s8
	s_and_saveexec_b32 s11, s15
	s_cbranch_execz .LBB171_184
.LBB171_197:
	v_cmp_ne_u32_e32 vcc_lo, 1, v18
	s_cbranch_vccnz .LBB171_199
; %bb.198:
	v_lshlrev_b64 v[16:17], 3, v[4:5]
	s_delay_alu instid0(VALU_DEP_1) | instskip(NEXT) | instid1(VALU_DEP_2)
	v_add_co_u32 v16, vcc_lo, v22, v16
	v_add_co_ci_u32_e32 v17, vcc_lo, v23, v17, vcc_lo
	flat_load_b64 v[16:17], v[16:17]
	s_waitcnt vmcnt(0) lgkmcnt(0)
	v_mul_f64 v[16:17], s[12:13], v[16:17]
	s_branch .LBB171_200
.LBB171_199:
	v_mov_b32_e32 v16, 0
	v_mov_b32_e32 v17, 0
.LBB171_200:
	s_delay_alu instid0(VALU_DEP_1) | instskip(SKIP_2) | instid1(VALU_DEP_1)
	v_cvt_f32_f64_e32 v16, v[16:17]
	v_max_f32_e32 v17, v103, v103
	v_lshlrev_b64 v[24:25], 3, v[4:5]
	v_add_co_u32 v24, vcc_lo, v20, v24
	s_delay_alu instid0(VALU_DEP_2) | instskip(NEXT) | instid1(VALU_DEP_4)
	v_add_co_ci_u32_e32 v25, vcc_lo, v21, v25, vcc_lo
	v_min_f32_e32 v16, v16, v17
	s_delay_alu instid0(VALU_DEP_1) | instskip(SKIP_3) | instid1(SALU_CYCLE_1)
	v_cvt_f64_f32_e32 v[16:17], v16
	global_store_b64 v[24:25], v[16:17], off
	s_or_b32 exec_lo, exec_lo, s11
	s_and_b32 s15, s3, s8
	s_and_saveexec_b32 s11, s15
	s_cbranch_execz .LBB171_185
.LBB171_201:
	v_cmp_ne_u32_e32 vcc_lo, 1, v18
	s_cbranch_vccnz .LBB171_203
; %bb.202:
	v_lshlrev_b64 v[16:17], 3, v[6:7]
	s_delay_alu instid0(VALU_DEP_1) | instskip(NEXT) | instid1(VALU_DEP_2)
	v_add_co_u32 v16, vcc_lo, v22, v16
	v_add_co_ci_u32_e32 v17, vcc_lo, v23, v17, vcc_lo
	flat_load_b64 v[16:17], v[16:17]
	s_waitcnt vmcnt(0) lgkmcnt(0)
	v_mul_f64 v[16:17], s[12:13], v[16:17]
	s_branch .LBB171_204
.LBB171_203:
	v_mov_b32_e32 v16, 0
	v_mov_b32_e32 v17, 0
.LBB171_204:
	s_delay_alu instid0(VALU_DEP_1) | instskip(SKIP_2) | instid1(VALU_DEP_1)
	v_cvt_f32_f64_e32 v16, v[16:17]
	v_max_f32_e32 v17, v102, v102
	v_lshlrev_b64 v[24:25], 3, v[6:7]
	v_add_co_u32 v24, vcc_lo, v20, v24
	s_delay_alu instid0(VALU_DEP_2) | instskip(NEXT) | instid1(VALU_DEP_4)
	v_add_co_ci_u32_e32 v25, vcc_lo, v21, v25, vcc_lo
	v_min_f32_e32 v16, v16, v17
	s_delay_alu instid0(VALU_DEP_1) | instskip(SKIP_3) | instid1(SALU_CYCLE_1)
	v_cvt_f64_f32_e32 v[16:17], v16
	global_store_b64 v[24:25], v[16:17], off
	s_or_b32 exec_lo, exec_lo, s11
	s_and_b32 s15, s4, s8
	s_and_saveexec_b32 s11, s15
	s_cbranch_execz .LBB171_186
.LBB171_205:
	v_cmp_ne_u32_e32 vcc_lo, 1, v18
	s_cbranch_vccnz .LBB171_207
; %bb.206:
	v_lshlrev_b64 v[16:17], 3, v[8:9]
	s_delay_alu instid0(VALU_DEP_1) | instskip(NEXT) | instid1(VALU_DEP_2)
	v_add_co_u32 v16, vcc_lo, v22, v16
	v_add_co_ci_u32_e32 v17, vcc_lo, v23, v17, vcc_lo
	flat_load_b64 v[16:17], v[16:17]
	s_waitcnt vmcnt(0) lgkmcnt(0)
	v_mul_f64 v[16:17], s[12:13], v[16:17]
	s_branch .LBB171_208
.LBB171_207:
	v_mov_b32_e32 v16, 0
	v_mov_b32_e32 v17, 0
.LBB171_208:
	s_delay_alu instid0(VALU_DEP_1) | instskip(SKIP_2) | instid1(VALU_DEP_1)
	v_cvt_f32_f64_e32 v16, v[16:17]
	v_max_f32_e32 v17, v101, v101
	v_lshlrev_b64 v[24:25], 3, v[8:9]
	v_add_co_u32 v24, vcc_lo, v20, v24
	s_delay_alu instid0(VALU_DEP_2) | instskip(NEXT) | instid1(VALU_DEP_4)
	v_add_co_ci_u32_e32 v25, vcc_lo, v21, v25, vcc_lo
	v_min_f32_e32 v16, v16, v17
	s_delay_alu instid0(VALU_DEP_1) | instskip(SKIP_3) | instid1(SALU_CYCLE_1)
	v_cvt_f64_f32_e32 v[16:17], v16
	global_store_b64 v[24:25], v[16:17], off
	s_or_b32 exec_lo, exec_lo, s11
	s_and_b32 s15, s5, s8
	s_and_saveexec_b32 s11, s15
	s_cbranch_execz .LBB171_187
.LBB171_209:
	v_cmp_ne_u32_e32 vcc_lo, 1, v18
	s_cbranch_vccnz .LBB171_211
; %bb.210:
	v_lshlrev_b64 v[16:17], 3, v[10:11]
	s_delay_alu instid0(VALU_DEP_1) | instskip(NEXT) | instid1(VALU_DEP_2)
	v_add_co_u32 v16, vcc_lo, v22, v16
	v_add_co_ci_u32_e32 v17, vcc_lo, v23, v17, vcc_lo
	flat_load_b64 v[16:17], v[16:17]
	s_waitcnt vmcnt(0) lgkmcnt(0)
	v_mul_f64 v[16:17], s[12:13], v[16:17]
	s_branch .LBB171_212
.LBB171_211:
	v_mov_b32_e32 v16, 0
	v_mov_b32_e32 v17, 0
.LBB171_212:
	s_delay_alu instid0(VALU_DEP_1) | instskip(SKIP_2) | instid1(VALU_DEP_1)
	v_cvt_f32_f64_e32 v16, v[16:17]
	v_max_f32_e32 v17, v100, v100
	v_lshlrev_b64 v[24:25], 3, v[10:11]
	v_add_co_u32 v24, vcc_lo, v20, v24
	s_delay_alu instid0(VALU_DEP_2) | instskip(NEXT) | instid1(VALU_DEP_4)
	v_add_co_ci_u32_e32 v25, vcc_lo, v21, v25, vcc_lo
	v_min_f32_e32 v16, v16, v17
	s_delay_alu instid0(VALU_DEP_1) | instskip(SKIP_3) | instid1(SALU_CYCLE_1)
	v_cvt_f64_f32_e32 v[16:17], v16
	global_store_b64 v[24:25], v[16:17], off
	s_or_b32 exec_lo, exec_lo, s11
	s_and_b32 s15, s6, s8
	s_and_saveexec_b32 s11, s15
	s_cbranch_execz .LBB171_188
.LBB171_213:
	v_cmp_ne_u32_e32 vcc_lo, 1, v18
	s_cbranch_vccnz .LBB171_215
; %bb.214:
	v_lshlrev_b64 v[16:17], 3, v[12:13]
	s_delay_alu instid0(VALU_DEP_1) | instskip(NEXT) | instid1(VALU_DEP_2)
	v_add_co_u32 v16, vcc_lo, v22, v16
	v_add_co_ci_u32_e32 v17, vcc_lo, v23, v17, vcc_lo
	flat_load_b64 v[16:17], v[16:17]
	s_waitcnt vmcnt(0) lgkmcnt(0)
	v_mul_f64 v[16:17], s[12:13], v[16:17]
	s_branch .LBB171_216
.LBB171_215:
	v_mov_b32_e32 v16, 0
	v_mov_b32_e32 v17, 0
.LBB171_216:
	s_delay_alu instid0(VALU_DEP_1) | instskip(SKIP_2) | instid1(VALU_DEP_1)
	v_cvt_f32_f64_e32 v16, v[16:17]
	v_max_f32_e32 v17, v99, v99
	v_lshlrev_b64 v[24:25], 3, v[12:13]
	v_add_co_u32 v24, vcc_lo, v20, v24
	s_delay_alu instid0(VALU_DEP_2) | instskip(NEXT) | instid1(VALU_DEP_4)
	v_add_co_ci_u32_e32 v25, vcc_lo, v21, v25, vcc_lo
	v_min_f32_e32 v16, v16, v17
	s_delay_alu instid0(VALU_DEP_1) | instskip(SKIP_3) | instid1(SALU_CYCLE_1)
	v_cvt_f64_f32_e32 v[16:17], v16
	global_store_b64 v[24:25], v[16:17], off
	s_or_b32 exec_lo, exec_lo, s11
	s_and_b32 s11, s7, s8
	s_and_saveexec_b32 s8, s11
	s_cbranch_execz .LBB171_221
.LBB171_217:
	v_cmp_ne_u32_e32 vcc_lo, 1, v18
	s_cbranch_vccnz .LBB171_219
; %bb.218:
	v_lshlrev_b64 v[16:17], 3, v[14:15]
	s_delay_alu instid0(VALU_DEP_1) | instskip(NEXT) | instid1(VALU_DEP_2)
	v_add_co_u32 v16, vcc_lo, v22, v16
	v_add_co_ci_u32_e32 v17, vcc_lo, v23, v17, vcc_lo
	flat_load_b64 v[16:17], v[16:17]
	s_waitcnt vmcnt(0) lgkmcnt(0)
	v_mul_f64 v[16:17], s[12:13], v[16:17]
	s_branch .LBB171_220
.LBB171_219:
	v_mov_b32_e32 v16, 0
	v_mov_b32_e32 v17, 0
.LBB171_220:
	s_delay_alu instid0(VALU_DEP_1) | instskip(SKIP_2) | instid1(VALU_DEP_1)
	v_cvt_f32_f64_e32 v16, v[16:17]
	v_max_f32_e32 v17, v98, v98
	v_lshlrev_b64 v[22:23], 3, v[14:15]
	v_add_co_u32 v20, vcc_lo, v20, v22
	s_delay_alu instid0(VALU_DEP_2) | instskip(NEXT) | instid1(VALU_DEP_4)
	v_add_co_ci_u32_e32 v21, vcc_lo, v21, v23, vcc_lo
	v_min_f32_e32 v16, v16, v17
	s_delay_alu instid0(VALU_DEP_1)
	v_cvt_f64_f32_e32 v[16:17], v16
	global_store_b64 v[20:21], v[16:17], off
.LBB171_221:
	s_or_b32 exec_lo, exec_lo, s8
	v_add_nc_u32_e32 v22, 0x80, v19
	s_delay_alu instid0(VALU_DEP_1) | instskip(SKIP_2) | instid1(VALU_DEP_3)
	v_mad_i64_i32 v[16:17], null, v22, s18, 0
	v_mad_i64_i32 v[20:21], null, v22, s14, 0
	v_cmp_gt_i32_e64 s8, s17, v22
	v_lshlrev_b64 v[16:17], 3, v[16:17]
	s_delay_alu instid0(VALU_DEP_2) | instskip(NEXT) | instid1(VALU_DEP_3)
	s_and_b32 s15, s0, s8
	v_lshlrev_b64 v[20:21], 3, v[20:21]
	s_delay_alu instid0(VALU_DEP_2) | instskip(NEXT) | instid1(VALU_DEP_3)
	v_add_co_u32 v22, vcc_lo, s20, v16
	v_add_co_ci_u32_e32 v23, vcc_lo, s21, v17, vcc_lo
	s_delay_alu instid0(VALU_DEP_3) | instskip(NEXT) | instid1(VALU_DEP_4)
	v_add_co_u32 v20, vcc_lo, s9, v20
	v_add_co_ci_u32_e32 v21, vcc_lo, s10, v21, vcc_lo
	s_and_saveexec_b32 s11, s15
	s_cbranch_execnz .LBB171_229
; %bb.222:
	s_or_b32 exec_lo, exec_lo, s11
	s_and_b32 s15, s1, s8
	s_delay_alu instid0(SALU_CYCLE_1)
	s_and_saveexec_b32 s11, s15
	s_cbranch_execnz .LBB171_233
.LBB171_223:
	s_or_b32 exec_lo, exec_lo, s11
	s_and_b32 s15, s2, s8
	s_delay_alu instid0(SALU_CYCLE_1)
	s_and_saveexec_b32 s11, s15
	s_cbranch_execnz .LBB171_237
.LBB171_224:
	s_or_b32 exec_lo, exec_lo, s11
	s_and_b32 s15, s3, s8
	s_delay_alu instid0(SALU_CYCLE_1)
	s_and_saveexec_b32 s11, s15
	s_cbranch_execnz .LBB171_241
.LBB171_225:
	s_or_b32 exec_lo, exec_lo, s11
	s_and_b32 s15, s4, s8
	s_delay_alu instid0(SALU_CYCLE_1)
	s_and_saveexec_b32 s11, s15
	s_cbranch_execnz .LBB171_245
.LBB171_226:
	s_or_b32 exec_lo, exec_lo, s11
	s_and_b32 s15, s5, s8
	s_delay_alu instid0(SALU_CYCLE_1)
	s_and_saveexec_b32 s11, s15
	s_cbranch_execnz .LBB171_249
.LBB171_227:
	s_or_b32 exec_lo, exec_lo, s11
	s_and_b32 s15, s6, s8
	s_delay_alu instid0(SALU_CYCLE_1)
	s_and_saveexec_b32 s11, s15
	s_cbranch_execnz .LBB171_253
.LBB171_228:
	s_or_b32 exec_lo, exec_lo, s11
	s_and_b32 s11, s7, s8
	s_delay_alu instid0(SALU_CYCLE_1)
	s_and_saveexec_b32 s8, s11
	s_cbranch_execnz .LBB171_257
	s_branch .LBB171_261
.LBB171_229:
	v_cmp_ne_u32_e32 vcc_lo, 1, v18
	s_cbranch_vccnz .LBB171_231
; %bb.230:
	v_lshlrev_b64 v[16:17], 3, v[0:1]
	s_delay_alu instid0(VALU_DEP_1) | instskip(NEXT) | instid1(VALU_DEP_2)
	v_add_co_u32 v16, vcc_lo, v22, v16
	v_add_co_ci_u32_e32 v17, vcc_lo, v23, v17, vcc_lo
	flat_load_b64 v[16:17], v[16:17]
	s_waitcnt vmcnt(0) lgkmcnt(0)
	v_mul_f64 v[16:17], s[12:13], v[16:17]
	s_branch .LBB171_232
.LBB171_231:
	v_mov_b32_e32 v16, 0
	v_mov_b32_e32 v17, 0
.LBB171_232:
	s_delay_alu instid0(VALU_DEP_1) | instskip(SKIP_2) | instid1(VALU_DEP_1)
	v_cvt_f32_f64_e32 v16, v[16:17]
	v_max_f32_e32 v17, v97, v97
	v_lshlrev_b64 v[24:25], 3, v[0:1]
	v_add_co_u32 v24, vcc_lo, v20, v24
	s_delay_alu instid0(VALU_DEP_2) | instskip(NEXT) | instid1(VALU_DEP_4)
	v_add_co_ci_u32_e32 v25, vcc_lo, v21, v25, vcc_lo
	v_min_f32_e32 v16, v16, v17
	s_delay_alu instid0(VALU_DEP_1) | instskip(SKIP_3) | instid1(SALU_CYCLE_1)
	v_cvt_f64_f32_e32 v[16:17], v16
	global_store_b64 v[24:25], v[16:17], off
	s_or_b32 exec_lo, exec_lo, s11
	s_and_b32 s15, s1, s8
	s_and_saveexec_b32 s11, s15
	s_cbranch_execz .LBB171_223
.LBB171_233:
	v_cmp_ne_u32_e32 vcc_lo, 1, v18
	s_cbranch_vccnz .LBB171_235
; %bb.234:
	v_lshlrev_b64 v[16:17], 3, v[2:3]
	s_delay_alu instid0(VALU_DEP_1) | instskip(NEXT) | instid1(VALU_DEP_2)
	v_add_co_u32 v16, vcc_lo, v22, v16
	v_add_co_ci_u32_e32 v17, vcc_lo, v23, v17, vcc_lo
	flat_load_b64 v[16:17], v[16:17]
	s_waitcnt vmcnt(0) lgkmcnt(0)
	v_mul_f64 v[16:17], s[12:13], v[16:17]
	s_branch .LBB171_236
.LBB171_235:
	v_mov_b32_e32 v16, 0
	v_mov_b32_e32 v17, 0
.LBB171_236:
	s_delay_alu instid0(VALU_DEP_1) | instskip(SKIP_2) | instid1(VALU_DEP_1)
	v_cvt_f32_f64_e32 v16, v[16:17]
	v_max_f32_e32 v17, v96, v96
	v_lshlrev_b64 v[24:25], 3, v[2:3]
	v_add_co_u32 v24, vcc_lo, v20, v24
	s_delay_alu instid0(VALU_DEP_2) | instskip(NEXT) | instid1(VALU_DEP_4)
	v_add_co_ci_u32_e32 v25, vcc_lo, v21, v25, vcc_lo
	v_min_f32_e32 v16, v16, v17
	s_delay_alu instid0(VALU_DEP_1) | instskip(SKIP_3) | instid1(SALU_CYCLE_1)
	v_cvt_f64_f32_e32 v[16:17], v16
	global_store_b64 v[24:25], v[16:17], off
	s_or_b32 exec_lo, exec_lo, s11
	s_and_b32 s15, s2, s8
	s_and_saveexec_b32 s11, s15
	s_cbranch_execz .LBB171_224
.LBB171_237:
	v_cmp_ne_u32_e32 vcc_lo, 1, v18
	s_cbranch_vccnz .LBB171_239
; %bb.238:
	v_lshlrev_b64 v[16:17], 3, v[4:5]
	s_delay_alu instid0(VALU_DEP_1) | instskip(NEXT) | instid1(VALU_DEP_2)
	v_add_co_u32 v16, vcc_lo, v22, v16
	v_add_co_ci_u32_e32 v17, vcc_lo, v23, v17, vcc_lo
	flat_load_b64 v[16:17], v[16:17]
	s_waitcnt vmcnt(0) lgkmcnt(0)
	v_mul_f64 v[16:17], s[12:13], v[16:17]
	s_branch .LBB171_240
.LBB171_239:
	v_mov_b32_e32 v16, 0
	v_mov_b32_e32 v17, 0
.LBB171_240:
	s_delay_alu instid0(VALU_DEP_1) | instskip(SKIP_2) | instid1(VALU_DEP_1)
	v_cvt_f32_f64_e32 v16, v[16:17]
	v_max_f32_e32 v17, v95, v95
	v_lshlrev_b64 v[24:25], 3, v[4:5]
	v_add_co_u32 v24, vcc_lo, v20, v24
	s_delay_alu instid0(VALU_DEP_2) | instskip(NEXT) | instid1(VALU_DEP_4)
	v_add_co_ci_u32_e32 v25, vcc_lo, v21, v25, vcc_lo
	v_min_f32_e32 v16, v16, v17
	s_delay_alu instid0(VALU_DEP_1) | instskip(SKIP_3) | instid1(SALU_CYCLE_1)
	v_cvt_f64_f32_e32 v[16:17], v16
	global_store_b64 v[24:25], v[16:17], off
	s_or_b32 exec_lo, exec_lo, s11
	s_and_b32 s15, s3, s8
	s_and_saveexec_b32 s11, s15
	s_cbranch_execz .LBB171_225
.LBB171_241:
	v_cmp_ne_u32_e32 vcc_lo, 1, v18
	s_cbranch_vccnz .LBB171_243
; %bb.242:
	v_lshlrev_b64 v[16:17], 3, v[6:7]
	s_delay_alu instid0(VALU_DEP_1) | instskip(NEXT) | instid1(VALU_DEP_2)
	v_add_co_u32 v16, vcc_lo, v22, v16
	v_add_co_ci_u32_e32 v17, vcc_lo, v23, v17, vcc_lo
	flat_load_b64 v[16:17], v[16:17]
	s_waitcnt vmcnt(0) lgkmcnt(0)
	v_mul_f64 v[16:17], s[12:13], v[16:17]
	s_branch .LBB171_244
.LBB171_243:
	v_mov_b32_e32 v16, 0
	v_mov_b32_e32 v17, 0
.LBB171_244:
	s_delay_alu instid0(VALU_DEP_1) | instskip(SKIP_2) | instid1(VALU_DEP_1)
	v_cvt_f32_f64_e32 v16, v[16:17]
	v_max_f32_e32 v17, v94, v94
	v_lshlrev_b64 v[24:25], 3, v[6:7]
	v_add_co_u32 v24, vcc_lo, v20, v24
	s_delay_alu instid0(VALU_DEP_2) | instskip(NEXT) | instid1(VALU_DEP_4)
	v_add_co_ci_u32_e32 v25, vcc_lo, v21, v25, vcc_lo
	v_min_f32_e32 v16, v16, v17
	s_delay_alu instid0(VALU_DEP_1) | instskip(SKIP_3) | instid1(SALU_CYCLE_1)
	v_cvt_f64_f32_e32 v[16:17], v16
	global_store_b64 v[24:25], v[16:17], off
	s_or_b32 exec_lo, exec_lo, s11
	s_and_b32 s15, s4, s8
	s_and_saveexec_b32 s11, s15
	s_cbranch_execz .LBB171_226
.LBB171_245:
	v_cmp_ne_u32_e32 vcc_lo, 1, v18
	s_cbranch_vccnz .LBB171_247
; %bb.246:
	v_lshlrev_b64 v[16:17], 3, v[8:9]
	s_delay_alu instid0(VALU_DEP_1) | instskip(NEXT) | instid1(VALU_DEP_2)
	v_add_co_u32 v16, vcc_lo, v22, v16
	v_add_co_ci_u32_e32 v17, vcc_lo, v23, v17, vcc_lo
	flat_load_b64 v[16:17], v[16:17]
	s_waitcnt vmcnt(0) lgkmcnt(0)
	v_mul_f64 v[16:17], s[12:13], v[16:17]
	s_branch .LBB171_248
.LBB171_247:
	v_mov_b32_e32 v16, 0
	v_mov_b32_e32 v17, 0
.LBB171_248:
	s_delay_alu instid0(VALU_DEP_1) | instskip(SKIP_2) | instid1(VALU_DEP_1)
	v_cvt_f32_f64_e32 v16, v[16:17]
	v_max_f32_e32 v17, v93, v93
	v_lshlrev_b64 v[24:25], 3, v[8:9]
	v_add_co_u32 v24, vcc_lo, v20, v24
	s_delay_alu instid0(VALU_DEP_2) | instskip(NEXT) | instid1(VALU_DEP_4)
	v_add_co_ci_u32_e32 v25, vcc_lo, v21, v25, vcc_lo
	v_min_f32_e32 v16, v16, v17
	s_delay_alu instid0(VALU_DEP_1) | instskip(SKIP_3) | instid1(SALU_CYCLE_1)
	v_cvt_f64_f32_e32 v[16:17], v16
	global_store_b64 v[24:25], v[16:17], off
	s_or_b32 exec_lo, exec_lo, s11
	s_and_b32 s15, s5, s8
	s_and_saveexec_b32 s11, s15
	s_cbranch_execz .LBB171_227
.LBB171_249:
	v_cmp_ne_u32_e32 vcc_lo, 1, v18
	s_cbranch_vccnz .LBB171_251
; %bb.250:
	v_lshlrev_b64 v[16:17], 3, v[10:11]
	s_delay_alu instid0(VALU_DEP_1) | instskip(NEXT) | instid1(VALU_DEP_2)
	v_add_co_u32 v16, vcc_lo, v22, v16
	v_add_co_ci_u32_e32 v17, vcc_lo, v23, v17, vcc_lo
	flat_load_b64 v[16:17], v[16:17]
	s_waitcnt vmcnt(0) lgkmcnt(0)
	v_mul_f64 v[16:17], s[12:13], v[16:17]
	s_branch .LBB171_252
.LBB171_251:
	v_mov_b32_e32 v16, 0
	v_mov_b32_e32 v17, 0
.LBB171_252:
	s_delay_alu instid0(VALU_DEP_1) | instskip(SKIP_2) | instid1(VALU_DEP_1)
	v_cvt_f32_f64_e32 v16, v[16:17]
	v_max_f32_e32 v17, v92, v92
	v_lshlrev_b64 v[24:25], 3, v[10:11]
	v_add_co_u32 v24, vcc_lo, v20, v24
	s_delay_alu instid0(VALU_DEP_2) | instskip(NEXT) | instid1(VALU_DEP_4)
	v_add_co_ci_u32_e32 v25, vcc_lo, v21, v25, vcc_lo
	v_min_f32_e32 v16, v16, v17
	s_delay_alu instid0(VALU_DEP_1) | instskip(SKIP_3) | instid1(SALU_CYCLE_1)
	v_cvt_f64_f32_e32 v[16:17], v16
	global_store_b64 v[24:25], v[16:17], off
	s_or_b32 exec_lo, exec_lo, s11
	s_and_b32 s15, s6, s8
	s_and_saveexec_b32 s11, s15
	s_cbranch_execz .LBB171_228
.LBB171_253:
	v_cmp_ne_u32_e32 vcc_lo, 1, v18
	s_cbranch_vccnz .LBB171_255
; %bb.254:
	v_lshlrev_b64 v[16:17], 3, v[12:13]
	s_delay_alu instid0(VALU_DEP_1) | instskip(NEXT) | instid1(VALU_DEP_2)
	v_add_co_u32 v16, vcc_lo, v22, v16
	v_add_co_ci_u32_e32 v17, vcc_lo, v23, v17, vcc_lo
	flat_load_b64 v[16:17], v[16:17]
	s_waitcnt vmcnt(0) lgkmcnt(0)
	v_mul_f64 v[16:17], s[12:13], v[16:17]
	s_branch .LBB171_256
.LBB171_255:
	v_mov_b32_e32 v16, 0
	v_mov_b32_e32 v17, 0
.LBB171_256:
	s_delay_alu instid0(VALU_DEP_1) | instskip(SKIP_2) | instid1(VALU_DEP_1)
	v_cvt_f32_f64_e32 v16, v[16:17]
	v_max_f32_e32 v17, v91, v91
	v_lshlrev_b64 v[24:25], 3, v[12:13]
	v_add_co_u32 v24, vcc_lo, v20, v24
	s_delay_alu instid0(VALU_DEP_2) | instskip(NEXT) | instid1(VALU_DEP_4)
	v_add_co_ci_u32_e32 v25, vcc_lo, v21, v25, vcc_lo
	v_min_f32_e32 v16, v16, v17
	s_delay_alu instid0(VALU_DEP_1) | instskip(SKIP_3) | instid1(SALU_CYCLE_1)
	v_cvt_f64_f32_e32 v[16:17], v16
	global_store_b64 v[24:25], v[16:17], off
	s_or_b32 exec_lo, exec_lo, s11
	s_and_b32 s11, s7, s8
	s_and_saveexec_b32 s8, s11
	s_cbranch_execz .LBB171_261
.LBB171_257:
	v_cmp_ne_u32_e32 vcc_lo, 1, v18
	s_cbranch_vccnz .LBB171_259
; %bb.258:
	v_lshlrev_b64 v[16:17], 3, v[14:15]
	s_delay_alu instid0(VALU_DEP_1) | instskip(NEXT) | instid1(VALU_DEP_2)
	v_add_co_u32 v16, vcc_lo, v22, v16
	v_add_co_ci_u32_e32 v17, vcc_lo, v23, v17, vcc_lo
	flat_load_b64 v[16:17], v[16:17]
	s_waitcnt vmcnt(0) lgkmcnt(0)
	v_mul_f64 v[16:17], s[12:13], v[16:17]
	s_branch .LBB171_260
.LBB171_259:
	v_mov_b32_e32 v16, 0
	v_mov_b32_e32 v17, 0
.LBB171_260:
	s_delay_alu instid0(VALU_DEP_1) | instskip(SKIP_2) | instid1(VALU_DEP_1)
	v_cvt_f32_f64_e32 v16, v[16:17]
	v_max_f32_e32 v17, v90, v90
	v_lshlrev_b64 v[22:23], 3, v[14:15]
	v_add_co_u32 v20, vcc_lo, v20, v22
	s_delay_alu instid0(VALU_DEP_2) | instskip(NEXT) | instid1(VALU_DEP_4)
	v_add_co_ci_u32_e32 v21, vcc_lo, v21, v23, vcc_lo
	v_min_f32_e32 v16, v16, v17
	s_delay_alu instid0(VALU_DEP_1)
	v_cvt_f64_f32_e32 v[16:17], v16
	global_store_b64 v[20:21], v[16:17], off
.LBB171_261:
	s_or_b32 exec_lo, exec_lo, s8
	v_add_nc_u32_e32 v22, 0xa0, v19
	s_delay_alu instid0(VALU_DEP_1) | instskip(SKIP_2) | instid1(VALU_DEP_3)
	v_mad_i64_i32 v[16:17], null, v22, s18, 0
	v_mad_i64_i32 v[20:21], null, v22, s14, 0
	v_cmp_gt_i32_e64 s8, s17, v22
	v_lshlrev_b64 v[16:17], 3, v[16:17]
	s_delay_alu instid0(VALU_DEP_2) | instskip(NEXT) | instid1(VALU_DEP_3)
	s_and_b32 s15, s0, s8
	v_lshlrev_b64 v[20:21], 3, v[20:21]
	s_delay_alu instid0(VALU_DEP_2) | instskip(NEXT) | instid1(VALU_DEP_3)
	v_add_co_u32 v22, vcc_lo, s20, v16
	v_add_co_ci_u32_e32 v23, vcc_lo, s21, v17, vcc_lo
	s_delay_alu instid0(VALU_DEP_3) | instskip(NEXT) | instid1(VALU_DEP_4)
	v_add_co_u32 v20, vcc_lo, s9, v20
	v_add_co_ci_u32_e32 v21, vcc_lo, s10, v21, vcc_lo
	s_and_saveexec_b32 s11, s15
	s_cbranch_execnz .LBB171_269
; %bb.262:
	s_or_b32 exec_lo, exec_lo, s11
	s_and_b32 s15, s1, s8
	s_delay_alu instid0(SALU_CYCLE_1)
	s_and_saveexec_b32 s11, s15
	s_cbranch_execnz .LBB171_273
.LBB171_263:
	s_or_b32 exec_lo, exec_lo, s11
	s_and_b32 s15, s2, s8
	s_delay_alu instid0(SALU_CYCLE_1)
	s_and_saveexec_b32 s11, s15
	s_cbranch_execnz .LBB171_277
.LBB171_264:
	s_or_b32 exec_lo, exec_lo, s11
	s_and_b32 s15, s3, s8
	s_delay_alu instid0(SALU_CYCLE_1)
	s_and_saveexec_b32 s11, s15
	s_cbranch_execnz .LBB171_281
.LBB171_265:
	s_or_b32 exec_lo, exec_lo, s11
	s_and_b32 s15, s4, s8
	s_delay_alu instid0(SALU_CYCLE_1)
	s_and_saveexec_b32 s11, s15
	s_cbranch_execnz .LBB171_285
.LBB171_266:
	s_or_b32 exec_lo, exec_lo, s11
	s_and_b32 s15, s5, s8
	s_delay_alu instid0(SALU_CYCLE_1)
	s_and_saveexec_b32 s11, s15
	s_cbranch_execnz .LBB171_289
.LBB171_267:
	s_or_b32 exec_lo, exec_lo, s11
	s_and_b32 s15, s6, s8
	s_delay_alu instid0(SALU_CYCLE_1)
	s_and_saveexec_b32 s11, s15
	s_cbranch_execnz .LBB171_293
.LBB171_268:
	s_or_b32 exec_lo, exec_lo, s11
	s_and_b32 s11, s7, s8
	s_delay_alu instid0(SALU_CYCLE_1)
	s_and_saveexec_b32 s8, s11
	s_cbranch_execnz .LBB171_297
	s_branch .LBB171_301
.LBB171_269:
	v_cmp_ne_u32_e32 vcc_lo, 1, v18
	s_cbranch_vccnz .LBB171_271
; %bb.270:
	v_lshlrev_b64 v[16:17], 3, v[0:1]
	s_delay_alu instid0(VALU_DEP_1) | instskip(NEXT) | instid1(VALU_DEP_2)
	v_add_co_u32 v16, vcc_lo, v22, v16
	v_add_co_ci_u32_e32 v17, vcc_lo, v23, v17, vcc_lo
	flat_load_b64 v[16:17], v[16:17]
	s_waitcnt vmcnt(0) lgkmcnt(0)
	v_mul_f64 v[16:17], s[12:13], v[16:17]
	s_branch .LBB171_272
.LBB171_271:
	v_mov_b32_e32 v16, 0
	v_mov_b32_e32 v17, 0
.LBB171_272:
	s_delay_alu instid0(VALU_DEP_1) | instskip(SKIP_2) | instid1(VALU_DEP_1)
	v_cvt_f32_f64_e32 v16, v[16:17]
	v_max_f32_e32 v17, v89, v89
	v_lshlrev_b64 v[24:25], 3, v[0:1]
	v_add_co_u32 v24, vcc_lo, v20, v24
	s_delay_alu instid0(VALU_DEP_2) | instskip(NEXT) | instid1(VALU_DEP_4)
	v_add_co_ci_u32_e32 v25, vcc_lo, v21, v25, vcc_lo
	v_min_f32_e32 v16, v16, v17
	s_delay_alu instid0(VALU_DEP_1) | instskip(SKIP_3) | instid1(SALU_CYCLE_1)
	v_cvt_f64_f32_e32 v[16:17], v16
	global_store_b64 v[24:25], v[16:17], off
	s_or_b32 exec_lo, exec_lo, s11
	s_and_b32 s15, s1, s8
	s_and_saveexec_b32 s11, s15
	s_cbranch_execz .LBB171_263
.LBB171_273:
	v_cmp_ne_u32_e32 vcc_lo, 1, v18
	s_cbranch_vccnz .LBB171_275
; %bb.274:
	v_lshlrev_b64 v[16:17], 3, v[2:3]
	s_delay_alu instid0(VALU_DEP_1) | instskip(NEXT) | instid1(VALU_DEP_2)
	v_add_co_u32 v16, vcc_lo, v22, v16
	v_add_co_ci_u32_e32 v17, vcc_lo, v23, v17, vcc_lo
	flat_load_b64 v[16:17], v[16:17]
	s_waitcnt vmcnt(0) lgkmcnt(0)
	v_mul_f64 v[16:17], s[12:13], v[16:17]
	s_branch .LBB171_276
.LBB171_275:
	v_mov_b32_e32 v16, 0
	v_mov_b32_e32 v17, 0
.LBB171_276:
	s_delay_alu instid0(VALU_DEP_1) | instskip(SKIP_2) | instid1(VALU_DEP_1)
	v_cvt_f32_f64_e32 v16, v[16:17]
	v_max_f32_e32 v17, v88, v88
	v_lshlrev_b64 v[24:25], 3, v[2:3]
	v_add_co_u32 v24, vcc_lo, v20, v24
	s_delay_alu instid0(VALU_DEP_2) | instskip(NEXT) | instid1(VALU_DEP_4)
	v_add_co_ci_u32_e32 v25, vcc_lo, v21, v25, vcc_lo
	v_min_f32_e32 v16, v16, v17
	s_delay_alu instid0(VALU_DEP_1) | instskip(SKIP_3) | instid1(SALU_CYCLE_1)
	v_cvt_f64_f32_e32 v[16:17], v16
	global_store_b64 v[24:25], v[16:17], off
	s_or_b32 exec_lo, exec_lo, s11
	s_and_b32 s15, s2, s8
	s_and_saveexec_b32 s11, s15
	s_cbranch_execz .LBB171_264
.LBB171_277:
	v_cmp_ne_u32_e32 vcc_lo, 1, v18
	s_cbranch_vccnz .LBB171_279
; %bb.278:
	v_lshlrev_b64 v[16:17], 3, v[4:5]
	s_delay_alu instid0(VALU_DEP_1) | instskip(NEXT) | instid1(VALU_DEP_2)
	v_add_co_u32 v16, vcc_lo, v22, v16
	v_add_co_ci_u32_e32 v17, vcc_lo, v23, v17, vcc_lo
	flat_load_b64 v[16:17], v[16:17]
	s_waitcnt vmcnt(0) lgkmcnt(0)
	v_mul_f64 v[16:17], s[12:13], v[16:17]
	s_branch .LBB171_280
.LBB171_279:
	v_mov_b32_e32 v16, 0
	v_mov_b32_e32 v17, 0
.LBB171_280:
	s_delay_alu instid0(VALU_DEP_1) | instskip(SKIP_2) | instid1(VALU_DEP_1)
	v_cvt_f32_f64_e32 v16, v[16:17]
	v_max_f32_e32 v17, v87, v87
	v_lshlrev_b64 v[24:25], 3, v[4:5]
	v_add_co_u32 v24, vcc_lo, v20, v24
	s_delay_alu instid0(VALU_DEP_2) | instskip(NEXT) | instid1(VALU_DEP_4)
	v_add_co_ci_u32_e32 v25, vcc_lo, v21, v25, vcc_lo
	v_min_f32_e32 v16, v16, v17
	s_delay_alu instid0(VALU_DEP_1) | instskip(SKIP_3) | instid1(SALU_CYCLE_1)
	v_cvt_f64_f32_e32 v[16:17], v16
	global_store_b64 v[24:25], v[16:17], off
	s_or_b32 exec_lo, exec_lo, s11
	s_and_b32 s15, s3, s8
	s_and_saveexec_b32 s11, s15
	s_cbranch_execz .LBB171_265
.LBB171_281:
	v_cmp_ne_u32_e32 vcc_lo, 1, v18
	s_cbranch_vccnz .LBB171_283
; %bb.282:
	v_lshlrev_b64 v[16:17], 3, v[6:7]
	s_delay_alu instid0(VALU_DEP_1) | instskip(NEXT) | instid1(VALU_DEP_2)
	v_add_co_u32 v16, vcc_lo, v22, v16
	v_add_co_ci_u32_e32 v17, vcc_lo, v23, v17, vcc_lo
	flat_load_b64 v[16:17], v[16:17]
	s_waitcnt vmcnt(0) lgkmcnt(0)
	v_mul_f64 v[16:17], s[12:13], v[16:17]
	s_branch .LBB171_284
.LBB171_283:
	v_mov_b32_e32 v16, 0
	v_mov_b32_e32 v17, 0
.LBB171_284:
	s_delay_alu instid0(VALU_DEP_1) | instskip(SKIP_2) | instid1(VALU_DEP_1)
	v_cvt_f32_f64_e32 v16, v[16:17]
	v_max_f32_e32 v17, v86, v86
	v_lshlrev_b64 v[24:25], 3, v[6:7]
	v_add_co_u32 v24, vcc_lo, v20, v24
	s_delay_alu instid0(VALU_DEP_2) | instskip(NEXT) | instid1(VALU_DEP_4)
	v_add_co_ci_u32_e32 v25, vcc_lo, v21, v25, vcc_lo
	v_min_f32_e32 v16, v16, v17
	s_delay_alu instid0(VALU_DEP_1) | instskip(SKIP_3) | instid1(SALU_CYCLE_1)
	v_cvt_f64_f32_e32 v[16:17], v16
	global_store_b64 v[24:25], v[16:17], off
	s_or_b32 exec_lo, exec_lo, s11
	s_and_b32 s15, s4, s8
	s_and_saveexec_b32 s11, s15
	s_cbranch_execz .LBB171_266
.LBB171_285:
	v_cmp_ne_u32_e32 vcc_lo, 1, v18
	s_cbranch_vccnz .LBB171_287
; %bb.286:
	v_lshlrev_b64 v[16:17], 3, v[8:9]
	s_delay_alu instid0(VALU_DEP_1) | instskip(NEXT) | instid1(VALU_DEP_2)
	v_add_co_u32 v16, vcc_lo, v22, v16
	v_add_co_ci_u32_e32 v17, vcc_lo, v23, v17, vcc_lo
	flat_load_b64 v[16:17], v[16:17]
	s_waitcnt vmcnt(0) lgkmcnt(0)
	v_mul_f64 v[16:17], s[12:13], v[16:17]
	s_branch .LBB171_288
.LBB171_287:
	v_mov_b32_e32 v16, 0
	v_mov_b32_e32 v17, 0
.LBB171_288:
	s_delay_alu instid0(VALU_DEP_1) | instskip(SKIP_2) | instid1(VALU_DEP_1)
	v_cvt_f32_f64_e32 v16, v[16:17]
	v_max_f32_e32 v17, v85, v85
	v_lshlrev_b64 v[24:25], 3, v[8:9]
	v_add_co_u32 v24, vcc_lo, v20, v24
	s_delay_alu instid0(VALU_DEP_2) | instskip(NEXT) | instid1(VALU_DEP_4)
	v_add_co_ci_u32_e32 v25, vcc_lo, v21, v25, vcc_lo
	v_min_f32_e32 v16, v16, v17
	s_delay_alu instid0(VALU_DEP_1) | instskip(SKIP_3) | instid1(SALU_CYCLE_1)
	v_cvt_f64_f32_e32 v[16:17], v16
	global_store_b64 v[24:25], v[16:17], off
	s_or_b32 exec_lo, exec_lo, s11
	s_and_b32 s15, s5, s8
	s_and_saveexec_b32 s11, s15
	s_cbranch_execz .LBB171_267
.LBB171_289:
	v_cmp_ne_u32_e32 vcc_lo, 1, v18
	s_cbranch_vccnz .LBB171_291
; %bb.290:
	v_lshlrev_b64 v[16:17], 3, v[10:11]
	s_delay_alu instid0(VALU_DEP_1) | instskip(NEXT) | instid1(VALU_DEP_2)
	v_add_co_u32 v16, vcc_lo, v22, v16
	v_add_co_ci_u32_e32 v17, vcc_lo, v23, v17, vcc_lo
	flat_load_b64 v[16:17], v[16:17]
	s_waitcnt vmcnt(0) lgkmcnt(0)
	v_mul_f64 v[16:17], s[12:13], v[16:17]
	s_branch .LBB171_292
.LBB171_291:
	v_mov_b32_e32 v16, 0
	v_mov_b32_e32 v17, 0
.LBB171_292:
	s_delay_alu instid0(VALU_DEP_1) | instskip(SKIP_2) | instid1(VALU_DEP_1)
	v_cvt_f32_f64_e32 v16, v[16:17]
	v_max_f32_e32 v17, v84, v84
	v_lshlrev_b64 v[24:25], 3, v[10:11]
	v_add_co_u32 v24, vcc_lo, v20, v24
	s_delay_alu instid0(VALU_DEP_2) | instskip(NEXT) | instid1(VALU_DEP_4)
	v_add_co_ci_u32_e32 v25, vcc_lo, v21, v25, vcc_lo
	v_min_f32_e32 v16, v16, v17
	s_delay_alu instid0(VALU_DEP_1) | instskip(SKIP_3) | instid1(SALU_CYCLE_1)
	v_cvt_f64_f32_e32 v[16:17], v16
	global_store_b64 v[24:25], v[16:17], off
	s_or_b32 exec_lo, exec_lo, s11
	s_and_b32 s15, s6, s8
	s_and_saveexec_b32 s11, s15
	s_cbranch_execz .LBB171_268
.LBB171_293:
	v_cmp_ne_u32_e32 vcc_lo, 1, v18
	s_cbranch_vccnz .LBB171_295
; %bb.294:
	v_lshlrev_b64 v[16:17], 3, v[12:13]
	s_delay_alu instid0(VALU_DEP_1) | instskip(NEXT) | instid1(VALU_DEP_2)
	v_add_co_u32 v16, vcc_lo, v22, v16
	v_add_co_ci_u32_e32 v17, vcc_lo, v23, v17, vcc_lo
	flat_load_b64 v[16:17], v[16:17]
	s_waitcnt vmcnt(0) lgkmcnt(0)
	v_mul_f64 v[16:17], s[12:13], v[16:17]
	s_branch .LBB171_296
.LBB171_295:
	v_mov_b32_e32 v16, 0
	v_mov_b32_e32 v17, 0
.LBB171_296:
	s_delay_alu instid0(VALU_DEP_1) | instskip(SKIP_2) | instid1(VALU_DEP_1)
	v_cvt_f32_f64_e32 v16, v[16:17]
	v_max_f32_e32 v17, v83, v83
	v_lshlrev_b64 v[24:25], 3, v[12:13]
	v_add_co_u32 v24, vcc_lo, v20, v24
	s_delay_alu instid0(VALU_DEP_2) | instskip(NEXT) | instid1(VALU_DEP_4)
	v_add_co_ci_u32_e32 v25, vcc_lo, v21, v25, vcc_lo
	v_min_f32_e32 v16, v16, v17
	s_delay_alu instid0(VALU_DEP_1) | instskip(SKIP_3) | instid1(SALU_CYCLE_1)
	v_cvt_f64_f32_e32 v[16:17], v16
	global_store_b64 v[24:25], v[16:17], off
	s_or_b32 exec_lo, exec_lo, s11
	s_and_b32 s11, s7, s8
	s_and_saveexec_b32 s8, s11
	s_cbranch_execz .LBB171_301
.LBB171_297:
	v_cmp_ne_u32_e32 vcc_lo, 1, v18
	s_cbranch_vccnz .LBB171_299
; %bb.298:
	v_lshlrev_b64 v[16:17], 3, v[14:15]
	s_delay_alu instid0(VALU_DEP_1) | instskip(NEXT) | instid1(VALU_DEP_2)
	v_add_co_u32 v16, vcc_lo, v22, v16
	v_add_co_ci_u32_e32 v17, vcc_lo, v23, v17, vcc_lo
	flat_load_b64 v[16:17], v[16:17]
	s_waitcnt vmcnt(0) lgkmcnt(0)
	v_mul_f64 v[16:17], s[12:13], v[16:17]
	s_branch .LBB171_300
.LBB171_299:
	v_mov_b32_e32 v16, 0
	v_mov_b32_e32 v17, 0
.LBB171_300:
	s_delay_alu instid0(VALU_DEP_1) | instskip(SKIP_2) | instid1(VALU_DEP_1)
	v_cvt_f32_f64_e32 v16, v[16:17]
	v_max_f32_e32 v17, v82, v82
	v_lshlrev_b64 v[22:23], 3, v[14:15]
	v_add_co_u32 v20, vcc_lo, v20, v22
	s_delay_alu instid0(VALU_DEP_2) | instskip(NEXT) | instid1(VALU_DEP_4)
	v_add_co_ci_u32_e32 v21, vcc_lo, v21, v23, vcc_lo
	v_min_f32_e32 v16, v16, v17
	s_delay_alu instid0(VALU_DEP_1)
	v_cvt_f64_f32_e32 v[16:17], v16
	global_store_b64 v[20:21], v[16:17], off
.LBB171_301:
	s_or_b32 exec_lo, exec_lo, s8
	v_add_nc_u32_e32 v22, 0xc0, v19
	s_delay_alu instid0(VALU_DEP_1) | instskip(SKIP_2) | instid1(VALU_DEP_3)
	v_mad_i64_i32 v[16:17], null, v22, s18, 0
	v_mad_i64_i32 v[20:21], null, v22, s14, 0
	v_cmp_gt_i32_e64 s8, s17, v22
	v_lshlrev_b64 v[16:17], 3, v[16:17]
	s_delay_alu instid0(VALU_DEP_2) | instskip(NEXT) | instid1(VALU_DEP_3)
	s_and_b32 s15, s0, s8
	v_lshlrev_b64 v[20:21], 3, v[20:21]
	s_delay_alu instid0(VALU_DEP_2) | instskip(NEXT) | instid1(VALU_DEP_3)
	v_add_co_u32 v22, vcc_lo, s20, v16
	v_add_co_ci_u32_e32 v23, vcc_lo, s21, v17, vcc_lo
	s_delay_alu instid0(VALU_DEP_3) | instskip(NEXT) | instid1(VALU_DEP_4)
	v_add_co_u32 v20, vcc_lo, s9, v20
	v_add_co_ci_u32_e32 v21, vcc_lo, s10, v21, vcc_lo
	s_and_saveexec_b32 s11, s15
	s_cbranch_execnz .LBB171_309
; %bb.302:
	s_or_b32 exec_lo, exec_lo, s11
	s_and_b32 s15, s1, s8
	s_delay_alu instid0(SALU_CYCLE_1)
	s_and_saveexec_b32 s11, s15
	s_cbranch_execnz .LBB171_313
.LBB171_303:
	s_or_b32 exec_lo, exec_lo, s11
	s_and_b32 s15, s2, s8
	s_delay_alu instid0(SALU_CYCLE_1)
	s_and_saveexec_b32 s11, s15
	s_cbranch_execnz .LBB171_317
.LBB171_304:
	s_or_b32 exec_lo, exec_lo, s11
	s_and_b32 s15, s3, s8
	s_delay_alu instid0(SALU_CYCLE_1)
	s_and_saveexec_b32 s11, s15
	s_cbranch_execnz .LBB171_321
.LBB171_305:
	s_or_b32 exec_lo, exec_lo, s11
	s_and_b32 s15, s4, s8
	s_delay_alu instid0(SALU_CYCLE_1)
	s_and_saveexec_b32 s11, s15
	s_cbranch_execnz .LBB171_325
.LBB171_306:
	s_or_b32 exec_lo, exec_lo, s11
	s_and_b32 s15, s5, s8
	s_delay_alu instid0(SALU_CYCLE_1)
	s_and_saveexec_b32 s11, s15
	s_cbranch_execnz .LBB171_329
.LBB171_307:
	s_or_b32 exec_lo, exec_lo, s11
	s_and_b32 s15, s6, s8
	s_delay_alu instid0(SALU_CYCLE_1)
	s_and_saveexec_b32 s11, s15
	s_cbranch_execnz .LBB171_333
.LBB171_308:
	s_or_b32 exec_lo, exec_lo, s11
	s_and_b32 s11, s7, s8
	s_delay_alu instid0(SALU_CYCLE_1)
	s_and_saveexec_b32 s8, s11
	s_cbranch_execnz .LBB171_337
	s_branch .LBB171_341
.LBB171_309:
	v_cmp_ne_u32_e32 vcc_lo, 1, v18
	s_cbranch_vccnz .LBB171_311
; %bb.310:
	v_lshlrev_b64 v[16:17], 3, v[0:1]
	s_delay_alu instid0(VALU_DEP_1) | instskip(NEXT) | instid1(VALU_DEP_2)
	v_add_co_u32 v16, vcc_lo, v22, v16
	v_add_co_ci_u32_e32 v17, vcc_lo, v23, v17, vcc_lo
	flat_load_b64 v[16:17], v[16:17]
	s_waitcnt vmcnt(0) lgkmcnt(0)
	v_mul_f64 v[16:17], s[12:13], v[16:17]
	s_branch .LBB171_312
.LBB171_311:
	v_mov_b32_e32 v16, 0
	v_mov_b32_e32 v17, 0
.LBB171_312:
	s_delay_alu instid0(VALU_DEP_1) | instskip(SKIP_2) | instid1(VALU_DEP_1)
	v_cvt_f32_f64_e32 v16, v[16:17]
	v_max_f32_e32 v17, v81, v81
	v_lshlrev_b64 v[24:25], 3, v[0:1]
	v_add_co_u32 v24, vcc_lo, v20, v24
	s_delay_alu instid0(VALU_DEP_2) | instskip(NEXT) | instid1(VALU_DEP_4)
	v_add_co_ci_u32_e32 v25, vcc_lo, v21, v25, vcc_lo
	v_min_f32_e32 v16, v16, v17
	s_delay_alu instid0(VALU_DEP_1) | instskip(SKIP_3) | instid1(SALU_CYCLE_1)
	v_cvt_f64_f32_e32 v[16:17], v16
	global_store_b64 v[24:25], v[16:17], off
	s_or_b32 exec_lo, exec_lo, s11
	s_and_b32 s15, s1, s8
	s_and_saveexec_b32 s11, s15
	s_cbranch_execz .LBB171_303
.LBB171_313:
	v_cmp_ne_u32_e32 vcc_lo, 1, v18
	s_cbranch_vccnz .LBB171_315
; %bb.314:
	v_lshlrev_b64 v[16:17], 3, v[2:3]
	s_delay_alu instid0(VALU_DEP_1) | instskip(NEXT) | instid1(VALU_DEP_2)
	v_add_co_u32 v16, vcc_lo, v22, v16
	v_add_co_ci_u32_e32 v17, vcc_lo, v23, v17, vcc_lo
	flat_load_b64 v[16:17], v[16:17]
	s_waitcnt vmcnt(0) lgkmcnt(0)
	v_mul_f64 v[16:17], s[12:13], v[16:17]
	s_branch .LBB171_316
.LBB171_315:
	v_mov_b32_e32 v16, 0
	v_mov_b32_e32 v17, 0
.LBB171_316:
	s_delay_alu instid0(VALU_DEP_1) | instskip(SKIP_2) | instid1(VALU_DEP_1)
	v_cvt_f32_f64_e32 v16, v[16:17]
	v_max_f32_e32 v17, v80, v80
	v_lshlrev_b64 v[24:25], 3, v[2:3]
	v_add_co_u32 v24, vcc_lo, v20, v24
	s_delay_alu instid0(VALU_DEP_2) | instskip(NEXT) | instid1(VALU_DEP_4)
	v_add_co_ci_u32_e32 v25, vcc_lo, v21, v25, vcc_lo
	v_min_f32_e32 v16, v16, v17
	s_delay_alu instid0(VALU_DEP_1) | instskip(SKIP_3) | instid1(SALU_CYCLE_1)
	v_cvt_f64_f32_e32 v[16:17], v16
	global_store_b64 v[24:25], v[16:17], off
	s_or_b32 exec_lo, exec_lo, s11
	s_and_b32 s15, s2, s8
	s_and_saveexec_b32 s11, s15
	s_cbranch_execz .LBB171_304
.LBB171_317:
	v_cmp_ne_u32_e32 vcc_lo, 1, v18
	s_cbranch_vccnz .LBB171_319
; %bb.318:
	v_lshlrev_b64 v[16:17], 3, v[4:5]
	s_delay_alu instid0(VALU_DEP_1) | instskip(NEXT) | instid1(VALU_DEP_2)
	v_add_co_u32 v16, vcc_lo, v22, v16
	v_add_co_ci_u32_e32 v17, vcc_lo, v23, v17, vcc_lo
	flat_load_b64 v[16:17], v[16:17]
	s_waitcnt vmcnt(0) lgkmcnt(0)
	v_mul_f64 v[16:17], s[12:13], v[16:17]
	s_branch .LBB171_320
.LBB171_319:
	v_mov_b32_e32 v16, 0
	v_mov_b32_e32 v17, 0
.LBB171_320:
	s_delay_alu instid0(VALU_DEP_1) | instskip(SKIP_2) | instid1(VALU_DEP_1)
	v_cvt_f32_f64_e32 v16, v[16:17]
	v_max_f32_e32 v17, v79, v79
	v_lshlrev_b64 v[24:25], 3, v[4:5]
	v_add_co_u32 v24, vcc_lo, v20, v24
	s_delay_alu instid0(VALU_DEP_2) | instskip(NEXT) | instid1(VALU_DEP_4)
	v_add_co_ci_u32_e32 v25, vcc_lo, v21, v25, vcc_lo
	v_min_f32_e32 v16, v16, v17
	s_delay_alu instid0(VALU_DEP_1) | instskip(SKIP_3) | instid1(SALU_CYCLE_1)
	v_cvt_f64_f32_e32 v[16:17], v16
	global_store_b64 v[24:25], v[16:17], off
	s_or_b32 exec_lo, exec_lo, s11
	s_and_b32 s15, s3, s8
	s_and_saveexec_b32 s11, s15
	s_cbranch_execz .LBB171_305
.LBB171_321:
	v_cmp_ne_u32_e32 vcc_lo, 1, v18
	s_cbranch_vccnz .LBB171_323
; %bb.322:
	v_lshlrev_b64 v[16:17], 3, v[6:7]
	s_delay_alu instid0(VALU_DEP_1) | instskip(NEXT) | instid1(VALU_DEP_2)
	v_add_co_u32 v16, vcc_lo, v22, v16
	v_add_co_ci_u32_e32 v17, vcc_lo, v23, v17, vcc_lo
	flat_load_b64 v[16:17], v[16:17]
	s_waitcnt vmcnt(0) lgkmcnt(0)
	v_mul_f64 v[16:17], s[12:13], v[16:17]
	s_branch .LBB171_324
.LBB171_323:
	v_mov_b32_e32 v16, 0
	v_mov_b32_e32 v17, 0
.LBB171_324:
	s_delay_alu instid0(VALU_DEP_1) | instskip(SKIP_2) | instid1(VALU_DEP_1)
	v_cvt_f32_f64_e32 v16, v[16:17]
	v_max_f32_e32 v17, v78, v78
	v_lshlrev_b64 v[24:25], 3, v[6:7]
	v_add_co_u32 v24, vcc_lo, v20, v24
	s_delay_alu instid0(VALU_DEP_2) | instskip(NEXT) | instid1(VALU_DEP_4)
	v_add_co_ci_u32_e32 v25, vcc_lo, v21, v25, vcc_lo
	v_min_f32_e32 v16, v16, v17
	s_delay_alu instid0(VALU_DEP_1) | instskip(SKIP_3) | instid1(SALU_CYCLE_1)
	v_cvt_f64_f32_e32 v[16:17], v16
	global_store_b64 v[24:25], v[16:17], off
	s_or_b32 exec_lo, exec_lo, s11
	s_and_b32 s15, s4, s8
	s_and_saveexec_b32 s11, s15
	s_cbranch_execz .LBB171_306
.LBB171_325:
	v_cmp_ne_u32_e32 vcc_lo, 1, v18
	s_cbranch_vccnz .LBB171_327
; %bb.326:
	v_lshlrev_b64 v[16:17], 3, v[8:9]
	s_delay_alu instid0(VALU_DEP_1) | instskip(NEXT) | instid1(VALU_DEP_2)
	v_add_co_u32 v16, vcc_lo, v22, v16
	v_add_co_ci_u32_e32 v17, vcc_lo, v23, v17, vcc_lo
	flat_load_b64 v[16:17], v[16:17]
	s_waitcnt vmcnt(0) lgkmcnt(0)
	v_mul_f64 v[16:17], s[12:13], v[16:17]
	s_branch .LBB171_328
.LBB171_327:
	v_mov_b32_e32 v16, 0
	v_mov_b32_e32 v17, 0
.LBB171_328:
	s_delay_alu instid0(VALU_DEP_1) | instskip(SKIP_2) | instid1(VALU_DEP_1)
	v_cvt_f32_f64_e32 v16, v[16:17]
	v_max_f32_e32 v17, v77, v77
	v_lshlrev_b64 v[24:25], 3, v[8:9]
	v_add_co_u32 v24, vcc_lo, v20, v24
	s_delay_alu instid0(VALU_DEP_2) | instskip(NEXT) | instid1(VALU_DEP_4)
	v_add_co_ci_u32_e32 v25, vcc_lo, v21, v25, vcc_lo
	v_min_f32_e32 v16, v16, v17
	s_delay_alu instid0(VALU_DEP_1) | instskip(SKIP_3) | instid1(SALU_CYCLE_1)
	v_cvt_f64_f32_e32 v[16:17], v16
	global_store_b64 v[24:25], v[16:17], off
	s_or_b32 exec_lo, exec_lo, s11
	s_and_b32 s15, s5, s8
	s_and_saveexec_b32 s11, s15
	s_cbranch_execz .LBB171_307
.LBB171_329:
	v_cmp_ne_u32_e32 vcc_lo, 1, v18
	s_cbranch_vccnz .LBB171_331
; %bb.330:
	v_lshlrev_b64 v[16:17], 3, v[10:11]
	s_delay_alu instid0(VALU_DEP_1) | instskip(NEXT) | instid1(VALU_DEP_2)
	v_add_co_u32 v16, vcc_lo, v22, v16
	v_add_co_ci_u32_e32 v17, vcc_lo, v23, v17, vcc_lo
	flat_load_b64 v[16:17], v[16:17]
	s_waitcnt vmcnt(0) lgkmcnt(0)
	v_mul_f64 v[16:17], s[12:13], v[16:17]
	s_branch .LBB171_332
.LBB171_331:
	v_mov_b32_e32 v16, 0
	v_mov_b32_e32 v17, 0
.LBB171_332:
	s_delay_alu instid0(VALU_DEP_1) | instskip(SKIP_2) | instid1(VALU_DEP_1)
	v_cvt_f32_f64_e32 v16, v[16:17]
	v_max_f32_e32 v17, v76, v76
	v_lshlrev_b64 v[24:25], 3, v[10:11]
	v_add_co_u32 v24, vcc_lo, v20, v24
	s_delay_alu instid0(VALU_DEP_2) | instskip(NEXT) | instid1(VALU_DEP_4)
	v_add_co_ci_u32_e32 v25, vcc_lo, v21, v25, vcc_lo
	v_min_f32_e32 v16, v16, v17
	s_delay_alu instid0(VALU_DEP_1) | instskip(SKIP_3) | instid1(SALU_CYCLE_1)
	v_cvt_f64_f32_e32 v[16:17], v16
	global_store_b64 v[24:25], v[16:17], off
	s_or_b32 exec_lo, exec_lo, s11
	s_and_b32 s15, s6, s8
	s_and_saveexec_b32 s11, s15
	s_cbranch_execz .LBB171_308
.LBB171_333:
	v_cmp_ne_u32_e32 vcc_lo, 1, v18
	s_cbranch_vccnz .LBB171_335
; %bb.334:
	v_lshlrev_b64 v[16:17], 3, v[12:13]
	s_delay_alu instid0(VALU_DEP_1) | instskip(NEXT) | instid1(VALU_DEP_2)
	v_add_co_u32 v16, vcc_lo, v22, v16
	v_add_co_ci_u32_e32 v17, vcc_lo, v23, v17, vcc_lo
	flat_load_b64 v[16:17], v[16:17]
	s_waitcnt vmcnt(0) lgkmcnt(0)
	v_mul_f64 v[16:17], s[12:13], v[16:17]
	s_branch .LBB171_336
.LBB171_335:
	v_mov_b32_e32 v16, 0
	v_mov_b32_e32 v17, 0
.LBB171_336:
	s_delay_alu instid0(VALU_DEP_1) | instskip(SKIP_2) | instid1(VALU_DEP_1)
	v_cvt_f32_f64_e32 v16, v[16:17]
	v_max_f32_e32 v17, v75, v75
	v_lshlrev_b64 v[24:25], 3, v[12:13]
	v_add_co_u32 v24, vcc_lo, v20, v24
	s_delay_alu instid0(VALU_DEP_2) | instskip(NEXT) | instid1(VALU_DEP_4)
	v_add_co_ci_u32_e32 v25, vcc_lo, v21, v25, vcc_lo
	v_min_f32_e32 v16, v16, v17
	s_delay_alu instid0(VALU_DEP_1) | instskip(SKIP_3) | instid1(SALU_CYCLE_1)
	v_cvt_f64_f32_e32 v[16:17], v16
	global_store_b64 v[24:25], v[16:17], off
	s_or_b32 exec_lo, exec_lo, s11
	s_and_b32 s11, s7, s8
	s_and_saveexec_b32 s8, s11
	s_cbranch_execz .LBB171_341
.LBB171_337:
	v_cmp_ne_u32_e32 vcc_lo, 1, v18
	s_cbranch_vccnz .LBB171_339
; %bb.338:
	v_lshlrev_b64 v[16:17], 3, v[14:15]
	s_delay_alu instid0(VALU_DEP_1) | instskip(NEXT) | instid1(VALU_DEP_2)
	v_add_co_u32 v16, vcc_lo, v22, v16
	v_add_co_ci_u32_e32 v17, vcc_lo, v23, v17, vcc_lo
	flat_load_b64 v[16:17], v[16:17]
	s_waitcnt vmcnt(0) lgkmcnt(0)
	v_mul_f64 v[16:17], s[12:13], v[16:17]
	s_branch .LBB171_340
.LBB171_339:
	v_mov_b32_e32 v16, 0
	v_mov_b32_e32 v17, 0
.LBB171_340:
	s_delay_alu instid0(VALU_DEP_1) | instskip(SKIP_2) | instid1(VALU_DEP_1)
	v_cvt_f32_f64_e32 v16, v[16:17]
	v_max_f32_e32 v17, v74, v74
	v_lshlrev_b64 v[22:23], 3, v[14:15]
	v_add_co_u32 v20, vcc_lo, v20, v22
	s_delay_alu instid0(VALU_DEP_2) | instskip(NEXT) | instid1(VALU_DEP_4)
	v_add_co_ci_u32_e32 v21, vcc_lo, v21, v23, vcc_lo
	v_min_f32_e32 v16, v16, v17
	s_delay_alu instid0(VALU_DEP_1)
	v_cvt_f64_f32_e32 v[16:17], v16
	global_store_b64 v[20:21], v[16:17], off
.LBB171_341:
	s_or_b32 exec_lo, exec_lo, s8
	v_add_nc_u32_e32 v21, 0xe0, v19
	s_delay_alu instid0(VALU_DEP_1) | instskip(SKIP_2) | instid1(VALU_DEP_3)
	v_mad_i64_i32 v[16:17], null, v21, s18, 0
	v_mad_i64_i32 v[19:20], null, v21, s14, 0
	v_cmp_gt_i32_e64 s8, s17, v21
	v_lshlrev_b64 v[16:17], 3, v[16:17]
	s_delay_alu instid0(VALU_DEP_3) | instskip(NEXT) | instid1(VALU_DEP_2)
	v_lshlrev_b64 v[21:22], 3, v[19:20]
	v_add_co_u32 v19, vcc_lo, s20, v16
	s_delay_alu instid0(VALU_DEP_3) | instskip(NEXT) | instid1(VALU_DEP_3)
	v_add_co_ci_u32_e32 v20, vcc_lo, s21, v17, vcc_lo
	v_add_co_u32 v16, vcc_lo, s9, v21
	s_delay_alu instid0(VALU_DEP_4) | instskip(SKIP_1) | instid1(SALU_CYCLE_1)
	v_add_co_ci_u32_e32 v17, vcc_lo, s10, v22, vcc_lo
	s_and_b32 s9, s0, s8
	s_and_saveexec_b32 s0, s9
	s_cbranch_execnz .LBB171_350
; %bb.342:
	s_or_b32 exec_lo, exec_lo, s0
	s_and_b32 s1, s1, s8
	s_delay_alu instid0(SALU_CYCLE_1)
	s_and_saveexec_b32 s0, s1
	s_cbranch_execnz .LBB171_354
.LBB171_343:
	s_or_b32 exec_lo, exec_lo, s0
	s_and_b32 s1, s2, s8
	s_delay_alu instid0(SALU_CYCLE_1)
	s_and_saveexec_b32 s0, s1
	s_cbranch_execnz .LBB171_358
.LBB171_344:
	s_or_b32 exec_lo, exec_lo, s0
	s_and_b32 s1, s3, s8
	s_delay_alu instid0(SALU_CYCLE_1)
	s_and_saveexec_b32 s0, s1
	s_cbranch_execnz .LBB171_362
.LBB171_345:
	s_or_b32 exec_lo, exec_lo, s0
	s_and_b32 s1, s4, s8
	s_delay_alu instid0(SALU_CYCLE_1)
	s_and_saveexec_b32 s0, s1
	s_cbranch_execnz .LBB171_366
.LBB171_346:
	s_or_b32 exec_lo, exec_lo, s0
	s_and_b32 s1, s5, s8
	s_delay_alu instid0(SALU_CYCLE_1)
	s_and_saveexec_b32 s0, s1
	s_cbranch_execnz .LBB171_370
.LBB171_347:
	s_or_b32 exec_lo, exec_lo, s0
	s_and_b32 s1, s6, s8
	s_delay_alu instid0(SALU_CYCLE_1)
	s_and_saveexec_b32 s0, s1
	s_cbranch_execnz .LBB171_374
.LBB171_348:
	s_or_b32 exec_lo, exec_lo, s0
	s_and_b32 s0, s7, s8
	s_delay_alu instid0(SALU_CYCLE_1)
	s_and_saveexec_b32 s1, s0
	s_cbranch_execnz .LBB171_378
.LBB171_349:
	s_nop 0
	s_sendmsg sendmsg(MSG_DEALLOC_VGPRS)
	s_endpgm
.LBB171_350:
	v_cmp_ne_u32_e32 vcc_lo, 1, v18
	v_lshlrev_b64 v[0:1], 3, v[0:1]
	s_cbranch_vccnz .LBB171_352
; %bb.351:
	s_delay_alu instid0(VALU_DEP_1) | instskip(NEXT) | instid1(VALU_DEP_2)
	v_add_co_u32 v21, vcc_lo, v19, v0
	v_add_co_ci_u32_e32 v22, vcc_lo, v20, v1, vcc_lo
	flat_load_b64 v[21:22], v[21:22]
	s_waitcnt vmcnt(0) lgkmcnt(0)
	v_mul_f64 v[21:22], s[12:13], v[21:22]
	s_delay_alu instid0(VALU_DEP_1)
	v_cvt_f32_f64_e32 v21, v[21:22]
	s_branch .LBB171_353
.LBB171_352:
	v_mov_b32_e32 v21, 0
.LBB171_353:
	v_max_f32_e32 v22, v73, v73
	s_delay_alu instid0(VALU_DEP_2) | instskip(NEXT) | instid1(VALU_DEP_4)
	v_max_f32_e32 v21, v21, v21
	v_add_co_u32 v0, vcc_lo, v16, v0
	v_add_co_ci_u32_e32 v1, vcc_lo, v17, v1, vcc_lo
	s_delay_alu instid0(VALU_DEP_3) | instskip(NEXT) | instid1(VALU_DEP_1)
	v_min_f32_e32 v21, v21, v22
	v_cvt_f64_f32_e32 v[21:22], v21
	global_store_b64 v[0:1], v[21:22], off
	s_or_b32 exec_lo, exec_lo, s0
	s_and_b32 s1, s1, s8
	s_delay_alu instid0(SALU_CYCLE_1)
	s_and_saveexec_b32 s0, s1
	s_cbranch_execz .LBB171_343
.LBB171_354:
	v_cmp_ne_u32_e32 vcc_lo, 1, v18
	v_lshlrev_b64 v[0:1], 3, v[2:3]
	s_cbranch_vccnz .LBB171_356
; %bb.355:
	s_delay_alu instid0(VALU_DEP_1) | instskip(NEXT) | instid1(VALU_DEP_2)
	v_add_co_u32 v2, vcc_lo, v19, v0
	v_add_co_ci_u32_e32 v3, vcc_lo, v20, v1, vcc_lo
	flat_load_b64 v[2:3], v[2:3]
	s_waitcnt vmcnt(0) lgkmcnt(0)
	v_mul_f64 v[2:3], s[12:13], v[2:3]
	s_delay_alu instid0(VALU_DEP_1)
	v_cvt_f32_f64_e32 v2, v[2:3]
	s_branch .LBB171_357
.LBB171_356:
	v_mov_b32_e32 v2, 0
.LBB171_357:
	s_delay_alu instid0(VALU_DEP_1) | instskip(NEXT) | instid1(VALU_DEP_3)
	v_dual_max_f32 v3, v72, v72 :: v_dual_max_f32 v2, v2, v2
	v_add_co_u32 v0, vcc_lo, v16, v0
	s_delay_alu instid0(VALU_DEP_4) | instskip(NEXT) | instid1(VALU_DEP_3)
	v_add_co_ci_u32_e32 v1, vcc_lo, v17, v1, vcc_lo
	v_min_f32_e32 v2, v2, v3
	s_delay_alu instid0(VALU_DEP_1) | instskip(SKIP_3) | instid1(SALU_CYCLE_1)
	v_cvt_f64_f32_e32 v[2:3], v2
	global_store_b64 v[0:1], v[2:3], off
	s_or_b32 exec_lo, exec_lo, s0
	s_and_b32 s1, s2, s8
	s_and_saveexec_b32 s0, s1
	s_cbranch_execz .LBB171_344
.LBB171_358:
	v_cmp_ne_u32_e32 vcc_lo, 1, v18
	v_lshlrev_b64 v[0:1], 3, v[4:5]
	s_cbranch_vccnz .LBB171_360
; %bb.359:
	s_delay_alu instid0(VALU_DEP_1) | instskip(NEXT) | instid1(VALU_DEP_2)
	v_add_co_u32 v2, vcc_lo, v19, v0
	v_add_co_ci_u32_e32 v3, vcc_lo, v20, v1, vcc_lo
	flat_load_b64 v[2:3], v[2:3]
	s_waitcnt vmcnt(0) lgkmcnt(0)
	v_mul_f64 v[2:3], s[12:13], v[2:3]
	s_delay_alu instid0(VALU_DEP_1)
	v_cvt_f32_f64_e32 v2, v[2:3]
	s_branch .LBB171_361
.LBB171_360:
	v_mov_b32_e32 v2, 0
.LBB171_361:
	s_delay_alu instid0(VALU_DEP_1) | instskip(NEXT) | instid1(VALU_DEP_3)
	v_dual_max_f32 v3, v71, v71 :: v_dual_max_f32 v2, v2, v2
	v_add_co_u32 v0, vcc_lo, v16, v0
	s_delay_alu instid0(VALU_DEP_4) | instskip(NEXT) | instid1(VALU_DEP_3)
	v_add_co_ci_u32_e32 v1, vcc_lo, v17, v1, vcc_lo
	v_min_f32_e32 v2, v2, v3
	s_delay_alu instid0(VALU_DEP_1) | instskip(SKIP_3) | instid1(SALU_CYCLE_1)
	v_cvt_f64_f32_e32 v[2:3], v2
	global_store_b64 v[0:1], v[2:3], off
	s_or_b32 exec_lo, exec_lo, s0
	s_and_b32 s1, s3, s8
	s_and_saveexec_b32 s0, s1
	s_cbranch_execz .LBB171_345
.LBB171_362:
	v_cmp_ne_u32_e32 vcc_lo, 1, v18
	v_lshlrev_b64 v[0:1], 3, v[6:7]
	s_cbranch_vccnz .LBB171_364
; %bb.363:
	s_delay_alu instid0(VALU_DEP_1) | instskip(NEXT) | instid1(VALU_DEP_2)
	v_add_co_u32 v2, vcc_lo, v19, v0
	v_add_co_ci_u32_e32 v3, vcc_lo, v20, v1, vcc_lo
	flat_load_b64 v[2:3], v[2:3]
	s_waitcnt vmcnt(0) lgkmcnt(0)
	v_mul_f64 v[2:3], s[12:13], v[2:3]
	s_delay_alu instid0(VALU_DEP_1)
	v_cvt_f32_f64_e32 v2, v[2:3]
	s_branch .LBB171_365
.LBB171_364:
	v_mov_b32_e32 v2, 0
.LBB171_365:
	v_max_f32_e32 v3, v70, v70
	s_delay_alu instid0(VALU_DEP_2) | instskip(NEXT) | instid1(VALU_DEP_4)
	v_max_f32_e32 v2, v2, v2
	v_add_co_u32 v0, vcc_lo, v16, v0
	v_add_co_ci_u32_e32 v1, vcc_lo, v17, v1, vcc_lo
	s_delay_alu instid0(VALU_DEP_3) | instskip(NEXT) | instid1(VALU_DEP_1)
	v_min_f32_e32 v2, v2, v3
	v_cvt_f64_f32_e32 v[2:3], v2
	global_store_b64 v[0:1], v[2:3], off
	s_or_b32 exec_lo, exec_lo, s0
	s_and_b32 s1, s4, s8
	s_delay_alu instid0(SALU_CYCLE_1)
	s_and_saveexec_b32 s0, s1
	s_cbranch_execz .LBB171_346
.LBB171_366:
	v_cmp_ne_u32_e32 vcc_lo, 1, v18
	v_lshlrev_b64 v[0:1], 3, v[8:9]
	s_cbranch_vccnz .LBB171_368
; %bb.367:
	s_delay_alu instid0(VALU_DEP_1) | instskip(NEXT) | instid1(VALU_DEP_2)
	v_add_co_u32 v2, vcc_lo, v19, v0
	v_add_co_ci_u32_e32 v3, vcc_lo, v20, v1, vcc_lo
	flat_load_b64 v[2:3], v[2:3]
	s_waitcnt vmcnt(0) lgkmcnt(0)
	v_mul_f64 v[2:3], s[12:13], v[2:3]
	s_delay_alu instid0(VALU_DEP_1)
	v_cvt_f32_f64_e32 v2, v[2:3]
	s_branch .LBB171_369
.LBB171_368:
	v_mov_b32_e32 v2, 0
.LBB171_369:
	s_delay_alu instid0(VALU_DEP_1) | instskip(NEXT) | instid1(VALU_DEP_3)
	v_dual_max_f32 v3, v69, v69 :: v_dual_max_f32 v2, v2, v2
	v_add_co_u32 v0, vcc_lo, v16, v0
	s_delay_alu instid0(VALU_DEP_4) | instskip(NEXT) | instid1(VALU_DEP_3)
	v_add_co_ci_u32_e32 v1, vcc_lo, v17, v1, vcc_lo
	v_min_f32_e32 v2, v2, v3
	s_delay_alu instid0(VALU_DEP_1) | instskip(SKIP_3) | instid1(SALU_CYCLE_1)
	v_cvt_f64_f32_e32 v[2:3], v2
	global_store_b64 v[0:1], v[2:3], off
	s_or_b32 exec_lo, exec_lo, s0
	s_and_b32 s1, s5, s8
	s_and_saveexec_b32 s0, s1
	s_cbranch_execz .LBB171_347
.LBB171_370:
	v_cmp_ne_u32_e32 vcc_lo, 1, v18
	v_lshlrev_b64 v[0:1], 3, v[10:11]
	s_cbranch_vccnz .LBB171_372
; %bb.371:
	s_delay_alu instid0(VALU_DEP_1) | instskip(NEXT) | instid1(VALU_DEP_2)
	v_add_co_u32 v2, vcc_lo, v19, v0
	v_add_co_ci_u32_e32 v3, vcc_lo, v20, v1, vcc_lo
	flat_load_b64 v[2:3], v[2:3]
	s_waitcnt vmcnt(0) lgkmcnt(0)
	v_mul_f64 v[2:3], s[12:13], v[2:3]
	s_delay_alu instid0(VALU_DEP_1)
	v_cvt_f32_f64_e32 v2, v[2:3]
	s_branch .LBB171_373
.LBB171_372:
	v_mov_b32_e32 v2, 0
.LBB171_373:
	s_delay_alu instid0(VALU_DEP_1) | instskip(NEXT) | instid1(VALU_DEP_3)
	v_dual_max_f32 v3, v68, v68 :: v_dual_max_f32 v2, v2, v2
	v_add_co_u32 v0, vcc_lo, v16, v0
	s_delay_alu instid0(VALU_DEP_4) | instskip(NEXT) | instid1(VALU_DEP_3)
	v_add_co_ci_u32_e32 v1, vcc_lo, v17, v1, vcc_lo
	v_min_f32_e32 v2, v2, v3
	s_delay_alu instid0(VALU_DEP_1) | instskip(SKIP_3) | instid1(SALU_CYCLE_1)
	v_cvt_f64_f32_e32 v[2:3], v2
	global_store_b64 v[0:1], v[2:3], off
	s_or_b32 exec_lo, exec_lo, s0
	s_and_b32 s1, s6, s8
	s_and_saveexec_b32 s0, s1
	s_cbranch_execz .LBB171_348
.LBB171_374:
	v_cmp_ne_u32_e32 vcc_lo, 1, v18
	v_lshlrev_b64 v[0:1], 3, v[12:13]
	s_cbranch_vccnz .LBB171_376
; %bb.375:
	s_delay_alu instid0(VALU_DEP_1) | instskip(NEXT) | instid1(VALU_DEP_2)
	v_add_co_u32 v2, vcc_lo, v19, v0
	v_add_co_ci_u32_e32 v3, vcc_lo, v20, v1, vcc_lo
	flat_load_b64 v[2:3], v[2:3]
	s_waitcnt vmcnt(0) lgkmcnt(0)
	v_mul_f64 v[2:3], s[12:13], v[2:3]
	s_delay_alu instid0(VALU_DEP_1)
	v_cvt_f32_f64_e32 v2, v[2:3]
	s_branch .LBB171_377
.LBB171_376:
	v_mov_b32_e32 v2, 0
.LBB171_377:
	s_delay_alu instid0(VALU_DEP_1) | instskip(NEXT) | instid1(VALU_DEP_3)
	v_dual_max_f32 v3, v67, v67 :: v_dual_max_f32 v2, v2, v2
	v_add_co_u32 v0, vcc_lo, v16, v0
	s_delay_alu instid0(VALU_DEP_4) | instskip(NEXT) | instid1(VALU_DEP_3)
	v_add_co_ci_u32_e32 v1, vcc_lo, v17, v1, vcc_lo
	v_min_f32_e32 v2, v2, v3
	s_delay_alu instid0(VALU_DEP_1) | instskip(SKIP_3) | instid1(SALU_CYCLE_1)
	v_cvt_f64_f32_e32 v[2:3], v2
	global_store_b64 v[0:1], v[2:3], off
	s_or_b32 exec_lo, exec_lo, s0
	s_and_b32 s0, s7, s8
	s_and_saveexec_b32 s1, s0
	s_cbranch_execz .LBB171_349
.LBB171_378:
	v_cmp_ne_u32_e32 vcc_lo, 1, v18
	v_lshlrev_b64 v[0:1], 3, v[14:15]
	s_cbranch_vccnz .LBB171_380
; %bb.379:
	s_delay_alu instid0(VALU_DEP_1) | instskip(NEXT) | instid1(VALU_DEP_2)
	v_add_co_u32 v2, vcc_lo, v19, v0
	v_add_co_ci_u32_e32 v3, vcc_lo, v20, v1, vcc_lo
	flat_load_b64 v[2:3], v[2:3]
	s_waitcnt vmcnt(0) lgkmcnt(0)
	v_mul_f64 v[2:3], s[12:13], v[2:3]
	s_delay_alu instid0(VALU_DEP_1)
	v_cvt_f32_f64_e32 v2, v[2:3]
	s_branch .LBB171_381
.LBB171_380:
	v_mov_b32_e32 v2, 0
.LBB171_381:
	v_max_f32_e32 v3, v66, v66
	s_delay_alu instid0(VALU_DEP_2) | instskip(NEXT) | instid1(VALU_DEP_4)
	v_max_f32_e32 v2, v2, v2
	v_add_co_u32 v0, vcc_lo, v16, v0
	v_add_co_ci_u32_e32 v1, vcc_lo, v17, v1, vcc_lo
	s_delay_alu instid0(VALU_DEP_3) | instskip(NEXT) | instid1(VALU_DEP_1)
	v_min_f32_e32 v2, v2, v3
	v_cvt_f64_f32_e32 v[2:3], v2
	global_store_b64 v[0:1], v[2:3], off
	s_nop 0
	s_sendmsg sendmsg(MSG_DEALLOC_VGPRS)
	s_endpgm
	.section	.rodata,"a",@progbits
	.p2align	6, 0x0
	.amdhsa_kernel _ZN12_GLOBAL__N_120geam_min_plus_kernelId15HIP_vector_typeIdLj2EEdLi8ELi32ELi64ELi256ELi4ELi64ELi4ELi64ELi4ELc78ELc84ELb0ELb1ELb1EPKdS3_dEEviiiT16_PT17_ilS7_ilS5_S7_ilPT18_ili26rocblas_geam_ex_operation_
		.amdhsa_group_segment_fixed_size 20480
		.amdhsa_private_segment_fixed_size 0
		.amdhsa_kernarg_size 136
		.amdhsa_user_sgpr_count 14
		.amdhsa_user_sgpr_dispatch_ptr 0
		.amdhsa_user_sgpr_queue_ptr 0
		.amdhsa_user_sgpr_kernarg_segment_ptr 1
		.amdhsa_user_sgpr_dispatch_id 0
		.amdhsa_user_sgpr_private_segment_size 0
		.amdhsa_wavefront_size32 1
		.amdhsa_uses_dynamic_stack 0
		.amdhsa_enable_private_segment 0
		.amdhsa_system_sgpr_workgroup_id_x 1
		.amdhsa_system_sgpr_workgroup_id_y 0
		.amdhsa_system_sgpr_workgroup_id_z 1
		.amdhsa_system_sgpr_workgroup_info 0
		.amdhsa_system_vgpr_workitem_id 1
		.amdhsa_next_free_vgpr 153
		.amdhsa_next_free_sgpr 36
		.amdhsa_reserve_vcc 1
		.amdhsa_float_round_mode_32 0
		.amdhsa_float_round_mode_16_64 0
		.amdhsa_float_denorm_mode_32 3
		.amdhsa_float_denorm_mode_16_64 3
		.amdhsa_dx10_clamp 1
		.amdhsa_ieee_mode 1
		.amdhsa_fp16_overflow 0
		.amdhsa_workgroup_processor_mode 1
		.amdhsa_memory_ordered 1
		.amdhsa_forward_progress 0
		.amdhsa_shared_vgpr_count 0
		.amdhsa_exception_fp_ieee_invalid_op 0
		.amdhsa_exception_fp_denorm_src 0
		.amdhsa_exception_fp_ieee_div_zero 0
		.amdhsa_exception_fp_ieee_overflow 0
		.amdhsa_exception_fp_ieee_underflow 0
		.amdhsa_exception_fp_ieee_inexact 0
		.amdhsa_exception_int_div_zero 0
	.end_amdhsa_kernel
	.section	.text._ZN12_GLOBAL__N_120geam_min_plus_kernelId15HIP_vector_typeIdLj2EEdLi8ELi32ELi64ELi256ELi4ELi64ELi4ELi64ELi4ELc78ELc84ELb0ELb1ELb1EPKdS3_dEEviiiT16_PT17_ilS7_ilS5_S7_ilPT18_ili26rocblas_geam_ex_operation_,"axG",@progbits,_ZN12_GLOBAL__N_120geam_min_plus_kernelId15HIP_vector_typeIdLj2EEdLi8ELi32ELi64ELi256ELi4ELi64ELi4ELi64ELi4ELc78ELc84ELb0ELb1ELb1EPKdS3_dEEviiiT16_PT17_ilS7_ilS5_S7_ilPT18_ili26rocblas_geam_ex_operation_,comdat
.Lfunc_end171:
	.size	_ZN12_GLOBAL__N_120geam_min_plus_kernelId15HIP_vector_typeIdLj2EEdLi8ELi32ELi64ELi256ELi4ELi64ELi4ELi64ELi4ELc78ELc84ELb0ELb1ELb1EPKdS3_dEEviiiT16_PT17_ilS7_ilS5_S7_ilPT18_ili26rocblas_geam_ex_operation_, .Lfunc_end171-_ZN12_GLOBAL__N_120geam_min_plus_kernelId15HIP_vector_typeIdLj2EEdLi8ELi32ELi64ELi256ELi4ELi64ELi4ELi64ELi4ELc78ELc84ELb0ELb1ELb1EPKdS3_dEEviiiT16_PT17_ilS7_ilS5_S7_ilPT18_ili26rocblas_geam_ex_operation_
                                        ; -- End function
	.section	.AMDGPU.csdata,"",@progbits
; Kernel info:
; codeLenInByte = 24508
; NumSgprs: 38
; NumVgprs: 153
; ScratchSize: 0
; MemoryBound: 0
; FloatMode: 240
; IeeeMode: 1
; LDSByteSize: 20480 bytes/workgroup (compile time only)
; SGPRBlocks: 4
; VGPRBlocks: 19
; NumSGPRsForWavesPerEU: 38
; NumVGPRsForWavesPerEU: 153
; Occupancy: 9
; WaveLimiterHint : 0
; COMPUTE_PGM_RSRC2:SCRATCH_EN: 0
; COMPUTE_PGM_RSRC2:USER_SGPR: 14
; COMPUTE_PGM_RSRC2:TRAP_HANDLER: 0
; COMPUTE_PGM_RSRC2:TGID_X_EN: 1
; COMPUTE_PGM_RSRC2:TGID_Y_EN: 0
; COMPUTE_PGM_RSRC2:TGID_Z_EN: 1
; COMPUTE_PGM_RSRC2:TIDIG_COMP_CNT: 1
	.section	.text._ZN12_GLOBAL__N_120geam_min_plus_kernelId15HIP_vector_typeIdLj2EEdLi8ELi32ELi64ELi256ELi4ELi64ELi4ELi64ELi4ELc78ELc84ELb1ELb1ELb1EdKddEEviiiT16_PT17_ilS6_ilS4_S6_ilPT18_ili26rocblas_geam_ex_operation_,"axG",@progbits,_ZN12_GLOBAL__N_120geam_min_plus_kernelId15HIP_vector_typeIdLj2EEdLi8ELi32ELi64ELi256ELi4ELi64ELi4ELi64ELi4ELc78ELc84ELb1ELb1ELb1EdKddEEviiiT16_PT17_ilS6_ilS4_S6_ilPT18_ili26rocblas_geam_ex_operation_,comdat
	.globl	_ZN12_GLOBAL__N_120geam_min_plus_kernelId15HIP_vector_typeIdLj2EEdLi8ELi32ELi64ELi256ELi4ELi64ELi4ELi64ELi4ELc78ELc84ELb1ELb1ELb1EdKddEEviiiT16_PT17_ilS6_ilS4_S6_ilPT18_ili26rocblas_geam_ex_operation_ ; -- Begin function _ZN12_GLOBAL__N_120geam_min_plus_kernelId15HIP_vector_typeIdLj2EEdLi8ELi32ELi64ELi256ELi4ELi64ELi4ELi64ELi4ELc78ELc84ELb1ELb1ELb1EdKddEEviiiT16_PT17_ilS6_ilS4_S6_ilPT18_ili26rocblas_geam_ex_operation_
	.p2align	8
	.type	_ZN12_GLOBAL__N_120geam_min_plus_kernelId15HIP_vector_typeIdLj2EEdLi8ELi32ELi64ELi256ELi4ELi64ELi4ELi64ELi4ELc78ELc84ELb1ELb1ELb1EdKddEEviiiT16_PT17_ilS6_ilS4_S6_ilPT18_ili26rocblas_geam_ex_operation_,@function
_ZN12_GLOBAL__N_120geam_min_plus_kernelId15HIP_vector_typeIdLj2EEdLi8ELi32ELi64ELi256ELi4ELi64ELi4ELi64ELi4ELc78ELc84ELb1ELb1ELb1EdKddEEviiiT16_PT17_ilS6_ilS4_S6_ilPT18_ili26rocblas_geam_ex_operation_: ; @_ZN12_GLOBAL__N_120geam_min_plus_kernelId15HIP_vector_typeIdLj2EEdLi8ELi32ELi64ELi256ELi4ELi64ELi4ELi64ELi4ELc78ELc84ELb1ELb1ELb1EdKddEEviiiT16_PT17_ilS6_ilS4_S6_ilPT18_ili26rocblas_geam_ex_operation_
; %bb.0:
	s_clause 0x1
	s_load_b128 s[8:11], s[0:1], 0x10
	s_load_b128 s[4:7], s[0:1], 0x28
	s_mov_b64 s[26:27], 0
	s_waitcnt lgkmcnt(0)
	v_cmp_eq_f64_e64 s12, s[8:9], 0
	s_delay_alu instid0(VALU_DEP_1)
	s_and_b32 vcc_lo, exec_lo, s12
	s_cbranch_vccnz .LBB172_2
; %bb.1:
	s_mul_i32 s2, s15, s5
	s_mul_hi_u32 s3, s15, s4
	s_delay_alu instid0(SALU_CYCLE_1) | instskip(SKIP_1) | instid1(SALU_CYCLE_1)
	s_add_i32 s3, s3, s2
	s_mul_i32 s2, s15, s4
	s_lshl_b64 s[2:3], s[2:3], 3
	s_delay_alu instid0(SALU_CYCLE_1)
	s_add_u32 s26, s10, s2
	s_addc_u32 s27, s11, s3
.LBB172_2:
	s_clause 0x1
	s_load_b128 s[8:11], s[0:1], 0x40
	s_load_b64 s[2:3], s[0:1], 0x50
	s_and_not1_b32 vcc_lo, exec_lo, s12
	s_cbranch_vccnz .LBB172_4
; %bb.3:
	s_mov_b32 s28, 0
	s_mov_b64 s[24:25], 0
	s_cbranch_execz .LBB172_5
	s_branch .LBB172_6
.LBB172_4:
	s_mov_b32 s28, -1
                                        ; implicit-def: $sgpr24_sgpr25
.LBB172_5:
	s_waitcnt lgkmcnt(0)
	s_mul_i32 s4, s15, s9
	s_mul_hi_u32 s5, s15, s8
	s_mov_b32 s28, 0
	s_add_i32 s5, s5, s4
	s_mul_i32 s4, s15, s8
	s_delay_alu instid0(SALU_CYCLE_1) | instskip(NEXT) | instid1(SALU_CYCLE_1)
	s_lshl_b64 s[4:5], s[4:5], 3
	s_add_u32 s24, s6, s4
	s_addc_u32 s25, s7, s5
.LBB172_6:
	s_waitcnt lgkmcnt(0)
	v_cmp_eq_f64_e64 s4, s[10:11], 0
	v_cmp_neq_f64_e64 s29, s[10:11], 0
	s_load_b128 s[20:23], s[0:1], 0x60
	s_mov_b64 s[12:13], 0
	s_delay_alu instid0(VALU_DEP_2)
	s_and_b32 vcc_lo, exec_lo, s4
	s_cbranch_vccnz .LBB172_8
; %bb.7:
	s_waitcnt lgkmcnt(0)
	s_mul_i32 s4, s15, s21
	s_mul_hi_u32 s5, s15, s20
	s_mul_i32 s6, s28, s20
	s_add_i32 s4, s5, s4
	s_delay_alu instid0(SALU_CYCLE_1) | instskip(SKIP_1) | instid1(SALU_CYCLE_1)
	s_add_i32 s5, s4, s6
	s_mul_i32 s4, s15, s20
	s_lshl_b64 s[4:5], s[4:5], 3
	s_delay_alu instid0(SALU_CYCLE_1)
	s_add_u32 s12, s2, s4
	s_addc_u32 s13, s3, s5
.LBB172_8:
	s_load_b128 s[16:19], s[0:1], 0x0
	s_waitcnt lgkmcnt(0)
	s_load_b32 s20, s[0:1], 0x20
	v_bfe_u32 v123, v0, 10, 10
	s_add_i32 s2, s16, -1
	s_waitcnt lgkmcnt(0)
	s_ashr_i32 s21, s20, 31
	s_ashr_i32 s3, s2, 31
	s_delay_alu instid0(SALU_CYCLE_1) | instskip(NEXT) | instid1(SALU_CYCLE_1)
	s_lshr_b32 s3, s3, 26
	s_add_i32 s2, s2, s3
	s_delay_alu instid0(SALU_CYCLE_1) | instskip(NEXT) | instid1(SALU_CYCLE_1)
	s_ashr_i32 s2, s2, 6
	s_add_i32 s3, s2, 1
	s_not_b32 s2, s2
	v_cvt_f32_u32_e32 v1, s3
	s_delay_alu instid0(VALU_DEP_1) | instskip(SKIP_2) | instid1(VALU_DEP_1)
	v_rcp_iflag_f32_e32 v1, v1
	s_waitcnt_depctr 0xfff
	v_mul_f32_e32 v1, 0x4f7ffffe, v1
	v_cvt_u32_f32_e32 v1, v1
	s_delay_alu instid0(VALU_DEP_1) | instskip(NEXT) | instid1(VALU_DEP_1)
	v_readfirstlane_b32 s4, v1
	s_mul_i32 s2, s2, s4
	s_delay_alu instid0(SALU_CYCLE_1) | instskip(NEXT) | instid1(SALU_CYCLE_1)
	s_mul_hi_u32 s2, s4, s2
	s_add_i32 s4, s4, s2
	s_delay_alu instid0(SALU_CYCLE_1) | instskip(NEXT) | instid1(SALU_CYCLE_1)
	s_mul_hi_u32 s2, s14, s4
	s_mul_i32 s4, s2, s3
	s_add_i32 s5, s2, 1
	s_sub_i32 s4, s14, s4
	s_delay_alu instid0(SALU_CYCLE_1)
	s_sub_i32 s6, s4, s3
	s_cmp_ge_u32 s4, s3
	s_cselect_b32 s2, s5, s2
	s_cselect_b32 s4, s6, s4
	s_add_i32 s5, s2, 1
	s_cmp_ge_u32 s4, s3
	s_cselect_b32 s6, s5, s2
	s_mov_b32 s4, -1
	s_mov_b32 s5, 0x7fefffff
	v_and_b32_e32 v122, 0x3ff, v0
	s_mul_i32 s2, s6, s3
	s_delay_alu instid0(SALU_CYCLE_1) | instskip(NEXT) | instid1(VALU_DEP_1)
	s_sub_i32 s2, s14, s2
	v_lshl_add_u32 v0, v123, 3, v122
	s_lshl_b32 s14, s2, 6
	s_delay_alu instid0(VALU_DEP_1) | instskip(SKIP_2) | instid1(VALU_DEP_3)
	v_and_b32_e32 v135, 63, v0
	v_lshrrev_b32_e32 v132, 6, v0
	v_dual_mov_b32 v0, s4 :: v_dual_mov_b32 v1, s5
	v_or_b32_e32 v52, s14, v135
	s_delay_alu instid0(VALU_DEP_3) | instskip(NEXT) | instid1(VALU_DEP_2)
	v_cmp_le_i32_e32 vcc_lo, s18, v132
	v_cmp_le_i32_e64 s2, s16, v52
	v_ashrrev_i32_e32 v53, 31, v52
	s_delay_alu instid0(VALU_DEP_2) | instskip(NEXT) | instid1(SALU_CYCLE_1)
	s_or_b32 s3, s2, vcc_lo
	s_xor_b32 s3, s3, -1
	s_delay_alu instid0(SALU_CYCLE_1)
	s_and_saveexec_b32 s7, s3
	s_cbranch_execz .LBB172_10
; %bb.9:
	v_mad_i64_i32 v[0:1], null, s20, v132, 0
	v_lshlrev_b64 v[2:3], 3, v[52:53]
	s_delay_alu instid0(VALU_DEP_2) | instskip(NEXT) | instid1(VALU_DEP_1)
	v_lshlrev_b64 v[0:1], 3, v[0:1]
	v_add_co_u32 v0, s3, s26, v0
	s_delay_alu instid0(VALU_DEP_1) | instskip(NEXT) | instid1(VALU_DEP_2)
	v_add_co_ci_u32_e64 v1, s3, s27, v1, s3
	v_add_co_u32 v0, s3, v0, v2
	s_delay_alu instid0(VALU_DEP_1)
	v_add_co_ci_u32_e64 v1, s3, v1, v3, s3
	flat_load_b64 v[0:1], v[0:1]
.LBB172_10:
	s_or_b32 exec_lo, exec_lo, s7
	s_load_b32 s30, s[0:1], 0x38
	s_lshl_b32 s19, s6, 8
	s_delay_alu instid0(SALU_CYCLE_1) | instskip(NEXT) | instid1(VALU_DEP_1)
	v_or_b32_e32 v54, s19, v135
	v_cmp_le_i32_e64 s3, s17, v54
	v_ashrrev_i32_e32 v55, 31, v54
	s_waitcnt lgkmcnt(0)
	v_mad_i64_i32 v[2:3], null, v132, s30, 0
	s_delay_alu instid0(VALU_DEP_1) | instskip(SKIP_1) | instid1(VALU_DEP_2)
	v_lshlrev_b64 v[4:5], 3, v[2:3]
	v_dual_mov_b32 v2, s4 :: v_dual_mov_b32 v3, s5
	v_add_co_u32 v10, s4, s24, v4
	s_delay_alu instid0(VALU_DEP_1) | instskip(SKIP_1) | instid1(SALU_CYCLE_1)
	v_add_co_ci_u32_e64 v11, s4, s25, v5, s4
	s_or_b32 s4, s3, vcc_lo
	s_xor_b32 s4, s4, -1
	s_delay_alu instid0(SALU_CYCLE_1)
	s_and_saveexec_b32 s5, s4
	s_cbranch_execz .LBB172_12
; %bb.11:
	v_lshlrev_b64 v[2:3], 3, v[54:55]
	s_delay_alu instid0(VALU_DEP_1) | instskip(NEXT) | instid1(VALU_DEP_1)
	v_add_co_u32 v2, s4, v10, v2
	v_add_co_ci_u32_e64 v3, s4, v11, v3, s4
	flat_load_b64 v[2:3], v[2:3]
.LBB172_12:
	s_or_b32 exec_lo, exec_lo, s5
	v_or_b32_e32 v4, 64, v54
	s_mov_b32 s6, -1
	s_mov_b32 s7, 0x7fefffff
	s_delay_alu instid0(VALU_DEP_1) | instskip(SKIP_1) | instid1(VALU_DEP_2)
	v_cmp_le_i32_e64 s4, s17, v4
	v_dual_mov_b32 v4, s6 :: v_dual_mov_b32 v5, s7
	s_or_b32 s5, s4, vcc_lo
	s_delay_alu instid0(SALU_CYCLE_1) | instskip(NEXT) | instid1(SALU_CYCLE_1)
	s_xor_b32 s5, s5, -1
	s_and_saveexec_b32 s8, s5
	s_cbranch_execz .LBB172_14
; %bb.13:
	v_lshlrev_b64 v[4:5], 3, v[54:55]
	s_delay_alu instid0(VALU_DEP_1) | instskip(NEXT) | instid1(VALU_DEP_1)
	v_add_co_u32 v4, s5, v10, v4
	v_add_co_ci_u32_e64 v5, s5, v11, v5, s5
	flat_load_b64 v[4:5], v[4:5] offset:512
.LBB172_14:
	s_or_b32 exec_lo, exec_lo, s8
	v_or_b32_e32 v6, 0x80, v54
	s_ashr_i32 s31, s30, 31
	s_delay_alu instid0(VALU_DEP_1) | instskip(SKIP_1) | instid1(VALU_DEP_2)
	v_cmp_le_i32_e64 s5, s17, v6
	v_dual_mov_b32 v6, s6 :: v_dual_mov_b32 v7, s7
	s_or_b32 s6, s5, vcc_lo
	s_delay_alu instid0(SALU_CYCLE_1) | instskip(NEXT) | instid1(SALU_CYCLE_1)
	s_xor_b32 s6, s6, -1
	s_and_saveexec_b32 s7, s6
	s_cbranch_execz .LBB172_16
; %bb.15:
	v_lshlrev_b64 v[6:7], 3, v[54:55]
	s_delay_alu instid0(VALU_DEP_1) | instskip(NEXT) | instid1(VALU_DEP_1)
	v_add_co_u32 v6, s6, v10, v6
	v_add_co_ci_u32_e64 v7, s6, v11, v7, s6
	flat_load_b64 v[6:7], v[6:7] offset:1024
.LBB172_16:
	s_or_b32 exec_lo, exec_lo, s7
	v_or_b32_e32 v8, 0xc0, v54
	s_mov_b32 s8, -1
	s_mov_b32 s9, 0x7fefffff
	s_delay_alu instid0(VALU_DEP_1) | instskip(SKIP_1) | instid1(VALU_DEP_2)
	v_cmp_le_i32_e64 s6, s17, v8
	v_dual_mov_b32 v8, s8 :: v_dual_mov_b32 v9, s9
	s_or_b32 s7, s6, vcc_lo
	s_delay_alu instid0(SALU_CYCLE_1) | instskip(NEXT) | instid1(SALU_CYCLE_1)
	s_xor_b32 s33, s7, -1
	s_and_saveexec_b32 s7, s33
	s_cbranch_execz .LBB172_18
; %bb.17:
	v_lshlrev_b64 v[8:9], 3, v[54:55]
	s_delay_alu instid0(VALU_DEP_1) | instskip(NEXT) | instid1(VALU_DEP_2)
	v_add_co_u32 v8, vcc_lo, v10, v8
	v_add_co_ci_u32_e32 v9, vcc_lo, v11, v9, vcc_lo
	flat_load_b64 v[8:9], v[8:9] offset:1536
.LBB172_18:
	s_or_b32 exec_lo, exec_lo, s7
	v_dual_mov_b32 v57, s9 :: v_dual_add_nc_u32 v10, 4, v132
	v_mov_b32_e32 v56, s8
	s_delay_alu instid0(VALU_DEP_2) | instskip(SKIP_1) | instid1(SALU_CYCLE_1)
	v_cmp_le_i32_e32 vcc_lo, s18, v10
	s_or_b32 s7, s2, vcc_lo
	s_xor_b32 s7, s7, -1
	s_delay_alu instid0(SALU_CYCLE_1)
	s_and_saveexec_b32 s8, s7
	s_cbranch_execz .LBB172_20
; %bb.19:
	v_mad_i64_i32 v[11:12], null, s20, v10, 0
	v_lshlrev_b64 v[13:14], 3, v[52:53]
	s_delay_alu instid0(VALU_DEP_2) | instskip(NEXT) | instid1(VALU_DEP_1)
	v_lshlrev_b64 v[11:12], 3, v[11:12]
	v_add_co_u32 v11, s7, s26, v11
	s_delay_alu instid0(VALU_DEP_1) | instskip(NEXT) | instid1(VALU_DEP_2)
	v_add_co_ci_u32_e64 v12, s7, s27, v12, s7
	v_add_co_u32 v11, s7, v11, v13
	s_delay_alu instid0(VALU_DEP_1)
	v_add_co_ci_u32_e64 v12, s7, v12, v14, s7
	flat_load_b64 v[56:57], v[11:12]
.LBB172_20:
	s_or_b32 exec_lo, exec_lo, s8
	v_mad_i64_i32 v[11:12], null, v10, s30, 0
	s_mov_b32 s8, -1
	s_mov_b32 s9, 0x7fefffff
	s_delay_alu instid0(SALU_CYCLE_1) | instskip(NEXT) | instid1(VALU_DEP_2)
	v_dual_mov_b32 v59, s9 :: v_dual_mov_b32 v58, s8
	v_lshlrev_b64 v[10:11], 3, v[11:12]
	s_delay_alu instid0(VALU_DEP_1) | instskip(NEXT) | instid1(VALU_DEP_1)
	v_add_co_u32 v10, s7, s24, v10
	v_add_co_ci_u32_e64 v11, s7, s25, v11, s7
	s_or_b32 s7, s3, vcc_lo
	s_delay_alu instid0(SALU_CYCLE_1) | instskip(NEXT) | instid1(SALU_CYCLE_1)
	s_xor_b32 s7, s7, -1
	s_and_saveexec_b32 s33, s7
	s_cbranch_execz .LBB172_22
; %bb.21:
	v_lshlrev_b64 v[12:13], 3, v[54:55]
	s_delay_alu instid0(VALU_DEP_1) | instskip(NEXT) | instid1(VALU_DEP_1)
	v_add_co_u32 v12, s7, v10, v12
	v_add_co_ci_u32_e64 v13, s7, v11, v13, s7
	flat_load_b64 v[58:59], v[12:13]
.LBB172_22:
	s_or_b32 exec_lo, exec_lo, s33
	v_dual_mov_b32 v61, s9 :: v_dual_mov_b32 v60, s8
	s_or_b32 s7, s4, vcc_lo
	s_delay_alu instid0(SALU_CYCLE_1) | instskip(NEXT) | instid1(SALU_CYCLE_1)
	s_xor_b32 s7, s7, -1
	s_and_saveexec_b32 s8, s7
	s_cbranch_execz .LBB172_24
; %bb.23:
	v_lshlrev_b64 v[12:13], 3, v[54:55]
	s_delay_alu instid0(VALU_DEP_1) | instskip(NEXT) | instid1(VALU_DEP_1)
	v_add_co_u32 v12, s7, v10, v12
	v_add_co_ci_u32_e64 v13, s7, v11, v13, s7
	flat_load_b64 v[60:61], v[12:13] offset:512
.LBB172_24:
	s_or_b32 exec_lo, exec_lo, s8
	s_mov_b32 s8, -1
	s_mov_b32 s9, 0x7fefffff
	s_or_b32 s7, s5, vcc_lo
	v_dual_mov_b32 v63, s9 :: v_dual_mov_b32 v62, s8
	s_xor_b32 s7, s7, -1
	s_delay_alu instid0(SALU_CYCLE_1)
	s_and_saveexec_b32 s33, s7
	s_cbranch_execz .LBB172_26
; %bb.25:
	v_lshlrev_b64 v[12:13], 3, v[54:55]
	s_delay_alu instid0(VALU_DEP_1) | instskip(NEXT) | instid1(VALU_DEP_1)
	v_add_co_u32 v12, s7, v10, v12
	v_add_co_ci_u32_e64 v13, s7, v11, v13, s7
	flat_load_b64 v[62:63], v[12:13] offset:1024
.LBB172_26:
	s_or_b32 exec_lo, exec_lo, s33
	v_dual_mov_b32 v65, s9 :: v_dual_mov_b32 v64, s8
	s_or_b32 s7, s6, vcc_lo
	s_delay_alu instid0(SALU_CYCLE_1) | instskip(NEXT) | instid1(SALU_CYCLE_1)
	s_xor_b32 s8, s7, -1
	s_and_saveexec_b32 s7, s8
	s_cbranch_execz .LBB172_28
; %bb.27:
	v_lshlrev_b64 v[12:13], 3, v[54:55]
	s_delay_alu instid0(VALU_DEP_1) | instskip(NEXT) | instid1(VALU_DEP_2)
	v_add_co_u32 v10, vcc_lo, v10, v12
	v_add_co_ci_u32_e32 v11, vcc_lo, v11, v13, vcc_lo
	flat_load_b64 v[64:65], v[10:11] offset:1536
.LBB172_28:
	s_or_b32 exec_lo, exec_lo, s7
	v_dual_mov_b32 v67, 0x7f800000 :: v_dual_lshlrev_b32 v10, 3, v132
	v_dual_mov_b32 v66, 0x7f800000 :: v_dual_mov_b32 v69, 0x7f800000
	v_dual_mov_b32 v68, 0x7f800000 :: v_dual_mov_b32 v71, 0x7f800000
	s_delay_alu instid0(VALU_DEP_3) | instskip(SKIP_2) | instid1(VALU_DEP_3)
	v_lshl_add_u32 v133, v135, 5, v10
	v_dual_mov_b32 v70, 0x7f800000 :: v_dual_mov_b32 v73, 0x7f800000
	v_dual_mov_b32 v72, 0x7f800000 :: v_dual_mov_b32 v75, 0x7f800000
	v_or_b32_e32 v134, 0x4000, v133
	v_dual_mov_b32 v74, 0x7f800000 :: v_dual_mov_b32 v77, 0x7f800000
	v_dual_mov_b32 v76, 0x7f800000 :: v_dual_mov_b32 v79, 0x7f800000
	;; [unrolled: 1-line block ×27, first 2 shown]
	v_mov_b32_e32 v130, 0x7f800000
	s_mov_b32 s8, 0
	s_mov_b32 s7, -1
	s_waitcnt vmcnt(0)
	ds_store_b64 v133, v[0:1] offset:16384
	s_waitcnt lgkmcnt(1)
	ds_store_2addr_stride64_b64 v133, v[2:3], v[4:5] offset1:4
	ds_store_2addr_stride64_b64 v133, v[6:7], v[8:9] offset0:8 offset1:12
	s_waitcnt lgkmcnt(0)
	s_barrier
	buffer_gl0_inv
.LBB172_29:                             ; =>This Inner Loop Header: Depth=1
	s_lshl_b32 s8, s8, 3
	s_and_not1_b32 vcc_lo, exec_lo, s7
	v_lshl_add_u32 v0, v122, 5, s8
	v_lshl_add_u32 v16, v123, 5, s8
	s_mov_b32 s8, 2
	s_mov_b32 s7, 0
	ds_load_b128 v[32:35], v0 offset:16384
	ds_load_b128 v[28:31], v0 offset:16640
	;; [unrolled: 1-line block ×8, first 2 shown]
	ds_load_b128 v[136:139], v16
	ds_load_b128 v[140:143], v16 offset:1024
	ds_load_b128 v[144:147], v16 offset:2048
	;; [unrolled: 1-line block ×7, first 2 shown]
	s_waitcnt lgkmcnt(7)
	v_add_f64 v[148:149], v[34:35], v[138:139]
	v_add_f64 v[150:151], v[32:33], v[136:137]
	s_delay_alu instid0(VALU_DEP_2) | instskip(NEXT) | instid1(VALU_DEP_2)
	v_cvt_f32_f64_e32 v148, v[148:149]
	v_cvt_f32_f64_e32 v150, v[150:151]
	s_delay_alu instid0(VALU_DEP_1) | instskip(SKIP_2) | instid1(VALU_DEP_2)
	v_min3_f32 v131, v150, v148, v131
	v_add_f64 v[148:149], v[30:31], v[138:139]
	v_add_f64 v[150:151], v[28:29], v[136:137]
	v_cvt_f32_f64_e32 v148, v[148:149]
	s_delay_alu instid0(VALU_DEP_2) | instskip(NEXT) | instid1(VALU_DEP_1)
	v_cvt_f32_f64_e32 v150, v[150:151]
	v_min3_f32 v130, v150, v148, v130
	v_add_f64 v[148:149], v[26:27], v[138:139]
	v_add_f64 v[150:151], v[24:25], v[136:137]
	s_delay_alu instid0(VALU_DEP_2) | instskip(NEXT) | instid1(VALU_DEP_2)
	v_cvt_f32_f64_e32 v148, v[148:149]
	v_cvt_f32_f64_e32 v150, v[150:151]
	s_delay_alu instid0(VALU_DEP_1) | instskip(SKIP_2) | instid1(VALU_DEP_2)
	v_min3_f32 v129, v150, v148, v129
	v_add_f64 v[148:149], v[22:23], v[138:139]
	v_add_f64 v[150:151], v[20:21], v[136:137]
	v_cvt_f32_f64_e32 v148, v[148:149]
	s_delay_alu instid0(VALU_DEP_2) | instskip(NEXT) | instid1(VALU_DEP_1)
	v_cvt_f32_f64_e32 v150, v[150:151]
	v_min3_f32 v128, v150, v148, v128
	v_add_f64 v[148:149], v[14:15], v[138:139]
	v_add_f64 v[150:151], v[12:13], v[136:137]
	s_delay_alu instid0(VALU_DEP_2) | instskip(NEXT) | instid1(VALU_DEP_2)
	v_cvt_f32_f64_e32 v148, v[148:149]
	v_cvt_f32_f64_e32 v150, v[150:151]
	s_delay_alu instid0(VALU_DEP_1) | instskip(SKIP_2) | instid1(VALU_DEP_2)
	v_min3_f32 v127, v150, v148, v127
	v_add_f64 v[148:149], v[10:11], v[138:139]
	v_add_f64 v[150:151], v[8:9], v[136:137]
	v_cvt_f32_f64_e32 v148, v[148:149]
	s_delay_alu instid0(VALU_DEP_2) | instskip(NEXT) | instid1(VALU_DEP_1)
	v_cvt_f32_f64_e32 v150, v[150:151]
	v_min3_f32 v126, v150, v148, v126
	v_add_f64 v[148:149], v[6:7], v[138:139]
	v_add_f64 v[150:151], v[4:5], v[136:137]
	;; [unrolled: 1-line block ×4, first 2 shown]
	s_delay_alu instid0(VALU_DEP_4) | instskip(NEXT) | instid1(VALU_DEP_4)
	v_cvt_f32_f64_e32 v148, v[148:149]
	v_cvt_f32_f64_e32 v150, v[150:151]
	s_delay_alu instid0(VALU_DEP_3) | instskip(SKIP_3) | instid1(VALU_DEP_4)
	v_cvt_f32_f64_e32 v136, v[136:137]
	v_cvt_f32_f64_e32 v137, v[138:139]
	s_waitcnt lgkmcnt(6)
	v_add_f64 v[138:139], v[32:33], v[140:141]
	v_min3_f32 v125, v150, v148, v125
	s_delay_alu instid0(VALU_DEP_3) | instskip(SKIP_1) | instid1(VALU_DEP_4)
	v_min3_f32 v124, v136, v137, v124
	v_add_f64 v[136:137], v[34:35], v[142:143]
	v_cvt_f32_f64_e32 v138, v[138:139]
	s_delay_alu instid0(VALU_DEP_2) | instskip(NEXT) | instid1(VALU_DEP_1)
	v_cvt_f32_f64_e32 v136, v[136:137]
	v_min3_f32 v121, v138, v136, v121
	v_add_f64 v[136:137], v[30:31], v[142:143]
	v_add_f64 v[138:139], v[28:29], v[140:141]
	s_delay_alu instid0(VALU_DEP_2) | instskip(NEXT) | instid1(VALU_DEP_2)
	v_cvt_f32_f64_e32 v136, v[136:137]
	v_cvt_f32_f64_e32 v138, v[138:139]
	s_delay_alu instid0(VALU_DEP_1) | instskip(SKIP_2) | instid1(VALU_DEP_2)
	v_min3_f32 v120, v138, v136, v120
	v_add_f64 v[136:137], v[26:27], v[142:143]
	v_add_f64 v[138:139], v[24:25], v[140:141]
	v_cvt_f32_f64_e32 v136, v[136:137]
	s_delay_alu instid0(VALU_DEP_2) | instskip(NEXT) | instid1(VALU_DEP_1)
	v_cvt_f32_f64_e32 v138, v[138:139]
	v_min3_f32 v119, v138, v136, v119
	v_add_f64 v[136:137], v[22:23], v[142:143]
	v_add_f64 v[138:139], v[20:21], v[140:141]
	s_delay_alu instid0(VALU_DEP_2) | instskip(NEXT) | instid1(VALU_DEP_2)
	v_cvt_f32_f64_e32 v136, v[136:137]
	v_cvt_f32_f64_e32 v138, v[138:139]
	s_delay_alu instid0(VALU_DEP_1) | instskip(SKIP_2) | instid1(VALU_DEP_2)
	v_min3_f32 v118, v138, v136, v118
	v_add_f64 v[136:137], v[14:15], v[142:143]
	;; [unrolled: 13-line block ×3, first 2 shown]
	v_add_f64 v[138:139], v[4:5], v[140:141]
	v_cvt_f32_f64_e32 v136, v[136:137]
	s_delay_alu instid0(VALU_DEP_2) | instskip(NEXT) | instid1(VALU_DEP_1)
	v_cvt_f32_f64_e32 v138, v[138:139]
	v_min3_f32 v115, v138, v136, v115
	v_add_f64 v[136:137], v[2:3], v[142:143]
	v_add_f64 v[138:139], v[0:1], v[140:141]
	s_delay_alu instid0(VALU_DEP_2) | instskip(NEXT) | instid1(VALU_DEP_2)
	v_cvt_f32_f64_e32 v136, v[136:137]
	v_cvt_f32_f64_e32 v138, v[138:139]
	s_delay_alu instid0(VALU_DEP_1) | instskip(SKIP_3) | instid1(VALU_DEP_2)
	v_min3_f32 v114, v138, v136, v114
	s_waitcnt lgkmcnt(5)
	v_add_f64 v[136:137], v[34:35], v[146:147]
	v_add_f64 v[138:139], v[32:33], v[144:145]
	v_cvt_f32_f64_e32 v136, v[136:137]
	s_delay_alu instid0(VALU_DEP_2) | instskip(NEXT) | instid1(VALU_DEP_1)
	v_cvt_f32_f64_e32 v138, v[138:139]
	v_min3_f32 v113, v138, v136, v113
	v_add_f64 v[136:137], v[30:31], v[146:147]
	v_add_f64 v[138:139], v[28:29], v[144:145]
	s_delay_alu instid0(VALU_DEP_2) | instskip(NEXT) | instid1(VALU_DEP_2)
	v_cvt_f32_f64_e32 v136, v[136:137]
	v_cvt_f32_f64_e32 v138, v[138:139]
	s_delay_alu instid0(VALU_DEP_1) | instskip(SKIP_2) | instid1(VALU_DEP_2)
	v_min3_f32 v112, v138, v136, v112
	v_add_f64 v[136:137], v[26:27], v[146:147]
	v_add_f64 v[138:139], v[24:25], v[144:145]
	v_cvt_f32_f64_e32 v136, v[136:137]
	s_delay_alu instid0(VALU_DEP_2) | instskip(NEXT) | instid1(VALU_DEP_1)
	v_cvt_f32_f64_e32 v138, v[138:139]
	v_min3_f32 v111, v138, v136, v111
	v_add_f64 v[136:137], v[22:23], v[146:147]
	v_add_f64 v[138:139], v[20:21], v[144:145]
	s_delay_alu instid0(VALU_DEP_2) | instskip(NEXT) | instid1(VALU_DEP_2)
	v_cvt_f32_f64_e32 v136, v[136:137]
	v_cvt_f32_f64_e32 v138, v[138:139]
	s_delay_alu instid0(VALU_DEP_1) | instskip(SKIP_2) | instid1(VALU_DEP_2)
	v_min3_f32 v110, v138, v136, v110
	;; [unrolled: 13-line block ×3, first 2 shown]
	v_add_f64 v[136:137], v[6:7], v[146:147]
	v_add_f64 v[138:139], v[4:5], v[144:145]
	v_cvt_f32_f64_e32 v136, v[136:137]
	s_delay_alu instid0(VALU_DEP_2) | instskip(NEXT) | instid1(VALU_DEP_1)
	v_cvt_f32_f64_e32 v138, v[138:139]
	v_min3_f32 v107, v138, v136, v107
	v_add_f64 v[136:137], v[2:3], v[146:147]
	v_add_f64 v[138:139], v[0:1], v[144:145]
	s_delay_alu instid0(VALU_DEP_2) | instskip(NEXT) | instid1(VALU_DEP_2)
	v_cvt_f32_f64_e32 v136, v[136:137]
	v_cvt_f32_f64_e32 v138, v[138:139]
	s_delay_alu instid0(VALU_DEP_1) | instskip(SKIP_3) | instid1(VALU_DEP_2)
	v_min3_f32 v106, v138, v136, v106
	s_waitcnt lgkmcnt(4)
	v_add_f64 v[136:137], v[34:35], v[50:51]
	v_add_f64 v[138:139], v[32:33], v[48:49]
	v_cvt_f32_f64_e32 v136, v[136:137]
	s_delay_alu instid0(VALU_DEP_2) | instskip(NEXT) | instid1(VALU_DEP_1)
	v_cvt_f32_f64_e32 v138, v[138:139]
	v_min3_f32 v105, v138, v136, v105
	v_add_f64 v[136:137], v[30:31], v[50:51]
	v_add_f64 v[138:139], v[28:29], v[48:49]
	s_delay_alu instid0(VALU_DEP_2) | instskip(NEXT) | instid1(VALU_DEP_2)
	v_cvt_f32_f64_e32 v136, v[136:137]
	v_cvt_f32_f64_e32 v138, v[138:139]
	s_delay_alu instid0(VALU_DEP_1) | instskip(SKIP_2) | instid1(VALU_DEP_2)
	v_min3_f32 v104, v138, v136, v104
	v_add_f64 v[136:137], v[26:27], v[50:51]
	v_add_f64 v[138:139], v[24:25], v[48:49]
	v_cvt_f32_f64_e32 v136, v[136:137]
	s_delay_alu instid0(VALU_DEP_2) | instskip(NEXT) | instid1(VALU_DEP_1)
	v_cvt_f32_f64_e32 v138, v[138:139]
	v_min3_f32 v103, v138, v136, v103
	v_add_f64 v[136:137], v[22:23], v[50:51]
	v_add_f64 v[138:139], v[20:21], v[48:49]
	s_delay_alu instid0(VALU_DEP_2) | instskip(NEXT) | instid1(VALU_DEP_2)
	v_cvt_f32_f64_e32 v136, v[136:137]
	v_cvt_f32_f64_e32 v138, v[138:139]
	s_delay_alu instid0(VALU_DEP_1) | instskip(SKIP_2) | instid1(VALU_DEP_2)
	v_min3_f32 v102, v138, v136, v102
	v_add_f64 v[136:137], v[14:15], v[50:51]
	v_add_f64 v[138:139], v[12:13], v[48:49]
	v_cvt_f32_f64_e32 v136, v[136:137]
	s_delay_alu instid0(VALU_DEP_2) | instskip(NEXT) | instid1(VALU_DEP_1)
	v_cvt_f32_f64_e32 v138, v[138:139]
	v_min3_f32 v101, v138, v136, v101
	v_add_f64 v[136:137], v[10:11], v[50:51]
	v_add_f64 v[138:139], v[8:9], v[48:49]
	s_delay_alu instid0(VALU_DEP_2) | instskip(NEXT) | instid1(VALU_DEP_2)
	v_cvt_f32_f64_e32 v136, v[136:137]
	v_cvt_f32_f64_e32 v138, v[138:139]
	s_delay_alu instid0(VALU_DEP_1) | instskip(SKIP_4) | instid1(VALU_DEP_4)
	v_min3_f32 v100, v138, v136, v100
	v_add_f64 v[136:137], v[6:7], v[50:51]
	v_add_f64 v[138:139], v[4:5], v[48:49]
	;; [unrolled: 1-line block ×4, first 2 shown]
	v_cvt_f32_f64_e32 v136, v[136:137]
	s_delay_alu instid0(VALU_DEP_4) | instskip(NEXT) | instid1(VALU_DEP_3)
	v_cvt_f32_f64_e32 v138, v[138:139]
	v_cvt_f32_f64_e32 v48, v[48:49]
	;; [unrolled: 1-line block ×3, first 2 shown]
	s_waitcnt lgkmcnt(3)
	v_add_f64 v[50:51], v[32:33], v[44:45]
	s_delay_alu instid0(VALU_DEP_4) | instskip(NEXT) | instid1(VALU_DEP_3)
	v_min3_f32 v99, v138, v136, v99
	v_min3_f32 v98, v48, v49, v98
	v_add_f64 v[48:49], v[34:35], v[46:47]
	s_delay_alu instid0(VALU_DEP_4) | instskip(NEXT) | instid1(VALU_DEP_2)
	v_cvt_f32_f64_e32 v50, v[50:51]
	v_cvt_f32_f64_e32 v48, v[48:49]
	s_delay_alu instid0(VALU_DEP_1) | instskip(SKIP_2) | instid1(VALU_DEP_2)
	v_min3_f32 v97, v50, v48, v97
	v_add_f64 v[48:49], v[30:31], v[46:47]
	v_add_f64 v[50:51], v[28:29], v[44:45]
	v_cvt_f32_f64_e32 v48, v[48:49]
	s_delay_alu instid0(VALU_DEP_2) | instskip(NEXT) | instid1(VALU_DEP_1)
	v_cvt_f32_f64_e32 v50, v[50:51]
	v_min3_f32 v96, v50, v48, v96
	v_add_f64 v[48:49], v[26:27], v[46:47]
	v_add_f64 v[50:51], v[24:25], v[44:45]
	s_delay_alu instid0(VALU_DEP_2) | instskip(NEXT) | instid1(VALU_DEP_2)
	v_cvt_f32_f64_e32 v48, v[48:49]
	v_cvt_f32_f64_e32 v50, v[50:51]
	s_delay_alu instid0(VALU_DEP_1) | instskip(SKIP_2) | instid1(VALU_DEP_2)
	v_min3_f32 v95, v50, v48, v95
	v_add_f64 v[48:49], v[22:23], v[46:47]
	v_add_f64 v[50:51], v[20:21], v[44:45]
	v_cvt_f32_f64_e32 v48, v[48:49]
	s_delay_alu instid0(VALU_DEP_2) | instskip(NEXT) | instid1(VALU_DEP_1)
	v_cvt_f32_f64_e32 v50, v[50:51]
	v_min3_f32 v94, v50, v48, v94
	v_add_f64 v[48:49], v[14:15], v[46:47]
	v_add_f64 v[50:51], v[12:13], v[44:45]
	s_delay_alu instid0(VALU_DEP_2) | instskip(NEXT) | instid1(VALU_DEP_2)
	v_cvt_f32_f64_e32 v48, v[48:49]
	v_cvt_f32_f64_e32 v50, v[50:51]
	s_delay_alu instid0(VALU_DEP_1) | instskip(SKIP_2) | instid1(VALU_DEP_2)
	v_min3_f32 v93, v50, v48, v93
	v_add_f64 v[48:49], v[10:11], v[46:47]
	v_add_f64 v[50:51], v[8:9], v[44:45]
	v_cvt_f32_f64_e32 v48, v[48:49]
	s_delay_alu instid0(VALU_DEP_2) | instskip(NEXT) | instid1(VALU_DEP_1)
	v_cvt_f32_f64_e32 v50, v[50:51]
	v_min3_f32 v92, v50, v48, v92
	v_add_f64 v[48:49], v[6:7], v[46:47]
	v_add_f64 v[50:51], v[4:5], v[44:45]
	;; [unrolled: 1-line block ×4, first 2 shown]
	s_delay_alu instid0(VALU_DEP_4) | instskip(NEXT) | instid1(VALU_DEP_4)
	v_cvt_f32_f64_e32 v48, v[48:49]
	v_cvt_f32_f64_e32 v50, v[50:51]
	s_delay_alu instid0(VALU_DEP_3) | instskip(SKIP_3) | instid1(VALU_DEP_4)
	v_cvt_f32_f64_e32 v44, v[44:45]
	v_cvt_f32_f64_e32 v45, v[46:47]
	s_waitcnt lgkmcnt(2)
	v_add_f64 v[46:47], v[32:33], v[40:41]
	v_min3_f32 v91, v50, v48, v91
	s_delay_alu instid0(VALU_DEP_3) | instskip(SKIP_1) | instid1(VALU_DEP_4)
	v_min3_f32 v90, v44, v45, v90
	v_add_f64 v[44:45], v[34:35], v[42:43]
	v_cvt_f32_f64_e32 v46, v[46:47]
	s_delay_alu instid0(VALU_DEP_2) | instskip(NEXT) | instid1(VALU_DEP_1)
	v_cvt_f32_f64_e32 v44, v[44:45]
	v_min3_f32 v89, v46, v44, v89
	v_add_f64 v[44:45], v[30:31], v[42:43]
	v_add_f64 v[46:47], v[28:29], v[40:41]
	s_delay_alu instid0(VALU_DEP_2) | instskip(NEXT) | instid1(VALU_DEP_2)
	v_cvt_f32_f64_e32 v44, v[44:45]
	v_cvt_f32_f64_e32 v46, v[46:47]
	s_delay_alu instid0(VALU_DEP_1) | instskip(SKIP_2) | instid1(VALU_DEP_2)
	v_min3_f32 v88, v46, v44, v88
	v_add_f64 v[44:45], v[26:27], v[42:43]
	v_add_f64 v[46:47], v[24:25], v[40:41]
	v_cvt_f32_f64_e32 v44, v[44:45]
	s_delay_alu instid0(VALU_DEP_2) | instskip(NEXT) | instid1(VALU_DEP_1)
	v_cvt_f32_f64_e32 v46, v[46:47]
	v_min3_f32 v87, v46, v44, v87
	v_add_f64 v[44:45], v[22:23], v[42:43]
	v_add_f64 v[46:47], v[20:21], v[40:41]
	s_delay_alu instid0(VALU_DEP_2) | instskip(NEXT) | instid1(VALU_DEP_2)
	v_cvt_f32_f64_e32 v44, v[44:45]
	v_cvt_f32_f64_e32 v46, v[46:47]
	s_delay_alu instid0(VALU_DEP_1) | instskip(SKIP_2) | instid1(VALU_DEP_2)
	v_min3_f32 v86, v46, v44, v86
	v_add_f64 v[44:45], v[14:15], v[42:43]
	v_add_f64 v[46:47], v[12:13], v[40:41]
	v_cvt_f32_f64_e32 v44, v[44:45]
	s_delay_alu instid0(VALU_DEP_2) | instskip(NEXT) | instid1(VALU_DEP_1)
	v_cvt_f32_f64_e32 v46, v[46:47]
	v_min3_f32 v85, v46, v44, v85
	v_add_f64 v[44:45], v[10:11], v[42:43]
	v_add_f64 v[46:47], v[8:9], v[40:41]
	s_delay_alu instid0(VALU_DEP_2) | instskip(NEXT) | instid1(VALU_DEP_2)
	v_cvt_f32_f64_e32 v44, v[44:45]
	v_cvt_f32_f64_e32 v46, v[46:47]
	s_delay_alu instid0(VALU_DEP_1) | instskip(SKIP_4) | instid1(VALU_DEP_4)
	v_min3_f32 v84, v46, v44, v84
	v_add_f64 v[44:45], v[6:7], v[42:43]
	v_add_f64 v[46:47], v[4:5], v[40:41]
	;; [unrolled: 1-line block ×4, first 2 shown]
	v_cvt_f32_f64_e32 v44, v[44:45]
	s_delay_alu instid0(VALU_DEP_4) | instskip(NEXT) | instid1(VALU_DEP_3)
	v_cvt_f32_f64_e32 v46, v[46:47]
	v_cvt_f32_f64_e32 v40, v[40:41]
	;; [unrolled: 1-line block ×3, first 2 shown]
	s_waitcnt lgkmcnt(1)
	v_add_f64 v[42:43], v[32:33], v[36:37]
	s_waitcnt lgkmcnt(0)
	v_add_f64 v[32:33], v[32:33], v[16:17]
	v_min3_f32 v83, v46, v44, v83
	s_delay_alu instid0(VALU_DEP_4) | instskip(SKIP_4) | instid1(VALU_DEP_4)
	v_min3_f32 v82, v40, v41, v82
	v_add_f64 v[40:41], v[34:35], v[38:39]
	v_cvt_f32_f64_e32 v42, v[42:43]
	v_add_f64 v[34:35], v[34:35], v[18:19]
	v_cvt_f32_f64_e32 v32, v[32:33]
	v_cvt_f32_f64_e32 v40, v[40:41]
	s_delay_alu instid0(VALU_DEP_3) | instskip(NEXT) | instid1(VALU_DEP_2)
	v_cvt_f32_f64_e32 v33, v[34:35]
	v_min3_f32 v81, v42, v40, v81
	v_add_f64 v[40:41], v[30:31], v[38:39]
	v_add_f64 v[42:43], v[28:29], v[36:37]
	v_add_f64 v[30:31], v[30:31], v[18:19]
	v_add_f64 v[28:29], v[28:29], v[16:17]
	v_min3_f32 v73, v32, v33, v73
	v_cvt_f32_f64_e32 v40, v[40:41]
	v_cvt_f32_f64_e32 v42, v[42:43]
	s_delay_alu instid0(VALU_DEP_4) | instskip(SKIP_1) | instid1(VALU_DEP_3)
	v_cvt_f32_f64_e32 v28, v[28:29]
	v_cvt_f32_f64_e32 v29, v[30:31]
	v_min3_f32 v80, v42, v40, v80
	v_add_f64 v[40:41], v[26:27], v[38:39]
	v_add_f64 v[42:43], v[24:25], v[36:37]
	v_add_f64 v[26:27], v[26:27], v[18:19]
	v_add_f64 v[24:25], v[24:25], v[16:17]
	v_min3_f32 v72, v28, v29, v72
	v_cvt_f32_f64_e32 v40, v[40:41]
	v_cvt_f32_f64_e32 v42, v[42:43]
	s_delay_alu instid0(VALU_DEP_4) | instskip(SKIP_1) | instid1(VALU_DEP_3)
	v_cvt_f32_f64_e32 v24, v[24:25]
	;; [unrolled: 11-line block ×5, first 2 shown]
	v_cvt_f32_f64_e32 v9, v[10:11]
	v_min3_f32 v76, v42, v40, v76
	v_add_f64 v[40:41], v[6:7], v[38:39]
	v_add_f64 v[42:43], v[4:5], v[36:37]
	;; [unrolled: 1-line block ×8, first 2 shown]
	v_min3_f32 v68, v8, v9, v68
	v_cvt_f32_f64_e32 v40, v[40:41]
	v_cvt_f32_f64_e32 v42, v[42:43]
	;; [unrolled: 1-line block ×8, first 2 shown]
	v_min3_f32 v75, v42, v40, v75
	v_min3_f32 v74, v36, v37, v74
	;; [unrolled: 1-line block ×3, first 2 shown]
	s_delay_alu instid0(VALU_DEP_4)
	v_min3_f32 v66, v0, v1, v66
	s_cbranch_vccz .LBB172_29
; %bb.30:
	v_lshlrev_b32_e32 v0, 5, v135
	s_mov_b32 s33, 8
	s_cmp_gt_i32 s18, 8
	s_delay_alu instid0(VALU_DEP_1)
	v_lshl_add_u32 v0, v132, 3, v0
	ds_store_b64 v0, v[56:57] offset:18432
	ds_store_2addr_stride64_b64 v0, v[58:59], v[60:61] offset0:16 offset1:20
	ds_store_2addr_stride64_b64 v0, v[62:63], v[64:65] offset0:24 offset1:28
	s_waitcnt lgkmcnt(0)
	s_barrier
	buffer_gl0_inv
	s_cbranch_scc0 .LBB172_57
; %bb.31:
	v_lshlrev_b64 v[1:2], 3, v[52:53]
	v_lshlrev_b64 v[52:53], 3, v[54:55]
	v_add_nc_u32_e32 v64, 0x4800, v0
	v_or_b32_e32 v65, 0x2000, v0
	s_mov_b32 s8, -1
	s_mov_b32 s9, 0x7fefffff
	v_add_co_u32 v135, vcc_lo, s26, v1
	v_add_co_ci_u32_e32 v136, vcc_lo, s27, v2, vcc_lo
	s_add_i32 s26, s18, -8
	s_mov_b32 s27, 0
.LBB172_32:                             ; =>This Loop Header: Depth=1
                                        ;     Child Loop BB172_43 Depth 2
                                        ;     Child Loop BB172_55 Depth 2
	v_dual_mov_b32 v55, s9 :: v_dual_add_nc_u32 v0, s33, v132
	v_mov_b32_e32 v54, s8
	s_delay_alu instid0(VALU_DEP_2) | instskip(SKIP_1) | instid1(SALU_CYCLE_1)
	v_cmp_le_i32_e32 vcc_lo, s18, v0
	s_or_b32 s7, s2, vcc_lo
	s_xor_b32 s7, s7, -1
	s_delay_alu instid0(SALU_CYCLE_1)
	s_and_saveexec_b32 s34, s7
	s_cbranch_execz .LBB172_34
; %bb.33:                               ;   in Loop: Header=BB172_32 Depth=1
	v_mad_u64_u32 v[1:2], null, v0, s20, 0
	s_delay_alu instid0(VALU_DEP_1) | instskip(NEXT) | instid1(VALU_DEP_1)
	v_mad_u64_u32 v[3:4], null, v0, s21, v[2:3]
	v_mov_b32_e32 v2, v3
	s_delay_alu instid0(VALU_DEP_1) | instskip(NEXT) | instid1(VALU_DEP_1)
	v_lshlrev_b64 v[1:2], 3, v[1:2]
	v_add_co_u32 v1, s7, v135, v1
	s_delay_alu instid0(VALU_DEP_1)
	v_add_co_ci_u32_e64 v2, s7, v136, v2, s7
	flat_load_b64 v[54:55], v[1:2]
.LBB172_34:                             ;   in Loop: Header=BB172_32 Depth=1
	s_or_b32 exec_lo, exec_lo, s34
	v_mad_u64_u32 v[1:2], null, v0, s30, 0
	v_dual_mov_b32 v57, s9 :: v_dual_mov_b32 v56, s8
	s_delay_alu instid0(VALU_DEP_2) | instskip(NEXT) | instid1(VALU_DEP_1)
	v_mad_u64_u32 v[3:4], null, v0, s31, v[2:3]
	v_mov_b32_e32 v2, v3
	s_delay_alu instid0(VALU_DEP_1) | instskip(NEXT) | instid1(VALU_DEP_1)
	v_lshlrev_b64 v[0:1], 3, v[1:2]
	v_add_co_u32 v0, s7, s24, v0
	s_delay_alu instid0(VALU_DEP_1) | instskip(SKIP_1) | instid1(SALU_CYCLE_1)
	v_add_co_ci_u32_e64 v1, s7, s25, v1, s7
	s_or_b32 s7, s3, vcc_lo
	s_xor_b32 s7, s7, -1
	s_delay_alu instid0(SALU_CYCLE_1)
	s_and_saveexec_b32 s34, s7
	s_cbranch_execz .LBB172_36
; %bb.35:                               ;   in Loop: Header=BB172_32 Depth=1
	v_add_co_u32 v2, s7, v0, v52
	s_delay_alu instid0(VALU_DEP_1)
	v_add_co_ci_u32_e64 v3, s7, v1, v53, s7
	flat_load_b64 v[56:57], v[2:3]
.LBB172_36:                             ;   in Loop: Header=BB172_32 Depth=1
	s_or_b32 exec_lo, exec_lo, s34
	v_dual_mov_b32 v59, s9 :: v_dual_mov_b32 v58, s8
	s_or_b32 s7, s4, vcc_lo
	s_delay_alu instid0(SALU_CYCLE_1) | instskip(NEXT) | instid1(SALU_CYCLE_1)
	s_xor_b32 s7, s7, -1
	s_and_saveexec_b32 s34, s7
	s_cbranch_execz .LBB172_38
; %bb.37:                               ;   in Loop: Header=BB172_32 Depth=1
	v_add_co_u32 v2, s7, v0, v52
	s_delay_alu instid0(VALU_DEP_1)
	v_add_co_ci_u32_e64 v3, s7, v1, v53, s7
	flat_load_b64 v[58:59], v[2:3] offset:512
.LBB172_38:                             ;   in Loop: Header=BB172_32 Depth=1
	s_or_b32 exec_lo, exec_lo, s34
	v_dual_mov_b32 v61, s9 :: v_dual_mov_b32 v60, s8
	s_or_b32 s7, s5, vcc_lo
	s_delay_alu instid0(SALU_CYCLE_1) | instskip(NEXT) | instid1(SALU_CYCLE_1)
	s_xor_b32 s7, s7, -1
	s_and_saveexec_b32 s34, s7
	s_cbranch_execz .LBB172_40
; %bb.39:                               ;   in Loop: Header=BB172_32 Depth=1
	v_add_co_u32 v2, s7, v0, v52
	s_delay_alu instid0(VALU_DEP_1)
	v_add_co_ci_u32_e64 v3, s7, v1, v53, s7
	flat_load_b64 v[60:61], v[2:3] offset:1024
.LBB172_40:                             ;   in Loop: Header=BB172_32 Depth=1
	s_or_b32 exec_lo, exec_lo, s34
	v_dual_mov_b32 v63, s9 :: v_dual_mov_b32 v62, s8
	s_or_b32 s7, s6, vcc_lo
	s_delay_alu instid0(SALU_CYCLE_1) | instskip(NEXT) | instid1(SALU_CYCLE_1)
	s_xor_b32 s34, s7, -1
	s_and_saveexec_b32 s7, s34
	s_cbranch_execz .LBB172_42
; %bb.41:                               ;   in Loop: Header=BB172_32 Depth=1
	v_add_co_u32 v0, vcc_lo, v0, v52
	v_add_co_ci_u32_e32 v1, vcc_lo, v1, v53, vcc_lo
	flat_load_b64 v[62:63], v[0:1] offset:1536
.LBB172_42:                             ;   in Loop: Header=BB172_32 Depth=1
	s_or_b32 exec_lo, exec_lo, s7
	s_mov_b32 s34, 0
	s_mov_b32 s7, -1
.LBB172_43:                             ;   Parent Loop BB172_32 Depth=1
                                        ; =>  This Inner Loop Header: Depth=2
	s_lshl_b32 s34, s34, 3
	s_and_not1_b32 vcc_lo, exec_lo, s7
	v_lshl_add_u32 v0, v122, 5, s34
	v_lshl_add_u32 v16, v123, 5, s34
	s_mov_b32 s34, 2
	s_mov_b32 s7, 0
	ds_load_b128 v[32:35], v0 offset:18432
	ds_load_b128 v[28:31], v0 offset:18688
	;; [unrolled: 1-line block ×16, first 2 shown]
	s_waitcnt lgkmcnt(7)
	v_add_f64 v[149:150], v[34:35], v[139:140]
	v_add_f64 v[151:152], v[32:33], v[137:138]
	s_delay_alu instid0(VALU_DEP_2) | instskip(NEXT) | instid1(VALU_DEP_2)
	v_cvt_f32_f64_e32 v149, v[149:150]
	v_cvt_f32_f64_e32 v151, v[151:152]
	s_delay_alu instid0(VALU_DEP_1) | instskip(SKIP_2) | instid1(VALU_DEP_2)
	v_min3_f32 v131, v151, v149, v131
	v_add_f64 v[149:150], v[30:31], v[139:140]
	v_add_f64 v[151:152], v[28:29], v[137:138]
	v_cvt_f32_f64_e32 v149, v[149:150]
	s_delay_alu instid0(VALU_DEP_2) | instskip(NEXT) | instid1(VALU_DEP_1)
	v_cvt_f32_f64_e32 v151, v[151:152]
	v_min3_f32 v130, v151, v149, v130
	v_add_f64 v[149:150], v[26:27], v[139:140]
	v_add_f64 v[151:152], v[24:25], v[137:138]
	s_delay_alu instid0(VALU_DEP_2) | instskip(NEXT) | instid1(VALU_DEP_2)
	v_cvt_f32_f64_e32 v149, v[149:150]
	v_cvt_f32_f64_e32 v151, v[151:152]
	s_delay_alu instid0(VALU_DEP_1) | instskip(SKIP_2) | instid1(VALU_DEP_2)
	v_min3_f32 v129, v151, v149, v129
	v_add_f64 v[149:150], v[22:23], v[139:140]
	v_add_f64 v[151:152], v[20:21], v[137:138]
	v_cvt_f32_f64_e32 v149, v[149:150]
	s_delay_alu instid0(VALU_DEP_2) | instskip(NEXT) | instid1(VALU_DEP_1)
	v_cvt_f32_f64_e32 v151, v[151:152]
	v_min3_f32 v128, v151, v149, v128
	v_add_f64 v[149:150], v[14:15], v[139:140]
	v_add_f64 v[151:152], v[12:13], v[137:138]
	s_delay_alu instid0(VALU_DEP_2) | instskip(NEXT) | instid1(VALU_DEP_2)
	v_cvt_f32_f64_e32 v149, v[149:150]
	v_cvt_f32_f64_e32 v151, v[151:152]
	s_delay_alu instid0(VALU_DEP_1) | instskip(SKIP_2) | instid1(VALU_DEP_2)
	v_min3_f32 v127, v151, v149, v127
	v_add_f64 v[149:150], v[10:11], v[139:140]
	v_add_f64 v[151:152], v[8:9], v[137:138]
	v_cvt_f32_f64_e32 v149, v[149:150]
	s_delay_alu instid0(VALU_DEP_2) | instskip(NEXT) | instid1(VALU_DEP_1)
	v_cvt_f32_f64_e32 v151, v[151:152]
	v_min3_f32 v126, v151, v149, v126
	v_add_f64 v[149:150], v[6:7], v[139:140]
	v_add_f64 v[151:152], v[4:5], v[137:138]
	;; [unrolled: 1-line block ×4, first 2 shown]
	s_delay_alu instid0(VALU_DEP_4) | instskip(NEXT) | instid1(VALU_DEP_4)
	v_cvt_f32_f64_e32 v149, v[149:150]
	v_cvt_f32_f64_e32 v151, v[151:152]
	s_delay_alu instid0(VALU_DEP_3) | instskip(SKIP_3) | instid1(VALU_DEP_4)
	v_cvt_f32_f64_e32 v137, v[137:138]
	v_cvt_f32_f64_e32 v138, v[139:140]
	s_waitcnt lgkmcnt(6)
	v_add_f64 v[139:140], v[32:33], v[141:142]
	v_min3_f32 v125, v151, v149, v125
	s_delay_alu instid0(VALU_DEP_3) | instskip(SKIP_1) | instid1(VALU_DEP_4)
	v_min3_f32 v124, v137, v138, v124
	v_add_f64 v[137:138], v[34:35], v[143:144]
	v_cvt_f32_f64_e32 v139, v[139:140]
	s_delay_alu instid0(VALU_DEP_2) | instskip(NEXT) | instid1(VALU_DEP_1)
	v_cvt_f32_f64_e32 v137, v[137:138]
	v_min3_f32 v121, v139, v137, v121
	v_add_f64 v[137:138], v[30:31], v[143:144]
	v_add_f64 v[139:140], v[28:29], v[141:142]
	s_delay_alu instid0(VALU_DEP_2) | instskip(NEXT) | instid1(VALU_DEP_2)
	v_cvt_f32_f64_e32 v137, v[137:138]
	v_cvt_f32_f64_e32 v139, v[139:140]
	s_delay_alu instid0(VALU_DEP_1) | instskip(SKIP_2) | instid1(VALU_DEP_2)
	v_min3_f32 v120, v139, v137, v120
	v_add_f64 v[137:138], v[26:27], v[143:144]
	v_add_f64 v[139:140], v[24:25], v[141:142]
	v_cvt_f32_f64_e32 v137, v[137:138]
	s_delay_alu instid0(VALU_DEP_2) | instskip(NEXT) | instid1(VALU_DEP_1)
	v_cvt_f32_f64_e32 v139, v[139:140]
	v_min3_f32 v119, v139, v137, v119
	v_add_f64 v[137:138], v[22:23], v[143:144]
	v_add_f64 v[139:140], v[20:21], v[141:142]
	s_delay_alu instid0(VALU_DEP_2) | instskip(NEXT) | instid1(VALU_DEP_2)
	v_cvt_f32_f64_e32 v137, v[137:138]
	v_cvt_f32_f64_e32 v139, v[139:140]
	s_delay_alu instid0(VALU_DEP_1) | instskip(SKIP_2) | instid1(VALU_DEP_2)
	v_min3_f32 v118, v139, v137, v118
	v_add_f64 v[137:138], v[14:15], v[143:144]
	;; [unrolled: 13-line block ×3, first 2 shown]
	v_add_f64 v[139:140], v[4:5], v[141:142]
	v_cvt_f32_f64_e32 v137, v[137:138]
	s_delay_alu instid0(VALU_DEP_2) | instskip(NEXT) | instid1(VALU_DEP_1)
	v_cvt_f32_f64_e32 v139, v[139:140]
	v_min3_f32 v115, v139, v137, v115
	v_add_f64 v[137:138], v[2:3], v[143:144]
	v_add_f64 v[139:140], v[0:1], v[141:142]
	s_delay_alu instid0(VALU_DEP_2) | instskip(NEXT) | instid1(VALU_DEP_2)
	v_cvt_f32_f64_e32 v137, v[137:138]
	v_cvt_f32_f64_e32 v139, v[139:140]
	s_delay_alu instid0(VALU_DEP_1) | instskip(SKIP_3) | instid1(VALU_DEP_2)
	v_min3_f32 v114, v139, v137, v114
	s_waitcnt lgkmcnt(5)
	v_add_f64 v[137:138], v[34:35], v[147:148]
	v_add_f64 v[139:140], v[32:33], v[145:146]
	v_cvt_f32_f64_e32 v137, v[137:138]
	s_delay_alu instid0(VALU_DEP_2) | instskip(NEXT) | instid1(VALU_DEP_1)
	v_cvt_f32_f64_e32 v139, v[139:140]
	v_min3_f32 v113, v139, v137, v113
	v_add_f64 v[137:138], v[30:31], v[147:148]
	v_add_f64 v[139:140], v[28:29], v[145:146]
	s_delay_alu instid0(VALU_DEP_2) | instskip(NEXT) | instid1(VALU_DEP_2)
	v_cvt_f32_f64_e32 v137, v[137:138]
	v_cvt_f32_f64_e32 v139, v[139:140]
	s_delay_alu instid0(VALU_DEP_1) | instskip(SKIP_2) | instid1(VALU_DEP_2)
	v_min3_f32 v112, v139, v137, v112
	v_add_f64 v[137:138], v[26:27], v[147:148]
	v_add_f64 v[139:140], v[24:25], v[145:146]
	v_cvt_f32_f64_e32 v137, v[137:138]
	s_delay_alu instid0(VALU_DEP_2) | instskip(NEXT) | instid1(VALU_DEP_1)
	v_cvt_f32_f64_e32 v139, v[139:140]
	v_min3_f32 v111, v139, v137, v111
	v_add_f64 v[137:138], v[22:23], v[147:148]
	v_add_f64 v[139:140], v[20:21], v[145:146]
	s_delay_alu instid0(VALU_DEP_2) | instskip(NEXT) | instid1(VALU_DEP_2)
	v_cvt_f32_f64_e32 v137, v[137:138]
	v_cvt_f32_f64_e32 v139, v[139:140]
	s_delay_alu instid0(VALU_DEP_1) | instskip(SKIP_2) | instid1(VALU_DEP_2)
	v_min3_f32 v110, v139, v137, v110
	;; [unrolled: 13-line block ×3, first 2 shown]
	v_add_f64 v[137:138], v[6:7], v[147:148]
	v_add_f64 v[139:140], v[4:5], v[145:146]
	v_cvt_f32_f64_e32 v137, v[137:138]
	s_delay_alu instid0(VALU_DEP_2) | instskip(NEXT) | instid1(VALU_DEP_1)
	v_cvt_f32_f64_e32 v139, v[139:140]
	v_min3_f32 v107, v139, v137, v107
	v_add_f64 v[137:138], v[2:3], v[147:148]
	v_add_f64 v[139:140], v[0:1], v[145:146]
	s_delay_alu instid0(VALU_DEP_2) | instskip(NEXT) | instid1(VALU_DEP_2)
	v_cvt_f32_f64_e32 v137, v[137:138]
	v_cvt_f32_f64_e32 v139, v[139:140]
	s_delay_alu instid0(VALU_DEP_1) | instskip(SKIP_3) | instid1(VALU_DEP_2)
	v_min3_f32 v106, v139, v137, v106
	s_waitcnt lgkmcnt(4)
	v_add_f64 v[137:138], v[34:35], v[50:51]
	v_add_f64 v[139:140], v[32:33], v[48:49]
	v_cvt_f32_f64_e32 v137, v[137:138]
	s_delay_alu instid0(VALU_DEP_2) | instskip(NEXT) | instid1(VALU_DEP_1)
	v_cvt_f32_f64_e32 v139, v[139:140]
	v_min3_f32 v105, v139, v137, v105
	v_add_f64 v[137:138], v[30:31], v[50:51]
	v_add_f64 v[139:140], v[28:29], v[48:49]
	s_delay_alu instid0(VALU_DEP_2) | instskip(NEXT) | instid1(VALU_DEP_2)
	v_cvt_f32_f64_e32 v137, v[137:138]
	v_cvt_f32_f64_e32 v139, v[139:140]
	s_delay_alu instid0(VALU_DEP_1) | instskip(SKIP_2) | instid1(VALU_DEP_2)
	v_min3_f32 v104, v139, v137, v104
	v_add_f64 v[137:138], v[26:27], v[50:51]
	v_add_f64 v[139:140], v[24:25], v[48:49]
	v_cvt_f32_f64_e32 v137, v[137:138]
	s_delay_alu instid0(VALU_DEP_2) | instskip(NEXT) | instid1(VALU_DEP_1)
	v_cvt_f32_f64_e32 v139, v[139:140]
	v_min3_f32 v103, v139, v137, v103
	v_add_f64 v[137:138], v[22:23], v[50:51]
	v_add_f64 v[139:140], v[20:21], v[48:49]
	s_delay_alu instid0(VALU_DEP_2) | instskip(NEXT) | instid1(VALU_DEP_2)
	v_cvt_f32_f64_e32 v137, v[137:138]
	v_cvt_f32_f64_e32 v139, v[139:140]
	s_delay_alu instid0(VALU_DEP_1) | instskip(SKIP_2) | instid1(VALU_DEP_2)
	v_min3_f32 v102, v139, v137, v102
	v_add_f64 v[137:138], v[14:15], v[50:51]
	v_add_f64 v[139:140], v[12:13], v[48:49]
	v_cvt_f32_f64_e32 v137, v[137:138]
	s_delay_alu instid0(VALU_DEP_2) | instskip(NEXT) | instid1(VALU_DEP_1)
	v_cvt_f32_f64_e32 v139, v[139:140]
	v_min3_f32 v101, v139, v137, v101
	v_add_f64 v[137:138], v[10:11], v[50:51]
	v_add_f64 v[139:140], v[8:9], v[48:49]
	s_delay_alu instid0(VALU_DEP_2) | instskip(NEXT) | instid1(VALU_DEP_2)
	v_cvt_f32_f64_e32 v137, v[137:138]
	v_cvt_f32_f64_e32 v139, v[139:140]
	s_delay_alu instid0(VALU_DEP_1) | instskip(SKIP_4) | instid1(VALU_DEP_4)
	v_min3_f32 v100, v139, v137, v100
	v_add_f64 v[137:138], v[6:7], v[50:51]
	v_add_f64 v[139:140], v[4:5], v[48:49]
	;; [unrolled: 1-line block ×4, first 2 shown]
	v_cvt_f32_f64_e32 v137, v[137:138]
	s_delay_alu instid0(VALU_DEP_4) | instskip(NEXT) | instid1(VALU_DEP_3)
	v_cvt_f32_f64_e32 v139, v[139:140]
	v_cvt_f32_f64_e32 v48, v[48:49]
	;; [unrolled: 1-line block ×3, first 2 shown]
	s_waitcnt lgkmcnt(3)
	v_add_f64 v[50:51], v[32:33], v[44:45]
	s_delay_alu instid0(VALU_DEP_4) | instskip(NEXT) | instid1(VALU_DEP_3)
	v_min3_f32 v99, v139, v137, v99
	v_min3_f32 v98, v48, v49, v98
	v_add_f64 v[48:49], v[34:35], v[46:47]
	s_delay_alu instid0(VALU_DEP_4) | instskip(NEXT) | instid1(VALU_DEP_2)
	v_cvt_f32_f64_e32 v50, v[50:51]
	v_cvt_f32_f64_e32 v48, v[48:49]
	s_delay_alu instid0(VALU_DEP_1) | instskip(SKIP_2) | instid1(VALU_DEP_2)
	v_min3_f32 v97, v50, v48, v97
	v_add_f64 v[48:49], v[30:31], v[46:47]
	v_add_f64 v[50:51], v[28:29], v[44:45]
	v_cvt_f32_f64_e32 v48, v[48:49]
	s_delay_alu instid0(VALU_DEP_2) | instskip(NEXT) | instid1(VALU_DEP_1)
	v_cvt_f32_f64_e32 v50, v[50:51]
	v_min3_f32 v96, v50, v48, v96
	v_add_f64 v[48:49], v[26:27], v[46:47]
	v_add_f64 v[50:51], v[24:25], v[44:45]
	s_delay_alu instid0(VALU_DEP_2) | instskip(NEXT) | instid1(VALU_DEP_2)
	v_cvt_f32_f64_e32 v48, v[48:49]
	v_cvt_f32_f64_e32 v50, v[50:51]
	s_delay_alu instid0(VALU_DEP_1) | instskip(SKIP_2) | instid1(VALU_DEP_2)
	v_min3_f32 v95, v50, v48, v95
	v_add_f64 v[48:49], v[22:23], v[46:47]
	v_add_f64 v[50:51], v[20:21], v[44:45]
	v_cvt_f32_f64_e32 v48, v[48:49]
	s_delay_alu instid0(VALU_DEP_2) | instskip(NEXT) | instid1(VALU_DEP_1)
	v_cvt_f32_f64_e32 v50, v[50:51]
	v_min3_f32 v94, v50, v48, v94
	v_add_f64 v[48:49], v[14:15], v[46:47]
	v_add_f64 v[50:51], v[12:13], v[44:45]
	s_delay_alu instid0(VALU_DEP_2) | instskip(NEXT) | instid1(VALU_DEP_2)
	v_cvt_f32_f64_e32 v48, v[48:49]
	v_cvt_f32_f64_e32 v50, v[50:51]
	s_delay_alu instid0(VALU_DEP_1) | instskip(SKIP_2) | instid1(VALU_DEP_2)
	v_min3_f32 v93, v50, v48, v93
	v_add_f64 v[48:49], v[10:11], v[46:47]
	v_add_f64 v[50:51], v[8:9], v[44:45]
	v_cvt_f32_f64_e32 v48, v[48:49]
	s_delay_alu instid0(VALU_DEP_2) | instskip(NEXT) | instid1(VALU_DEP_1)
	v_cvt_f32_f64_e32 v50, v[50:51]
	v_min3_f32 v92, v50, v48, v92
	v_add_f64 v[48:49], v[6:7], v[46:47]
	v_add_f64 v[50:51], v[4:5], v[44:45]
	;; [unrolled: 1-line block ×4, first 2 shown]
	s_delay_alu instid0(VALU_DEP_4) | instskip(NEXT) | instid1(VALU_DEP_4)
	v_cvt_f32_f64_e32 v48, v[48:49]
	v_cvt_f32_f64_e32 v50, v[50:51]
	s_delay_alu instid0(VALU_DEP_3) | instskip(SKIP_3) | instid1(VALU_DEP_4)
	v_cvt_f32_f64_e32 v44, v[44:45]
	v_cvt_f32_f64_e32 v45, v[46:47]
	s_waitcnt lgkmcnt(2)
	v_add_f64 v[46:47], v[32:33], v[40:41]
	v_min3_f32 v91, v50, v48, v91
	s_delay_alu instid0(VALU_DEP_3) | instskip(SKIP_1) | instid1(VALU_DEP_4)
	v_min3_f32 v90, v44, v45, v90
	v_add_f64 v[44:45], v[34:35], v[42:43]
	v_cvt_f32_f64_e32 v46, v[46:47]
	s_delay_alu instid0(VALU_DEP_2) | instskip(NEXT) | instid1(VALU_DEP_1)
	v_cvt_f32_f64_e32 v44, v[44:45]
	v_min3_f32 v89, v46, v44, v89
	v_add_f64 v[44:45], v[30:31], v[42:43]
	v_add_f64 v[46:47], v[28:29], v[40:41]
	s_delay_alu instid0(VALU_DEP_2) | instskip(NEXT) | instid1(VALU_DEP_2)
	v_cvt_f32_f64_e32 v44, v[44:45]
	v_cvt_f32_f64_e32 v46, v[46:47]
	s_delay_alu instid0(VALU_DEP_1) | instskip(SKIP_2) | instid1(VALU_DEP_2)
	v_min3_f32 v88, v46, v44, v88
	v_add_f64 v[44:45], v[26:27], v[42:43]
	v_add_f64 v[46:47], v[24:25], v[40:41]
	v_cvt_f32_f64_e32 v44, v[44:45]
	s_delay_alu instid0(VALU_DEP_2) | instskip(NEXT) | instid1(VALU_DEP_1)
	v_cvt_f32_f64_e32 v46, v[46:47]
	v_min3_f32 v87, v46, v44, v87
	v_add_f64 v[44:45], v[22:23], v[42:43]
	v_add_f64 v[46:47], v[20:21], v[40:41]
	s_delay_alu instid0(VALU_DEP_2) | instskip(NEXT) | instid1(VALU_DEP_2)
	v_cvt_f32_f64_e32 v44, v[44:45]
	v_cvt_f32_f64_e32 v46, v[46:47]
	s_delay_alu instid0(VALU_DEP_1) | instskip(SKIP_2) | instid1(VALU_DEP_2)
	v_min3_f32 v86, v46, v44, v86
	v_add_f64 v[44:45], v[14:15], v[42:43]
	v_add_f64 v[46:47], v[12:13], v[40:41]
	v_cvt_f32_f64_e32 v44, v[44:45]
	s_delay_alu instid0(VALU_DEP_2) | instskip(NEXT) | instid1(VALU_DEP_1)
	v_cvt_f32_f64_e32 v46, v[46:47]
	v_min3_f32 v85, v46, v44, v85
	v_add_f64 v[44:45], v[10:11], v[42:43]
	v_add_f64 v[46:47], v[8:9], v[40:41]
	s_delay_alu instid0(VALU_DEP_2) | instskip(NEXT) | instid1(VALU_DEP_2)
	v_cvt_f32_f64_e32 v44, v[44:45]
	v_cvt_f32_f64_e32 v46, v[46:47]
	s_delay_alu instid0(VALU_DEP_1) | instskip(SKIP_4) | instid1(VALU_DEP_4)
	v_min3_f32 v84, v46, v44, v84
	v_add_f64 v[44:45], v[6:7], v[42:43]
	v_add_f64 v[46:47], v[4:5], v[40:41]
	;; [unrolled: 1-line block ×4, first 2 shown]
	v_cvt_f32_f64_e32 v44, v[44:45]
	s_delay_alu instid0(VALU_DEP_4) | instskip(NEXT) | instid1(VALU_DEP_3)
	v_cvt_f32_f64_e32 v46, v[46:47]
	v_cvt_f32_f64_e32 v40, v[40:41]
	;; [unrolled: 1-line block ×3, first 2 shown]
	s_waitcnt lgkmcnt(1)
	v_add_f64 v[42:43], v[32:33], v[36:37]
	s_waitcnt lgkmcnt(0)
	v_add_f64 v[32:33], v[32:33], v[16:17]
	v_min3_f32 v83, v46, v44, v83
	s_delay_alu instid0(VALU_DEP_4) | instskip(SKIP_4) | instid1(VALU_DEP_4)
	v_min3_f32 v82, v40, v41, v82
	v_add_f64 v[40:41], v[34:35], v[38:39]
	v_cvt_f32_f64_e32 v42, v[42:43]
	v_add_f64 v[34:35], v[34:35], v[18:19]
	v_cvt_f32_f64_e32 v32, v[32:33]
	v_cvt_f32_f64_e32 v40, v[40:41]
	s_delay_alu instid0(VALU_DEP_3) | instskip(NEXT) | instid1(VALU_DEP_2)
	v_cvt_f32_f64_e32 v33, v[34:35]
	v_min3_f32 v81, v42, v40, v81
	v_add_f64 v[40:41], v[30:31], v[38:39]
	v_add_f64 v[42:43], v[28:29], v[36:37]
	v_add_f64 v[30:31], v[30:31], v[18:19]
	v_add_f64 v[28:29], v[28:29], v[16:17]
	v_min3_f32 v73, v32, v33, v73
	v_cvt_f32_f64_e32 v40, v[40:41]
	v_cvt_f32_f64_e32 v42, v[42:43]
	s_delay_alu instid0(VALU_DEP_4) | instskip(SKIP_1) | instid1(VALU_DEP_3)
	v_cvt_f32_f64_e32 v28, v[28:29]
	v_cvt_f32_f64_e32 v29, v[30:31]
	v_min3_f32 v80, v42, v40, v80
	v_add_f64 v[40:41], v[26:27], v[38:39]
	v_add_f64 v[42:43], v[24:25], v[36:37]
	v_add_f64 v[26:27], v[26:27], v[18:19]
	v_add_f64 v[24:25], v[24:25], v[16:17]
	v_min3_f32 v72, v28, v29, v72
	v_cvt_f32_f64_e32 v40, v[40:41]
	v_cvt_f32_f64_e32 v42, v[42:43]
	s_delay_alu instid0(VALU_DEP_4) | instskip(SKIP_1) | instid1(VALU_DEP_3)
	v_cvt_f32_f64_e32 v24, v[24:25]
	;; [unrolled: 11-line block ×5, first 2 shown]
	v_cvt_f32_f64_e32 v9, v[10:11]
	v_min3_f32 v76, v42, v40, v76
	v_add_f64 v[40:41], v[6:7], v[38:39]
	v_add_f64 v[42:43], v[4:5], v[36:37]
	;; [unrolled: 1-line block ×8, first 2 shown]
	v_min3_f32 v68, v8, v9, v68
	v_cvt_f32_f64_e32 v40, v[40:41]
	v_cvt_f32_f64_e32 v42, v[42:43]
	;; [unrolled: 1-line block ×8, first 2 shown]
	v_min3_f32 v75, v42, v40, v75
	v_min3_f32 v74, v36, v37, v74
	;; [unrolled: 1-line block ×3, first 2 shown]
	s_delay_alu instid0(VALU_DEP_4)
	v_min3_f32 v66, v0, v1, v66
	s_cbranch_vccz .LBB172_43
; %bb.44:                               ;   in Loop: Header=BB172_32 Depth=1
	v_add3_u32 v0, v132, s33, 4
	s_waitcnt vmcnt(0)
	ds_store_b64 v134, v[54:55]
	v_dual_mov_b32 v55, s9 :: v_dual_mov_b32 v54, s8
	ds_store_2addr_stride64_b64 v133, v[56:57], v[58:59] offset1:4
	ds_store_2addr_stride64_b64 v133, v[60:61], v[62:63] offset0:8 offset1:12
	v_cmp_le_i32_e32 vcc_lo, s18, v0
	s_waitcnt lgkmcnt(0)
	s_barrier
	buffer_gl0_inv
	s_or_b32 s7, s2, vcc_lo
	s_delay_alu instid0(SALU_CYCLE_1) | instskip(NEXT) | instid1(SALU_CYCLE_1)
	s_xor_b32 s7, s7, -1
	s_and_saveexec_b32 s34, s7
	s_cbranch_execz .LBB172_46
; %bb.45:                               ;   in Loop: Header=BB172_32 Depth=1
	v_mad_u64_u32 v[1:2], null, v0, s20, 0
	s_delay_alu instid0(VALU_DEP_1) | instskip(NEXT) | instid1(VALU_DEP_1)
	v_mad_u64_u32 v[3:4], null, v0, s21, v[2:3]
	v_mov_b32_e32 v2, v3
	s_delay_alu instid0(VALU_DEP_1) | instskip(NEXT) | instid1(VALU_DEP_1)
	v_lshlrev_b64 v[1:2], 3, v[1:2]
	v_add_co_u32 v1, s7, v135, v1
	s_delay_alu instid0(VALU_DEP_1)
	v_add_co_ci_u32_e64 v2, s7, v136, v2, s7
	flat_load_b64 v[54:55], v[1:2]
.LBB172_46:                             ;   in Loop: Header=BB172_32 Depth=1
	s_or_b32 exec_lo, exec_lo, s34
	v_mad_u64_u32 v[1:2], null, v0, s30, 0
	v_dual_mov_b32 v57, s9 :: v_dual_mov_b32 v56, s8
	s_delay_alu instid0(VALU_DEP_2) | instskip(NEXT) | instid1(VALU_DEP_1)
	v_mad_u64_u32 v[3:4], null, v0, s31, v[2:3]
	v_mov_b32_e32 v2, v3
	s_delay_alu instid0(VALU_DEP_1) | instskip(NEXT) | instid1(VALU_DEP_1)
	v_lshlrev_b64 v[0:1], 3, v[1:2]
	v_add_co_u32 v0, s7, s24, v0
	s_delay_alu instid0(VALU_DEP_1) | instskip(SKIP_1) | instid1(SALU_CYCLE_1)
	v_add_co_ci_u32_e64 v1, s7, s25, v1, s7
	s_or_b32 s7, s3, vcc_lo
	s_xor_b32 s7, s7, -1
	s_delay_alu instid0(SALU_CYCLE_1)
	s_and_saveexec_b32 s34, s7
	s_cbranch_execz .LBB172_48
; %bb.47:                               ;   in Loop: Header=BB172_32 Depth=1
	v_add_co_u32 v2, s7, v0, v52
	s_delay_alu instid0(VALU_DEP_1)
	v_add_co_ci_u32_e64 v3, s7, v1, v53, s7
	flat_load_b64 v[56:57], v[2:3]
.LBB172_48:                             ;   in Loop: Header=BB172_32 Depth=1
	s_or_b32 exec_lo, exec_lo, s34
	v_dual_mov_b32 v59, s9 :: v_dual_mov_b32 v58, s8
	s_or_b32 s7, s4, vcc_lo
	s_delay_alu instid0(SALU_CYCLE_1) | instskip(NEXT) | instid1(SALU_CYCLE_1)
	s_xor_b32 s7, s7, -1
	s_and_saveexec_b32 s34, s7
	s_cbranch_execz .LBB172_50
; %bb.49:                               ;   in Loop: Header=BB172_32 Depth=1
	v_add_co_u32 v2, s7, v0, v52
	s_delay_alu instid0(VALU_DEP_1)
	v_add_co_ci_u32_e64 v3, s7, v1, v53, s7
	flat_load_b64 v[58:59], v[2:3] offset:512
.LBB172_50:                             ;   in Loop: Header=BB172_32 Depth=1
	s_or_b32 exec_lo, exec_lo, s34
	v_dual_mov_b32 v61, s9 :: v_dual_mov_b32 v60, s8
	s_or_b32 s7, s5, vcc_lo
	s_delay_alu instid0(SALU_CYCLE_1) | instskip(NEXT) | instid1(SALU_CYCLE_1)
	s_xor_b32 s7, s7, -1
	s_and_saveexec_b32 s34, s7
	s_cbranch_execz .LBB172_52
; %bb.51:                               ;   in Loop: Header=BB172_32 Depth=1
	v_add_co_u32 v2, s7, v0, v52
	s_delay_alu instid0(VALU_DEP_1)
	v_add_co_ci_u32_e64 v3, s7, v1, v53, s7
	flat_load_b64 v[60:61], v[2:3] offset:1024
.LBB172_52:                             ;   in Loop: Header=BB172_32 Depth=1
	s_or_b32 exec_lo, exec_lo, s34
	v_dual_mov_b32 v63, s9 :: v_dual_mov_b32 v62, s8
	s_or_b32 s7, s6, vcc_lo
	s_delay_alu instid0(SALU_CYCLE_1) | instskip(NEXT) | instid1(SALU_CYCLE_1)
	s_xor_b32 s34, s7, -1
	s_and_saveexec_b32 s7, s34
	s_cbranch_execz .LBB172_54
; %bb.53:                               ;   in Loop: Header=BB172_32 Depth=1
	v_add_co_u32 v0, vcc_lo, v0, v52
	v_add_co_ci_u32_e32 v1, vcc_lo, v1, v53, vcc_lo
	flat_load_b64 v[62:63], v[0:1] offset:1536
.LBB172_54:                             ;   in Loop: Header=BB172_32 Depth=1
	s_or_b32 exec_lo, exec_lo, s7
	s_mov_b32 s34, 0
	s_mov_b32 s7, -1
.LBB172_55:                             ;   Parent Loop BB172_32 Depth=1
                                        ; =>  This Inner Loop Header: Depth=2
	s_lshl_b32 s34, s34, 3
	s_and_not1_b32 vcc_lo, exec_lo, s7
	v_lshl_add_u32 v0, v122, 5, s34
	v_lshl_add_u32 v16, v123, 5, s34
	s_mov_b32 s34, 2
	s_mov_b32 s7, 0
	ds_load_b128 v[32:35], v0 offset:16384
	ds_load_b128 v[28:31], v0 offset:16640
	;; [unrolled: 1-line block ×8, first 2 shown]
	ds_load_b128 v[137:140], v16
	ds_load_b128 v[141:144], v16 offset:1024
	ds_load_b128 v[145:148], v16 offset:2048
	;; [unrolled: 1-line block ×7, first 2 shown]
	s_waitcnt lgkmcnt(7)
	v_add_f64 v[149:150], v[34:35], v[139:140]
	v_add_f64 v[151:152], v[32:33], v[137:138]
	s_delay_alu instid0(VALU_DEP_2) | instskip(NEXT) | instid1(VALU_DEP_2)
	v_cvt_f32_f64_e32 v149, v[149:150]
	v_cvt_f32_f64_e32 v151, v[151:152]
	s_delay_alu instid0(VALU_DEP_1) | instskip(SKIP_2) | instid1(VALU_DEP_2)
	v_min3_f32 v131, v151, v149, v131
	v_add_f64 v[149:150], v[30:31], v[139:140]
	v_add_f64 v[151:152], v[28:29], v[137:138]
	v_cvt_f32_f64_e32 v149, v[149:150]
	s_delay_alu instid0(VALU_DEP_2) | instskip(NEXT) | instid1(VALU_DEP_1)
	v_cvt_f32_f64_e32 v151, v[151:152]
	v_min3_f32 v130, v151, v149, v130
	v_add_f64 v[149:150], v[26:27], v[139:140]
	v_add_f64 v[151:152], v[24:25], v[137:138]
	s_delay_alu instid0(VALU_DEP_2) | instskip(NEXT) | instid1(VALU_DEP_2)
	v_cvt_f32_f64_e32 v149, v[149:150]
	v_cvt_f32_f64_e32 v151, v[151:152]
	s_delay_alu instid0(VALU_DEP_1) | instskip(SKIP_2) | instid1(VALU_DEP_2)
	v_min3_f32 v129, v151, v149, v129
	v_add_f64 v[149:150], v[22:23], v[139:140]
	v_add_f64 v[151:152], v[20:21], v[137:138]
	v_cvt_f32_f64_e32 v149, v[149:150]
	s_delay_alu instid0(VALU_DEP_2) | instskip(NEXT) | instid1(VALU_DEP_1)
	v_cvt_f32_f64_e32 v151, v[151:152]
	v_min3_f32 v128, v151, v149, v128
	;; [unrolled: 13-line block ×3, first 2 shown]
	v_add_f64 v[149:150], v[6:7], v[139:140]
	v_add_f64 v[151:152], v[4:5], v[137:138]
	;; [unrolled: 1-line block ×4, first 2 shown]
	s_delay_alu instid0(VALU_DEP_4) | instskip(NEXT) | instid1(VALU_DEP_4)
	v_cvt_f32_f64_e32 v149, v[149:150]
	v_cvt_f32_f64_e32 v151, v[151:152]
	s_delay_alu instid0(VALU_DEP_3) | instskip(SKIP_3) | instid1(VALU_DEP_4)
	v_cvt_f32_f64_e32 v137, v[137:138]
	v_cvt_f32_f64_e32 v138, v[139:140]
	s_waitcnt lgkmcnt(6)
	v_add_f64 v[139:140], v[32:33], v[141:142]
	v_min3_f32 v125, v151, v149, v125
	s_delay_alu instid0(VALU_DEP_3) | instskip(SKIP_1) | instid1(VALU_DEP_4)
	v_min3_f32 v124, v137, v138, v124
	v_add_f64 v[137:138], v[34:35], v[143:144]
	v_cvt_f32_f64_e32 v139, v[139:140]
	s_delay_alu instid0(VALU_DEP_2) | instskip(NEXT) | instid1(VALU_DEP_1)
	v_cvt_f32_f64_e32 v137, v[137:138]
	v_min3_f32 v121, v139, v137, v121
	v_add_f64 v[137:138], v[30:31], v[143:144]
	v_add_f64 v[139:140], v[28:29], v[141:142]
	s_delay_alu instid0(VALU_DEP_2) | instskip(NEXT) | instid1(VALU_DEP_2)
	v_cvt_f32_f64_e32 v137, v[137:138]
	v_cvt_f32_f64_e32 v139, v[139:140]
	s_delay_alu instid0(VALU_DEP_1) | instskip(SKIP_2) | instid1(VALU_DEP_2)
	v_min3_f32 v120, v139, v137, v120
	v_add_f64 v[137:138], v[26:27], v[143:144]
	v_add_f64 v[139:140], v[24:25], v[141:142]
	v_cvt_f32_f64_e32 v137, v[137:138]
	s_delay_alu instid0(VALU_DEP_2) | instskip(NEXT) | instid1(VALU_DEP_1)
	v_cvt_f32_f64_e32 v139, v[139:140]
	v_min3_f32 v119, v139, v137, v119
	v_add_f64 v[137:138], v[22:23], v[143:144]
	v_add_f64 v[139:140], v[20:21], v[141:142]
	s_delay_alu instid0(VALU_DEP_2) | instskip(NEXT) | instid1(VALU_DEP_2)
	v_cvt_f32_f64_e32 v137, v[137:138]
	v_cvt_f32_f64_e32 v139, v[139:140]
	s_delay_alu instid0(VALU_DEP_1) | instskip(SKIP_2) | instid1(VALU_DEP_2)
	v_min3_f32 v118, v139, v137, v118
	v_add_f64 v[137:138], v[14:15], v[143:144]
	;; [unrolled: 13-line block ×3, first 2 shown]
	v_add_f64 v[139:140], v[4:5], v[141:142]
	v_cvt_f32_f64_e32 v137, v[137:138]
	s_delay_alu instid0(VALU_DEP_2) | instskip(NEXT) | instid1(VALU_DEP_1)
	v_cvt_f32_f64_e32 v139, v[139:140]
	v_min3_f32 v115, v139, v137, v115
	v_add_f64 v[137:138], v[2:3], v[143:144]
	v_add_f64 v[139:140], v[0:1], v[141:142]
	s_delay_alu instid0(VALU_DEP_2) | instskip(NEXT) | instid1(VALU_DEP_2)
	v_cvt_f32_f64_e32 v137, v[137:138]
	v_cvt_f32_f64_e32 v139, v[139:140]
	s_delay_alu instid0(VALU_DEP_1) | instskip(SKIP_3) | instid1(VALU_DEP_2)
	v_min3_f32 v114, v139, v137, v114
	s_waitcnt lgkmcnt(5)
	v_add_f64 v[137:138], v[34:35], v[147:148]
	v_add_f64 v[139:140], v[32:33], v[145:146]
	v_cvt_f32_f64_e32 v137, v[137:138]
	s_delay_alu instid0(VALU_DEP_2) | instskip(NEXT) | instid1(VALU_DEP_1)
	v_cvt_f32_f64_e32 v139, v[139:140]
	v_min3_f32 v113, v139, v137, v113
	v_add_f64 v[137:138], v[30:31], v[147:148]
	v_add_f64 v[139:140], v[28:29], v[145:146]
	s_delay_alu instid0(VALU_DEP_2) | instskip(NEXT) | instid1(VALU_DEP_2)
	v_cvt_f32_f64_e32 v137, v[137:138]
	v_cvt_f32_f64_e32 v139, v[139:140]
	s_delay_alu instid0(VALU_DEP_1) | instskip(SKIP_2) | instid1(VALU_DEP_2)
	v_min3_f32 v112, v139, v137, v112
	v_add_f64 v[137:138], v[26:27], v[147:148]
	v_add_f64 v[139:140], v[24:25], v[145:146]
	v_cvt_f32_f64_e32 v137, v[137:138]
	s_delay_alu instid0(VALU_DEP_2) | instskip(NEXT) | instid1(VALU_DEP_1)
	v_cvt_f32_f64_e32 v139, v[139:140]
	v_min3_f32 v111, v139, v137, v111
	v_add_f64 v[137:138], v[22:23], v[147:148]
	v_add_f64 v[139:140], v[20:21], v[145:146]
	s_delay_alu instid0(VALU_DEP_2) | instskip(NEXT) | instid1(VALU_DEP_2)
	v_cvt_f32_f64_e32 v137, v[137:138]
	v_cvt_f32_f64_e32 v139, v[139:140]
	s_delay_alu instid0(VALU_DEP_1) | instskip(SKIP_2) | instid1(VALU_DEP_2)
	v_min3_f32 v110, v139, v137, v110
	;; [unrolled: 13-line block ×3, first 2 shown]
	v_add_f64 v[137:138], v[6:7], v[147:148]
	v_add_f64 v[139:140], v[4:5], v[145:146]
	v_cvt_f32_f64_e32 v137, v[137:138]
	s_delay_alu instid0(VALU_DEP_2) | instskip(NEXT) | instid1(VALU_DEP_1)
	v_cvt_f32_f64_e32 v139, v[139:140]
	v_min3_f32 v107, v139, v137, v107
	v_add_f64 v[137:138], v[2:3], v[147:148]
	v_add_f64 v[139:140], v[0:1], v[145:146]
	s_delay_alu instid0(VALU_DEP_2) | instskip(NEXT) | instid1(VALU_DEP_2)
	v_cvt_f32_f64_e32 v137, v[137:138]
	v_cvt_f32_f64_e32 v139, v[139:140]
	s_delay_alu instid0(VALU_DEP_1) | instskip(SKIP_3) | instid1(VALU_DEP_2)
	v_min3_f32 v106, v139, v137, v106
	s_waitcnt lgkmcnt(4)
	v_add_f64 v[137:138], v[34:35], v[50:51]
	v_add_f64 v[139:140], v[32:33], v[48:49]
	v_cvt_f32_f64_e32 v137, v[137:138]
	s_delay_alu instid0(VALU_DEP_2) | instskip(NEXT) | instid1(VALU_DEP_1)
	v_cvt_f32_f64_e32 v139, v[139:140]
	v_min3_f32 v105, v139, v137, v105
	v_add_f64 v[137:138], v[30:31], v[50:51]
	v_add_f64 v[139:140], v[28:29], v[48:49]
	s_delay_alu instid0(VALU_DEP_2) | instskip(NEXT) | instid1(VALU_DEP_2)
	v_cvt_f32_f64_e32 v137, v[137:138]
	v_cvt_f32_f64_e32 v139, v[139:140]
	s_delay_alu instid0(VALU_DEP_1) | instskip(SKIP_2) | instid1(VALU_DEP_2)
	v_min3_f32 v104, v139, v137, v104
	v_add_f64 v[137:138], v[26:27], v[50:51]
	v_add_f64 v[139:140], v[24:25], v[48:49]
	v_cvt_f32_f64_e32 v137, v[137:138]
	s_delay_alu instid0(VALU_DEP_2) | instskip(NEXT) | instid1(VALU_DEP_1)
	v_cvt_f32_f64_e32 v139, v[139:140]
	v_min3_f32 v103, v139, v137, v103
	v_add_f64 v[137:138], v[22:23], v[50:51]
	v_add_f64 v[139:140], v[20:21], v[48:49]
	s_delay_alu instid0(VALU_DEP_2) | instskip(NEXT) | instid1(VALU_DEP_2)
	v_cvt_f32_f64_e32 v137, v[137:138]
	v_cvt_f32_f64_e32 v139, v[139:140]
	s_delay_alu instid0(VALU_DEP_1) | instskip(SKIP_2) | instid1(VALU_DEP_2)
	v_min3_f32 v102, v139, v137, v102
	v_add_f64 v[137:138], v[14:15], v[50:51]
	v_add_f64 v[139:140], v[12:13], v[48:49]
	v_cvt_f32_f64_e32 v137, v[137:138]
	s_delay_alu instid0(VALU_DEP_2) | instskip(NEXT) | instid1(VALU_DEP_1)
	v_cvt_f32_f64_e32 v139, v[139:140]
	v_min3_f32 v101, v139, v137, v101
	v_add_f64 v[137:138], v[10:11], v[50:51]
	v_add_f64 v[139:140], v[8:9], v[48:49]
	s_delay_alu instid0(VALU_DEP_2) | instskip(NEXT) | instid1(VALU_DEP_2)
	v_cvt_f32_f64_e32 v137, v[137:138]
	v_cvt_f32_f64_e32 v139, v[139:140]
	s_delay_alu instid0(VALU_DEP_1) | instskip(SKIP_4) | instid1(VALU_DEP_4)
	v_min3_f32 v100, v139, v137, v100
	v_add_f64 v[137:138], v[6:7], v[50:51]
	v_add_f64 v[139:140], v[4:5], v[48:49]
	;; [unrolled: 1-line block ×4, first 2 shown]
	v_cvt_f32_f64_e32 v137, v[137:138]
	s_delay_alu instid0(VALU_DEP_4) | instskip(NEXT) | instid1(VALU_DEP_3)
	v_cvt_f32_f64_e32 v139, v[139:140]
	v_cvt_f32_f64_e32 v48, v[48:49]
	;; [unrolled: 1-line block ×3, first 2 shown]
	s_waitcnt lgkmcnt(3)
	v_add_f64 v[50:51], v[32:33], v[44:45]
	s_delay_alu instid0(VALU_DEP_4) | instskip(NEXT) | instid1(VALU_DEP_3)
	v_min3_f32 v99, v139, v137, v99
	v_min3_f32 v98, v48, v49, v98
	v_add_f64 v[48:49], v[34:35], v[46:47]
	s_delay_alu instid0(VALU_DEP_4) | instskip(NEXT) | instid1(VALU_DEP_2)
	v_cvt_f32_f64_e32 v50, v[50:51]
	v_cvt_f32_f64_e32 v48, v[48:49]
	s_delay_alu instid0(VALU_DEP_1) | instskip(SKIP_2) | instid1(VALU_DEP_2)
	v_min3_f32 v97, v50, v48, v97
	v_add_f64 v[48:49], v[30:31], v[46:47]
	v_add_f64 v[50:51], v[28:29], v[44:45]
	v_cvt_f32_f64_e32 v48, v[48:49]
	s_delay_alu instid0(VALU_DEP_2) | instskip(NEXT) | instid1(VALU_DEP_1)
	v_cvt_f32_f64_e32 v50, v[50:51]
	v_min3_f32 v96, v50, v48, v96
	v_add_f64 v[48:49], v[26:27], v[46:47]
	v_add_f64 v[50:51], v[24:25], v[44:45]
	s_delay_alu instid0(VALU_DEP_2) | instskip(NEXT) | instid1(VALU_DEP_2)
	v_cvt_f32_f64_e32 v48, v[48:49]
	v_cvt_f32_f64_e32 v50, v[50:51]
	s_delay_alu instid0(VALU_DEP_1) | instskip(SKIP_2) | instid1(VALU_DEP_2)
	v_min3_f32 v95, v50, v48, v95
	v_add_f64 v[48:49], v[22:23], v[46:47]
	v_add_f64 v[50:51], v[20:21], v[44:45]
	v_cvt_f32_f64_e32 v48, v[48:49]
	s_delay_alu instid0(VALU_DEP_2) | instskip(NEXT) | instid1(VALU_DEP_1)
	v_cvt_f32_f64_e32 v50, v[50:51]
	v_min3_f32 v94, v50, v48, v94
	v_add_f64 v[48:49], v[14:15], v[46:47]
	v_add_f64 v[50:51], v[12:13], v[44:45]
	s_delay_alu instid0(VALU_DEP_2) | instskip(NEXT) | instid1(VALU_DEP_2)
	v_cvt_f32_f64_e32 v48, v[48:49]
	v_cvt_f32_f64_e32 v50, v[50:51]
	s_delay_alu instid0(VALU_DEP_1) | instskip(SKIP_2) | instid1(VALU_DEP_2)
	v_min3_f32 v93, v50, v48, v93
	v_add_f64 v[48:49], v[10:11], v[46:47]
	v_add_f64 v[50:51], v[8:9], v[44:45]
	v_cvt_f32_f64_e32 v48, v[48:49]
	s_delay_alu instid0(VALU_DEP_2) | instskip(NEXT) | instid1(VALU_DEP_1)
	v_cvt_f32_f64_e32 v50, v[50:51]
	v_min3_f32 v92, v50, v48, v92
	v_add_f64 v[48:49], v[6:7], v[46:47]
	v_add_f64 v[50:51], v[4:5], v[44:45]
	;; [unrolled: 1-line block ×4, first 2 shown]
	s_delay_alu instid0(VALU_DEP_4) | instskip(NEXT) | instid1(VALU_DEP_4)
	v_cvt_f32_f64_e32 v48, v[48:49]
	v_cvt_f32_f64_e32 v50, v[50:51]
	s_delay_alu instid0(VALU_DEP_3) | instskip(SKIP_3) | instid1(VALU_DEP_4)
	v_cvt_f32_f64_e32 v44, v[44:45]
	v_cvt_f32_f64_e32 v45, v[46:47]
	s_waitcnt lgkmcnt(2)
	v_add_f64 v[46:47], v[32:33], v[40:41]
	v_min3_f32 v91, v50, v48, v91
	s_delay_alu instid0(VALU_DEP_3) | instskip(SKIP_1) | instid1(VALU_DEP_4)
	v_min3_f32 v90, v44, v45, v90
	v_add_f64 v[44:45], v[34:35], v[42:43]
	v_cvt_f32_f64_e32 v46, v[46:47]
	s_delay_alu instid0(VALU_DEP_2) | instskip(NEXT) | instid1(VALU_DEP_1)
	v_cvt_f32_f64_e32 v44, v[44:45]
	v_min3_f32 v89, v46, v44, v89
	v_add_f64 v[44:45], v[30:31], v[42:43]
	v_add_f64 v[46:47], v[28:29], v[40:41]
	s_delay_alu instid0(VALU_DEP_2) | instskip(NEXT) | instid1(VALU_DEP_2)
	v_cvt_f32_f64_e32 v44, v[44:45]
	v_cvt_f32_f64_e32 v46, v[46:47]
	s_delay_alu instid0(VALU_DEP_1) | instskip(SKIP_2) | instid1(VALU_DEP_2)
	v_min3_f32 v88, v46, v44, v88
	v_add_f64 v[44:45], v[26:27], v[42:43]
	v_add_f64 v[46:47], v[24:25], v[40:41]
	v_cvt_f32_f64_e32 v44, v[44:45]
	s_delay_alu instid0(VALU_DEP_2) | instskip(NEXT) | instid1(VALU_DEP_1)
	v_cvt_f32_f64_e32 v46, v[46:47]
	v_min3_f32 v87, v46, v44, v87
	v_add_f64 v[44:45], v[22:23], v[42:43]
	v_add_f64 v[46:47], v[20:21], v[40:41]
	s_delay_alu instid0(VALU_DEP_2) | instskip(NEXT) | instid1(VALU_DEP_2)
	v_cvt_f32_f64_e32 v44, v[44:45]
	v_cvt_f32_f64_e32 v46, v[46:47]
	s_delay_alu instid0(VALU_DEP_1) | instskip(SKIP_2) | instid1(VALU_DEP_2)
	v_min3_f32 v86, v46, v44, v86
	v_add_f64 v[44:45], v[14:15], v[42:43]
	v_add_f64 v[46:47], v[12:13], v[40:41]
	v_cvt_f32_f64_e32 v44, v[44:45]
	s_delay_alu instid0(VALU_DEP_2) | instskip(NEXT) | instid1(VALU_DEP_1)
	v_cvt_f32_f64_e32 v46, v[46:47]
	v_min3_f32 v85, v46, v44, v85
	v_add_f64 v[44:45], v[10:11], v[42:43]
	v_add_f64 v[46:47], v[8:9], v[40:41]
	s_delay_alu instid0(VALU_DEP_2) | instskip(NEXT) | instid1(VALU_DEP_2)
	v_cvt_f32_f64_e32 v44, v[44:45]
	v_cvt_f32_f64_e32 v46, v[46:47]
	s_delay_alu instid0(VALU_DEP_1) | instskip(SKIP_4) | instid1(VALU_DEP_4)
	v_min3_f32 v84, v46, v44, v84
	v_add_f64 v[44:45], v[6:7], v[42:43]
	v_add_f64 v[46:47], v[4:5], v[40:41]
	;; [unrolled: 1-line block ×4, first 2 shown]
	v_cvt_f32_f64_e32 v44, v[44:45]
	s_delay_alu instid0(VALU_DEP_4) | instskip(NEXT) | instid1(VALU_DEP_3)
	v_cvt_f32_f64_e32 v46, v[46:47]
	v_cvt_f32_f64_e32 v40, v[40:41]
	;; [unrolled: 1-line block ×3, first 2 shown]
	s_waitcnt lgkmcnt(1)
	v_add_f64 v[42:43], v[32:33], v[36:37]
	s_waitcnt lgkmcnt(0)
	v_add_f64 v[32:33], v[32:33], v[16:17]
	v_min3_f32 v83, v46, v44, v83
	s_delay_alu instid0(VALU_DEP_4) | instskip(SKIP_4) | instid1(VALU_DEP_4)
	v_min3_f32 v82, v40, v41, v82
	v_add_f64 v[40:41], v[34:35], v[38:39]
	v_cvt_f32_f64_e32 v42, v[42:43]
	v_add_f64 v[34:35], v[34:35], v[18:19]
	v_cvt_f32_f64_e32 v32, v[32:33]
	v_cvt_f32_f64_e32 v40, v[40:41]
	s_delay_alu instid0(VALU_DEP_3) | instskip(NEXT) | instid1(VALU_DEP_2)
	v_cvt_f32_f64_e32 v33, v[34:35]
	v_min3_f32 v81, v42, v40, v81
	v_add_f64 v[40:41], v[30:31], v[38:39]
	v_add_f64 v[42:43], v[28:29], v[36:37]
	v_add_f64 v[30:31], v[30:31], v[18:19]
	v_add_f64 v[28:29], v[28:29], v[16:17]
	v_min3_f32 v73, v32, v33, v73
	v_cvt_f32_f64_e32 v40, v[40:41]
	v_cvt_f32_f64_e32 v42, v[42:43]
	s_delay_alu instid0(VALU_DEP_4) | instskip(SKIP_1) | instid1(VALU_DEP_3)
	v_cvt_f32_f64_e32 v28, v[28:29]
	v_cvt_f32_f64_e32 v29, v[30:31]
	v_min3_f32 v80, v42, v40, v80
	v_add_f64 v[40:41], v[26:27], v[38:39]
	v_add_f64 v[42:43], v[24:25], v[36:37]
	v_add_f64 v[26:27], v[26:27], v[18:19]
	v_add_f64 v[24:25], v[24:25], v[16:17]
	v_min3_f32 v72, v28, v29, v72
	v_cvt_f32_f64_e32 v40, v[40:41]
	v_cvt_f32_f64_e32 v42, v[42:43]
	s_delay_alu instid0(VALU_DEP_4) | instskip(SKIP_1) | instid1(VALU_DEP_3)
	v_cvt_f32_f64_e32 v24, v[24:25]
	;; [unrolled: 11-line block ×5, first 2 shown]
	v_cvt_f32_f64_e32 v9, v[10:11]
	v_min3_f32 v76, v42, v40, v76
	v_add_f64 v[40:41], v[6:7], v[38:39]
	v_add_f64 v[42:43], v[4:5], v[36:37]
	v_add_f64 v[38:39], v[2:3], v[38:39]
	v_add_f64 v[36:37], v[0:1], v[36:37]
	v_add_f64 v[6:7], v[6:7], v[18:19]
	v_add_f64 v[4:5], v[4:5], v[16:17]
	v_add_f64 v[2:3], v[2:3], v[18:19]
	v_add_f64 v[0:1], v[0:1], v[16:17]
	v_min3_f32 v68, v8, v9, v68
	v_cvt_f32_f64_e32 v40, v[40:41]
	v_cvt_f32_f64_e32 v42, v[42:43]
	;; [unrolled: 1-line block ×8, first 2 shown]
	v_min3_f32 v75, v42, v40, v75
	v_min3_f32 v74, v36, v37, v74
	;; [unrolled: 1-line block ×3, first 2 shown]
	s_delay_alu instid0(VALU_DEP_4)
	v_min3_f32 v66, v0, v1, v66
	s_cbranch_vccz .LBB172_55
; %bb.56:                               ;   in Loop: Header=BB172_32 Depth=1
	s_add_i32 s27, s27, 8
	s_add_i32 s33, s33, 8
	s_cmp_ge_i32 s27, s26
	s_waitcnt vmcnt(0)
	ds_store_b64 v64, v[54:55]
	ds_store_2addr_stride64_b64 v65, v[56:57], v[58:59] offset1:4
	ds_store_2addr_stride64_b64 v65, v[60:61], v[62:63] offset0:8 offset1:12
	s_waitcnt lgkmcnt(0)
	s_barrier
	buffer_gl0_inv
	s_cbranch_scc0 .LBB172_32
.LBB172_57:
	s_mov_b32 s3, 0
	s_mov_b32 s2, -1
.LBB172_58:                             ; =>This Inner Loop Header: Depth=1
	s_lshl_b32 s3, s3, 3
	s_and_not1_b32 vcc_lo, exec_lo, s2
	v_lshl_add_u32 v0, v122, 5, s3
	v_lshl_add_u32 v16, v123, 5, s3
	s_mov_b32 s3, 2
	s_mov_b32 s2, 0
	ds_load_b128 v[32:35], v0 offset:18432
	ds_load_b128 v[28:31], v0 offset:18688
	;; [unrolled: 1-line block ×16, first 2 shown]
	s_waitcnt lgkmcnt(7)
	v_add_f64 v[64:65], v[34:35], v[54:55]
	v_add_f64 v[132:133], v[32:33], v[52:53]
	s_delay_alu instid0(VALU_DEP_2) | instskip(NEXT) | instid1(VALU_DEP_2)
	v_cvt_f32_f64_e32 v64, v[64:65]
	v_cvt_f32_f64_e32 v132, v[132:133]
	s_delay_alu instid0(VALU_DEP_1) | instskip(SKIP_2) | instid1(VALU_DEP_2)
	v_min3_f32 v131, v132, v64, v131
	v_add_f64 v[64:65], v[30:31], v[54:55]
	v_add_f64 v[132:133], v[28:29], v[52:53]
	v_cvt_f32_f64_e32 v64, v[64:65]
	s_delay_alu instid0(VALU_DEP_2) | instskip(NEXT) | instid1(VALU_DEP_1)
	v_cvt_f32_f64_e32 v132, v[132:133]
	v_min3_f32 v130, v132, v64, v130
	v_add_f64 v[64:65], v[26:27], v[54:55]
	v_add_f64 v[132:133], v[24:25], v[52:53]
	s_delay_alu instid0(VALU_DEP_2) | instskip(NEXT) | instid1(VALU_DEP_2)
	v_cvt_f32_f64_e32 v64, v[64:65]
	v_cvt_f32_f64_e32 v132, v[132:133]
	s_delay_alu instid0(VALU_DEP_1) | instskip(SKIP_2) | instid1(VALU_DEP_2)
	v_min3_f32 v129, v132, v64, v129
	v_add_f64 v[64:65], v[22:23], v[54:55]
	v_add_f64 v[132:133], v[20:21], v[52:53]
	v_cvt_f32_f64_e32 v64, v[64:65]
	s_delay_alu instid0(VALU_DEP_2) | instskip(NEXT) | instid1(VALU_DEP_1)
	v_cvt_f32_f64_e32 v132, v[132:133]
	v_min3_f32 v128, v132, v64, v128
	;; [unrolled: 13-line block ×3, first 2 shown]
	v_add_f64 v[64:65], v[6:7], v[54:55]
	v_add_f64 v[132:133], v[4:5], v[52:53]
	;; [unrolled: 1-line block ×4, first 2 shown]
	s_delay_alu instid0(VALU_DEP_4) | instskip(NEXT) | instid1(VALU_DEP_4)
	v_cvt_f32_f64_e32 v64, v[64:65]
	v_cvt_f32_f64_e32 v132, v[132:133]
	s_delay_alu instid0(VALU_DEP_3) | instskip(SKIP_3) | instid1(VALU_DEP_4)
	v_cvt_f32_f64_e32 v52, v[52:53]
	v_cvt_f32_f64_e32 v53, v[54:55]
	s_waitcnt lgkmcnt(6)
	v_add_f64 v[54:55], v[32:33], v[56:57]
	v_min3_f32 v125, v132, v64, v125
	s_delay_alu instid0(VALU_DEP_3) | instskip(SKIP_1) | instid1(VALU_DEP_4)
	v_min3_f32 v124, v52, v53, v124
	v_add_f64 v[52:53], v[34:35], v[58:59]
	v_cvt_f32_f64_e32 v54, v[54:55]
	s_delay_alu instid0(VALU_DEP_2) | instskip(NEXT) | instid1(VALU_DEP_1)
	v_cvt_f32_f64_e32 v52, v[52:53]
	v_min3_f32 v121, v54, v52, v121
	v_add_f64 v[52:53], v[30:31], v[58:59]
	v_add_f64 v[54:55], v[28:29], v[56:57]
	s_delay_alu instid0(VALU_DEP_2) | instskip(NEXT) | instid1(VALU_DEP_2)
	v_cvt_f32_f64_e32 v52, v[52:53]
	v_cvt_f32_f64_e32 v54, v[54:55]
	s_delay_alu instid0(VALU_DEP_1) | instskip(SKIP_2) | instid1(VALU_DEP_2)
	v_min3_f32 v120, v54, v52, v120
	v_add_f64 v[52:53], v[26:27], v[58:59]
	v_add_f64 v[54:55], v[24:25], v[56:57]
	v_cvt_f32_f64_e32 v52, v[52:53]
	s_delay_alu instid0(VALU_DEP_2) | instskip(NEXT) | instid1(VALU_DEP_1)
	v_cvt_f32_f64_e32 v54, v[54:55]
	v_min3_f32 v119, v54, v52, v119
	v_add_f64 v[52:53], v[22:23], v[58:59]
	v_add_f64 v[54:55], v[20:21], v[56:57]
	s_delay_alu instid0(VALU_DEP_2) | instskip(NEXT) | instid1(VALU_DEP_2)
	v_cvt_f32_f64_e32 v52, v[52:53]
	v_cvt_f32_f64_e32 v54, v[54:55]
	s_delay_alu instid0(VALU_DEP_1) | instskip(SKIP_2) | instid1(VALU_DEP_2)
	v_min3_f32 v118, v54, v52, v118
	v_add_f64 v[52:53], v[14:15], v[58:59]
	;; [unrolled: 13-line block ×3, first 2 shown]
	v_add_f64 v[54:55], v[4:5], v[56:57]
	v_cvt_f32_f64_e32 v52, v[52:53]
	s_delay_alu instid0(VALU_DEP_2) | instskip(NEXT) | instid1(VALU_DEP_1)
	v_cvt_f32_f64_e32 v54, v[54:55]
	v_min3_f32 v115, v54, v52, v115
	v_add_f64 v[52:53], v[2:3], v[58:59]
	v_add_f64 v[54:55], v[0:1], v[56:57]
	s_delay_alu instid0(VALU_DEP_2) | instskip(NEXT) | instid1(VALU_DEP_2)
	v_cvt_f32_f64_e32 v52, v[52:53]
	v_cvt_f32_f64_e32 v54, v[54:55]
	s_delay_alu instid0(VALU_DEP_1) | instskip(SKIP_3) | instid1(VALU_DEP_2)
	v_min3_f32 v114, v54, v52, v114
	s_waitcnt lgkmcnt(5)
	v_add_f64 v[52:53], v[34:35], v[62:63]
	v_add_f64 v[54:55], v[32:33], v[60:61]
	v_cvt_f32_f64_e32 v52, v[52:53]
	s_delay_alu instid0(VALU_DEP_2) | instskip(NEXT) | instid1(VALU_DEP_1)
	v_cvt_f32_f64_e32 v54, v[54:55]
	v_min3_f32 v113, v54, v52, v113
	v_add_f64 v[52:53], v[30:31], v[62:63]
	v_add_f64 v[54:55], v[28:29], v[60:61]
	s_delay_alu instid0(VALU_DEP_2) | instskip(NEXT) | instid1(VALU_DEP_2)
	v_cvt_f32_f64_e32 v52, v[52:53]
	v_cvt_f32_f64_e32 v54, v[54:55]
	s_delay_alu instid0(VALU_DEP_1) | instskip(SKIP_2) | instid1(VALU_DEP_2)
	v_min3_f32 v112, v54, v52, v112
	v_add_f64 v[52:53], v[26:27], v[62:63]
	v_add_f64 v[54:55], v[24:25], v[60:61]
	v_cvt_f32_f64_e32 v52, v[52:53]
	s_delay_alu instid0(VALU_DEP_2) | instskip(NEXT) | instid1(VALU_DEP_1)
	v_cvt_f32_f64_e32 v54, v[54:55]
	v_min3_f32 v111, v54, v52, v111
	v_add_f64 v[52:53], v[22:23], v[62:63]
	v_add_f64 v[54:55], v[20:21], v[60:61]
	s_delay_alu instid0(VALU_DEP_2) | instskip(NEXT) | instid1(VALU_DEP_2)
	v_cvt_f32_f64_e32 v52, v[52:53]
	v_cvt_f32_f64_e32 v54, v[54:55]
	s_delay_alu instid0(VALU_DEP_1) | instskip(SKIP_2) | instid1(VALU_DEP_2)
	v_min3_f32 v110, v54, v52, v110
	;; [unrolled: 13-line block ×3, first 2 shown]
	v_add_f64 v[52:53], v[6:7], v[62:63]
	v_add_f64 v[54:55], v[4:5], v[60:61]
	v_cvt_f32_f64_e32 v52, v[52:53]
	s_delay_alu instid0(VALU_DEP_2) | instskip(NEXT) | instid1(VALU_DEP_1)
	v_cvt_f32_f64_e32 v54, v[54:55]
	v_min3_f32 v107, v54, v52, v107
	v_add_f64 v[52:53], v[2:3], v[62:63]
	v_add_f64 v[54:55], v[0:1], v[60:61]
	s_delay_alu instid0(VALU_DEP_2) | instskip(NEXT) | instid1(VALU_DEP_2)
	v_cvt_f32_f64_e32 v52, v[52:53]
	v_cvt_f32_f64_e32 v54, v[54:55]
	s_delay_alu instid0(VALU_DEP_1) | instskip(SKIP_3) | instid1(VALU_DEP_2)
	v_min3_f32 v106, v54, v52, v106
	s_waitcnt lgkmcnt(4)
	v_add_f64 v[52:53], v[34:35], v[50:51]
	v_add_f64 v[54:55], v[32:33], v[48:49]
	v_cvt_f32_f64_e32 v52, v[52:53]
	s_delay_alu instid0(VALU_DEP_2) | instskip(NEXT) | instid1(VALU_DEP_1)
	v_cvt_f32_f64_e32 v54, v[54:55]
	v_min3_f32 v105, v54, v52, v105
	v_add_f64 v[52:53], v[30:31], v[50:51]
	v_add_f64 v[54:55], v[28:29], v[48:49]
	s_delay_alu instid0(VALU_DEP_2) | instskip(NEXT) | instid1(VALU_DEP_2)
	v_cvt_f32_f64_e32 v52, v[52:53]
	v_cvt_f32_f64_e32 v54, v[54:55]
	s_delay_alu instid0(VALU_DEP_1) | instskip(SKIP_2) | instid1(VALU_DEP_2)
	v_min3_f32 v104, v54, v52, v104
	v_add_f64 v[52:53], v[26:27], v[50:51]
	v_add_f64 v[54:55], v[24:25], v[48:49]
	v_cvt_f32_f64_e32 v52, v[52:53]
	s_delay_alu instid0(VALU_DEP_2) | instskip(NEXT) | instid1(VALU_DEP_1)
	v_cvt_f32_f64_e32 v54, v[54:55]
	v_min3_f32 v103, v54, v52, v103
	v_add_f64 v[52:53], v[22:23], v[50:51]
	v_add_f64 v[54:55], v[20:21], v[48:49]
	s_delay_alu instid0(VALU_DEP_2) | instskip(NEXT) | instid1(VALU_DEP_2)
	v_cvt_f32_f64_e32 v52, v[52:53]
	v_cvt_f32_f64_e32 v54, v[54:55]
	s_delay_alu instid0(VALU_DEP_1) | instskip(SKIP_2) | instid1(VALU_DEP_2)
	v_min3_f32 v102, v54, v52, v102
	v_add_f64 v[52:53], v[14:15], v[50:51]
	v_add_f64 v[54:55], v[12:13], v[48:49]
	v_cvt_f32_f64_e32 v52, v[52:53]
	s_delay_alu instid0(VALU_DEP_2) | instskip(NEXT) | instid1(VALU_DEP_1)
	v_cvt_f32_f64_e32 v54, v[54:55]
	v_min3_f32 v101, v54, v52, v101
	v_add_f64 v[52:53], v[10:11], v[50:51]
	v_add_f64 v[54:55], v[8:9], v[48:49]
	s_delay_alu instid0(VALU_DEP_2) | instskip(NEXT) | instid1(VALU_DEP_2)
	v_cvt_f32_f64_e32 v52, v[52:53]
	v_cvt_f32_f64_e32 v54, v[54:55]
	s_delay_alu instid0(VALU_DEP_1) | instskip(SKIP_4) | instid1(VALU_DEP_4)
	v_min3_f32 v100, v54, v52, v100
	v_add_f64 v[52:53], v[6:7], v[50:51]
	v_add_f64 v[54:55], v[4:5], v[48:49]
	v_add_f64 v[50:51], v[2:3], v[50:51]
	v_add_f64 v[48:49], v[0:1], v[48:49]
	v_cvt_f32_f64_e32 v52, v[52:53]
	s_delay_alu instid0(VALU_DEP_4) | instskip(NEXT) | instid1(VALU_DEP_3)
	v_cvt_f32_f64_e32 v54, v[54:55]
	v_cvt_f32_f64_e32 v48, v[48:49]
	;; [unrolled: 1-line block ×3, first 2 shown]
	s_waitcnt lgkmcnt(3)
	v_add_f64 v[50:51], v[32:33], v[44:45]
	s_delay_alu instid0(VALU_DEP_4) | instskip(NEXT) | instid1(VALU_DEP_3)
	v_min3_f32 v99, v54, v52, v99
	v_min3_f32 v98, v48, v49, v98
	v_add_f64 v[48:49], v[34:35], v[46:47]
	s_delay_alu instid0(VALU_DEP_4) | instskip(NEXT) | instid1(VALU_DEP_2)
	v_cvt_f32_f64_e32 v50, v[50:51]
	v_cvt_f32_f64_e32 v48, v[48:49]
	s_delay_alu instid0(VALU_DEP_1) | instskip(SKIP_2) | instid1(VALU_DEP_2)
	v_min3_f32 v97, v50, v48, v97
	v_add_f64 v[48:49], v[30:31], v[46:47]
	v_add_f64 v[50:51], v[28:29], v[44:45]
	v_cvt_f32_f64_e32 v48, v[48:49]
	s_delay_alu instid0(VALU_DEP_2) | instskip(NEXT) | instid1(VALU_DEP_1)
	v_cvt_f32_f64_e32 v50, v[50:51]
	v_min3_f32 v96, v50, v48, v96
	v_add_f64 v[48:49], v[26:27], v[46:47]
	v_add_f64 v[50:51], v[24:25], v[44:45]
	s_delay_alu instid0(VALU_DEP_2) | instskip(NEXT) | instid1(VALU_DEP_2)
	v_cvt_f32_f64_e32 v48, v[48:49]
	v_cvt_f32_f64_e32 v50, v[50:51]
	s_delay_alu instid0(VALU_DEP_1) | instskip(SKIP_2) | instid1(VALU_DEP_2)
	v_min3_f32 v95, v50, v48, v95
	v_add_f64 v[48:49], v[22:23], v[46:47]
	v_add_f64 v[50:51], v[20:21], v[44:45]
	v_cvt_f32_f64_e32 v48, v[48:49]
	s_delay_alu instid0(VALU_DEP_2) | instskip(NEXT) | instid1(VALU_DEP_1)
	v_cvt_f32_f64_e32 v50, v[50:51]
	v_min3_f32 v94, v50, v48, v94
	v_add_f64 v[48:49], v[14:15], v[46:47]
	v_add_f64 v[50:51], v[12:13], v[44:45]
	s_delay_alu instid0(VALU_DEP_2) | instskip(NEXT) | instid1(VALU_DEP_2)
	v_cvt_f32_f64_e32 v48, v[48:49]
	v_cvt_f32_f64_e32 v50, v[50:51]
	s_delay_alu instid0(VALU_DEP_1) | instskip(SKIP_2) | instid1(VALU_DEP_2)
	v_min3_f32 v93, v50, v48, v93
	v_add_f64 v[48:49], v[10:11], v[46:47]
	v_add_f64 v[50:51], v[8:9], v[44:45]
	v_cvt_f32_f64_e32 v48, v[48:49]
	s_delay_alu instid0(VALU_DEP_2) | instskip(NEXT) | instid1(VALU_DEP_1)
	v_cvt_f32_f64_e32 v50, v[50:51]
	v_min3_f32 v92, v50, v48, v92
	v_add_f64 v[48:49], v[6:7], v[46:47]
	v_add_f64 v[50:51], v[4:5], v[44:45]
	v_add_f64 v[46:47], v[2:3], v[46:47]
	v_add_f64 v[44:45], v[0:1], v[44:45]
	s_delay_alu instid0(VALU_DEP_4) | instskip(NEXT) | instid1(VALU_DEP_4)
	v_cvt_f32_f64_e32 v48, v[48:49]
	v_cvt_f32_f64_e32 v50, v[50:51]
	s_delay_alu instid0(VALU_DEP_3) | instskip(SKIP_3) | instid1(VALU_DEP_4)
	v_cvt_f32_f64_e32 v44, v[44:45]
	v_cvt_f32_f64_e32 v45, v[46:47]
	s_waitcnt lgkmcnt(2)
	v_add_f64 v[46:47], v[32:33], v[40:41]
	v_min3_f32 v91, v50, v48, v91
	s_delay_alu instid0(VALU_DEP_3) | instskip(SKIP_1) | instid1(VALU_DEP_4)
	v_min3_f32 v90, v44, v45, v90
	v_add_f64 v[44:45], v[34:35], v[42:43]
	v_cvt_f32_f64_e32 v46, v[46:47]
	s_delay_alu instid0(VALU_DEP_2) | instskip(NEXT) | instid1(VALU_DEP_1)
	v_cvt_f32_f64_e32 v44, v[44:45]
	v_min3_f32 v89, v46, v44, v89
	v_add_f64 v[44:45], v[30:31], v[42:43]
	v_add_f64 v[46:47], v[28:29], v[40:41]
	s_delay_alu instid0(VALU_DEP_2) | instskip(NEXT) | instid1(VALU_DEP_2)
	v_cvt_f32_f64_e32 v44, v[44:45]
	v_cvt_f32_f64_e32 v46, v[46:47]
	s_delay_alu instid0(VALU_DEP_1) | instskip(SKIP_2) | instid1(VALU_DEP_2)
	v_min3_f32 v88, v46, v44, v88
	v_add_f64 v[44:45], v[26:27], v[42:43]
	v_add_f64 v[46:47], v[24:25], v[40:41]
	v_cvt_f32_f64_e32 v44, v[44:45]
	s_delay_alu instid0(VALU_DEP_2) | instskip(NEXT) | instid1(VALU_DEP_1)
	v_cvt_f32_f64_e32 v46, v[46:47]
	v_min3_f32 v87, v46, v44, v87
	v_add_f64 v[44:45], v[22:23], v[42:43]
	v_add_f64 v[46:47], v[20:21], v[40:41]
	s_delay_alu instid0(VALU_DEP_2) | instskip(NEXT) | instid1(VALU_DEP_2)
	v_cvt_f32_f64_e32 v44, v[44:45]
	v_cvt_f32_f64_e32 v46, v[46:47]
	s_delay_alu instid0(VALU_DEP_1) | instskip(SKIP_2) | instid1(VALU_DEP_2)
	v_min3_f32 v86, v46, v44, v86
	v_add_f64 v[44:45], v[14:15], v[42:43]
	v_add_f64 v[46:47], v[12:13], v[40:41]
	v_cvt_f32_f64_e32 v44, v[44:45]
	s_delay_alu instid0(VALU_DEP_2) | instskip(NEXT) | instid1(VALU_DEP_1)
	v_cvt_f32_f64_e32 v46, v[46:47]
	v_min3_f32 v85, v46, v44, v85
	v_add_f64 v[44:45], v[10:11], v[42:43]
	v_add_f64 v[46:47], v[8:9], v[40:41]
	s_delay_alu instid0(VALU_DEP_2) | instskip(NEXT) | instid1(VALU_DEP_2)
	v_cvt_f32_f64_e32 v44, v[44:45]
	v_cvt_f32_f64_e32 v46, v[46:47]
	s_delay_alu instid0(VALU_DEP_1) | instskip(SKIP_4) | instid1(VALU_DEP_4)
	v_min3_f32 v84, v46, v44, v84
	v_add_f64 v[44:45], v[6:7], v[42:43]
	v_add_f64 v[46:47], v[4:5], v[40:41]
	;; [unrolled: 1-line block ×4, first 2 shown]
	v_cvt_f32_f64_e32 v44, v[44:45]
	s_delay_alu instid0(VALU_DEP_4) | instskip(NEXT) | instid1(VALU_DEP_3)
	v_cvt_f32_f64_e32 v46, v[46:47]
	v_cvt_f32_f64_e32 v40, v[40:41]
	;; [unrolled: 1-line block ×3, first 2 shown]
	s_waitcnt lgkmcnt(1)
	v_add_f64 v[42:43], v[32:33], v[36:37]
	s_waitcnt lgkmcnt(0)
	v_add_f64 v[32:33], v[32:33], v[16:17]
	v_min3_f32 v83, v46, v44, v83
	s_delay_alu instid0(VALU_DEP_4) | instskip(SKIP_4) | instid1(VALU_DEP_4)
	v_min3_f32 v82, v40, v41, v82
	v_add_f64 v[40:41], v[34:35], v[38:39]
	v_cvt_f32_f64_e32 v42, v[42:43]
	v_add_f64 v[34:35], v[34:35], v[18:19]
	v_cvt_f32_f64_e32 v32, v[32:33]
	v_cvt_f32_f64_e32 v40, v[40:41]
	s_delay_alu instid0(VALU_DEP_3) | instskip(NEXT) | instid1(VALU_DEP_2)
	v_cvt_f32_f64_e32 v33, v[34:35]
	v_min3_f32 v81, v42, v40, v81
	v_add_f64 v[40:41], v[30:31], v[38:39]
	v_add_f64 v[42:43], v[28:29], v[36:37]
	v_add_f64 v[30:31], v[30:31], v[18:19]
	v_add_f64 v[28:29], v[28:29], v[16:17]
	v_min3_f32 v73, v32, v33, v73
	v_cvt_f32_f64_e32 v40, v[40:41]
	v_cvt_f32_f64_e32 v42, v[42:43]
	s_delay_alu instid0(VALU_DEP_4) | instskip(SKIP_1) | instid1(VALU_DEP_3)
	v_cvt_f32_f64_e32 v28, v[28:29]
	v_cvt_f32_f64_e32 v29, v[30:31]
	v_min3_f32 v80, v42, v40, v80
	v_add_f64 v[40:41], v[26:27], v[38:39]
	v_add_f64 v[42:43], v[24:25], v[36:37]
	v_add_f64 v[26:27], v[26:27], v[18:19]
	v_add_f64 v[24:25], v[24:25], v[16:17]
	v_min3_f32 v72, v28, v29, v72
	v_cvt_f32_f64_e32 v40, v[40:41]
	v_cvt_f32_f64_e32 v42, v[42:43]
	s_delay_alu instid0(VALU_DEP_4) | instskip(SKIP_1) | instid1(VALU_DEP_3)
	v_cvt_f32_f64_e32 v24, v[24:25]
	;; [unrolled: 11-line block ×5, first 2 shown]
	v_cvt_f32_f64_e32 v9, v[10:11]
	v_min3_f32 v76, v42, v40, v76
	v_add_f64 v[40:41], v[6:7], v[38:39]
	v_add_f64 v[42:43], v[4:5], v[36:37]
	;; [unrolled: 1-line block ×8, first 2 shown]
	v_min3_f32 v68, v8, v9, v68
	v_cvt_f32_f64_e32 v40, v[40:41]
	v_cvt_f32_f64_e32 v42, v[42:43]
	;; [unrolled: 1-line block ×8, first 2 shown]
	v_min3_f32 v75, v42, v40, v75
	v_min3_f32 v74, v36, v37, v74
	;; [unrolled: 1-line block ×3, first 2 shown]
	s_delay_alu instid0(VALU_DEP_4)
	v_min3_f32 v66, v0, v1, v66
	s_cbranch_vccz .LBB172_58
; %bb.59:
	s_clause 0x2
	s_load_b64 s[2:3], s[0:1], 0x78
	s_load_b32 s18, s[0:1], 0x58
	s_load_b32 s9, s[0:1], 0x70
	v_add_nc_u32_e32 v19, s19, v123
	v_add_nc_u32_e32 v0, s14, v122
	v_cndmask_b32_e64 v18, 0, 1, s29
	s_delay_alu instid0(VALU_DEP_3) | instskip(NEXT) | instid1(VALU_DEP_3)
	v_cmp_gt_i32_e64 s8, s17, v19
	v_cmp_gt_i32_e64 s0, s16, v0
	v_ashrrev_i32_e32 v1, 31, v0
	s_waitcnt lgkmcnt(0)
	s_mul_i32 s1, s15, s3
	v_mad_i64_i32 v[2:3], null, v19, s18, 0
	v_mad_i64_i32 v[4:5], null, v19, s9, 0
	s_mul_hi_u32 s3, s15, s2
	s_mul_i32 s4, s28, s2
	s_add_i32 s1, s3, s1
	s_mul_i32 s2, s15, s2
	s_delay_alu instid0(VALU_DEP_2) | instskip(SKIP_1) | instid1(VALU_DEP_2)
	v_lshlrev_b64 v[2:3], 3, v[2:3]
	s_add_i32 s3, s1, s4
	v_lshlrev_b64 v[4:5], 3, v[4:5]
	s_lshl_b64 s[2:3], s[2:3], 3
	s_delay_alu instid0(SALU_CYCLE_1) | instskip(NEXT) | instid1(VALU_DEP_2)
	s_add_u32 s14, s22, s2
	v_add_co_u32 v16, vcc_lo, s12, v2
	v_add_co_ci_u32_e32 v17, vcc_lo, s13, v3, vcc_lo
	s_addc_u32 s15, s23, s3
	v_add_co_u32 v20, vcc_lo, s14, v4
	v_add_co_ci_u32_e32 v21, vcc_lo, s15, v5, vcc_lo
	s_and_b32 s2, s0, s8
	s_delay_alu instid0(SALU_CYCLE_1)
	s_and_saveexec_b32 s1, s2
	s_cbranch_execz .LBB172_64
; %bb.60:
	s_and_not1_b32 vcc_lo, exec_lo, s29
	s_cbranch_vccnz .LBB172_62
; %bb.61:
	v_lshlrev_b64 v[2:3], 3, v[0:1]
	s_delay_alu instid0(VALU_DEP_1) | instskip(NEXT) | instid1(VALU_DEP_2)
	v_add_co_u32 v2, vcc_lo, v16, v2
	v_add_co_ci_u32_e32 v3, vcc_lo, v17, v3, vcc_lo
	flat_load_b64 v[2:3], v[2:3]
	s_waitcnt vmcnt(0) lgkmcnt(0)
	v_mul_f64 v[2:3], v[2:3], s[10:11]
	s_branch .LBB172_63
.LBB172_62:
	v_mov_b32_e32 v2, 0
	v_mov_b32_e32 v3, 0
.LBB172_63:
	s_delay_alu instid0(VALU_DEP_1) | instskip(SKIP_2) | instid1(VALU_DEP_1)
	v_cvt_f32_f64_e32 v2, v[2:3]
	v_max_f32_e32 v3, v131, v131
	v_lshlrev_b64 v[4:5], 3, v[0:1]
	v_add_co_u32 v4, vcc_lo, v20, v4
	s_delay_alu instid0(VALU_DEP_2) | instskip(NEXT) | instid1(VALU_DEP_4)
	v_add_co_ci_u32_e32 v5, vcc_lo, v21, v5, vcc_lo
	v_min_f32_e32 v2, v2, v3
	s_delay_alu instid0(VALU_DEP_1)
	v_cvt_f64_f32_e32 v[2:3], v2
	global_store_b64 v[4:5], v[2:3], off
.LBB172_64:
	s_or_b32 exec_lo, exec_lo, s1
	v_add_nc_u32_e32 v2, 8, v0
	s_delay_alu instid0(VALU_DEP_1) | instskip(SKIP_1) | instid1(VALU_DEP_2)
	v_cmp_gt_i32_e64 s1, s16, v2
	v_ashrrev_i32_e32 v3, 31, v2
	s_and_b32 s3, s1, s8
	s_delay_alu instid0(SALU_CYCLE_1)
	s_and_saveexec_b32 s2, s3
	s_cbranch_execz .LBB172_69
; %bb.65:
	v_cmp_ne_u32_e32 vcc_lo, 1, v18
	s_cbranch_vccnz .LBB172_67
; %bb.66:
	v_lshlrev_b64 v[4:5], 3, v[2:3]
	s_delay_alu instid0(VALU_DEP_1) | instskip(NEXT) | instid1(VALU_DEP_2)
	v_add_co_u32 v4, vcc_lo, v16, v4
	v_add_co_ci_u32_e32 v5, vcc_lo, v17, v5, vcc_lo
	flat_load_b64 v[4:5], v[4:5]
	s_waitcnt vmcnt(0) lgkmcnt(0)
	v_mul_f64 v[4:5], v[4:5], s[10:11]
	s_branch .LBB172_68
.LBB172_67:
	v_mov_b32_e32 v4, 0
	v_mov_b32_e32 v5, 0
.LBB172_68:
	s_delay_alu instid0(VALU_DEP_1) | instskip(SKIP_2) | instid1(VALU_DEP_1)
	v_cvt_f32_f64_e32 v4, v[4:5]
	v_max_f32_e32 v5, v130, v130
	v_lshlrev_b64 v[6:7], 3, v[2:3]
	v_add_co_u32 v6, vcc_lo, v20, v6
	s_delay_alu instid0(VALU_DEP_2) | instskip(NEXT) | instid1(VALU_DEP_4)
	v_add_co_ci_u32_e32 v7, vcc_lo, v21, v7, vcc_lo
	v_min_f32_e32 v4, v4, v5
	s_delay_alu instid0(VALU_DEP_1)
	v_cvt_f64_f32_e32 v[4:5], v4
	global_store_b64 v[6:7], v[4:5], off
.LBB172_69:
	s_or_b32 exec_lo, exec_lo, s2
	v_add_nc_u32_e32 v4, 16, v0
	s_delay_alu instid0(VALU_DEP_1) | instskip(SKIP_1) | instid1(VALU_DEP_2)
	v_cmp_gt_i32_e64 s2, s16, v4
	v_ashrrev_i32_e32 v5, 31, v4
	s_and_b32 s4, s2, s8
	s_delay_alu instid0(SALU_CYCLE_1)
	s_and_saveexec_b32 s3, s4
	s_cbranch_execz .LBB172_74
; %bb.70:
	v_cmp_ne_u32_e32 vcc_lo, 1, v18
	s_cbranch_vccnz .LBB172_72
; %bb.71:
	v_lshlrev_b64 v[6:7], 3, v[4:5]
	s_delay_alu instid0(VALU_DEP_1) | instskip(NEXT) | instid1(VALU_DEP_2)
	v_add_co_u32 v6, vcc_lo, v16, v6
	v_add_co_ci_u32_e32 v7, vcc_lo, v17, v7, vcc_lo
	flat_load_b64 v[6:7], v[6:7]
	s_waitcnt vmcnt(0) lgkmcnt(0)
	v_mul_f64 v[6:7], v[6:7], s[10:11]
	s_branch .LBB172_73
.LBB172_72:
	v_mov_b32_e32 v6, 0
	v_mov_b32_e32 v7, 0
.LBB172_73:
	s_delay_alu instid0(VALU_DEP_1) | instskip(SKIP_2) | instid1(VALU_DEP_1)
	v_cvt_f32_f64_e32 v6, v[6:7]
	v_max_f32_e32 v7, v129, v129
	v_lshlrev_b64 v[8:9], 3, v[4:5]
	v_add_co_u32 v8, vcc_lo, v20, v8
	s_delay_alu instid0(VALU_DEP_2) | instskip(NEXT) | instid1(VALU_DEP_4)
	v_add_co_ci_u32_e32 v9, vcc_lo, v21, v9, vcc_lo
	v_min_f32_e32 v6, v6, v7
	s_delay_alu instid0(VALU_DEP_1)
	v_cvt_f64_f32_e32 v[6:7], v6
	global_store_b64 v[8:9], v[6:7], off
.LBB172_74:
	s_or_b32 exec_lo, exec_lo, s3
	v_add_nc_u32_e32 v6, 24, v0
	s_delay_alu instid0(VALU_DEP_1) | instskip(SKIP_1) | instid1(VALU_DEP_2)
	v_cmp_gt_i32_e64 s3, s16, v6
	v_ashrrev_i32_e32 v7, 31, v6
	s_and_b32 s5, s3, s8
	s_delay_alu instid0(SALU_CYCLE_1)
	s_and_saveexec_b32 s4, s5
	s_cbranch_execz .LBB172_79
; %bb.75:
	v_cmp_ne_u32_e32 vcc_lo, 1, v18
	s_cbranch_vccnz .LBB172_77
; %bb.76:
	v_lshlrev_b64 v[8:9], 3, v[6:7]
	s_delay_alu instid0(VALU_DEP_1) | instskip(NEXT) | instid1(VALU_DEP_2)
	v_add_co_u32 v8, vcc_lo, v16, v8
	v_add_co_ci_u32_e32 v9, vcc_lo, v17, v9, vcc_lo
	flat_load_b64 v[8:9], v[8:9]
	s_waitcnt vmcnt(0) lgkmcnt(0)
	v_mul_f64 v[8:9], v[8:9], s[10:11]
	s_branch .LBB172_78
.LBB172_77:
	v_mov_b32_e32 v8, 0
	v_mov_b32_e32 v9, 0
.LBB172_78:
	s_delay_alu instid0(VALU_DEP_1) | instskip(SKIP_2) | instid1(VALU_DEP_1)
	v_cvt_f32_f64_e32 v8, v[8:9]
	v_max_f32_e32 v9, v128, v128
	v_lshlrev_b64 v[10:11], 3, v[6:7]
	v_add_co_u32 v10, vcc_lo, v20, v10
	s_delay_alu instid0(VALU_DEP_2) | instskip(NEXT) | instid1(VALU_DEP_4)
	v_add_co_ci_u32_e32 v11, vcc_lo, v21, v11, vcc_lo
	v_min_f32_e32 v8, v8, v9
	s_delay_alu instid0(VALU_DEP_1)
	v_cvt_f64_f32_e32 v[8:9], v8
	global_store_b64 v[10:11], v[8:9], off
.LBB172_79:
	s_or_b32 exec_lo, exec_lo, s4
	v_add_nc_u32_e32 v8, 32, v0
	s_delay_alu instid0(VALU_DEP_1) | instskip(SKIP_1) | instid1(VALU_DEP_2)
	v_cmp_gt_i32_e64 s4, s16, v8
	v_ashrrev_i32_e32 v9, 31, v8
	s_and_b32 s6, s4, s8
	s_delay_alu instid0(SALU_CYCLE_1)
	s_and_saveexec_b32 s5, s6
	s_cbranch_execz .LBB172_84
; %bb.80:
	v_cmp_ne_u32_e32 vcc_lo, 1, v18
	s_cbranch_vccnz .LBB172_82
; %bb.81:
	v_lshlrev_b64 v[10:11], 3, v[8:9]
	s_delay_alu instid0(VALU_DEP_1) | instskip(NEXT) | instid1(VALU_DEP_2)
	v_add_co_u32 v10, vcc_lo, v16, v10
	v_add_co_ci_u32_e32 v11, vcc_lo, v17, v11, vcc_lo
	flat_load_b64 v[10:11], v[10:11]
	s_waitcnt vmcnt(0) lgkmcnt(0)
	v_mul_f64 v[10:11], v[10:11], s[10:11]
	s_branch .LBB172_83
.LBB172_82:
	v_mov_b32_e32 v10, 0
	v_mov_b32_e32 v11, 0
.LBB172_83:
	s_delay_alu instid0(VALU_DEP_1) | instskip(SKIP_2) | instid1(VALU_DEP_1)
	v_cvt_f32_f64_e32 v10, v[10:11]
	v_max_f32_e32 v11, v127, v127
	v_lshlrev_b64 v[12:13], 3, v[8:9]
	v_add_co_u32 v12, vcc_lo, v20, v12
	s_delay_alu instid0(VALU_DEP_2) | instskip(NEXT) | instid1(VALU_DEP_4)
	v_add_co_ci_u32_e32 v13, vcc_lo, v21, v13, vcc_lo
	v_min_f32_e32 v10, v10, v11
	s_delay_alu instid0(VALU_DEP_1)
	v_cvt_f64_f32_e32 v[10:11], v10
	global_store_b64 v[12:13], v[10:11], off
.LBB172_84:
	s_or_b32 exec_lo, exec_lo, s5
	v_add_nc_u32_e32 v10, 40, v0
	s_delay_alu instid0(VALU_DEP_1) | instskip(SKIP_1) | instid1(VALU_DEP_2)
	v_cmp_gt_i32_e64 s5, s16, v10
	v_ashrrev_i32_e32 v11, 31, v10
	s_and_b32 s7, s5, s8
	s_delay_alu instid0(SALU_CYCLE_1)
	s_and_saveexec_b32 s6, s7
	s_cbranch_execz .LBB172_89
; %bb.85:
	v_cmp_ne_u32_e32 vcc_lo, 1, v18
	s_cbranch_vccnz .LBB172_87
; %bb.86:
	v_lshlrev_b64 v[12:13], 3, v[10:11]
	s_delay_alu instid0(VALU_DEP_1) | instskip(NEXT) | instid1(VALU_DEP_2)
	v_add_co_u32 v12, vcc_lo, v16, v12
	v_add_co_ci_u32_e32 v13, vcc_lo, v17, v13, vcc_lo
	flat_load_b64 v[12:13], v[12:13]
	s_waitcnt vmcnt(0) lgkmcnt(0)
	v_mul_f64 v[12:13], v[12:13], s[10:11]
	s_branch .LBB172_88
.LBB172_87:
	v_mov_b32_e32 v12, 0
	v_mov_b32_e32 v13, 0
.LBB172_88:
	s_delay_alu instid0(VALU_DEP_1) | instskip(SKIP_2) | instid1(VALU_DEP_1)
	v_cvt_f32_f64_e32 v12, v[12:13]
	v_max_f32_e32 v13, v126, v126
	v_lshlrev_b64 v[14:15], 3, v[10:11]
	v_add_co_u32 v14, vcc_lo, v20, v14
	s_delay_alu instid0(VALU_DEP_2) | instskip(NEXT) | instid1(VALU_DEP_4)
	v_add_co_ci_u32_e32 v15, vcc_lo, v21, v15, vcc_lo
	v_min_f32_e32 v12, v12, v13
	s_delay_alu instid0(VALU_DEP_1)
	v_cvt_f64_f32_e32 v[12:13], v12
	global_store_b64 v[14:15], v[12:13], off
.LBB172_89:
	s_or_b32 exec_lo, exec_lo, s6
	v_add_nc_u32_e32 v12, 48, v0
	s_delay_alu instid0(VALU_DEP_1) | instskip(SKIP_1) | instid1(VALU_DEP_2)
	v_cmp_gt_i32_e64 s6, s16, v12
	v_ashrrev_i32_e32 v13, 31, v12
	s_and_b32 s19, s6, s8
	s_delay_alu instid0(SALU_CYCLE_1)
	s_and_saveexec_b32 s7, s19
	s_cbranch_execz .LBB172_94
; %bb.90:
	v_cmp_ne_u32_e32 vcc_lo, 1, v18
	s_cbranch_vccnz .LBB172_92
; %bb.91:
	v_lshlrev_b64 v[14:15], 3, v[12:13]
	s_delay_alu instid0(VALU_DEP_1) | instskip(NEXT) | instid1(VALU_DEP_2)
	v_add_co_u32 v14, vcc_lo, v16, v14
	v_add_co_ci_u32_e32 v15, vcc_lo, v17, v15, vcc_lo
	flat_load_b64 v[14:15], v[14:15]
	s_waitcnt vmcnt(0) lgkmcnt(0)
	v_mul_f64 v[14:15], v[14:15], s[10:11]
	s_branch .LBB172_93
.LBB172_92:
	v_mov_b32_e32 v14, 0
	v_mov_b32_e32 v15, 0
.LBB172_93:
	s_delay_alu instid0(VALU_DEP_1) | instskip(SKIP_2) | instid1(VALU_DEP_1)
	v_cvt_f32_f64_e32 v14, v[14:15]
	v_max_f32_e32 v15, v125, v125
	v_lshlrev_b64 v[22:23], 3, v[12:13]
	v_add_co_u32 v22, vcc_lo, v20, v22
	s_delay_alu instid0(VALU_DEP_2) | instskip(NEXT) | instid1(VALU_DEP_4)
	v_add_co_ci_u32_e32 v23, vcc_lo, v21, v23, vcc_lo
	v_min_f32_e32 v14, v14, v15
	s_delay_alu instid0(VALU_DEP_1)
	v_cvt_f64_f32_e32 v[14:15], v14
	global_store_b64 v[22:23], v[14:15], off
.LBB172_94:
	s_or_b32 exec_lo, exec_lo, s7
	v_add_nc_u32_e32 v14, 56, v0
	s_delay_alu instid0(VALU_DEP_1) | instskip(SKIP_1) | instid1(VALU_DEP_2)
	v_cmp_gt_i32_e64 s7, s16, v14
	v_ashrrev_i32_e32 v15, 31, v14
	s_and_b32 s16, s7, s8
	s_delay_alu instid0(SALU_CYCLE_1)
	s_and_saveexec_b32 s8, s16
	s_cbranch_execz .LBB172_99
; %bb.95:
	v_cmp_ne_u32_e32 vcc_lo, 1, v18
	s_cbranch_vccnz .LBB172_97
; %bb.96:
	v_lshlrev_b64 v[22:23], 3, v[14:15]
	s_delay_alu instid0(VALU_DEP_1) | instskip(NEXT) | instid1(VALU_DEP_2)
	v_add_co_u32 v16, vcc_lo, v16, v22
	v_add_co_ci_u32_e32 v17, vcc_lo, v17, v23, vcc_lo
	flat_load_b64 v[16:17], v[16:17]
	s_waitcnt vmcnt(0) lgkmcnt(0)
	v_mul_f64 v[16:17], v[16:17], s[10:11]
	s_branch .LBB172_98
.LBB172_97:
	v_mov_b32_e32 v16, 0
	v_mov_b32_e32 v17, 0
.LBB172_98:
	s_delay_alu instid0(VALU_DEP_1) | instskip(SKIP_2) | instid1(VALU_DEP_1)
	v_cvt_f32_f64_e32 v16, v[16:17]
	v_max_f32_e32 v17, v124, v124
	v_lshlrev_b64 v[22:23], 3, v[14:15]
	v_add_co_u32 v20, vcc_lo, v20, v22
	s_delay_alu instid0(VALU_DEP_2) | instskip(NEXT) | instid1(VALU_DEP_4)
	v_add_co_ci_u32_e32 v21, vcc_lo, v21, v23, vcc_lo
	v_min_f32_e32 v16, v16, v17
	s_delay_alu instid0(VALU_DEP_1)
	v_cvt_f64_f32_e32 v[16:17], v16
	global_store_b64 v[20:21], v[16:17], off
.LBB172_99:
	s_or_b32 exec_lo, exec_lo, s8
	v_add_nc_u32_e32 v22, 32, v19
	s_delay_alu instid0(VALU_DEP_1) | instskip(SKIP_2) | instid1(VALU_DEP_3)
	v_mad_i64_i32 v[16:17], null, v22, s18, 0
	v_mad_i64_i32 v[20:21], null, v22, s9, 0
	v_cmp_gt_i32_e64 s8, s17, v22
	v_lshlrev_b64 v[16:17], 3, v[16:17]
	s_delay_alu instid0(VALU_DEP_2) | instskip(NEXT) | instid1(VALU_DEP_3)
	s_and_b32 s19, s0, s8
	v_lshlrev_b64 v[20:21], 3, v[20:21]
	s_delay_alu instid0(VALU_DEP_2) | instskip(NEXT) | instid1(VALU_DEP_3)
	v_add_co_u32 v22, vcc_lo, s12, v16
	v_add_co_ci_u32_e32 v23, vcc_lo, s13, v17, vcc_lo
	s_delay_alu instid0(VALU_DEP_3) | instskip(NEXT) | instid1(VALU_DEP_4)
	v_add_co_u32 v20, vcc_lo, s14, v20
	v_add_co_ci_u32_e32 v21, vcc_lo, s15, v21, vcc_lo
	s_and_saveexec_b32 s16, s19
	s_cbranch_execnz .LBB172_107
; %bb.100:
	s_or_b32 exec_lo, exec_lo, s16
	s_and_b32 s19, s1, s8
	s_delay_alu instid0(SALU_CYCLE_1)
	s_and_saveexec_b32 s16, s19
	s_cbranch_execnz .LBB172_111
.LBB172_101:
	s_or_b32 exec_lo, exec_lo, s16
	s_and_b32 s19, s2, s8
	s_delay_alu instid0(SALU_CYCLE_1)
	s_and_saveexec_b32 s16, s19
	s_cbranch_execnz .LBB172_115
.LBB172_102:
	s_or_b32 exec_lo, exec_lo, s16
	s_and_b32 s19, s3, s8
	s_delay_alu instid0(SALU_CYCLE_1)
	s_and_saveexec_b32 s16, s19
	s_cbranch_execnz .LBB172_119
.LBB172_103:
	s_or_b32 exec_lo, exec_lo, s16
	s_and_b32 s19, s4, s8
	s_delay_alu instid0(SALU_CYCLE_1)
	s_and_saveexec_b32 s16, s19
	s_cbranch_execnz .LBB172_123
.LBB172_104:
	s_or_b32 exec_lo, exec_lo, s16
	s_and_b32 s19, s5, s8
	s_delay_alu instid0(SALU_CYCLE_1)
	s_and_saveexec_b32 s16, s19
	s_cbranch_execnz .LBB172_127
.LBB172_105:
	s_or_b32 exec_lo, exec_lo, s16
	s_and_b32 s19, s6, s8
	s_delay_alu instid0(SALU_CYCLE_1)
	s_and_saveexec_b32 s16, s19
	s_cbranch_execnz .LBB172_131
.LBB172_106:
	s_or_b32 exec_lo, exec_lo, s16
	s_and_b32 s16, s7, s8
	s_delay_alu instid0(SALU_CYCLE_1)
	s_and_saveexec_b32 s8, s16
	s_cbranch_execnz .LBB172_135
	s_branch .LBB172_139
.LBB172_107:
	v_cmp_ne_u32_e32 vcc_lo, 1, v18
	s_cbranch_vccnz .LBB172_109
; %bb.108:
	v_lshlrev_b64 v[16:17], 3, v[0:1]
	s_delay_alu instid0(VALU_DEP_1) | instskip(NEXT) | instid1(VALU_DEP_2)
	v_add_co_u32 v16, vcc_lo, v22, v16
	v_add_co_ci_u32_e32 v17, vcc_lo, v23, v17, vcc_lo
	flat_load_b64 v[16:17], v[16:17]
	s_waitcnt vmcnt(0) lgkmcnt(0)
	v_mul_f64 v[16:17], v[16:17], s[10:11]
	s_branch .LBB172_110
.LBB172_109:
	v_mov_b32_e32 v16, 0
	v_mov_b32_e32 v17, 0
.LBB172_110:
	s_delay_alu instid0(VALU_DEP_1) | instskip(SKIP_2) | instid1(VALU_DEP_1)
	v_cvt_f32_f64_e32 v16, v[16:17]
	v_max_f32_e32 v17, v121, v121
	v_lshlrev_b64 v[24:25], 3, v[0:1]
	v_add_co_u32 v24, vcc_lo, v20, v24
	s_delay_alu instid0(VALU_DEP_2) | instskip(NEXT) | instid1(VALU_DEP_4)
	v_add_co_ci_u32_e32 v25, vcc_lo, v21, v25, vcc_lo
	v_min_f32_e32 v16, v16, v17
	s_delay_alu instid0(VALU_DEP_1) | instskip(SKIP_3) | instid1(SALU_CYCLE_1)
	v_cvt_f64_f32_e32 v[16:17], v16
	global_store_b64 v[24:25], v[16:17], off
	s_or_b32 exec_lo, exec_lo, s16
	s_and_b32 s19, s1, s8
	s_and_saveexec_b32 s16, s19
	s_cbranch_execz .LBB172_101
.LBB172_111:
	v_cmp_ne_u32_e32 vcc_lo, 1, v18
	s_cbranch_vccnz .LBB172_113
; %bb.112:
	v_lshlrev_b64 v[16:17], 3, v[2:3]
	s_delay_alu instid0(VALU_DEP_1) | instskip(NEXT) | instid1(VALU_DEP_2)
	v_add_co_u32 v16, vcc_lo, v22, v16
	v_add_co_ci_u32_e32 v17, vcc_lo, v23, v17, vcc_lo
	flat_load_b64 v[16:17], v[16:17]
	s_waitcnt vmcnt(0) lgkmcnt(0)
	v_mul_f64 v[16:17], v[16:17], s[10:11]
	s_branch .LBB172_114
.LBB172_113:
	v_mov_b32_e32 v16, 0
	v_mov_b32_e32 v17, 0
.LBB172_114:
	s_delay_alu instid0(VALU_DEP_1) | instskip(SKIP_2) | instid1(VALU_DEP_1)
	v_cvt_f32_f64_e32 v16, v[16:17]
	v_max_f32_e32 v17, v120, v120
	v_lshlrev_b64 v[24:25], 3, v[2:3]
	v_add_co_u32 v24, vcc_lo, v20, v24
	s_delay_alu instid0(VALU_DEP_2) | instskip(NEXT) | instid1(VALU_DEP_4)
	v_add_co_ci_u32_e32 v25, vcc_lo, v21, v25, vcc_lo
	v_min_f32_e32 v16, v16, v17
	s_delay_alu instid0(VALU_DEP_1) | instskip(SKIP_3) | instid1(SALU_CYCLE_1)
	v_cvt_f64_f32_e32 v[16:17], v16
	global_store_b64 v[24:25], v[16:17], off
	s_or_b32 exec_lo, exec_lo, s16
	s_and_b32 s19, s2, s8
	s_and_saveexec_b32 s16, s19
	s_cbranch_execz .LBB172_102
.LBB172_115:
	v_cmp_ne_u32_e32 vcc_lo, 1, v18
	s_cbranch_vccnz .LBB172_117
; %bb.116:
	v_lshlrev_b64 v[16:17], 3, v[4:5]
	s_delay_alu instid0(VALU_DEP_1) | instskip(NEXT) | instid1(VALU_DEP_2)
	v_add_co_u32 v16, vcc_lo, v22, v16
	v_add_co_ci_u32_e32 v17, vcc_lo, v23, v17, vcc_lo
	flat_load_b64 v[16:17], v[16:17]
	s_waitcnt vmcnt(0) lgkmcnt(0)
	v_mul_f64 v[16:17], v[16:17], s[10:11]
	s_branch .LBB172_118
.LBB172_117:
	v_mov_b32_e32 v16, 0
	v_mov_b32_e32 v17, 0
.LBB172_118:
	s_delay_alu instid0(VALU_DEP_1) | instskip(SKIP_2) | instid1(VALU_DEP_1)
	v_cvt_f32_f64_e32 v16, v[16:17]
	v_max_f32_e32 v17, v119, v119
	v_lshlrev_b64 v[24:25], 3, v[4:5]
	v_add_co_u32 v24, vcc_lo, v20, v24
	s_delay_alu instid0(VALU_DEP_2) | instskip(NEXT) | instid1(VALU_DEP_4)
	v_add_co_ci_u32_e32 v25, vcc_lo, v21, v25, vcc_lo
	v_min_f32_e32 v16, v16, v17
	s_delay_alu instid0(VALU_DEP_1) | instskip(SKIP_3) | instid1(SALU_CYCLE_1)
	v_cvt_f64_f32_e32 v[16:17], v16
	global_store_b64 v[24:25], v[16:17], off
	s_or_b32 exec_lo, exec_lo, s16
	s_and_b32 s19, s3, s8
	s_and_saveexec_b32 s16, s19
	s_cbranch_execz .LBB172_103
.LBB172_119:
	v_cmp_ne_u32_e32 vcc_lo, 1, v18
	s_cbranch_vccnz .LBB172_121
; %bb.120:
	v_lshlrev_b64 v[16:17], 3, v[6:7]
	s_delay_alu instid0(VALU_DEP_1) | instskip(NEXT) | instid1(VALU_DEP_2)
	v_add_co_u32 v16, vcc_lo, v22, v16
	v_add_co_ci_u32_e32 v17, vcc_lo, v23, v17, vcc_lo
	flat_load_b64 v[16:17], v[16:17]
	s_waitcnt vmcnt(0) lgkmcnt(0)
	v_mul_f64 v[16:17], v[16:17], s[10:11]
	s_branch .LBB172_122
.LBB172_121:
	v_mov_b32_e32 v16, 0
	v_mov_b32_e32 v17, 0
.LBB172_122:
	s_delay_alu instid0(VALU_DEP_1) | instskip(SKIP_2) | instid1(VALU_DEP_1)
	v_cvt_f32_f64_e32 v16, v[16:17]
	v_max_f32_e32 v17, v118, v118
	v_lshlrev_b64 v[24:25], 3, v[6:7]
	v_add_co_u32 v24, vcc_lo, v20, v24
	s_delay_alu instid0(VALU_DEP_2) | instskip(NEXT) | instid1(VALU_DEP_4)
	v_add_co_ci_u32_e32 v25, vcc_lo, v21, v25, vcc_lo
	v_min_f32_e32 v16, v16, v17
	s_delay_alu instid0(VALU_DEP_1) | instskip(SKIP_3) | instid1(SALU_CYCLE_1)
	v_cvt_f64_f32_e32 v[16:17], v16
	global_store_b64 v[24:25], v[16:17], off
	s_or_b32 exec_lo, exec_lo, s16
	s_and_b32 s19, s4, s8
	s_and_saveexec_b32 s16, s19
	s_cbranch_execz .LBB172_104
.LBB172_123:
	v_cmp_ne_u32_e32 vcc_lo, 1, v18
	s_cbranch_vccnz .LBB172_125
; %bb.124:
	v_lshlrev_b64 v[16:17], 3, v[8:9]
	s_delay_alu instid0(VALU_DEP_1) | instskip(NEXT) | instid1(VALU_DEP_2)
	v_add_co_u32 v16, vcc_lo, v22, v16
	v_add_co_ci_u32_e32 v17, vcc_lo, v23, v17, vcc_lo
	flat_load_b64 v[16:17], v[16:17]
	s_waitcnt vmcnt(0) lgkmcnt(0)
	v_mul_f64 v[16:17], v[16:17], s[10:11]
	s_branch .LBB172_126
.LBB172_125:
	v_mov_b32_e32 v16, 0
	v_mov_b32_e32 v17, 0
.LBB172_126:
	s_delay_alu instid0(VALU_DEP_1) | instskip(SKIP_2) | instid1(VALU_DEP_1)
	v_cvt_f32_f64_e32 v16, v[16:17]
	v_max_f32_e32 v17, v117, v117
	v_lshlrev_b64 v[24:25], 3, v[8:9]
	v_add_co_u32 v24, vcc_lo, v20, v24
	s_delay_alu instid0(VALU_DEP_2) | instskip(NEXT) | instid1(VALU_DEP_4)
	v_add_co_ci_u32_e32 v25, vcc_lo, v21, v25, vcc_lo
	v_min_f32_e32 v16, v16, v17
	s_delay_alu instid0(VALU_DEP_1) | instskip(SKIP_3) | instid1(SALU_CYCLE_1)
	v_cvt_f64_f32_e32 v[16:17], v16
	global_store_b64 v[24:25], v[16:17], off
	s_or_b32 exec_lo, exec_lo, s16
	s_and_b32 s19, s5, s8
	s_and_saveexec_b32 s16, s19
	s_cbranch_execz .LBB172_105
.LBB172_127:
	v_cmp_ne_u32_e32 vcc_lo, 1, v18
	s_cbranch_vccnz .LBB172_129
; %bb.128:
	v_lshlrev_b64 v[16:17], 3, v[10:11]
	s_delay_alu instid0(VALU_DEP_1) | instskip(NEXT) | instid1(VALU_DEP_2)
	v_add_co_u32 v16, vcc_lo, v22, v16
	v_add_co_ci_u32_e32 v17, vcc_lo, v23, v17, vcc_lo
	flat_load_b64 v[16:17], v[16:17]
	s_waitcnt vmcnt(0) lgkmcnt(0)
	v_mul_f64 v[16:17], v[16:17], s[10:11]
	s_branch .LBB172_130
.LBB172_129:
	v_mov_b32_e32 v16, 0
	v_mov_b32_e32 v17, 0
.LBB172_130:
	s_delay_alu instid0(VALU_DEP_1) | instskip(SKIP_2) | instid1(VALU_DEP_1)
	v_cvt_f32_f64_e32 v16, v[16:17]
	v_max_f32_e32 v17, v116, v116
	v_lshlrev_b64 v[24:25], 3, v[10:11]
	v_add_co_u32 v24, vcc_lo, v20, v24
	s_delay_alu instid0(VALU_DEP_2) | instskip(NEXT) | instid1(VALU_DEP_4)
	v_add_co_ci_u32_e32 v25, vcc_lo, v21, v25, vcc_lo
	v_min_f32_e32 v16, v16, v17
	s_delay_alu instid0(VALU_DEP_1) | instskip(SKIP_3) | instid1(SALU_CYCLE_1)
	v_cvt_f64_f32_e32 v[16:17], v16
	global_store_b64 v[24:25], v[16:17], off
	s_or_b32 exec_lo, exec_lo, s16
	s_and_b32 s19, s6, s8
	s_and_saveexec_b32 s16, s19
	s_cbranch_execz .LBB172_106
.LBB172_131:
	v_cmp_ne_u32_e32 vcc_lo, 1, v18
	s_cbranch_vccnz .LBB172_133
; %bb.132:
	v_lshlrev_b64 v[16:17], 3, v[12:13]
	s_delay_alu instid0(VALU_DEP_1) | instskip(NEXT) | instid1(VALU_DEP_2)
	v_add_co_u32 v16, vcc_lo, v22, v16
	v_add_co_ci_u32_e32 v17, vcc_lo, v23, v17, vcc_lo
	flat_load_b64 v[16:17], v[16:17]
	s_waitcnt vmcnt(0) lgkmcnt(0)
	v_mul_f64 v[16:17], v[16:17], s[10:11]
	s_branch .LBB172_134
.LBB172_133:
	v_mov_b32_e32 v16, 0
	v_mov_b32_e32 v17, 0
.LBB172_134:
	s_delay_alu instid0(VALU_DEP_1) | instskip(SKIP_2) | instid1(VALU_DEP_1)
	v_cvt_f32_f64_e32 v16, v[16:17]
	v_max_f32_e32 v17, v115, v115
	v_lshlrev_b64 v[24:25], 3, v[12:13]
	v_add_co_u32 v24, vcc_lo, v20, v24
	s_delay_alu instid0(VALU_DEP_2) | instskip(NEXT) | instid1(VALU_DEP_4)
	v_add_co_ci_u32_e32 v25, vcc_lo, v21, v25, vcc_lo
	v_min_f32_e32 v16, v16, v17
	s_delay_alu instid0(VALU_DEP_1) | instskip(SKIP_3) | instid1(SALU_CYCLE_1)
	v_cvt_f64_f32_e32 v[16:17], v16
	global_store_b64 v[24:25], v[16:17], off
	s_or_b32 exec_lo, exec_lo, s16
	s_and_b32 s16, s7, s8
	s_and_saveexec_b32 s8, s16
	s_cbranch_execz .LBB172_139
.LBB172_135:
	v_cmp_ne_u32_e32 vcc_lo, 1, v18
	s_cbranch_vccnz .LBB172_137
; %bb.136:
	v_lshlrev_b64 v[16:17], 3, v[14:15]
	s_delay_alu instid0(VALU_DEP_1) | instskip(NEXT) | instid1(VALU_DEP_2)
	v_add_co_u32 v16, vcc_lo, v22, v16
	v_add_co_ci_u32_e32 v17, vcc_lo, v23, v17, vcc_lo
	flat_load_b64 v[16:17], v[16:17]
	s_waitcnt vmcnt(0) lgkmcnt(0)
	v_mul_f64 v[16:17], v[16:17], s[10:11]
	s_branch .LBB172_138
.LBB172_137:
	v_mov_b32_e32 v16, 0
	v_mov_b32_e32 v17, 0
.LBB172_138:
	s_delay_alu instid0(VALU_DEP_1) | instskip(SKIP_2) | instid1(VALU_DEP_1)
	v_cvt_f32_f64_e32 v16, v[16:17]
	v_max_f32_e32 v17, v114, v114
	v_lshlrev_b64 v[22:23], 3, v[14:15]
	v_add_co_u32 v20, vcc_lo, v20, v22
	s_delay_alu instid0(VALU_DEP_2) | instskip(NEXT) | instid1(VALU_DEP_4)
	v_add_co_ci_u32_e32 v21, vcc_lo, v21, v23, vcc_lo
	v_min_f32_e32 v16, v16, v17
	s_delay_alu instid0(VALU_DEP_1)
	v_cvt_f64_f32_e32 v[16:17], v16
	global_store_b64 v[20:21], v[16:17], off
.LBB172_139:
	s_or_b32 exec_lo, exec_lo, s8
	v_add_nc_u32_e32 v22, 64, v19
	s_delay_alu instid0(VALU_DEP_1) | instskip(SKIP_2) | instid1(VALU_DEP_3)
	v_mad_i64_i32 v[16:17], null, v22, s18, 0
	v_mad_i64_i32 v[20:21], null, v22, s9, 0
	v_cmp_gt_i32_e64 s8, s17, v22
	v_lshlrev_b64 v[16:17], 3, v[16:17]
	s_delay_alu instid0(VALU_DEP_2) | instskip(NEXT) | instid1(VALU_DEP_3)
	s_and_b32 s19, s0, s8
	v_lshlrev_b64 v[20:21], 3, v[20:21]
	s_delay_alu instid0(VALU_DEP_2) | instskip(NEXT) | instid1(VALU_DEP_3)
	v_add_co_u32 v22, vcc_lo, s12, v16
	v_add_co_ci_u32_e32 v23, vcc_lo, s13, v17, vcc_lo
	s_delay_alu instid0(VALU_DEP_3) | instskip(NEXT) | instid1(VALU_DEP_4)
	v_add_co_u32 v20, vcc_lo, s14, v20
	v_add_co_ci_u32_e32 v21, vcc_lo, s15, v21, vcc_lo
	s_and_saveexec_b32 s16, s19
	s_cbranch_execnz .LBB172_147
; %bb.140:
	s_or_b32 exec_lo, exec_lo, s16
	s_and_b32 s19, s1, s8
	s_delay_alu instid0(SALU_CYCLE_1)
	s_and_saveexec_b32 s16, s19
	s_cbranch_execnz .LBB172_151
.LBB172_141:
	s_or_b32 exec_lo, exec_lo, s16
	s_and_b32 s19, s2, s8
	s_delay_alu instid0(SALU_CYCLE_1)
	s_and_saveexec_b32 s16, s19
	s_cbranch_execnz .LBB172_155
.LBB172_142:
	s_or_b32 exec_lo, exec_lo, s16
	s_and_b32 s19, s3, s8
	s_delay_alu instid0(SALU_CYCLE_1)
	s_and_saveexec_b32 s16, s19
	s_cbranch_execnz .LBB172_159
.LBB172_143:
	s_or_b32 exec_lo, exec_lo, s16
	s_and_b32 s19, s4, s8
	s_delay_alu instid0(SALU_CYCLE_1)
	s_and_saveexec_b32 s16, s19
	s_cbranch_execnz .LBB172_163
.LBB172_144:
	s_or_b32 exec_lo, exec_lo, s16
	s_and_b32 s19, s5, s8
	s_delay_alu instid0(SALU_CYCLE_1)
	s_and_saveexec_b32 s16, s19
	s_cbranch_execnz .LBB172_167
.LBB172_145:
	s_or_b32 exec_lo, exec_lo, s16
	s_and_b32 s19, s6, s8
	s_delay_alu instid0(SALU_CYCLE_1)
	s_and_saveexec_b32 s16, s19
	s_cbranch_execnz .LBB172_171
.LBB172_146:
	s_or_b32 exec_lo, exec_lo, s16
	s_and_b32 s16, s7, s8
	s_delay_alu instid0(SALU_CYCLE_1)
	s_and_saveexec_b32 s8, s16
	s_cbranch_execnz .LBB172_175
	s_branch .LBB172_179
.LBB172_147:
	v_cmp_ne_u32_e32 vcc_lo, 1, v18
	s_cbranch_vccnz .LBB172_149
; %bb.148:
	v_lshlrev_b64 v[16:17], 3, v[0:1]
	s_delay_alu instid0(VALU_DEP_1) | instskip(NEXT) | instid1(VALU_DEP_2)
	v_add_co_u32 v16, vcc_lo, v22, v16
	v_add_co_ci_u32_e32 v17, vcc_lo, v23, v17, vcc_lo
	flat_load_b64 v[16:17], v[16:17]
	s_waitcnt vmcnt(0) lgkmcnt(0)
	v_mul_f64 v[16:17], v[16:17], s[10:11]
	s_branch .LBB172_150
.LBB172_149:
	v_mov_b32_e32 v16, 0
	v_mov_b32_e32 v17, 0
.LBB172_150:
	s_delay_alu instid0(VALU_DEP_1) | instskip(SKIP_2) | instid1(VALU_DEP_1)
	v_cvt_f32_f64_e32 v16, v[16:17]
	v_max_f32_e32 v17, v113, v113
	v_lshlrev_b64 v[24:25], 3, v[0:1]
	v_add_co_u32 v24, vcc_lo, v20, v24
	s_delay_alu instid0(VALU_DEP_2) | instskip(NEXT) | instid1(VALU_DEP_4)
	v_add_co_ci_u32_e32 v25, vcc_lo, v21, v25, vcc_lo
	v_min_f32_e32 v16, v16, v17
	s_delay_alu instid0(VALU_DEP_1) | instskip(SKIP_3) | instid1(SALU_CYCLE_1)
	v_cvt_f64_f32_e32 v[16:17], v16
	global_store_b64 v[24:25], v[16:17], off
	s_or_b32 exec_lo, exec_lo, s16
	s_and_b32 s19, s1, s8
	s_and_saveexec_b32 s16, s19
	s_cbranch_execz .LBB172_141
.LBB172_151:
	v_cmp_ne_u32_e32 vcc_lo, 1, v18
	s_cbranch_vccnz .LBB172_153
; %bb.152:
	v_lshlrev_b64 v[16:17], 3, v[2:3]
	s_delay_alu instid0(VALU_DEP_1) | instskip(NEXT) | instid1(VALU_DEP_2)
	v_add_co_u32 v16, vcc_lo, v22, v16
	v_add_co_ci_u32_e32 v17, vcc_lo, v23, v17, vcc_lo
	flat_load_b64 v[16:17], v[16:17]
	s_waitcnt vmcnt(0) lgkmcnt(0)
	v_mul_f64 v[16:17], v[16:17], s[10:11]
	s_branch .LBB172_154
.LBB172_153:
	v_mov_b32_e32 v16, 0
	v_mov_b32_e32 v17, 0
.LBB172_154:
	s_delay_alu instid0(VALU_DEP_1) | instskip(SKIP_2) | instid1(VALU_DEP_1)
	v_cvt_f32_f64_e32 v16, v[16:17]
	v_max_f32_e32 v17, v112, v112
	v_lshlrev_b64 v[24:25], 3, v[2:3]
	v_add_co_u32 v24, vcc_lo, v20, v24
	s_delay_alu instid0(VALU_DEP_2) | instskip(NEXT) | instid1(VALU_DEP_4)
	v_add_co_ci_u32_e32 v25, vcc_lo, v21, v25, vcc_lo
	v_min_f32_e32 v16, v16, v17
	s_delay_alu instid0(VALU_DEP_1) | instskip(SKIP_3) | instid1(SALU_CYCLE_1)
	v_cvt_f64_f32_e32 v[16:17], v16
	global_store_b64 v[24:25], v[16:17], off
	s_or_b32 exec_lo, exec_lo, s16
	s_and_b32 s19, s2, s8
	s_and_saveexec_b32 s16, s19
	s_cbranch_execz .LBB172_142
.LBB172_155:
	v_cmp_ne_u32_e32 vcc_lo, 1, v18
	s_cbranch_vccnz .LBB172_157
; %bb.156:
	v_lshlrev_b64 v[16:17], 3, v[4:5]
	s_delay_alu instid0(VALU_DEP_1) | instskip(NEXT) | instid1(VALU_DEP_2)
	v_add_co_u32 v16, vcc_lo, v22, v16
	v_add_co_ci_u32_e32 v17, vcc_lo, v23, v17, vcc_lo
	flat_load_b64 v[16:17], v[16:17]
	s_waitcnt vmcnt(0) lgkmcnt(0)
	v_mul_f64 v[16:17], v[16:17], s[10:11]
	s_branch .LBB172_158
.LBB172_157:
	v_mov_b32_e32 v16, 0
	v_mov_b32_e32 v17, 0
.LBB172_158:
	s_delay_alu instid0(VALU_DEP_1) | instskip(SKIP_2) | instid1(VALU_DEP_1)
	v_cvt_f32_f64_e32 v16, v[16:17]
	v_max_f32_e32 v17, v111, v111
	v_lshlrev_b64 v[24:25], 3, v[4:5]
	v_add_co_u32 v24, vcc_lo, v20, v24
	s_delay_alu instid0(VALU_DEP_2) | instskip(NEXT) | instid1(VALU_DEP_4)
	v_add_co_ci_u32_e32 v25, vcc_lo, v21, v25, vcc_lo
	v_min_f32_e32 v16, v16, v17
	s_delay_alu instid0(VALU_DEP_1) | instskip(SKIP_3) | instid1(SALU_CYCLE_1)
	v_cvt_f64_f32_e32 v[16:17], v16
	global_store_b64 v[24:25], v[16:17], off
	s_or_b32 exec_lo, exec_lo, s16
	s_and_b32 s19, s3, s8
	s_and_saveexec_b32 s16, s19
	s_cbranch_execz .LBB172_143
.LBB172_159:
	v_cmp_ne_u32_e32 vcc_lo, 1, v18
	s_cbranch_vccnz .LBB172_161
; %bb.160:
	v_lshlrev_b64 v[16:17], 3, v[6:7]
	s_delay_alu instid0(VALU_DEP_1) | instskip(NEXT) | instid1(VALU_DEP_2)
	v_add_co_u32 v16, vcc_lo, v22, v16
	v_add_co_ci_u32_e32 v17, vcc_lo, v23, v17, vcc_lo
	flat_load_b64 v[16:17], v[16:17]
	s_waitcnt vmcnt(0) lgkmcnt(0)
	v_mul_f64 v[16:17], v[16:17], s[10:11]
	s_branch .LBB172_162
.LBB172_161:
	v_mov_b32_e32 v16, 0
	v_mov_b32_e32 v17, 0
.LBB172_162:
	s_delay_alu instid0(VALU_DEP_1) | instskip(SKIP_2) | instid1(VALU_DEP_1)
	v_cvt_f32_f64_e32 v16, v[16:17]
	v_max_f32_e32 v17, v110, v110
	v_lshlrev_b64 v[24:25], 3, v[6:7]
	v_add_co_u32 v24, vcc_lo, v20, v24
	s_delay_alu instid0(VALU_DEP_2) | instskip(NEXT) | instid1(VALU_DEP_4)
	v_add_co_ci_u32_e32 v25, vcc_lo, v21, v25, vcc_lo
	v_min_f32_e32 v16, v16, v17
	s_delay_alu instid0(VALU_DEP_1) | instskip(SKIP_3) | instid1(SALU_CYCLE_1)
	v_cvt_f64_f32_e32 v[16:17], v16
	global_store_b64 v[24:25], v[16:17], off
	s_or_b32 exec_lo, exec_lo, s16
	s_and_b32 s19, s4, s8
	s_and_saveexec_b32 s16, s19
	s_cbranch_execz .LBB172_144
.LBB172_163:
	v_cmp_ne_u32_e32 vcc_lo, 1, v18
	s_cbranch_vccnz .LBB172_165
; %bb.164:
	v_lshlrev_b64 v[16:17], 3, v[8:9]
	s_delay_alu instid0(VALU_DEP_1) | instskip(NEXT) | instid1(VALU_DEP_2)
	v_add_co_u32 v16, vcc_lo, v22, v16
	v_add_co_ci_u32_e32 v17, vcc_lo, v23, v17, vcc_lo
	flat_load_b64 v[16:17], v[16:17]
	s_waitcnt vmcnt(0) lgkmcnt(0)
	v_mul_f64 v[16:17], v[16:17], s[10:11]
	s_branch .LBB172_166
.LBB172_165:
	v_mov_b32_e32 v16, 0
	v_mov_b32_e32 v17, 0
.LBB172_166:
	s_delay_alu instid0(VALU_DEP_1) | instskip(SKIP_2) | instid1(VALU_DEP_1)
	v_cvt_f32_f64_e32 v16, v[16:17]
	v_max_f32_e32 v17, v109, v109
	v_lshlrev_b64 v[24:25], 3, v[8:9]
	v_add_co_u32 v24, vcc_lo, v20, v24
	s_delay_alu instid0(VALU_DEP_2) | instskip(NEXT) | instid1(VALU_DEP_4)
	v_add_co_ci_u32_e32 v25, vcc_lo, v21, v25, vcc_lo
	v_min_f32_e32 v16, v16, v17
	s_delay_alu instid0(VALU_DEP_1) | instskip(SKIP_3) | instid1(SALU_CYCLE_1)
	v_cvt_f64_f32_e32 v[16:17], v16
	global_store_b64 v[24:25], v[16:17], off
	s_or_b32 exec_lo, exec_lo, s16
	s_and_b32 s19, s5, s8
	s_and_saveexec_b32 s16, s19
	s_cbranch_execz .LBB172_145
.LBB172_167:
	v_cmp_ne_u32_e32 vcc_lo, 1, v18
	s_cbranch_vccnz .LBB172_169
; %bb.168:
	v_lshlrev_b64 v[16:17], 3, v[10:11]
	s_delay_alu instid0(VALU_DEP_1) | instskip(NEXT) | instid1(VALU_DEP_2)
	v_add_co_u32 v16, vcc_lo, v22, v16
	v_add_co_ci_u32_e32 v17, vcc_lo, v23, v17, vcc_lo
	flat_load_b64 v[16:17], v[16:17]
	s_waitcnt vmcnt(0) lgkmcnt(0)
	v_mul_f64 v[16:17], v[16:17], s[10:11]
	s_branch .LBB172_170
.LBB172_169:
	v_mov_b32_e32 v16, 0
	v_mov_b32_e32 v17, 0
.LBB172_170:
	s_delay_alu instid0(VALU_DEP_1) | instskip(SKIP_2) | instid1(VALU_DEP_1)
	v_cvt_f32_f64_e32 v16, v[16:17]
	v_max_f32_e32 v17, v108, v108
	v_lshlrev_b64 v[24:25], 3, v[10:11]
	v_add_co_u32 v24, vcc_lo, v20, v24
	s_delay_alu instid0(VALU_DEP_2) | instskip(NEXT) | instid1(VALU_DEP_4)
	v_add_co_ci_u32_e32 v25, vcc_lo, v21, v25, vcc_lo
	v_min_f32_e32 v16, v16, v17
	s_delay_alu instid0(VALU_DEP_1) | instskip(SKIP_3) | instid1(SALU_CYCLE_1)
	v_cvt_f64_f32_e32 v[16:17], v16
	global_store_b64 v[24:25], v[16:17], off
	s_or_b32 exec_lo, exec_lo, s16
	s_and_b32 s19, s6, s8
	s_and_saveexec_b32 s16, s19
	s_cbranch_execz .LBB172_146
.LBB172_171:
	v_cmp_ne_u32_e32 vcc_lo, 1, v18
	s_cbranch_vccnz .LBB172_173
; %bb.172:
	v_lshlrev_b64 v[16:17], 3, v[12:13]
	s_delay_alu instid0(VALU_DEP_1) | instskip(NEXT) | instid1(VALU_DEP_2)
	v_add_co_u32 v16, vcc_lo, v22, v16
	v_add_co_ci_u32_e32 v17, vcc_lo, v23, v17, vcc_lo
	flat_load_b64 v[16:17], v[16:17]
	s_waitcnt vmcnt(0) lgkmcnt(0)
	v_mul_f64 v[16:17], v[16:17], s[10:11]
	s_branch .LBB172_174
.LBB172_173:
	v_mov_b32_e32 v16, 0
	v_mov_b32_e32 v17, 0
.LBB172_174:
	s_delay_alu instid0(VALU_DEP_1) | instskip(SKIP_2) | instid1(VALU_DEP_1)
	v_cvt_f32_f64_e32 v16, v[16:17]
	v_max_f32_e32 v17, v107, v107
	v_lshlrev_b64 v[24:25], 3, v[12:13]
	v_add_co_u32 v24, vcc_lo, v20, v24
	s_delay_alu instid0(VALU_DEP_2) | instskip(NEXT) | instid1(VALU_DEP_4)
	v_add_co_ci_u32_e32 v25, vcc_lo, v21, v25, vcc_lo
	v_min_f32_e32 v16, v16, v17
	s_delay_alu instid0(VALU_DEP_1) | instskip(SKIP_3) | instid1(SALU_CYCLE_1)
	v_cvt_f64_f32_e32 v[16:17], v16
	global_store_b64 v[24:25], v[16:17], off
	s_or_b32 exec_lo, exec_lo, s16
	s_and_b32 s16, s7, s8
	s_and_saveexec_b32 s8, s16
	s_cbranch_execz .LBB172_179
.LBB172_175:
	v_cmp_ne_u32_e32 vcc_lo, 1, v18
	s_cbranch_vccnz .LBB172_177
; %bb.176:
	v_lshlrev_b64 v[16:17], 3, v[14:15]
	s_delay_alu instid0(VALU_DEP_1) | instskip(NEXT) | instid1(VALU_DEP_2)
	v_add_co_u32 v16, vcc_lo, v22, v16
	v_add_co_ci_u32_e32 v17, vcc_lo, v23, v17, vcc_lo
	flat_load_b64 v[16:17], v[16:17]
	s_waitcnt vmcnt(0) lgkmcnt(0)
	v_mul_f64 v[16:17], v[16:17], s[10:11]
	s_branch .LBB172_178
.LBB172_177:
	v_mov_b32_e32 v16, 0
	v_mov_b32_e32 v17, 0
.LBB172_178:
	s_delay_alu instid0(VALU_DEP_1) | instskip(SKIP_2) | instid1(VALU_DEP_1)
	v_cvt_f32_f64_e32 v16, v[16:17]
	v_max_f32_e32 v17, v106, v106
	v_lshlrev_b64 v[22:23], 3, v[14:15]
	v_add_co_u32 v20, vcc_lo, v20, v22
	s_delay_alu instid0(VALU_DEP_2) | instskip(NEXT) | instid1(VALU_DEP_4)
	v_add_co_ci_u32_e32 v21, vcc_lo, v21, v23, vcc_lo
	v_min_f32_e32 v16, v16, v17
	s_delay_alu instid0(VALU_DEP_1)
	v_cvt_f64_f32_e32 v[16:17], v16
	global_store_b64 v[20:21], v[16:17], off
.LBB172_179:
	s_or_b32 exec_lo, exec_lo, s8
	v_add_nc_u32_e32 v22, 0x60, v19
	s_delay_alu instid0(VALU_DEP_1) | instskip(SKIP_2) | instid1(VALU_DEP_3)
	v_mad_i64_i32 v[16:17], null, v22, s18, 0
	v_mad_i64_i32 v[20:21], null, v22, s9, 0
	v_cmp_gt_i32_e64 s8, s17, v22
	v_lshlrev_b64 v[16:17], 3, v[16:17]
	s_delay_alu instid0(VALU_DEP_2) | instskip(NEXT) | instid1(VALU_DEP_3)
	s_and_b32 s19, s0, s8
	v_lshlrev_b64 v[20:21], 3, v[20:21]
	s_delay_alu instid0(VALU_DEP_2) | instskip(NEXT) | instid1(VALU_DEP_3)
	v_add_co_u32 v22, vcc_lo, s12, v16
	v_add_co_ci_u32_e32 v23, vcc_lo, s13, v17, vcc_lo
	s_delay_alu instid0(VALU_DEP_3) | instskip(NEXT) | instid1(VALU_DEP_4)
	v_add_co_u32 v20, vcc_lo, s14, v20
	v_add_co_ci_u32_e32 v21, vcc_lo, s15, v21, vcc_lo
	s_and_saveexec_b32 s16, s19
	s_cbranch_execnz .LBB172_187
; %bb.180:
	s_or_b32 exec_lo, exec_lo, s16
	s_and_b32 s19, s1, s8
	s_delay_alu instid0(SALU_CYCLE_1)
	s_and_saveexec_b32 s16, s19
	s_cbranch_execnz .LBB172_191
.LBB172_181:
	s_or_b32 exec_lo, exec_lo, s16
	s_and_b32 s19, s2, s8
	s_delay_alu instid0(SALU_CYCLE_1)
	s_and_saveexec_b32 s16, s19
	s_cbranch_execnz .LBB172_195
.LBB172_182:
	s_or_b32 exec_lo, exec_lo, s16
	s_and_b32 s19, s3, s8
	s_delay_alu instid0(SALU_CYCLE_1)
	s_and_saveexec_b32 s16, s19
	s_cbranch_execnz .LBB172_199
.LBB172_183:
	s_or_b32 exec_lo, exec_lo, s16
	s_and_b32 s19, s4, s8
	s_delay_alu instid0(SALU_CYCLE_1)
	s_and_saveexec_b32 s16, s19
	s_cbranch_execnz .LBB172_203
.LBB172_184:
	s_or_b32 exec_lo, exec_lo, s16
	s_and_b32 s19, s5, s8
	s_delay_alu instid0(SALU_CYCLE_1)
	s_and_saveexec_b32 s16, s19
	s_cbranch_execnz .LBB172_207
.LBB172_185:
	s_or_b32 exec_lo, exec_lo, s16
	s_and_b32 s19, s6, s8
	s_delay_alu instid0(SALU_CYCLE_1)
	s_and_saveexec_b32 s16, s19
	s_cbranch_execnz .LBB172_211
.LBB172_186:
	s_or_b32 exec_lo, exec_lo, s16
	s_and_b32 s16, s7, s8
	s_delay_alu instid0(SALU_CYCLE_1)
	s_and_saveexec_b32 s8, s16
	s_cbranch_execnz .LBB172_215
	s_branch .LBB172_219
.LBB172_187:
	v_cmp_ne_u32_e32 vcc_lo, 1, v18
	s_cbranch_vccnz .LBB172_189
; %bb.188:
	v_lshlrev_b64 v[16:17], 3, v[0:1]
	s_delay_alu instid0(VALU_DEP_1) | instskip(NEXT) | instid1(VALU_DEP_2)
	v_add_co_u32 v16, vcc_lo, v22, v16
	v_add_co_ci_u32_e32 v17, vcc_lo, v23, v17, vcc_lo
	flat_load_b64 v[16:17], v[16:17]
	s_waitcnt vmcnt(0) lgkmcnt(0)
	v_mul_f64 v[16:17], v[16:17], s[10:11]
	s_branch .LBB172_190
.LBB172_189:
	v_mov_b32_e32 v16, 0
	v_mov_b32_e32 v17, 0
.LBB172_190:
	s_delay_alu instid0(VALU_DEP_1) | instskip(SKIP_2) | instid1(VALU_DEP_1)
	v_cvt_f32_f64_e32 v16, v[16:17]
	v_max_f32_e32 v17, v105, v105
	v_lshlrev_b64 v[24:25], 3, v[0:1]
	v_add_co_u32 v24, vcc_lo, v20, v24
	s_delay_alu instid0(VALU_DEP_2) | instskip(NEXT) | instid1(VALU_DEP_4)
	v_add_co_ci_u32_e32 v25, vcc_lo, v21, v25, vcc_lo
	v_min_f32_e32 v16, v16, v17
	s_delay_alu instid0(VALU_DEP_1) | instskip(SKIP_3) | instid1(SALU_CYCLE_1)
	v_cvt_f64_f32_e32 v[16:17], v16
	global_store_b64 v[24:25], v[16:17], off
	s_or_b32 exec_lo, exec_lo, s16
	s_and_b32 s19, s1, s8
	s_and_saveexec_b32 s16, s19
	s_cbranch_execz .LBB172_181
.LBB172_191:
	v_cmp_ne_u32_e32 vcc_lo, 1, v18
	s_cbranch_vccnz .LBB172_193
; %bb.192:
	v_lshlrev_b64 v[16:17], 3, v[2:3]
	s_delay_alu instid0(VALU_DEP_1) | instskip(NEXT) | instid1(VALU_DEP_2)
	v_add_co_u32 v16, vcc_lo, v22, v16
	v_add_co_ci_u32_e32 v17, vcc_lo, v23, v17, vcc_lo
	flat_load_b64 v[16:17], v[16:17]
	s_waitcnt vmcnt(0) lgkmcnt(0)
	v_mul_f64 v[16:17], v[16:17], s[10:11]
	s_branch .LBB172_194
.LBB172_193:
	v_mov_b32_e32 v16, 0
	v_mov_b32_e32 v17, 0
.LBB172_194:
	s_delay_alu instid0(VALU_DEP_1) | instskip(SKIP_2) | instid1(VALU_DEP_1)
	v_cvt_f32_f64_e32 v16, v[16:17]
	v_max_f32_e32 v17, v104, v104
	v_lshlrev_b64 v[24:25], 3, v[2:3]
	v_add_co_u32 v24, vcc_lo, v20, v24
	s_delay_alu instid0(VALU_DEP_2) | instskip(NEXT) | instid1(VALU_DEP_4)
	v_add_co_ci_u32_e32 v25, vcc_lo, v21, v25, vcc_lo
	v_min_f32_e32 v16, v16, v17
	s_delay_alu instid0(VALU_DEP_1) | instskip(SKIP_3) | instid1(SALU_CYCLE_1)
	v_cvt_f64_f32_e32 v[16:17], v16
	global_store_b64 v[24:25], v[16:17], off
	s_or_b32 exec_lo, exec_lo, s16
	s_and_b32 s19, s2, s8
	s_and_saveexec_b32 s16, s19
	s_cbranch_execz .LBB172_182
.LBB172_195:
	v_cmp_ne_u32_e32 vcc_lo, 1, v18
	s_cbranch_vccnz .LBB172_197
; %bb.196:
	v_lshlrev_b64 v[16:17], 3, v[4:5]
	s_delay_alu instid0(VALU_DEP_1) | instskip(NEXT) | instid1(VALU_DEP_2)
	v_add_co_u32 v16, vcc_lo, v22, v16
	v_add_co_ci_u32_e32 v17, vcc_lo, v23, v17, vcc_lo
	flat_load_b64 v[16:17], v[16:17]
	s_waitcnt vmcnt(0) lgkmcnt(0)
	v_mul_f64 v[16:17], v[16:17], s[10:11]
	s_branch .LBB172_198
.LBB172_197:
	v_mov_b32_e32 v16, 0
	v_mov_b32_e32 v17, 0
.LBB172_198:
	s_delay_alu instid0(VALU_DEP_1) | instskip(SKIP_2) | instid1(VALU_DEP_1)
	v_cvt_f32_f64_e32 v16, v[16:17]
	v_max_f32_e32 v17, v103, v103
	v_lshlrev_b64 v[24:25], 3, v[4:5]
	v_add_co_u32 v24, vcc_lo, v20, v24
	s_delay_alu instid0(VALU_DEP_2) | instskip(NEXT) | instid1(VALU_DEP_4)
	v_add_co_ci_u32_e32 v25, vcc_lo, v21, v25, vcc_lo
	v_min_f32_e32 v16, v16, v17
	s_delay_alu instid0(VALU_DEP_1) | instskip(SKIP_3) | instid1(SALU_CYCLE_1)
	v_cvt_f64_f32_e32 v[16:17], v16
	global_store_b64 v[24:25], v[16:17], off
	s_or_b32 exec_lo, exec_lo, s16
	s_and_b32 s19, s3, s8
	s_and_saveexec_b32 s16, s19
	s_cbranch_execz .LBB172_183
.LBB172_199:
	v_cmp_ne_u32_e32 vcc_lo, 1, v18
	s_cbranch_vccnz .LBB172_201
; %bb.200:
	v_lshlrev_b64 v[16:17], 3, v[6:7]
	s_delay_alu instid0(VALU_DEP_1) | instskip(NEXT) | instid1(VALU_DEP_2)
	v_add_co_u32 v16, vcc_lo, v22, v16
	v_add_co_ci_u32_e32 v17, vcc_lo, v23, v17, vcc_lo
	flat_load_b64 v[16:17], v[16:17]
	s_waitcnt vmcnt(0) lgkmcnt(0)
	v_mul_f64 v[16:17], v[16:17], s[10:11]
	s_branch .LBB172_202
.LBB172_201:
	v_mov_b32_e32 v16, 0
	v_mov_b32_e32 v17, 0
.LBB172_202:
	s_delay_alu instid0(VALU_DEP_1) | instskip(SKIP_2) | instid1(VALU_DEP_1)
	v_cvt_f32_f64_e32 v16, v[16:17]
	v_max_f32_e32 v17, v102, v102
	v_lshlrev_b64 v[24:25], 3, v[6:7]
	v_add_co_u32 v24, vcc_lo, v20, v24
	s_delay_alu instid0(VALU_DEP_2) | instskip(NEXT) | instid1(VALU_DEP_4)
	v_add_co_ci_u32_e32 v25, vcc_lo, v21, v25, vcc_lo
	v_min_f32_e32 v16, v16, v17
	s_delay_alu instid0(VALU_DEP_1) | instskip(SKIP_3) | instid1(SALU_CYCLE_1)
	v_cvt_f64_f32_e32 v[16:17], v16
	global_store_b64 v[24:25], v[16:17], off
	s_or_b32 exec_lo, exec_lo, s16
	s_and_b32 s19, s4, s8
	s_and_saveexec_b32 s16, s19
	s_cbranch_execz .LBB172_184
.LBB172_203:
	v_cmp_ne_u32_e32 vcc_lo, 1, v18
	s_cbranch_vccnz .LBB172_205
; %bb.204:
	v_lshlrev_b64 v[16:17], 3, v[8:9]
	s_delay_alu instid0(VALU_DEP_1) | instskip(NEXT) | instid1(VALU_DEP_2)
	v_add_co_u32 v16, vcc_lo, v22, v16
	v_add_co_ci_u32_e32 v17, vcc_lo, v23, v17, vcc_lo
	flat_load_b64 v[16:17], v[16:17]
	s_waitcnt vmcnt(0) lgkmcnt(0)
	v_mul_f64 v[16:17], v[16:17], s[10:11]
	s_branch .LBB172_206
.LBB172_205:
	v_mov_b32_e32 v16, 0
	v_mov_b32_e32 v17, 0
.LBB172_206:
	s_delay_alu instid0(VALU_DEP_1) | instskip(SKIP_2) | instid1(VALU_DEP_1)
	v_cvt_f32_f64_e32 v16, v[16:17]
	v_max_f32_e32 v17, v101, v101
	v_lshlrev_b64 v[24:25], 3, v[8:9]
	v_add_co_u32 v24, vcc_lo, v20, v24
	s_delay_alu instid0(VALU_DEP_2) | instskip(NEXT) | instid1(VALU_DEP_4)
	v_add_co_ci_u32_e32 v25, vcc_lo, v21, v25, vcc_lo
	v_min_f32_e32 v16, v16, v17
	s_delay_alu instid0(VALU_DEP_1) | instskip(SKIP_3) | instid1(SALU_CYCLE_1)
	v_cvt_f64_f32_e32 v[16:17], v16
	global_store_b64 v[24:25], v[16:17], off
	s_or_b32 exec_lo, exec_lo, s16
	s_and_b32 s19, s5, s8
	s_and_saveexec_b32 s16, s19
	s_cbranch_execz .LBB172_185
.LBB172_207:
	v_cmp_ne_u32_e32 vcc_lo, 1, v18
	s_cbranch_vccnz .LBB172_209
; %bb.208:
	v_lshlrev_b64 v[16:17], 3, v[10:11]
	s_delay_alu instid0(VALU_DEP_1) | instskip(NEXT) | instid1(VALU_DEP_2)
	v_add_co_u32 v16, vcc_lo, v22, v16
	v_add_co_ci_u32_e32 v17, vcc_lo, v23, v17, vcc_lo
	flat_load_b64 v[16:17], v[16:17]
	s_waitcnt vmcnt(0) lgkmcnt(0)
	v_mul_f64 v[16:17], v[16:17], s[10:11]
	s_branch .LBB172_210
.LBB172_209:
	v_mov_b32_e32 v16, 0
	v_mov_b32_e32 v17, 0
.LBB172_210:
	s_delay_alu instid0(VALU_DEP_1) | instskip(SKIP_2) | instid1(VALU_DEP_1)
	v_cvt_f32_f64_e32 v16, v[16:17]
	v_max_f32_e32 v17, v100, v100
	v_lshlrev_b64 v[24:25], 3, v[10:11]
	v_add_co_u32 v24, vcc_lo, v20, v24
	s_delay_alu instid0(VALU_DEP_2) | instskip(NEXT) | instid1(VALU_DEP_4)
	v_add_co_ci_u32_e32 v25, vcc_lo, v21, v25, vcc_lo
	v_min_f32_e32 v16, v16, v17
	s_delay_alu instid0(VALU_DEP_1) | instskip(SKIP_3) | instid1(SALU_CYCLE_1)
	v_cvt_f64_f32_e32 v[16:17], v16
	global_store_b64 v[24:25], v[16:17], off
	s_or_b32 exec_lo, exec_lo, s16
	s_and_b32 s19, s6, s8
	s_and_saveexec_b32 s16, s19
	s_cbranch_execz .LBB172_186
.LBB172_211:
	v_cmp_ne_u32_e32 vcc_lo, 1, v18
	s_cbranch_vccnz .LBB172_213
; %bb.212:
	v_lshlrev_b64 v[16:17], 3, v[12:13]
	s_delay_alu instid0(VALU_DEP_1) | instskip(NEXT) | instid1(VALU_DEP_2)
	v_add_co_u32 v16, vcc_lo, v22, v16
	v_add_co_ci_u32_e32 v17, vcc_lo, v23, v17, vcc_lo
	flat_load_b64 v[16:17], v[16:17]
	s_waitcnt vmcnt(0) lgkmcnt(0)
	v_mul_f64 v[16:17], v[16:17], s[10:11]
	s_branch .LBB172_214
.LBB172_213:
	v_mov_b32_e32 v16, 0
	v_mov_b32_e32 v17, 0
.LBB172_214:
	s_delay_alu instid0(VALU_DEP_1) | instskip(SKIP_2) | instid1(VALU_DEP_1)
	v_cvt_f32_f64_e32 v16, v[16:17]
	v_max_f32_e32 v17, v99, v99
	v_lshlrev_b64 v[24:25], 3, v[12:13]
	v_add_co_u32 v24, vcc_lo, v20, v24
	s_delay_alu instid0(VALU_DEP_2) | instskip(NEXT) | instid1(VALU_DEP_4)
	v_add_co_ci_u32_e32 v25, vcc_lo, v21, v25, vcc_lo
	v_min_f32_e32 v16, v16, v17
	s_delay_alu instid0(VALU_DEP_1) | instskip(SKIP_3) | instid1(SALU_CYCLE_1)
	v_cvt_f64_f32_e32 v[16:17], v16
	global_store_b64 v[24:25], v[16:17], off
	s_or_b32 exec_lo, exec_lo, s16
	s_and_b32 s16, s7, s8
	s_and_saveexec_b32 s8, s16
	s_cbranch_execz .LBB172_219
.LBB172_215:
	v_cmp_ne_u32_e32 vcc_lo, 1, v18
	s_cbranch_vccnz .LBB172_217
; %bb.216:
	v_lshlrev_b64 v[16:17], 3, v[14:15]
	s_delay_alu instid0(VALU_DEP_1) | instskip(NEXT) | instid1(VALU_DEP_2)
	v_add_co_u32 v16, vcc_lo, v22, v16
	v_add_co_ci_u32_e32 v17, vcc_lo, v23, v17, vcc_lo
	flat_load_b64 v[16:17], v[16:17]
	s_waitcnt vmcnt(0) lgkmcnt(0)
	v_mul_f64 v[16:17], v[16:17], s[10:11]
	s_branch .LBB172_218
.LBB172_217:
	v_mov_b32_e32 v16, 0
	v_mov_b32_e32 v17, 0
.LBB172_218:
	s_delay_alu instid0(VALU_DEP_1) | instskip(SKIP_2) | instid1(VALU_DEP_1)
	v_cvt_f32_f64_e32 v16, v[16:17]
	v_max_f32_e32 v17, v98, v98
	v_lshlrev_b64 v[22:23], 3, v[14:15]
	v_add_co_u32 v20, vcc_lo, v20, v22
	s_delay_alu instid0(VALU_DEP_2) | instskip(NEXT) | instid1(VALU_DEP_4)
	v_add_co_ci_u32_e32 v21, vcc_lo, v21, v23, vcc_lo
	v_min_f32_e32 v16, v16, v17
	s_delay_alu instid0(VALU_DEP_1)
	v_cvt_f64_f32_e32 v[16:17], v16
	global_store_b64 v[20:21], v[16:17], off
.LBB172_219:
	s_or_b32 exec_lo, exec_lo, s8
	v_add_nc_u32_e32 v22, 0x80, v19
	s_delay_alu instid0(VALU_DEP_1) | instskip(SKIP_2) | instid1(VALU_DEP_3)
	v_mad_i64_i32 v[16:17], null, v22, s18, 0
	v_mad_i64_i32 v[20:21], null, v22, s9, 0
	v_cmp_gt_i32_e64 s8, s17, v22
	v_lshlrev_b64 v[16:17], 3, v[16:17]
	s_delay_alu instid0(VALU_DEP_2) | instskip(NEXT) | instid1(VALU_DEP_3)
	s_and_b32 s19, s0, s8
	v_lshlrev_b64 v[20:21], 3, v[20:21]
	s_delay_alu instid0(VALU_DEP_2) | instskip(NEXT) | instid1(VALU_DEP_3)
	v_add_co_u32 v22, vcc_lo, s12, v16
	v_add_co_ci_u32_e32 v23, vcc_lo, s13, v17, vcc_lo
	s_delay_alu instid0(VALU_DEP_3) | instskip(NEXT) | instid1(VALU_DEP_4)
	v_add_co_u32 v20, vcc_lo, s14, v20
	v_add_co_ci_u32_e32 v21, vcc_lo, s15, v21, vcc_lo
	s_and_saveexec_b32 s16, s19
	s_cbranch_execnz .LBB172_227
; %bb.220:
	s_or_b32 exec_lo, exec_lo, s16
	s_and_b32 s19, s1, s8
	s_delay_alu instid0(SALU_CYCLE_1)
	s_and_saveexec_b32 s16, s19
	s_cbranch_execnz .LBB172_231
.LBB172_221:
	s_or_b32 exec_lo, exec_lo, s16
	s_and_b32 s19, s2, s8
	s_delay_alu instid0(SALU_CYCLE_1)
	s_and_saveexec_b32 s16, s19
	s_cbranch_execnz .LBB172_235
.LBB172_222:
	s_or_b32 exec_lo, exec_lo, s16
	s_and_b32 s19, s3, s8
	s_delay_alu instid0(SALU_CYCLE_1)
	s_and_saveexec_b32 s16, s19
	s_cbranch_execnz .LBB172_239
.LBB172_223:
	s_or_b32 exec_lo, exec_lo, s16
	s_and_b32 s19, s4, s8
	s_delay_alu instid0(SALU_CYCLE_1)
	s_and_saveexec_b32 s16, s19
	s_cbranch_execnz .LBB172_243
.LBB172_224:
	s_or_b32 exec_lo, exec_lo, s16
	s_and_b32 s19, s5, s8
	s_delay_alu instid0(SALU_CYCLE_1)
	s_and_saveexec_b32 s16, s19
	s_cbranch_execnz .LBB172_247
.LBB172_225:
	s_or_b32 exec_lo, exec_lo, s16
	s_and_b32 s19, s6, s8
	s_delay_alu instid0(SALU_CYCLE_1)
	s_and_saveexec_b32 s16, s19
	s_cbranch_execnz .LBB172_251
.LBB172_226:
	s_or_b32 exec_lo, exec_lo, s16
	s_and_b32 s16, s7, s8
	s_delay_alu instid0(SALU_CYCLE_1)
	s_and_saveexec_b32 s8, s16
	s_cbranch_execnz .LBB172_255
	s_branch .LBB172_259
.LBB172_227:
	v_cmp_ne_u32_e32 vcc_lo, 1, v18
	s_cbranch_vccnz .LBB172_229
; %bb.228:
	v_lshlrev_b64 v[16:17], 3, v[0:1]
	s_delay_alu instid0(VALU_DEP_1) | instskip(NEXT) | instid1(VALU_DEP_2)
	v_add_co_u32 v16, vcc_lo, v22, v16
	v_add_co_ci_u32_e32 v17, vcc_lo, v23, v17, vcc_lo
	flat_load_b64 v[16:17], v[16:17]
	s_waitcnt vmcnt(0) lgkmcnt(0)
	v_mul_f64 v[16:17], v[16:17], s[10:11]
	s_branch .LBB172_230
.LBB172_229:
	v_mov_b32_e32 v16, 0
	v_mov_b32_e32 v17, 0
.LBB172_230:
	s_delay_alu instid0(VALU_DEP_1) | instskip(SKIP_2) | instid1(VALU_DEP_1)
	v_cvt_f32_f64_e32 v16, v[16:17]
	v_max_f32_e32 v17, v97, v97
	v_lshlrev_b64 v[24:25], 3, v[0:1]
	v_add_co_u32 v24, vcc_lo, v20, v24
	s_delay_alu instid0(VALU_DEP_2) | instskip(NEXT) | instid1(VALU_DEP_4)
	v_add_co_ci_u32_e32 v25, vcc_lo, v21, v25, vcc_lo
	v_min_f32_e32 v16, v16, v17
	s_delay_alu instid0(VALU_DEP_1) | instskip(SKIP_3) | instid1(SALU_CYCLE_1)
	v_cvt_f64_f32_e32 v[16:17], v16
	global_store_b64 v[24:25], v[16:17], off
	s_or_b32 exec_lo, exec_lo, s16
	s_and_b32 s19, s1, s8
	s_and_saveexec_b32 s16, s19
	s_cbranch_execz .LBB172_221
.LBB172_231:
	v_cmp_ne_u32_e32 vcc_lo, 1, v18
	s_cbranch_vccnz .LBB172_233
; %bb.232:
	v_lshlrev_b64 v[16:17], 3, v[2:3]
	s_delay_alu instid0(VALU_DEP_1) | instskip(NEXT) | instid1(VALU_DEP_2)
	v_add_co_u32 v16, vcc_lo, v22, v16
	v_add_co_ci_u32_e32 v17, vcc_lo, v23, v17, vcc_lo
	flat_load_b64 v[16:17], v[16:17]
	s_waitcnt vmcnt(0) lgkmcnt(0)
	v_mul_f64 v[16:17], v[16:17], s[10:11]
	s_branch .LBB172_234
.LBB172_233:
	v_mov_b32_e32 v16, 0
	v_mov_b32_e32 v17, 0
.LBB172_234:
	s_delay_alu instid0(VALU_DEP_1) | instskip(SKIP_2) | instid1(VALU_DEP_1)
	v_cvt_f32_f64_e32 v16, v[16:17]
	v_max_f32_e32 v17, v96, v96
	v_lshlrev_b64 v[24:25], 3, v[2:3]
	v_add_co_u32 v24, vcc_lo, v20, v24
	s_delay_alu instid0(VALU_DEP_2) | instskip(NEXT) | instid1(VALU_DEP_4)
	v_add_co_ci_u32_e32 v25, vcc_lo, v21, v25, vcc_lo
	v_min_f32_e32 v16, v16, v17
	s_delay_alu instid0(VALU_DEP_1) | instskip(SKIP_3) | instid1(SALU_CYCLE_1)
	v_cvt_f64_f32_e32 v[16:17], v16
	global_store_b64 v[24:25], v[16:17], off
	s_or_b32 exec_lo, exec_lo, s16
	s_and_b32 s19, s2, s8
	s_and_saveexec_b32 s16, s19
	s_cbranch_execz .LBB172_222
.LBB172_235:
	v_cmp_ne_u32_e32 vcc_lo, 1, v18
	s_cbranch_vccnz .LBB172_237
; %bb.236:
	v_lshlrev_b64 v[16:17], 3, v[4:5]
	s_delay_alu instid0(VALU_DEP_1) | instskip(NEXT) | instid1(VALU_DEP_2)
	v_add_co_u32 v16, vcc_lo, v22, v16
	v_add_co_ci_u32_e32 v17, vcc_lo, v23, v17, vcc_lo
	flat_load_b64 v[16:17], v[16:17]
	s_waitcnt vmcnt(0) lgkmcnt(0)
	v_mul_f64 v[16:17], v[16:17], s[10:11]
	s_branch .LBB172_238
.LBB172_237:
	v_mov_b32_e32 v16, 0
	v_mov_b32_e32 v17, 0
.LBB172_238:
	s_delay_alu instid0(VALU_DEP_1) | instskip(SKIP_2) | instid1(VALU_DEP_1)
	v_cvt_f32_f64_e32 v16, v[16:17]
	v_max_f32_e32 v17, v95, v95
	v_lshlrev_b64 v[24:25], 3, v[4:5]
	v_add_co_u32 v24, vcc_lo, v20, v24
	s_delay_alu instid0(VALU_DEP_2) | instskip(NEXT) | instid1(VALU_DEP_4)
	v_add_co_ci_u32_e32 v25, vcc_lo, v21, v25, vcc_lo
	v_min_f32_e32 v16, v16, v17
	s_delay_alu instid0(VALU_DEP_1) | instskip(SKIP_3) | instid1(SALU_CYCLE_1)
	v_cvt_f64_f32_e32 v[16:17], v16
	global_store_b64 v[24:25], v[16:17], off
	s_or_b32 exec_lo, exec_lo, s16
	s_and_b32 s19, s3, s8
	s_and_saveexec_b32 s16, s19
	s_cbranch_execz .LBB172_223
.LBB172_239:
	v_cmp_ne_u32_e32 vcc_lo, 1, v18
	s_cbranch_vccnz .LBB172_241
; %bb.240:
	v_lshlrev_b64 v[16:17], 3, v[6:7]
	s_delay_alu instid0(VALU_DEP_1) | instskip(NEXT) | instid1(VALU_DEP_2)
	v_add_co_u32 v16, vcc_lo, v22, v16
	v_add_co_ci_u32_e32 v17, vcc_lo, v23, v17, vcc_lo
	flat_load_b64 v[16:17], v[16:17]
	s_waitcnt vmcnt(0) lgkmcnt(0)
	v_mul_f64 v[16:17], v[16:17], s[10:11]
	s_branch .LBB172_242
.LBB172_241:
	v_mov_b32_e32 v16, 0
	v_mov_b32_e32 v17, 0
.LBB172_242:
	s_delay_alu instid0(VALU_DEP_1) | instskip(SKIP_2) | instid1(VALU_DEP_1)
	v_cvt_f32_f64_e32 v16, v[16:17]
	v_max_f32_e32 v17, v94, v94
	v_lshlrev_b64 v[24:25], 3, v[6:7]
	v_add_co_u32 v24, vcc_lo, v20, v24
	s_delay_alu instid0(VALU_DEP_2) | instskip(NEXT) | instid1(VALU_DEP_4)
	v_add_co_ci_u32_e32 v25, vcc_lo, v21, v25, vcc_lo
	v_min_f32_e32 v16, v16, v17
	s_delay_alu instid0(VALU_DEP_1) | instskip(SKIP_3) | instid1(SALU_CYCLE_1)
	v_cvt_f64_f32_e32 v[16:17], v16
	global_store_b64 v[24:25], v[16:17], off
	s_or_b32 exec_lo, exec_lo, s16
	s_and_b32 s19, s4, s8
	s_and_saveexec_b32 s16, s19
	s_cbranch_execz .LBB172_224
.LBB172_243:
	v_cmp_ne_u32_e32 vcc_lo, 1, v18
	s_cbranch_vccnz .LBB172_245
; %bb.244:
	v_lshlrev_b64 v[16:17], 3, v[8:9]
	s_delay_alu instid0(VALU_DEP_1) | instskip(NEXT) | instid1(VALU_DEP_2)
	v_add_co_u32 v16, vcc_lo, v22, v16
	v_add_co_ci_u32_e32 v17, vcc_lo, v23, v17, vcc_lo
	flat_load_b64 v[16:17], v[16:17]
	s_waitcnt vmcnt(0) lgkmcnt(0)
	v_mul_f64 v[16:17], v[16:17], s[10:11]
	s_branch .LBB172_246
.LBB172_245:
	v_mov_b32_e32 v16, 0
	v_mov_b32_e32 v17, 0
.LBB172_246:
	s_delay_alu instid0(VALU_DEP_1) | instskip(SKIP_2) | instid1(VALU_DEP_1)
	v_cvt_f32_f64_e32 v16, v[16:17]
	v_max_f32_e32 v17, v93, v93
	v_lshlrev_b64 v[24:25], 3, v[8:9]
	v_add_co_u32 v24, vcc_lo, v20, v24
	s_delay_alu instid0(VALU_DEP_2) | instskip(NEXT) | instid1(VALU_DEP_4)
	v_add_co_ci_u32_e32 v25, vcc_lo, v21, v25, vcc_lo
	v_min_f32_e32 v16, v16, v17
	s_delay_alu instid0(VALU_DEP_1) | instskip(SKIP_3) | instid1(SALU_CYCLE_1)
	v_cvt_f64_f32_e32 v[16:17], v16
	global_store_b64 v[24:25], v[16:17], off
	s_or_b32 exec_lo, exec_lo, s16
	s_and_b32 s19, s5, s8
	s_and_saveexec_b32 s16, s19
	s_cbranch_execz .LBB172_225
.LBB172_247:
	v_cmp_ne_u32_e32 vcc_lo, 1, v18
	s_cbranch_vccnz .LBB172_249
; %bb.248:
	v_lshlrev_b64 v[16:17], 3, v[10:11]
	s_delay_alu instid0(VALU_DEP_1) | instskip(NEXT) | instid1(VALU_DEP_2)
	v_add_co_u32 v16, vcc_lo, v22, v16
	v_add_co_ci_u32_e32 v17, vcc_lo, v23, v17, vcc_lo
	flat_load_b64 v[16:17], v[16:17]
	s_waitcnt vmcnt(0) lgkmcnt(0)
	v_mul_f64 v[16:17], v[16:17], s[10:11]
	s_branch .LBB172_250
.LBB172_249:
	v_mov_b32_e32 v16, 0
	v_mov_b32_e32 v17, 0
.LBB172_250:
	s_delay_alu instid0(VALU_DEP_1) | instskip(SKIP_2) | instid1(VALU_DEP_1)
	v_cvt_f32_f64_e32 v16, v[16:17]
	v_max_f32_e32 v17, v92, v92
	v_lshlrev_b64 v[24:25], 3, v[10:11]
	v_add_co_u32 v24, vcc_lo, v20, v24
	s_delay_alu instid0(VALU_DEP_2) | instskip(NEXT) | instid1(VALU_DEP_4)
	v_add_co_ci_u32_e32 v25, vcc_lo, v21, v25, vcc_lo
	v_min_f32_e32 v16, v16, v17
	s_delay_alu instid0(VALU_DEP_1) | instskip(SKIP_3) | instid1(SALU_CYCLE_1)
	v_cvt_f64_f32_e32 v[16:17], v16
	global_store_b64 v[24:25], v[16:17], off
	s_or_b32 exec_lo, exec_lo, s16
	s_and_b32 s19, s6, s8
	s_and_saveexec_b32 s16, s19
	s_cbranch_execz .LBB172_226
.LBB172_251:
	v_cmp_ne_u32_e32 vcc_lo, 1, v18
	s_cbranch_vccnz .LBB172_253
; %bb.252:
	v_lshlrev_b64 v[16:17], 3, v[12:13]
	s_delay_alu instid0(VALU_DEP_1) | instskip(NEXT) | instid1(VALU_DEP_2)
	v_add_co_u32 v16, vcc_lo, v22, v16
	v_add_co_ci_u32_e32 v17, vcc_lo, v23, v17, vcc_lo
	flat_load_b64 v[16:17], v[16:17]
	s_waitcnt vmcnt(0) lgkmcnt(0)
	v_mul_f64 v[16:17], v[16:17], s[10:11]
	s_branch .LBB172_254
.LBB172_253:
	v_mov_b32_e32 v16, 0
	v_mov_b32_e32 v17, 0
.LBB172_254:
	s_delay_alu instid0(VALU_DEP_1) | instskip(SKIP_2) | instid1(VALU_DEP_1)
	v_cvt_f32_f64_e32 v16, v[16:17]
	v_max_f32_e32 v17, v91, v91
	v_lshlrev_b64 v[24:25], 3, v[12:13]
	v_add_co_u32 v24, vcc_lo, v20, v24
	s_delay_alu instid0(VALU_DEP_2) | instskip(NEXT) | instid1(VALU_DEP_4)
	v_add_co_ci_u32_e32 v25, vcc_lo, v21, v25, vcc_lo
	v_min_f32_e32 v16, v16, v17
	s_delay_alu instid0(VALU_DEP_1) | instskip(SKIP_3) | instid1(SALU_CYCLE_1)
	v_cvt_f64_f32_e32 v[16:17], v16
	global_store_b64 v[24:25], v[16:17], off
	s_or_b32 exec_lo, exec_lo, s16
	s_and_b32 s16, s7, s8
	s_and_saveexec_b32 s8, s16
	s_cbranch_execz .LBB172_259
.LBB172_255:
	v_cmp_ne_u32_e32 vcc_lo, 1, v18
	s_cbranch_vccnz .LBB172_257
; %bb.256:
	v_lshlrev_b64 v[16:17], 3, v[14:15]
	s_delay_alu instid0(VALU_DEP_1) | instskip(NEXT) | instid1(VALU_DEP_2)
	v_add_co_u32 v16, vcc_lo, v22, v16
	v_add_co_ci_u32_e32 v17, vcc_lo, v23, v17, vcc_lo
	flat_load_b64 v[16:17], v[16:17]
	s_waitcnt vmcnt(0) lgkmcnt(0)
	v_mul_f64 v[16:17], v[16:17], s[10:11]
	s_branch .LBB172_258
.LBB172_257:
	v_mov_b32_e32 v16, 0
	v_mov_b32_e32 v17, 0
.LBB172_258:
	s_delay_alu instid0(VALU_DEP_1) | instskip(SKIP_2) | instid1(VALU_DEP_1)
	v_cvt_f32_f64_e32 v16, v[16:17]
	v_max_f32_e32 v17, v90, v90
	v_lshlrev_b64 v[22:23], 3, v[14:15]
	v_add_co_u32 v20, vcc_lo, v20, v22
	s_delay_alu instid0(VALU_DEP_2) | instskip(NEXT) | instid1(VALU_DEP_4)
	v_add_co_ci_u32_e32 v21, vcc_lo, v21, v23, vcc_lo
	v_min_f32_e32 v16, v16, v17
	s_delay_alu instid0(VALU_DEP_1)
	v_cvt_f64_f32_e32 v[16:17], v16
	global_store_b64 v[20:21], v[16:17], off
.LBB172_259:
	s_or_b32 exec_lo, exec_lo, s8
	v_add_nc_u32_e32 v22, 0xa0, v19
	s_delay_alu instid0(VALU_DEP_1) | instskip(SKIP_2) | instid1(VALU_DEP_3)
	v_mad_i64_i32 v[16:17], null, v22, s18, 0
	v_mad_i64_i32 v[20:21], null, v22, s9, 0
	v_cmp_gt_i32_e64 s8, s17, v22
	v_lshlrev_b64 v[16:17], 3, v[16:17]
	s_delay_alu instid0(VALU_DEP_2) | instskip(NEXT) | instid1(VALU_DEP_3)
	s_and_b32 s19, s0, s8
	v_lshlrev_b64 v[20:21], 3, v[20:21]
	s_delay_alu instid0(VALU_DEP_2) | instskip(NEXT) | instid1(VALU_DEP_3)
	v_add_co_u32 v22, vcc_lo, s12, v16
	v_add_co_ci_u32_e32 v23, vcc_lo, s13, v17, vcc_lo
	s_delay_alu instid0(VALU_DEP_3) | instskip(NEXT) | instid1(VALU_DEP_4)
	v_add_co_u32 v20, vcc_lo, s14, v20
	v_add_co_ci_u32_e32 v21, vcc_lo, s15, v21, vcc_lo
	s_and_saveexec_b32 s16, s19
	s_cbranch_execnz .LBB172_267
; %bb.260:
	s_or_b32 exec_lo, exec_lo, s16
	s_and_b32 s19, s1, s8
	s_delay_alu instid0(SALU_CYCLE_1)
	s_and_saveexec_b32 s16, s19
	s_cbranch_execnz .LBB172_271
.LBB172_261:
	s_or_b32 exec_lo, exec_lo, s16
	s_and_b32 s19, s2, s8
	s_delay_alu instid0(SALU_CYCLE_1)
	s_and_saveexec_b32 s16, s19
	s_cbranch_execnz .LBB172_275
.LBB172_262:
	s_or_b32 exec_lo, exec_lo, s16
	s_and_b32 s19, s3, s8
	s_delay_alu instid0(SALU_CYCLE_1)
	s_and_saveexec_b32 s16, s19
	s_cbranch_execnz .LBB172_279
.LBB172_263:
	s_or_b32 exec_lo, exec_lo, s16
	s_and_b32 s19, s4, s8
	s_delay_alu instid0(SALU_CYCLE_1)
	s_and_saveexec_b32 s16, s19
	s_cbranch_execnz .LBB172_283
.LBB172_264:
	s_or_b32 exec_lo, exec_lo, s16
	s_and_b32 s19, s5, s8
	s_delay_alu instid0(SALU_CYCLE_1)
	s_and_saveexec_b32 s16, s19
	s_cbranch_execnz .LBB172_287
.LBB172_265:
	s_or_b32 exec_lo, exec_lo, s16
	s_and_b32 s19, s6, s8
	s_delay_alu instid0(SALU_CYCLE_1)
	s_and_saveexec_b32 s16, s19
	s_cbranch_execnz .LBB172_291
.LBB172_266:
	s_or_b32 exec_lo, exec_lo, s16
	s_and_b32 s16, s7, s8
	s_delay_alu instid0(SALU_CYCLE_1)
	s_and_saveexec_b32 s8, s16
	s_cbranch_execnz .LBB172_295
	s_branch .LBB172_299
.LBB172_267:
	v_cmp_ne_u32_e32 vcc_lo, 1, v18
	s_cbranch_vccnz .LBB172_269
; %bb.268:
	v_lshlrev_b64 v[16:17], 3, v[0:1]
	s_delay_alu instid0(VALU_DEP_1) | instskip(NEXT) | instid1(VALU_DEP_2)
	v_add_co_u32 v16, vcc_lo, v22, v16
	v_add_co_ci_u32_e32 v17, vcc_lo, v23, v17, vcc_lo
	flat_load_b64 v[16:17], v[16:17]
	s_waitcnt vmcnt(0) lgkmcnt(0)
	v_mul_f64 v[16:17], v[16:17], s[10:11]
	s_branch .LBB172_270
.LBB172_269:
	v_mov_b32_e32 v16, 0
	v_mov_b32_e32 v17, 0
.LBB172_270:
	s_delay_alu instid0(VALU_DEP_1) | instskip(SKIP_2) | instid1(VALU_DEP_1)
	v_cvt_f32_f64_e32 v16, v[16:17]
	v_max_f32_e32 v17, v89, v89
	v_lshlrev_b64 v[24:25], 3, v[0:1]
	v_add_co_u32 v24, vcc_lo, v20, v24
	s_delay_alu instid0(VALU_DEP_2) | instskip(NEXT) | instid1(VALU_DEP_4)
	v_add_co_ci_u32_e32 v25, vcc_lo, v21, v25, vcc_lo
	v_min_f32_e32 v16, v16, v17
	s_delay_alu instid0(VALU_DEP_1) | instskip(SKIP_3) | instid1(SALU_CYCLE_1)
	v_cvt_f64_f32_e32 v[16:17], v16
	global_store_b64 v[24:25], v[16:17], off
	s_or_b32 exec_lo, exec_lo, s16
	s_and_b32 s19, s1, s8
	s_and_saveexec_b32 s16, s19
	s_cbranch_execz .LBB172_261
.LBB172_271:
	v_cmp_ne_u32_e32 vcc_lo, 1, v18
	s_cbranch_vccnz .LBB172_273
; %bb.272:
	v_lshlrev_b64 v[16:17], 3, v[2:3]
	s_delay_alu instid0(VALU_DEP_1) | instskip(NEXT) | instid1(VALU_DEP_2)
	v_add_co_u32 v16, vcc_lo, v22, v16
	v_add_co_ci_u32_e32 v17, vcc_lo, v23, v17, vcc_lo
	flat_load_b64 v[16:17], v[16:17]
	s_waitcnt vmcnt(0) lgkmcnt(0)
	v_mul_f64 v[16:17], v[16:17], s[10:11]
	s_branch .LBB172_274
.LBB172_273:
	v_mov_b32_e32 v16, 0
	v_mov_b32_e32 v17, 0
.LBB172_274:
	s_delay_alu instid0(VALU_DEP_1) | instskip(SKIP_2) | instid1(VALU_DEP_1)
	v_cvt_f32_f64_e32 v16, v[16:17]
	v_max_f32_e32 v17, v88, v88
	v_lshlrev_b64 v[24:25], 3, v[2:3]
	v_add_co_u32 v24, vcc_lo, v20, v24
	s_delay_alu instid0(VALU_DEP_2) | instskip(NEXT) | instid1(VALU_DEP_4)
	v_add_co_ci_u32_e32 v25, vcc_lo, v21, v25, vcc_lo
	v_min_f32_e32 v16, v16, v17
	s_delay_alu instid0(VALU_DEP_1) | instskip(SKIP_3) | instid1(SALU_CYCLE_1)
	v_cvt_f64_f32_e32 v[16:17], v16
	global_store_b64 v[24:25], v[16:17], off
	s_or_b32 exec_lo, exec_lo, s16
	s_and_b32 s19, s2, s8
	s_and_saveexec_b32 s16, s19
	s_cbranch_execz .LBB172_262
.LBB172_275:
	v_cmp_ne_u32_e32 vcc_lo, 1, v18
	s_cbranch_vccnz .LBB172_277
; %bb.276:
	v_lshlrev_b64 v[16:17], 3, v[4:5]
	s_delay_alu instid0(VALU_DEP_1) | instskip(NEXT) | instid1(VALU_DEP_2)
	v_add_co_u32 v16, vcc_lo, v22, v16
	v_add_co_ci_u32_e32 v17, vcc_lo, v23, v17, vcc_lo
	flat_load_b64 v[16:17], v[16:17]
	s_waitcnt vmcnt(0) lgkmcnt(0)
	v_mul_f64 v[16:17], v[16:17], s[10:11]
	s_branch .LBB172_278
.LBB172_277:
	v_mov_b32_e32 v16, 0
	v_mov_b32_e32 v17, 0
.LBB172_278:
	s_delay_alu instid0(VALU_DEP_1) | instskip(SKIP_2) | instid1(VALU_DEP_1)
	v_cvt_f32_f64_e32 v16, v[16:17]
	v_max_f32_e32 v17, v87, v87
	v_lshlrev_b64 v[24:25], 3, v[4:5]
	v_add_co_u32 v24, vcc_lo, v20, v24
	s_delay_alu instid0(VALU_DEP_2) | instskip(NEXT) | instid1(VALU_DEP_4)
	v_add_co_ci_u32_e32 v25, vcc_lo, v21, v25, vcc_lo
	v_min_f32_e32 v16, v16, v17
	s_delay_alu instid0(VALU_DEP_1) | instskip(SKIP_3) | instid1(SALU_CYCLE_1)
	v_cvt_f64_f32_e32 v[16:17], v16
	global_store_b64 v[24:25], v[16:17], off
	s_or_b32 exec_lo, exec_lo, s16
	s_and_b32 s19, s3, s8
	s_and_saveexec_b32 s16, s19
	s_cbranch_execz .LBB172_263
.LBB172_279:
	v_cmp_ne_u32_e32 vcc_lo, 1, v18
	s_cbranch_vccnz .LBB172_281
; %bb.280:
	v_lshlrev_b64 v[16:17], 3, v[6:7]
	s_delay_alu instid0(VALU_DEP_1) | instskip(NEXT) | instid1(VALU_DEP_2)
	v_add_co_u32 v16, vcc_lo, v22, v16
	v_add_co_ci_u32_e32 v17, vcc_lo, v23, v17, vcc_lo
	flat_load_b64 v[16:17], v[16:17]
	s_waitcnt vmcnt(0) lgkmcnt(0)
	v_mul_f64 v[16:17], v[16:17], s[10:11]
	s_branch .LBB172_282
.LBB172_281:
	v_mov_b32_e32 v16, 0
	v_mov_b32_e32 v17, 0
.LBB172_282:
	s_delay_alu instid0(VALU_DEP_1) | instskip(SKIP_2) | instid1(VALU_DEP_1)
	v_cvt_f32_f64_e32 v16, v[16:17]
	v_max_f32_e32 v17, v86, v86
	v_lshlrev_b64 v[24:25], 3, v[6:7]
	v_add_co_u32 v24, vcc_lo, v20, v24
	s_delay_alu instid0(VALU_DEP_2) | instskip(NEXT) | instid1(VALU_DEP_4)
	v_add_co_ci_u32_e32 v25, vcc_lo, v21, v25, vcc_lo
	v_min_f32_e32 v16, v16, v17
	s_delay_alu instid0(VALU_DEP_1) | instskip(SKIP_3) | instid1(SALU_CYCLE_1)
	v_cvt_f64_f32_e32 v[16:17], v16
	global_store_b64 v[24:25], v[16:17], off
	s_or_b32 exec_lo, exec_lo, s16
	s_and_b32 s19, s4, s8
	s_and_saveexec_b32 s16, s19
	s_cbranch_execz .LBB172_264
.LBB172_283:
	v_cmp_ne_u32_e32 vcc_lo, 1, v18
	s_cbranch_vccnz .LBB172_285
; %bb.284:
	v_lshlrev_b64 v[16:17], 3, v[8:9]
	s_delay_alu instid0(VALU_DEP_1) | instskip(NEXT) | instid1(VALU_DEP_2)
	v_add_co_u32 v16, vcc_lo, v22, v16
	v_add_co_ci_u32_e32 v17, vcc_lo, v23, v17, vcc_lo
	flat_load_b64 v[16:17], v[16:17]
	s_waitcnt vmcnt(0) lgkmcnt(0)
	v_mul_f64 v[16:17], v[16:17], s[10:11]
	s_branch .LBB172_286
.LBB172_285:
	v_mov_b32_e32 v16, 0
	v_mov_b32_e32 v17, 0
.LBB172_286:
	s_delay_alu instid0(VALU_DEP_1) | instskip(SKIP_2) | instid1(VALU_DEP_1)
	v_cvt_f32_f64_e32 v16, v[16:17]
	v_max_f32_e32 v17, v85, v85
	v_lshlrev_b64 v[24:25], 3, v[8:9]
	v_add_co_u32 v24, vcc_lo, v20, v24
	s_delay_alu instid0(VALU_DEP_2) | instskip(NEXT) | instid1(VALU_DEP_4)
	v_add_co_ci_u32_e32 v25, vcc_lo, v21, v25, vcc_lo
	v_min_f32_e32 v16, v16, v17
	s_delay_alu instid0(VALU_DEP_1) | instskip(SKIP_3) | instid1(SALU_CYCLE_1)
	v_cvt_f64_f32_e32 v[16:17], v16
	global_store_b64 v[24:25], v[16:17], off
	s_or_b32 exec_lo, exec_lo, s16
	s_and_b32 s19, s5, s8
	s_and_saveexec_b32 s16, s19
	s_cbranch_execz .LBB172_265
.LBB172_287:
	v_cmp_ne_u32_e32 vcc_lo, 1, v18
	s_cbranch_vccnz .LBB172_289
; %bb.288:
	v_lshlrev_b64 v[16:17], 3, v[10:11]
	s_delay_alu instid0(VALU_DEP_1) | instskip(NEXT) | instid1(VALU_DEP_2)
	v_add_co_u32 v16, vcc_lo, v22, v16
	v_add_co_ci_u32_e32 v17, vcc_lo, v23, v17, vcc_lo
	flat_load_b64 v[16:17], v[16:17]
	s_waitcnt vmcnt(0) lgkmcnt(0)
	v_mul_f64 v[16:17], v[16:17], s[10:11]
	s_branch .LBB172_290
.LBB172_289:
	v_mov_b32_e32 v16, 0
	v_mov_b32_e32 v17, 0
.LBB172_290:
	s_delay_alu instid0(VALU_DEP_1) | instskip(SKIP_2) | instid1(VALU_DEP_1)
	v_cvt_f32_f64_e32 v16, v[16:17]
	v_max_f32_e32 v17, v84, v84
	v_lshlrev_b64 v[24:25], 3, v[10:11]
	v_add_co_u32 v24, vcc_lo, v20, v24
	s_delay_alu instid0(VALU_DEP_2) | instskip(NEXT) | instid1(VALU_DEP_4)
	v_add_co_ci_u32_e32 v25, vcc_lo, v21, v25, vcc_lo
	v_min_f32_e32 v16, v16, v17
	s_delay_alu instid0(VALU_DEP_1) | instskip(SKIP_3) | instid1(SALU_CYCLE_1)
	v_cvt_f64_f32_e32 v[16:17], v16
	global_store_b64 v[24:25], v[16:17], off
	s_or_b32 exec_lo, exec_lo, s16
	s_and_b32 s19, s6, s8
	s_and_saveexec_b32 s16, s19
	s_cbranch_execz .LBB172_266
.LBB172_291:
	v_cmp_ne_u32_e32 vcc_lo, 1, v18
	s_cbranch_vccnz .LBB172_293
; %bb.292:
	v_lshlrev_b64 v[16:17], 3, v[12:13]
	s_delay_alu instid0(VALU_DEP_1) | instskip(NEXT) | instid1(VALU_DEP_2)
	v_add_co_u32 v16, vcc_lo, v22, v16
	v_add_co_ci_u32_e32 v17, vcc_lo, v23, v17, vcc_lo
	flat_load_b64 v[16:17], v[16:17]
	s_waitcnt vmcnt(0) lgkmcnt(0)
	v_mul_f64 v[16:17], v[16:17], s[10:11]
	s_branch .LBB172_294
.LBB172_293:
	v_mov_b32_e32 v16, 0
	v_mov_b32_e32 v17, 0
.LBB172_294:
	s_delay_alu instid0(VALU_DEP_1) | instskip(SKIP_2) | instid1(VALU_DEP_1)
	v_cvt_f32_f64_e32 v16, v[16:17]
	v_max_f32_e32 v17, v83, v83
	v_lshlrev_b64 v[24:25], 3, v[12:13]
	v_add_co_u32 v24, vcc_lo, v20, v24
	s_delay_alu instid0(VALU_DEP_2) | instskip(NEXT) | instid1(VALU_DEP_4)
	v_add_co_ci_u32_e32 v25, vcc_lo, v21, v25, vcc_lo
	v_min_f32_e32 v16, v16, v17
	s_delay_alu instid0(VALU_DEP_1) | instskip(SKIP_3) | instid1(SALU_CYCLE_1)
	v_cvt_f64_f32_e32 v[16:17], v16
	global_store_b64 v[24:25], v[16:17], off
	s_or_b32 exec_lo, exec_lo, s16
	s_and_b32 s16, s7, s8
	s_and_saveexec_b32 s8, s16
	s_cbranch_execz .LBB172_299
.LBB172_295:
	v_cmp_ne_u32_e32 vcc_lo, 1, v18
	s_cbranch_vccnz .LBB172_297
; %bb.296:
	v_lshlrev_b64 v[16:17], 3, v[14:15]
	s_delay_alu instid0(VALU_DEP_1) | instskip(NEXT) | instid1(VALU_DEP_2)
	v_add_co_u32 v16, vcc_lo, v22, v16
	v_add_co_ci_u32_e32 v17, vcc_lo, v23, v17, vcc_lo
	flat_load_b64 v[16:17], v[16:17]
	s_waitcnt vmcnt(0) lgkmcnt(0)
	v_mul_f64 v[16:17], v[16:17], s[10:11]
	s_branch .LBB172_298
.LBB172_297:
	v_mov_b32_e32 v16, 0
	v_mov_b32_e32 v17, 0
.LBB172_298:
	s_delay_alu instid0(VALU_DEP_1) | instskip(SKIP_2) | instid1(VALU_DEP_1)
	v_cvt_f32_f64_e32 v16, v[16:17]
	v_max_f32_e32 v17, v82, v82
	v_lshlrev_b64 v[22:23], 3, v[14:15]
	v_add_co_u32 v20, vcc_lo, v20, v22
	s_delay_alu instid0(VALU_DEP_2) | instskip(NEXT) | instid1(VALU_DEP_4)
	v_add_co_ci_u32_e32 v21, vcc_lo, v21, v23, vcc_lo
	v_min_f32_e32 v16, v16, v17
	s_delay_alu instid0(VALU_DEP_1)
	v_cvt_f64_f32_e32 v[16:17], v16
	global_store_b64 v[20:21], v[16:17], off
.LBB172_299:
	s_or_b32 exec_lo, exec_lo, s8
	v_add_nc_u32_e32 v22, 0xc0, v19
	s_delay_alu instid0(VALU_DEP_1) | instskip(SKIP_2) | instid1(VALU_DEP_3)
	v_mad_i64_i32 v[16:17], null, v22, s18, 0
	v_mad_i64_i32 v[20:21], null, v22, s9, 0
	v_cmp_gt_i32_e64 s8, s17, v22
	v_lshlrev_b64 v[16:17], 3, v[16:17]
	s_delay_alu instid0(VALU_DEP_2) | instskip(NEXT) | instid1(VALU_DEP_3)
	s_and_b32 s19, s0, s8
	v_lshlrev_b64 v[20:21], 3, v[20:21]
	s_delay_alu instid0(VALU_DEP_2) | instskip(NEXT) | instid1(VALU_DEP_3)
	v_add_co_u32 v22, vcc_lo, s12, v16
	v_add_co_ci_u32_e32 v23, vcc_lo, s13, v17, vcc_lo
	s_delay_alu instid0(VALU_DEP_3) | instskip(NEXT) | instid1(VALU_DEP_4)
	v_add_co_u32 v20, vcc_lo, s14, v20
	v_add_co_ci_u32_e32 v21, vcc_lo, s15, v21, vcc_lo
	s_and_saveexec_b32 s16, s19
	s_cbranch_execnz .LBB172_307
; %bb.300:
	s_or_b32 exec_lo, exec_lo, s16
	s_and_b32 s19, s1, s8
	s_delay_alu instid0(SALU_CYCLE_1)
	s_and_saveexec_b32 s16, s19
	s_cbranch_execnz .LBB172_311
.LBB172_301:
	s_or_b32 exec_lo, exec_lo, s16
	s_and_b32 s19, s2, s8
	s_delay_alu instid0(SALU_CYCLE_1)
	s_and_saveexec_b32 s16, s19
	s_cbranch_execnz .LBB172_315
.LBB172_302:
	s_or_b32 exec_lo, exec_lo, s16
	s_and_b32 s19, s3, s8
	s_delay_alu instid0(SALU_CYCLE_1)
	s_and_saveexec_b32 s16, s19
	s_cbranch_execnz .LBB172_319
.LBB172_303:
	s_or_b32 exec_lo, exec_lo, s16
	s_and_b32 s19, s4, s8
	s_delay_alu instid0(SALU_CYCLE_1)
	s_and_saveexec_b32 s16, s19
	s_cbranch_execnz .LBB172_323
.LBB172_304:
	s_or_b32 exec_lo, exec_lo, s16
	s_and_b32 s19, s5, s8
	s_delay_alu instid0(SALU_CYCLE_1)
	s_and_saveexec_b32 s16, s19
	s_cbranch_execnz .LBB172_327
.LBB172_305:
	s_or_b32 exec_lo, exec_lo, s16
	s_and_b32 s19, s6, s8
	s_delay_alu instid0(SALU_CYCLE_1)
	s_and_saveexec_b32 s16, s19
	s_cbranch_execnz .LBB172_331
.LBB172_306:
	s_or_b32 exec_lo, exec_lo, s16
	s_and_b32 s16, s7, s8
	s_delay_alu instid0(SALU_CYCLE_1)
	s_and_saveexec_b32 s8, s16
	s_cbranch_execnz .LBB172_335
	s_branch .LBB172_339
.LBB172_307:
	v_cmp_ne_u32_e32 vcc_lo, 1, v18
	s_cbranch_vccnz .LBB172_309
; %bb.308:
	v_lshlrev_b64 v[16:17], 3, v[0:1]
	s_delay_alu instid0(VALU_DEP_1) | instskip(NEXT) | instid1(VALU_DEP_2)
	v_add_co_u32 v16, vcc_lo, v22, v16
	v_add_co_ci_u32_e32 v17, vcc_lo, v23, v17, vcc_lo
	flat_load_b64 v[16:17], v[16:17]
	s_waitcnt vmcnt(0) lgkmcnt(0)
	v_mul_f64 v[16:17], v[16:17], s[10:11]
	s_branch .LBB172_310
.LBB172_309:
	v_mov_b32_e32 v16, 0
	v_mov_b32_e32 v17, 0
.LBB172_310:
	s_delay_alu instid0(VALU_DEP_1) | instskip(SKIP_2) | instid1(VALU_DEP_1)
	v_cvt_f32_f64_e32 v16, v[16:17]
	v_max_f32_e32 v17, v81, v81
	v_lshlrev_b64 v[24:25], 3, v[0:1]
	v_add_co_u32 v24, vcc_lo, v20, v24
	s_delay_alu instid0(VALU_DEP_2) | instskip(NEXT) | instid1(VALU_DEP_4)
	v_add_co_ci_u32_e32 v25, vcc_lo, v21, v25, vcc_lo
	v_min_f32_e32 v16, v16, v17
	s_delay_alu instid0(VALU_DEP_1) | instskip(SKIP_3) | instid1(SALU_CYCLE_1)
	v_cvt_f64_f32_e32 v[16:17], v16
	global_store_b64 v[24:25], v[16:17], off
	s_or_b32 exec_lo, exec_lo, s16
	s_and_b32 s19, s1, s8
	s_and_saveexec_b32 s16, s19
	s_cbranch_execz .LBB172_301
.LBB172_311:
	v_cmp_ne_u32_e32 vcc_lo, 1, v18
	s_cbranch_vccnz .LBB172_313
; %bb.312:
	v_lshlrev_b64 v[16:17], 3, v[2:3]
	s_delay_alu instid0(VALU_DEP_1) | instskip(NEXT) | instid1(VALU_DEP_2)
	v_add_co_u32 v16, vcc_lo, v22, v16
	v_add_co_ci_u32_e32 v17, vcc_lo, v23, v17, vcc_lo
	flat_load_b64 v[16:17], v[16:17]
	s_waitcnt vmcnt(0) lgkmcnt(0)
	v_mul_f64 v[16:17], v[16:17], s[10:11]
	s_branch .LBB172_314
.LBB172_313:
	v_mov_b32_e32 v16, 0
	v_mov_b32_e32 v17, 0
.LBB172_314:
	s_delay_alu instid0(VALU_DEP_1) | instskip(SKIP_2) | instid1(VALU_DEP_1)
	v_cvt_f32_f64_e32 v16, v[16:17]
	v_max_f32_e32 v17, v80, v80
	v_lshlrev_b64 v[24:25], 3, v[2:3]
	v_add_co_u32 v24, vcc_lo, v20, v24
	s_delay_alu instid0(VALU_DEP_2) | instskip(NEXT) | instid1(VALU_DEP_4)
	v_add_co_ci_u32_e32 v25, vcc_lo, v21, v25, vcc_lo
	v_min_f32_e32 v16, v16, v17
	s_delay_alu instid0(VALU_DEP_1) | instskip(SKIP_3) | instid1(SALU_CYCLE_1)
	v_cvt_f64_f32_e32 v[16:17], v16
	global_store_b64 v[24:25], v[16:17], off
	s_or_b32 exec_lo, exec_lo, s16
	s_and_b32 s19, s2, s8
	s_and_saveexec_b32 s16, s19
	s_cbranch_execz .LBB172_302
.LBB172_315:
	v_cmp_ne_u32_e32 vcc_lo, 1, v18
	s_cbranch_vccnz .LBB172_317
; %bb.316:
	v_lshlrev_b64 v[16:17], 3, v[4:5]
	s_delay_alu instid0(VALU_DEP_1) | instskip(NEXT) | instid1(VALU_DEP_2)
	v_add_co_u32 v16, vcc_lo, v22, v16
	v_add_co_ci_u32_e32 v17, vcc_lo, v23, v17, vcc_lo
	flat_load_b64 v[16:17], v[16:17]
	s_waitcnt vmcnt(0) lgkmcnt(0)
	v_mul_f64 v[16:17], v[16:17], s[10:11]
	s_branch .LBB172_318
.LBB172_317:
	v_mov_b32_e32 v16, 0
	v_mov_b32_e32 v17, 0
.LBB172_318:
	s_delay_alu instid0(VALU_DEP_1) | instskip(SKIP_2) | instid1(VALU_DEP_1)
	v_cvt_f32_f64_e32 v16, v[16:17]
	v_max_f32_e32 v17, v79, v79
	v_lshlrev_b64 v[24:25], 3, v[4:5]
	v_add_co_u32 v24, vcc_lo, v20, v24
	s_delay_alu instid0(VALU_DEP_2) | instskip(NEXT) | instid1(VALU_DEP_4)
	v_add_co_ci_u32_e32 v25, vcc_lo, v21, v25, vcc_lo
	v_min_f32_e32 v16, v16, v17
	s_delay_alu instid0(VALU_DEP_1) | instskip(SKIP_3) | instid1(SALU_CYCLE_1)
	v_cvt_f64_f32_e32 v[16:17], v16
	global_store_b64 v[24:25], v[16:17], off
	s_or_b32 exec_lo, exec_lo, s16
	s_and_b32 s19, s3, s8
	s_and_saveexec_b32 s16, s19
	s_cbranch_execz .LBB172_303
.LBB172_319:
	v_cmp_ne_u32_e32 vcc_lo, 1, v18
	s_cbranch_vccnz .LBB172_321
; %bb.320:
	v_lshlrev_b64 v[16:17], 3, v[6:7]
	s_delay_alu instid0(VALU_DEP_1) | instskip(NEXT) | instid1(VALU_DEP_2)
	v_add_co_u32 v16, vcc_lo, v22, v16
	v_add_co_ci_u32_e32 v17, vcc_lo, v23, v17, vcc_lo
	flat_load_b64 v[16:17], v[16:17]
	s_waitcnt vmcnt(0) lgkmcnt(0)
	v_mul_f64 v[16:17], v[16:17], s[10:11]
	s_branch .LBB172_322
.LBB172_321:
	v_mov_b32_e32 v16, 0
	v_mov_b32_e32 v17, 0
.LBB172_322:
	s_delay_alu instid0(VALU_DEP_1) | instskip(SKIP_2) | instid1(VALU_DEP_1)
	v_cvt_f32_f64_e32 v16, v[16:17]
	v_max_f32_e32 v17, v78, v78
	v_lshlrev_b64 v[24:25], 3, v[6:7]
	v_add_co_u32 v24, vcc_lo, v20, v24
	s_delay_alu instid0(VALU_DEP_2) | instskip(NEXT) | instid1(VALU_DEP_4)
	v_add_co_ci_u32_e32 v25, vcc_lo, v21, v25, vcc_lo
	v_min_f32_e32 v16, v16, v17
	s_delay_alu instid0(VALU_DEP_1) | instskip(SKIP_3) | instid1(SALU_CYCLE_1)
	v_cvt_f64_f32_e32 v[16:17], v16
	global_store_b64 v[24:25], v[16:17], off
	s_or_b32 exec_lo, exec_lo, s16
	s_and_b32 s19, s4, s8
	s_and_saveexec_b32 s16, s19
	s_cbranch_execz .LBB172_304
.LBB172_323:
	v_cmp_ne_u32_e32 vcc_lo, 1, v18
	s_cbranch_vccnz .LBB172_325
; %bb.324:
	v_lshlrev_b64 v[16:17], 3, v[8:9]
	s_delay_alu instid0(VALU_DEP_1) | instskip(NEXT) | instid1(VALU_DEP_2)
	v_add_co_u32 v16, vcc_lo, v22, v16
	v_add_co_ci_u32_e32 v17, vcc_lo, v23, v17, vcc_lo
	flat_load_b64 v[16:17], v[16:17]
	s_waitcnt vmcnt(0) lgkmcnt(0)
	v_mul_f64 v[16:17], v[16:17], s[10:11]
	s_branch .LBB172_326
.LBB172_325:
	v_mov_b32_e32 v16, 0
	v_mov_b32_e32 v17, 0
.LBB172_326:
	s_delay_alu instid0(VALU_DEP_1) | instskip(SKIP_2) | instid1(VALU_DEP_1)
	v_cvt_f32_f64_e32 v16, v[16:17]
	v_max_f32_e32 v17, v77, v77
	v_lshlrev_b64 v[24:25], 3, v[8:9]
	v_add_co_u32 v24, vcc_lo, v20, v24
	s_delay_alu instid0(VALU_DEP_2) | instskip(NEXT) | instid1(VALU_DEP_4)
	v_add_co_ci_u32_e32 v25, vcc_lo, v21, v25, vcc_lo
	v_min_f32_e32 v16, v16, v17
	s_delay_alu instid0(VALU_DEP_1) | instskip(SKIP_3) | instid1(SALU_CYCLE_1)
	v_cvt_f64_f32_e32 v[16:17], v16
	global_store_b64 v[24:25], v[16:17], off
	s_or_b32 exec_lo, exec_lo, s16
	s_and_b32 s19, s5, s8
	s_and_saveexec_b32 s16, s19
	s_cbranch_execz .LBB172_305
.LBB172_327:
	v_cmp_ne_u32_e32 vcc_lo, 1, v18
	s_cbranch_vccnz .LBB172_329
; %bb.328:
	v_lshlrev_b64 v[16:17], 3, v[10:11]
	s_delay_alu instid0(VALU_DEP_1) | instskip(NEXT) | instid1(VALU_DEP_2)
	v_add_co_u32 v16, vcc_lo, v22, v16
	v_add_co_ci_u32_e32 v17, vcc_lo, v23, v17, vcc_lo
	flat_load_b64 v[16:17], v[16:17]
	s_waitcnt vmcnt(0) lgkmcnt(0)
	v_mul_f64 v[16:17], v[16:17], s[10:11]
	s_branch .LBB172_330
.LBB172_329:
	v_mov_b32_e32 v16, 0
	v_mov_b32_e32 v17, 0
.LBB172_330:
	s_delay_alu instid0(VALU_DEP_1) | instskip(SKIP_2) | instid1(VALU_DEP_1)
	v_cvt_f32_f64_e32 v16, v[16:17]
	v_max_f32_e32 v17, v76, v76
	v_lshlrev_b64 v[24:25], 3, v[10:11]
	v_add_co_u32 v24, vcc_lo, v20, v24
	s_delay_alu instid0(VALU_DEP_2) | instskip(NEXT) | instid1(VALU_DEP_4)
	v_add_co_ci_u32_e32 v25, vcc_lo, v21, v25, vcc_lo
	v_min_f32_e32 v16, v16, v17
	s_delay_alu instid0(VALU_DEP_1) | instskip(SKIP_3) | instid1(SALU_CYCLE_1)
	v_cvt_f64_f32_e32 v[16:17], v16
	global_store_b64 v[24:25], v[16:17], off
	s_or_b32 exec_lo, exec_lo, s16
	s_and_b32 s19, s6, s8
	s_and_saveexec_b32 s16, s19
	s_cbranch_execz .LBB172_306
.LBB172_331:
	v_cmp_ne_u32_e32 vcc_lo, 1, v18
	s_cbranch_vccnz .LBB172_333
; %bb.332:
	v_lshlrev_b64 v[16:17], 3, v[12:13]
	s_delay_alu instid0(VALU_DEP_1) | instskip(NEXT) | instid1(VALU_DEP_2)
	v_add_co_u32 v16, vcc_lo, v22, v16
	v_add_co_ci_u32_e32 v17, vcc_lo, v23, v17, vcc_lo
	flat_load_b64 v[16:17], v[16:17]
	s_waitcnt vmcnt(0) lgkmcnt(0)
	v_mul_f64 v[16:17], v[16:17], s[10:11]
	s_branch .LBB172_334
.LBB172_333:
	v_mov_b32_e32 v16, 0
	v_mov_b32_e32 v17, 0
.LBB172_334:
	s_delay_alu instid0(VALU_DEP_1) | instskip(SKIP_2) | instid1(VALU_DEP_1)
	v_cvt_f32_f64_e32 v16, v[16:17]
	v_max_f32_e32 v17, v75, v75
	v_lshlrev_b64 v[24:25], 3, v[12:13]
	v_add_co_u32 v24, vcc_lo, v20, v24
	s_delay_alu instid0(VALU_DEP_2) | instskip(NEXT) | instid1(VALU_DEP_4)
	v_add_co_ci_u32_e32 v25, vcc_lo, v21, v25, vcc_lo
	v_min_f32_e32 v16, v16, v17
	s_delay_alu instid0(VALU_DEP_1) | instskip(SKIP_3) | instid1(SALU_CYCLE_1)
	v_cvt_f64_f32_e32 v[16:17], v16
	global_store_b64 v[24:25], v[16:17], off
	s_or_b32 exec_lo, exec_lo, s16
	s_and_b32 s16, s7, s8
	s_and_saveexec_b32 s8, s16
	s_cbranch_execz .LBB172_339
.LBB172_335:
	v_cmp_ne_u32_e32 vcc_lo, 1, v18
	s_cbranch_vccnz .LBB172_337
; %bb.336:
	v_lshlrev_b64 v[16:17], 3, v[14:15]
	s_delay_alu instid0(VALU_DEP_1) | instskip(NEXT) | instid1(VALU_DEP_2)
	v_add_co_u32 v16, vcc_lo, v22, v16
	v_add_co_ci_u32_e32 v17, vcc_lo, v23, v17, vcc_lo
	flat_load_b64 v[16:17], v[16:17]
	s_waitcnt vmcnt(0) lgkmcnt(0)
	v_mul_f64 v[16:17], v[16:17], s[10:11]
	s_branch .LBB172_338
.LBB172_337:
	v_mov_b32_e32 v16, 0
	v_mov_b32_e32 v17, 0
.LBB172_338:
	s_delay_alu instid0(VALU_DEP_1) | instskip(SKIP_2) | instid1(VALU_DEP_1)
	v_cvt_f32_f64_e32 v16, v[16:17]
	v_max_f32_e32 v17, v74, v74
	v_lshlrev_b64 v[22:23], 3, v[14:15]
	v_add_co_u32 v20, vcc_lo, v20, v22
	s_delay_alu instid0(VALU_DEP_2) | instskip(NEXT) | instid1(VALU_DEP_4)
	v_add_co_ci_u32_e32 v21, vcc_lo, v21, v23, vcc_lo
	v_min_f32_e32 v16, v16, v17
	s_delay_alu instid0(VALU_DEP_1)
	v_cvt_f64_f32_e32 v[16:17], v16
	global_store_b64 v[20:21], v[16:17], off
.LBB172_339:
	s_or_b32 exec_lo, exec_lo, s8
	v_add_nc_u32_e32 v21, 0xe0, v19
	s_delay_alu instid0(VALU_DEP_1) | instskip(SKIP_2) | instid1(VALU_DEP_3)
	v_mad_i64_i32 v[16:17], null, v21, s18, 0
	v_mad_i64_i32 v[19:20], null, v21, s9, 0
	v_cmp_gt_i32_e64 s8, s17, v21
	v_lshlrev_b64 v[16:17], 3, v[16:17]
	s_delay_alu instid0(VALU_DEP_2) | instskip(NEXT) | instid1(VALU_DEP_3)
	s_and_b32 s9, s0, s8
	v_lshlrev_b64 v[21:22], 3, v[19:20]
	s_delay_alu instid0(VALU_DEP_2) | instskip(NEXT) | instid1(VALU_DEP_3)
	v_add_co_u32 v19, vcc_lo, s12, v16
	v_add_co_ci_u32_e32 v20, vcc_lo, s13, v17, vcc_lo
	s_delay_alu instid0(VALU_DEP_3) | instskip(NEXT) | instid1(VALU_DEP_4)
	v_add_co_u32 v16, vcc_lo, s14, v21
	v_add_co_ci_u32_e32 v17, vcc_lo, s15, v22, vcc_lo
	s_and_saveexec_b32 s0, s9
	s_cbranch_execnz .LBB172_348
; %bb.340:
	s_or_b32 exec_lo, exec_lo, s0
	s_and_b32 s1, s1, s8
	s_delay_alu instid0(SALU_CYCLE_1)
	s_and_saveexec_b32 s0, s1
	s_cbranch_execnz .LBB172_352
.LBB172_341:
	s_or_b32 exec_lo, exec_lo, s0
	s_and_b32 s1, s2, s8
	s_delay_alu instid0(SALU_CYCLE_1)
	s_and_saveexec_b32 s0, s1
	s_cbranch_execnz .LBB172_356
.LBB172_342:
	s_or_b32 exec_lo, exec_lo, s0
	s_and_b32 s1, s3, s8
	s_delay_alu instid0(SALU_CYCLE_1)
	s_and_saveexec_b32 s0, s1
	s_cbranch_execnz .LBB172_360
.LBB172_343:
	s_or_b32 exec_lo, exec_lo, s0
	s_and_b32 s1, s4, s8
	s_delay_alu instid0(SALU_CYCLE_1)
	s_and_saveexec_b32 s0, s1
	s_cbranch_execnz .LBB172_364
.LBB172_344:
	s_or_b32 exec_lo, exec_lo, s0
	s_and_b32 s1, s5, s8
	s_delay_alu instid0(SALU_CYCLE_1)
	s_and_saveexec_b32 s0, s1
	s_cbranch_execnz .LBB172_368
.LBB172_345:
	s_or_b32 exec_lo, exec_lo, s0
	s_and_b32 s1, s6, s8
	s_delay_alu instid0(SALU_CYCLE_1)
	s_and_saveexec_b32 s0, s1
	s_cbranch_execnz .LBB172_372
.LBB172_346:
	s_or_b32 exec_lo, exec_lo, s0
	s_and_b32 s0, s7, s8
	s_delay_alu instid0(SALU_CYCLE_1)
	s_and_saveexec_b32 s1, s0
	s_cbranch_execnz .LBB172_376
.LBB172_347:
	s_nop 0
	s_sendmsg sendmsg(MSG_DEALLOC_VGPRS)
	s_endpgm
.LBB172_348:
	v_cmp_ne_u32_e32 vcc_lo, 1, v18
	v_lshlrev_b64 v[0:1], 3, v[0:1]
	s_cbranch_vccnz .LBB172_350
; %bb.349:
	s_delay_alu instid0(VALU_DEP_1) | instskip(NEXT) | instid1(VALU_DEP_2)
	v_add_co_u32 v21, vcc_lo, v19, v0
	v_add_co_ci_u32_e32 v22, vcc_lo, v20, v1, vcc_lo
	flat_load_b64 v[21:22], v[21:22]
	s_waitcnt vmcnt(0) lgkmcnt(0)
	v_mul_f64 v[21:22], v[21:22], s[10:11]
	s_delay_alu instid0(VALU_DEP_1)
	v_cvt_f32_f64_e32 v21, v[21:22]
	s_branch .LBB172_351
.LBB172_350:
	v_mov_b32_e32 v21, 0
.LBB172_351:
	v_max_f32_e32 v22, v73, v73
	s_delay_alu instid0(VALU_DEP_2) | instskip(NEXT) | instid1(VALU_DEP_4)
	v_max_f32_e32 v21, v21, v21
	v_add_co_u32 v0, vcc_lo, v16, v0
	v_add_co_ci_u32_e32 v1, vcc_lo, v17, v1, vcc_lo
	s_delay_alu instid0(VALU_DEP_3) | instskip(NEXT) | instid1(VALU_DEP_1)
	v_min_f32_e32 v21, v21, v22
	v_cvt_f64_f32_e32 v[21:22], v21
	global_store_b64 v[0:1], v[21:22], off
	s_or_b32 exec_lo, exec_lo, s0
	s_and_b32 s1, s1, s8
	s_delay_alu instid0(SALU_CYCLE_1)
	s_and_saveexec_b32 s0, s1
	s_cbranch_execz .LBB172_341
.LBB172_352:
	v_cmp_ne_u32_e32 vcc_lo, 1, v18
	v_lshlrev_b64 v[0:1], 3, v[2:3]
	s_cbranch_vccnz .LBB172_354
; %bb.353:
	s_delay_alu instid0(VALU_DEP_1) | instskip(NEXT) | instid1(VALU_DEP_2)
	v_add_co_u32 v2, vcc_lo, v19, v0
	v_add_co_ci_u32_e32 v3, vcc_lo, v20, v1, vcc_lo
	flat_load_b64 v[2:3], v[2:3]
	s_waitcnt vmcnt(0) lgkmcnt(0)
	v_mul_f64 v[2:3], v[2:3], s[10:11]
	s_delay_alu instid0(VALU_DEP_1)
	v_cvt_f32_f64_e32 v2, v[2:3]
	s_branch .LBB172_355
.LBB172_354:
	v_mov_b32_e32 v2, 0
.LBB172_355:
	s_delay_alu instid0(VALU_DEP_1) | instskip(NEXT) | instid1(VALU_DEP_3)
	v_dual_max_f32 v3, v72, v72 :: v_dual_max_f32 v2, v2, v2
	v_add_co_u32 v0, vcc_lo, v16, v0
	s_delay_alu instid0(VALU_DEP_4) | instskip(NEXT) | instid1(VALU_DEP_3)
	v_add_co_ci_u32_e32 v1, vcc_lo, v17, v1, vcc_lo
	v_min_f32_e32 v2, v2, v3
	s_delay_alu instid0(VALU_DEP_1) | instskip(SKIP_3) | instid1(SALU_CYCLE_1)
	v_cvt_f64_f32_e32 v[2:3], v2
	global_store_b64 v[0:1], v[2:3], off
	s_or_b32 exec_lo, exec_lo, s0
	s_and_b32 s1, s2, s8
	s_and_saveexec_b32 s0, s1
	s_cbranch_execz .LBB172_342
.LBB172_356:
	v_cmp_ne_u32_e32 vcc_lo, 1, v18
	v_lshlrev_b64 v[0:1], 3, v[4:5]
	s_cbranch_vccnz .LBB172_358
; %bb.357:
	s_delay_alu instid0(VALU_DEP_1) | instskip(NEXT) | instid1(VALU_DEP_2)
	v_add_co_u32 v2, vcc_lo, v19, v0
	v_add_co_ci_u32_e32 v3, vcc_lo, v20, v1, vcc_lo
	flat_load_b64 v[2:3], v[2:3]
	s_waitcnt vmcnt(0) lgkmcnt(0)
	v_mul_f64 v[2:3], v[2:3], s[10:11]
	s_delay_alu instid0(VALU_DEP_1)
	v_cvt_f32_f64_e32 v2, v[2:3]
	s_branch .LBB172_359
.LBB172_358:
	v_mov_b32_e32 v2, 0
.LBB172_359:
	s_delay_alu instid0(VALU_DEP_1) | instskip(NEXT) | instid1(VALU_DEP_3)
	v_dual_max_f32 v3, v71, v71 :: v_dual_max_f32 v2, v2, v2
	v_add_co_u32 v0, vcc_lo, v16, v0
	s_delay_alu instid0(VALU_DEP_4) | instskip(NEXT) | instid1(VALU_DEP_3)
	v_add_co_ci_u32_e32 v1, vcc_lo, v17, v1, vcc_lo
	v_min_f32_e32 v2, v2, v3
	s_delay_alu instid0(VALU_DEP_1) | instskip(SKIP_3) | instid1(SALU_CYCLE_1)
	v_cvt_f64_f32_e32 v[2:3], v2
	global_store_b64 v[0:1], v[2:3], off
	s_or_b32 exec_lo, exec_lo, s0
	s_and_b32 s1, s3, s8
	s_and_saveexec_b32 s0, s1
	s_cbranch_execz .LBB172_343
.LBB172_360:
	v_cmp_ne_u32_e32 vcc_lo, 1, v18
	v_lshlrev_b64 v[0:1], 3, v[6:7]
	s_cbranch_vccnz .LBB172_362
; %bb.361:
	s_delay_alu instid0(VALU_DEP_1) | instskip(NEXT) | instid1(VALU_DEP_2)
	v_add_co_u32 v2, vcc_lo, v19, v0
	v_add_co_ci_u32_e32 v3, vcc_lo, v20, v1, vcc_lo
	flat_load_b64 v[2:3], v[2:3]
	s_waitcnt vmcnt(0) lgkmcnt(0)
	v_mul_f64 v[2:3], v[2:3], s[10:11]
	s_delay_alu instid0(VALU_DEP_1)
	v_cvt_f32_f64_e32 v2, v[2:3]
	s_branch .LBB172_363
.LBB172_362:
	v_mov_b32_e32 v2, 0
.LBB172_363:
	v_max_f32_e32 v3, v70, v70
	s_delay_alu instid0(VALU_DEP_2) | instskip(NEXT) | instid1(VALU_DEP_4)
	v_max_f32_e32 v2, v2, v2
	v_add_co_u32 v0, vcc_lo, v16, v0
	v_add_co_ci_u32_e32 v1, vcc_lo, v17, v1, vcc_lo
	s_delay_alu instid0(VALU_DEP_3) | instskip(NEXT) | instid1(VALU_DEP_1)
	v_min_f32_e32 v2, v2, v3
	v_cvt_f64_f32_e32 v[2:3], v2
	global_store_b64 v[0:1], v[2:3], off
	s_or_b32 exec_lo, exec_lo, s0
	s_and_b32 s1, s4, s8
	s_delay_alu instid0(SALU_CYCLE_1)
	s_and_saveexec_b32 s0, s1
	s_cbranch_execz .LBB172_344
.LBB172_364:
	v_cmp_ne_u32_e32 vcc_lo, 1, v18
	v_lshlrev_b64 v[0:1], 3, v[8:9]
	s_cbranch_vccnz .LBB172_366
; %bb.365:
	s_delay_alu instid0(VALU_DEP_1) | instskip(NEXT) | instid1(VALU_DEP_2)
	v_add_co_u32 v2, vcc_lo, v19, v0
	v_add_co_ci_u32_e32 v3, vcc_lo, v20, v1, vcc_lo
	flat_load_b64 v[2:3], v[2:3]
	s_waitcnt vmcnt(0) lgkmcnt(0)
	v_mul_f64 v[2:3], v[2:3], s[10:11]
	s_delay_alu instid0(VALU_DEP_1)
	v_cvt_f32_f64_e32 v2, v[2:3]
	s_branch .LBB172_367
.LBB172_366:
	v_mov_b32_e32 v2, 0
.LBB172_367:
	s_delay_alu instid0(VALU_DEP_1) | instskip(NEXT) | instid1(VALU_DEP_3)
	v_dual_max_f32 v3, v69, v69 :: v_dual_max_f32 v2, v2, v2
	v_add_co_u32 v0, vcc_lo, v16, v0
	s_delay_alu instid0(VALU_DEP_4) | instskip(NEXT) | instid1(VALU_DEP_3)
	v_add_co_ci_u32_e32 v1, vcc_lo, v17, v1, vcc_lo
	v_min_f32_e32 v2, v2, v3
	s_delay_alu instid0(VALU_DEP_1) | instskip(SKIP_3) | instid1(SALU_CYCLE_1)
	v_cvt_f64_f32_e32 v[2:3], v2
	global_store_b64 v[0:1], v[2:3], off
	s_or_b32 exec_lo, exec_lo, s0
	s_and_b32 s1, s5, s8
	s_and_saveexec_b32 s0, s1
	s_cbranch_execz .LBB172_345
.LBB172_368:
	v_cmp_ne_u32_e32 vcc_lo, 1, v18
	v_lshlrev_b64 v[0:1], 3, v[10:11]
	s_cbranch_vccnz .LBB172_370
; %bb.369:
	s_delay_alu instid0(VALU_DEP_1) | instskip(NEXT) | instid1(VALU_DEP_2)
	v_add_co_u32 v2, vcc_lo, v19, v0
	v_add_co_ci_u32_e32 v3, vcc_lo, v20, v1, vcc_lo
	flat_load_b64 v[2:3], v[2:3]
	s_waitcnt vmcnt(0) lgkmcnt(0)
	v_mul_f64 v[2:3], v[2:3], s[10:11]
	s_delay_alu instid0(VALU_DEP_1)
	v_cvt_f32_f64_e32 v2, v[2:3]
	s_branch .LBB172_371
.LBB172_370:
	v_mov_b32_e32 v2, 0
.LBB172_371:
	s_delay_alu instid0(VALU_DEP_1) | instskip(NEXT) | instid1(VALU_DEP_3)
	v_dual_max_f32 v3, v68, v68 :: v_dual_max_f32 v2, v2, v2
	v_add_co_u32 v0, vcc_lo, v16, v0
	s_delay_alu instid0(VALU_DEP_4) | instskip(NEXT) | instid1(VALU_DEP_3)
	v_add_co_ci_u32_e32 v1, vcc_lo, v17, v1, vcc_lo
	v_min_f32_e32 v2, v2, v3
	s_delay_alu instid0(VALU_DEP_1) | instskip(SKIP_3) | instid1(SALU_CYCLE_1)
	v_cvt_f64_f32_e32 v[2:3], v2
	global_store_b64 v[0:1], v[2:3], off
	s_or_b32 exec_lo, exec_lo, s0
	s_and_b32 s1, s6, s8
	s_and_saveexec_b32 s0, s1
	s_cbranch_execz .LBB172_346
.LBB172_372:
	v_cmp_ne_u32_e32 vcc_lo, 1, v18
	v_lshlrev_b64 v[0:1], 3, v[12:13]
	s_cbranch_vccnz .LBB172_374
; %bb.373:
	s_delay_alu instid0(VALU_DEP_1) | instskip(NEXT) | instid1(VALU_DEP_2)
	v_add_co_u32 v2, vcc_lo, v19, v0
	v_add_co_ci_u32_e32 v3, vcc_lo, v20, v1, vcc_lo
	flat_load_b64 v[2:3], v[2:3]
	s_waitcnt vmcnt(0) lgkmcnt(0)
	v_mul_f64 v[2:3], v[2:3], s[10:11]
	s_delay_alu instid0(VALU_DEP_1)
	v_cvt_f32_f64_e32 v2, v[2:3]
	s_branch .LBB172_375
.LBB172_374:
	v_mov_b32_e32 v2, 0
.LBB172_375:
	s_delay_alu instid0(VALU_DEP_1) | instskip(NEXT) | instid1(VALU_DEP_3)
	v_dual_max_f32 v3, v67, v67 :: v_dual_max_f32 v2, v2, v2
	v_add_co_u32 v0, vcc_lo, v16, v0
	s_delay_alu instid0(VALU_DEP_4) | instskip(NEXT) | instid1(VALU_DEP_3)
	v_add_co_ci_u32_e32 v1, vcc_lo, v17, v1, vcc_lo
	v_min_f32_e32 v2, v2, v3
	s_delay_alu instid0(VALU_DEP_1) | instskip(SKIP_3) | instid1(SALU_CYCLE_1)
	v_cvt_f64_f32_e32 v[2:3], v2
	global_store_b64 v[0:1], v[2:3], off
	s_or_b32 exec_lo, exec_lo, s0
	s_and_b32 s0, s7, s8
	s_and_saveexec_b32 s1, s0
	s_cbranch_execz .LBB172_347
.LBB172_376:
	v_cmp_ne_u32_e32 vcc_lo, 1, v18
	v_lshlrev_b64 v[0:1], 3, v[14:15]
	s_cbranch_vccnz .LBB172_378
; %bb.377:
	s_delay_alu instid0(VALU_DEP_1) | instskip(NEXT) | instid1(VALU_DEP_2)
	v_add_co_u32 v2, vcc_lo, v19, v0
	v_add_co_ci_u32_e32 v3, vcc_lo, v20, v1, vcc_lo
	flat_load_b64 v[2:3], v[2:3]
	s_waitcnt vmcnt(0) lgkmcnt(0)
	v_mul_f64 v[2:3], v[2:3], s[10:11]
	s_delay_alu instid0(VALU_DEP_1)
	v_cvt_f32_f64_e32 v2, v[2:3]
	s_branch .LBB172_379
.LBB172_378:
	v_mov_b32_e32 v2, 0
.LBB172_379:
	v_max_f32_e32 v3, v66, v66
	s_delay_alu instid0(VALU_DEP_2) | instskip(NEXT) | instid1(VALU_DEP_4)
	v_max_f32_e32 v2, v2, v2
	v_add_co_u32 v0, vcc_lo, v16, v0
	v_add_co_ci_u32_e32 v1, vcc_lo, v17, v1, vcc_lo
	s_delay_alu instid0(VALU_DEP_3) | instskip(NEXT) | instid1(VALU_DEP_1)
	v_min_f32_e32 v2, v2, v3
	v_cvt_f64_f32_e32 v[2:3], v2
	global_store_b64 v[0:1], v[2:3], off
	s_nop 0
	s_sendmsg sendmsg(MSG_DEALLOC_VGPRS)
	s_endpgm
	.section	.rodata,"a",@progbits
	.p2align	6, 0x0
	.amdhsa_kernel _ZN12_GLOBAL__N_120geam_min_plus_kernelId15HIP_vector_typeIdLj2EEdLi8ELi32ELi64ELi256ELi4ELi64ELi4ELi64ELi4ELc78ELc84ELb1ELb1ELb1EdKddEEviiiT16_PT17_ilS6_ilS4_S6_ilPT18_ili26rocblas_geam_ex_operation_
		.amdhsa_group_segment_fixed_size 20480
		.amdhsa_private_segment_fixed_size 0
		.amdhsa_kernarg_size 136
		.amdhsa_user_sgpr_count 14
		.amdhsa_user_sgpr_dispatch_ptr 0
		.amdhsa_user_sgpr_queue_ptr 0
		.amdhsa_user_sgpr_kernarg_segment_ptr 1
		.amdhsa_user_sgpr_dispatch_id 0
		.amdhsa_user_sgpr_private_segment_size 0
		.amdhsa_wavefront_size32 1
		.amdhsa_uses_dynamic_stack 0
		.amdhsa_enable_private_segment 0
		.amdhsa_system_sgpr_workgroup_id_x 1
		.amdhsa_system_sgpr_workgroup_id_y 0
		.amdhsa_system_sgpr_workgroup_id_z 1
		.amdhsa_system_sgpr_workgroup_info 0
		.amdhsa_system_vgpr_workitem_id 1
		.amdhsa_next_free_vgpr 153
		.amdhsa_next_free_sgpr 35
		.amdhsa_reserve_vcc 1
		.amdhsa_float_round_mode_32 0
		.amdhsa_float_round_mode_16_64 0
		.amdhsa_float_denorm_mode_32 3
		.amdhsa_float_denorm_mode_16_64 3
		.amdhsa_dx10_clamp 1
		.amdhsa_ieee_mode 1
		.amdhsa_fp16_overflow 0
		.amdhsa_workgroup_processor_mode 1
		.amdhsa_memory_ordered 1
		.amdhsa_forward_progress 0
		.amdhsa_shared_vgpr_count 0
		.amdhsa_exception_fp_ieee_invalid_op 0
		.amdhsa_exception_fp_denorm_src 0
		.amdhsa_exception_fp_ieee_div_zero 0
		.amdhsa_exception_fp_ieee_overflow 0
		.amdhsa_exception_fp_ieee_underflow 0
		.amdhsa_exception_fp_ieee_inexact 0
		.amdhsa_exception_int_div_zero 0
	.end_amdhsa_kernel
	.section	.text._ZN12_GLOBAL__N_120geam_min_plus_kernelId15HIP_vector_typeIdLj2EEdLi8ELi32ELi64ELi256ELi4ELi64ELi4ELi64ELi4ELc78ELc84ELb1ELb1ELb1EdKddEEviiiT16_PT17_ilS6_ilS4_S6_ilPT18_ili26rocblas_geam_ex_operation_,"axG",@progbits,_ZN12_GLOBAL__N_120geam_min_plus_kernelId15HIP_vector_typeIdLj2EEdLi8ELi32ELi64ELi256ELi4ELi64ELi4ELi64ELi4ELc78ELc84ELb1ELb1ELb1EdKddEEviiiT16_PT17_ilS6_ilS4_S6_ilPT18_ili26rocblas_geam_ex_operation_,comdat
.Lfunc_end172:
	.size	_ZN12_GLOBAL__N_120geam_min_plus_kernelId15HIP_vector_typeIdLj2EEdLi8ELi32ELi64ELi256ELi4ELi64ELi4ELi64ELi4ELc78ELc84ELb1ELb1ELb1EdKddEEviiiT16_PT17_ilS6_ilS4_S6_ilPT18_ili26rocblas_geam_ex_operation_, .Lfunc_end172-_ZN12_GLOBAL__N_120geam_min_plus_kernelId15HIP_vector_typeIdLj2EEdLi8ELi32ELi64ELi256ELi4ELi64ELi4ELi64ELi4ELc78ELc84ELb1ELb1ELb1EdKddEEviiiT16_PT17_ilS6_ilS4_S6_ilPT18_ili26rocblas_geam_ex_operation_
                                        ; -- End function
	.section	.AMDGPU.csdata,"",@progbits
; Kernel info:
; codeLenInByte = 23884
; NumSgprs: 37
; NumVgprs: 153
; ScratchSize: 0
; MemoryBound: 0
; FloatMode: 240
; IeeeMode: 1
; LDSByteSize: 20480 bytes/workgroup (compile time only)
; SGPRBlocks: 4
; VGPRBlocks: 19
; NumSGPRsForWavesPerEU: 37
; NumVGPRsForWavesPerEU: 153
; Occupancy: 9
; WaveLimiterHint : 0
; COMPUTE_PGM_RSRC2:SCRATCH_EN: 0
; COMPUTE_PGM_RSRC2:USER_SGPR: 14
; COMPUTE_PGM_RSRC2:TRAP_HANDLER: 0
; COMPUTE_PGM_RSRC2:TGID_X_EN: 1
; COMPUTE_PGM_RSRC2:TGID_Y_EN: 0
; COMPUTE_PGM_RSRC2:TGID_Z_EN: 1
; COMPUTE_PGM_RSRC2:TIDIG_COMP_CNT: 1
	.section	.text._ZN12_GLOBAL__N_120geam_min_plus_kernelId15HIP_vector_typeIdLj2EEdLi8ELi32ELi64ELi256ELi4ELi64ELi4ELi64ELi4ELc78ELc84ELb0ELb1ELb1EdKddEEviiiT16_PT17_ilS6_ilS4_S6_ilPT18_ili26rocblas_geam_ex_operation_,"axG",@progbits,_ZN12_GLOBAL__N_120geam_min_plus_kernelId15HIP_vector_typeIdLj2EEdLi8ELi32ELi64ELi256ELi4ELi64ELi4ELi64ELi4ELc78ELc84ELb0ELb1ELb1EdKddEEviiiT16_PT17_ilS6_ilS4_S6_ilPT18_ili26rocblas_geam_ex_operation_,comdat
	.globl	_ZN12_GLOBAL__N_120geam_min_plus_kernelId15HIP_vector_typeIdLj2EEdLi8ELi32ELi64ELi256ELi4ELi64ELi4ELi64ELi4ELc78ELc84ELb0ELb1ELb1EdKddEEviiiT16_PT17_ilS6_ilS4_S6_ilPT18_ili26rocblas_geam_ex_operation_ ; -- Begin function _ZN12_GLOBAL__N_120geam_min_plus_kernelId15HIP_vector_typeIdLj2EEdLi8ELi32ELi64ELi256ELi4ELi64ELi4ELi64ELi4ELc78ELc84ELb0ELb1ELb1EdKddEEviiiT16_PT17_ilS6_ilS4_S6_ilPT18_ili26rocblas_geam_ex_operation_
	.p2align	8
	.type	_ZN12_GLOBAL__N_120geam_min_plus_kernelId15HIP_vector_typeIdLj2EEdLi8ELi32ELi64ELi256ELi4ELi64ELi4ELi64ELi4ELc78ELc84ELb0ELb1ELb1EdKddEEviiiT16_PT17_ilS6_ilS4_S6_ilPT18_ili26rocblas_geam_ex_operation_,@function
_ZN12_GLOBAL__N_120geam_min_plus_kernelId15HIP_vector_typeIdLj2EEdLi8ELi32ELi64ELi256ELi4ELi64ELi4ELi64ELi4ELc78ELc84ELb0ELb1ELb1EdKddEEviiiT16_PT17_ilS6_ilS4_S6_ilPT18_ili26rocblas_geam_ex_operation_: ; @_ZN12_GLOBAL__N_120geam_min_plus_kernelId15HIP_vector_typeIdLj2EEdLi8ELi32ELi64ELi256ELi4ELi64ELi4ELi64ELi4ELc78ELc84ELb0ELb1ELb1EdKddEEviiiT16_PT17_ilS6_ilS4_S6_ilPT18_ili26rocblas_geam_ex_operation_
; %bb.0:
	s_clause 0x1
	s_load_b128 s[24:27], s[0:1], 0x10
	s_load_b128 s[4:7], s[0:1], 0x28
	s_mov_b64 s[28:29], 0
	s_waitcnt lgkmcnt(0)
	v_cmp_eq_f64_e64 s30, s[24:25], 0
	v_cmp_neq_f64_e64 s12, s[24:25], 0
	s_delay_alu instid0(VALU_DEP_2)
	s_and_b32 vcc_lo, exec_lo, s30
	s_cbranch_vccnz .LBB173_2
; %bb.1:
	s_mul_i32 s2, s15, s5
	s_mul_hi_u32 s3, s15, s4
	s_delay_alu instid0(SALU_CYCLE_1) | instskip(SKIP_1) | instid1(SALU_CYCLE_1)
	s_add_i32 s3, s3, s2
	s_mul_i32 s2, s15, s4
	s_lshl_b64 s[2:3], s[2:3], 3
	s_delay_alu instid0(SALU_CYCLE_1)
	s_add_u32 s28, s26, s2
	s_addc_u32 s29, s27, s3
.LBB173_2:
	s_clause 0x1
	s_load_b128 s[8:11], s[0:1], 0x40
	s_load_b64 s[2:3], s[0:1], 0x50
	s_delay_alu instid0(VALU_DEP_1)
	s_and_b32 vcc_lo, exec_lo, s12
	s_cbranch_vccz .LBB173_4
; %bb.3:
	s_waitcnt lgkmcnt(0)
	s_mul_i32 s4, s15, s9
	s_mul_hi_u32 s5, s15, s8
	s_mov_b32 s26, 0
	s_add_i32 s5, s5, s4
	s_mul_i32 s4, s15, s8
	s_delay_alu instid0(SALU_CYCLE_1) | instskip(NEXT) | instid1(SALU_CYCLE_1)
	s_lshl_b64 s[4:5], s[4:5], 3
	s_add_u32 s8, s6, s4
	s_addc_u32 s9, s7, s5
	s_cbranch_execz .LBB173_5
	s_branch .LBB173_6
.LBB173_4:
	s_mov_b32 s26, -1
                                        ; implicit-def: $sgpr8_sgpr9
.LBB173_5:
	s_mov_b32 s26, 0
	s_waitcnt lgkmcnt(0)
	s_mov_b64 s[8:9], 0
.LBB173_6:
	s_waitcnt lgkmcnt(0)
	v_cmp_eq_f64_e64 s4, s[10:11], 0
	v_cmp_neq_f64_e64 s27, s[10:11], 0
	s_load_b128 s[20:23], s[0:1], 0x60
	s_mov_b64 s[12:13], 0
	s_delay_alu instid0(VALU_DEP_2)
	s_and_b32 vcc_lo, exec_lo, s4
	s_cbranch_vccnz .LBB173_8
; %bb.7:
	s_waitcnt lgkmcnt(0)
	s_mul_i32 s4, s15, s21
	s_mul_hi_u32 s5, s15, s20
	s_mul_i32 s6, s26, s20
	s_add_i32 s4, s5, s4
	s_delay_alu instid0(SALU_CYCLE_1) | instskip(SKIP_1) | instid1(SALU_CYCLE_1)
	s_add_i32 s5, s4, s6
	s_mul_i32 s4, s15, s20
	s_lshl_b64 s[4:5], s[4:5], 3
	s_delay_alu instid0(SALU_CYCLE_1)
	s_add_u32 s12, s2, s4
	s_addc_u32 s13, s3, s5
.LBB173_8:
	s_load_b128 s[16:19], s[0:1], 0x0
	s_waitcnt lgkmcnt(0)
	s_load_b32 s20, s[0:1], 0x20
	v_and_b32_e32 v120, 0x3ff, v0
	v_bfe_u32 v121, v0, 10, 10
	s_delay_alu instid0(VALU_DEP_1) | instskip(NEXT) | instid1(VALU_DEP_1)
	v_lshl_add_u32 v0, v121, 3, v120
	v_and_b32_e32 v135, 63, v0
	v_lshrrev_b32_e32 v132, 6, v0
	s_add_i32 s3, s16, -1
	s_waitcnt lgkmcnt(0)
	s_ashr_i32 s21, s20, 31
	s_ashr_i32 s2, s3, 31
	v_cmp_le_i32_e32 vcc_lo, s18, v132
	s_lshr_b32 s2, s2, 26
	s_delay_alu instid0(SALU_CYCLE_1) | instskip(NEXT) | instid1(SALU_CYCLE_1)
	s_add_i32 s2, s3, s2
	s_ashr_i32 s2, s2, 6
	s_delay_alu instid0(SALU_CYCLE_1) | instskip(SKIP_2) | instid1(VALU_DEP_1)
	s_add_i32 s5, s2, 1
	s_not_b32 s2, s2
	v_cvt_f32_u32_e32 v1, s5
	v_rcp_iflag_f32_e32 v1, v1
	s_waitcnt_depctr 0xfff
	v_mul_f32_e32 v1, 0x4f7ffffe, v1
	s_delay_alu instid0(VALU_DEP_1) | instskip(NEXT) | instid1(VALU_DEP_1)
	v_cvt_u32_f32_e32 v1, v1
	v_readfirstlane_b32 s4, v1
	s_delay_alu instid0(VALU_DEP_1) | instskip(NEXT) | instid1(SALU_CYCLE_1)
	s_mul_i32 s2, s2, s4
	s_mul_hi_u32 s2, s4, s2
	s_delay_alu instid0(SALU_CYCLE_1) | instskip(NEXT) | instid1(SALU_CYCLE_1)
	s_add_i32 s4, s4, s2
	s_mul_hi_u32 s2, s14, s4
	s_delay_alu instid0(SALU_CYCLE_1) | instskip(SKIP_2) | instid1(SALU_CYCLE_1)
	s_mul_i32 s4, s2, s5
	s_add_i32 s6, s2, 1
	s_sub_i32 s4, s14, s4
	s_sub_i32 s7, s4, s5
	s_cmp_ge_u32 s4, s5
	s_cselect_b32 s2, s6, s2
	s_cselect_b32 s4, s7, s4
	s_add_i32 s6, s2, 1
	s_cmp_ge_u32 s4, s5
	s_cselect_b32 s4, s6, s2
	s_add_i32 s31, s18, -1
	s_mul_i32 s2, s4, s5
	v_min_i32_e32 v2, s31, v132
	s_sub_i32 s2, s14, s2
	s_delay_alu instid0(SALU_CYCLE_1) | instskip(NEXT) | instid1(VALU_DEP_1)
	s_lshl_b32 s14, s2, 6
	v_ashrrev_i32_e32 v3, 31, v2
	v_or_b32_e32 v0, s14, v135
	s_delay_alu instid0(VALU_DEP_1) | instskip(SKIP_1) | instid1(VALU_DEP_2)
	v_cmp_le_i32_e64 s2, s16, v0
	v_min_i32_e32 v52, s3, v0
                                        ; implicit-def: $vgpr0_vgpr1
	s_or_b32 s5, s2, vcc_lo
	s_delay_alu instid0(VALU_DEP_1) | instskip(SKIP_1) | instid1(SALU_CYCLE_1)
	v_ashrrev_i32_e32 v53, 31, v52
	s_or_b32 s3, s30, s5
	s_xor_b32 s3, s3, -1
	s_delay_alu instid0(SALU_CYCLE_1) | instskip(NEXT) | instid1(SALU_CYCLE_1)
	s_and_saveexec_b32 s6, s3
	s_xor_b32 s6, exec_lo, s6
	s_cbranch_execz .LBB173_10
; %bb.9:
	v_mad_i64_i32 v[0:1], null, s20, v2, 0
	v_lshlrev_b64 v[4:5], 3, v[52:53]
	s_delay_alu instid0(VALU_DEP_2) | instskip(NEXT) | instid1(VALU_DEP_1)
	v_lshlrev_b64 v[0:1], 3, v[0:1]
	v_add_co_u32 v0, s3, s28, v0
	s_delay_alu instid0(VALU_DEP_1) | instskip(NEXT) | instid1(VALU_DEP_2)
	v_add_co_ci_u32_e64 v1, s3, s29, v1, s3
	v_add_co_u32 v0, s3, v0, v4
	s_delay_alu instid0(VALU_DEP_1)
	v_add_co_ci_u32_e64 v1, s3, v1, v5, s3
	flat_load_b64 v[0:1], v[0:1]
	s_waitcnt vmcnt(0) lgkmcnt(0)
	v_mul_f64 v[0:1], v[0:1], s[24:25]
.LBB173_10:
	s_and_not1_saveexec_b32 s3, s6
; %bb.11:
	v_cndmask_b32_e64 v1, 0, 0x7fefffff, s5
	v_cndmask_b32_e64 v0, 0, -1, s5
; %bb.12:
	s_or_b32 exec_lo, exec_lo, s3
	s_load_b32 s33, s[0:1], 0x38
	s_lshl_b32 s19, s4, 8
	s_delay_alu instid0(SALU_CYCLE_1) | instskip(NEXT) | instid1(VALU_DEP_1)
	v_or_b32_e32 v54, s19, v135
	v_cmp_le_i32_e64 s3, s17, v54
	v_ashrrev_i32_e32 v55, 31, v54
	s_delay_alu instid0(VALU_DEP_2)
	s_or_b32 s5, s3, vcc_lo
	s_waitcnt lgkmcnt(0)
	s_ashr_i32 s34, s33, 31
	v_mul_lo_u32 v5, v3, s33
	v_mad_u64_u32 v[3:4], null, v2, s33, 0
	v_mul_lo_u32 v2, v2, s34
	s_delay_alu instid0(VALU_DEP_1) | instskip(SKIP_1) | instid1(VALU_DEP_2)
	v_add3_u32 v4, v4, v2, v5
	v_cndmask_b32_e64 v2, 0, -1, s5
	v_lshlrev_b64 v[4:5], 3, v[3:4]
	v_cndmask_b32_e64 v3, 0, 0x7fefffff, s5
	s_delay_alu instid0(VALU_DEP_2) | instskip(NEXT) | instid1(VALU_DEP_1)
	v_add_co_u32 v10, s4, s8, v4
	v_add_co_ci_u32_e64 v11, s4, s9, v5, s4
	s_or_b32 s4, s30, s5
	s_delay_alu instid0(SALU_CYCLE_1) | instskip(NEXT) | instid1(SALU_CYCLE_1)
	s_xor_b32 s4, s4, -1
	s_and_saveexec_b32 s5, s4
	s_cbranch_execz .LBB173_14
; %bb.13:
	v_lshlrev_b64 v[2:3], 3, v[54:55]
	s_delay_alu instid0(VALU_DEP_1) | instskip(NEXT) | instid1(VALU_DEP_1)
	v_add_co_u32 v2, s4, v10, v2
	v_add_co_ci_u32_e64 v3, s4, v11, v3, s4
	flat_load_b64 v[2:3], v[2:3]
	s_waitcnt vmcnt(0) lgkmcnt(0)
	v_mul_f64 v[2:3], v[2:3], s[24:25]
.LBB173_14:
	s_or_b32 exec_lo, exec_lo, s5
	v_or_b32_e32 v4, 64, v54
	s_delay_alu instid0(VALU_DEP_1) | instskip(NEXT) | instid1(VALU_DEP_1)
	v_cmp_le_i32_e64 s4, s17, v4
	s_or_b32 s5, s4, vcc_lo
	s_delay_alu instid0(SALU_CYCLE_1) | instskip(SKIP_2) | instid1(SALU_CYCLE_1)
	v_cndmask_b32_e64 v5, 0, 0x7fefffff, s5
	v_cndmask_b32_e64 v4, 0, -1, s5
	s_or_b32 s5, s30, s5
	s_xor_b32 s5, s5, -1
	s_delay_alu instid0(SALU_CYCLE_1)
	s_and_saveexec_b32 s6, s5
	s_cbranch_execz .LBB173_16
; %bb.15:
	v_lshlrev_b64 v[4:5], 3, v[54:55]
	s_delay_alu instid0(VALU_DEP_1) | instskip(NEXT) | instid1(VALU_DEP_1)
	v_add_co_u32 v4, s5, v10, v4
	v_add_co_ci_u32_e64 v5, s5, v11, v5, s5
	flat_load_b64 v[4:5], v[4:5] offset:512
	s_waitcnt vmcnt(0) lgkmcnt(0)
	v_mul_f64 v[4:5], v[4:5], s[24:25]
.LBB173_16:
	s_or_b32 exec_lo, exec_lo, s6
	v_or_b32_e32 v6, 0x80, v54
	s_delay_alu instid0(VALU_DEP_1) | instskip(NEXT) | instid1(VALU_DEP_1)
	v_cmp_le_i32_e64 s5, s17, v6
	s_or_b32 s6, s5, vcc_lo
	s_delay_alu instid0(SALU_CYCLE_1) | instskip(SKIP_2) | instid1(SALU_CYCLE_1)
	v_cndmask_b32_e64 v7, 0, 0x7fefffff, s6
	v_cndmask_b32_e64 v6, 0, -1, s6
	s_or_b32 s6, s30, s6
	s_xor_b32 s6, s6, -1
	s_delay_alu instid0(SALU_CYCLE_1)
	s_and_saveexec_b32 s7, s6
	s_cbranch_execz .LBB173_18
; %bb.17:
	v_lshlrev_b64 v[6:7], 3, v[54:55]
	s_delay_alu instid0(VALU_DEP_1) | instskip(NEXT) | instid1(VALU_DEP_1)
	v_add_co_u32 v6, s6, v10, v6
	v_add_co_ci_u32_e64 v7, s6, v11, v7, s6
	flat_load_b64 v[6:7], v[6:7] offset:1024
	s_waitcnt vmcnt(0) lgkmcnt(0)
	v_mul_f64 v[6:7], v[6:7], s[24:25]
.LBB173_18:
	s_or_b32 exec_lo, exec_lo, s7
	v_or_b32_e32 v8, 0xc0, v54
	s_delay_alu instid0(VALU_DEP_1) | instskip(NEXT) | instid1(VALU_DEP_1)
	v_cmp_le_i32_e64 s6, s17, v8
	s_or_b32 s7, s6, vcc_lo
	s_delay_alu instid0(SALU_CYCLE_1) | instskip(SKIP_2) | instid1(SALU_CYCLE_1)
	v_cndmask_b32_e64 v9, 0, 0x7fefffff, s7
	v_cndmask_b32_e64 v8, 0, -1, s7
	s_or_b32 s7, s30, s7
	s_xor_b32 s35, s7, -1
	s_delay_alu instid0(SALU_CYCLE_1)
	s_and_saveexec_b32 s7, s35
	s_cbranch_execz .LBB173_20
; %bb.19:
	v_lshlrev_b64 v[8:9], 3, v[54:55]
	s_delay_alu instid0(VALU_DEP_1) | instskip(NEXT) | instid1(VALU_DEP_2)
	v_add_co_u32 v8, vcc_lo, v10, v8
	v_add_co_ci_u32_e32 v9, vcc_lo, v11, v9, vcc_lo
	flat_load_b64 v[8:9], v[8:9] offset:1536
	s_waitcnt vmcnt(0) lgkmcnt(0)
	v_mul_f64 v[8:9], v[8:9], s[24:25]
.LBB173_20:
	s_or_b32 exec_lo, exec_lo, s7
	v_add_nc_u32_e32 v10, 4, v132
                                        ; implicit-def: $vgpr56_vgpr57
	s_delay_alu instid0(VALU_DEP_1) | instskip(SKIP_2) | instid1(VALU_DEP_1)
	v_cmp_le_i32_e32 vcc_lo, s18, v10
	v_min_i32_e32 v10, s31, v10
	s_or_b32 s35, s2, vcc_lo
	v_ashrrev_i32_e32 v11, 31, v10
	s_or_b32 s7, s30, s35
	s_delay_alu instid0(SALU_CYCLE_1) | instskip(NEXT) | instid1(SALU_CYCLE_1)
	s_xor_b32 s7, s7, -1
	s_and_saveexec_b32 s36, s7
	s_delay_alu instid0(SALU_CYCLE_1)
	s_xor_b32 s36, exec_lo, s36
	s_cbranch_execz .LBB173_22
; %bb.21:
	v_mad_i64_i32 v[12:13], null, s20, v10, 0
	v_lshlrev_b64 v[14:15], 3, v[52:53]
	s_delay_alu instid0(VALU_DEP_2) | instskip(NEXT) | instid1(VALU_DEP_1)
	v_lshlrev_b64 v[12:13], 3, v[12:13]
	v_add_co_u32 v12, s7, s28, v12
	s_delay_alu instid0(VALU_DEP_1) | instskip(NEXT) | instid1(VALU_DEP_2)
	v_add_co_ci_u32_e64 v13, s7, s29, v13, s7
	v_add_co_u32 v12, s7, v12, v14
	s_delay_alu instid0(VALU_DEP_1)
	v_add_co_ci_u32_e64 v13, s7, v13, v15, s7
	flat_load_b64 v[12:13], v[12:13]
	s_waitcnt vmcnt(0) lgkmcnt(0)
	v_mul_f64 v[56:57], v[12:13], s[24:25]
.LBB173_22:
	s_and_not1_saveexec_b32 s7, s36
; %bb.23:
	v_cndmask_b32_e64 v57, 0, 0x7fefffff, s35
	v_cndmask_b32_e64 v56, 0, -1, s35
; %bb.24:
	s_or_b32 exec_lo, exec_lo, s7
	v_mul_lo_u32 v13, v11, s33
	v_mul_lo_u32 v14, v10, s34
	v_mad_u64_u32 v[11:12], null, v10, s33, 0
	s_or_b32 s34, s3, vcc_lo
	s_delay_alu instid0(SALU_CYCLE_1) | instskip(SKIP_1) | instid1(VALU_DEP_3)
	v_cndmask_b32_e64 v59, 0, 0x7fefffff, s34
	v_cndmask_b32_e64 v58, 0, -1, s34
	v_add3_u32 v12, v12, v14, v13
	s_delay_alu instid0(VALU_DEP_1) | instskip(NEXT) | instid1(VALU_DEP_1)
	v_lshlrev_b64 v[10:11], 3, v[11:12]
	v_add_co_u32 v10, s7, s8, v10
	s_delay_alu instid0(VALU_DEP_1) | instskip(SKIP_1) | instid1(SALU_CYCLE_1)
	v_add_co_ci_u32_e64 v11, s7, s9, v11, s7
	s_or_b32 s7, s30, s34
	s_xor_b32 s7, s7, -1
	s_delay_alu instid0(SALU_CYCLE_1)
	s_and_saveexec_b32 s34, s7
	s_cbranch_execz .LBB173_26
; %bb.25:
	v_lshlrev_b64 v[12:13], 3, v[54:55]
	s_delay_alu instid0(VALU_DEP_1) | instskip(NEXT) | instid1(VALU_DEP_1)
	v_add_co_u32 v12, s7, v10, v12
	v_add_co_ci_u32_e64 v13, s7, v11, v13, s7
	flat_load_b64 v[12:13], v[12:13]
	s_waitcnt vmcnt(0) lgkmcnt(0)
	v_mul_f64 v[58:59], v[12:13], s[24:25]
.LBB173_26:
	s_or_b32 exec_lo, exec_lo, s34
	s_or_b32 s7, s4, vcc_lo
	s_delay_alu instid0(SALU_CYCLE_1) | instskip(SKIP_2) | instid1(SALU_CYCLE_1)
	v_cndmask_b32_e64 v61, 0, 0x7fefffff, s7
	v_cndmask_b32_e64 v60, 0, -1, s7
	s_or_b32 s7, s30, s7
	s_xor_b32 s7, s7, -1
	s_delay_alu instid0(SALU_CYCLE_1)
	s_and_saveexec_b32 s34, s7
	s_cbranch_execz .LBB173_28
; %bb.27:
	v_lshlrev_b64 v[12:13], 3, v[54:55]
	s_delay_alu instid0(VALU_DEP_1) | instskip(NEXT) | instid1(VALU_DEP_1)
	v_add_co_u32 v12, s7, v10, v12
	v_add_co_ci_u32_e64 v13, s7, v11, v13, s7
	flat_load_b64 v[12:13], v[12:13] offset:512
	s_waitcnt vmcnt(0) lgkmcnt(0)
	v_mul_f64 v[60:61], v[12:13], s[24:25]
.LBB173_28:
	s_or_b32 exec_lo, exec_lo, s34
	s_or_b32 s7, s5, vcc_lo
	s_delay_alu instid0(SALU_CYCLE_1) | instskip(SKIP_2) | instid1(SALU_CYCLE_1)
	v_cndmask_b32_e64 v63, 0, 0x7fefffff, s7
	v_cndmask_b32_e64 v62, 0, -1, s7
	s_or_b32 s7, s30, s7
	s_xor_b32 s7, s7, -1
	s_delay_alu instid0(SALU_CYCLE_1)
	s_and_saveexec_b32 s34, s7
	s_cbranch_execz .LBB173_30
; %bb.29:
	v_lshlrev_b64 v[12:13], 3, v[54:55]
	s_delay_alu instid0(VALU_DEP_1) | instskip(NEXT) | instid1(VALU_DEP_1)
	v_add_co_u32 v12, s7, v10, v12
	v_add_co_ci_u32_e64 v13, s7, v11, v13, s7
	flat_load_b64 v[12:13], v[12:13] offset:1024
	s_waitcnt vmcnt(0) lgkmcnt(0)
	v_mul_f64 v[62:63], v[12:13], s[24:25]
.LBB173_30:
	s_or_b32 exec_lo, exec_lo, s34
	s_or_b32 s7, s6, vcc_lo
	s_delay_alu instid0(SALU_CYCLE_1) | instskip(SKIP_4) | instid1(SALU_CYCLE_1)
	v_cndmask_b32_e64 v65, 0, 0x7fefffff, s7
	v_cndmask_b32_e64 v64, 0, -1, s7
	s_or_b32 s34, s30, s7
	s_mov_b32 s7, -1
	s_xor_b32 s35, s34, -1
	s_and_saveexec_b32 s34, s35
	s_cbranch_execz .LBB173_32
; %bb.31:
	v_lshlrev_b64 v[12:13], 3, v[54:55]
	s_delay_alu instid0(VALU_DEP_1) | instskip(NEXT) | instid1(VALU_DEP_2)
	v_add_co_u32 v10, vcc_lo, v10, v12
	v_add_co_ci_u32_e32 v11, vcc_lo, v11, v13, vcc_lo
	flat_load_b64 v[10:11], v[10:11] offset:1536
	s_waitcnt vmcnt(0) lgkmcnt(0)
	v_mul_f64 v[64:65], v[10:11], s[24:25]
.LBB173_32:
	s_or_b32 exec_lo, exec_lo, s34
	v_dual_mov_b32 v67, 0x7f800000 :: v_dual_lshlrev_b32 v10, 3, v132
	v_dual_mov_b32 v66, 0x7f800000 :: v_dual_mov_b32 v69, 0x7f800000
	v_dual_mov_b32 v68, 0x7f800000 :: v_dual_mov_b32 v71, 0x7f800000
	s_delay_alu instid0(VALU_DEP_3) | instskip(SKIP_2) | instid1(VALU_DEP_3)
	v_lshl_add_u32 v133, v135, 5, v10
	v_dual_mov_b32 v70, 0x7f800000 :: v_dual_mov_b32 v73, 0x7f800000
	v_dual_mov_b32 v72, 0x7f800000 :: v_dual_mov_b32 v75, 0x7f800000
	v_or_b32_e32 v134, 0x4000, v133
	v_dual_mov_b32 v74, 0x7f800000 :: v_dual_mov_b32 v77, 0x7f800000
	v_dual_mov_b32 v76, 0x7f800000 :: v_dual_mov_b32 v79, 0x7f800000
	;; [unrolled: 1-line block ×27, first 2 shown]
	v_mov_b32_e32 v130, 0x7f800000
	s_mov_b32 s34, 0
	ds_store_b64 v133, v[0:1] offset:16384
	ds_store_2addr_stride64_b64 v133, v[2:3], v[4:5] offset1:4
	ds_store_2addr_stride64_b64 v133, v[6:7], v[8:9] offset0:8 offset1:12
	s_waitcnt lgkmcnt(0)
	s_barrier
	buffer_gl0_inv
.LBB173_33:                             ; =>This Inner Loop Header: Depth=1
	s_lshl_b32 s34, s34, 3
	s_and_not1_b32 vcc_lo, exec_lo, s7
	v_lshl_add_u32 v0, v120, 5, s34
	v_lshl_add_u32 v16, v121, 5, s34
	s_mov_b32 s34, 2
	s_mov_b32 s7, 0
	ds_load_b128 v[32:35], v0 offset:16384
	ds_load_b128 v[28:31], v0 offset:16640
	;; [unrolled: 1-line block ×8, first 2 shown]
	ds_load_b128 v[136:139], v16
	ds_load_b128 v[140:143], v16 offset:1024
	ds_load_b128 v[144:147], v16 offset:2048
	;; [unrolled: 1-line block ×7, first 2 shown]
	s_waitcnt lgkmcnt(7)
	v_add_f64 v[148:149], v[34:35], v[138:139]
	v_add_f64 v[150:151], v[32:33], v[136:137]
	s_delay_alu instid0(VALU_DEP_2) | instskip(NEXT) | instid1(VALU_DEP_2)
	v_cvt_f32_f64_e32 v148, v[148:149]
	v_cvt_f32_f64_e32 v150, v[150:151]
	s_delay_alu instid0(VALU_DEP_1) | instskip(SKIP_2) | instid1(VALU_DEP_2)
	v_min3_f32 v131, v150, v148, v131
	v_add_f64 v[148:149], v[30:31], v[138:139]
	v_add_f64 v[150:151], v[28:29], v[136:137]
	v_cvt_f32_f64_e32 v148, v[148:149]
	s_delay_alu instid0(VALU_DEP_2) | instskip(NEXT) | instid1(VALU_DEP_1)
	v_cvt_f32_f64_e32 v150, v[150:151]
	v_min3_f32 v130, v150, v148, v130
	v_add_f64 v[148:149], v[26:27], v[138:139]
	v_add_f64 v[150:151], v[24:25], v[136:137]
	s_delay_alu instid0(VALU_DEP_2) | instskip(NEXT) | instid1(VALU_DEP_2)
	v_cvt_f32_f64_e32 v148, v[148:149]
	v_cvt_f32_f64_e32 v150, v[150:151]
	s_delay_alu instid0(VALU_DEP_1) | instskip(SKIP_2) | instid1(VALU_DEP_2)
	v_min3_f32 v129, v150, v148, v129
	v_add_f64 v[148:149], v[22:23], v[138:139]
	v_add_f64 v[150:151], v[20:21], v[136:137]
	v_cvt_f32_f64_e32 v148, v[148:149]
	s_delay_alu instid0(VALU_DEP_2) | instskip(NEXT) | instid1(VALU_DEP_1)
	v_cvt_f32_f64_e32 v150, v[150:151]
	v_min3_f32 v128, v150, v148, v128
	;; [unrolled: 13-line block ×3, first 2 shown]
	v_add_f64 v[148:149], v[6:7], v[138:139]
	v_add_f64 v[150:151], v[4:5], v[136:137]
	;; [unrolled: 1-line block ×4, first 2 shown]
	s_delay_alu instid0(VALU_DEP_4) | instskip(NEXT) | instid1(VALU_DEP_4)
	v_cvt_f32_f64_e32 v148, v[148:149]
	v_cvt_f32_f64_e32 v150, v[150:151]
	s_delay_alu instid0(VALU_DEP_3) | instskip(SKIP_3) | instid1(VALU_DEP_4)
	v_cvt_f32_f64_e32 v136, v[136:137]
	v_cvt_f32_f64_e32 v137, v[138:139]
	s_waitcnt lgkmcnt(6)
	v_add_f64 v[138:139], v[32:33], v[140:141]
	v_min3_f32 v125, v150, v148, v125
	s_delay_alu instid0(VALU_DEP_3) | instskip(SKIP_1) | instid1(VALU_DEP_4)
	v_min3_f32 v124, v136, v137, v124
	v_add_f64 v[136:137], v[34:35], v[142:143]
	v_cvt_f32_f64_e32 v138, v[138:139]
	s_delay_alu instid0(VALU_DEP_2) | instskip(NEXT) | instid1(VALU_DEP_1)
	v_cvt_f32_f64_e32 v136, v[136:137]
	v_min3_f32 v123, v138, v136, v123
	v_add_f64 v[136:137], v[30:31], v[142:143]
	v_add_f64 v[138:139], v[28:29], v[140:141]
	s_delay_alu instid0(VALU_DEP_2) | instskip(NEXT) | instid1(VALU_DEP_2)
	v_cvt_f32_f64_e32 v136, v[136:137]
	v_cvt_f32_f64_e32 v138, v[138:139]
	s_delay_alu instid0(VALU_DEP_1) | instskip(SKIP_2) | instid1(VALU_DEP_2)
	v_min3_f32 v122, v138, v136, v122
	v_add_f64 v[136:137], v[26:27], v[142:143]
	v_add_f64 v[138:139], v[24:25], v[140:141]
	v_cvt_f32_f64_e32 v136, v[136:137]
	s_delay_alu instid0(VALU_DEP_2) | instskip(NEXT) | instid1(VALU_DEP_1)
	v_cvt_f32_f64_e32 v138, v[138:139]
	v_min3_f32 v119, v138, v136, v119
	v_add_f64 v[136:137], v[22:23], v[142:143]
	v_add_f64 v[138:139], v[20:21], v[140:141]
	s_delay_alu instid0(VALU_DEP_2) | instskip(NEXT) | instid1(VALU_DEP_2)
	v_cvt_f32_f64_e32 v136, v[136:137]
	v_cvt_f32_f64_e32 v138, v[138:139]
	s_delay_alu instid0(VALU_DEP_1) | instskip(SKIP_2) | instid1(VALU_DEP_2)
	v_min3_f32 v118, v138, v136, v118
	v_add_f64 v[136:137], v[14:15], v[142:143]
	;; [unrolled: 13-line block ×3, first 2 shown]
	v_add_f64 v[138:139], v[4:5], v[140:141]
	v_cvt_f32_f64_e32 v136, v[136:137]
	s_delay_alu instid0(VALU_DEP_2) | instskip(NEXT) | instid1(VALU_DEP_1)
	v_cvt_f32_f64_e32 v138, v[138:139]
	v_min3_f32 v115, v138, v136, v115
	v_add_f64 v[136:137], v[2:3], v[142:143]
	v_add_f64 v[138:139], v[0:1], v[140:141]
	s_delay_alu instid0(VALU_DEP_2) | instskip(NEXT) | instid1(VALU_DEP_2)
	v_cvt_f32_f64_e32 v136, v[136:137]
	v_cvt_f32_f64_e32 v138, v[138:139]
	s_delay_alu instid0(VALU_DEP_1) | instskip(SKIP_3) | instid1(VALU_DEP_2)
	v_min3_f32 v114, v138, v136, v114
	s_waitcnt lgkmcnt(5)
	v_add_f64 v[136:137], v[34:35], v[146:147]
	v_add_f64 v[138:139], v[32:33], v[144:145]
	v_cvt_f32_f64_e32 v136, v[136:137]
	s_delay_alu instid0(VALU_DEP_2) | instskip(NEXT) | instid1(VALU_DEP_1)
	v_cvt_f32_f64_e32 v138, v[138:139]
	v_min3_f32 v113, v138, v136, v113
	v_add_f64 v[136:137], v[30:31], v[146:147]
	v_add_f64 v[138:139], v[28:29], v[144:145]
	s_delay_alu instid0(VALU_DEP_2) | instskip(NEXT) | instid1(VALU_DEP_2)
	v_cvt_f32_f64_e32 v136, v[136:137]
	v_cvt_f32_f64_e32 v138, v[138:139]
	s_delay_alu instid0(VALU_DEP_1) | instskip(SKIP_2) | instid1(VALU_DEP_2)
	v_min3_f32 v112, v138, v136, v112
	v_add_f64 v[136:137], v[26:27], v[146:147]
	v_add_f64 v[138:139], v[24:25], v[144:145]
	v_cvt_f32_f64_e32 v136, v[136:137]
	s_delay_alu instid0(VALU_DEP_2) | instskip(NEXT) | instid1(VALU_DEP_1)
	v_cvt_f32_f64_e32 v138, v[138:139]
	v_min3_f32 v111, v138, v136, v111
	v_add_f64 v[136:137], v[22:23], v[146:147]
	v_add_f64 v[138:139], v[20:21], v[144:145]
	s_delay_alu instid0(VALU_DEP_2) | instskip(NEXT) | instid1(VALU_DEP_2)
	v_cvt_f32_f64_e32 v136, v[136:137]
	v_cvt_f32_f64_e32 v138, v[138:139]
	s_delay_alu instid0(VALU_DEP_1) | instskip(SKIP_2) | instid1(VALU_DEP_2)
	v_min3_f32 v110, v138, v136, v110
	;; [unrolled: 13-line block ×3, first 2 shown]
	v_add_f64 v[136:137], v[6:7], v[146:147]
	v_add_f64 v[138:139], v[4:5], v[144:145]
	v_cvt_f32_f64_e32 v136, v[136:137]
	s_delay_alu instid0(VALU_DEP_2) | instskip(NEXT) | instid1(VALU_DEP_1)
	v_cvt_f32_f64_e32 v138, v[138:139]
	v_min3_f32 v107, v138, v136, v107
	v_add_f64 v[136:137], v[2:3], v[146:147]
	v_add_f64 v[138:139], v[0:1], v[144:145]
	s_delay_alu instid0(VALU_DEP_2) | instskip(NEXT) | instid1(VALU_DEP_2)
	v_cvt_f32_f64_e32 v136, v[136:137]
	v_cvt_f32_f64_e32 v138, v[138:139]
	s_delay_alu instid0(VALU_DEP_1) | instskip(SKIP_3) | instid1(VALU_DEP_2)
	v_min3_f32 v106, v138, v136, v106
	s_waitcnt lgkmcnt(4)
	v_add_f64 v[136:137], v[34:35], v[50:51]
	v_add_f64 v[138:139], v[32:33], v[48:49]
	v_cvt_f32_f64_e32 v136, v[136:137]
	s_delay_alu instid0(VALU_DEP_2) | instskip(NEXT) | instid1(VALU_DEP_1)
	v_cvt_f32_f64_e32 v138, v[138:139]
	v_min3_f32 v105, v138, v136, v105
	v_add_f64 v[136:137], v[30:31], v[50:51]
	v_add_f64 v[138:139], v[28:29], v[48:49]
	s_delay_alu instid0(VALU_DEP_2) | instskip(NEXT) | instid1(VALU_DEP_2)
	v_cvt_f32_f64_e32 v136, v[136:137]
	v_cvt_f32_f64_e32 v138, v[138:139]
	s_delay_alu instid0(VALU_DEP_1) | instskip(SKIP_2) | instid1(VALU_DEP_2)
	v_min3_f32 v104, v138, v136, v104
	v_add_f64 v[136:137], v[26:27], v[50:51]
	v_add_f64 v[138:139], v[24:25], v[48:49]
	v_cvt_f32_f64_e32 v136, v[136:137]
	s_delay_alu instid0(VALU_DEP_2) | instskip(NEXT) | instid1(VALU_DEP_1)
	v_cvt_f32_f64_e32 v138, v[138:139]
	v_min3_f32 v103, v138, v136, v103
	v_add_f64 v[136:137], v[22:23], v[50:51]
	v_add_f64 v[138:139], v[20:21], v[48:49]
	s_delay_alu instid0(VALU_DEP_2) | instskip(NEXT) | instid1(VALU_DEP_2)
	v_cvt_f32_f64_e32 v136, v[136:137]
	v_cvt_f32_f64_e32 v138, v[138:139]
	s_delay_alu instid0(VALU_DEP_1) | instskip(SKIP_2) | instid1(VALU_DEP_2)
	v_min3_f32 v102, v138, v136, v102
	v_add_f64 v[136:137], v[14:15], v[50:51]
	v_add_f64 v[138:139], v[12:13], v[48:49]
	v_cvt_f32_f64_e32 v136, v[136:137]
	s_delay_alu instid0(VALU_DEP_2) | instskip(NEXT) | instid1(VALU_DEP_1)
	v_cvt_f32_f64_e32 v138, v[138:139]
	v_min3_f32 v101, v138, v136, v101
	v_add_f64 v[136:137], v[10:11], v[50:51]
	v_add_f64 v[138:139], v[8:9], v[48:49]
	s_delay_alu instid0(VALU_DEP_2) | instskip(NEXT) | instid1(VALU_DEP_2)
	v_cvt_f32_f64_e32 v136, v[136:137]
	v_cvt_f32_f64_e32 v138, v[138:139]
	s_delay_alu instid0(VALU_DEP_1) | instskip(SKIP_4) | instid1(VALU_DEP_4)
	v_min3_f32 v100, v138, v136, v100
	v_add_f64 v[136:137], v[6:7], v[50:51]
	v_add_f64 v[138:139], v[4:5], v[48:49]
	;; [unrolled: 1-line block ×4, first 2 shown]
	v_cvt_f32_f64_e32 v136, v[136:137]
	s_delay_alu instid0(VALU_DEP_4) | instskip(NEXT) | instid1(VALU_DEP_3)
	v_cvt_f32_f64_e32 v138, v[138:139]
	v_cvt_f32_f64_e32 v48, v[48:49]
	;; [unrolled: 1-line block ×3, first 2 shown]
	s_waitcnt lgkmcnt(3)
	v_add_f64 v[50:51], v[32:33], v[44:45]
	s_delay_alu instid0(VALU_DEP_4) | instskip(NEXT) | instid1(VALU_DEP_3)
	v_min3_f32 v99, v138, v136, v99
	v_min3_f32 v98, v48, v49, v98
	v_add_f64 v[48:49], v[34:35], v[46:47]
	s_delay_alu instid0(VALU_DEP_4) | instskip(NEXT) | instid1(VALU_DEP_2)
	v_cvt_f32_f64_e32 v50, v[50:51]
	v_cvt_f32_f64_e32 v48, v[48:49]
	s_delay_alu instid0(VALU_DEP_1) | instskip(SKIP_2) | instid1(VALU_DEP_2)
	v_min3_f32 v97, v50, v48, v97
	v_add_f64 v[48:49], v[30:31], v[46:47]
	v_add_f64 v[50:51], v[28:29], v[44:45]
	v_cvt_f32_f64_e32 v48, v[48:49]
	s_delay_alu instid0(VALU_DEP_2) | instskip(NEXT) | instid1(VALU_DEP_1)
	v_cvt_f32_f64_e32 v50, v[50:51]
	v_min3_f32 v96, v50, v48, v96
	v_add_f64 v[48:49], v[26:27], v[46:47]
	v_add_f64 v[50:51], v[24:25], v[44:45]
	s_delay_alu instid0(VALU_DEP_2) | instskip(NEXT) | instid1(VALU_DEP_2)
	v_cvt_f32_f64_e32 v48, v[48:49]
	v_cvt_f32_f64_e32 v50, v[50:51]
	s_delay_alu instid0(VALU_DEP_1) | instskip(SKIP_2) | instid1(VALU_DEP_2)
	v_min3_f32 v95, v50, v48, v95
	v_add_f64 v[48:49], v[22:23], v[46:47]
	v_add_f64 v[50:51], v[20:21], v[44:45]
	v_cvt_f32_f64_e32 v48, v[48:49]
	s_delay_alu instid0(VALU_DEP_2) | instskip(NEXT) | instid1(VALU_DEP_1)
	v_cvt_f32_f64_e32 v50, v[50:51]
	v_min3_f32 v94, v50, v48, v94
	v_add_f64 v[48:49], v[14:15], v[46:47]
	v_add_f64 v[50:51], v[12:13], v[44:45]
	s_delay_alu instid0(VALU_DEP_2) | instskip(NEXT) | instid1(VALU_DEP_2)
	v_cvt_f32_f64_e32 v48, v[48:49]
	v_cvt_f32_f64_e32 v50, v[50:51]
	s_delay_alu instid0(VALU_DEP_1) | instskip(SKIP_2) | instid1(VALU_DEP_2)
	v_min3_f32 v93, v50, v48, v93
	v_add_f64 v[48:49], v[10:11], v[46:47]
	v_add_f64 v[50:51], v[8:9], v[44:45]
	v_cvt_f32_f64_e32 v48, v[48:49]
	s_delay_alu instid0(VALU_DEP_2) | instskip(NEXT) | instid1(VALU_DEP_1)
	v_cvt_f32_f64_e32 v50, v[50:51]
	v_min3_f32 v92, v50, v48, v92
	v_add_f64 v[48:49], v[6:7], v[46:47]
	v_add_f64 v[50:51], v[4:5], v[44:45]
	;; [unrolled: 1-line block ×4, first 2 shown]
	s_delay_alu instid0(VALU_DEP_4) | instskip(NEXT) | instid1(VALU_DEP_4)
	v_cvt_f32_f64_e32 v48, v[48:49]
	v_cvt_f32_f64_e32 v50, v[50:51]
	s_delay_alu instid0(VALU_DEP_3) | instskip(SKIP_3) | instid1(VALU_DEP_4)
	v_cvt_f32_f64_e32 v44, v[44:45]
	v_cvt_f32_f64_e32 v45, v[46:47]
	s_waitcnt lgkmcnt(2)
	v_add_f64 v[46:47], v[32:33], v[40:41]
	v_min3_f32 v91, v50, v48, v91
	s_delay_alu instid0(VALU_DEP_3) | instskip(SKIP_1) | instid1(VALU_DEP_4)
	v_min3_f32 v90, v44, v45, v90
	v_add_f64 v[44:45], v[34:35], v[42:43]
	v_cvt_f32_f64_e32 v46, v[46:47]
	s_delay_alu instid0(VALU_DEP_2) | instskip(NEXT) | instid1(VALU_DEP_1)
	v_cvt_f32_f64_e32 v44, v[44:45]
	v_min3_f32 v89, v46, v44, v89
	v_add_f64 v[44:45], v[30:31], v[42:43]
	v_add_f64 v[46:47], v[28:29], v[40:41]
	s_delay_alu instid0(VALU_DEP_2) | instskip(NEXT) | instid1(VALU_DEP_2)
	v_cvt_f32_f64_e32 v44, v[44:45]
	v_cvt_f32_f64_e32 v46, v[46:47]
	s_delay_alu instid0(VALU_DEP_1) | instskip(SKIP_2) | instid1(VALU_DEP_2)
	v_min3_f32 v88, v46, v44, v88
	v_add_f64 v[44:45], v[26:27], v[42:43]
	v_add_f64 v[46:47], v[24:25], v[40:41]
	v_cvt_f32_f64_e32 v44, v[44:45]
	s_delay_alu instid0(VALU_DEP_2) | instskip(NEXT) | instid1(VALU_DEP_1)
	v_cvt_f32_f64_e32 v46, v[46:47]
	v_min3_f32 v87, v46, v44, v87
	v_add_f64 v[44:45], v[22:23], v[42:43]
	v_add_f64 v[46:47], v[20:21], v[40:41]
	s_delay_alu instid0(VALU_DEP_2) | instskip(NEXT) | instid1(VALU_DEP_2)
	v_cvt_f32_f64_e32 v44, v[44:45]
	v_cvt_f32_f64_e32 v46, v[46:47]
	s_delay_alu instid0(VALU_DEP_1) | instskip(SKIP_2) | instid1(VALU_DEP_2)
	v_min3_f32 v86, v46, v44, v86
	v_add_f64 v[44:45], v[14:15], v[42:43]
	v_add_f64 v[46:47], v[12:13], v[40:41]
	v_cvt_f32_f64_e32 v44, v[44:45]
	s_delay_alu instid0(VALU_DEP_2) | instskip(NEXT) | instid1(VALU_DEP_1)
	v_cvt_f32_f64_e32 v46, v[46:47]
	v_min3_f32 v85, v46, v44, v85
	v_add_f64 v[44:45], v[10:11], v[42:43]
	v_add_f64 v[46:47], v[8:9], v[40:41]
	s_delay_alu instid0(VALU_DEP_2) | instskip(NEXT) | instid1(VALU_DEP_2)
	v_cvt_f32_f64_e32 v44, v[44:45]
	v_cvt_f32_f64_e32 v46, v[46:47]
	s_delay_alu instid0(VALU_DEP_1) | instskip(SKIP_4) | instid1(VALU_DEP_4)
	v_min3_f32 v84, v46, v44, v84
	v_add_f64 v[44:45], v[6:7], v[42:43]
	v_add_f64 v[46:47], v[4:5], v[40:41]
	;; [unrolled: 1-line block ×4, first 2 shown]
	v_cvt_f32_f64_e32 v44, v[44:45]
	s_delay_alu instid0(VALU_DEP_4) | instskip(NEXT) | instid1(VALU_DEP_3)
	v_cvt_f32_f64_e32 v46, v[46:47]
	v_cvt_f32_f64_e32 v40, v[40:41]
	;; [unrolled: 1-line block ×3, first 2 shown]
	s_waitcnt lgkmcnt(1)
	v_add_f64 v[42:43], v[32:33], v[36:37]
	s_waitcnt lgkmcnt(0)
	v_add_f64 v[32:33], v[32:33], v[16:17]
	v_min3_f32 v83, v46, v44, v83
	s_delay_alu instid0(VALU_DEP_4) | instskip(SKIP_4) | instid1(VALU_DEP_4)
	v_min3_f32 v82, v40, v41, v82
	v_add_f64 v[40:41], v[34:35], v[38:39]
	v_cvt_f32_f64_e32 v42, v[42:43]
	v_add_f64 v[34:35], v[34:35], v[18:19]
	v_cvt_f32_f64_e32 v32, v[32:33]
	v_cvt_f32_f64_e32 v40, v[40:41]
	s_delay_alu instid0(VALU_DEP_3) | instskip(NEXT) | instid1(VALU_DEP_2)
	v_cvt_f32_f64_e32 v33, v[34:35]
	v_min3_f32 v81, v42, v40, v81
	v_add_f64 v[40:41], v[30:31], v[38:39]
	v_add_f64 v[42:43], v[28:29], v[36:37]
	v_add_f64 v[30:31], v[30:31], v[18:19]
	v_add_f64 v[28:29], v[28:29], v[16:17]
	v_min3_f32 v73, v32, v33, v73
	v_cvt_f32_f64_e32 v40, v[40:41]
	v_cvt_f32_f64_e32 v42, v[42:43]
	s_delay_alu instid0(VALU_DEP_4) | instskip(SKIP_1) | instid1(VALU_DEP_3)
	v_cvt_f32_f64_e32 v28, v[28:29]
	v_cvt_f32_f64_e32 v29, v[30:31]
	v_min3_f32 v80, v42, v40, v80
	v_add_f64 v[40:41], v[26:27], v[38:39]
	v_add_f64 v[42:43], v[24:25], v[36:37]
	v_add_f64 v[26:27], v[26:27], v[18:19]
	v_add_f64 v[24:25], v[24:25], v[16:17]
	v_min3_f32 v72, v28, v29, v72
	v_cvt_f32_f64_e32 v40, v[40:41]
	v_cvt_f32_f64_e32 v42, v[42:43]
	s_delay_alu instid0(VALU_DEP_4) | instskip(SKIP_1) | instid1(VALU_DEP_3)
	v_cvt_f32_f64_e32 v24, v[24:25]
	;; [unrolled: 11-line block ×5, first 2 shown]
	v_cvt_f32_f64_e32 v9, v[10:11]
	v_min3_f32 v76, v42, v40, v76
	v_add_f64 v[40:41], v[6:7], v[38:39]
	v_add_f64 v[42:43], v[4:5], v[36:37]
	v_add_f64 v[38:39], v[2:3], v[38:39]
	v_add_f64 v[36:37], v[0:1], v[36:37]
	v_add_f64 v[6:7], v[6:7], v[18:19]
	v_add_f64 v[4:5], v[4:5], v[16:17]
	v_add_f64 v[2:3], v[2:3], v[18:19]
	v_add_f64 v[0:1], v[0:1], v[16:17]
	v_min3_f32 v68, v8, v9, v68
	v_cvt_f32_f64_e32 v40, v[40:41]
	v_cvt_f32_f64_e32 v42, v[42:43]
	;; [unrolled: 1-line block ×8, first 2 shown]
	v_min3_f32 v75, v42, v40, v75
	v_min3_f32 v74, v36, v37, v74
	;; [unrolled: 1-line block ×3, first 2 shown]
	s_delay_alu instid0(VALU_DEP_4)
	v_min3_f32 v66, v0, v1, v66
	s_cbranch_vccz .LBB173_33
; %bb.34:
	v_lshlrev_b32_e32 v0, 5, v135
	s_mov_b32 s34, 8
	s_cmp_gt_i32 s18, 8
	s_delay_alu instid0(VALU_DEP_1)
	v_lshl_add_u32 v0, v132, 3, v0
	ds_store_b64 v0, v[56:57] offset:18432
	ds_store_2addr_stride64_b64 v0, v[58:59], v[60:61] offset0:16 offset1:20
	ds_store_2addr_stride64_b64 v0, v[62:63], v[64:65] offset0:24 offset1:28
	s_waitcnt lgkmcnt(0)
	s_barrier
	buffer_gl0_inv
	s_cbranch_scc0 .LBB173_61
; %bb.35:
	v_lshlrev_b64 v[1:2], 3, v[52:53]
	v_lshlrev_b64 v[52:53], 3, v[54:55]
	v_add_nc_u32_e32 v64, 0x4800, v0
	v_or_b32_e32 v65, 0x2000, v0
	s_delay_alu instid0(VALU_DEP_4)
	v_add_co_u32 v135, vcc_lo, s28, v1
	v_add_co_ci_u32_e32 v136, vcc_lo, s29, v2, vcc_lo
	s_add_i32 s28, s18, -8
	s_mov_b32 s29, 0
.LBB173_36:                             ; =>This Loop Header: Depth=1
                                        ;     Child Loop BB173_47 Depth 2
                                        ;     Child Loop BB173_59 Depth 2
	v_add_nc_u32_e32 v0, s34, v132
	s_delay_alu instid0(VALU_DEP_1) | instskip(SKIP_1) | instid1(SALU_CYCLE_1)
	v_cmp_le_i32_e32 vcc_lo, s18, v0
	s_or_b32 s7, s2, vcc_lo
	v_cndmask_b32_e64 v55, 0, 0x7fefffff, s7
	v_cndmask_b32_e64 v54, 0, -1, s7
	s_or_b32 s7, s30, s7
	s_delay_alu instid0(SALU_CYCLE_1) | instskip(NEXT) | instid1(SALU_CYCLE_1)
	s_xor_b32 s7, s7, -1
	s_and_saveexec_b32 s35, s7
	s_cbranch_execz .LBB173_38
; %bb.37:                               ;   in Loop: Header=BB173_36 Depth=1
	v_mad_u64_u32 v[1:2], null, v0, s20, 0
	s_delay_alu instid0(VALU_DEP_1) | instskip(NEXT) | instid1(VALU_DEP_1)
	v_mad_u64_u32 v[3:4], null, v0, s21, v[2:3]
	v_mov_b32_e32 v2, v3
	s_delay_alu instid0(VALU_DEP_1) | instskip(NEXT) | instid1(VALU_DEP_1)
	v_lshlrev_b64 v[1:2], 3, v[1:2]
	v_add_co_u32 v1, s7, v135, v1
	s_delay_alu instid0(VALU_DEP_1)
	v_add_co_ci_u32_e64 v2, s7, v136, v2, s7
	flat_load_b64 v[1:2], v[1:2]
	s_waitcnt vmcnt(0) lgkmcnt(0)
	v_mul_f64 v[54:55], v[1:2], s[24:25]
.LBB173_38:                             ;   in Loop: Header=BB173_36 Depth=1
	s_or_b32 exec_lo, exec_lo, s35
	v_min_i32_e32 v2, s31, v0
	s_or_b32 s35, s3, vcc_lo
	s_delay_alu instid0(SALU_CYCLE_1) | instskip(SKIP_1) | instid1(VALU_DEP_3)
	v_cndmask_b32_e64 v57, 0, 0x7fefffff, s35
	v_cndmask_b32_e64 v56, 0, -1, s35
	v_mad_i64_i32 v[0:1], null, v2, s33, 0
	s_delay_alu instid0(VALU_DEP_1) | instskip(NEXT) | instid1(VALU_DEP_1)
	v_lshlrev_b64 v[0:1], 3, v[0:1]
	v_add_co_u32 v0, s7, s8, v0
	s_delay_alu instid0(VALU_DEP_1) | instskip(SKIP_1) | instid1(SALU_CYCLE_1)
	v_add_co_ci_u32_e64 v1, s7, s9, v1, s7
	s_or_b32 s7, s30, s35
	s_xor_b32 s7, s7, -1
	s_delay_alu instid0(SALU_CYCLE_1)
	s_and_saveexec_b32 s35, s7
	s_cbranch_execz .LBB173_40
; %bb.39:                               ;   in Loop: Header=BB173_36 Depth=1
	v_add_co_u32 v2, s7, v0, v52
	s_delay_alu instid0(VALU_DEP_1)
	v_add_co_ci_u32_e64 v3, s7, v1, v53, s7
	flat_load_b64 v[2:3], v[2:3]
	s_waitcnt vmcnt(0) lgkmcnt(0)
	v_mul_f64 v[56:57], v[2:3], s[24:25]
.LBB173_40:                             ;   in Loop: Header=BB173_36 Depth=1
	s_or_b32 exec_lo, exec_lo, s35
	s_or_b32 s7, s4, vcc_lo
	s_delay_alu instid0(SALU_CYCLE_1) | instskip(SKIP_2) | instid1(SALU_CYCLE_1)
	v_cndmask_b32_e64 v59, 0, 0x7fefffff, s7
	v_cndmask_b32_e64 v58, 0, -1, s7
	s_or_b32 s7, s30, s7
	s_xor_b32 s7, s7, -1
	s_delay_alu instid0(SALU_CYCLE_1)
	s_and_saveexec_b32 s35, s7
	s_cbranch_execz .LBB173_42
; %bb.41:                               ;   in Loop: Header=BB173_36 Depth=1
	v_add_co_u32 v2, s7, v0, v52
	s_delay_alu instid0(VALU_DEP_1)
	v_add_co_ci_u32_e64 v3, s7, v1, v53, s7
	flat_load_b64 v[2:3], v[2:3] offset:512
	s_waitcnt vmcnt(0) lgkmcnt(0)
	v_mul_f64 v[58:59], v[2:3], s[24:25]
.LBB173_42:                             ;   in Loop: Header=BB173_36 Depth=1
	s_or_b32 exec_lo, exec_lo, s35
	s_or_b32 s7, s5, vcc_lo
	s_delay_alu instid0(SALU_CYCLE_1) | instskip(SKIP_2) | instid1(SALU_CYCLE_1)
	v_cndmask_b32_e64 v61, 0, 0x7fefffff, s7
	v_cndmask_b32_e64 v60, 0, -1, s7
	s_or_b32 s7, s30, s7
	s_xor_b32 s7, s7, -1
	s_delay_alu instid0(SALU_CYCLE_1)
	s_and_saveexec_b32 s35, s7
	s_cbranch_execz .LBB173_44
; %bb.43:                               ;   in Loop: Header=BB173_36 Depth=1
	v_add_co_u32 v2, s7, v0, v52
	s_delay_alu instid0(VALU_DEP_1)
	v_add_co_ci_u32_e64 v3, s7, v1, v53, s7
	flat_load_b64 v[2:3], v[2:3] offset:1024
	s_waitcnt vmcnt(0) lgkmcnt(0)
	v_mul_f64 v[60:61], v[2:3], s[24:25]
.LBB173_44:                             ;   in Loop: Header=BB173_36 Depth=1
	s_or_b32 exec_lo, exec_lo, s35
	s_or_b32 s7, s6, vcc_lo
	s_delay_alu instid0(SALU_CYCLE_1) | instskip(SKIP_2) | instid1(SALU_CYCLE_1)
	v_cndmask_b32_e64 v63, 0, 0x7fefffff, s7
	v_cndmask_b32_e64 v62, 0, -1, s7
	s_or_b32 s7, s30, s7
	s_xor_b32 s35, s7, -1
	s_delay_alu instid0(SALU_CYCLE_1)
	s_and_saveexec_b32 s7, s35
	s_cbranch_execz .LBB173_46
; %bb.45:                               ;   in Loop: Header=BB173_36 Depth=1
	v_add_co_u32 v0, vcc_lo, v0, v52
	v_add_co_ci_u32_e32 v1, vcc_lo, v1, v53, vcc_lo
	flat_load_b64 v[0:1], v[0:1] offset:1536
	s_waitcnt vmcnt(0) lgkmcnt(0)
	v_mul_f64 v[62:63], v[0:1], s[24:25]
.LBB173_46:                             ;   in Loop: Header=BB173_36 Depth=1
	s_or_b32 exec_lo, exec_lo, s7
	s_mov_b32 s35, 0
	s_mov_b32 s7, -1
.LBB173_47:                             ;   Parent Loop BB173_36 Depth=1
                                        ; =>  This Inner Loop Header: Depth=2
	s_lshl_b32 s35, s35, 3
	s_and_not1_b32 vcc_lo, exec_lo, s7
	v_lshl_add_u32 v0, v120, 5, s35
	v_lshl_add_u32 v16, v121, 5, s35
	s_mov_b32 s35, 2
	s_mov_b32 s7, 0
	ds_load_b128 v[32:35], v0 offset:18432
	ds_load_b128 v[28:31], v0 offset:18688
	;; [unrolled: 1-line block ×16, first 2 shown]
	s_waitcnt lgkmcnt(7)
	v_add_f64 v[149:150], v[34:35], v[139:140]
	v_add_f64 v[151:152], v[32:33], v[137:138]
	s_delay_alu instid0(VALU_DEP_2) | instskip(NEXT) | instid1(VALU_DEP_2)
	v_cvt_f32_f64_e32 v149, v[149:150]
	v_cvt_f32_f64_e32 v151, v[151:152]
	s_delay_alu instid0(VALU_DEP_1) | instskip(SKIP_2) | instid1(VALU_DEP_2)
	v_min3_f32 v131, v151, v149, v131
	v_add_f64 v[149:150], v[30:31], v[139:140]
	v_add_f64 v[151:152], v[28:29], v[137:138]
	v_cvt_f32_f64_e32 v149, v[149:150]
	s_delay_alu instid0(VALU_DEP_2) | instskip(NEXT) | instid1(VALU_DEP_1)
	v_cvt_f32_f64_e32 v151, v[151:152]
	v_min3_f32 v130, v151, v149, v130
	v_add_f64 v[149:150], v[26:27], v[139:140]
	v_add_f64 v[151:152], v[24:25], v[137:138]
	s_delay_alu instid0(VALU_DEP_2) | instskip(NEXT) | instid1(VALU_DEP_2)
	v_cvt_f32_f64_e32 v149, v[149:150]
	v_cvt_f32_f64_e32 v151, v[151:152]
	s_delay_alu instid0(VALU_DEP_1) | instskip(SKIP_2) | instid1(VALU_DEP_2)
	v_min3_f32 v129, v151, v149, v129
	v_add_f64 v[149:150], v[22:23], v[139:140]
	v_add_f64 v[151:152], v[20:21], v[137:138]
	v_cvt_f32_f64_e32 v149, v[149:150]
	s_delay_alu instid0(VALU_DEP_2) | instskip(NEXT) | instid1(VALU_DEP_1)
	v_cvt_f32_f64_e32 v151, v[151:152]
	v_min3_f32 v128, v151, v149, v128
	;; [unrolled: 13-line block ×3, first 2 shown]
	v_add_f64 v[149:150], v[6:7], v[139:140]
	v_add_f64 v[151:152], v[4:5], v[137:138]
	;; [unrolled: 1-line block ×4, first 2 shown]
	s_delay_alu instid0(VALU_DEP_4) | instskip(NEXT) | instid1(VALU_DEP_4)
	v_cvt_f32_f64_e32 v149, v[149:150]
	v_cvt_f32_f64_e32 v151, v[151:152]
	s_delay_alu instid0(VALU_DEP_3) | instskip(SKIP_3) | instid1(VALU_DEP_4)
	v_cvt_f32_f64_e32 v137, v[137:138]
	v_cvt_f32_f64_e32 v138, v[139:140]
	s_waitcnt lgkmcnt(6)
	v_add_f64 v[139:140], v[32:33], v[141:142]
	v_min3_f32 v125, v151, v149, v125
	s_delay_alu instid0(VALU_DEP_3) | instskip(SKIP_1) | instid1(VALU_DEP_4)
	v_min3_f32 v124, v137, v138, v124
	v_add_f64 v[137:138], v[34:35], v[143:144]
	v_cvt_f32_f64_e32 v139, v[139:140]
	s_delay_alu instid0(VALU_DEP_2) | instskip(NEXT) | instid1(VALU_DEP_1)
	v_cvt_f32_f64_e32 v137, v[137:138]
	v_min3_f32 v123, v139, v137, v123
	v_add_f64 v[137:138], v[30:31], v[143:144]
	v_add_f64 v[139:140], v[28:29], v[141:142]
	s_delay_alu instid0(VALU_DEP_2) | instskip(NEXT) | instid1(VALU_DEP_2)
	v_cvt_f32_f64_e32 v137, v[137:138]
	v_cvt_f32_f64_e32 v139, v[139:140]
	s_delay_alu instid0(VALU_DEP_1) | instskip(SKIP_2) | instid1(VALU_DEP_2)
	v_min3_f32 v122, v139, v137, v122
	v_add_f64 v[137:138], v[26:27], v[143:144]
	v_add_f64 v[139:140], v[24:25], v[141:142]
	v_cvt_f32_f64_e32 v137, v[137:138]
	s_delay_alu instid0(VALU_DEP_2) | instskip(NEXT) | instid1(VALU_DEP_1)
	v_cvt_f32_f64_e32 v139, v[139:140]
	v_min3_f32 v119, v139, v137, v119
	v_add_f64 v[137:138], v[22:23], v[143:144]
	v_add_f64 v[139:140], v[20:21], v[141:142]
	s_delay_alu instid0(VALU_DEP_2) | instskip(NEXT) | instid1(VALU_DEP_2)
	v_cvt_f32_f64_e32 v137, v[137:138]
	v_cvt_f32_f64_e32 v139, v[139:140]
	s_delay_alu instid0(VALU_DEP_1) | instskip(SKIP_2) | instid1(VALU_DEP_2)
	v_min3_f32 v118, v139, v137, v118
	v_add_f64 v[137:138], v[14:15], v[143:144]
	;; [unrolled: 13-line block ×3, first 2 shown]
	v_add_f64 v[139:140], v[4:5], v[141:142]
	v_cvt_f32_f64_e32 v137, v[137:138]
	s_delay_alu instid0(VALU_DEP_2) | instskip(NEXT) | instid1(VALU_DEP_1)
	v_cvt_f32_f64_e32 v139, v[139:140]
	v_min3_f32 v115, v139, v137, v115
	v_add_f64 v[137:138], v[2:3], v[143:144]
	v_add_f64 v[139:140], v[0:1], v[141:142]
	s_delay_alu instid0(VALU_DEP_2) | instskip(NEXT) | instid1(VALU_DEP_2)
	v_cvt_f32_f64_e32 v137, v[137:138]
	v_cvt_f32_f64_e32 v139, v[139:140]
	s_delay_alu instid0(VALU_DEP_1) | instskip(SKIP_3) | instid1(VALU_DEP_2)
	v_min3_f32 v114, v139, v137, v114
	s_waitcnt lgkmcnt(5)
	v_add_f64 v[137:138], v[34:35], v[147:148]
	v_add_f64 v[139:140], v[32:33], v[145:146]
	v_cvt_f32_f64_e32 v137, v[137:138]
	s_delay_alu instid0(VALU_DEP_2) | instskip(NEXT) | instid1(VALU_DEP_1)
	v_cvt_f32_f64_e32 v139, v[139:140]
	v_min3_f32 v113, v139, v137, v113
	v_add_f64 v[137:138], v[30:31], v[147:148]
	v_add_f64 v[139:140], v[28:29], v[145:146]
	s_delay_alu instid0(VALU_DEP_2) | instskip(NEXT) | instid1(VALU_DEP_2)
	v_cvt_f32_f64_e32 v137, v[137:138]
	v_cvt_f32_f64_e32 v139, v[139:140]
	s_delay_alu instid0(VALU_DEP_1) | instskip(SKIP_2) | instid1(VALU_DEP_2)
	v_min3_f32 v112, v139, v137, v112
	v_add_f64 v[137:138], v[26:27], v[147:148]
	v_add_f64 v[139:140], v[24:25], v[145:146]
	v_cvt_f32_f64_e32 v137, v[137:138]
	s_delay_alu instid0(VALU_DEP_2) | instskip(NEXT) | instid1(VALU_DEP_1)
	v_cvt_f32_f64_e32 v139, v[139:140]
	v_min3_f32 v111, v139, v137, v111
	v_add_f64 v[137:138], v[22:23], v[147:148]
	v_add_f64 v[139:140], v[20:21], v[145:146]
	s_delay_alu instid0(VALU_DEP_2) | instskip(NEXT) | instid1(VALU_DEP_2)
	v_cvt_f32_f64_e32 v137, v[137:138]
	v_cvt_f32_f64_e32 v139, v[139:140]
	s_delay_alu instid0(VALU_DEP_1) | instskip(SKIP_2) | instid1(VALU_DEP_2)
	v_min3_f32 v110, v139, v137, v110
	;; [unrolled: 13-line block ×3, first 2 shown]
	v_add_f64 v[137:138], v[6:7], v[147:148]
	v_add_f64 v[139:140], v[4:5], v[145:146]
	v_cvt_f32_f64_e32 v137, v[137:138]
	s_delay_alu instid0(VALU_DEP_2) | instskip(NEXT) | instid1(VALU_DEP_1)
	v_cvt_f32_f64_e32 v139, v[139:140]
	v_min3_f32 v107, v139, v137, v107
	v_add_f64 v[137:138], v[2:3], v[147:148]
	v_add_f64 v[139:140], v[0:1], v[145:146]
	s_delay_alu instid0(VALU_DEP_2) | instskip(NEXT) | instid1(VALU_DEP_2)
	v_cvt_f32_f64_e32 v137, v[137:138]
	v_cvt_f32_f64_e32 v139, v[139:140]
	s_delay_alu instid0(VALU_DEP_1) | instskip(SKIP_3) | instid1(VALU_DEP_2)
	v_min3_f32 v106, v139, v137, v106
	s_waitcnt lgkmcnt(4)
	v_add_f64 v[137:138], v[34:35], v[50:51]
	v_add_f64 v[139:140], v[32:33], v[48:49]
	v_cvt_f32_f64_e32 v137, v[137:138]
	s_delay_alu instid0(VALU_DEP_2) | instskip(NEXT) | instid1(VALU_DEP_1)
	v_cvt_f32_f64_e32 v139, v[139:140]
	v_min3_f32 v105, v139, v137, v105
	v_add_f64 v[137:138], v[30:31], v[50:51]
	v_add_f64 v[139:140], v[28:29], v[48:49]
	s_delay_alu instid0(VALU_DEP_2) | instskip(NEXT) | instid1(VALU_DEP_2)
	v_cvt_f32_f64_e32 v137, v[137:138]
	v_cvt_f32_f64_e32 v139, v[139:140]
	s_delay_alu instid0(VALU_DEP_1) | instskip(SKIP_2) | instid1(VALU_DEP_2)
	v_min3_f32 v104, v139, v137, v104
	v_add_f64 v[137:138], v[26:27], v[50:51]
	v_add_f64 v[139:140], v[24:25], v[48:49]
	v_cvt_f32_f64_e32 v137, v[137:138]
	s_delay_alu instid0(VALU_DEP_2) | instskip(NEXT) | instid1(VALU_DEP_1)
	v_cvt_f32_f64_e32 v139, v[139:140]
	v_min3_f32 v103, v139, v137, v103
	v_add_f64 v[137:138], v[22:23], v[50:51]
	v_add_f64 v[139:140], v[20:21], v[48:49]
	s_delay_alu instid0(VALU_DEP_2) | instskip(NEXT) | instid1(VALU_DEP_2)
	v_cvt_f32_f64_e32 v137, v[137:138]
	v_cvt_f32_f64_e32 v139, v[139:140]
	s_delay_alu instid0(VALU_DEP_1) | instskip(SKIP_2) | instid1(VALU_DEP_2)
	v_min3_f32 v102, v139, v137, v102
	v_add_f64 v[137:138], v[14:15], v[50:51]
	v_add_f64 v[139:140], v[12:13], v[48:49]
	v_cvt_f32_f64_e32 v137, v[137:138]
	s_delay_alu instid0(VALU_DEP_2) | instskip(NEXT) | instid1(VALU_DEP_1)
	v_cvt_f32_f64_e32 v139, v[139:140]
	v_min3_f32 v101, v139, v137, v101
	v_add_f64 v[137:138], v[10:11], v[50:51]
	v_add_f64 v[139:140], v[8:9], v[48:49]
	s_delay_alu instid0(VALU_DEP_2) | instskip(NEXT) | instid1(VALU_DEP_2)
	v_cvt_f32_f64_e32 v137, v[137:138]
	v_cvt_f32_f64_e32 v139, v[139:140]
	s_delay_alu instid0(VALU_DEP_1) | instskip(SKIP_4) | instid1(VALU_DEP_4)
	v_min3_f32 v100, v139, v137, v100
	v_add_f64 v[137:138], v[6:7], v[50:51]
	v_add_f64 v[139:140], v[4:5], v[48:49]
	;; [unrolled: 1-line block ×4, first 2 shown]
	v_cvt_f32_f64_e32 v137, v[137:138]
	s_delay_alu instid0(VALU_DEP_4) | instskip(NEXT) | instid1(VALU_DEP_3)
	v_cvt_f32_f64_e32 v139, v[139:140]
	v_cvt_f32_f64_e32 v48, v[48:49]
	v_cvt_f32_f64_e32 v49, v[50:51]
	s_waitcnt lgkmcnt(3)
	v_add_f64 v[50:51], v[32:33], v[44:45]
	s_delay_alu instid0(VALU_DEP_4) | instskip(NEXT) | instid1(VALU_DEP_3)
	v_min3_f32 v99, v139, v137, v99
	v_min3_f32 v98, v48, v49, v98
	v_add_f64 v[48:49], v[34:35], v[46:47]
	s_delay_alu instid0(VALU_DEP_4) | instskip(NEXT) | instid1(VALU_DEP_2)
	v_cvt_f32_f64_e32 v50, v[50:51]
	v_cvt_f32_f64_e32 v48, v[48:49]
	s_delay_alu instid0(VALU_DEP_1) | instskip(SKIP_2) | instid1(VALU_DEP_2)
	v_min3_f32 v97, v50, v48, v97
	v_add_f64 v[48:49], v[30:31], v[46:47]
	v_add_f64 v[50:51], v[28:29], v[44:45]
	v_cvt_f32_f64_e32 v48, v[48:49]
	s_delay_alu instid0(VALU_DEP_2) | instskip(NEXT) | instid1(VALU_DEP_1)
	v_cvt_f32_f64_e32 v50, v[50:51]
	v_min3_f32 v96, v50, v48, v96
	v_add_f64 v[48:49], v[26:27], v[46:47]
	v_add_f64 v[50:51], v[24:25], v[44:45]
	s_delay_alu instid0(VALU_DEP_2) | instskip(NEXT) | instid1(VALU_DEP_2)
	v_cvt_f32_f64_e32 v48, v[48:49]
	v_cvt_f32_f64_e32 v50, v[50:51]
	s_delay_alu instid0(VALU_DEP_1) | instskip(SKIP_2) | instid1(VALU_DEP_2)
	v_min3_f32 v95, v50, v48, v95
	v_add_f64 v[48:49], v[22:23], v[46:47]
	v_add_f64 v[50:51], v[20:21], v[44:45]
	v_cvt_f32_f64_e32 v48, v[48:49]
	s_delay_alu instid0(VALU_DEP_2) | instskip(NEXT) | instid1(VALU_DEP_1)
	v_cvt_f32_f64_e32 v50, v[50:51]
	v_min3_f32 v94, v50, v48, v94
	v_add_f64 v[48:49], v[14:15], v[46:47]
	v_add_f64 v[50:51], v[12:13], v[44:45]
	s_delay_alu instid0(VALU_DEP_2) | instskip(NEXT) | instid1(VALU_DEP_2)
	v_cvt_f32_f64_e32 v48, v[48:49]
	v_cvt_f32_f64_e32 v50, v[50:51]
	s_delay_alu instid0(VALU_DEP_1) | instskip(SKIP_2) | instid1(VALU_DEP_2)
	v_min3_f32 v93, v50, v48, v93
	v_add_f64 v[48:49], v[10:11], v[46:47]
	v_add_f64 v[50:51], v[8:9], v[44:45]
	v_cvt_f32_f64_e32 v48, v[48:49]
	s_delay_alu instid0(VALU_DEP_2) | instskip(NEXT) | instid1(VALU_DEP_1)
	v_cvt_f32_f64_e32 v50, v[50:51]
	v_min3_f32 v92, v50, v48, v92
	v_add_f64 v[48:49], v[6:7], v[46:47]
	v_add_f64 v[50:51], v[4:5], v[44:45]
	;; [unrolled: 1-line block ×4, first 2 shown]
	s_delay_alu instid0(VALU_DEP_4) | instskip(NEXT) | instid1(VALU_DEP_4)
	v_cvt_f32_f64_e32 v48, v[48:49]
	v_cvt_f32_f64_e32 v50, v[50:51]
	s_delay_alu instid0(VALU_DEP_3) | instskip(SKIP_3) | instid1(VALU_DEP_4)
	v_cvt_f32_f64_e32 v44, v[44:45]
	v_cvt_f32_f64_e32 v45, v[46:47]
	s_waitcnt lgkmcnt(2)
	v_add_f64 v[46:47], v[32:33], v[40:41]
	v_min3_f32 v91, v50, v48, v91
	s_delay_alu instid0(VALU_DEP_3) | instskip(SKIP_1) | instid1(VALU_DEP_4)
	v_min3_f32 v90, v44, v45, v90
	v_add_f64 v[44:45], v[34:35], v[42:43]
	v_cvt_f32_f64_e32 v46, v[46:47]
	s_delay_alu instid0(VALU_DEP_2) | instskip(NEXT) | instid1(VALU_DEP_1)
	v_cvt_f32_f64_e32 v44, v[44:45]
	v_min3_f32 v89, v46, v44, v89
	v_add_f64 v[44:45], v[30:31], v[42:43]
	v_add_f64 v[46:47], v[28:29], v[40:41]
	s_delay_alu instid0(VALU_DEP_2) | instskip(NEXT) | instid1(VALU_DEP_2)
	v_cvt_f32_f64_e32 v44, v[44:45]
	v_cvt_f32_f64_e32 v46, v[46:47]
	s_delay_alu instid0(VALU_DEP_1) | instskip(SKIP_2) | instid1(VALU_DEP_2)
	v_min3_f32 v88, v46, v44, v88
	v_add_f64 v[44:45], v[26:27], v[42:43]
	v_add_f64 v[46:47], v[24:25], v[40:41]
	v_cvt_f32_f64_e32 v44, v[44:45]
	s_delay_alu instid0(VALU_DEP_2) | instskip(NEXT) | instid1(VALU_DEP_1)
	v_cvt_f32_f64_e32 v46, v[46:47]
	v_min3_f32 v87, v46, v44, v87
	v_add_f64 v[44:45], v[22:23], v[42:43]
	v_add_f64 v[46:47], v[20:21], v[40:41]
	s_delay_alu instid0(VALU_DEP_2) | instskip(NEXT) | instid1(VALU_DEP_2)
	v_cvt_f32_f64_e32 v44, v[44:45]
	v_cvt_f32_f64_e32 v46, v[46:47]
	s_delay_alu instid0(VALU_DEP_1) | instskip(SKIP_2) | instid1(VALU_DEP_2)
	v_min3_f32 v86, v46, v44, v86
	v_add_f64 v[44:45], v[14:15], v[42:43]
	v_add_f64 v[46:47], v[12:13], v[40:41]
	v_cvt_f32_f64_e32 v44, v[44:45]
	s_delay_alu instid0(VALU_DEP_2) | instskip(NEXT) | instid1(VALU_DEP_1)
	v_cvt_f32_f64_e32 v46, v[46:47]
	v_min3_f32 v85, v46, v44, v85
	v_add_f64 v[44:45], v[10:11], v[42:43]
	v_add_f64 v[46:47], v[8:9], v[40:41]
	s_delay_alu instid0(VALU_DEP_2) | instskip(NEXT) | instid1(VALU_DEP_2)
	v_cvt_f32_f64_e32 v44, v[44:45]
	v_cvt_f32_f64_e32 v46, v[46:47]
	s_delay_alu instid0(VALU_DEP_1) | instskip(SKIP_4) | instid1(VALU_DEP_4)
	v_min3_f32 v84, v46, v44, v84
	v_add_f64 v[44:45], v[6:7], v[42:43]
	v_add_f64 v[46:47], v[4:5], v[40:41]
	;; [unrolled: 1-line block ×4, first 2 shown]
	v_cvt_f32_f64_e32 v44, v[44:45]
	s_delay_alu instid0(VALU_DEP_4) | instskip(NEXT) | instid1(VALU_DEP_3)
	v_cvt_f32_f64_e32 v46, v[46:47]
	v_cvt_f32_f64_e32 v40, v[40:41]
	;; [unrolled: 1-line block ×3, first 2 shown]
	s_waitcnt lgkmcnt(1)
	v_add_f64 v[42:43], v[32:33], v[36:37]
	s_waitcnt lgkmcnt(0)
	v_add_f64 v[32:33], v[32:33], v[16:17]
	v_min3_f32 v83, v46, v44, v83
	s_delay_alu instid0(VALU_DEP_4) | instskip(SKIP_4) | instid1(VALU_DEP_4)
	v_min3_f32 v82, v40, v41, v82
	v_add_f64 v[40:41], v[34:35], v[38:39]
	v_cvt_f32_f64_e32 v42, v[42:43]
	v_add_f64 v[34:35], v[34:35], v[18:19]
	v_cvt_f32_f64_e32 v32, v[32:33]
	v_cvt_f32_f64_e32 v40, v[40:41]
	s_delay_alu instid0(VALU_DEP_3) | instskip(NEXT) | instid1(VALU_DEP_2)
	v_cvt_f32_f64_e32 v33, v[34:35]
	v_min3_f32 v81, v42, v40, v81
	v_add_f64 v[40:41], v[30:31], v[38:39]
	v_add_f64 v[42:43], v[28:29], v[36:37]
	v_add_f64 v[30:31], v[30:31], v[18:19]
	v_add_f64 v[28:29], v[28:29], v[16:17]
	v_min3_f32 v73, v32, v33, v73
	v_cvt_f32_f64_e32 v40, v[40:41]
	v_cvt_f32_f64_e32 v42, v[42:43]
	s_delay_alu instid0(VALU_DEP_4) | instskip(SKIP_1) | instid1(VALU_DEP_3)
	v_cvt_f32_f64_e32 v28, v[28:29]
	v_cvt_f32_f64_e32 v29, v[30:31]
	v_min3_f32 v80, v42, v40, v80
	v_add_f64 v[40:41], v[26:27], v[38:39]
	v_add_f64 v[42:43], v[24:25], v[36:37]
	v_add_f64 v[26:27], v[26:27], v[18:19]
	v_add_f64 v[24:25], v[24:25], v[16:17]
	v_min3_f32 v72, v28, v29, v72
	v_cvt_f32_f64_e32 v40, v[40:41]
	v_cvt_f32_f64_e32 v42, v[42:43]
	s_delay_alu instid0(VALU_DEP_4) | instskip(SKIP_1) | instid1(VALU_DEP_3)
	v_cvt_f32_f64_e32 v24, v[24:25]
	;; [unrolled: 11-line block ×5, first 2 shown]
	v_cvt_f32_f64_e32 v9, v[10:11]
	v_min3_f32 v76, v42, v40, v76
	v_add_f64 v[40:41], v[6:7], v[38:39]
	v_add_f64 v[42:43], v[4:5], v[36:37]
	;; [unrolled: 1-line block ×8, first 2 shown]
	v_min3_f32 v68, v8, v9, v68
	v_cvt_f32_f64_e32 v40, v[40:41]
	v_cvt_f32_f64_e32 v42, v[42:43]
	;; [unrolled: 1-line block ×8, first 2 shown]
	v_min3_f32 v75, v42, v40, v75
	v_min3_f32 v74, v36, v37, v74
	;; [unrolled: 1-line block ×3, first 2 shown]
	s_delay_alu instid0(VALU_DEP_4)
	v_min3_f32 v66, v0, v1, v66
	s_cbranch_vccz .LBB173_47
; %bb.48:                               ;   in Loop: Header=BB173_36 Depth=1
	v_add3_u32 v0, v132, s34, 4
	ds_store_b64 v134, v[54:55]
	ds_store_2addr_stride64_b64 v133, v[56:57], v[58:59] offset1:4
	ds_store_2addr_stride64_b64 v133, v[60:61], v[62:63] offset0:8 offset1:12
	s_waitcnt lgkmcnt(0)
	s_barrier
	buffer_gl0_inv
	v_cmp_le_i32_e32 vcc_lo, s18, v0
	s_or_b32 s7, s2, vcc_lo
	s_delay_alu instid0(SALU_CYCLE_1) | instskip(SKIP_2) | instid1(SALU_CYCLE_1)
	v_cndmask_b32_e64 v55, 0, 0x7fefffff, s7
	v_cndmask_b32_e64 v54, 0, -1, s7
	s_or_b32 s7, s30, s7
	s_xor_b32 s7, s7, -1
	s_delay_alu instid0(SALU_CYCLE_1)
	s_and_saveexec_b32 s35, s7
	s_cbranch_execz .LBB173_50
; %bb.49:                               ;   in Loop: Header=BB173_36 Depth=1
	v_mad_u64_u32 v[1:2], null, v0, s20, 0
	s_delay_alu instid0(VALU_DEP_1) | instskip(NEXT) | instid1(VALU_DEP_1)
	v_mad_u64_u32 v[3:4], null, v0, s21, v[2:3]
	v_mov_b32_e32 v2, v3
	s_delay_alu instid0(VALU_DEP_1) | instskip(NEXT) | instid1(VALU_DEP_1)
	v_lshlrev_b64 v[1:2], 3, v[1:2]
	v_add_co_u32 v1, s7, v135, v1
	s_delay_alu instid0(VALU_DEP_1)
	v_add_co_ci_u32_e64 v2, s7, v136, v2, s7
	flat_load_b64 v[1:2], v[1:2]
	s_waitcnt vmcnt(0) lgkmcnt(0)
	v_mul_f64 v[54:55], v[1:2], s[24:25]
.LBB173_50:                             ;   in Loop: Header=BB173_36 Depth=1
	s_or_b32 exec_lo, exec_lo, s35
	v_min_i32_e32 v2, s31, v0
	s_or_b32 s35, s3, vcc_lo
	s_delay_alu instid0(SALU_CYCLE_1) | instskip(SKIP_1) | instid1(VALU_DEP_3)
	v_cndmask_b32_e64 v57, 0, 0x7fefffff, s35
	v_cndmask_b32_e64 v56, 0, -1, s35
	v_mad_i64_i32 v[0:1], null, v2, s33, 0
	s_delay_alu instid0(VALU_DEP_1) | instskip(NEXT) | instid1(VALU_DEP_1)
	v_lshlrev_b64 v[0:1], 3, v[0:1]
	v_add_co_u32 v0, s7, s8, v0
	s_delay_alu instid0(VALU_DEP_1) | instskip(SKIP_1) | instid1(SALU_CYCLE_1)
	v_add_co_ci_u32_e64 v1, s7, s9, v1, s7
	s_or_b32 s7, s30, s35
	s_xor_b32 s7, s7, -1
	s_delay_alu instid0(SALU_CYCLE_1)
	s_and_saveexec_b32 s35, s7
	s_cbranch_execz .LBB173_52
; %bb.51:                               ;   in Loop: Header=BB173_36 Depth=1
	v_add_co_u32 v2, s7, v0, v52
	s_delay_alu instid0(VALU_DEP_1)
	v_add_co_ci_u32_e64 v3, s7, v1, v53, s7
	flat_load_b64 v[2:3], v[2:3]
	s_waitcnt vmcnt(0) lgkmcnt(0)
	v_mul_f64 v[56:57], v[2:3], s[24:25]
.LBB173_52:                             ;   in Loop: Header=BB173_36 Depth=1
	s_or_b32 exec_lo, exec_lo, s35
	s_or_b32 s7, s4, vcc_lo
	s_delay_alu instid0(SALU_CYCLE_1) | instskip(SKIP_2) | instid1(SALU_CYCLE_1)
	v_cndmask_b32_e64 v59, 0, 0x7fefffff, s7
	v_cndmask_b32_e64 v58, 0, -1, s7
	s_or_b32 s7, s30, s7
	s_xor_b32 s7, s7, -1
	s_delay_alu instid0(SALU_CYCLE_1)
	s_and_saveexec_b32 s35, s7
	s_cbranch_execz .LBB173_54
; %bb.53:                               ;   in Loop: Header=BB173_36 Depth=1
	v_add_co_u32 v2, s7, v0, v52
	s_delay_alu instid0(VALU_DEP_1)
	v_add_co_ci_u32_e64 v3, s7, v1, v53, s7
	flat_load_b64 v[2:3], v[2:3] offset:512
	s_waitcnt vmcnt(0) lgkmcnt(0)
	v_mul_f64 v[58:59], v[2:3], s[24:25]
.LBB173_54:                             ;   in Loop: Header=BB173_36 Depth=1
	s_or_b32 exec_lo, exec_lo, s35
	s_or_b32 s7, s5, vcc_lo
	s_delay_alu instid0(SALU_CYCLE_1) | instskip(SKIP_2) | instid1(SALU_CYCLE_1)
	v_cndmask_b32_e64 v61, 0, 0x7fefffff, s7
	v_cndmask_b32_e64 v60, 0, -1, s7
	s_or_b32 s7, s30, s7
	s_xor_b32 s7, s7, -1
	s_delay_alu instid0(SALU_CYCLE_1)
	s_and_saveexec_b32 s35, s7
	s_cbranch_execz .LBB173_56
; %bb.55:                               ;   in Loop: Header=BB173_36 Depth=1
	v_add_co_u32 v2, s7, v0, v52
	s_delay_alu instid0(VALU_DEP_1)
	v_add_co_ci_u32_e64 v3, s7, v1, v53, s7
	flat_load_b64 v[2:3], v[2:3] offset:1024
	s_waitcnt vmcnt(0) lgkmcnt(0)
	v_mul_f64 v[60:61], v[2:3], s[24:25]
.LBB173_56:                             ;   in Loop: Header=BB173_36 Depth=1
	s_or_b32 exec_lo, exec_lo, s35
	s_or_b32 s7, s6, vcc_lo
	s_delay_alu instid0(SALU_CYCLE_1) | instskip(SKIP_2) | instid1(SALU_CYCLE_1)
	v_cndmask_b32_e64 v63, 0, 0x7fefffff, s7
	v_cndmask_b32_e64 v62, 0, -1, s7
	s_or_b32 s7, s30, s7
	s_xor_b32 s35, s7, -1
	s_delay_alu instid0(SALU_CYCLE_1)
	s_and_saveexec_b32 s7, s35
	s_cbranch_execz .LBB173_58
; %bb.57:                               ;   in Loop: Header=BB173_36 Depth=1
	v_add_co_u32 v0, vcc_lo, v0, v52
	v_add_co_ci_u32_e32 v1, vcc_lo, v1, v53, vcc_lo
	flat_load_b64 v[0:1], v[0:1] offset:1536
	s_waitcnt vmcnt(0) lgkmcnt(0)
	v_mul_f64 v[62:63], v[0:1], s[24:25]
.LBB173_58:                             ;   in Loop: Header=BB173_36 Depth=1
	s_or_b32 exec_lo, exec_lo, s7
	s_mov_b32 s35, 0
	s_mov_b32 s7, -1
.LBB173_59:                             ;   Parent Loop BB173_36 Depth=1
                                        ; =>  This Inner Loop Header: Depth=2
	s_lshl_b32 s35, s35, 3
	s_and_not1_b32 vcc_lo, exec_lo, s7
	v_lshl_add_u32 v0, v120, 5, s35
	v_lshl_add_u32 v16, v121, 5, s35
	s_mov_b32 s35, 2
	s_mov_b32 s7, 0
	ds_load_b128 v[32:35], v0 offset:16384
	ds_load_b128 v[28:31], v0 offset:16640
	;; [unrolled: 1-line block ×8, first 2 shown]
	ds_load_b128 v[137:140], v16
	ds_load_b128 v[141:144], v16 offset:1024
	ds_load_b128 v[145:148], v16 offset:2048
	;; [unrolled: 1-line block ×7, first 2 shown]
	s_waitcnt lgkmcnt(7)
	v_add_f64 v[149:150], v[34:35], v[139:140]
	v_add_f64 v[151:152], v[32:33], v[137:138]
	s_delay_alu instid0(VALU_DEP_2) | instskip(NEXT) | instid1(VALU_DEP_2)
	v_cvt_f32_f64_e32 v149, v[149:150]
	v_cvt_f32_f64_e32 v151, v[151:152]
	s_delay_alu instid0(VALU_DEP_1) | instskip(SKIP_2) | instid1(VALU_DEP_2)
	v_min3_f32 v131, v151, v149, v131
	v_add_f64 v[149:150], v[30:31], v[139:140]
	v_add_f64 v[151:152], v[28:29], v[137:138]
	v_cvt_f32_f64_e32 v149, v[149:150]
	s_delay_alu instid0(VALU_DEP_2) | instskip(NEXT) | instid1(VALU_DEP_1)
	v_cvt_f32_f64_e32 v151, v[151:152]
	v_min3_f32 v130, v151, v149, v130
	v_add_f64 v[149:150], v[26:27], v[139:140]
	v_add_f64 v[151:152], v[24:25], v[137:138]
	s_delay_alu instid0(VALU_DEP_2) | instskip(NEXT) | instid1(VALU_DEP_2)
	v_cvt_f32_f64_e32 v149, v[149:150]
	v_cvt_f32_f64_e32 v151, v[151:152]
	s_delay_alu instid0(VALU_DEP_1) | instskip(SKIP_2) | instid1(VALU_DEP_2)
	v_min3_f32 v129, v151, v149, v129
	v_add_f64 v[149:150], v[22:23], v[139:140]
	v_add_f64 v[151:152], v[20:21], v[137:138]
	v_cvt_f32_f64_e32 v149, v[149:150]
	s_delay_alu instid0(VALU_DEP_2) | instskip(NEXT) | instid1(VALU_DEP_1)
	v_cvt_f32_f64_e32 v151, v[151:152]
	v_min3_f32 v128, v151, v149, v128
	;; [unrolled: 13-line block ×3, first 2 shown]
	v_add_f64 v[149:150], v[6:7], v[139:140]
	v_add_f64 v[151:152], v[4:5], v[137:138]
	;; [unrolled: 1-line block ×4, first 2 shown]
	s_delay_alu instid0(VALU_DEP_4) | instskip(NEXT) | instid1(VALU_DEP_4)
	v_cvt_f32_f64_e32 v149, v[149:150]
	v_cvt_f32_f64_e32 v151, v[151:152]
	s_delay_alu instid0(VALU_DEP_3) | instskip(SKIP_3) | instid1(VALU_DEP_4)
	v_cvt_f32_f64_e32 v137, v[137:138]
	v_cvt_f32_f64_e32 v138, v[139:140]
	s_waitcnt lgkmcnt(6)
	v_add_f64 v[139:140], v[32:33], v[141:142]
	v_min3_f32 v125, v151, v149, v125
	s_delay_alu instid0(VALU_DEP_3) | instskip(SKIP_1) | instid1(VALU_DEP_4)
	v_min3_f32 v124, v137, v138, v124
	v_add_f64 v[137:138], v[34:35], v[143:144]
	v_cvt_f32_f64_e32 v139, v[139:140]
	s_delay_alu instid0(VALU_DEP_2) | instskip(NEXT) | instid1(VALU_DEP_1)
	v_cvt_f32_f64_e32 v137, v[137:138]
	v_min3_f32 v123, v139, v137, v123
	v_add_f64 v[137:138], v[30:31], v[143:144]
	v_add_f64 v[139:140], v[28:29], v[141:142]
	s_delay_alu instid0(VALU_DEP_2) | instskip(NEXT) | instid1(VALU_DEP_2)
	v_cvt_f32_f64_e32 v137, v[137:138]
	v_cvt_f32_f64_e32 v139, v[139:140]
	s_delay_alu instid0(VALU_DEP_1) | instskip(SKIP_2) | instid1(VALU_DEP_2)
	v_min3_f32 v122, v139, v137, v122
	v_add_f64 v[137:138], v[26:27], v[143:144]
	v_add_f64 v[139:140], v[24:25], v[141:142]
	v_cvt_f32_f64_e32 v137, v[137:138]
	s_delay_alu instid0(VALU_DEP_2) | instskip(NEXT) | instid1(VALU_DEP_1)
	v_cvt_f32_f64_e32 v139, v[139:140]
	v_min3_f32 v119, v139, v137, v119
	v_add_f64 v[137:138], v[22:23], v[143:144]
	v_add_f64 v[139:140], v[20:21], v[141:142]
	s_delay_alu instid0(VALU_DEP_2) | instskip(NEXT) | instid1(VALU_DEP_2)
	v_cvt_f32_f64_e32 v137, v[137:138]
	v_cvt_f32_f64_e32 v139, v[139:140]
	s_delay_alu instid0(VALU_DEP_1) | instskip(SKIP_2) | instid1(VALU_DEP_2)
	v_min3_f32 v118, v139, v137, v118
	v_add_f64 v[137:138], v[14:15], v[143:144]
	;; [unrolled: 13-line block ×3, first 2 shown]
	v_add_f64 v[139:140], v[4:5], v[141:142]
	v_cvt_f32_f64_e32 v137, v[137:138]
	s_delay_alu instid0(VALU_DEP_2) | instskip(NEXT) | instid1(VALU_DEP_1)
	v_cvt_f32_f64_e32 v139, v[139:140]
	v_min3_f32 v115, v139, v137, v115
	v_add_f64 v[137:138], v[2:3], v[143:144]
	v_add_f64 v[139:140], v[0:1], v[141:142]
	s_delay_alu instid0(VALU_DEP_2) | instskip(NEXT) | instid1(VALU_DEP_2)
	v_cvt_f32_f64_e32 v137, v[137:138]
	v_cvt_f32_f64_e32 v139, v[139:140]
	s_delay_alu instid0(VALU_DEP_1) | instskip(SKIP_3) | instid1(VALU_DEP_2)
	v_min3_f32 v114, v139, v137, v114
	s_waitcnt lgkmcnt(5)
	v_add_f64 v[137:138], v[34:35], v[147:148]
	v_add_f64 v[139:140], v[32:33], v[145:146]
	v_cvt_f32_f64_e32 v137, v[137:138]
	s_delay_alu instid0(VALU_DEP_2) | instskip(NEXT) | instid1(VALU_DEP_1)
	v_cvt_f32_f64_e32 v139, v[139:140]
	v_min3_f32 v113, v139, v137, v113
	v_add_f64 v[137:138], v[30:31], v[147:148]
	v_add_f64 v[139:140], v[28:29], v[145:146]
	s_delay_alu instid0(VALU_DEP_2) | instskip(NEXT) | instid1(VALU_DEP_2)
	v_cvt_f32_f64_e32 v137, v[137:138]
	v_cvt_f32_f64_e32 v139, v[139:140]
	s_delay_alu instid0(VALU_DEP_1) | instskip(SKIP_2) | instid1(VALU_DEP_2)
	v_min3_f32 v112, v139, v137, v112
	v_add_f64 v[137:138], v[26:27], v[147:148]
	v_add_f64 v[139:140], v[24:25], v[145:146]
	v_cvt_f32_f64_e32 v137, v[137:138]
	s_delay_alu instid0(VALU_DEP_2) | instskip(NEXT) | instid1(VALU_DEP_1)
	v_cvt_f32_f64_e32 v139, v[139:140]
	v_min3_f32 v111, v139, v137, v111
	v_add_f64 v[137:138], v[22:23], v[147:148]
	v_add_f64 v[139:140], v[20:21], v[145:146]
	s_delay_alu instid0(VALU_DEP_2) | instskip(NEXT) | instid1(VALU_DEP_2)
	v_cvt_f32_f64_e32 v137, v[137:138]
	v_cvt_f32_f64_e32 v139, v[139:140]
	s_delay_alu instid0(VALU_DEP_1) | instskip(SKIP_2) | instid1(VALU_DEP_2)
	v_min3_f32 v110, v139, v137, v110
	;; [unrolled: 13-line block ×3, first 2 shown]
	v_add_f64 v[137:138], v[6:7], v[147:148]
	v_add_f64 v[139:140], v[4:5], v[145:146]
	v_cvt_f32_f64_e32 v137, v[137:138]
	s_delay_alu instid0(VALU_DEP_2) | instskip(NEXT) | instid1(VALU_DEP_1)
	v_cvt_f32_f64_e32 v139, v[139:140]
	v_min3_f32 v107, v139, v137, v107
	v_add_f64 v[137:138], v[2:3], v[147:148]
	v_add_f64 v[139:140], v[0:1], v[145:146]
	s_delay_alu instid0(VALU_DEP_2) | instskip(NEXT) | instid1(VALU_DEP_2)
	v_cvt_f32_f64_e32 v137, v[137:138]
	v_cvt_f32_f64_e32 v139, v[139:140]
	s_delay_alu instid0(VALU_DEP_1) | instskip(SKIP_3) | instid1(VALU_DEP_2)
	v_min3_f32 v106, v139, v137, v106
	s_waitcnt lgkmcnt(4)
	v_add_f64 v[137:138], v[34:35], v[50:51]
	v_add_f64 v[139:140], v[32:33], v[48:49]
	v_cvt_f32_f64_e32 v137, v[137:138]
	s_delay_alu instid0(VALU_DEP_2) | instskip(NEXT) | instid1(VALU_DEP_1)
	v_cvt_f32_f64_e32 v139, v[139:140]
	v_min3_f32 v105, v139, v137, v105
	v_add_f64 v[137:138], v[30:31], v[50:51]
	v_add_f64 v[139:140], v[28:29], v[48:49]
	s_delay_alu instid0(VALU_DEP_2) | instskip(NEXT) | instid1(VALU_DEP_2)
	v_cvt_f32_f64_e32 v137, v[137:138]
	v_cvt_f32_f64_e32 v139, v[139:140]
	s_delay_alu instid0(VALU_DEP_1) | instskip(SKIP_2) | instid1(VALU_DEP_2)
	v_min3_f32 v104, v139, v137, v104
	v_add_f64 v[137:138], v[26:27], v[50:51]
	v_add_f64 v[139:140], v[24:25], v[48:49]
	v_cvt_f32_f64_e32 v137, v[137:138]
	s_delay_alu instid0(VALU_DEP_2) | instskip(NEXT) | instid1(VALU_DEP_1)
	v_cvt_f32_f64_e32 v139, v[139:140]
	v_min3_f32 v103, v139, v137, v103
	v_add_f64 v[137:138], v[22:23], v[50:51]
	v_add_f64 v[139:140], v[20:21], v[48:49]
	s_delay_alu instid0(VALU_DEP_2) | instskip(NEXT) | instid1(VALU_DEP_2)
	v_cvt_f32_f64_e32 v137, v[137:138]
	v_cvt_f32_f64_e32 v139, v[139:140]
	s_delay_alu instid0(VALU_DEP_1) | instskip(SKIP_2) | instid1(VALU_DEP_2)
	v_min3_f32 v102, v139, v137, v102
	v_add_f64 v[137:138], v[14:15], v[50:51]
	v_add_f64 v[139:140], v[12:13], v[48:49]
	v_cvt_f32_f64_e32 v137, v[137:138]
	s_delay_alu instid0(VALU_DEP_2) | instskip(NEXT) | instid1(VALU_DEP_1)
	v_cvt_f32_f64_e32 v139, v[139:140]
	v_min3_f32 v101, v139, v137, v101
	v_add_f64 v[137:138], v[10:11], v[50:51]
	v_add_f64 v[139:140], v[8:9], v[48:49]
	s_delay_alu instid0(VALU_DEP_2) | instskip(NEXT) | instid1(VALU_DEP_2)
	v_cvt_f32_f64_e32 v137, v[137:138]
	v_cvt_f32_f64_e32 v139, v[139:140]
	s_delay_alu instid0(VALU_DEP_1) | instskip(SKIP_4) | instid1(VALU_DEP_4)
	v_min3_f32 v100, v139, v137, v100
	v_add_f64 v[137:138], v[6:7], v[50:51]
	v_add_f64 v[139:140], v[4:5], v[48:49]
	;; [unrolled: 1-line block ×4, first 2 shown]
	v_cvt_f32_f64_e32 v137, v[137:138]
	s_delay_alu instid0(VALU_DEP_4) | instskip(NEXT) | instid1(VALU_DEP_3)
	v_cvt_f32_f64_e32 v139, v[139:140]
	v_cvt_f32_f64_e32 v48, v[48:49]
	;; [unrolled: 1-line block ×3, first 2 shown]
	s_waitcnt lgkmcnt(3)
	v_add_f64 v[50:51], v[32:33], v[44:45]
	s_delay_alu instid0(VALU_DEP_4) | instskip(NEXT) | instid1(VALU_DEP_3)
	v_min3_f32 v99, v139, v137, v99
	v_min3_f32 v98, v48, v49, v98
	v_add_f64 v[48:49], v[34:35], v[46:47]
	s_delay_alu instid0(VALU_DEP_4) | instskip(NEXT) | instid1(VALU_DEP_2)
	v_cvt_f32_f64_e32 v50, v[50:51]
	v_cvt_f32_f64_e32 v48, v[48:49]
	s_delay_alu instid0(VALU_DEP_1) | instskip(SKIP_2) | instid1(VALU_DEP_2)
	v_min3_f32 v97, v50, v48, v97
	v_add_f64 v[48:49], v[30:31], v[46:47]
	v_add_f64 v[50:51], v[28:29], v[44:45]
	v_cvt_f32_f64_e32 v48, v[48:49]
	s_delay_alu instid0(VALU_DEP_2) | instskip(NEXT) | instid1(VALU_DEP_1)
	v_cvt_f32_f64_e32 v50, v[50:51]
	v_min3_f32 v96, v50, v48, v96
	v_add_f64 v[48:49], v[26:27], v[46:47]
	v_add_f64 v[50:51], v[24:25], v[44:45]
	s_delay_alu instid0(VALU_DEP_2) | instskip(NEXT) | instid1(VALU_DEP_2)
	v_cvt_f32_f64_e32 v48, v[48:49]
	v_cvt_f32_f64_e32 v50, v[50:51]
	s_delay_alu instid0(VALU_DEP_1) | instskip(SKIP_2) | instid1(VALU_DEP_2)
	v_min3_f32 v95, v50, v48, v95
	v_add_f64 v[48:49], v[22:23], v[46:47]
	v_add_f64 v[50:51], v[20:21], v[44:45]
	v_cvt_f32_f64_e32 v48, v[48:49]
	s_delay_alu instid0(VALU_DEP_2) | instskip(NEXT) | instid1(VALU_DEP_1)
	v_cvt_f32_f64_e32 v50, v[50:51]
	v_min3_f32 v94, v50, v48, v94
	v_add_f64 v[48:49], v[14:15], v[46:47]
	v_add_f64 v[50:51], v[12:13], v[44:45]
	s_delay_alu instid0(VALU_DEP_2) | instskip(NEXT) | instid1(VALU_DEP_2)
	v_cvt_f32_f64_e32 v48, v[48:49]
	v_cvt_f32_f64_e32 v50, v[50:51]
	s_delay_alu instid0(VALU_DEP_1) | instskip(SKIP_2) | instid1(VALU_DEP_2)
	v_min3_f32 v93, v50, v48, v93
	v_add_f64 v[48:49], v[10:11], v[46:47]
	v_add_f64 v[50:51], v[8:9], v[44:45]
	v_cvt_f32_f64_e32 v48, v[48:49]
	s_delay_alu instid0(VALU_DEP_2) | instskip(NEXT) | instid1(VALU_DEP_1)
	v_cvt_f32_f64_e32 v50, v[50:51]
	v_min3_f32 v92, v50, v48, v92
	v_add_f64 v[48:49], v[6:7], v[46:47]
	v_add_f64 v[50:51], v[4:5], v[44:45]
	;; [unrolled: 1-line block ×4, first 2 shown]
	s_delay_alu instid0(VALU_DEP_4) | instskip(NEXT) | instid1(VALU_DEP_4)
	v_cvt_f32_f64_e32 v48, v[48:49]
	v_cvt_f32_f64_e32 v50, v[50:51]
	s_delay_alu instid0(VALU_DEP_3) | instskip(SKIP_3) | instid1(VALU_DEP_4)
	v_cvt_f32_f64_e32 v44, v[44:45]
	v_cvt_f32_f64_e32 v45, v[46:47]
	s_waitcnt lgkmcnt(2)
	v_add_f64 v[46:47], v[32:33], v[40:41]
	v_min3_f32 v91, v50, v48, v91
	s_delay_alu instid0(VALU_DEP_3) | instskip(SKIP_1) | instid1(VALU_DEP_4)
	v_min3_f32 v90, v44, v45, v90
	v_add_f64 v[44:45], v[34:35], v[42:43]
	v_cvt_f32_f64_e32 v46, v[46:47]
	s_delay_alu instid0(VALU_DEP_2) | instskip(NEXT) | instid1(VALU_DEP_1)
	v_cvt_f32_f64_e32 v44, v[44:45]
	v_min3_f32 v89, v46, v44, v89
	v_add_f64 v[44:45], v[30:31], v[42:43]
	v_add_f64 v[46:47], v[28:29], v[40:41]
	s_delay_alu instid0(VALU_DEP_2) | instskip(NEXT) | instid1(VALU_DEP_2)
	v_cvt_f32_f64_e32 v44, v[44:45]
	v_cvt_f32_f64_e32 v46, v[46:47]
	s_delay_alu instid0(VALU_DEP_1) | instskip(SKIP_2) | instid1(VALU_DEP_2)
	v_min3_f32 v88, v46, v44, v88
	v_add_f64 v[44:45], v[26:27], v[42:43]
	v_add_f64 v[46:47], v[24:25], v[40:41]
	v_cvt_f32_f64_e32 v44, v[44:45]
	s_delay_alu instid0(VALU_DEP_2) | instskip(NEXT) | instid1(VALU_DEP_1)
	v_cvt_f32_f64_e32 v46, v[46:47]
	v_min3_f32 v87, v46, v44, v87
	v_add_f64 v[44:45], v[22:23], v[42:43]
	v_add_f64 v[46:47], v[20:21], v[40:41]
	s_delay_alu instid0(VALU_DEP_2) | instskip(NEXT) | instid1(VALU_DEP_2)
	v_cvt_f32_f64_e32 v44, v[44:45]
	v_cvt_f32_f64_e32 v46, v[46:47]
	s_delay_alu instid0(VALU_DEP_1) | instskip(SKIP_2) | instid1(VALU_DEP_2)
	v_min3_f32 v86, v46, v44, v86
	v_add_f64 v[44:45], v[14:15], v[42:43]
	v_add_f64 v[46:47], v[12:13], v[40:41]
	v_cvt_f32_f64_e32 v44, v[44:45]
	s_delay_alu instid0(VALU_DEP_2) | instskip(NEXT) | instid1(VALU_DEP_1)
	v_cvt_f32_f64_e32 v46, v[46:47]
	v_min3_f32 v85, v46, v44, v85
	v_add_f64 v[44:45], v[10:11], v[42:43]
	v_add_f64 v[46:47], v[8:9], v[40:41]
	s_delay_alu instid0(VALU_DEP_2) | instskip(NEXT) | instid1(VALU_DEP_2)
	v_cvt_f32_f64_e32 v44, v[44:45]
	v_cvt_f32_f64_e32 v46, v[46:47]
	s_delay_alu instid0(VALU_DEP_1) | instskip(SKIP_4) | instid1(VALU_DEP_4)
	v_min3_f32 v84, v46, v44, v84
	v_add_f64 v[44:45], v[6:7], v[42:43]
	v_add_f64 v[46:47], v[4:5], v[40:41]
	;; [unrolled: 1-line block ×4, first 2 shown]
	v_cvt_f32_f64_e32 v44, v[44:45]
	s_delay_alu instid0(VALU_DEP_4) | instskip(NEXT) | instid1(VALU_DEP_3)
	v_cvt_f32_f64_e32 v46, v[46:47]
	v_cvt_f32_f64_e32 v40, v[40:41]
	;; [unrolled: 1-line block ×3, first 2 shown]
	s_waitcnt lgkmcnt(1)
	v_add_f64 v[42:43], v[32:33], v[36:37]
	s_waitcnt lgkmcnt(0)
	v_add_f64 v[32:33], v[32:33], v[16:17]
	v_min3_f32 v83, v46, v44, v83
	s_delay_alu instid0(VALU_DEP_4) | instskip(SKIP_4) | instid1(VALU_DEP_4)
	v_min3_f32 v82, v40, v41, v82
	v_add_f64 v[40:41], v[34:35], v[38:39]
	v_cvt_f32_f64_e32 v42, v[42:43]
	v_add_f64 v[34:35], v[34:35], v[18:19]
	v_cvt_f32_f64_e32 v32, v[32:33]
	v_cvt_f32_f64_e32 v40, v[40:41]
	s_delay_alu instid0(VALU_DEP_3) | instskip(NEXT) | instid1(VALU_DEP_2)
	v_cvt_f32_f64_e32 v33, v[34:35]
	v_min3_f32 v81, v42, v40, v81
	v_add_f64 v[40:41], v[30:31], v[38:39]
	v_add_f64 v[42:43], v[28:29], v[36:37]
	v_add_f64 v[30:31], v[30:31], v[18:19]
	v_add_f64 v[28:29], v[28:29], v[16:17]
	v_min3_f32 v73, v32, v33, v73
	v_cvt_f32_f64_e32 v40, v[40:41]
	v_cvt_f32_f64_e32 v42, v[42:43]
	s_delay_alu instid0(VALU_DEP_4) | instskip(SKIP_1) | instid1(VALU_DEP_3)
	v_cvt_f32_f64_e32 v28, v[28:29]
	v_cvt_f32_f64_e32 v29, v[30:31]
	v_min3_f32 v80, v42, v40, v80
	v_add_f64 v[40:41], v[26:27], v[38:39]
	v_add_f64 v[42:43], v[24:25], v[36:37]
	v_add_f64 v[26:27], v[26:27], v[18:19]
	v_add_f64 v[24:25], v[24:25], v[16:17]
	v_min3_f32 v72, v28, v29, v72
	v_cvt_f32_f64_e32 v40, v[40:41]
	v_cvt_f32_f64_e32 v42, v[42:43]
	s_delay_alu instid0(VALU_DEP_4) | instskip(SKIP_1) | instid1(VALU_DEP_3)
	v_cvt_f32_f64_e32 v24, v[24:25]
	;; [unrolled: 11-line block ×5, first 2 shown]
	v_cvt_f32_f64_e32 v9, v[10:11]
	v_min3_f32 v76, v42, v40, v76
	v_add_f64 v[40:41], v[6:7], v[38:39]
	v_add_f64 v[42:43], v[4:5], v[36:37]
	;; [unrolled: 1-line block ×8, first 2 shown]
	v_min3_f32 v68, v8, v9, v68
	v_cvt_f32_f64_e32 v40, v[40:41]
	v_cvt_f32_f64_e32 v42, v[42:43]
	;; [unrolled: 1-line block ×8, first 2 shown]
	v_min3_f32 v75, v42, v40, v75
	v_min3_f32 v74, v36, v37, v74
	;; [unrolled: 1-line block ×3, first 2 shown]
	s_delay_alu instid0(VALU_DEP_4)
	v_min3_f32 v66, v0, v1, v66
	s_cbranch_vccz .LBB173_59
; %bb.60:                               ;   in Loop: Header=BB173_36 Depth=1
	s_add_i32 s29, s29, 8
	s_add_i32 s34, s34, 8
	s_cmp_ge_i32 s29, s28
	ds_store_b64 v64, v[54:55]
	ds_store_2addr_stride64_b64 v65, v[56:57], v[58:59] offset1:4
	ds_store_2addr_stride64_b64 v65, v[60:61], v[62:63] offset0:8 offset1:12
	s_waitcnt lgkmcnt(0)
	s_barrier
	buffer_gl0_inv
	s_cbranch_scc0 .LBB173_36
.LBB173_61:
	s_mov_b32 s3, 0
	s_mov_b32 s2, -1
.LBB173_62:                             ; =>This Inner Loop Header: Depth=1
	s_lshl_b32 s3, s3, 3
	s_and_not1_b32 vcc_lo, exec_lo, s2
	v_lshl_add_u32 v0, v120, 5, s3
	v_lshl_add_u32 v16, v121, 5, s3
	s_mov_b32 s3, 2
	s_mov_b32 s2, 0
	ds_load_b128 v[32:35], v0 offset:18432
	ds_load_b128 v[28:31], v0 offset:18688
	;; [unrolled: 1-line block ×16, first 2 shown]
	s_waitcnt lgkmcnt(7)
	v_add_f64 v[64:65], v[34:35], v[54:55]
	v_add_f64 v[132:133], v[32:33], v[52:53]
	s_delay_alu instid0(VALU_DEP_2) | instskip(NEXT) | instid1(VALU_DEP_2)
	v_cvt_f32_f64_e32 v64, v[64:65]
	v_cvt_f32_f64_e32 v132, v[132:133]
	s_delay_alu instid0(VALU_DEP_1) | instskip(SKIP_2) | instid1(VALU_DEP_2)
	v_min3_f32 v131, v132, v64, v131
	v_add_f64 v[64:65], v[30:31], v[54:55]
	v_add_f64 v[132:133], v[28:29], v[52:53]
	v_cvt_f32_f64_e32 v64, v[64:65]
	s_delay_alu instid0(VALU_DEP_2) | instskip(NEXT) | instid1(VALU_DEP_1)
	v_cvt_f32_f64_e32 v132, v[132:133]
	v_min3_f32 v130, v132, v64, v130
	v_add_f64 v[64:65], v[26:27], v[54:55]
	v_add_f64 v[132:133], v[24:25], v[52:53]
	s_delay_alu instid0(VALU_DEP_2) | instskip(NEXT) | instid1(VALU_DEP_2)
	v_cvt_f32_f64_e32 v64, v[64:65]
	v_cvt_f32_f64_e32 v132, v[132:133]
	s_delay_alu instid0(VALU_DEP_1) | instskip(SKIP_2) | instid1(VALU_DEP_2)
	v_min3_f32 v129, v132, v64, v129
	v_add_f64 v[64:65], v[22:23], v[54:55]
	v_add_f64 v[132:133], v[20:21], v[52:53]
	v_cvt_f32_f64_e32 v64, v[64:65]
	s_delay_alu instid0(VALU_DEP_2) | instskip(NEXT) | instid1(VALU_DEP_1)
	v_cvt_f32_f64_e32 v132, v[132:133]
	v_min3_f32 v128, v132, v64, v128
	;; [unrolled: 13-line block ×3, first 2 shown]
	v_add_f64 v[64:65], v[6:7], v[54:55]
	v_add_f64 v[132:133], v[4:5], v[52:53]
	;; [unrolled: 1-line block ×4, first 2 shown]
	s_delay_alu instid0(VALU_DEP_4) | instskip(NEXT) | instid1(VALU_DEP_4)
	v_cvt_f32_f64_e32 v64, v[64:65]
	v_cvt_f32_f64_e32 v132, v[132:133]
	s_delay_alu instid0(VALU_DEP_3) | instskip(SKIP_3) | instid1(VALU_DEP_4)
	v_cvt_f32_f64_e32 v52, v[52:53]
	v_cvt_f32_f64_e32 v53, v[54:55]
	s_waitcnt lgkmcnt(6)
	v_add_f64 v[54:55], v[32:33], v[56:57]
	v_min3_f32 v125, v132, v64, v125
	s_delay_alu instid0(VALU_DEP_3) | instskip(SKIP_1) | instid1(VALU_DEP_4)
	v_min3_f32 v124, v52, v53, v124
	v_add_f64 v[52:53], v[34:35], v[58:59]
	v_cvt_f32_f64_e32 v54, v[54:55]
	s_delay_alu instid0(VALU_DEP_2) | instskip(NEXT) | instid1(VALU_DEP_1)
	v_cvt_f32_f64_e32 v52, v[52:53]
	v_min3_f32 v123, v54, v52, v123
	v_add_f64 v[52:53], v[30:31], v[58:59]
	v_add_f64 v[54:55], v[28:29], v[56:57]
	s_delay_alu instid0(VALU_DEP_2) | instskip(NEXT) | instid1(VALU_DEP_2)
	v_cvt_f32_f64_e32 v52, v[52:53]
	v_cvt_f32_f64_e32 v54, v[54:55]
	s_delay_alu instid0(VALU_DEP_1) | instskip(SKIP_2) | instid1(VALU_DEP_2)
	v_min3_f32 v122, v54, v52, v122
	v_add_f64 v[52:53], v[26:27], v[58:59]
	v_add_f64 v[54:55], v[24:25], v[56:57]
	v_cvt_f32_f64_e32 v52, v[52:53]
	s_delay_alu instid0(VALU_DEP_2) | instskip(NEXT) | instid1(VALU_DEP_1)
	v_cvt_f32_f64_e32 v54, v[54:55]
	v_min3_f32 v119, v54, v52, v119
	v_add_f64 v[52:53], v[22:23], v[58:59]
	v_add_f64 v[54:55], v[20:21], v[56:57]
	s_delay_alu instid0(VALU_DEP_2) | instskip(NEXT) | instid1(VALU_DEP_2)
	v_cvt_f32_f64_e32 v52, v[52:53]
	v_cvt_f32_f64_e32 v54, v[54:55]
	s_delay_alu instid0(VALU_DEP_1) | instskip(SKIP_2) | instid1(VALU_DEP_2)
	v_min3_f32 v118, v54, v52, v118
	v_add_f64 v[52:53], v[14:15], v[58:59]
	;; [unrolled: 13-line block ×3, first 2 shown]
	v_add_f64 v[54:55], v[4:5], v[56:57]
	v_cvt_f32_f64_e32 v52, v[52:53]
	s_delay_alu instid0(VALU_DEP_2) | instskip(NEXT) | instid1(VALU_DEP_1)
	v_cvt_f32_f64_e32 v54, v[54:55]
	v_min3_f32 v115, v54, v52, v115
	v_add_f64 v[52:53], v[2:3], v[58:59]
	v_add_f64 v[54:55], v[0:1], v[56:57]
	s_delay_alu instid0(VALU_DEP_2) | instskip(NEXT) | instid1(VALU_DEP_2)
	v_cvt_f32_f64_e32 v52, v[52:53]
	v_cvt_f32_f64_e32 v54, v[54:55]
	s_delay_alu instid0(VALU_DEP_1) | instskip(SKIP_3) | instid1(VALU_DEP_2)
	v_min3_f32 v114, v54, v52, v114
	s_waitcnt lgkmcnt(5)
	v_add_f64 v[52:53], v[34:35], v[62:63]
	v_add_f64 v[54:55], v[32:33], v[60:61]
	v_cvt_f32_f64_e32 v52, v[52:53]
	s_delay_alu instid0(VALU_DEP_2) | instskip(NEXT) | instid1(VALU_DEP_1)
	v_cvt_f32_f64_e32 v54, v[54:55]
	v_min3_f32 v113, v54, v52, v113
	v_add_f64 v[52:53], v[30:31], v[62:63]
	v_add_f64 v[54:55], v[28:29], v[60:61]
	s_delay_alu instid0(VALU_DEP_2) | instskip(NEXT) | instid1(VALU_DEP_2)
	v_cvt_f32_f64_e32 v52, v[52:53]
	v_cvt_f32_f64_e32 v54, v[54:55]
	s_delay_alu instid0(VALU_DEP_1) | instskip(SKIP_2) | instid1(VALU_DEP_2)
	v_min3_f32 v112, v54, v52, v112
	v_add_f64 v[52:53], v[26:27], v[62:63]
	v_add_f64 v[54:55], v[24:25], v[60:61]
	v_cvt_f32_f64_e32 v52, v[52:53]
	s_delay_alu instid0(VALU_DEP_2) | instskip(NEXT) | instid1(VALU_DEP_1)
	v_cvt_f32_f64_e32 v54, v[54:55]
	v_min3_f32 v111, v54, v52, v111
	v_add_f64 v[52:53], v[22:23], v[62:63]
	v_add_f64 v[54:55], v[20:21], v[60:61]
	s_delay_alu instid0(VALU_DEP_2) | instskip(NEXT) | instid1(VALU_DEP_2)
	v_cvt_f32_f64_e32 v52, v[52:53]
	v_cvt_f32_f64_e32 v54, v[54:55]
	s_delay_alu instid0(VALU_DEP_1) | instskip(SKIP_2) | instid1(VALU_DEP_2)
	v_min3_f32 v110, v54, v52, v110
	v_add_f64 v[52:53], v[14:15], v[62:63]
	v_add_f64 v[54:55], v[12:13], v[60:61]
	v_cvt_f32_f64_e32 v52, v[52:53]
	s_delay_alu instid0(VALU_DEP_2) | instskip(NEXT) | instid1(VALU_DEP_1)
	v_cvt_f32_f64_e32 v54, v[54:55]
	v_min3_f32 v109, v54, v52, v109
	v_add_f64 v[52:53], v[10:11], v[62:63]
	v_add_f64 v[54:55], v[8:9], v[60:61]
	s_delay_alu instid0(VALU_DEP_2) | instskip(NEXT) | instid1(VALU_DEP_2)
	v_cvt_f32_f64_e32 v52, v[52:53]
	v_cvt_f32_f64_e32 v54, v[54:55]
	s_delay_alu instid0(VALU_DEP_1) | instskip(SKIP_2) | instid1(VALU_DEP_2)
	v_min3_f32 v108, v54, v52, v108
	v_add_f64 v[52:53], v[6:7], v[62:63]
	v_add_f64 v[54:55], v[4:5], v[60:61]
	v_cvt_f32_f64_e32 v52, v[52:53]
	s_delay_alu instid0(VALU_DEP_2) | instskip(NEXT) | instid1(VALU_DEP_1)
	v_cvt_f32_f64_e32 v54, v[54:55]
	v_min3_f32 v107, v54, v52, v107
	v_add_f64 v[52:53], v[2:3], v[62:63]
	v_add_f64 v[54:55], v[0:1], v[60:61]
	s_delay_alu instid0(VALU_DEP_2) | instskip(NEXT) | instid1(VALU_DEP_2)
	v_cvt_f32_f64_e32 v52, v[52:53]
	v_cvt_f32_f64_e32 v54, v[54:55]
	s_delay_alu instid0(VALU_DEP_1) | instskip(SKIP_3) | instid1(VALU_DEP_2)
	v_min3_f32 v106, v54, v52, v106
	s_waitcnt lgkmcnt(4)
	v_add_f64 v[52:53], v[34:35], v[50:51]
	v_add_f64 v[54:55], v[32:33], v[48:49]
	v_cvt_f32_f64_e32 v52, v[52:53]
	s_delay_alu instid0(VALU_DEP_2) | instskip(NEXT) | instid1(VALU_DEP_1)
	v_cvt_f32_f64_e32 v54, v[54:55]
	v_min3_f32 v105, v54, v52, v105
	v_add_f64 v[52:53], v[30:31], v[50:51]
	v_add_f64 v[54:55], v[28:29], v[48:49]
	s_delay_alu instid0(VALU_DEP_2) | instskip(NEXT) | instid1(VALU_DEP_2)
	v_cvt_f32_f64_e32 v52, v[52:53]
	v_cvt_f32_f64_e32 v54, v[54:55]
	s_delay_alu instid0(VALU_DEP_1) | instskip(SKIP_2) | instid1(VALU_DEP_2)
	v_min3_f32 v104, v54, v52, v104
	v_add_f64 v[52:53], v[26:27], v[50:51]
	v_add_f64 v[54:55], v[24:25], v[48:49]
	v_cvt_f32_f64_e32 v52, v[52:53]
	s_delay_alu instid0(VALU_DEP_2) | instskip(NEXT) | instid1(VALU_DEP_1)
	v_cvt_f32_f64_e32 v54, v[54:55]
	v_min3_f32 v103, v54, v52, v103
	v_add_f64 v[52:53], v[22:23], v[50:51]
	v_add_f64 v[54:55], v[20:21], v[48:49]
	s_delay_alu instid0(VALU_DEP_2) | instskip(NEXT) | instid1(VALU_DEP_2)
	v_cvt_f32_f64_e32 v52, v[52:53]
	v_cvt_f32_f64_e32 v54, v[54:55]
	s_delay_alu instid0(VALU_DEP_1) | instskip(SKIP_2) | instid1(VALU_DEP_2)
	v_min3_f32 v102, v54, v52, v102
	v_add_f64 v[52:53], v[14:15], v[50:51]
	v_add_f64 v[54:55], v[12:13], v[48:49]
	v_cvt_f32_f64_e32 v52, v[52:53]
	s_delay_alu instid0(VALU_DEP_2) | instskip(NEXT) | instid1(VALU_DEP_1)
	v_cvt_f32_f64_e32 v54, v[54:55]
	v_min3_f32 v101, v54, v52, v101
	v_add_f64 v[52:53], v[10:11], v[50:51]
	v_add_f64 v[54:55], v[8:9], v[48:49]
	s_delay_alu instid0(VALU_DEP_2) | instskip(NEXT) | instid1(VALU_DEP_2)
	v_cvt_f32_f64_e32 v52, v[52:53]
	v_cvt_f32_f64_e32 v54, v[54:55]
	s_delay_alu instid0(VALU_DEP_1) | instskip(SKIP_4) | instid1(VALU_DEP_4)
	v_min3_f32 v100, v54, v52, v100
	v_add_f64 v[52:53], v[6:7], v[50:51]
	v_add_f64 v[54:55], v[4:5], v[48:49]
	;; [unrolled: 1-line block ×4, first 2 shown]
	v_cvt_f32_f64_e32 v52, v[52:53]
	s_delay_alu instid0(VALU_DEP_4) | instskip(NEXT) | instid1(VALU_DEP_3)
	v_cvt_f32_f64_e32 v54, v[54:55]
	v_cvt_f32_f64_e32 v48, v[48:49]
	v_cvt_f32_f64_e32 v49, v[50:51]
	s_waitcnt lgkmcnt(3)
	v_add_f64 v[50:51], v[32:33], v[44:45]
	s_delay_alu instid0(VALU_DEP_4) | instskip(NEXT) | instid1(VALU_DEP_3)
	v_min3_f32 v99, v54, v52, v99
	v_min3_f32 v98, v48, v49, v98
	v_add_f64 v[48:49], v[34:35], v[46:47]
	s_delay_alu instid0(VALU_DEP_4) | instskip(NEXT) | instid1(VALU_DEP_2)
	v_cvt_f32_f64_e32 v50, v[50:51]
	v_cvt_f32_f64_e32 v48, v[48:49]
	s_delay_alu instid0(VALU_DEP_1) | instskip(SKIP_2) | instid1(VALU_DEP_2)
	v_min3_f32 v97, v50, v48, v97
	v_add_f64 v[48:49], v[30:31], v[46:47]
	v_add_f64 v[50:51], v[28:29], v[44:45]
	v_cvt_f32_f64_e32 v48, v[48:49]
	s_delay_alu instid0(VALU_DEP_2) | instskip(NEXT) | instid1(VALU_DEP_1)
	v_cvt_f32_f64_e32 v50, v[50:51]
	v_min3_f32 v96, v50, v48, v96
	v_add_f64 v[48:49], v[26:27], v[46:47]
	v_add_f64 v[50:51], v[24:25], v[44:45]
	s_delay_alu instid0(VALU_DEP_2) | instskip(NEXT) | instid1(VALU_DEP_2)
	v_cvt_f32_f64_e32 v48, v[48:49]
	v_cvt_f32_f64_e32 v50, v[50:51]
	s_delay_alu instid0(VALU_DEP_1) | instskip(SKIP_2) | instid1(VALU_DEP_2)
	v_min3_f32 v95, v50, v48, v95
	v_add_f64 v[48:49], v[22:23], v[46:47]
	v_add_f64 v[50:51], v[20:21], v[44:45]
	v_cvt_f32_f64_e32 v48, v[48:49]
	s_delay_alu instid0(VALU_DEP_2) | instskip(NEXT) | instid1(VALU_DEP_1)
	v_cvt_f32_f64_e32 v50, v[50:51]
	v_min3_f32 v94, v50, v48, v94
	v_add_f64 v[48:49], v[14:15], v[46:47]
	v_add_f64 v[50:51], v[12:13], v[44:45]
	s_delay_alu instid0(VALU_DEP_2) | instskip(NEXT) | instid1(VALU_DEP_2)
	v_cvt_f32_f64_e32 v48, v[48:49]
	v_cvt_f32_f64_e32 v50, v[50:51]
	s_delay_alu instid0(VALU_DEP_1) | instskip(SKIP_2) | instid1(VALU_DEP_2)
	v_min3_f32 v93, v50, v48, v93
	v_add_f64 v[48:49], v[10:11], v[46:47]
	v_add_f64 v[50:51], v[8:9], v[44:45]
	v_cvt_f32_f64_e32 v48, v[48:49]
	s_delay_alu instid0(VALU_DEP_2) | instskip(NEXT) | instid1(VALU_DEP_1)
	v_cvt_f32_f64_e32 v50, v[50:51]
	v_min3_f32 v92, v50, v48, v92
	v_add_f64 v[48:49], v[6:7], v[46:47]
	v_add_f64 v[50:51], v[4:5], v[44:45]
	;; [unrolled: 1-line block ×4, first 2 shown]
	s_delay_alu instid0(VALU_DEP_4) | instskip(NEXT) | instid1(VALU_DEP_4)
	v_cvt_f32_f64_e32 v48, v[48:49]
	v_cvt_f32_f64_e32 v50, v[50:51]
	s_delay_alu instid0(VALU_DEP_3) | instskip(SKIP_3) | instid1(VALU_DEP_4)
	v_cvt_f32_f64_e32 v44, v[44:45]
	v_cvt_f32_f64_e32 v45, v[46:47]
	s_waitcnt lgkmcnt(2)
	v_add_f64 v[46:47], v[32:33], v[40:41]
	v_min3_f32 v91, v50, v48, v91
	s_delay_alu instid0(VALU_DEP_3) | instskip(SKIP_1) | instid1(VALU_DEP_4)
	v_min3_f32 v90, v44, v45, v90
	v_add_f64 v[44:45], v[34:35], v[42:43]
	v_cvt_f32_f64_e32 v46, v[46:47]
	s_delay_alu instid0(VALU_DEP_2) | instskip(NEXT) | instid1(VALU_DEP_1)
	v_cvt_f32_f64_e32 v44, v[44:45]
	v_min3_f32 v89, v46, v44, v89
	v_add_f64 v[44:45], v[30:31], v[42:43]
	v_add_f64 v[46:47], v[28:29], v[40:41]
	s_delay_alu instid0(VALU_DEP_2) | instskip(NEXT) | instid1(VALU_DEP_2)
	v_cvt_f32_f64_e32 v44, v[44:45]
	v_cvt_f32_f64_e32 v46, v[46:47]
	s_delay_alu instid0(VALU_DEP_1) | instskip(SKIP_2) | instid1(VALU_DEP_2)
	v_min3_f32 v88, v46, v44, v88
	v_add_f64 v[44:45], v[26:27], v[42:43]
	v_add_f64 v[46:47], v[24:25], v[40:41]
	v_cvt_f32_f64_e32 v44, v[44:45]
	s_delay_alu instid0(VALU_DEP_2) | instskip(NEXT) | instid1(VALU_DEP_1)
	v_cvt_f32_f64_e32 v46, v[46:47]
	v_min3_f32 v87, v46, v44, v87
	v_add_f64 v[44:45], v[22:23], v[42:43]
	v_add_f64 v[46:47], v[20:21], v[40:41]
	s_delay_alu instid0(VALU_DEP_2) | instskip(NEXT) | instid1(VALU_DEP_2)
	v_cvt_f32_f64_e32 v44, v[44:45]
	v_cvt_f32_f64_e32 v46, v[46:47]
	s_delay_alu instid0(VALU_DEP_1) | instskip(SKIP_2) | instid1(VALU_DEP_2)
	v_min3_f32 v86, v46, v44, v86
	v_add_f64 v[44:45], v[14:15], v[42:43]
	v_add_f64 v[46:47], v[12:13], v[40:41]
	v_cvt_f32_f64_e32 v44, v[44:45]
	s_delay_alu instid0(VALU_DEP_2) | instskip(NEXT) | instid1(VALU_DEP_1)
	v_cvt_f32_f64_e32 v46, v[46:47]
	v_min3_f32 v85, v46, v44, v85
	v_add_f64 v[44:45], v[10:11], v[42:43]
	v_add_f64 v[46:47], v[8:9], v[40:41]
	s_delay_alu instid0(VALU_DEP_2) | instskip(NEXT) | instid1(VALU_DEP_2)
	v_cvt_f32_f64_e32 v44, v[44:45]
	v_cvt_f32_f64_e32 v46, v[46:47]
	s_delay_alu instid0(VALU_DEP_1) | instskip(SKIP_4) | instid1(VALU_DEP_4)
	v_min3_f32 v84, v46, v44, v84
	v_add_f64 v[44:45], v[6:7], v[42:43]
	v_add_f64 v[46:47], v[4:5], v[40:41]
	;; [unrolled: 1-line block ×4, first 2 shown]
	v_cvt_f32_f64_e32 v44, v[44:45]
	s_delay_alu instid0(VALU_DEP_4) | instskip(NEXT) | instid1(VALU_DEP_3)
	v_cvt_f32_f64_e32 v46, v[46:47]
	v_cvt_f32_f64_e32 v40, v[40:41]
	;; [unrolled: 1-line block ×3, first 2 shown]
	s_waitcnt lgkmcnt(1)
	v_add_f64 v[42:43], v[32:33], v[36:37]
	s_waitcnt lgkmcnt(0)
	v_add_f64 v[32:33], v[32:33], v[16:17]
	v_min3_f32 v83, v46, v44, v83
	s_delay_alu instid0(VALU_DEP_4) | instskip(SKIP_4) | instid1(VALU_DEP_4)
	v_min3_f32 v82, v40, v41, v82
	v_add_f64 v[40:41], v[34:35], v[38:39]
	v_cvt_f32_f64_e32 v42, v[42:43]
	v_add_f64 v[34:35], v[34:35], v[18:19]
	v_cvt_f32_f64_e32 v32, v[32:33]
	v_cvt_f32_f64_e32 v40, v[40:41]
	s_delay_alu instid0(VALU_DEP_3) | instskip(NEXT) | instid1(VALU_DEP_2)
	v_cvt_f32_f64_e32 v33, v[34:35]
	v_min3_f32 v81, v42, v40, v81
	v_add_f64 v[40:41], v[30:31], v[38:39]
	v_add_f64 v[42:43], v[28:29], v[36:37]
	v_add_f64 v[30:31], v[30:31], v[18:19]
	v_add_f64 v[28:29], v[28:29], v[16:17]
	v_min3_f32 v73, v32, v33, v73
	v_cvt_f32_f64_e32 v40, v[40:41]
	v_cvt_f32_f64_e32 v42, v[42:43]
	s_delay_alu instid0(VALU_DEP_4) | instskip(SKIP_1) | instid1(VALU_DEP_3)
	v_cvt_f32_f64_e32 v28, v[28:29]
	v_cvt_f32_f64_e32 v29, v[30:31]
	v_min3_f32 v80, v42, v40, v80
	v_add_f64 v[40:41], v[26:27], v[38:39]
	v_add_f64 v[42:43], v[24:25], v[36:37]
	v_add_f64 v[26:27], v[26:27], v[18:19]
	v_add_f64 v[24:25], v[24:25], v[16:17]
	v_min3_f32 v72, v28, v29, v72
	v_cvt_f32_f64_e32 v40, v[40:41]
	v_cvt_f32_f64_e32 v42, v[42:43]
	s_delay_alu instid0(VALU_DEP_4) | instskip(SKIP_1) | instid1(VALU_DEP_3)
	v_cvt_f32_f64_e32 v24, v[24:25]
	;; [unrolled: 11-line block ×5, first 2 shown]
	v_cvt_f32_f64_e32 v9, v[10:11]
	v_min3_f32 v76, v42, v40, v76
	v_add_f64 v[40:41], v[6:7], v[38:39]
	v_add_f64 v[42:43], v[4:5], v[36:37]
	v_add_f64 v[38:39], v[2:3], v[38:39]
	v_add_f64 v[36:37], v[0:1], v[36:37]
	v_add_f64 v[6:7], v[6:7], v[18:19]
	v_add_f64 v[4:5], v[4:5], v[16:17]
	v_add_f64 v[2:3], v[2:3], v[18:19]
	v_add_f64 v[0:1], v[0:1], v[16:17]
	v_min3_f32 v68, v8, v9, v68
	v_cvt_f32_f64_e32 v40, v[40:41]
	v_cvt_f32_f64_e32 v42, v[42:43]
	v_cvt_f32_f64_e32 v36, v[36:37]
	v_cvt_f32_f64_e32 v37, v[38:39]
	v_cvt_f32_f64_e32 v4, v[4:5]
	v_cvt_f32_f64_e32 v5, v[6:7]
	v_cvt_f32_f64_e32 v0, v[0:1]
	v_cvt_f32_f64_e32 v1, v[2:3]
	v_min3_f32 v75, v42, v40, v75
	v_min3_f32 v74, v36, v37, v74
	;; [unrolled: 1-line block ×3, first 2 shown]
	s_delay_alu instid0(VALU_DEP_4)
	v_min3_f32 v66, v0, v1, v66
	s_cbranch_vccz .LBB173_62
; %bb.63:
	s_clause 0x2
	s_load_b64 s[2:3], s[0:1], 0x78
	s_load_b32 s18, s[0:1], 0x58
	s_load_b32 s9, s[0:1], 0x70
	v_add_nc_u32_e32 v19, s19, v121
	v_add_nc_u32_e32 v0, s14, v120
	v_cndmask_b32_e64 v18, 0, 1, s27
	s_delay_alu instid0(VALU_DEP_3) | instskip(NEXT) | instid1(VALU_DEP_3)
	v_cmp_gt_i32_e64 s8, s17, v19
	v_cmp_gt_i32_e64 s0, s16, v0
	v_ashrrev_i32_e32 v1, 31, v0
	s_waitcnt lgkmcnt(0)
	s_mul_i32 s1, s15, s3
	v_mad_i64_i32 v[2:3], null, v19, s18, 0
	v_mad_i64_i32 v[4:5], null, v19, s9, 0
	s_mul_hi_u32 s3, s15, s2
	s_mul_i32 s4, s26, s2
	s_add_i32 s1, s3, s1
	s_mul_i32 s2, s15, s2
	s_delay_alu instid0(VALU_DEP_2) | instskip(SKIP_1) | instid1(VALU_DEP_2)
	v_lshlrev_b64 v[2:3], 3, v[2:3]
	s_add_i32 s3, s1, s4
	v_lshlrev_b64 v[4:5], 3, v[4:5]
	s_lshl_b64 s[2:3], s[2:3], 3
	s_delay_alu instid0(SALU_CYCLE_1) | instskip(NEXT) | instid1(VALU_DEP_2)
	s_add_u32 s14, s22, s2
	v_add_co_u32 v16, vcc_lo, s12, v2
	v_add_co_ci_u32_e32 v17, vcc_lo, s13, v3, vcc_lo
	s_addc_u32 s15, s23, s3
	v_add_co_u32 v20, vcc_lo, s14, v4
	v_add_co_ci_u32_e32 v21, vcc_lo, s15, v5, vcc_lo
	s_and_b32 s2, s0, s8
	s_delay_alu instid0(SALU_CYCLE_1)
	s_and_saveexec_b32 s1, s2
	s_cbranch_execz .LBB173_68
; %bb.64:
	s_and_not1_b32 vcc_lo, exec_lo, s27
	s_cbranch_vccnz .LBB173_66
; %bb.65:
	v_lshlrev_b64 v[2:3], 3, v[0:1]
	s_delay_alu instid0(VALU_DEP_1) | instskip(NEXT) | instid1(VALU_DEP_2)
	v_add_co_u32 v2, vcc_lo, v16, v2
	v_add_co_ci_u32_e32 v3, vcc_lo, v17, v3, vcc_lo
	flat_load_b64 v[2:3], v[2:3]
	s_waitcnt vmcnt(0) lgkmcnt(0)
	v_mul_f64 v[2:3], v[2:3], s[10:11]
	s_branch .LBB173_67
.LBB173_66:
	v_mov_b32_e32 v2, 0
	v_mov_b32_e32 v3, 0
.LBB173_67:
	s_delay_alu instid0(VALU_DEP_1) | instskip(SKIP_2) | instid1(VALU_DEP_1)
	v_cvt_f32_f64_e32 v2, v[2:3]
	v_max_f32_e32 v3, v131, v131
	v_lshlrev_b64 v[4:5], 3, v[0:1]
	v_add_co_u32 v4, vcc_lo, v20, v4
	s_delay_alu instid0(VALU_DEP_2) | instskip(NEXT) | instid1(VALU_DEP_4)
	v_add_co_ci_u32_e32 v5, vcc_lo, v21, v5, vcc_lo
	v_min_f32_e32 v2, v2, v3
	s_delay_alu instid0(VALU_DEP_1)
	v_cvt_f64_f32_e32 v[2:3], v2
	global_store_b64 v[4:5], v[2:3], off
.LBB173_68:
	s_or_b32 exec_lo, exec_lo, s1
	v_add_nc_u32_e32 v2, 8, v0
	s_delay_alu instid0(VALU_DEP_1) | instskip(SKIP_1) | instid1(VALU_DEP_2)
	v_cmp_gt_i32_e64 s1, s16, v2
	v_ashrrev_i32_e32 v3, 31, v2
	s_and_b32 s3, s1, s8
	s_delay_alu instid0(SALU_CYCLE_1)
	s_and_saveexec_b32 s2, s3
	s_cbranch_execz .LBB173_73
; %bb.69:
	v_cmp_ne_u32_e32 vcc_lo, 1, v18
	s_cbranch_vccnz .LBB173_71
; %bb.70:
	v_lshlrev_b64 v[4:5], 3, v[2:3]
	s_delay_alu instid0(VALU_DEP_1) | instskip(NEXT) | instid1(VALU_DEP_2)
	v_add_co_u32 v4, vcc_lo, v16, v4
	v_add_co_ci_u32_e32 v5, vcc_lo, v17, v5, vcc_lo
	flat_load_b64 v[4:5], v[4:5]
	s_waitcnt vmcnt(0) lgkmcnt(0)
	v_mul_f64 v[4:5], v[4:5], s[10:11]
	s_branch .LBB173_72
.LBB173_71:
	v_mov_b32_e32 v4, 0
	v_mov_b32_e32 v5, 0
.LBB173_72:
	s_delay_alu instid0(VALU_DEP_1) | instskip(SKIP_2) | instid1(VALU_DEP_1)
	v_cvt_f32_f64_e32 v4, v[4:5]
	v_max_f32_e32 v5, v130, v130
	v_lshlrev_b64 v[6:7], 3, v[2:3]
	v_add_co_u32 v6, vcc_lo, v20, v6
	s_delay_alu instid0(VALU_DEP_2) | instskip(NEXT) | instid1(VALU_DEP_4)
	v_add_co_ci_u32_e32 v7, vcc_lo, v21, v7, vcc_lo
	v_min_f32_e32 v4, v4, v5
	s_delay_alu instid0(VALU_DEP_1)
	v_cvt_f64_f32_e32 v[4:5], v4
	global_store_b64 v[6:7], v[4:5], off
.LBB173_73:
	s_or_b32 exec_lo, exec_lo, s2
	v_add_nc_u32_e32 v4, 16, v0
	s_delay_alu instid0(VALU_DEP_1) | instskip(SKIP_1) | instid1(VALU_DEP_2)
	v_cmp_gt_i32_e64 s2, s16, v4
	v_ashrrev_i32_e32 v5, 31, v4
	s_and_b32 s4, s2, s8
	s_delay_alu instid0(SALU_CYCLE_1)
	s_and_saveexec_b32 s3, s4
	s_cbranch_execz .LBB173_78
; %bb.74:
	v_cmp_ne_u32_e32 vcc_lo, 1, v18
	s_cbranch_vccnz .LBB173_76
; %bb.75:
	v_lshlrev_b64 v[6:7], 3, v[4:5]
	s_delay_alu instid0(VALU_DEP_1) | instskip(NEXT) | instid1(VALU_DEP_2)
	v_add_co_u32 v6, vcc_lo, v16, v6
	v_add_co_ci_u32_e32 v7, vcc_lo, v17, v7, vcc_lo
	flat_load_b64 v[6:7], v[6:7]
	s_waitcnt vmcnt(0) lgkmcnt(0)
	v_mul_f64 v[6:7], v[6:7], s[10:11]
	s_branch .LBB173_77
.LBB173_76:
	v_mov_b32_e32 v6, 0
	v_mov_b32_e32 v7, 0
.LBB173_77:
	s_delay_alu instid0(VALU_DEP_1) | instskip(SKIP_2) | instid1(VALU_DEP_1)
	v_cvt_f32_f64_e32 v6, v[6:7]
	v_max_f32_e32 v7, v129, v129
	v_lshlrev_b64 v[8:9], 3, v[4:5]
	v_add_co_u32 v8, vcc_lo, v20, v8
	s_delay_alu instid0(VALU_DEP_2) | instskip(NEXT) | instid1(VALU_DEP_4)
	v_add_co_ci_u32_e32 v9, vcc_lo, v21, v9, vcc_lo
	v_min_f32_e32 v6, v6, v7
	s_delay_alu instid0(VALU_DEP_1)
	v_cvt_f64_f32_e32 v[6:7], v6
	global_store_b64 v[8:9], v[6:7], off
.LBB173_78:
	;; [unrolled: 37-line block ×7, first 2 shown]
	s_or_b32 exec_lo, exec_lo, s8
	v_add_nc_u32_e32 v22, 32, v19
	s_delay_alu instid0(VALU_DEP_1) | instskip(SKIP_2) | instid1(VALU_DEP_3)
	v_mad_i64_i32 v[16:17], null, v22, s18, 0
	v_mad_i64_i32 v[20:21], null, v22, s9, 0
	v_cmp_gt_i32_e64 s8, s17, v22
	v_lshlrev_b64 v[16:17], 3, v[16:17]
	s_delay_alu instid0(VALU_DEP_2) | instskip(NEXT) | instid1(VALU_DEP_3)
	s_and_b32 s19, s0, s8
	v_lshlrev_b64 v[20:21], 3, v[20:21]
	s_delay_alu instid0(VALU_DEP_2) | instskip(NEXT) | instid1(VALU_DEP_3)
	v_add_co_u32 v22, vcc_lo, s12, v16
	v_add_co_ci_u32_e32 v23, vcc_lo, s13, v17, vcc_lo
	s_delay_alu instid0(VALU_DEP_3) | instskip(NEXT) | instid1(VALU_DEP_4)
	v_add_co_u32 v20, vcc_lo, s14, v20
	v_add_co_ci_u32_e32 v21, vcc_lo, s15, v21, vcc_lo
	s_and_saveexec_b32 s16, s19
	s_cbranch_execnz .LBB173_111
; %bb.104:
	s_or_b32 exec_lo, exec_lo, s16
	s_and_b32 s19, s1, s8
	s_delay_alu instid0(SALU_CYCLE_1)
	s_and_saveexec_b32 s16, s19
	s_cbranch_execnz .LBB173_115
.LBB173_105:
	s_or_b32 exec_lo, exec_lo, s16
	s_and_b32 s19, s2, s8
	s_delay_alu instid0(SALU_CYCLE_1)
	s_and_saveexec_b32 s16, s19
	s_cbranch_execnz .LBB173_119
.LBB173_106:
	s_or_b32 exec_lo, exec_lo, s16
	s_and_b32 s19, s3, s8
	s_delay_alu instid0(SALU_CYCLE_1)
	s_and_saveexec_b32 s16, s19
	s_cbranch_execnz .LBB173_123
.LBB173_107:
	s_or_b32 exec_lo, exec_lo, s16
	s_and_b32 s19, s4, s8
	s_delay_alu instid0(SALU_CYCLE_1)
	s_and_saveexec_b32 s16, s19
	s_cbranch_execnz .LBB173_127
.LBB173_108:
	s_or_b32 exec_lo, exec_lo, s16
	s_and_b32 s19, s5, s8
	s_delay_alu instid0(SALU_CYCLE_1)
	s_and_saveexec_b32 s16, s19
	s_cbranch_execnz .LBB173_131
.LBB173_109:
	s_or_b32 exec_lo, exec_lo, s16
	s_and_b32 s19, s6, s8
	s_delay_alu instid0(SALU_CYCLE_1)
	s_and_saveexec_b32 s16, s19
	s_cbranch_execnz .LBB173_135
.LBB173_110:
	s_or_b32 exec_lo, exec_lo, s16
	s_and_b32 s16, s7, s8
	s_delay_alu instid0(SALU_CYCLE_1)
	s_and_saveexec_b32 s8, s16
	s_cbranch_execnz .LBB173_139
	s_branch .LBB173_143
.LBB173_111:
	v_cmp_ne_u32_e32 vcc_lo, 1, v18
	s_cbranch_vccnz .LBB173_113
; %bb.112:
	v_lshlrev_b64 v[16:17], 3, v[0:1]
	s_delay_alu instid0(VALU_DEP_1) | instskip(NEXT) | instid1(VALU_DEP_2)
	v_add_co_u32 v16, vcc_lo, v22, v16
	v_add_co_ci_u32_e32 v17, vcc_lo, v23, v17, vcc_lo
	flat_load_b64 v[16:17], v[16:17]
	s_waitcnt vmcnt(0) lgkmcnt(0)
	v_mul_f64 v[16:17], v[16:17], s[10:11]
	s_branch .LBB173_114
.LBB173_113:
	v_mov_b32_e32 v16, 0
	v_mov_b32_e32 v17, 0
.LBB173_114:
	s_delay_alu instid0(VALU_DEP_1) | instskip(SKIP_2) | instid1(VALU_DEP_1)
	v_cvt_f32_f64_e32 v16, v[16:17]
	v_max_f32_e32 v17, v123, v123
	v_lshlrev_b64 v[24:25], 3, v[0:1]
	v_add_co_u32 v24, vcc_lo, v20, v24
	s_delay_alu instid0(VALU_DEP_2) | instskip(NEXT) | instid1(VALU_DEP_4)
	v_add_co_ci_u32_e32 v25, vcc_lo, v21, v25, vcc_lo
	v_min_f32_e32 v16, v16, v17
	s_delay_alu instid0(VALU_DEP_1) | instskip(SKIP_3) | instid1(SALU_CYCLE_1)
	v_cvt_f64_f32_e32 v[16:17], v16
	global_store_b64 v[24:25], v[16:17], off
	s_or_b32 exec_lo, exec_lo, s16
	s_and_b32 s19, s1, s8
	s_and_saveexec_b32 s16, s19
	s_cbranch_execz .LBB173_105
.LBB173_115:
	v_cmp_ne_u32_e32 vcc_lo, 1, v18
	s_cbranch_vccnz .LBB173_117
; %bb.116:
	v_lshlrev_b64 v[16:17], 3, v[2:3]
	s_delay_alu instid0(VALU_DEP_1) | instskip(NEXT) | instid1(VALU_DEP_2)
	v_add_co_u32 v16, vcc_lo, v22, v16
	v_add_co_ci_u32_e32 v17, vcc_lo, v23, v17, vcc_lo
	flat_load_b64 v[16:17], v[16:17]
	s_waitcnt vmcnt(0) lgkmcnt(0)
	v_mul_f64 v[16:17], v[16:17], s[10:11]
	s_branch .LBB173_118
.LBB173_117:
	v_mov_b32_e32 v16, 0
	v_mov_b32_e32 v17, 0
.LBB173_118:
	s_delay_alu instid0(VALU_DEP_1) | instskip(SKIP_2) | instid1(VALU_DEP_1)
	v_cvt_f32_f64_e32 v16, v[16:17]
	v_max_f32_e32 v17, v122, v122
	v_lshlrev_b64 v[24:25], 3, v[2:3]
	v_add_co_u32 v24, vcc_lo, v20, v24
	s_delay_alu instid0(VALU_DEP_2) | instskip(NEXT) | instid1(VALU_DEP_4)
	v_add_co_ci_u32_e32 v25, vcc_lo, v21, v25, vcc_lo
	v_min_f32_e32 v16, v16, v17
	s_delay_alu instid0(VALU_DEP_1) | instskip(SKIP_3) | instid1(SALU_CYCLE_1)
	v_cvt_f64_f32_e32 v[16:17], v16
	global_store_b64 v[24:25], v[16:17], off
	s_or_b32 exec_lo, exec_lo, s16
	s_and_b32 s19, s2, s8
	s_and_saveexec_b32 s16, s19
	s_cbranch_execz .LBB173_106
.LBB173_119:
	v_cmp_ne_u32_e32 vcc_lo, 1, v18
	s_cbranch_vccnz .LBB173_121
; %bb.120:
	v_lshlrev_b64 v[16:17], 3, v[4:5]
	s_delay_alu instid0(VALU_DEP_1) | instskip(NEXT) | instid1(VALU_DEP_2)
	v_add_co_u32 v16, vcc_lo, v22, v16
	v_add_co_ci_u32_e32 v17, vcc_lo, v23, v17, vcc_lo
	flat_load_b64 v[16:17], v[16:17]
	s_waitcnt vmcnt(0) lgkmcnt(0)
	v_mul_f64 v[16:17], v[16:17], s[10:11]
	s_branch .LBB173_122
.LBB173_121:
	v_mov_b32_e32 v16, 0
	v_mov_b32_e32 v17, 0
.LBB173_122:
	s_delay_alu instid0(VALU_DEP_1) | instskip(SKIP_2) | instid1(VALU_DEP_1)
	v_cvt_f32_f64_e32 v16, v[16:17]
	v_max_f32_e32 v17, v119, v119
	v_lshlrev_b64 v[24:25], 3, v[4:5]
	v_add_co_u32 v24, vcc_lo, v20, v24
	s_delay_alu instid0(VALU_DEP_2) | instskip(NEXT) | instid1(VALU_DEP_4)
	v_add_co_ci_u32_e32 v25, vcc_lo, v21, v25, vcc_lo
	v_min_f32_e32 v16, v16, v17
	s_delay_alu instid0(VALU_DEP_1) | instskip(SKIP_3) | instid1(SALU_CYCLE_1)
	v_cvt_f64_f32_e32 v[16:17], v16
	global_store_b64 v[24:25], v[16:17], off
	s_or_b32 exec_lo, exec_lo, s16
	s_and_b32 s19, s3, s8
	s_and_saveexec_b32 s16, s19
	s_cbranch_execz .LBB173_107
.LBB173_123:
	v_cmp_ne_u32_e32 vcc_lo, 1, v18
	s_cbranch_vccnz .LBB173_125
; %bb.124:
	v_lshlrev_b64 v[16:17], 3, v[6:7]
	s_delay_alu instid0(VALU_DEP_1) | instskip(NEXT) | instid1(VALU_DEP_2)
	v_add_co_u32 v16, vcc_lo, v22, v16
	v_add_co_ci_u32_e32 v17, vcc_lo, v23, v17, vcc_lo
	flat_load_b64 v[16:17], v[16:17]
	s_waitcnt vmcnt(0) lgkmcnt(0)
	v_mul_f64 v[16:17], v[16:17], s[10:11]
	s_branch .LBB173_126
.LBB173_125:
	v_mov_b32_e32 v16, 0
	v_mov_b32_e32 v17, 0
.LBB173_126:
	s_delay_alu instid0(VALU_DEP_1) | instskip(SKIP_2) | instid1(VALU_DEP_1)
	v_cvt_f32_f64_e32 v16, v[16:17]
	v_max_f32_e32 v17, v118, v118
	v_lshlrev_b64 v[24:25], 3, v[6:7]
	v_add_co_u32 v24, vcc_lo, v20, v24
	s_delay_alu instid0(VALU_DEP_2) | instskip(NEXT) | instid1(VALU_DEP_4)
	v_add_co_ci_u32_e32 v25, vcc_lo, v21, v25, vcc_lo
	v_min_f32_e32 v16, v16, v17
	s_delay_alu instid0(VALU_DEP_1) | instskip(SKIP_3) | instid1(SALU_CYCLE_1)
	v_cvt_f64_f32_e32 v[16:17], v16
	global_store_b64 v[24:25], v[16:17], off
	s_or_b32 exec_lo, exec_lo, s16
	s_and_b32 s19, s4, s8
	s_and_saveexec_b32 s16, s19
	s_cbranch_execz .LBB173_108
.LBB173_127:
	v_cmp_ne_u32_e32 vcc_lo, 1, v18
	s_cbranch_vccnz .LBB173_129
; %bb.128:
	v_lshlrev_b64 v[16:17], 3, v[8:9]
	s_delay_alu instid0(VALU_DEP_1) | instskip(NEXT) | instid1(VALU_DEP_2)
	v_add_co_u32 v16, vcc_lo, v22, v16
	v_add_co_ci_u32_e32 v17, vcc_lo, v23, v17, vcc_lo
	flat_load_b64 v[16:17], v[16:17]
	s_waitcnt vmcnt(0) lgkmcnt(0)
	v_mul_f64 v[16:17], v[16:17], s[10:11]
	s_branch .LBB173_130
.LBB173_129:
	v_mov_b32_e32 v16, 0
	v_mov_b32_e32 v17, 0
.LBB173_130:
	s_delay_alu instid0(VALU_DEP_1) | instskip(SKIP_2) | instid1(VALU_DEP_1)
	v_cvt_f32_f64_e32 v16, v[16:17]
	v_max_f32_e32 v17, v117, v117
	v_lshlrev_b64 v[24:25], 3, v[8:9]
	v_add_co_u32 v24, vcc_lo, v20, v24
	s_delay_alu instid0(VALU_DEP_2) | instskip(NEXT) | instid1(VALU_DEP_4)
	v_add_co_ci_u32_e32 v25, vcc_lo, v21, v25, vcc_lo
	v_min_f32_e32 v16, v16, v17
	s_delay_alu instid0(VALU_DEP_1) | instskip(SKIP_3) | instid1(SALU_CYCLE_1)
	v_cvt_f64_f32_e32 v[16:17], v16
	global_store_b64 v[24:25], v[16:17], off
	s_or_b32 exec_lo, exec_lo, s16
	s_and_b32 s19, s5, s8
	s_and_saveexec_b32 s16, s19
	s_cbranch_execz .LBB173_109
.LBB173_131:
	v_cmp_ne_u32_e32 vcc_lo, 1, v18
	s_cbranch_vccnz .LBB173_133
; %bb.132:
	v_lshlrev_b64 v[16:17], 3, v[10:11]
	s_delay_alu instid0(VALU_DEP_1) | instskip(NEXT) | instid1(VALU_DEP_2)
	v_add_co_u32 v16, vcc_lo, v22, v16
	v_add_co_ci_u32_e32 v17, vcc_lo, v23, v17, vcc_lo
	flat_load_b64 v[16:17], v[16:17]
	s_waitcnt vmcnt(0) lgkmcnt(0)
	v_mul_f64 v[16:17], v[16:17], s[10:11]
	s_branch .LBB173_134
.LBB173_133:
	v_mov_b32_e32 v16, 0
	v_mov_b32_e32 v17, 0
.LBB173_134:
	s_delay_alu instid0(VALU_DEP_1) | instskip(SKIP_2) | instid1(VALU_DEP_1)
	v_cvt_f32_f64_e32 v16, v[16:17]
	v_max_f32_e32 v17, v116, v116
	v_lshlrev_b64 v[24:25], 3, v[10:11]
	v_add_co_u32 v24, vcc_lo, v20, v24
	s_delay_alu instid0(VALU_DEP_2) | instskip(NEXT) | instid1(VALU_DEP_4)
	v_add_co_ci_u32_e32 v25, vcc_lo, v21, v25, vcc_lo
	v_min_f32_e32 v16, v16, v17
	s_delay_alu instid0(VALU_DEP_1) | instskip(SKIP_3) | instid1(SALU_CYCLE_1)
	v_cvt_f64_f32_e32 v[16:17], v16
	global_store_b64 v[24:25], v[16:17], off
	s_or_b32 exec_lo, exec_lo, s16
	s_and_b32 s19, s6, s8
	s_and_saveexec_b32 s16, s19
	s_cbranch_execz .LBB173_110
.LBB173_135:
	v_cmp_ne_u32_e32 vcc_lo, 1, v18
	s_cbranch_vccnz .LBB173_137
; %bb.136:
	v_lshlrev_b64 v[16:17], 3, v[12:13]
	s_delay_alu instid0(VALU_DEP_1) | instskip(NEXT) | instid1(VALU_DEP_2)
	v_add_co_u32 v16, vcc_lo, v22, v16
	v_add_co_ci_u32_e32 v17, vcc_lo, v23, v17, vcc_lo
	flat_load_b64 v[16:17], v[16:17]
	s_waitcnt vmcnt(0) lgkmcnt(0)
	v_mul_f64 v[16:17], v[16:17], s[10:11]
	s_branch .LBB173_138
.LBB173_137:
	v_mov_b32_e32 v16, 0
	v_mov_b32_e32 v17, 0
.LBB173_138:
	s_delay_alu instid0(VALU_DEP_1) | instskip(SKIP_2) | instid1(VALU_DEP_1)
	v_cvt_f32_f64_e32 v16, v[16:17]
	v_max_f32_e32 v17, v115, v115
	v_lshlrev_b64 v[24:25], 3, v[12:13]
	v_add_co_u32 v24, vcc_lo, v20, v24
	s_delay_alu instid0(VALU_DEP_2) | instskip(NEXT) | instid1(VALU_DEP_4)
	v_add_co_ci_u32_e32 v25, vcc_lo, v21, v25, vcc_lo
	v_min_f32_e32 v16, v16, v17
	s_delay_alu instid0(VALU_DEP_1) | instskip(SKIP_3) | instid1(SALU_CYCLE_1)
	v_cvt_f64_f32_e32 v[16:17], v16
	global_store_b64 v[24:25], v[16:17], off
	s_or_b32 exec_lo, exec_lo, s16
	s_and_b32 s16, s7, s8
	s_and_saveexec_b32 s8, s16
	s_cbranch_execz .LBB173_143
.LBB173_139:
	v_cmp_ne_u32_e32 vcc_lo, 1, v18
	s_cbranch_vccnz .LBB173_141
; %bb.140:
	v_lshlrev_b64 v[16:17], 3, v[14:15]
	s_delay_alu instid0(VALU_DEP_1) | instskip(NEXT) | instid1(VALU_DEP_2)
	v_add_co_u32 v16, vcc_lo, v22, v16
	v_add_co_ci_u32_e32 v17, vcc_lo, v23, v17, vcc_lo
	flat_load_b64 v[16:17], v[16:17]
	s_waitcnt vmcnt(0) lgkmcnt(0)
	v_mul_f64 v[16:17], v[16:17], s[10:11]
	s_branch .LBB173_142
.LBB173_141:
	v_mov_b32_e32 v16, 0
	v_mov_b32_e32 v17, 0
.LBB173_142:
	s_delay_alu instid0(VALU_DEP_1) | instskip(SKIP_2) | instid1(VALU_DEP_1)
	v_cvt_f32_f64_e32 v16, v[16:17]
	v_max_f32_e32 v17, v114, v114
	v_lshlrev_b64 v[22:23], 3, v[14:15]
	v_add_co_u32 v20, vcc_lo, v20, v22
	s_delay_alu instid0(VALU_DEP_2) | instskip(NEXT) | instid1(VALU_DEP_4)
	v_add_co_ci_u32_e32 v21, vcc_lo, v21, v23, vcc_lo
	v_min_f32_e32 v16, v16, v17
	s_delay_alu instid0(VALU_DEP_1)
	v_cvt_f64_f32_e32 v[16:17], v16
	global_store_b64 v[20:21], v[16:17], off
.LBB173_143:
	s_or_b32 exec_lo, exec_lo, s8
	v_add_nc_u32_e32 v22, 64, v19
	s_delay_alu instid0(VALU_DEP_1) | instskip(SKIP_2) | instid1(VALU_DEP_3)
	v_mad_i64_i32 v[16:17], null, v22, s18, 0
	v_mad_i64_i32 v[20:21], null, v22, s9, 0
	v_cmp_gt_i32_e64 s8, s17, v22
	v_lshlrev_b64 v[16:17], 3, v[16:17]
	s_delay_alu instid0(VALU_DEP_2) | instskip(NEXT) | instid1(VALU_DEP_3)
	s_and_b32 s19, s0, s8
	v_lshlrev_b64 v[20:21], 3, v[20:21]
	s_delay_alu instid0(VALU_DEP_2) | instskip(NEXT) | instid1(VALU_DEP_3)
	v_add_co_u32 v22, vcc_lo, s12, v16
	v_add_co_ci_u32_e32 v23, vcc_lo, s13, v17, vcc_lo
	s_delay_alu instid0(VALU_DEP_3) | instskip(NEXT) | instid1(VALU_DEP_4)
	v_add_co_u32 v20, vcc_lo, s14, v20
	v_add_co_ci_u32_e32 v21, vcc_lo, s15, v21, vcc_lo
	s_and_saveexec_b32 s16, s19
	s_cbranch_execnz .LBB173_151
; %bb.144:
	s_or_b32 exec_lo, exec_lo, s16
	s_and_b32 s19, s1, s8
	s_delay_alu instid0(SALU_CYCLE_1)
	s_and_saveexec_b32 s16, s19
	s_cbranch_execnz .LBB173_155
.LBB173_145:
	s_or_b32 exec_lo, exec_lo, s16
	s_and_b32 s19, s2, s8
	s_delay_alu instid0(SALU_CYCLE_1)
	s_and_saveexec_b32 s16, s19
	s_cbranch_execnz .LBB173_159
.LBB173_146:
	s_or_b32 exec_lo, exec_lo, s16
	s_and_b32 s19, s3, s8
	s_delay_alu instid0(SALU_CYCLE_1)
	s_and_saveexec_b32 s16, s19
	s_cbranch_execnz .LBB173_163
.LBB173_147:
	s_or_b32 exec_lo, exec_lo, s16
	s_and_b32 s19, s4, s8
	s_delay_alu instid0(SALU_CYCLE_1)
	s_and_saveexec_b32 s16, s19
	s_cbranch_execnz .LBB173_167
.LBB173_148:
	s_or_b32 exec_lo, exec_lo, s16
	s_and_b32 s19, s5, s8
	s_delay_alu instid0(SALU_CYCLE_1)
	s_and_saveexec_b32 s16, s19
	s_cbranch_execnz .LBB173_171
.LBB173_149:
	s_or_b32 exec_lo, exec_lo, s16
	s_and_b32 s19, s6, s8
	s_delay_alu instid0(SALU_CYCLE_1)
	s_and_saveexec_b32 s16, s19
	s_cbranch_execnz .LBB173_175
.LBB173_150:
	s_or_b32 exec_lo, exec_lo, s16
	s_and_b32 s16, s7, s8
	s_delay_alu instid0(SALU_CYCLE_1)
	s_and_saveexec_b32 s8, s16
	s_cbranch_execnz .LBB173_179
	s_branch .LBB173_183
.LBB173_151:
	v_cmp_ne_u32_e32 vcc_lo, 1, v18
	s_cbranch_vccnz .LBB173_153
; %bb.152:
	v_lshlrev_b64 v[16:17], 3, v[0:1]
	s_delay_alu instid0(VALU_DEP_1) | instskip(NEXT) | instid1(VALU_DEP_2)
	v_add_co_u32 v16, vcc_lo, v22, v16
	v_add_co_ci_u32_e32 v17, vcc_lo, v23, v17, vcc_lo
	flat_load_b64 v[16:17], v[16:17]
	s_waitcnt vmcnt(0) lgkmcnt(0)
	v_mul_f64 v[16:17], v[16:17], s[10:11]
	s_branch .LBB173_154
.LBB173_153:
	v_mov_b32_e32 v16, 0
	v_mov_b32_e32 v17, 0
.LBB173_154:
	s_delay_alu instid0(VALU_DEP_1) | instskip(SKIP_2) | instid1(VALU_DEP_1)
	v_cvt_f32_f64_e32 v16, v[16:17]
	v_max_f32_e32 v17, v113, v113
	v_lshlrev_b64 v[24:25], 3, v[0:1]
	v_add_co_u32 v24, vcc_lo, v20, v24
	s_delay_alu instid0(VALU_DEP_2) | instskip(NEXT) | instid1(VALU_DEP_4)
	v_add_co_ci_u32_e32 v25, vcc_lo, v21, v25, vcc_lo
	v_min_f32_e32 v16, v16, v17
	s_delay_alu instid0(VALU_DEP_1) | instskip(SKIP_3) | instid1(SALU_CYCLE_1)
	v_cvt_f64_f32_e32 v[16:17], v16
	global_store_b64 v[24:25], v[16:17], off
	s_or_b32 exec_lo, exec_lo, s16
	s_and_b32 s19, s1, s8
	s_and_saveexec_b32 s16, s19
	s_cbranch_execz .LBB173_145
.LBB173_155:
	v_cmp_ne_u32_e32 vcc_lo, 1, v18
	s_cbranch_vccnz .LBB173_157
; %bb.156:
	v_lshlrev_b64 v[16:17], 3, v[2:3]
	s_delay_alu instid0(VALU_DEP_1) | instskip(NEXT) | instid1(VALU_DEP_2)
	v_add_co_u32 v16, vcc_lo, v22, v16
	v_add_co_ci_u32_e32 v17, vcc_lo, v23, v17, vcc_lo
	flat_load_b64 v[16:17], v[16:17]
	s_waitcnt vmcnt(0) lgkmcnt(0)
	v_mul_f64 v[16:17], v[16:17], s[10:11]
	s_branch .LBB173_158
.LBB173_157:
	v_mov_b32_e32 v16, 0
	v_mov_b32_e32 v17, 0
.LBB173_158:
	s_delay_alu instid0(VALU_DEP_1) | instskip(SKIP_2) | instid1(VALU_DEP_1)
	v_cvt_f32_f64_e32 v16, v[16:17]
	v_max_f32_e32 v17, v112, v112
	v_lshlrev_b64 v[24:25], 3, v[2:3]
	v_add_co_u32 v24, vcc_lo, v20, v24
	s_delay_alu instid0(VALU_DEP_2) | instskip(NEXT) | instid1(VALU_DEP_4)
	v_add_co_ci_u32_e32 v25, vcc_lo, v21, v25, vcc_lo
	v_min_f32_e32 v16, v16, v17
	s_delay_alu instid0(VALU_DEP_1) | instskip(SKIP_3) | instid1(SALU_CYCLE_1)
	v_cvt_f64_f32_e32 v[16:17], v16
	global_store_b64 v[24:25], v[16:17], off
	s_or_b32 exec_lo, exec_lo, s16
	s_and_b32 s19, s2, s8
	s_and_saveexec_b32 s16, s19
	s_cbranch_execz .LBB173_146
.LBB173_159:
	v_cmp_ne_u32_e32 vcc_lo, 1, v18
	s_cbranch_vccnz .LBB173_161
; %bb.160:
	v_lshlrev_b64 v[16:17], 3, v[4:5]
	s_delay_alu instid0(VALU_DEP_1) | instskip(NEXT) | instid1(VALU_DEP_2)
	v_add_co_u32 v16, vcc_lo, v22, v16
	v_add_co_ci_u32_e32 v17, vcc_lo, v23, v17, vcc_lo
	flat_load_b64 v[16:17], v[16:17]
	s_waitcnt vmcnt(0) lgkmcnt(0)
	v_mul_f64 v[16:17], v[16:17], s[10:11]
	s_branch .LBB173_162
.LBB173_161:
	v_mov_b32_e32 v16, 0
	v_mov_b32_e32 v17, 0
.LBB173_162:
	s_delay_alu instid0(VALU_DEP_1) | instskip(SKIP_2) | instid1(VALU_DEP_1)
	v_cvt_f32_f64_e32 v16, v[16:17]
	v_max_f32_e32 v17, v111, v111
	v_lshlrev_b64 v[24:25], 3, v[4:5]
	v_add_co_u32 v24, vcc_lo, v20, v24
	s_delay_alu instid0(VALU_DEP_2) | instskip(NEXT) | instid1(VALU_DEP_4)
	v_add_co_ci_u32_e32 v25, vcc_lo, v21, v25, vcc_lo
	v_min_f32_e32 v16, v16, v17
	s_delay_alu instid0(VALU_DEP_1) | instskip(SKIP_3) | instid1(SALU_CYCLE_1)
	v_cvt_f64_f32_e32 v[16:17], v16
	global_store_b64 v[24:25], v[16:17], off
	s_or_b32 exec_lo, exec_lo, s16
	s_and_b32 s19, s3, s8
	s_and_saveexec_b32 s16, s19
	s_cbranch_execz .LBB173_147
.LBB173_163:
	v_cmp_ne_u32_e32 vcc_lo, 1, v18
	s_cbranch_vccnz .LBB173_165
; %bb.164:
	v_lshlrev_b64 v[16:17], 3, v[6:7]
	s_delay_alu instid0(VALU_DEP_1) | instskip(NEXT) | instid1(VALU_DEP_2)
	v_add_co_u32 v16, vcc_lo, v22, v16
	v_add_co_ci_u32_e32 v17, vcc_lo, v23, v17, vcc_lo
	flat_load_b64 v[16:17], v[16:17]
	s_waitcnt vmcnt(0) lgkmcnt(0)
	v_mul_f64 v[16:17], v[16:17], s[10:11]
	s_branch .LBB173_166
.LBB173_165:
	v_mov_b32_e32 v16, 0
	v_mov_b32_e32 v17, 0
.LBB173_166:
	s_delay_alu instid0(VALU_DEP_1) | instskip(SKIP_2) | instid1(VALU_DEP_1)
	v_cvt_f32_f64_e32 v16, v[16:17]
	v_max_f32_e32 v17, v110, v110
	v_lshlrev_b64 v[24:25], 3, v[6:7]
	v_add_co_u32 v24, vcc_lo, v20, v24
	s_delay_alu instid0(VALU_DEP_2) | instskip(NEXT) | instid1(VALU_DEP_4)
	v_add_co_ci_u32_e32 v25, vcc_lo, v21, v25, vcc_lo
	v_min_f32_e32 v16, v16, v17
	s_delay_alu instid0(VALU_DEP_1) | instskip(SKIP_3) | instid1(SALU_CYCLE_1)
	v_cvt_f64_f32_e32 v[16:17], v16
	global_store_b64 v[24:25], v[16:17], off
	s_or_b32 exec_lo, exec_lo, s16
	s_and_b32 s19, s4, s8
	s_and_saveexec_b32 s16, s19
	s_cbranch_execz .LBB173_148
.LBB173_167:
	v_cmp_ne_u32_e32 vcc_lo, 1, v18
	s_cbranch_vccnz .LBB173_169
; %bb.168:
	v_lshlrev_b64 v[16:17], 3, v[8:9]
	s_delay_alu instid0(VALU_DEP_1) | instskip(NEXT) | instid1(VALU_DEP_2)
	v_add_co_u32 v16, vcc_lo, v22, v16
	v_add_co_ci_u32_e32 v17, vcc_lo, v23, v17, vcc_lo
	flat_load_b64 v[16:17], v[16:17]
	s_waitcnt vmcnt(0) lgkmcnt(0)
	v_mul_f64 v[16:17], v[16:17], s[10:11]
	s_branch .LBB173_170
.LBB173_169:
	v_mov_b32_e32 v16, 0
	v_mov_b32_e32 v17, 0
.LBB173_170:
	s_delay_alu instid0(VALU_DEP_1) | instskip(SKIP_2) | instid1(VALU_DEP_1)
	v_cvt_f32_f64_e32 v16, v[16:17]
	v_max_f32_e32 v17, v109, v109
	v_lshlrev_b64 v[24:25], 3, v[8:9]
	v_add_co_u32 v24, vcc_lo, v20, v24
	s_delay_alu instid0(VALU_DEP_2) | instskip(NEXT) | instid1(VALU_DEP_4)
	v_add_co_ci_u32_e32 v25, vcc_lo, v21, v25, vcc_lo
	v_min_f32_e32 v16, v16, v17
	s_delay_alu instid0(VALU_DEP_1) | instskip(SKIP_3) | instid1(SALU_CYCLE_1)
	v_cvt_f64_f32_e32 v[16:17], v16
	global_store_b64 v[24:25], v[16:17], off
	s_or_b32 exec_lo, exec_lo, s16
	s_and_b32 s19, s5, s8
	s_and_saveexec_b32 s16, s19
	s_cbranch_execz .LBB173_149
.LBB173_171:
	v_cmp_ne_u32_e32 vcc_lo, 1, v18
	s_cbranch_vccnz .LBB173_173
; %bb.172:
	v_lshlrev_b64 v[16:17], 3, v[10:11]
	s_delay_alu instid0(VALU_DEP_1) | instskip(NEXT) | instid1(VALU_DEP_2)
	v_add_co_u32 v16, vcc_lo, v22, v16
	v_add_co_ci_u32_e32 v17, vcc_lo, v23, v17, vcc_lo
	flat_load_b64 v[16:17], v[16:17]
	s_waitcnt vmcnt(0) lgkmcnt(0)
	v_mul_f64 v[16:17], v[16:17], s[10:11]
	s_branch .LBB173_174
.LBB173_173:
	v_mov_b32_e32 v16, 0
	v_mov_b32_e32 v17, 0
.LBB173_174:
	s_delay_alu instid0(VALU_DEP_1) | instskip(SKIP_2) | instid1(VALU_DEP_1)
	v_cvt_f32_f64_e32 v16, v[16:17]
	v_max_f32_e32 v17, v108, v108
	v_lshlrev_b64 v[24:25], 3, v[10:11]
	v_add_co_u32 v24, vcc_lo, v20, v24
	s_delay_alu instid0(VALU_DEP_2) | instskip(NEXT) | instid1(VALU_DEP_4)
	v_add_co_ci_u32_e32 v25, vcc_lo, v21, v25, vcc_lo
	v_min_f32_e32 v16, v16, v17
	s_delay_alu instid0(VALU_DEP_1) | instskip(SKIP_3) | instid1(SALU_CYCLE_1)
	v_cvt_f64_f32_e32 v[16:17], v16
	global_store_b64 v[24:25], v[16:17], off
	s_or_b32 exec_lo, exec_lo, s16
	s_and_b32 s19, s6, s8
	s_and_saveexec_b32 s16, s19
	s_cbranch_execz .LBB173_150
.LBB173_175:
	v_cmp_ne_u32_e32 vcc_lo, 1, v18
	s_cbranch_vccnz .LBB173_177
; %bb.176:
	v_lshlrev_b64 v[16:17], 3, v[12:13]
	s_delay_alu instid0(VALU_DEP_1) | instskip(NEXT) | instid1(VALU_DEP_2)
	v_add_co_u32 v16, vcc_lo, v22, v16
	v_add_co_ci_u32_e32 v17, vcc_lo, v23, v17, vcc_lo
	flat_load_b64 v[16:17], v[16:17]
	s_waitcnt vmcnt(0) lgkmcnt(0)
	v_mul_f64 v[16:17], v[16:17], s[10:11]
	s_branch .LBB173_178
.LBB173_177:
	v_mov_b32_e32 v16, 0
	v_mov_b32_e32 v17, 0
.LBB173_178:
	s_delay_alu instid0(VALU_DEP_1) | instskip(SKIP_2) | instid1(VALU_DEP_1)
	v_cvt_f32_f64_e32 v16, v[16:17]
	v_max_f32_e32 v17, v107, v107
	v_lshlrev_b64 v[24:25], 3, v[12:13]
	v_add_co_u32 v24, vcc_lo, v20, v24
	s_delay_alu instid0(VALU_DEP_2) | instskip(NEXT) | instid1(VALU_DEP_4)
	v_add_co_ci_u32_e32 v25, vcc_lo, v21, v25, vcc_lo
	v_min_f32_e32 v16, v16, v17
	s_delay_alu instid0(VALU_DEP_1) | instskip(SKIP_3) | instid1(SALU_CYCLE_1)
	v_cvt_f64_f32_e32 v[16:17], v16
	global_store_b64 v[24:25], v[16:17], off
	s_or_b32 exec_lo, exec_lo, s16
	s_and_b32 s16, s7, s8
	s_and_saveexec_b32 s8, s16
	s_cbranch_execz .LBB173_183
.LBB173_179:
	v_cmp_ne_u32_e32 vcc_lo, 1, v18
	s_cbranch_vccnz .LBB173_181
; %bb.180:
	v_lshlrev_b64 v[16:17], 3, v[14:15]
	s_delay_alu instid0(VALU_DEP_1) | instskip(NEXT) | instid1(VALU_DEP_2)
	v_add_co_u32 v16, vcc_lo, v22, v16
	v_add_co_ci_u32_e32 v17, vcc_lo, v23, v17, vcc_lo
	flat_load_b64 v[16:17], v[16:17]
	s_waitcnt vmcnt(0) lgkmcnt(0)
	v_mul_f64 v[16:17], v[16:17], s[10:11]
	s_branch .LBB173_182
.LBB173_181:
	v_mov_b32_e32 v16, 0
	v_mov_b32_e32 v17, 0
.LBB173_182:
	s_delay_alu instid0(VALU_DEP_1) | instskip(SKIP_2) | instid1(VALU_DEP_1)
	v_cvt_f32_f64_e32 v16, v[16:17]
	v_max_f32_e32 v17, v106, v106
	v_lshlrev_b64 v[22:23], 3, v[14:15]
	v_add_co_u32 v20, vcc_lo, v20, v22
	s_delay_alu instid0(VALU_DEP_2) | instskip(NEXT) | instid1(VALU_DEP_4)
	v_add_co_ci_u32_e32 v21, vcc_lo, v21, v23, vcc_lo
	v_min_f32_e32 v16, v16, v17
	s_delay_alu instid0(VALU_DEP_1)
	v_cvt_f64_f32_e32 v[16:17], v16
	global_store_b64 v[20:21], v[16:17], off
.LBB173_183:
	s_or_b32 exec_lo, exec_lo, s8
	v_add_nc_u32_e32 v22, 0x60, v19
	s_delay_alu instid0(VALU_DEP_1) | instskip(SKIP_2) | instid1(VALU_DEP_3)
	v_mad_i64_i32 v[16:17], null, v22, s18, 0
	v_mad_i64_i32 v[20:21], null, v22, s9, 0
	v_cmp_gt_i32_e64 s8, s17, v22
	v_lshlrev_b64 v[16:17], 3, v[16:17]
	s_delay_alu instid0(VALU_DEP_2) | instskip(NEXT) | instid1(VALU_DEP_3)
	s_and_b32 s19, s0, s8
	v_lshlrev_b64 v[20:21], 3, v[20:21]
	s_delay_alu instid0(VALU_DEP_2) | instskip(NEXT) | instid1(VALU_DEP_3)
	v_add_co_u32 v22, vcc_lo, s12, v16
	v_add_co_ci_u32_e32 v23, vcc_lo, s13, v17, vcc_lo
	s_delay_alu instid0(VALU_DEP_3) | instskip(NEXT) | instid1(VALU_DEP_4)
	v_add_co_u32 v20, vcc_lo, s14, v20
	v_add_co_ci_u32_e32 v21, vcc_lo, s15, v21, vcc_lo
	s_and_saveexec_b32 s16, s19
	s_cbranch_execnz .LBB173_191
; %bb.184:
	s_or_b32 exec_lo, exec_lo, s16
	s_and_b32 s19, s1, s8
	s_delay_alu instid0(SALU_CYCLE_1)
	s_and_saveexec_b32 s16, s19
	s_cbranch_execnz .LBB173_195
.LBB173_185:
	s_or_b32 exec_lo, exec_lo, s16
	s_and_b32 s19, s2, s8
	s_delay_alu instid0(SALU_CYCLE_1)
	s_and_saveexec_b32 s16, s19
	s_cbranch_execnz .LBB173_199
.LBB173_186:
	s_or_b32 exec_lo, exec_lo, s16
	s_and_b32 s19, s3, s8
	s_delay_alu instid0(SALU_CYCLE_1)
	s_and_saveexec_b32 s16, s19
	s_cbranch_execnz .LBB173_203
.LBB173_187:
	s_or_b32 exec_lo, exec_lo, s16
	s_and_b32 s19, s4, s8
	s_delay_alu instid0(SALU_CYCLE_1)
	s_and_saveexec_b32 s16, s19
	s_cbranch_execnz .LBB173_207
.LBB173_188:
	s_or_b32 exec_lo, exec_lo, s16
	s_and_b32 s19, s5, s8
	s_delay_alu instid0(SALU_CYCLE_1)
	s_and_saveexec_b32 s16, s19
	s_cbranch_execnz .LBB173_211
.LBB173_189:
	s_or_b32 exec_lo, exec_lo, s16
	s_and_b32 s19, s6, s8
	s_delay_alu instid0(SALU_CYCLE_1)
	s_and_saveexec_b32 s16, s19
	s_cbranch_execnz .LBB173_215
.LBB173_190:
	s_or_b32 exec_lo, exec_lo, s16
	s_and_b32 s16, s7, s8
	s_delay_alu instid0(SALU_CYCLE_1)
	s_and_saveexec_b32 s8, s16
	s_cbranch_execnz .LBB173_219
	s_branch .LBB173_223
.LBB173_191:
	v_cmp_ne_u32_e32 vcc_lo, 1, v18
	s_cbranch_vccnz .LBB173_193
; %bb.192:
	v_lshlrev_b64 v[16:17], 3, v[0:1]
	s_delay_alu instid0(VALU_DEP_1) | instskip(NEXT) | instid1(VALU_DEP_2)
	v_add_co_u32 v16, vcc_lo, v22, v16
	v_add_co_ci_u32_e32 v17, vcc_lo, v23, v17, vcc_lo
	flat_load_b64 v[16:17], v[16:17]
	s_waitcnt vmcnt(0) lgkmcnt(0)
	v_mul_f64 v[16:17], v[16:17], s[10:11]
	s_branch .LBB173_194
.LBB173_193:
	v_mov_b32_e32 v16, 0
	v_mov_b32_e32 v17, 0
.LBB173_194:
	s_delay_alu instid0(VALU_DEP_1) | instskip(SKIP_2) | instid1(VALU_DEP_1)
	v_cvt_f32_f64_e32 v16, v[16:17]
	v_max_f32_e32 v17, v105, v105
	v_lshlrev_b64 v[24:25], 3, v[0:1]
	v_add_co_u32 v24, vcc_lo, v20, v24
	s_delay_alu instid0(VALU_DEP_2) | instskip(NEXT) | instid1(VALU_DEP_4)
	v_add_co_ci_u32_e32 v25, vcc_lo, v21, v25, vcc_lo
	v_min_f32_e32 v16, v16, v17
	s_delay_alu instid0(VALU_DEP_1) | instskip(SKIP_3) | instid1(SALU_CYCLE_1)
	v_cvt_f64_f32_e32 v[16:17], v16
	global_store_b64 v[24:25], v[16:17], off
	s_or_b32 exec_lo, exec_lo, s16
	s_and_b32 s19, s1, s8
	s_and_saveexec_b32 s16, s19
	s_cbranch_execz .LBB173_185
.LBB173_195:
	v_cmp_ne_u32_e32 vcc_lo, 1, v18
	s_cbranch_vccnz .LBB173_197
; %bb.196:
	v_lshlrev_b64 v[16:17], 3, v[2:3]
	s_delay_alu instid0(VALU_DEP_1) | instskip(NEXT) | instid1(VALU_DEP_2)
	v_add_co_u32 v16, vcc_lo, v22, v16
	v_add_co_ci_u32_e32 v17, vcc_lo, v23, v17, vcc_lo
	flat_load_b64 v[16:17], v[16:17]
	s_waitcnt vmcnt(0) lgkmcnt(0)
	v_mul_f64 v[16:17], v[16:17], s[10:11]
	s_branch .LBB173_198
.LBB173_197:
	v_mov_b32_e32 v16, 0
	v_mov_b32_e32 v17, 0
.LBB173_198:
	s_delay_alu instid0(VALU_DEP_1) | instskip(SKIP_2) | instid1(VALU_DEP_1)
	v_cvt_f32_f64_e32 v16, v[16:17]
	v_max_f32_e32 v17, v104, v104
	v_lshlrev_b64 v[24:25], 3, v[2:3]
	v_add_co_u32 v24, vcc_lo, v20, v24
	s_delay_alu instid0(VALU_DEP_2) | instskip(NEXT) | instid1(VALU_DEP_4)
	v_add_co_ci_u32_e32 v25, vcc_lo, v21, v25, vcc_lo
	v_min_f32_e32 v16, v16, v17
	s_delay_alu instid0(VALU_DEP_1) | instskip(SKIP_3) | instid1(SALU_CYCLE_1)
	v_cvt_f64_f32_e32 v[16:17], v16
	global_store_b64 v[24:25], v[16:17], off
	s_or_b32 exec_lo, exec_lo, s16
	s_and_b32 s19, s2, s8
	s_and_saveexec_b32 s16, s19
	s_cbranch_execz .LBB173_186
.LBB173_199:
	v_cmp_ne_u32_e32 vcc_lo, 1, v18
	s_cbranch_vccnz .LBB173_201
; %bb.200:
	v_lshlrev_b64 v[16:17], 3, v[4:5]
	s_delay_alu instid0(VALU_DEP_1) | instskip(NEXT) | instid1(VALU_DEP_2)
	v_add_co_u32 v16, vcc_lo, v22, v16
	v_add_co_ci_u32_e32 v17, vcc_lo, v23, v17, vcc_lo
	flat_load_b64 v[16:17], v[16:17]
	s_waitcnt vmcnt(0) lgkmcnt(0)
	v_mul_f64 v[16:17], v[16:17], s[10:11]
	s_branch .LBB173_202
.LBB173_201:
	v_mov_b32_e32 v16, 0
	v_mov_b32_e32 v17, 0
.LBB173_202:
	s_delay_alu instid0(VALU_DEP_1) | instskip(SKIP_2) | instid1(VALU_DEP_1)
	v_cvt_f32_f64_e32 v16, v[16:17]
	v_max_f32_e32 v17, v103, v103
	v_lshlrev_b64 v[24:25], 3, v[4:5]
	v_add_co_u32 v24, vcc_lo, v20, v24
	s_delay_alu instid0(VALU_DEP_2) | instskip(NEXT) | instid1(VALU_DEP_4)
	v_add_co_ci_u32_e32 v25, vcc_lo, v21, v25, vcc_lo
	v_min_f32_e32 v16, v16, v17
	s_delay_alu instid0(VALU_DEP_1) | instskip(SKIP_3) | instid1(SALU_CYCLE_1)
	v_cvt_f64_f32_e32 v[16:17], v16
	global_store_b64 v[24:25], v[16:17], off
	s_or_b32 exec_lo, exec_lo, s16
	s_and_b32 s19, s3, s8
	s_and_saveexec_b32 s16, s19
	s_cbranch_execz .LBB173_187
.LBB173_203:
	v_cmp_ne_u32_e32 vcc_lo, 1, v18
	s_cbranch_vccnz .LBB173_205
; %bb.204:
	v_lshlrev_b64 v[16:17], 3, v[6:7]
	s_delay_alu instid0(VALU_DEP_1) | instskip(NEXT) | instid1(VALU_DEP_2)
	v_add_co_u32 v16, vcc_lo, v22, v16
	v_add_co_ci_u32_e32 v17, vcc_lo, v23, v17, vcc_lo
	flat_load_b64 v[16:17], v[16:17]
	s_waitcnt vmcnt(0) lgkmcnt(0)
	v_mul_f64 v[16:17], v[16:17], s[10:11]
	s_branch .LBB173_206
.LBB173_205:
	v_mov_b32_e32 v16, 0
	v_mov_b32_e32 v17, 0
.LBB173_206:
	s_delay_alu instid0(VALU_DEP_1) | instskip(SKIP_2) | instid1(VALU_DEP_1)
	v_cvt_f32_f64_e32 v16, v[16:17]
	v_max_f32_e32 v17, v102, v102
	v_lshlrev_b64 v[24:25], 3, v[6:7]
	v_add_co_u32 v24, vcc_lo, v20, v24
	s_delay_alu instid0(VALU_DEP_2) | instskip(NEXT) | instid1(VALU_DEP_4)
	v_add_co_ci_u32_e32 v25, vcc_lo, v21, v25, vcc_lo
	v_min_f32_e32 v16, v16, v17
	s_delay_alu instid0(VALU_DEP_1) | instskip(SKIP_3) | instid1(SALU_CYCLE_1)
	v_cvt_f64_f32_e32 v[16:17], v16
	global_store_b64 v[24:25], v[16:17], off
	s_or_b32 exec_lo, exec_lo, s16
	s_and_b32 s19, s4, s8
	s_and_saveexec_b32 s16, s19
	s_cbranch_execz .LBB173_188
.LBB173_207:
	v_cmp_ne_u32_e32 vcc_lo, 1, v18
	s_cbranch_vccnz .LBB173_209
; %bb.208:
	v_lshlrev_b64 v[16:17], 3, v[8:9]
	s_delay_alu instid0(VALU_DEP_1) | instskip(NEXT) | instid1(VALU_DEP_2)
	v_add_co_u32 v16, vcc_lo, v22, v16
	v_add_co_ci_u32_e32 v17, vcc_lo, v23, v17, vcc_lo
	flat_load_b64 v[16:17], v[16:17]
	s_waitcnt vmcnt(0) lgkmcnt(0)
	v_mul_f64 v[16:17], v[16:17], s[10:11]
	s_branch .LBB173_210
.LBB173_209:
	v_mov_b32_e32 v16, 0
	v_mov_b32_e32 v17, 0
.LBB173_210:
	s_delay_alu instid0(VALU_DEP_1) | instskip(SKIP_2) | instid1(VALU_DEP_1)
	v_cvt_f32_f64_e32 v16, v[16:17]
	v_max_f32_e32 v17, v101, v101
	v_lshlrev_b64 v[24:25], 3, v[8:9]
	v_add_co_u32 v24, vcc_lo, v20, v24
	s_delay_alu instid0(VALU_DEP_2) | instskip(NEXT) | instid1(VALU_DEP_4)
	v_add_co_ci_u32_e32 v25, vcc_lo, v21, v25, vcc_lo
	v_min_f32_e32 v16, v16, v17
	s_delay_alu instid0(VALU_DEP_1) | instskip(SKIP_3) | instid1(SALU_CYCLE_1)
	v_cvt_f64_f32_e32 v[16:17], v16
	global_store_b64 v[24:25], v[16:17], off
	s_or_b32 exec_lo, exec_lo, s16
	s_and_b32 s19, s5, s8
	s_and_saveexec_b32 s16, s19
	s_cbranch_execz .LBB173_189
.LBB173_211:
	v_cmp_ne_u32_e32 vcc_lo, 1, v18
	s_cbranch_vccnz .LBB173_213
; %bb.212:
	v_lshlrev_b64 v[16:17], 3, v[10:11]
	s_delay_alu instid0(VALU_DEP_1) | instskip(NEXT) | instid1(VALU_DEP_2)
	v_add_co_u32 v16, vcc_lo, v22, v16
	v_add_co_ci_u32_e32 v17, vcc_lo, v23, v17, vcc_lo
	flat_load_b64 v[16:17], v[16:17]
	s_waitcnt vmcnt(0) lgkmcnt(0)
	v_mul_f64 v[16:17], v[16:17], s[10:11]
	s_branch .LBB173_214
.LBB173_213:
	v_mov_b32_e32 v16, 0
	v_mov_b32_e32 v17, 0
.LBB173_214:
	s_delay_alu instid0(VALU_DEP_1) | instskip(SKIP_2) | instid1(VALU_DEP_1)
	v_cvt_f32_f64_e32 v16, v[16:17]
	v_max_f32_e32 v17, v100, v100
	v_lshlrev_b64 v[24:25], 3, v[10:11]
	v_add_co_u32 v24, vcc_lo, v20, v24
	s_delay_alu instid0(VALU_DEP_2) | instskip(NEXT) | instid1(VALU_DEP_4)
	v_add_co_ci_u32_e32 v25, vcc_lo, v21, v25, vcc_lo
	v_min_f32_e32 v16, v16, v17
	s_delay_alu instid0(VALU_DEP_1) | instskip(SKIP_3) | instid1(SALU_CYCLE_1)
	v_cvt_f64_f32_e32 v[16:17], v16
	global_store_b64 v[24:25], v[16:17], off
	s_or_b32 exec_lo, exec_lo, s16
	s_and_b32 s19, s6, s8
	s_and_saveexec_b32 s16, s19
	s_cbranch_execz .LBB173_190
.LBB173_215:
	v_cmp_ne_u32_e32 vcc_lo, 1, v18
	s_cbranch_vccnz .LBB173_217
; %bb.216:
	v_lshlrev_b64 v[16:17], 3, v[12:13]
	s_delay_alu instid0(VALU_DEP_1) | instskip(NEXT) | instid1(VALU_DEP_2)
	v_add_co_u32 v16, vcc_lo, v22, v16
	v_add_co_ci_u32_e32 v17, vcc_lo, v23, v17, vcc_lo
	flat_load_b64 v[16:17], v[16:17]
	s_waitcnt vmcnt(0) lgkmcnt(0)
	v_mul_f64 v[16:17], v[16:17], s[10:11]
	s_branch .LBB173_218
.LBB173_217:
	v_mov_b32_e32 v16, 0
	v_mov_b32_e32 v17, 0
.LBB173_218:
	s_delay_alu instid0(VALU_DEP_1) | instskip(SKIP_2) | instid1(VALU_DEP_1)
	v_cvt_f32_f64_e32 v16, v[16:17]
	v_max_f32_e32 v17, v99, v99
	v_lshlrev_b64 v[24:25], 3, v[12:13]
	v_add_co_u32 v24, vcc_lo, v20, v24
	s_delay_alu instid0(VALU_DEP_2) | instskip(NEXT) | instid1(VALU_DEP_4)
	v_add_co_ci_u32_e32 v25, vcc_lo, v21, v25, vcc_lo
	v_min_f32_e32 v16, v16, v17
	s_delay_alu instid0(VALU_DEP_1) | instskip(SKIP_3) | instid1(SALU_CYCLE_1)
	v_cvt_f64_f32_e32 v[16:17], v16
	global_store_b64 v[24:25], v[16:17], off
	s_or_b32 exec_lo, exec_lo, s16
	s_and_b32 s16, s7, s8
	s_and_saveexec_b32 s8, s16
	s_cbranch_execz .LBB173_223
.LBB173_219:
	v_cmp_ne_u32_e32 vcc_lo, 1, v18
	s_cbranch_vccnz .LBB173_221
; %bb.220:
	v_lshlrev_b64 v[16:17], 3, v[14:15]
	s_delay_alu instid0(VALU_DEP_1) | instskip(NEXT) | instid1(VALU_DEP_2)
	v_add_co_u32 v16, vcc_lo, v22, v16
	v_add_co_ci_u32_e32 v17, vcc_lo, v23, v17, vcc_lo
	flat_load_b64 v[16:17], v[16:17]
	s_waitcnt vmcnt(0) lgkmcnt(0)
	v_mul_f64 v[16:17], v[16:17], s[10:11]
	s_branch .LBB173_222
.LBB173_221:
	v_mov_b32_e32 v16, 0
	v_mov_b32_e32 v17, 0
.LBB173_222:
	s_delay_alu instid0(VALU_DEP_1) | instskip(SKIP_2) | instid1(VALU_DEP_1)
	v_cvt_f32_f64_e32 v16, v[16:17]
	v_max_f32_e32 v17, v98, v98
	v_lshlrev_b64 v[22:23], 3, v[14:15]
	v_add_co_u32 v20, vcc_lo, v20, v22
	s_delay_alu instid0(VALU_DEP_2) | instskip(NEXT) | instid1(VALU_DEP_4)
	v_add_co_ci_u32_e32 v21, vcc_lo, v21, v23, vcc_lo
	v_min_f32_e32 v16, v16, v17
	s_delay_alu instid0(VALU_DEP_1)
	v_cvt_f64_f32_e32 v[16:17], v16
	global_store_b64 v[20:21], v[16:17], off
.LBB173_223:
	s_or_b32 exec_lo, exec_lo, s8
	v_add_nc_u32_e32 v22, 0x80, v19
	s_delay_alu instid0(VALU_DEP_1) | instskip(SKIP_2) | instid1(VALU_DEP_3)
	v_mad_i64_i32 v[16:17], null, v22, s18, 0
	v_mad_i64_i32 v[20:21], null, v22, s9, 0
	v_cmp_gt_i32_e64 s8, s17, v22
	v_lshlrev_b64 v[16:17], 3, v[16:17]
	s_delay_alu instid0(VALU_DEP_2) | instskip(NEXT) | instid1(VALU_DEP_3)
	s_and_b32 s19, s0, s8
	v_lshlrev_b64 v[20:21], 3, v[20:21]
	s_delay_alu instid0(VALU_DEP_2) | instskip(NEXT) | instid1(VALU_DEP_3)
	v_add_co_u32 v22, vcc_lo, s12, v16
	v_add_co_ci_u32_e32 v23, vcc_lo, s13, v17, vcc_lo
	s_delay_alu instid0(VALU_DEP_3) | instskip(NEXT) | instid1(VALU_DEP_4)
	v_add_co_u32 v20, vcc_lo, s14, v20
	v_add_co_ci_u32_e32 v21, vcc_lo, s15, v21, vcc_lo
	s_and_saveexec_b32 s16, s19
	s_cbranch_execnz .LBB173_231
; %bb.224:
	s_or_b32 exec_lo, exec_lo, s16
	s_and_b32 s19, s1, s8
	s_delay_alu instid0(SALU_CYCLE_1)
	s_and_saveexec_b32 s16, s19
	s_cbranch_execnz .LBB173_235
.LBB173_225:
	s_or_b32 exec_lo, exec_lo, s16
	s_and_b32 s19, s2, s8
	s_delay_alu instid0(SALU_CYCLE_1)
	s_and_saveexec_b32 s16, s19
	s_cbranch_execnz .LBB173_239
.LBB173_226:
	s_or_b32 exec_lo, exec_lo, s16
	s_and_b32 s19, s3, s8
	s_delay_alu instid0(SALU_CYCLE_1)
	s_and_saveexec_b32 s16, s19
	s_cbranch_execnz .LBB173_243
.LBB173_227:
	s_or_b32 exec_lo, exec_lo, s16
	s_and_b32 s19, s4, s8
	s_delay_alu instid0(SALU_CYCLE_1)
	s_and_saveexec_b32 s16, s19
	s_cbranch_execnz .LBB173_247
.LBB173_228:
	s_or_b32 exec_lo, exec_lo, s16
	s_and_b32 s19, s5, s8
	s_delay_alu instid0(SALU_CYCLE_1)
	s_and_saveexec_b32 s16, s19
	s_cbranch_execnz .LBB173_251
.LBB173_229:
	s_or_b32 exec_lo, exec_lo, s16
	s_and_b32 s19, s6, s8
	s_delay_alu instid0(SALU_CYCLE_1)
	s_and_saveexec_b32 s16, s19
	s_cbranch_execnz .LBB173_255
.LBB173_230:
	s_or_b32 exec_lo, exec_lo, s16
	s_and_b32 s16, s7, s8
	s_delay_alu instid0(SALU_CYCLE_1)
	s_and_saveexec_b32 s8, s16
	s_cbranch_execnz .LBB173_259
	s_branch .LBB173_263
.LBB173_231:
	v_cmp_ne_u32_e32 vcc_lo, 1, v18
	s_cbranch_vccnz .LBB173_233
; %bb.232:
	v_lshlrev_b64 v[16:17], 3, v[0:1]
	s_delay_alu instid0(VALU_DEP_1) | instskip(NEXT) | instid1(VALU_DEP_2)
	v_add_co_u32 v16, vcc_lo, v22, v16
	v_add_co_ci_u32_e32 v17, vcc_lo, v23, v17, vcc_lo
	flat_load_b64 v[16:17], v[16:17]
	s_waitcnt vmcnt(0) lgkmcnt(0)
	v_mul_f64 v[16:17], v[16:17], s[10:11]
	s_branch .LBB173_234
.LBB173_233:
	v_mov_b32_e32 v16, 0
	v_mov_b32_e32 v17, 0
.LBB173_234:
	s_delay_alu instid0(VALU_DEP_1) | instskip(SKIP_2) | instid1(VALU_DEP_1)
	v_cvt_f32_f64_e32 v16, v[16:17]
	v_max_f32_e32 v17, v97, v97
	v_lshlrev_b64 v[24:25], 3, v[0:1]
	v_add_co_u32 v24, vcc_lo, v20, v24
	s_delay_alu instid0(VALU_DEP_2) | instskip(NEXT) | instid1(VALU_DEP_4)
	v_add_co_ci_u32_e32 v25, vcc_lo, v21, v25, vcc_lo
	v_min_f32_e32 v16, v16, v17
	s_delay_alu instid0(VALU_DEP_1) | instskip(SKIP_3) | instid1(SALU_CYCLE_1)
	v_cvt_f64_f32_e32 v[16:17], v16
	global_store_b64 v[24:25], v[16:17], off
	s_or_b32 exec_lo, exec_lo, s16
	s_and_b32 s19, s1, s8
	s_and_saveexec_b32 s16, s19
	s_cbranch_execz .LBB173_225
.LBB173_235:
	v_cmp_ne_u32_e32 vcc_lo, 1, v18
	s_cbranch_vccnz .LBB173_237
; %bb.236:
	v_lshlrev_b64 v[16:17], 3, v[2:3]
	s_delay_alu instid0(VALU_DEP_1) | instskip(NEXT) | instid1(VALU_DEP_2)
	v_add_co_u32 v16, vcc_lo, v22, v16
	v_add_co_ci_u32_e32 v17, vcc_lo, v23, v17, vcc_lo
	flat_load_b64 v[16:17], v[16:17]
	s_waitcnt vmcnt(0) lgkmcnt(0)
	v_mul_f64 v[16:17], v[16:17], s[10:11]
	s_branch .LBB173_238
.LBB173_237:
	v_mov_b32_e32 v16, 0
	v_mov_b32_e32 v17, 0
.LBB173_238:
	s_delay_alu instid0(VALU_DEP_1) | instskip(SKIP_2) | instid1(VALU_DEP_1)
	v_cvt_f32_f64_e32 v16, v[16:17]
	v_max_f32_e32 v17, v96, v96
	v_lshlrev_b64 v[24:25], 3, v[2:3]
	v_add_co_u32 v24, vcc_lo, v20, v24
	s_delay_alu instid0(VALU_DEP_2) | instskip(NEXT) | instid1(VALU_DEP_4)
	v_add_co_ci_u32_e32 v25, vcc_lo, v21, v25, vcc_lo
	v_min_f32_e32 v16, v16, v17
	s_delay_alu instid0(VALU_DEP_1) | instskip(SKIP_3) | instid1(SALU_CYCLE_1)
	v_cvt_f64_f32_e32 v[16:17], v16
	global_store_b64 v[24:25], v[16:17], off
	s_or_b32 exec_lo, exec_lo, s16
	s_and_b32 s19, s2, s8
	s_and_saveexec_b32 s16, s19
	s_cbranch_execz .LBB173_226
.LBB173_239:
	v_cmp_ne_u32_e32 vcc_lo, 1, v18
	s_cbranch_vccnz .LBB173_241
; %bb.240:
	v_lshlrev_b64 v[16:17], 3, v[4:5]
	s_delay_alu instid0(VALU_DEP_1) | instskip(NEXT) | instid1(VALU_DEP_2)
	v_add_co_u32 v16, vcc_lo, v22, v16
	v_add_co_ci_u32_e32 v17, vcc_lo, v23, v17, vcc_lo
	flat_load_b64 v[16:17], v[16:17]
	s_waitcnt vmcnt(0) lgkmcnt(0)
	v_mul_f64 v[16:17], v[16:17], s[10:11]
	s_branch .LBB173_242
.LBB173_241:
	v_mov_b32_e32 v16, 0
	v_mov_b32_e32 v17, 0
.LBB173_242:
	s_delay_alu instid0(VALU_DEP_1) | instskip(SKIP_2) | instid1(VALU_DEP_1)
	v_cvt_f32_f64_e32 v16, v[16:17]
	v_max_f32_e32 v17, v95, v95
	v_lshlrev_b64 v[24:25], 3, v[4:5]
	v_add_co_u32 v24, vcc_lo, v20, v24
	s_delay_alu instid0(VALU_DEP_2) | instskip(NEXT) | instid1(VALU_DEP_4)
	v_add_co_ci_u32_e32 v25, vcc_lo, v21, v25, vcc_lo
	v_min_f32_e32 v16, v16, v17
	s_delay_alu instid0(VALU_DEP_1) | instskip(SKIP_3) | instid1(SALU_CYCLE_1)
	v_cvt_f64_f32_e32 v[16:17], v16
	global_store_b64 v[24:25], v[16:17], off
	s_or_b32 exec_lo, exec_lo, s16
	s_and_b32 s19, s3, s8
	s_and_saveexec_b32 s16, s19
	s_cbranch_execz .LBB173_227
.LBB173_243:
	v_cmp_ne_u32_e32 vcc_lo, 1, v18
	s_cbranch_vccnz .LBB173_245
; %bb.244:
	v_lshlrev_b64 v[16:17], 3, v[6:7]
	s_delay_alu instid0(VALU_DEP_1) | instskip(NEXT) | instid1(VALU_DEP_2)
	v_add_co_u32 v16, vcc_lo, v22, v16
	v_add_co_ci_u32_e32 v17, vcc_lo, v23, v17, vcc_lo
	flat_load_b64 v[16:17], v[16:17]
	s_waitcnt vmcnt(0) lgkmcnt(0)
	v_mul_f64 v[16:17], v[16:17], s[10:11]
	s_branch .LBB173_246
.LBB173_245:
	v_mov_b32_e32 v16, 0
	v_mov_b32_e32 v17, 0
.LBB173_246:
	s_delay_alu instid0(VALU_DEP_1) | instskip(SKIP_2) | instid1(VALU_DEP_1)
	v_cvt_f32_f64_e32 v16, v[16:17]
	v_max_f32_e32 v17, v94, v94
	v_lshlrev_b64 v[24:25], 3, v[6:7]
	v_add_co_u32 v24, vcc_lo, v20, v24
	s_delay_alu instid0(VALU_DEP_2) | instskip(NEXT) | instid1(VALU_DEP_4)
	v_add_co_ci_u32_e32 v25, vcc_lo, v21, v25, vcc_lo
	v_min_f32_e32 v16, v16, v17
	s_delay_alu instid0(VALU_DEP_1) | instskip(SKIP_3) | instid1(SALU_CYCLE_1)
	v_cvt_f64_f32_e32 v[16:17], v16
	global_store_b64 v[24:25], v[16:17], off
	s_or_b32 exec_lo, exec_lo, s16
	s_and_b32 s19, s4, s8
	s_and_saveexec_b32 s16, s19
	s_cbranch_execz .LBB173_228
.LBB173_247:
	v_cmp_ne_u32_e32 vcc_lo, 1, v18
	s_cbranch_vccnz .LBB173_249
; %bb.248:
	v_lshlrev_b64 v[16:17], 3, v[8:9]
	s_delay_alu instid0(VALU_DEP_1) | instskip(NEXT) | instid1(VALU_DEP_2)
	v_add_co_u32 v16, vcc_lo, v22, v16
	v_add_co_ci_u32_e32 v17, vcc_lo, v23, v17, vcc_lo
	flat_load_b64 v[16:17], v[16:17]
	s_waitcnt vmcnt(0) lgkmcnt(0)
	v_mul_f64 v[16:17], v[16:17], s[10:11]
	s_branch .LBB173_250
.LBB173_249:
	v_mov_b32_e32 v16, 0
	v_mov_b32_e32 v17, 0
.LBB173_250:
	s_delay_alu instid0(VALU_DEP_1) | instskip(SKIP_2) | instid1(VALU_DEP_1)
	v_cvt_f32_f64_e32 v16, v[16:17]
	v_max_f32_e32 v17, v93, v93
	v_lshlrev_b64 v[24:25], 3, v[8:9]
	v_add_co_u32 v24, vcc_lo, v20, v24
	s_delay_alu instid0(VALU_DEP_2) | instskip(NEXT) | instid1(VALU_DEP_4)
	v_add_co_ci_u32_e32 v25, vcc_lo, v21, v25, vcc_lo
	v_min_f32_e32 v16, v16, v17
	s_delay_alu instid0(VALU_DEP_1) | instskip(SKIP_3) | instid1(SALU_CYCLE_1)
	v_cvt_f64_f32_e32 v[16:17], v16
	global_store_b64 v[24:25], v[16:17], off
	s_or_b32 exec_lo, exec_lo, s16
	s_and_b32 s19, s5, s8
	s_and_saveexec_b32 s16, s19
	s_cbranch_execz .LBB173_229
.LBB173_251:
	v_cmp_ne_u32_e32 vcc_lo, 1, v18
	s_cbranch_vccnz .LBB173_253
; %bb.252:
	v_lshlrev_b64 v[16:17], 3, v[10:11]
	s_delay_alu instid0(VALU_DEP_1) | instskip(NEXT) | instid1(VALU_DEP_2)
	v_add_co_u32 v16, vcc_lo, v22, v16
	v_add_co_ci_u32_e32 v17, vcc_lo, v23, v17, vcc_lo
	flat_load_b64 v[16:17], v[16:17]
	s_waitcnt vmcnt(0) lgkmcnt(0)
	v_mul_f64 v[16:17], v[16:17], s[10:11]
	s_branch .LBB173_254
.LBB173_253:
	v_mov_b32_e32 v16, 0
	v_mov_b32_e32 v17, 0
.LBB173_254:
	s_delay_alu instid0(VALU_DEP_1) | instskip(SKIP_2) | instid1(VALU_DEP_1)
	v_cvt_f32_f64_e32 v16, v[16:17]
	v_max_f32_e32 v17, v92, v92
	v_lshlrev_b64 v[24:25], 3, v[10:11]
	v_add_co_u32 v24, vcc_lo, v20, v24
	s_delay_alu instid0(VALU_DEP_2) | instskip(NEXT) | instid1(VALU_DEP_4)
	v_add_co_ci_u32_e32 v25, vcc_lo, v21, v25, vcc_lo
	v_min_f32_e32 v16, v16, v17
	s_delay_alu instid0(VALU_DEP_1) | instskip(SKIP_3) | instid1(SALU_CYCLE_1)
	v_cvt_f64_f32_e32 v[16:17], v16
	global_store_b64 v[24:25], v[16:17], off
	s_or_b32 exec_lo, exec_lo, s16
	s_and_b32 s19, s6, s8
	s_and_saveexec_b32 s16, s19
	s_cbranch_execz .LBB173_230
.LBB173_255:
	v_cmp_ne_u32_e32 vcc_lo, 1, v18
	s_cbranch_vccnz .LBB173_257
; %bb.256:
	v_lshlrev_b64 v[16:17], 3, v[12:13]
	s_delay_alu instid0(VALU_DEP_1) | instskip(NEXT) | instid1(VALU_DEP_2)
	v_add_co_u32 v16, vcc_lo, v22, v16
	v_add_co_ci_u32_e32 v17, vcc_lo, v23, v17, vcc_lo
	flat_load_b64 v[16:17], v[16:17]
	s_waitcnt vmcnt(0) lgkmcnt(0)
	v_mul_f64 v[16:17], v[16:17], s[10:11]
	s_branch .LBB173_258
.LBB173_257:
	v_mov_b32_e32 v16, 0
	v_mov_b32_e32 v17, 0
.LBB173_258:
	s_delay_alu instid0(VALU_DEP_1) | instskip(SKIP_2) | instid1(VALU_DEP_1)
	v_cvt_f32_f64_e32 v16, v[16:17]
	v_max_f32_e32 v17, v91, v91
	v_lshlrev_b64 v[24:25], 3, v[12:13]
	v_add_co_u32 v24, vcc_lo, v20, v24
	s_delay_alu instid0(VALU_DEP_2) | instskip(NEXT) | instid1(VALU_DEP_4)
	v_add_co_ci_u32_e32 v25, vcc_lo, v21, v25, vcc_lo
	v_min_f32_e32 v16, v16, v17
	s_delay_alu instid0(VALU_DEP_1) | instskip(SKIP_3) | instid1(SALU_CYCLE_1)
	v_cvt_f64_f32_e32 v[16:17], v16
	global_store_b64 v[24:25], v[16:17], off
	s_or_b32 exec_lo, exec_lo, s16
	s_and_b32 s16, s7, s8
	s_and_saveexec_b32 s8, s16
	s_cbranch_execz .LBB173_263
.LBB173_259:
	v_cmp_ne_u32_e32 vcc_lo, 1, v18
	s_cbranch_vccnz .LBB173_261
; %bb.260:
	v_lshlrev_b64 v[16:17], 3, v[14:15]
	s_delay_alu instid0(VALU_DEP_1) | instskip(NEXT) | instid1(VALU_DEP_2)
	v_add_co_u32 v16, vcc_lo, v22, v16
	v_add_co_ci_u32_e32 v17, vcc_lo, v23, v17, vcc_lo
	flat_load_b64 v[16:17], v[16:17]
	s_waitcnt vmcnt(0) lgkmcnt(0)
	v_mul_f64 v[16:17], v[16:17], s[10:11]
	s_branch .LBB173_262
.LBB173_261:
	v_mov_b32_e32 v16, 0
	v_mov_b32_e32 v17, 0
.LBB173_262:
	s_delay_alu instid0(VALU_DEP_1) | instskip(SKIP_2) | instid1(VALU_DEP_1)
	v_cvt_f32_f64_e32 v16, v[16:17]
	v_max_f32_e32 v17, v90, v90
	v_lshlrev_b64 v[22:23], 3, v[14:15]
	v_add_co_u32 v20, vcc_lo, v20, v22
	s_delay_alu instid0(VALU_DEP_2) | instskip(NEXT) | instid1(VALU_DEP_4)
	v_add_co_ci_u32_e32 v21, vcc_lo, v21, v23, vcc_lo
	v_min_f32_e32 v16, v16, v17
	s_delay_alu instid0(VALU_DEP_1)
	v_cvt_f64_f32_e32 v[16:17], v16
	global_store_b64 v[20:21], v[16:17], off
.LBB173_263:
	s_or_b32 exec_lo, exec_lo, s8
	v_add_nc_u32_e32 v22, 0xa0, v19
	s_delay_alu instid0(VALU_DEP_1) | instskip(SKIP_2) | instid1(VALU_DEP_3)
	v_mad_i64_i32 v[16:17], null, v22, s18, 0
	v_mad_i64_i32 v[20:21], null, v22, s9, 0
	v_cmp_gt_i32_e64 s8, s17, v22
	v_lshlrev_b64 v[16:17], 3, v[16:17]
	s_delay_alu instid0(VALU_DEP_2) | instskip(NEXT) | instid1(VALU_DEP_3)
	s_and_b32 s19, s0, s8
	v_lshlrev_b64 v[20:21], 3, v[20:21]
	s_delay_alu instid0(VALU_DEP_2) | instskip(NEXT) | instid1(VALU_DEP_3)
	v_add_co_u32 v22, vcc_lo, s12, v16
	v_add_co_ci_u32_e32 v23, vcc_lo, s13, v17, vcc_lo
	s_delay_alu instid0(VALU_DEP_3) | instskip(NEXT) | instid1(VALU_DEP_4)
	v_add_co_u32 v20, vcc_lo, s14, v20
	v_add_co_ci_u32_e32 v21, vcc_lo, s15, v21, vcc_lo
	s_and_saveexec_b32 s16, s19
	s_cbranch_execnz .LBB173_271
; %bb.264:
	s_or_b32 exec_lo, exec_lo, s16
	s_and_b32 s19, s1, s8
	s_delay_alu instid0(SALU_CYCLE_1)
	s_and_saveexec_b32 s16, s19
	s_cbranch_execnz .LBB173_275
.LBB173_265:
	s_or_b32 exec_lo, exec_lo, s16
	s_and_b32 s19, s2, s8
	s_delay_alu instid0(SALU_CYCLE_1)
	s_and_saveexec_b32 s16, s19
	s_cbranch_execnz .LBB173_279
.LBB173_266:
	s_or_b32 exec_lo, exec_lo, s16
	s_and_b32 s19, s3, s8
	s_delay_alu instid0(SALU_CYCLE_1)
	s_and_saveexec_b32 s16, s19
	s_cbranch_execnz .LBB173_283
.LBB173_267:
	s_or_b32 exec_lo, exec_lo, s16
	s_and_b32 s19, s4, s8
	s_delay_alu instid0(SALU_CYCLE_1)
	s_and_saveexec_b32 s16, s19
	s_cbranch_execnz .LBB173_287
.LBB173_268:
	s_or_b32 exec_lo, exec_lo, s16
	s_and_b32 s19, s5, s8
	s_delay_alu instid0(SALU_CYCLE_1)
	s_and_saveexec_b32 s16, s19
	s_cbranch_execnz .LBB173_291
.LBB173_269:
	s_or_b32 exec_lo, exec_lo, s16
	s_and_b32 s19, s6, s8
	s_delay_alu instid0(SALU_CYCLE_1)
	s_and_saveexec_b32 s16, s19
	s_cbranch_execnz .LBB173_295
.LBB173_270:
	s_or_b32 exec_lo, exec_lo, s16
	s_and_b32 s16, s7, s8
	s_delay_alu instid0(SALU_CYCLE_1)
	s_and_saveexec_b32 s8, s16
	s_cbranch_execnz .LBB173_299
	s_branch .LBB173_303
.LBB173_271:
	v_cmp_ne_u32_e32 vcc_lo, 1, v18
	s_cbranch_vccnz .LBB173_273
; %bb.272:
	v_lshlrev_b64 v[16:17], 3, v[0:1]
	s_delay_alu instid0(VALU_DEP_1) | instskip(NEXT) | instid1(VALU_DEP_2)
	v_add_co_u32 v16, vcc_lo, v22, v16
	v_add_co_ci_u32_e32 v17, vcc_lo, v23, v17, vcc_lo
	flat_load_b64 v[16:17], v[16:17]
	s_waitcnt vmcnt(0) lgkmcnt(0)
	v_mul_f64 v[16:17], v[16:17], s[10:11]
	s_branch .LBB173_274
.LBB173_273:
	v_mov_b32_e32 v16, 0
	v_mov_b32_e32 v17, 0
.LBB173_274:
	s_delay_alu instid0(VALU_DEP_1) | instskip(SKIP_2) | instid1(VALU_DEP_1)
	v_cvt_f32_f64_e32 v16, v[16:17]
	v_max_f32_e32 v17, v89, v89
	v_lshlrev_b64 v[24:25], 3, v[0:1]
	v_add_co_u32 v24, vcc_lo, v20, v24
	s_delay_alu instid0(VALU_DEP_2) | instskip(NEXT) | instid1(VALU_DEP_4)
	v_add_co_ci_u32_e32 v25, vcc_lo, v21, v25, vcc_lo
	v_min_f32_e32 v16, v16, v17
	s_delay_alu instid0(VALU_DEP_1) | instskip(SKIP_3) | instid1(SALU_CYCLE_1)
	v_cvt_f64_f32_e32 v[16:17], v16
	global_store_b64 v[24:25], v[16:17], off
	s_or_b32 exec_lo, exec_lo, s16
	s_and_b32 s19, s1, s8
	s_and_saveexec_b32 s16, s19
	s_cbranch_execz .LBB173_265
.LBB173_275:
	v_cmp_ne_u32_e32 vcc_lo, 1, v18
	s_cbranch_vccnz .LBB173_277
; %bb.276:
	v_lshlrev_b64 v[16:17], 3, v[2:3]
	s_delay_alu instid0(VALU_DEP_1) | instskip(NEXT) | instid1(VALU_DEP_2)
	v_add_co_u32 v16, vcc_lo, v22, v16
	v_add_co_ci_u32_e32 v17, vcc_lo, v23, v17, vcc_lo
	flat_load_b64 v[16:17], v[16:17]
	s_waitcnt vmcnt(0) lgkmcnt(0)
	v_mul_f64 v[16:17], v[16:17], s[10:11]
	s_branch .LBB173_278
.LBB173_277:
	v_mov_b32_e32 v16, 0
	v_mov_b32_e32 v17, 0
.LBB173_278:
	s_delay_alu instid0(VALU_DEP_1) | instskip(SKIP_2) | instid1(VALU_DEP_1)
	v_cvt_f32_f64_e32 v16, v[16:17]
	v_max_f32_e32 v17, v88, v88
	v_lshlrev_b64 v[24:25], 3, v[2:3]
	v_add_co_u32 v24, vcc_lo, v20, v24
	s_delay_alu instid0(VALU_DEP_2) | instskip(NEXT) | instid1(VALU_DEP_4)
	v_add_co_ci_u32_e32 v25, vcc_lo, v21, v25, vcc_lo
	v_min_f32_e32 v16, v16, v17
	s_delay_alu instid0(VALU_DEP_1) | instskip(SKIP_3) | instid1(SALU_CYCLE_1)
	v_cvt_f64_f32_e32 v[16:17], v16
	global_store_b64 v[24:25], v[16:17], off
	s_or_b32 exec_lo, exec_lo, s16
	s_and_b32 s19, s2, s8
	s_and_saveexec_b32 s16, s19
	s_cbranch_execz .LBB173_266
.LBB173_279:
	v_cmp_ne_u32_e32 vcc_lo, 1, v18
	s_cbranch_vccnz .LBB173_281
; %bb.280:
	v_lshlrev_b64 v[16:17], 3, v[4:5]
	s_delay_alu instid0(VALU_DEP_1) | instskip(NEXT) | instid1(VALU_DEP_2)
	v_add_co_u32 v16, vcc_lo, v22, v16
	v_add_co_ci_u32_e32 v17, vcc_lo, v23, v17, vcc_lo
	flat_load_b64 v[16:17], v[16:17]
	s_waitcnt vmcnt(0) lgkmcnt(0)
	v_mul_f64 v[16:17], v[16:17], s[10:11]
	s_branch .LBB173_282
.LBB173_281:
	v_mov_b32_e32 v16, 0
	v_mov_b32_e32 v17, 0
.LBB173_282:
	s_delay_alu instid0(VALU_DEP_1) | instskip(SKIP_2) | instid1(VALU_DEP_1)
	v_cvt_f32_f64_e32 v16, v[16:17]
	v_max_f32_e32 v17, v87, v87
	v_lshlrev_b64 v[24:25], 3, v[4:5]
	v_add_co_u32 v24, vcc_lo, v20, v24
	s_delay_alu instid0(VALU_DEP_2) | instskip(NEXT) | instid1(VALU_DEP_4)
	v_add_co_ci_u32_e32 v25, vcc_lo, v21, v25, vcc_lo
	v_min_f32_e32 v16, v16, v17
	s_delay_alu instid0(VALU_DEP_1) | instskip(SKIP_3) | instid1(SALU_CYCLE_1)
	v_cvt_f64_f32_e32 v[16:17], v16
	global_store_b64 v[24:25], v[16:17], off
	s_or_b32 exec_lo, exec_lo, s16
	s_and_b32 s19, s3, s8
	s_and_saveexec_b32 s16, s19
	s_cbranch_execz .LBB173_267
.LBB173_283:
	v_cmp_ne_u32_e32 vcc_lo, 1, v18
	s_cbranch_vccnz .LBB173_285
; %bb.284:
	v_lshlrev_b64 v[16:17], 3, v[6:7]
	s_delay_alu instid0(VALU_DEP_1) | instskip(NEXT) | instid1(VALU_DEP_2)
	v_add_co_u32 v16, vcc_lo, v22, v16
	v_add_co_ci_u32_e32 v17, vcc_lo, v23, v17, vcc_lo
	flat_load_b64 v[16:17], v[16:17]
	s_waitcnt vmcnt(0) lgkmcnt(0)
	v_mul_f64 v[16:17], v[16:17], s[10:11]
	s_branch .LBB173_286
.LBB173_285:
	v_mov_b32_e32 v16, 0
	v_mov_b32_e32 v17, 0
.LBB173_286:
	s_delay_alu instid0(VALU_DEP_1) | instskip(SKIP_2) | instid1(VALU_DEP_1)
	v_cvt_f32_f64_e32 v16, v[16:17]
	v_max_f32_e32 v17, v86, v86
	v_lshlrev_b64 v[24:25], 3, v[6:7]
	v_add_co_u32 v24, vcc_lo, v20, v24
	s_delay_alu instid0(VALU_DEP_2) | instskip(NEXT) | instid1(VALU_DEP_4)
	v_add_co_ci_u32_e32 v25, vcc_lo, v21, v25, vcc_lo
	v_min_f32_e32 v16, v16, v17
	s_delay_alu instid0(VALU_DEP_1) | instskip(SKIP_3) | instid1(SALU_CYCLE_1)
	v_cvt_f64_f32_e32 v[16:17], v16
	global_store_b64 v[24:25], v[16:17], off
	s_or_b32 exec_lo, exec_lo, s16
	s_and_b32 s19, s4, s8
	s_and_saveexec_b32 s16, s19
	s_cbranch_execz .LBB173_268
.LBB173_287:
	v_cmp_ne_u32_e32 vcc_lo, 1, v18
	s_cbranch_vccnz .LBB173_289
; %bb.288:
	v_lshlrev_b64 v[16:17], 3, v[8:9]
	s_delay_alu instid0(VALU_DEP_1) | instskip(NEXT) | instid1(VALU_DEP_2)
	v_add_co_u32 v16, vcc_lo, v22, v16
	v_add_co_ci_u32_e32 v17, vcc_lo, v23, v17, vcc_lo
	flat_load_b64 v[16:17], v[16:17]
	s_waitcnt vmcnt(0) lgkmcnt(0)
	v_mul_f64 v[16:17], v[16:17], s[10:11]
	s_branch .LBB173_290
.LBB173_289:
	v_mov_b32_e32 v16, 0
	v_mov_b32_e32 v17, 0
.LBB173_290:
	s_delay_alu instid0(VALU_DEP_1) | instskip(SKIP_2) | instid1(VALU_DEP_1)
	v_cvt_f32_f64_e32 v16, v[16:17]
	v_max_f32_e32 v17, v85, v85
	v_lshlrev_b64 v[24:25], 3, v[8:9]
	v_add_co_u32 v24, vcc_lo, v20, v24
	s_delay_alu instid0(VALU_DEP_2) | instskip(NEXT) | instid1(VALU_DEP_4)
	v_add_co_ci_u32_e32 v25, vcc_lo, v21, v25, vcc_lo
	v_min_f32_e32 v16, v16, v17
	s_delay_alu instid0(VALU_DEP_1) | instskip(SKIP_3) | instid1(SALU_CYCLE_1)
	v_cvt_f64_f32_e32 v[16:17], v16
	global_store_b64 v[24:25], v[16:17], off
	s_or_b32 exec_lo, exec_lo, s16
	s_and_b32 s19, s5, s8
	s_and_saveexec_b32 s16, s19
	s_cbranch_execz .LBB173_269
.LBB173_291:
	v_cmp_ne_u32_e32 vcc_lo, 1, v18
	s_cbranch_vccnz .LBB173_293
; %bb.292:
	v_lshlrev_b64 v[16:17], 3, v[10:11]
	s_delay_alu instid0(VALU_DEP_1) | instskip(NEXT) | instid1(VALU_DEP_2)
	v_add_co_u32 v16, vcc_lo, v22, v16
	v_add_co_ci_u32_e32 v17, vcc_lo, v23, v17, vcc_lo
	flat_load_b64 v[16:17], v[16:17]
	s_waitcnt vmcnt(0) lgkmcnt(0)
	v_mul_f64 v[16:17], v[16:17], s[10:11]
	s_branch .LBB173_294
.LBB173_293:
	v_mov_b32_e32 v16, 0
	v_mov_b32_e32 v17, 0
.LBB173_294:
	s_delay_alu instid0(VALU_DEP_1) | instskip(SKIP_2) | instid1(VALU_DEP_1)
	v_cvt_f32_f64_e32 v16, v[16:17]
	v_max_f32_e32 v17, v84, v84
	v_lshlrev_b64 v[24:25], 3, v[10:11]
	v_add_co_u32 v24, vcc_lo, v20, v24
	s_delay_alu instid0(VALU_DEP_2) | instskip(NEXT) | instid1(VALU_DEP_4)
	v_add_co_ci_u32_e32 v25, vcc_lo, v21, v25, vcc_lo
	v_min_f32_e32 v16, v16, v17
	s_delay_alu instid0(VALU_DEP_1) | instskip(SKIP_3) | instid1(SALU_CYCLE_1)
	v_cvt_f64_f32_e32 v[16:17], v16
	global_store_b64 v[24:25], v[16:17], off
	s_or_b32 exec_lo, exec_lo, s16
	s_and_b32 s19, s6, s8
	s_and_saveexec_b32 s16, s19
	s_cbranch_execz .LBB173_270
.LBB173_295:
	v_cmp_ne_u32_e32 vcc_lo, 1, v18
	s_cbranch_vccnz .LBB173_297
; %bb.296:
	v_lshlrev_b64 v[16:17], 3, v[12:13]
	s_delay_alu instid0(VALU_DEP_1) | instskip(NEXT) | instid1(VALU_DEP_2)
	v_add_co_u32 v16, vcc_lo, v22, v16
	v_add_co_ci_u32_e32 v17, vcc_lo, v23, v17, vcc_lo
	flat_load_b64 v[16:17], v[16:17]
	s_waitcnt vmcnt(0) lgkmcnt(0)
	v_mul_f64 v[16:17], v[16:17], s[10:11]
	s_branch .LBB173_298
.LBB173_297:
	v_mov_b32_e32 v16, 0
	v_mov_b32_e32 v17, 0
.LBB173_298:
	s_delay_alu instid0(VALU_DEP_1) | instskip(SKIP_2) | instid1(VALU_DEP_1)
	v_cvt_f32_f64_e32 v16, v[16:17]
	v_max_f32_e32 v17, v83, v83
	v_lshlrev_b64 v[24:25], 3, v[12:13]
	v_add_co_u32 v24, vcc_lo, v20, v24
	s_delay_alu instid0(VALU_DEP_2) | instskip(NEXT) | instid1(VALU_DEP_4)
	v_add_co_ci_u32_e32 v25, vcc_lo, v21, v25, vcc_lo
	v_min_f32_e32 v16, v16, v17
	s_delay_alu instid0(VALU_DEP_1) | instskip(SKIP_3) | instid1(SALU_CYCLE_1)
	v_cvt_f64_f32_e32 v[16:17], v16
	global_store_b64 v[24:25], v[16:17], off
	s_or_b32 exec_lo, exec_lo, s16
	s_and_b32 s16, s7, s8
	s_and_saveexec_b32 s8, s16
	s_cbranch_execz .LBB173_303
.LBB173_299:
	v_cmp_ne_u32_e32 vcc_lo, 1, v18
	s_cbranch_vccnz .LBB173_301
; %bb.300:
	v_lshlrev_b64 v[16:17], 3, v[14:15]
	s_delay_alu instid0(VALU_DEP_1) | instskip(NEXT) | instid1(VALU_DEP_2)
	v_add_co_u32 v16, vcc_lo, v22, v16
	v_add_co_ci_u32_e32 v17, vcc_lo, v23, v17, vcc_lo
	flat_load_b64 v[16:17], v[16:17]
	s_waitcnt vmcnt(0) lgkmcnt(0)
	v_mul_f64 v[16:17], v[16:17], s[10:11]
	s_branch .LBB173_302
.LBB173_301:
	v_mov_b32_e32 v16, 0
	v_mov_b32_e32 v17, 0
.LBB173_302:
	s_delay_alu instid0(VALU_DEP_1) | instskip(SKIP_2) | instid1(VALU_DEP_1)
	v_cvt_f32_f64_e32 v16, v[16:17]
	v_max_f32_e32 v17, v82, v82
	v_lshlrev_b64 v[22:23], 3, v[14:15]
	v_add_co_u32 v20, vcc_lo, v20, v22
	s_delay_alu instid0(VALU_DEP_2) | instskip(NEXT) | instid1(VALU_DEP_4)
	v_add_co_ci_u32_e32 v21, vcc_lo, v21, v23, vcc_lo
	v_min_f32_e32 v16, v16, v17
	s_delay_alu instid0(VALU_DEP_1)
	v_cvt_f64_f32_e32 v[16:17], v16
	global_store_b64 v[20:21], v[16:17], off
.LBB173_303:
	s_or_b32 exec_lo, exec_lo, s8
	v_add_nc_u32_e32 v22, 0xc0, v19
	s_delay_alu instid0(VALU_DEP_1) | instskip(SKIP_2) | instid1(VALU_DEP_3)
	v_mad_i64_i32 v[16:17], null, v22, s18, 0
	v_mad_i64_i32 v[20:21], null, v22, s9, 0
	v_cmp_gt_i32_e64 s8, s17, v22
	v_lshlrev_b64 v[16:17], 3, v[16:17]
	s_delay_alu instid0(VALU_DEP_2) | instskip(NEXT) | instid1(VALU_DEP_3)
	s_and_b32 s19, s0, s8
	v_lshlrev_b64 v[20:21], 3, v[20:21]
	s_delay_alu instid0(VALU_DEP_2) | instskip(NEXT) | instid1(VALU_DEP_3)
	v_add_co_u32 v22, vcc_lo, s12, v16
	v_add_co_ci_u32_e32 v23, vcc_lo, s13, v17, vcc_lo
	s_delay_alu instid0(VALU_DEP_3) | instskip(NEXT) | instid1(VALU_DEP_4)
	v_add_co_u32 v20, vcc_lo, s14, v20
	v_add_co_ci_u32_e32 v21, vcc_lo, s15, v21, vcc_lo
	s_and_saveexec_b32 s16, s19
	s_cbranch_execnz .LBB173_311
; %bb.304:
	s_or_b32 exec_lo, exec_lo, s16
	s_and_b32 s19, s1, s8
	s_delay_alu instid0(SALU_CYCLE_1)
	s_and_saveexec_b32 s16, s19
	s_cbranch_execnz .LBB173_315
.LBB173_305:
	s_or_b32 exec_lo, exec_lo, s16
	s_and_b32 s19, s2, s8
	s_delay_alu instid0(SALU_CYCLE_1)
	s_and_saveexec_b32 s16, s19
	s_cbranch_execnz .LBB173_319
.LBB173_306:
	s_or_b32 exec_lo, exec_lo, s16
	s_and_b32 s19, s3, s8
	s_delay_alu instid0(SALU_CYCLE_1)
	s_and_saveexec_b32 s16, s19
	s_cbranch_execnz .LBB173_323
.LBB173_307:
	s_or_b32 exec_lo, exec_lo, s16
	s_and_b32 s19, s4, s8
	s_delay_alu instid0(SALU_CYCLE_1)
	s_and_saveexec_b32 s16, s19
	s_cbranch_execnz .LBB173_327
.LBB173_308:
	s_or_b32 exec_lo, exec_lo, s16
	s_and_b32 s19, s5, s8
	s_delay_alu instid0(SALU_CYCLE_1)
	s_and_saveexec_b32 s16, s19
	s_cbranch_execnz .LBB173_331
.LBB173_309:
	s_or_b32 exec_lo, exec_lo, s16
	s_and_b32 s19, s6, s8
	s_delay_alu instid0(SALU_CYCLE_1)
	s_and_saveexec_b32 s16, s19
	s_cbranch_execnz .LBB173_335
.LBB173_310:
	s_or_b32 exec_lo, exec_lo, s16
	s_and_b32 s16, s7, s8
	s_delay_alu instid0(SALU_CYCLE_1)
	s_and_saveexec_b32 s8, s16
	s_cbranch_execnz .LBB173_339
	s_branch .LBB173_343
.LBB173_311:
	v_cmp_ne_u32_e32 vcc_lo, 1, v18
	s_cbranch_vccnz .LBB173_313
; %bb.312:
	v_lshlrev_b64 v[16:17], 3, v[0:1]
	s_delay_alu instid0(VALU_DEP_1) | instskip(NEXT) | instid1(VALU_DEP_2)
	v_add_co_u32 v16, vcc_lo, v22, v16
	v_add_co_ci_u32_e32 v17, vcc_lo, v23, v17, vcc_lo
	flat_load_b64 v[16:17], v[16:17]
	s_waitcnt vmcnt(0) lgkmcnt(0)
	v_mul_f64 v[16:17], v[16:17], s[10:11]
	s_branch .LBB173_314
.LBB173_313:
	v_mov_b32_e32 v16, 0
	v_mov_b32_e32 v17, 0
.LBB173_314:
	s_delay_alu instid0(VALU_DEP_1) | instskip(SKIP_2) | instid1(VALU_DEP_1)
	v_cvt_f32_f64_e32 v16, v[16:17]
	v_max_f32_e32 v17, v81, v81
	v_lshlrev_b64 v[24:25], 3, v[0:1]
	v_add_co_u32 v24, vcc_lo, v20, v24
	s_delay_alu instid0(VALU_DEP_2) | instskip(NEXT) | instid1(VALU_DEP_4)
	v_add_co_ci_u32_e32 v25, vcc_lo, v21, v25, vcc_lo
	v_min_f32_e32 v16, v16, v17
	s_delay_alu instid0(VALU_DEP_1) | instskip(SKIP_3) | instid1(SALU_CYCLE_1)
	v_cvt_f64_f32_e32 v[16:17], v16
	global_store_b64 v[24:25], v[16:17], off
	s_or_b32 exec_lo, exec_lo, s16
	s_and_b32 s19, s1, s8
	s_and_saveexec_b32 s16, s19
	s_cbranch_execz .LBB173_305
.LBB173_315:
	v_cmp_ne_u32_e32 vcc_lo, 1, v18
	s_cbranch_vccnz .LBB173_317
; %bb.316:
	v_lshlrev_b64 v[16:17], 3, v[2:3]
	s_delay_alu instid0(VALU_DEP_1) | instskip(NEXT) | instid1(VALU_DEP_2)
	v_add_co_u32 v16, vcc_lo, v22, v16
	v_add_co_ci_u32_e32 v17, vcc_lo, v23, v17, vcc_lo
	flat_load_b64 v[16:17], v[16:17]
	s_waitcnt vmcnt(0) lgkmcnt(0)
	v_mul_f64 v[16:17], v[16:17], s[10:11]
	s_branch .LBB173_318
.LBB173_317:
	v_mov_b32_e32 v16, 0
	v_mov_b32_e32 v17, 0
.LBB173_318:
	s_delay_alu instid0(VALU_DEP_1) | instskip(SKIP_2) | instid1(VALU_DEP_1)
	v_cvt_f32_f64_e32 v16, v[16:17]
	v_max_f32_e32 v17, v80, v80
	v_lshlrev_b64 v[24:25], 3, v[2:3]
	v_add_co_u32 v24, vcc_lo, v20, v24
	s_delay_alu instid0(VALU_DEP_2) | instskip(NEXT) | instid1(VALU_DEP_4)
	v_add_co_ci_u32_e32 v25, vcc_lo, v21, v25, vcc_lo
	v_min_f32_e32 v16, v16, v17
	s_delay_alu instid0(VALU_DEP_1) | instskip(SKIP_3) | instid1(SALU_CYCLE_1)
	v_cvt_f64_f32_e32 v[16:17], v16
	global_store_b64 v[24:25], v[16:17], off
	s_or_b32 exec_lo, exec_lo, s16
	s_and_b32 s19, s2, s8
	s_and_saveexec_b32 s16, s19
	s_cbranch_execz .LBB173_306
.LBB173_319:
	v_cmp_ne_u32_e32 vcc_lo, 1, v18
	s_cbranch_vccnz .LBB173_321
; %bb.320:
	v_lshlrev_b64 v[16:17], 3, v[4:5]
	s_delay_alu instid0(VALU_DEP_1) | instskip(NEXT) | instid1(VALU_DEP_2)
	v_add_co_u32 v16, vcc_lo, v22, v16
	v_add_co_ci_u32_e32 v17, vcc_lo, v23, v17, vcc_lo
	flat_load_b64 v[16:17], v[16:17]
	s_waitcnt vmcnt(0) lgkmcnt(0)
	v_mul_f64 v[16:17], v[16:17], s[10:11]
	s_branch .LBB173_322
.LBB173_321:
	v_mov_b32_e32 v16, 0
	v_mov_b32_e32 v17, 0
.LBB173_322:
	s_delay_alu instid0(VALU_DEP_1) | instskip(SKIP_2) | instid1(VALU_DEP_1)
	v_cvt_f32_f64_e32 v16, v[16:17]
	v_max_f32_e32 v17, v79, v79
	v_lshlrev_b64 v[24:25], 3, v[4:5]
	v_add_co_u32 v24, vcc_lo, v20, v24
	s_delay_alu instid0(VALU_DEP_2) | instskip(NEXT) | instid1(VALU_DEP_4)
	v_add_co_ci_u32_e32 v25, vcc_lo, v21, v25, vcc_lo
	v_min_f32_e32 v16, v16, v17
	s_delay_alu instid0(VALU_DEP_1) | instskip(SKIP_3) | instid1(SALU_CYCLE_1)
	v_cvt_f64_f32_e32 v[16:17], v16
	global_store_b64 v[24:25], v[16:17], off
	s_or_b32 exec_lo, exec_lo, s16
	s_and_b32 s19, s3, s8
	s_and_saveexec_b32 s16, s19
	s_cbranch_execz .LBB173_307
.LBB173_323:
	v_cmp_ne_u32_e32 vcc_lo, 1, v18
	s_cbranch_vccnz .LBB173_325
; %bb.324:
	v_lshlrev_b64 v[16:17], 3, v[6:7]
	s_delay_alu instid0(VALU_DEP_1) | instskip(NEXT) | instid1(VALU_DEP_2)
	v_add_co_u32 v16, vcc_lo, v22, v16
	v_add_co_ci_u32_e32 v17, vcc_lo, v23, v17, vcc_lo
	flat_load_b64 v[16:17], v[16:17]
	s_waitcnt vmcnt(0) lgkmcnt(0)
	v_mul_f64 v[16:17], v[16:17], s[10:11]
	s_branch .LBB173_326
.LBB173_325:
	v_mov_b32_e32 v16, 0
	v_mov_b32_e32 v17, 0
.LBB173_326:
	s_delay_alu instid0(VALU_DEP_1) | instskip(SKIP_2) | instid1(VALU_DEP_1)
	v_cvt_f32_f64_e32 v16, v[16:17]
	v_max_f32_e32 v17, v78, v78
	v_lshlrev_b64 v[24:25], 3, v[6:7]
	v_add_co_u32 v24, vcc_lo, v20, v24
	s_delay_alu instid0(VALU_DEP_2) | instskip(NEXT) | instid1(VALU_DEP_4)
	v_add_co_ci_u32_e32 v25, vcc_lo, v21, v25, vcc_lo
	v_min_f32_e32 v16, v16, v17
	s_delay_alu instid0(VALU_DEP_1) | instskip(SKIP_3) | instid1(SALU_CYCLE_1)
	v_cvt_f64_f32_e32 v[16:17], v16
	global_store_b64 v[24:25], v[16:17], off
	s_or_b32 exec_lo, exec_lo, s16
	s_and_b32 s19, s4, s8
	s_and_saveexec_b32 s16, s19
	s_cbranch_execz .LBB173_308
.LBB173_327:
	v_cmp_ne_u32_e32 vcc_lo, 1, v18
	s_cbranch_vccnz .LBB173_329
; %bb.328:
	v_lshlrev_b64 v[16:17], 3, v[8:9]
	s_delay_alu instid0(VALU_DEP_1) | instskip(NEXT) | instid1(VALU_DEP_2)
	v_add_co_u32 v16, vcc_lo, v22, v16
	v_add_co_ci_u32_e32 v17, vcc_lo, v23, v17, vcc_lo
	flat_load_b64 v[16:17], v[16:17]
	s_waitcnt vmcnt(0) lgkmcnt(0)
	v_mul_f64 v[16:17], v[16:17], s[10:11]
	s_branch .LBB173_330
.LBB173_329:
	v_mov_b32_e32 v16, 0
	v_mov_b32_e32 v17, 0
.LBB173_330:
	s_delay_alu instid0(VALU_DEP_1) | instskip(SKIP_2) | instid1(VALU_DEP_1)
	v_cvt_f32_f64_e32 v16, v[16:17]
	v_max_f32_e32 v17, v77, v77
	v_lshlrev_b64 v[24:25], 3, v[8:9]
	v_add_co_u32 v24, vcc_lo, v20, v24
	s_delay_alu instid0(VALU_DEP_2) | instskip(NEXT) | instid1(VALU_DEP_4)
	v_add_co_ci_u32_e32 v25, vcc_lo, v21, v25, vcc_lo
	v_min_f32_e32 v16, v16, v17
	s_delay_alu instid0(VALU_DEP_1) | instskip(SKIP_3) | instid1(SALU_CYCLE_1)
	v_cvt_f64_f32_e32 v[16:17], v16
	global_store_b64 v[24:25], v[16:17], off
	s_or_b32 exec_lo, exec_lo, s16
	s_and_b32 s19, s5, s8
	s_and_saveexec_b32 s16, s19
	s_cbranch_execz .LBB173_309
.LBB173_331:
	v_cmp_ne_u32_e32 vcc_lo, 1, v18
	s_cbranch_vccnz .LBB173_333
; %bb.332:
	v_lshlrev_b64 v[16:17], 3, v[10:11]
	s_delay_alu instid0(VALU_DEP_1) | instskip(NEXT) | instid1(VALU_DEP_2)
	v_add_co_u32 v16, vcc_lo, v22, v16
	v_add_co_ci_u32_e32 v17, vcc_lo, v23, v17, vcc_lo
	flat_load_b64 v[16:17], v[16:17]
	s_waitcnt vmcnt(0) lgkmcnt(0)
	v_mul_f64 v[16:17], v[16:17], s[10:11]
	s_branch .LBB173_334
.LBB173_333:
	v_mov_b32_e32 v16, 0
	v_mov_b32_e32 v17, 0
.LBB173_334:
	s_delay_alu instid0(VALU_DEP_1) | instskip(SKIP_2) | instid1(VALU_DEP_1)
	v_cvt_f32_f64_e32 v16, v[16:17]
	v_max_f32_e32 v17, v76, v76
	v_lshlrev_b64 v[24:25], 3, v[10:11]
	v_add_co_u32 v24, vcc_lo, v20, v24
	s_delay_alu instid0(VALU_DEP_2) | instskip(NEXT) | instid1(VALU_DEP_4)
	v_add_co_ci_u32_e32 v25, vcc_lo, v21, v25, vcc_lo
	v_min_f32_e32 v16, v16, v17
	s_delay_alu instid0(VALU_DEP_1) | instskip(SKIP_3) | instid1(SALU_CYCLE_1)
	v_cvt_f64_f32_e32 v[16:17], v16
	global_store_b64 v[24:25], v[16:17], off
	s_or_b32 exec_lo, exec_lo, s16
	s_and_b32 s19, s6, s8
	s_and_saveexec_b32 s16, s19
	s_cbranch_execz .LBB173_310
.LBB173_335:
	v_cmp_ne_u32_e32 vcc_lo, 1, v18
	s_cbranch_vccnz .LBB173_337
; %bb.336:
	v_lshlrev_b64 v[16:17], 3, v[12:13]
	s_delay_alu instid0(VALU_DEP_1) | instskip(NEXT) | instid1(VALU_DEP_2)
	v_add_co_u32 v16, vcc_lo, v22, v16
	v_add_co_ci_u32_e32 v17, vcc_lo, v23, v17, vcc_lo
	flat_load_b64 v[16:17], v[16:17]
	s_waitcnt vmcnt(0) lgkmcnt(0)
	v_mul_f64 v[16:17], v[16:17], s[10:11]
	s_branch .LBB173_338
.LBB173_337:
	v_mov_b32_e32 v16, 0
	v_mov_b32_e32 v17, 0
.LBB173_338:
	s_delay_alu instid0(VALU_DEP_1) | instskip(SKIP_2) | instid1(VALU_DEP_1)
	v_cvt_f32_f64_e32 v16, v[16:17]
	v_max_f32_e32 v17, v75, v75
	v_lshlrev_b64 v[24:25], 3, v[12:13]
	v_add_co_u32 v24, vcc_lo, v20, v24
	s_delay_alu instid0(VALU_DEP_2) | instskip(NEXT) | instid1(VALU_DEP_4)
	v_add_co_ci_u32_e32 v25, vcc_lo, v21, v25, vcc_lo
	v_min_f32_e32 v16, v16, v17
	s_delay_alu instid0(VALU_DEP_1) | instskip(SKIP_3) | instid1(SALU_CYCLE_1)
	v_cvt_f64_f32_e32 v[16:17], v16
	global_store_b64 v[24:25], v[16:17], off
	s_or_b32 exec_lo, exec_lo, s16
	s_and_b32 s16, s7, s8
	s_and_saveexec_b32 s8, s16
	s_cbranch_execz .LBB173_343
.LBB173_339:
	v_cmp_ne_u32_e32 vcc_lo, 1, v18
	s_cbranch_vccnz .LBB173_341
; %bb.340:
	v_lshlrev_b64 v[16:17], 3, v[14:15]
	s_delay_alu instid0(VALU_DEP_1) | instskip(NEXT) | instid1(VALU_DEP_2)
	v_add_co_u32 v16, vcc_lo, v22, v16
	v_add_co_ci_u32_e32 v17, vcc_lo, v23, v17, vcc_lo
	flat_load_b64 v[16:17], v[16:17]
	s_waitcnt vmcnt(0) lgkmcnt(0)
	v_mul_f64 v[16:17], v[16:17], s[10:11]
	s_branch .LBB173_342
.LBB173_341:
	v_mov_b32_e32 v16, 0
	v_mov_b32_e32 v17, 0
.LBB173_342:
	s_delay_alu instid0(VALU_DEP_1) | instskip(SKIP_2) | instid1(VALU_DEP_1)
	v_cvt_f32_f64_e32 v16, v[16:17]
	v_max_f32_e32 v17, v74, v74
	v_lshlrev_b64 v[22:23], 3, v[14:15]
	v_add_co_u32 v20, vcc_lo, v20, v22
	s_delay_alu instid0(VALU_DEP_2) | instskip(NEXT) | instid1(VALU_DEP_4)
	v_add_co_ci_u32_e32 v21, vcc_lo, v21, v23, vcc_lo
	v_min_f32_e32 v16, v16, v17
	s_delay_alu instid0(VALU_DEP_1)
	v_cvt_f64_f32_e32 v[16:17], v16
	global_store_b64 v[20:21], v[16:17], off
.LBB173_343:
	s_or_b32 exec_lo, exec_lo, s8
	v_add_nc_u32_e32 v21, 0xe0, v19
	s_delay_alu instid0(VALU_DEP_1) | instskip(SKIP_2) | instid1(VALU_DEP_3)
	v_mad_i64_i32 v[16:17], null, v21, s18, 0
	v_mad_i64_i32 v[19:20], null, v21, s9, 0
	v_cmp_gt_i32_e64 s8, s17, v21
	v_lshlrev_b64 v[16:17], 3, v[16:17]
	s_delay_alu instid0(VALU_DEP_2) | instskip(NEXT) | instid1(VALU_DEP_3)
	s_and_b32 s9, s0, s8
	v_lshlrev_b64 v[21:22], 3, v[19:20]
	s_delay_alu instid0(VALU_DEP_2) | instskip(NEXT) | instid1(VALU_DEP_3)
	v_add_co_u32 v19, vcc_lo, s12, v16
	v_add_co_ci_u32_e32 v20, vcc_lo, s13, v17, vcc_lo
	s_delay_alu instid0(VALU_DEP_3) | instskip(NEXT) | instid1(VALU_DEP_4)
	v_add_co_u32 v16, vcc_lo, s14, v21
	v_add_co_ci_u32_e32 v17, vcc_lo, s15, v22, vcc_lo
	s_and_saveexec_b32 s0, s9
	s_cbranch_execnz .LBB173_352
; %bb.344:
	s_or_b32 exec_lo, exec_lo, s0
	s_and_b32 s1, s1, s8
	s_delay_alu instid0(SALU_CYCLE_1)
	s_and_saveexec_b32 s0, s1
	s_cbranch_execnz .LBB173_356
.LBB173_345:
	s_or_b32 exec_lo, exec_lo, s0
	s_and_b32 s1, s2, s8
	s_delay_alu instid0(SALU_CYCLE_1)
	s_and_saveexec_b32 s0, s1
	s_cbranch_execnz .LBB173_360
.LBB173_346:
	s_or_b32 exec_lo, exec_lo, s0
	s_and_b32 s1, s3, s8
	s_delay_alu instid0(SALU_CYCLE_1)
	s_and_saveexec_b32 s0, s1
	s_cbranch_execnz .LBB173_364
.LBB173_347:
	s_or_b32 exec_lo, exec_lo, s0
	s_and_b32 s1, s4, s8
	s_delay_alu instid0(SALU_CYCLE_1)
	s_and_saveexec_b32 s0, s1
	s_cbranch_execnz .LBB173_368
.LBB173_348:
	s_or_b32 exec_lo, exec_lo, s0
	s_and_b32 s1, s5, s8
	s_delay_alu instid0(SALU_CYCLE_1)
	s_and_saveexec_b32 s0, s1
	s_cbranch_execnz .LBB173_372
.LBB173_349:
	s_or_b32 exec_lo, exec_lo, s0
	s_and_b32 s1, s6, s8
	s_delay_alu instid0(SALU_CYCLE_1)
	s_and_saveexec_b32 s0, s1
	s_cbranch_execnz .LBB173_376
.LBB173_350:
	s_or_b32 exec_lo, exec_lo, s0
	s_and_b32 s0, s7, s8
	s_delay_alu instid0(SALU_CYCLE_1)
	s_and_saveexec_b32 s1, s0
	s_cbranch_execnz .LBB173_380
.LBB173_351:
	s_nop 0
	s_sendmsg sendmsg(MSG_DEALLOC_VGPRS)
	s_endpgm
.LBB173_352:
	v_cmp_ne_u32_e32 vcc_lo, 1, v18
	v_lshlrev_b64 v[0:1], 3, v[0:1]
	s_cbranch_vccnz .LBB173_354
; %bb.353:
	s_delay_alu instid0(VALU_DEP_1) | instskip(NEXT) | instid1(VALU_DEP_2)
	v_add_co_u32 v21, vcc_lo, v19, v0
	v_add_co_ci_u32_e32 v22, vcc_lo, v20, v1, vcc_lo
	flat_load_b64 v[21:22], v[21:22]
	s_waitcnt vmcnt(0) lgkmcnt(0)
	v_mul_f64 v[21:22], v[21:22], s[10:11]
	s_delay_alu instid0(VALU_DEP_1)
	v_cvt_f32_f64_e32 v21, v[21:22]
	s_branch .LBB173_355
.LBB173_354:
	v_mov_b32_e32 v21, 0
.LBB173_355:
	v_max_f32_e32 v22, v73, v73
	s_delay_alu instid0(VALU_DEP_2) | instskip(NEXT) | instid1(VALU_DEP_4)
	v_max_f32_e32 v21, v21, v21
	v_add_co_u32 v0, vcc_lo, v16, v0
	v_add_co_ci_u32_e32 v1, vcc_lo, v17, v1, vcc_lo
	s_delay_alu instid0(VALU_DEP_3) | instskip(NEXT) | instid1(VALU_DEP_1)
	v_min_f32_e32 v21, v21, v22
	v_cvt_f64_f32_e32 v[21:22], v21
	global_store_b64 v[0:1], v[21:22], off
	s_or_b32 exec_lo, exec_lo, s0
	s_and_b32 s1, s1, s8
	s_delay_alu instid0(SALU_CYCLE_1)
	s_and_saveexec_b32 s0, s1
	s_cbranch_execz .LBB173_345
.LBB173_356:
	v_cmp_ne_u32_e32 vcc_lo, 1, v18
	v_lshlrev_b64 v[0:1], 3, v[2:3]
	s_cbranch_vccnz .LBB173_358
; %bb.357:
	s_delay_alu instid0(VALU_DEP_1) | instskip(NEXT) | instid1(VALU_DEP_2)
	v_add_co_u32 v2, vcc_lo, v19, v0
	v_add_co_ci_u32_e32 v3, vcc_lo, v20, v1, vcc_lo
	flat_load_b64 v[2:3], v[2:3]
	s_waitcnt vmcnt(0) lgkmcnt(0)
	v_mul_f64 v[2:3], v[2:3], s[10:11]
	s_delay_alu instid0(VALU_DEP_1)
	v_cvt_f32_f64_e32 v2, v[2:3]
	s_branch .LBB173_359
.LBB173_358:
	v_mov_b32_e32 v2, 0
.LBB173_359:
	s_delay_alu instid0(VALU_DEP_1) | instskip(NEXT) | instid1(VALU_DEP_3)
	v_dual_max_f32 v3, v72, v72 :: v_dual_max_f32 v2, v2, v2
	v_add_co_u32 v0, vcc_lo, v16, v0
	s_delay_alu instid0(VALU_DEP_4) | instskip(NEXT) | instid1(VALU_DEP_3)
	v_add_co_ci_u32_e32 v1, vcc_lo, v17, v1, vcc_lo
	v_min_f32_e32 v2, v2, v3
	s_delay_alu instid0(VALU_DEP_1) | instskip(SKIP_3) | instid1(SALU_CYCLE_1)
	v_cvt_f64_f32_e32 v[2:3], v2
	global_store_b64 v[0:1], v[2:3], off
	s_or_b32 exec_lo, exec_lo, s0
	s_and_b32 s1, s2, s8
	s_and_saveexec_b32 s0, s1
	s_cbranch_execz .LBB173_346
.LBB173_360:
	v_cmp_ne_u32_e32 vcc_lo, 1, v18
	v_lshlrev_b64 v[0:1], 3, v[4:5]
	s_cbranch_vccnz .LBB173_362
; %bb.361:
	s_delay_alu instid0(VALU_DEP_1) | instskip(NEXT) | instid1(VALU_DEP_2)
	v_add_co_u32 v2, vcc_lo, v19, v0
	v_add_co_ci_u32_e32 v3, vcc_lo, v20, v1, vcc_lo
	flat_load_b64 v[2:3], v[2:3]
	s_waitcnt vmcnt(0) lgkmcnt(0)
	v_mul_f64 v[2:3], v[2:3], s[10:11]
	s_delay_alu instid0(VALU_DEP_1)
	v_cvt_f32_f64_e32 v2, v[2:3]
	s_branch .LBB173_363
.LBB173_362:
	v_mov_b32_e32 v2, 0
.LBB173_363:
	s_delay_alu instid0(VALU_DEP_1) | instskip(NEXT) | instid1(VALU_DEP_3)
	v_dual_max_f32 v3, v71, v71 :: v_dual_max_f32 v2, v2, v2
	v_add_co_u32 v0, vcc_lo, v16, v0
	s_delay_alu instid0(VALU_DEP_4) | instskip(NEXT) | instid1(VALU_DEP_3)
	v_add_co_ci_u32_e32 v1, vcc_lo, v17, v1, vcc_lo
	v_min_f32_e32 v2, v2, v3
	s_delay_alu instid0(VALU_DEP_1) | instskip(SKIP_3) | instid1(SALU_CYCLE_1)
	v_cvt_f64_f32_e32 v[2:3], v2
	global_store_b64 v[0:1], v[2:3], off
	s_or_b32 exec_lo, exec_lo, s0
	s_and_b32 s1, s3, s8
	s_and_saveexec_b32 s0, s1
	s_cbranch_execz .LBB173_347
.LBB173_364:
	v_cmp_ne_u32_e32 vcc_lo, 1, v18
	v_lshlrev_b64 v[0:1], 3, v[6:7]
	s_cbranch_vccnz .LBB173_366
; %bb.365:
	s_delay_alu instid0(VALU_DEP_1) | instskip(NEXT) | instid1(VALU_DEP_2)
	v_add_co_u32 v2, vcc_lo, v19, v0
	v_add_co_ci_u32_e32 v3, vcc_lo, v20, v1, vcc_lo
	flat_load_b64 v[2:3], v[2:3]
	s_waitcnt vmcnt(0) lgkmcnt(0)
	v_mul_f64 v[2:3], v[2:3], s[10:11]
	s_delay_alu instid0(VALU_DEP_1)
	v_cvt_f32_f64_e32 v2, v[2:3]
	s_branch .LBB173_367
.LBB173_366:
	v_mov_b32_e32 v2, 0
.LBB173_367:
	v_max_f32_e32 v3, v70, v70
	s_delay_alu instid0(VALU_DEP_2) | instskip(NEXT) | instid1(VALU_DEP_4)
	v_max_f32_e32 v2, v2, v2
	v_add_co_u32 v0, vcc_lo, v16, v0
	v_add_co_ci_u32_e32 v1, vcc_lo, v17, v1, vcc_lo
	s_delay_alu instid0(VALU_DEP_3) | instskip(NEXT) | instid1(VALU_DEP_1)
	v_min_f32_e32 v2, v2, v3
	v_cvt_f64_f32_e32 v[2:3], v2
	global_store_b64 v[0:1], v[2:3], off
	s_or_b32 exec_lo, exec_lo, s0
	s_and_b32 s1, s4, s8
	s_delay_alu instid0(SALU_CYCLE_1)
	s_and_saveexec_b32 s0, s1
	s_cbranch_execz .LBB173_348
.LBB173_368:
	v_cmp_ne_u32_e32 vcc_lo, 1, v18
	v_lshlrev_b64 v[0:1], 3, v[8:9]
	s_cbranch_vccnz .LBB173_370
; %bb.369:
	s_delay_alu instid0(VALU_DEP_1) | instskip(NEXT) | instid1(VALU_DEP_2)
	v_add_co_u32 v2, vcc_lo, v19, v0
	v_add_co_ci_u32_e32 v3, vcc_lo, v20, v1, vcc_lo
	flat_load_b64 v[2:3], v[2:3]
	s_waitcnt vmcnt(0) lgkmcnt(0)
	v_mul_f64 v[2:3], v[2:3], s[10:11]
	s_delay_alu instid0(VALU_DEP_1)
	v_cvt_f32_f64_e32 v2, v[2:3]
	s_branch .LBB173_371
.LBB173_370:
	v_mov_b32_e32 v2, 0
.LBB173_371:
	s_delay_alu instid0(VALU_DEP_1) | instskip(NEXT) | instid1(VALU_DEP_3)
	v_dual_max_f32 v3, v69, v69 :: v_dual_max_f32 v2, v2, v2
	v_add_co_u32 v0, vcc_lo, v16, v0
	s_delay_alu instid0(VALU_DEP_4) | instskip(NEXT) | instid1(VALU_DEP_3)
	v_add_co_ci_u32_e32 v1, vcc_lo, v17, v1, vcc_lo
	v_min_f32_e32 v2, v2, v3
	s_delay_alu instid0(VALU_DEP_1) | instskip(SKIP_3) | instid1(SALU_CYCLE_1)
	v_cvt_f64_f32_e32 v[2:3], v2
	global_store_b64 v[0:1], v[2:3], off
	s_or_b32 exec_lo, exec_lo, s0
	s_and_b32 s1, s5, s8
	s_and_saveexec_b32 s0, s1
	s_cbranch_execz .LBB173_349
.LBB173_372:
	v_cmp_ne_u32_e32 vcc_lo, 1, v18
	v_lshlrev_b64 v[0:1], 3, v[10:11]
	s_cbranch_vccnz .LBB173_374
; %bb.373:
	s_delay_alu instid0(VALU_DEP_1) | instskip(NEXT) | instid1(VALU_DEP_2)
	v_add_co_u32 v2, vcc_lo, v19, v0
	v_add_co_ci_u32_e32 v3, vcc_lo, v20, v1, vcc_lo
	flat_load_b64 v[2:3], v[2:3]
	s_waitcnt vmcnt(0) lgkmcnt(0)
	v_mul_f64 v[2:3], v[2:3], s[10:11]
	s_delay_alu instid0(VALU_DEP_1)
	v_cvt_f32_f64_e32 v2, v[2:3]
	s_branch .LBB173_375
.LBB173_374:
	v_mov_b32_e32 v2, 0
.LBB173_375:
	s_delay_alu instid0(VALU_DEP_1) | instskip(NEXT) | instid1(VALU_DEP_3)
	v_dual_max_f32 v3, v68, v68 :: v_dual_max_f32 v2, v2, v2
	v_add_co_u32 v0, vcc_lo, v16, v0
	s_delay_alu instid0(VALU_DEP_4) | instskip(NEXT) | instid1(VALU_DEP_3)
	v_add_co_ci_u32_e32 v1, vcc_lo, v17, v1, vcc_lo
	v_min_f32_e32 v2, v2, v3
	s_delay_alu instid0(VALU_DEP_1) | instskip(SKIP_3) | instid1(SALU_CYCLE_1)
	v_cvt_f64_f32_e32 v[2:3], v2
	global_store_b64 v[0:1], v[2:3], off
	s_or_b32 exec_lo, exec_lo, s0
	s_and_b32 s1, s6, s8
	s_and_saveexec_b32 s0, s1
	s_cbranch_execz .LBB173_350
.LBB173_376:
	v_cmp_ne_u32_e32 vcc_lo, 1, v18
	v_lshlrev_b64 v[0:1], 3, v[12:13]
	s_cbranch_vccnz .LBB173_378
; %bb.377:
	s_delay_alu instid0(VALU_DEP_1) | instskip(NEXT) | instid1(VALU_DEP_2)
	v_add_co_u32 v2, vcc_lo, v19, v0
	v_add_co_ci_u32_e32 v3, vcc_lo, v20, v1, vcc_lo
	flat_load_b64 v[2:3], v[2:3]
	s_waitcnt vmcnt(0) lgkmcnt(0)
	v_mul_f64 v[2:3], v[2:3], s[10:11]
	s_delay_alu instid0(VALU_DEP_1)
	v_cvt_f32_f64_e32 v2, v[2:3]
	s_branch .LBB173_379
.LBB173_378:
	v_mov_b32_e32 v2, 0
.LBB173_379:
	s_delay_alu instid0(VALU_DEP_1) | instskip(NEXT) | instid1(VALU_DEP_3)
	v_dual_max_f32 v3, v67, v67 :: v_dual_max_f32 v2, v2, v2
	v_add_co_u32 v0, vcc_lo, v16, v0
	s_delay_alu instid0(VALU_DEP_4) | instskip(NEXT) | instid1(VALU_DEP_3)
	v_add_co_ci_u32_e32 v1, vcc_lo, v17, v1, vcc_lo
	v_min_f32_e32 v2, v2, v3
	s_delay_alu instid0(VALU_DEP_1) | instskip(SKIP_3) | instid1(SALU_CYCLE_1)
	v_cvt_f64_f32_e32 v[2:3], v2
	global_store_b64 v[0:1], v[2:3], off
	s_or_b32 exec_lo, exec_lo, s0
	s_and_b32 s0, s7, s8
	s_and_saveexec_b32 s1, s0
	s_cbranch_execz .LBB173_351
.LBB173_380:
	v_cmp_ne_u32_e32 vcc_lo, 1, v18
	v_lshlrev_b64 v[0:1], 3, v[14:15]
	s_cbranch_vccnz .LBB173_382
; %bb.381:
	s_delay_alu instid0(VALU_DEP_1) | instskip(NEXT) | instid1(VALU_DEP_2)
	v_add_co_u32 v2, vcc_lo, v19, v0
	v_add_co_ci_u32_e32 v3, vcc_lo, v20, v1, vcc_lo
	flat_load_b64 v[2:3], v[2:3]
	s_waitcnt vmcnt(0) lgkmcnt(0)
	v_mul_f64 v[2:3], v[2:3], s[10:11]
	s_delay_alu instid0(VALU_DEP_1)
	v_cvt_f32_f64_e32 v2, v[2:3]
	s_branch .LBB173_383
.LBB173_382:
	v_mov_b32_e32 v2, 0
.LBB173_383:
	v_max_f32_e32 v3, v66, v66
	s_delay_alu instid0(VALU_DEP_2) | instskip(NEXT) | instid1(VALU_DEP_4)
	v_max_f32_e32 v2, v2, v2
	v_add_co_u32 v0, vcc_lo, v16, v0
	v_add_co_ci_u32_e32 v1, vcc_lo, v17, v1, vcc_lo
	s_delay_alu instid0(VALU_DEP_3) | instskip(NEXT) | instid1(VALU_DEP_1)
	v_min_f32_e32 v2, v2, v3
	v_cvt_f64_f32_e32 v[2:3], v2
	global_store_b64 v[0:1], v[2:3], off
	s_nop 0
	s_sendmsg sendmsg(MSG_DEALLOC_VGPRS)
	s_endpgm
	.section	.rodata,"a",@progbits
	.p2align	6, 0x0
	.amdhsa_kernel _ZN12_GLOBAL__N_120geam_min_plus_kernelId15HIP_vector_typeIdLj2EEdLi8ELi32ELi64ELi256ELi4ELi64ELi4ELi64ELi4ELc78ELc84ELb0ELb1ELb1EdKddEEviiiT16_PT17_ilS6_ilS4_S6_ilPT18_ili26rocblas_geam_ex_operation_
		.amdhsa_group_segment_fixed_size 20480
		.amdhsa_private_segment_fixed_size 0
		.amdhsa_kernarg_size 136
		.amdhsa_user_sgpr_count 14
		.amdhsa_user_sgpr_dispatch_ptr 0
		.amdhsa_user_sgpr_queue_ptr 0
		.amdhsa_user_sgpr_kernarg_segment_ptr 1
		.amdhsa_user_sgpr_dispatch_id 0
		.amdhsa_user_sgpr_private_segment_size 0
		.amdhsa_wavefront_size32 1
		.amdhsa_uses_dynamic_stack 0
		.amdhsa_enable_private_segment 0
		.amdhsa_system_sgpr_workgroup_id_x 1
		.amdhsa_system_sgpr_workgroup_id_y 0
		.amdhsa_system_sgpr_workgroup_id_z 1
		.amdhsa_system_sgpr_workgroup_info 0
		.amdhsa_system_vgpr_workitem_id 1
		.amdhsa_next_free_vgpr 153
		.amdhsa_next_free_sgpr 37
		.amdhsa_reserve_vcc 1
		.amdhsa_float_round_mode_32 0
		.amdhsa_float_round_mode_16_64 0
		.amdhsa_float_denorm_mode_32 3
		.amdhsa_float_denorm_mode_16_64 3
		.amdhsa_dx10_clamp 1
		.amdhsa_ieee_mode 1
		.amdhsa_fp16_overflow 0
		.amdhsa_workgroup_processor_mode 1
		.amdhsa_memory_ordered 1
		.amdhsa_forward_progress 0
		.amdhsa_shared_vgpr_count 0
		.amdhsa_exception_fp_ieee_invalid_op 0
		.amdhsa_exception_fp_denorm_src 0
		.amdhsa_exception_fp_ieee_div_zero 0
		.amdhsa_exception_fp_ieee_overflow 0
		.amdhsa_exception_fp_ieee_underflow 0
		.amdhsa_exception_fp_ieee_inexact 0
		.amdhsa_exception_int_div_zero 0
	.end_amdhsa_kernel
	.section	.text._ZN12_GLOBAL__N_120geam_min_plus_kernelId15HIP_vector_typeIdLj2EEdLi8ELi32ELi64ELi256ELi4ELi64ELi4ELi64ELi4ELc78ELc84ELb0ELb1ELb1EdKddEEviiiT16_PT17_ilS6_ilS4_S6_ilPT18_ili26rocblas_geam_ex_operation_,"axG",@progbits,_ZN12_GLOBAL__N_120geam_min_plus_kernelId15HIP_vector_typeIdLj2EEdLi8ELi32ELi64ELi256ELi4ELi64ELi4ELi64ELi4ELc78ELc84ELb0ELb1ELb1EdKddEEviiiT16_PT17_ilS6_ilS4_S6_ilPT18_ili26rocblas_geam_ex_operation_,comdat
.Lfunc_end173:
	.size	_ZN12_GLOBAL__N_120geam_min_plus_kernelId15HIP_vector_typeIdLj2EEdLi8ELi32ELi64ELi256ELi4ELi64ELi4ELi64ELi4ELc78ELc84ELb0ELb1ELb1EdKddEEviiiT16_PT17_ilS6_ilS4_S6_ilPT18_ili26rocblas_geam_ex_operation_, .Lfunc_end173-_ZN12_GLOBAL__N_120geam_min_plus_kernelId15HIP_vector_typeIdLj2EEdLi8ELi32ELi64ELi256ELi4ELi64ELi4ELi64ELi4ELc78ELc84ELb0ELb1ELb1EdKddEEviiiT16_PT17_ilS6_ilS4_S6_ilPT18_ili26rocblas_geam_ex_operation_
                                        ; -- End function
	.section	.AMDGPU.csdata,"",@progbits
; Kernel info:
; codeLenInByte = 24504
; NumSgprs: 39
; NumVgprs: 153
; ScratchSize: 0
; MemoryBound: 0
; FloatMode: 240
; IeeeMode: 1
; LDSByteSize: 20480 bytes/workgroup (compile time only)
; SGPRBlocks: 4
; VGPRBlocks: 19
; NumSGPRsForWavesPerEU: 39
; NumVGPRsForWavesPerEU: 153
; Occupancy: 9
; WaveLimiterHint : 0
; COMPUTE_PGM_RSRC2:SCRATCH_EN: 0
; COMPUTE_PGM_RSRC2:USER_SGPR: 14
; COMPUTE_PGM_RSRC2:TRAP_HANDLER: 0
; COMPUTE_PGM_RSRC2:TGID_X_EN: 1
; COMPUTE_PGM_RSRC2:TGID_Y_EN: 0
; COMPUTE_PGM_RSRC2:TGID_Z_EN: 1
; COMPUTE_PGM_RSRC2:TIDIG_COMP_CNT: 1
	.section	.text._ZN12_GLOBAL__N_120geam_min_plus_kernelId15HIP_vector_typeIdLj2EEdLi8ELi32ELi64ELi256ELi4ELi4ELi64ELi64ELi4ELc84ELc84ELb0ELb0ELb1EPKdS3_dEEviiiT16_PT17_ilS7_ilS5_S7_ilPT18_ili26rocblas_geam_ex_operation_,"axG",@progbits,_ZN12_GLOBAL__N_120geam_min_plus_kernelId15HIP_vector_typeIdLj2EEdLi8ELi32ELi64ELi256ELi4ELi4ELi64ELi64ELi4ELc84ELc84ELb0ELb0ELb1EPKdS3_dEEviiiT16_PT17_ilS7_ilS5_S7_ilPT18_ili26rocblas_geam_ex_operation_,comdat
	.globl	_ZN12_GLOBAL__N_120geam_min_plus_kernelId15HIP_vector_typeIdLj2EEdLi8ELi32ELi64ELi256ELi4ELi4ELi64ELi64ELi4ELc84ELc84ELb0ELb0ELb1EPKdS3_dEEviiiT16_PT17_ilS7_ilS5_S7_ilPT18_ili26rocblas_geam_ex_operation_ ; -- Begin function _ZN12_GLOBAL__N_120geam_min_plus_kernelId15HIP_vector_typeIdLj2EEdLi8ELi32ELi64ELi256ELi4ELi4ELi64ELi64ELi4ELc84ELc84ELb0ELb0ELb1EPKdS3_dEEviiiT16_PT17_ilS7_ilS5_S7_ilPT18_ili26rocblas_geam_ex_operation_
	.p2align	8
	.type	_ZN12_GLOBAL__N_120geam_min_plus_kernelId15HIP_vector_typeIdLj2EEdLi8ELi32ELi64ELi256ELi4ELi4ELi64ELi64ELi4ELc84ELc84ELb0ELb0ELb1EPKdS3_dEEviiiT16_PT17_ilS7_ilS5_S7_ilPT18_ili26rocblas_geam_ex_operation_,@function
_ZN12_GLOBAL__N_120geam_min_plus_kernelId15HIP_vector_typeIdLj2EEdLi8ELi32ELi64ELi256ELi4ELi4ELi64ELi64ELi4ELc84ELc84ELb0ELb0ELb1EPKdS3_dEEviiiT16_PT17_ilS7_ilS5_S7_ilPT18_ili26rocblas_geam_ex_operation_: ; @_ZN12_GLOBAL__N_120geam_min_plus_kernelId15HIP_vector_typeIdLj2EEdLi8ELi32ELi64ELi256ELi4ELi4ELi64ELi64ELi4ELc84ELc84ELb0ELb0ELb1EPKdS3_dEEviiiT16_PT17_ilS7_ilS5_S7_ilPT18_ili26rocblas_geam_ex_operation_
; %bb.0:
	s_clause 0x1
	s_load_b128 s[8:11], s[0:1], 0x10
	s_load_b128 s[4:7], s[0:1], 0x28
	s_mov_b32 s12, s15
	s_mov_b32 s13, 0
	s_mov_b64 s[22:23], 0
	s_lshl_b64 s[2:3], s[12:13], 3
	s_waitcnt lgkmcnt(0)
	s_add_u32 s8, s8, s2
	s_addc_u32 s9, s9, s3
	s_load_b64 s[20:21], s[8:9], 0x0
	s_clause 0x1
	s_load_b128 s[16:19], s[0:1], 0x40
	s_load_b64 s[24:25], s[0:1], 0x50
	s_waitcnt lgkmcnt(0)
	s_add_u32 s2, s18, s2
	v_cmp_eq_f64_e64 s8, s[20:21], 0
	v_cmp_neq_f64_e64 s13, s[20:21], 0
	s_addc_u32 s3, s19, s3
	s_mov_b64 s[18:19], 0
	s_delay_alu instid0(VALU_DEP_2)
	s_and_b32 vcc_lo, exec_lo, s8
	s_cbranch_vccnz .LBB174_2
; %bb.1:
	s_mul_i32 s5, s12, s5
	s_mul_hi_u32 s8, s12, s4
	s_mul_i32 s4, s12, s4
	s_add_i32 s5, s8, s5
	s_delay_alu instid0(SALU_CYCLE_1) | instskip(NEXT) | instid1(SALU_CYCLE_1)
	s_lshl_b64 s[4:5], s[4:5], 3
	s_add_u32 s22, s10, s4
	s_addc_u32 s23, s11, s5
.LBB174_2:
	s_load_b64 s[8:9], s[2:3], 0x0
	s_delay_alu instid0(VALU_DEP_1) | instskip(SKIP_1) | instid1(VALU_DEP_1)
	v_cndmask_b32_e64 v1, 0, 1, s13
	s_and_not1_b32 vcc_lo, exec_lo, s13
	v_cmp_ne_u32_e64 s3, 1, v1
	s_cbranch_vccnz .LBB174_4
; %bb.3:
	s_mul_i32 s2, s12, s17
	s_mul_hi_u32 s4, s12, s16
	s_delay_alu instid0(SALU_CYCLE_1) | instskip(SKIP_1) | instid1(SALU_CYCLE_1)
	s_add_i32 s5, s4, s2
	s_mul_i32 s4, s12, s16
	s_lshl_b64 s[4:5], s[4:5], 3
	s_delay_alu instid0(SALU_CYCLE_1)
	s_add_u32 s18, s6, s4
	s_addc_u32 s19, s7, s5
.LBB174_4:
	s_waitcnt lgkmcnt(0)
	v_cmp_eq_f64_e64 s2, s[8:9], 0
	s_load_b128 s[4:7], s[0:1], 0x60
	s_mov_b64 s[10:11], 0
	s_delay_alu instid0(VALU_DEP_1) | instskip(NEXT) | instid1(SALU_CYCLE_1)
	s_and_b32 s2, exec_lo, s2
	s_mov_b32 vcc_lo, s2
	s_cbranch_vccnz .LBB174_6
; %bb.5:
	s_waitcnt lgkmcnt(0)
	s_mul_i32 s5, s12, s5
	s_mul_hi_u32 s10, s12, s4
	s_mul_i32 s4, s12, s4
	s_add_i32 s5, s10, s5
	s_delay_alu instid0(SALU_CYCLE_1) | instskip(NEXT) | instid1(SALU_CYCLE_1)
	s_lshl_b64 s[4:5], s[4:5], 3
	s_add_u32 s10, s24, s4
	s_addc_u32 s11, s25, s5
.LBB174_6:
	s_waitcnt lgkmcnt(0)
	s_clause 0x1
	s_load_b32 s4, s[0:1], 0x0
	s_load_b32 s16, s[0:1], 0x20
	v_bfe_u32 v215, v0, 10, 10
	s_waitcnt lgkmcnt(0)
	s_add_i32 s4, s4, -1
	s_delay_alu instid0(SALU_CYCLE_1) | instskip(NEXT) | instid1(SALU_CYCLE_1)
	s_ashr_i32 s5, s4, 31
	s_lshr_b32 s5, s5, 26
	s_delay_alu instid0(SALU_CYCLE_1) | instskip(NEXT) | instid1(SALU_CYCLE_1)
	s_add_i32 s4, s4, s5
	s_ashr_i32 s4, s4, 6
	s_delay_alu instid0(SALU_CYCLE_1) | instskip(SKIP_2) | instid1(VALU_DEP_1)
	s_add_i32 s13, s4, 1
	s_not_b32 s4, s4
	v_cvt_f32_u32_e32 v1, s13
	v_rcp_iflag_f32_e32 v1, v1
	s_waitcnt_depctr 0xfff
	v_mul_f32_e32 v1, 0x4f7ffffe, v1
	s_delay_alu instid0(VALU_DEP_1) | instskip(NEXT) | instid1(VALU_DEP_1)
	v_cvt_u32_f32_e32 v1, v1
	v_readfirstlane_b32 s5, v1
	v_and_b32_e32 v1, 0x3ff, v0
	s_delay_alu instid0(VALU_DEP_2) | instskip(NEXT) | instid1(VALU_DEP_1)
	s_mul_i32 s4, s4, s5
	v_lshl_add_u32 v2, v215, 3, v1
	s_mul_hi_u32 s4, s5, s4
	v_and_b32_e32 v0, 3, v1
	s_add_i32 s5, s5, s4
	scratch_store_b32 off, v1, off          ; 4-byte Folded Spill
	s_mul_hi_u32 s4, s14, s5
	v_lshrrev_b32_e32 v24, 2, v2
	scratch_store_b32 off, v0, off offset:372 ; 4-byte Folded Spill
	s_mul_i32 s5, s4, s13
	s_add_i32 s15, s4, 1
	s_sub_i32 s5, s14, s5
	v_lshlrev_b32_e32 v25, 3, v0
	s_sub_i32 s17, s5, s13
	s_cmp_ge_u32 s5, s13
	s_cselect_b32 s4, s15, s4
	s_cselect_b32 s5, s17, s5
	s_add_i32 s15, s4, 1
	s_cmp_ge_u32 s5, s13
	s_cselect_b32 s5, s15, s4
	s_and_b32 vcc_lo, exec_lo, s3
	s_mul_i32 s4, s5, s13
	s_delay_alu instid0(SALU_CYCLE_1) | instskip(NEXT) | instid1(SALU_CYCLE_1)
	s_sub_i32 s4, s14, s4
	s_lshl_b32 s4, s4, 6
	s_delay_alu instid0(SALU_CYCLE_1)
	v_add_nc_u32_e32 v219, s4, v24
	s_cbranch_vccnz .LBB174_8
; %bb.7:
	s_delay_alu instid0(VALU_DEP_1) | instskip(NEXT) | instid1(VALU_DEP_1)
	v_mad_i64_i32 v[0:1], null, v219, s16, 0
	v_lshlrev_b64 v[0:1], 3, v[0:1]
	s_delay_alu instid0(VALU_DEP_1) | instskip(NEXT) | instid1(VALU_DEP_2)
	v_add_co_u32 v0, vcc_lo, s22, v0
	v_add_co_ci_u32_e32 v1, vcc_lo, s23, v1, vcc_lo
	s_delay_alu instid0(VALU_DEP_2) | instskip(NEXT) | instid1(VALU_DEP_2)
	v_add_co_u32 v0, vcc_lo, v0, v25
	v_add_co_ci_u32_e32 v1, vcc_lo, 0, v1, vcc_lo
	flat_load_b64 v[0:1], v[0:1]
	s_waitcnt vmcnt(0) lgkmcnt(0)
	v_mul_f64 v[0:1], s[20:21], v[0:1]
	s_branch .LBB174_9
.LBB174_8:
	v_mov_b32_e32 v0, 0
	v_mov_b32_e32 v1, 0
.LBB174_9:
	s_load_b32 s13, s[0:1], 0x38
	v_lshrrev_b32_e32 v5, 6, v2
	v_and_b32_e32 v77, 63, v2
	s_lshl_b32 s5, s5, 8
	scratch_store_b32 off, v5, off offset:376 ; 4-byte Folded Spill
	v_or_b32_e32 v22, s5, v77
	s_delay_alu instid0(VALU_DEP_1) | instskip(SKIP_3) | instid1(VALU_DEP_1)
	v_ashrrev_i32_e32 v23, 31, v22
	s_waitcnt lgkmcnt(0)
	v_mad_i64_i32 v[3:4], null, s13, v5, 0
	s_ashr_i32 s14, s13, 31
	v_lshlrev_b64 v[2:3], 3, v[3:4]
	s_delay_alu instid0(VALU_DEP_1) | instskip(NEXT) | instid1(VALU_DEP_2)
	v_add_co_u32 v6, vcc_lo, s18, v2
	v_add_co_ci_u32_e32 v7, vcc_lo, s19, v3, vcc_lo
	s_and_b32 vcc_lo, exec_lo, s3
	s_cbranch_vccnz .LBB174_13
; %bb.10:
	v_lshlrev_b64 v[2:3], 3, v[22:23]
	s_delay_alu instid0(VALU_DEP_1) | instskip(NEXT) | instid1(VALU_DEP_2)
	v_add_co_u32 v2, vcc_lo, v6, v2
	v_add_co_ci_u32_e32 v3, vcc_lo, v7, v3, vcc_lo
	s_clause 0x1
	flat_load_b64 v[8:9], v[2:3]
	flat_load_b64 v[10:11], v[2:3] offset:512
	s_waitcnt vmcnt(1) lgkmcnt(1)
	v_mul_f64 v[2:3], s[20:21], v[8:9]
	s_waitcnt vmcnt(0) lgkmcnt(0)
	v_mul_f64 v[16:17], s[20:21], v[10:11]
	s_and_b32 vcc_lo, exec_lo, s3
	s_cbranch_vccnz .LBB174_14
.LBB174_11:
	v_lshlrev_b64 v[8:9], 3, v[22:23]
	s_delay_alu instid0(VALU_DEP_1) | instskip(NEXT) | instid1(VALU_DEP_2)
	v_add_co_u32 v6, vcc_lo, v6, v8
	v_add_co_ci_u32_e32 v7, vcc_lo, v7, v9, vcc_lo
	s_clause 0x1
	flat_load_b64 v[8:9], v[6:7] offset:1024
	flat_load_b64 v[6:7], v[6:7] offset:1536
	s_waitcnt vmcnt(1) lgkmcnt(1)
	v_mul_f64 v[18:19], s[20:21], v[8:9]
	s_waitcnt vmcnt(0) lgkmcnt(0)
	v_mul_f64 v[20:21], s[20:21], v[6:7]
	s_and_b32 vcc_lo, exec_lo, s3
	s_cbranch_vccnz .LBB174_15
.LBB174_12:
	v_mad_i64_i32 v[6:7], null, v219, s16, 0
	s_delay_alu instid0(VALU_DEP_1) | instskip(NEXT) | instid1(VALU_DEP_1)
	v_lshlrev_b64 v[6:7], 3, v[6:7]
	v_add_co_u32 v4, vcc_lo, s22, v6
	s_delay_alu instid0(VALU_DEP_2) | instskip(NEXT) | instid1(VALU_DEP_2)
	v_add_co_ci_u32_e32 v5, vcc_lo, s23, v7, vcc_lo
	v_add_co_u32 v6, vcc_lo, v4, v25
	s_delay_alu instid0(VALU_DEP_2)
	v_add_co_ci_u32_e32 v7, vcc_lo, 0, v5, vcc_lo
	flat_load_b64 v[6:7], v[6:7] offset:32
	s_waitcnt vmcnt(0) lgkmcnt(0)
	v_mul_f64 v[4:5], s[20:21], v[6:7]
	s_branch .LBB174_16
.LBB174_13:
	v_mov_b32_e32 v2, 0
	v_dual_mov_b32 v3, 0 :: v_dual_mov_b32 v16, 0
	v_mov_b32_e32 v17, 0
	s_and_b32 vcc_lo, exec_lo, s3
	s_cbranch_vccz .LBB174_11
.LBB174_14:
	v_mov_b32_e32 v18, 0
	v_dual_mov_b32 v19, 0 :: v_dual_mov_b32 v20, 0
	v_mov_b32_e32 v21, 0
	s_and_b32 vcc_lo, exec_lo, s3
	s_cbranch_vccz .LBB174_12
.LBB174_15:
	v_mov_b32_e32 v4, 0
	v_mov_b32_e32 v5, 0
.LBB174_16:
	scratch_store_b64 off, v[4:5], off offset:300 ; 8-byte Folded Spill
	scratch_load_b32 v4, off, off offset:376 ; 4-byte Folded Reload
	s_waitcnt vmcnt(0)
	v_add_nc_u32_e32 v4, 4, v4
	s_delay_alu instid0(VALU_DEP_1) | instskip(SKIP_2) | instid1(VALU_DEP_1)
	v_mad_i64_i32 v[8:9], null, s13, v4, 0
	scratch_store_b32 off, v4, off offset:380 ; 4-byte Folded Spill
	v_lshlrev_b64 v[8:9], 3, v[8:9]
	v_add_co_u32 v12, vcc_lo, s18, v8
	s_delay_alu instid0(VALU_DEP_2)
	v_add_co_ci_u32_e32 v13, vcc_lo, s19, v9, vcc_lo
	s_and_b32 vcc_lo, exec_lo, s3
	s_cbranch_vccnz .LBB174_19
; %bb.17:
	v_lshlrev_b64 v[8:9], 3, v[22:23]
	s_delay_alu instid0(VALU_DEP_1) | instskip(NEXT) | instid1(VALU_DEP_2)
	v_add_co_u32 v8, vcc_lo, v12, v8
	v_add_co_ci_u32_e32 v9, vcc_lo, v13, v9, vcc_lo
	s_clause 0x1
	flat_load_b64 v[10:11], v[8:9]
	flat_load_b64 v[14:15], v[8:9] offset:512
	s_waitcnt vmcnt(1) lgkmcnt(1)
	v_mul_f64 v[4:5], s[20:21], v[10:11]
	scratch_store_b64 off, v[4:5], off offset:308 ; 8-byte Folded Spill
	s_waitcnt vmcnt(0) lgkmcnt(0)
	v_mul_f64 v[4:5], s[20:21], v[14:15]
	s_and_b32 vcc_lo, exec_lo, s3
	s_clause 0x1
	scratch_store_b64 off, v[4:5], off offset:316
	scratch_store_b64 off, v[22:23], off offset:340
	s_cbranch_vccnz .LBB174_20
.LBB174_18:
	v_lshlrev_b64 v[14:15], 3, v[22:23]
	s_delay_alu instid0(VALU_DEP_1) | instskip(NEXT) | instid1(VALU_DEP_2)
	v_add_co_u32 v12, vcc_lo, v12, v14
	v_add_co_ci_u32_e32 v13, vcc_lo, v13, v15, vcc_lo
	s_clause 0x1
	flat_load_b64 v[14:15], v[12:13] offset:1024
	flat_load_b64 v[26:27], v[12:13] offset:1536
	s_waitcnt vmcnt(1) lgkmcnt(1)
	v_mul_f64 v[4:5], s[20:21], v[14:15]
	scratch_store_b64 off, v[4:5], off offset:324 ; 8-byte Folded Spill
	s_waitcnt vmcnt(0) lgkmcnt(0)
	v_mul_f64 v[4:5], s[20:21], v[26:27]
	s_branch .LBB174_21
.LBB174_19:
	v_mov_b32_e32 v4, 0
	v_mov_b32_e32 v5, 0
	scratch_store_b64 off, v[4:5], off offset:308 ; 8-byte Folded Spill
	v_mov_b32_e32 v4, 0
	v_mov_b32_e32 v5, 0
	s_and_b32 vcc_lo, exec_lo, s3
	s_clause 0x1
	scratch_store_b64 off, v[4:5], off offset:316
	scratch_store_b64 off, v[22:23], off offset:340
	s_cbranch_vccz .LBB174_18
.LBB174_20:
	v_mov_b32_e32 v4, 0
	v_mov_b32_e32 v5, 0
	scratch_store_b64 off, v[4:5], off offset:324 ; 8-byte Folded Spill
	v_mov_b32_e32 v4, 0
	v_mov_b32_e32 v5, 0
.LBB174_21:
	scratch_store_b64 off, v[4:5], off offset:332 ; 8-byte Folded Spill
	scratch_load_b32 v4, off, off offset:376 ; 4-byte Folded Reload
	v_lshl_or_b32 v22, v24, 5, v25
	v_dual_mov_b32 v116, 0x7f800000 :: v_dual_mov_b32 v123, 0x7f800000
	v_dual_mov_b32 v122, 0x7f800000 :: v_dual_mov_b32 v129, 0x7f800000
	s_delay_alu instid0(VALU_DEP_3)
	v_add_nc_u32_e32 v5, 0x4000, v22
	v_dual_mov_b32 v126, 0x7f800000 :: v_dual_mov_b32 v137, 0x7f800000
	v_dual_mov_b32 v128, 0x7f800000 :: v_dual_mov_b32 v199, 0x7f800000
	scratch_store_b32 off, v5, off offset:388 ; 4-byte Folded Spill
	v_dual_mov_b32 v130, 0x7f800000 :: v_dual_mov_b32 v83, 0x7f800000
	v_dual_mov_b32 v82, 0x7f800000 :: v_dual_mov_b32 v203, 0x7f800000
	;; [unrolled: 1-line block ×17, first 2 shown]
	v_mov_b32_e32 v99, 0x7f800000
	v_dual_mov_b32 v55, 0x7f800000 :: v_dual_mov_b32 v238, 0x7f800000
	v_dual_mov_b32 v209, 0x7f800000 :: v_dual_mov_b32 v138, 0x7f800000
	v_dual_mov_b32 v95, 0x7f800000 :: v_dual_mov_b32 v26, 0x7f800000
	v_dual_mov_b32 v211, 0x7f800000 :: v_dual_mov_b32 v200, 0x7f800000
	v_dual_mov_b32 v213, 0x7f800000 :: v_dual_mov_b32 v134, 0x7f800000
	v_dual_mov_b32 v127, 0x7f800000 :: v_dual_mov_b32 v136, 0x7f800000
	v_dual_mov_b32 v133, 0x7f800000 :: v_dual_mov_b32 v140, 0x7f800000
	v_dual_mov_b32 v135, 0x7f800000 :: v_dual_mov_b32 v142, 0x7f800000
	v_mov_b32_e32 v139, 0x7f800000
	v_mov_b32_e32 v141, 0x7f800000
	;; [unrolled: 1-line block ×3, first 2 shown]
	s_mov_b32 s17, 0
	s_mov_b32 s15, -1
	s_waitcnt vmcnt(0)
	v_dual_mov_b32 v117, 0x7f800000 :: v_dual_lshlrev_b32 v4, 3, v4
	s_delay_alu instid0(VALU_DEP_1)
	v_lshl_add_u32 v4, v77, 5, v4
	ds_store_b64 v22, v[0:1] offset:16384
	ds_store_2addr_stride64_b64 v4, v[2:3], v[16:17] offset1:4
	ds_store_2addr_stride64_b64 v4, v[18:19], v[20:21] offset0:8 offset1:12
	v_mov_b32_e32 v20, 0x7f800000
	scratch_store_b32 off, v4, off offset:384 ; 4-byte Folded Spill
	s_waitcnt lgkmcnt(0)
	s_waitcnt_vscnt null, 0x0
	s_barrier
	buffer_gl0_inv
.LBB174_22:                             ; =>This Inner Loop Header: Depth=1
	scratch_load_b32 v0, off, off           ; 4-byte Folded Reload
	s_lshl_b32 s17, s17, 3
	v_dual_mov_b32 v21, v55 :: v_dual_mov_b32 v218, v190
	v_lshl_add_u32 v4, v215, 5, s17
	v_mov_b32_e32 v208, v99
	v_mov_b32_e32 v210, v95
	;; [unrolled: 1-line block ×3, first 2 shown]
	s_and_not1_b32 vcc_lo, exec_lo, s15
	s_mov_b32 s15, 0
	s_waitcnt vmcnt(0)
	v_lshl_add_u32 v5, v0, 5, s17
	s_mov_b32 s17, 2
	ds_load_b128 v[16:19], v4
	ds_load_b128 v[0:3], v5 offset:16384
	ds_load_b128 v[108:111], v5 offset:16640
	;; [unrolled: 1-line block ×3, first 2 shown]
	s_waitcnt lgkmcnt(2)
	v_add_f64 v[6:7], v[2:3], v[18:19]
	scratch_store_b64 off, v[6:7], off offset:36 ; 8-byte Folded Spill
	v_add_f64 v[6:7], v[0:1], v[16:17]
	scratch_store_b64 off, v[6:7], off offset:100 ; 8-byte Folded Spill
	s_waitcnt lgkmcnt(1)
	v_add_f64 v[6:7], v[110:111], v[18:19]
	scratch_store_b64 off, v[6:7], off offset:4 ; 8-byte Folded Spill
	v_add_f64 v[6:7], v[108:109], v[16:17]
	scratch_store_b64 off, v[6:7], off offset:68 ; 8-byte Folded Spill
	ds_load_b128 v[33:36], v5 offset:16896
	ds_load_b128 v[37:40], v5 offset:17152
	s_waitcnt lgkmcnt(1)
	v_add_f64 v[6:7], v[35:36], v[18:19]
	scratch_store_b64 off, v[6:7], off offset:44 ; 8-byte Folded Spill
	v_add_f64 v[6:7], v[33:34], v[16:17]
	scratch_store_b64 off, v[6:7], off offset:108 ; 8-byte Folded Spill
	s_waitcnt lgkmcnt(0)
	v_add_f64 v[6:7], v[39:40], v[18:19]
	scratch_store_b64 off, v[6:7], off offset:12 ; 8-byte Folded Spill
	v_add_f64 v[6:7], v[37:38], v[16:17]
	scratch_store_b64 off, v[6:7], off offset:76 ; 8-byte Folded Spill
	ds_load_b128 v[41:44], v5 offset:17408
	ds_load_b128 v[45:48], v5 offset:17664
	;; [unrolled: 1-line block ×4, first 2 shown]
	s_waitcnt lgkmcnt(3)
	v_add_f64 v[6:7], v[43:44], v[18:19]
	scratch_store_b64 off, v[6:7], off offset:52 ; 8-byte Folded Spill
	v_add_f64 v[6:7], v[41:42], v[16:17]
	scratch_store_b64 off, v[6:7], off offset:116 ; 8-byte Folded Spill
	s_waitcnt lgkmcnt(2)
	v_add_f64 v[6:7], v[47:48], v[18:19]
	scratch_store_b64 off, v[6:7], off offset:20 ; 8-byte Folded Spill
	v_add_f64 v[6:7], v[45:46], v[16:17]
	scratch_store_b64 off, v[6:7], off offset:84 ; 8-byte Folded Spill
	;; [unrolled: 5-line block ×4, first 2 shown]
	v_add_f64 v[5:6], v[2:3], v[31:32]
	scratch_store_b64 off, v[5:6], off offset:132 ; 8-byte Folded Spill
	v_add_f64 v[5:6], v[0:1], v[29:30]
	scratch_store_b64 off, v[5:6], off offset:140 ; 8-byte Folded Spill
	;; [unrolled: 2-line block ×16, first 2 shown]
	ds_load_b128 v[16:19], v4 offset:2048
	ds_load_b128 v[29:32], v4 offset:3072
	s_waitcnt lgkmcnt(1)
	v_add_f64 v[5:6], v[43:44], v[18:19]
	v_add_f64 v[102:103], v[2:3], v[18:19]
	;; [unrolled: 1-line block ×12, first 2 shown]
	s_waitcnt lgkmcnt(0)
	v_add_f64 v[179:180], v[2:3], v[31:32]
	v_add_f64 v[225:226], v[0:1], v[29:30]
	;; [unrolled: 1-line block ×16, first 2 shown]
	scratch_store_b64 off, v[5:6], off offset:292 ; 8-byte Folded Spill
	v_add_f64 v[5:6], v[47:48], v[18:19]
	scratch_store_b64 off, v[5:6], off offset:276 ; 8-byte Folded Spill
	v_add_f64 v[5:6], v[51:52], v[18:19]
	;; [unrolled: 2-line block ×4, first 2 shown]
	scratch_store_b64 off, v[5:6], off offset:284 ; 8-byte Folded Spill
	ds_load_b128 v[16:19], v4 offset:4096
	ds_load_b128 v[29:32], v4 offset:5120
	s_waitcnt lgkmcnt(1)
	v_add_f64 v[78:79], v[2:3], v[18:19]
	v_add_f64 v[6:7], v[0:1], v[16:17]
	;; [unrolled: 1-line block ×16, first 2 shown]
	s_waitcnt lgkmcnt(0)
	v_add_f64 v[173:174], v[2:3], v[31:32]
	v_add_f64 v[169:170], v[0:1], v[29:30]
	;; [unrolled: 1-line block ×16, first 2 shown]
	ds_load_b128 v[16:19], v4 offset:6144
	ds_load_b128 v[29:32], v4 offset:7168
	v_cvt_f32_f64_e32 v6, v[6:7]
	v_cvt_f32_f64_e32 v7, v[78:79]
	s_waitcnt lgkmcnt(1)
	v_add_f64 v[65:66], v[0:1], v[16:17]
	v_add_f64 v[88:89], v[108:109], v[16:17]
	v_add_f64 v[221:222], v[33:34], v[16:17]
	v_add_f64 v[112:113], v[37:38], v[16:17]
	v_add_f64 v[75:76], v[41:42], v[16:17]
	v_add_f64 v[124:125], v[45:46], v[16:17]
	v_add_f64 v[86:87], v[49:50], v[16:17]
	v_add_f64 v[16:17], v[53:54], v[16:17]
	s_waitcnt lgkmcnt(0)
	v_add_f64 v[0:1], v[0:1], v[29:30]
	v_add_f64 v[108:109], v[108:109], v[29:30]
	;; [unrolled: 1-line block ×8, first 2 shown]
	scratch_load_b64 v[53:54], off, off offset:100 ; 8-byte Folded Reload
	v_add_f64 v[4:5], v[2:3], v[18:19]
	v_add_f64 v[84:85], v[110:111], v[18:19]
	;; [unrolled: 1-line block ×16, first 2 shown]
	v_mov_b32_e32 v55, v21
	v_min3_f32 v197, v6, v7, v197
	v_cvt_f32_f64_e32 v6, v[10:11]
	v_cvt_f32_f64_e32 v7, v[8:9]
	;; [unrolled: 1-line block ×6, first 2 shown]
	v_min3_f32 v196, v6, v7, v196
	v_cvt_f32_f64_e32 v6, v[14:15]
	v_cvt_f32_f64_e32 v7, v[12:13]
	s_delay_alu instid0(VALU_DEP_4) | instskip(SKIP_2) | instid1(VALU_DEP_4)
	v_min3_f32 v137, v0, v1, v137
	v_cvt_f32_f64_e32 v0, v[108:109]
	v_cvt_f32_f64_e32 v1, v[110:111]
	v_min3_f32 v195, v6, v7, v195
	v_cvt_f32_f64_e32 v6, v[147:148]
	v_cvt_f32_f64_e32 v7, v[145:146]
	s_delay_alu instid0(VALU_DEP_4) | instskip(SKIP_2) | instid1(VALU_DEP_4)
	v_min3_f32 v129, v0, v1, v129
	v_cvt_f32_f64_e32 v0, v[33:34]
	v_cvt_f32_f64_e32 v1, v[35:36]
	;; [unrolled: 7-line block ×3, first 2 shown]
	v_min3_f32 v193, v6, v7, v193
	v_cvt_f32_f64_e32 v6, v[23:24]
	v_cvt_f32_f64_e32 v7, v[27:28]
	s_delay_alu instid0(VALU_DEP_4) | instskip(SKIP_2) | instid1(VALU_DEP_1)
	v_min3_f32 v126, v0, v1, v126
	v_cvt_f32_f64_e32 v0, v[41:42]
	v_cvt_f32_f64_e32 v1, v[43:44]
	v_min3_f32 v123, v0, v1, v123
	v_cvt_f32_f64_e32 v0, v[45:46]
	v_cvt_f32_f64_e32 v1, v[47:48]
	s_delay_alu instid0(VALU_DEP_1)
	v_min3_f32 v122, v0, v1, v122
	v_cvt_f32_f64_e32 v0, v[49:50]
	v_cvt_f32_f64_e32 v1, v[51:52]
	s_waitcnt vmcnt(0)
	v_cvt_f32_f64_e32 v21, v[53:54]
	scratch_load_b64 v[53:54], off, off offset:36 ; 8-byte Folded Reload
	v_min3_f32 v117, v0, v1, v117
	v_cvt_f32_f64_e32 v0, v[29:30]
	v_cvt_f32_f64_e32 v1, v[31:32]
	s_delay_alu instid0(VALU_DEP_1)
	v_min3_f32 v116, v0, v1, v116
	s_waitcnt vmcnt(0)
	v_cvt_f32_f64_e32 v25, v[53:54]
	scratch_load_b64 v[53:54], off, off offset:68 ; 8-byte Folded Reload
	v_min3_f32 v143, v21, v25, v143
	s_waitcnt vmcnt(0)
	v_cvt_f32_f64_e32 v21, v[53:54]
	scratch_load_b64 v[53:54], off, off offset:4 ; 8-byte Folded Reload
	s_waitcnt vmcnt(0)
	v_cvt_f32_f64_e32 v25, v[53:54]
	scratch_load_b64 v[53:54], off, off offset:108 ; 8-byte Folded Reload
	v_min3_f32 v142, v21, v25, v142
	s_waitcnt vmcnt(0)
	v_cvt_f32_f64_e32 v21, v[53:54]
	scratch_load_b64 v[53:54], off, off offset:44 ; 8-byte Folded Reload
	;; [unrolled: 7-line block ×15, first 2 shown]
	s_waitcnt vmcnt(0)
	v_cvt_f32_f64_e32 v25, v[53:54]
	scratch_load_b64 v[53:54], off, off offset:292 ; 8-byte Folded Reload
	v_min3_f32 v214, v21, v25, v214
	v_cvt_f32_f64_e32 v21, v[98:99]
	v_cvt_f32_f64_e32 v25, v[102:103]
	v_mov_b32_e32 v99, v208
	s_delay_alu instid0(VALU_DEP_2) | instskip(SKIP_3) | instid1(VALU_DEP_2)
	v_min3_f32 v213, v21, v25, v213
	v_cvt_f32_f64_e32 v21, v[94:95]
	v_cvt_f32_f64_e32 v25, v[175:176]
	v_mov_b32_e32 v95, v210
	v_min3_f32 v212, v21, v25, v212
	v_cvt_f32_f64_e32 v21, v[90:91]
	v_cvt_f32_f64_e32 v25, v[183:184]
	s_delay_alu instid0(VALU_DEP_1) | instskip(SKIP_2) | instid1(VALU_DEP_1)
	v_min3_f32 v211, v21, v25, v211
	v_cvt_f32_f64_e32 v21, v[177:178]
	v_cvt_f32_f64_e32 v25, v[187:188]
	v_min3_f32 v95, v21, v25, v95
	v_cvt_f32_f64_e32 v21, v[181:182]
	s_waitcnt vmcnt(0)
	v_cvt_f32_f64_e32 v25, v[53:54]
	scratch_load_b64 v[53:54], off, off offset:276 ; 8-byte Folded Reload
	v_min3_f32 v209, v21, v25, v209
	v_cvt_f32_f64_e32 v21, v[185:186]
	s_waitcnt vmcnt(0)
	v_cvt_f32_f64_e32 v25, v[53:54]
	scratch_load_b64 v[53:54], off, off offset:268 ; 8-byte Folded Reload
	v_min3_f32 v55, v21, v25, v55
	v_cvt_f32_f64_e32 v21, v[189:190]
	v_mov_b32_e32 v190, v218
	s_delay_alu instid0(VALU_DEP_1) | instskip(SKIP_3) | instid1(VALU_DEP_2)
	v_min3_f32 v190, v6, v7, v190
	v_cvt_f32_f64_e32 v6, v[120:121]
	v_cvt_f32_f64_e32 v7, v[63:64]
	v_mov_b32_e32 v63, v216
	v_min3_f32 v191, v6, v7, v191
	v_cvt_f32_f64_e32 v6, v[59:60]
	v_cvt_f32_f64_e32 v7, v[69:70]
	s_delay_alu instid0(VALU_DEP_1) | instskip(SKIP_2) | instid1(VALU_DEP_1)
	v_min3_f32 v220, v6, v7, v220
	v_cvt_f32_f64_e32 v6, v[169:170]
	v_cvt_f32_f64_e32 v7, v[173:174]
	v_min3_f32 v132, v6, v7, v132
	v_cvt_f32_f64_e32 v6, v[165:166]
	v_cvt_f32_f64_e32 v7, v[171:172]
	s_delay_alu instid0(VALU_DEP_1) | instskip(SKIP_2) | instid1(VALU_DEP_1)
	v_min3_f32 v131, v6, v7, v131
	v_cvt_f32_f64_e32 v6, v[161:162]
	v_cvt_f32_f64_e32 v7, v[167:168]
	v_min3_f32 v223, v6, v7, v223
	v_cvt_f32_f64_e32 v6, v[157:158]
	v_cvt_f32_f64_e32 v7, v[163:164]
	s_delay_alu instid0(VALU_DEP_1)
	v_min3_f32 v144, v6, v7, v144
	v_cvt_f32_f64_e32 v6, v[153:154]
	v_cvt_f32_f64_e32 v7, v[159:160]
	s_waitcnt vmcnt(0)
	v_cvt_f32_f64_e32 v25, v[53:54]
	scratch_load_b64 v[53:54], off, off offset:284 ; 8-byte Folded Reload
	v_min3_f32 v217, v6, v7, v217
	v_cvt_f32_f64_e32 v6, v[149:150]
	v_cvt_f32_f64_e32 v7, v[155:156]
	v_min3_f32 v99, v21, v25, v99
	s_delay_alu instid0(VALU_DEP_2) | instskip(SKIP_2) | instid1(VALU_DEP_1)
	v_min3_f32 v63, v6, v7, v63
	v_cvt_f32_f64_e32 v6, v[73:74]
	v_cvt_f32_f64_e32 v7, v[151:152]
	v_min3_f32 v255, v6, v7, v255
	v_cvt_f32_f64_e32 v6, v[71:72]
	v_cvt_f32_f64_e32 v7, v[61:62]
	s_delay_alu instid0(VALU_DEP_1) | instskip(SKIP_1) | instid1(VALU_DEP_1)
	v_min3_f32 v244, v6, v7, v244
	v_cvt_f32_f64_e32 v6, v[65:66]
	v_min3_f32 v241, v6, v4, v241
	v_cvt_f32_f64_e32 v4, v[88:89]
	s_delay_alu instid0(VALU_DEP_1) | instskip(SKIP_2) | instid1(VALU_DEP_1)
	v_min3_f32 v237, v4, v5, v237
	v_cvt_f32_f64_e32 v4, v[221:222]
	v_cvt_f32_f64_e32 v5, v[92:93]
	v_min3_f32 v204, v4, v5, v204
	v_cvt_f32_f64_e32 v4, v[112:113]
	v_cvt_f32_f64_e32 v5, v[96:97]
	s_delay_alu instid0(VALU_DEP_1)
	v_min3_f32 v203, v4, v5, v203
	v_cvt_f32_f64_e32 v4, v[75:76]
	v_cvt_f32_f64_e32 v5, v[100:101]
	s_waitcnt vmcnt(0)
	v_cvt_f32_f64_e32 v21, v[53:54]
	scratch_load_b64 v[53:54], off, off offset:260 ; 8-byte Folded Reload
	v_min3_f32 v83, v4, v5, v83
	v_cvt_f32_f64_e32 v4, v[124:125]
	v_cvt_f32_f64_e32 v5, v[106:107]
	s_delay_alu instid0(VALU_DEP_1) | instskip(SKIP_2) | instid1(VALU_DEP_1)
	v_min3_f32 v199, v4, v5, v199
	v_cvt_f32_f64_e32 v4, v[86:87]
	v_cvt_f32_f64_e32 v5, v[104:105]
	v_min3_f32 v82, v4, v5, v82
	v_cvt_f32_f64_e32 v4, v[16:17]
	v_cvt_f32_f64_e32 v5, v[18:19]
	s_delay_alu instid0(VALU_DEP_1) | instskip(SKIP_2) | instid1(VALU_DEP_1)
	v_min3_f32 v130, v4, v5, v130
	s_waitcnt vmcnt(0)
	v_cvt_f32_f64_e32 v25, v[53:54]
	v_min3_f32 v207, v21, v25, v207
	v_cvt_f32_f64_e32 v21, v[225:226]
	v_cvt_f32_f64_e32 v25, v[179:180]
	s_delay_alu instid0(VALU_DEP_1) | instskip(SKIP_2) | instid1(VALU_DEP_1)
	v_min3_f32 v206, v21, v25, v206
	v_cvt_f32_f64_e32 v21, v[229:230]
	v_cvt_f32_f64_e32 v25, v[227:228]
	v_min3_f32 v205, v21, v25, v205
	v_cvt_f32_f64_e32 v21, v[233:234]
	v_cvt_f32_f64_e32 v25, v[231:232]
	s_delay_alu instid0(VALU_DEP_1) | instskip(SKIP_2) | instid1(VALU_DEP_1)
	v_min3_f32 v242, v21, v25, v242
	v_cvt_f32_f64_e32 v21, v[80:81]
	;; [unrolled: 7-line block ×4, first 2 shown]
	v_cvt_f32_f64_e32 v25, v[251:252]
	v_min3_f32 v198, v21, v25, v198
	s_cbranch_vccz .LBB174_22
; %bb.23:
	scratch_load_b32 v1, off, off offset:376 ; 4-byte Folded Reload
	v_lshlrev_b32_e32 v0, 5, v77
	s_load_b32 s17, s[0:1], 0x8
	v_dual_mov_b32 v90, v214 :: v_dual_mov_b32 v105, v213
	v_dual_mov_b32 v104, v212 :: v_dual_mov_b32 v61, v205
	;; [unrolled: 1-line block ×8, first 2 shown]
	v_mov_b32_e32 v222, v131
	s_mov_b32 s15, 8
	s_waitcnt lgkmcnt(0)
	s_cmp_gt_i32 s17, 8
	s_waitcnt vmcnt(0)
	v_lshl_add_u32 v0, v1, 3, v0
	scratch_load_b64 v[1:2], off, off offset:300 ; 8-byte Folded Reload
	s_waitcnt vmcnt(0)
	ds_store_b64 v22, v[1:2] offset:18432
	s_clause 0x1
	scratch_load_b64 v[1:2], off, off offset:308
	scratch_load_b64 v[3:4], off, off offset:316
	s_waitcnt vmcnt(0)
	ds_store_2addr_stride64_b64 v0, v[1:2], v[3:4] offset0:16 offset1:20
	s_clause 0x1
	scratch_load_b64 v[1:2], off, off offset:324
	scratch_load_b64 v[3:4], off, off offset:332
	s_waitcnt vmcnt(0)
	ds_store_2addr_stride64_b64 v0, v[1:2], v[3:4] offset0:24 offset1:28
	s_waitcnt lgkmcnt(0)
	s_waitcnt_vscnt null, 0x0
	s_barrier
	buffer_gl0_inv
	scratch_store_b32 off, v215, off offset:4 ; 4-byte Folded Spill
	s_cbranch_scc0 .LBB174_49
; %bb.24:
	v_mad_i64_i32 v[1:2], null, v219, s16, 0
	v_dual_mov_b32 v70, v72 :: v_dual_add_nc_u32 v3, 0x4800, v22
	v_or_b32_e32 v0, 0x2000, v0
	s_add_i32 s16, s17, -8
	s_mov_b32 s17, 0
	scratch_store_b32 off, v3, off offset:392 ; 4-byte Folded Spill
	v_lshlrev_b64 v[1:2], 3, v[1:2]
	scratch_store_b32 off, v0, off offset:396 ; 4-byte Folded Spill
	v_mov_b32_e32 v62, v217
	v_add_co_u32 v0, vcc_lo, s22, v1
	v_add_co_ci_u32_e32 v1, vcc_lo, s23, v2, vcc_lo
	scratch_load_b64 v[2:3], off, off offset:340 ; 8-byte Folded Reload
	s_waitcnt vmcnt(0)
	v_lshlrev_b64 v[2:3], 3, v[2:3]
	s_clause 0x1
	scratch_store_b64 off, v[2:3], off offset:316
	scratch_store_b32 off, v0, off offset:400
	v_add_co_u32 v0, vcc_lo, v0, 32
	s_clause 0x1
	scratch_store_b32 off, v0, off offset:408
	scratch_store_b32 off, v1, off offset:404
	v_add_co_ci_u32_e32 v0, vcc_lo, 0, v1, vcc_lo
	v_mov_b32_e32 v1, 0
	s_clause 0x1
	scratch_store_b32 off, v0, off offset:412
	scratch_store_b64 off, v[0:1], off offset:324
.LBB174_25:                             ; =>This Loop Header: Depth=1
                                        ;     Child Loop BB174_35 Depth 2
                                        ;     Child Loop BB174_46 Depth 2
	v_dual_mov_b32 v72, v74 :: v_dual_mov_b32 v51, v104
	v_mov_b32_e32 v65, v98
	v_mov_b32_e32 v45, v90
	s_and_b32 vcc_lo, exec_lo, s3
	s_cbranch_vccnz .LBB174_27
; %bb.26:                               ;   in Loop: Header=BB174_25 Depth=1
	s_clause 0x1
	scratch_load_b32 v0, off, off offset:372
	scratch_load_b64 v[1:2], off, off offset:324
	s_waitcnt vmcnt(0)
	v_mov_b32_e32 v3, v2
	v_or_b32_e32 v2, s15, v0
	s_delay_alu instid0(VALU_DEP_2)
	v_mov_b32_e32 v1, v3
	scratch_store_b64 off, v[0:1], off offset:324 ; 8-byte Folded Spill
	v_lshlrev_b64 v[0:1], 3, v[2:3]
	scratch_load_b32 v2, off, off offset:400 ; 4-byte Folded Reload
	s_waitcnt vmcnt(0)
	v_add_co_u32 v0, vcc_lo, v2, v0
	scratch_load_b32 v2, off, off offset:404 ; 4-byte Folded Reload
	s_waitcnt vmcnt(0)
	v_add_co_ci_u32_e32 v1, vcc_lo, v2, v1, vcc_lo
	flat_load_b64 v[0:1], v[0:1]
	s_waitcnt vmcnt(0) lgkmcnt(0)
	v_mul_f64 v[0:1], s[20:21], v[0:1]
	s_branch .LBB174_28
.LBB174_27:                             ;   in Loop: Header=BB174_25 Depth=1
	v_mov_b32_e32 v0, 0
	v_mov_b32_e32 v1, 0
.LBB174_28:                             ;   in Loop: Header=BB174_25 Depth=1
	scratch_store_b64 off, v[0:1], off offset:292 ; 8-byte Folded Spill
	scratch_load_b32 v0, off, off offset:376 ; 4-byte Folded Reload
	s_waitcnt vmcnt(0)
	v_add_nc_u32_e32 v4, s15, v0
	s_delay_alu instid0(VALU_DEP_1) | instskip(NEXT) | instid1(VALU_DEP_1)
	v_mad_u64_u32 v[0:1], null, v4, s13, 0
	v_mad_u64_u32 v[2:3], null, v4, s14, v[1:2]
	v_mov_b32_e32 v74, v68
	v_mov_b32_e32 v68, v106
	s_delay_alu instid0(VALU_DEP_3) | instskip(NEXT) | instid1(VALU_DEP_1)
	v_mov_b32_e32 v1, v2
	v_lshlrev_b64 v[0:1], 3, v[0:1]
	s_delay_alu instid0(VALU_DEP_1) | instskip(NEXT) | instid1(VALU_DEP_2)
	v_add_co_u32 v0, vcc_lo, s18, v0
	v_add_co_ci_u32_e32 v1, vcc_lo, s19, v1, vcc_lo
	s_and_b32 vcc_lo, exec_lo, s3
	s_cbranch_vccnz .LBB174_30
; %bb.29:                               ;   in Loop: Header=BB174_25 Depth=1
	scratch_load_b64 v[2:3], off, off offset:316 ; 8-byte Folded Reload
	s_waitcnt vmcnt(0)
	v_add_co_u32 v2, vcc_lo, v0, v2
	v_add_co_ci_u32_e32 v3, vcc_lo, v1, v3, vcc_lo
	s_clause 0x1
	flat_load_b64 v[10:11], v[2:3]
	flat_load_b64 v[2:3], v[2:3] offset:512
	s_waitcnt vmcnt(1) lgkmcnt(1)
	v_mul_f64 v[4:5], s[20:21], v[10:11]
	s_waitcnt vmcnt(0) lgkmcnt(0)
	v_mul_f64 v[2:3], s[20:21], v[2:3]
	scratch_store_b64 off, v[4:5], off offset:300 ; 8-byte Folded Spill
	s_branch .LBB174_31
.LBB174_30:                             ;   in Loop: Header=BB174_25 Depth=1
	v_mov_b32_e32 v2, 0
	v_mov_b32_e32 v3, 0
	scratch_store_b64 off, v[2:3], off offset:300 ; 8-byte Folded Spill
	v_mov_b32_e32 v2, 0
	v_mov_b32_e32 v3, 0
.LBB174_31:                             ;   in Loop: Header=BB174_25 Depth=1
	v_mov_b32_e32 v44, v105
	v_mov_b32_e32 v50, v211
	;; [unrolled: 1-line block ×6, first 2 shown]
	s_and_b32 vcc_lo, exec_lo, s3
	scratch_store_b64 off, v[2:3], off offset:308 ; 8-byte Folded Spill
	s_cbranch_vccnz .LBB174_33
; %bb.32:                               ;   in Loop: Header=BB174_25 Depth=1
	scratch_load_b64 v[2:3], off, off offset:316 ; 8-byte Folded Reload
	s_waitcnt vmcnt(0)
	v_add_co_u32 v0, vcc_lo, v0, v2
	v_add_co_ci_u32_e32 v1, vcc_lo, v1, v3, vcc_lo
	s_clause 0x1
	flat_load_b64 v[2:3], v[0:1] offset:1024
	flat_load_b64 v[0:1], v[0:1] offset:1536
	s_waitcnt vmcnt(1) lgkmcnt(1)
	v_mul_f64 v[2:3], s[20:21], v[2:3]
	s_waitcnt vmcnt(0) lgkmcnt(0)
	v_mul_f64 v[0:1], s[20:21], v[0:1]
	scratch_store_b64 off, v[2:3], off offset:332 ; 8-byte Folded Spill
	s_branch .LBB174_34
.LBB174_33:                             ;   in Loop: Header=BB174_25 Depth=1
	v_mov_b32_e32 v0, 0
	v_mov_b32_e32 v1, 0
	scratch_store_b64 off, v[0:1], off offset:332 ; 8-byte Folded Spill
	v_mov_b32_e32 v0, 0
	v_mov_b32_e32 v1, 0
.LBB174_34:                             ;   in Loop: Header=BB174_25 Depth=1
	v_dual_mov_b32 v28, v61 :: v_dual_mov_b32 v53, v95
	v_mov_b32_e32 v54, v99
	s_mov_b32 s23, 0
	s_mov_b32 s22, -1
	scratch_store_b64 off, v[0:1], off offset:340 ; 8-byte Folded Spill
.LBB174_35:                             ;   Parent Loop BB174_25 Depth=1
                                        ; =>  This Inner Loop Header: Depth=2
	scratch_load_b32 v0, off, off           ; 4-byte Folded Reload
	s_lshl_b32 s23, s23, 3
	v_mov_b32_e32 v27, v190
	v_lshl_add_u32 v21, v215, 5, s23
	s_and_not1_b32 vcc_lo, exec_lo, s22
	s_mov_b32 s22, 0
	s_waitcnt vmcnt(0)
	v_lshl_add_u32 v4, v0, 5, s23
	s_mov_b32 s23, 2
	ds_load_b128 v[46:49], v21 offset:8192
	ds_load_b128 v[0:3], v4 offset:18432
	ds_load_b128 v[155:158], v4 offset:18688
	ds_load_b128 v[159:162], v21 offset:9216
	s_waitcnt lgkmcnt(2)
	v_add_f64 v[66:67], v[2:3], v[48:49]
	s_waitcnt lgkmcnt(1)
	v_add_f64 v[5:6], v[157:158], v[48:49]
	v_add_f64 v[145:146], v[0:1], v[46:47]
	s_delay_alu instid0(VALU_DEP_3)
	v_cvt_f32_f64_e32 v29, v[66:67]
	scratch_store_b64 off, v[5:6], off offset:12 ; 8-byte Folded Spill
	v_add_f64 v[5:6], v[155:156], v[46:47]
	scratch_store_b64 off, v[5:6], off offset:68 ; 8-byte Folded Spill
	ds_load_b128 v[163:166], v4 offset:18944
	ds_load_b128 v[167:170], v4 offset:19200
	s_waitcnt lgkmcnt(1)
	v_add_f64 v[5:6], v[165:166], v[48:49]
	scratch_store_b64 off, v[5:6], off offset:44 ; 8-byte Folded Spill
	v_add_f64 v[5:6], v[163:164], v[46:47]
	scratch_store_b64 off, v[5:6], off offset:100 ; 8-byte Folded Spill
	s_waitcnt lgkmcnt(0)
	v_add_f64 v[5:6], v[169:170], v[48:49]
	scratch_store_b64 off, v[5:6], off offset:20 ; 8-byte Folded Spill
	v_add_f64 v[5:6], v[167:168], v[46:47]
	scratch_store_b64 off, v[5:6], off offset:76 ; 8-byte Folded Spill
	ds_load_b128 v[171:174], v4 offset:19456
	ds_load_b128 v[175:178], v4 offset:19712
	s_waitcnt lgkmcnt(1)
	v_add_f64 v[5:6], v[173:174], v[48:49]
	scratch_store_b64 off, v[5:6], off offset:52 ; 8-byte Folded Spill
	v_add_f64 v[5:6], v[171:172], v[46:47]
	scratch_store_b64 off, v[5:6], off offset:108 ; 8-byte Folded Spill
	s_waitcnt lgkmcnt(0)
	v_add_f64 v[5:6], v[177:178], v[48:49]
	scratch_store_b64 off, v[5:6], off offset:28 ; 8-byte Folded Spill
	v_add_f64 v[5:6], v[175:176], v[46:47]
	scratch_store_b64 off, v[5:6], off offset:84 ; 8-byte Folded Spill
	ds_load_b128 v[179:182], v4 offset:19968
	ds_load_b128 v[183:186], v4 offset:20224
	;; [unrolled: 1-line block ×3, first 2 shown]
	s_waitcnt lgkmcnt(2)
	v_add_f64 v[4:5], v[181:182], v[48:49]
	s_waitcnt lgkmcnt(0)
	v_add_f64 v[36:37], v[2:3], v[189:190]
	v_add_f64 v[225:226], v[0:1], v[187:188]
	;; [unrolled: 1-line block ×16, first 2 shown]
	scratch_store_b64 off, v[4:5], off offset:60 ; 8-byte Folded Spill
	v_add_f64 v[4:5], v[179:180], v[46:47]
	scratch_store_b64 off, v[4:5], off offset:116 ; 8-byte Folded Spill
	v_add_f64 v[4:5], v[185:186], v[48:49]
	;; [unrolled: 2-line block ×19, first 2 shown]
	ds_load_b128 v[159:162], v21 offset:10240
	s_waitcnt lgkmcnt(0)
	v_add_f64 v[147:148], v[2:3], v[161:162]
	v_add_f64 v[108:109], v[0:1], v[159:160]
	;; [unrolled: 1-line block ×11, first 2 shown]
	scratch_store_b64 off, v[4:5], off offset:244 ; 8-byte Folded Spill
	v_add_f64 v[4:5], v[173:174], v[161:162]
	scratch_store_b64 off, v[4:5], off offset:284 ; 8-byte Folded Spill
	v_add_f64 v[4:5], v[177:178], v[161:162]
	;; [unrolled: 2-line block ×5, first 2 shown]
	scratch_store_b64 off, v[4:5], off offset:276 ; 8-byte Folded Spill
	ds_load_b128 v[159:162], v21 offset:12288
	ds_load_b128 v[187:190], v21 offset:13312
	s_waitcnt lgkmcnt(1)
	v_add_f64 v[149:150], v[157:158], v[161:162]
	v_add_f64 v[4:5], v[155:156], v[159:160]
	;; [unrolled: 1-line block ×16, first 2 shown]
	s_waitcnt lgkmcnt(0)
	v_add_f64 v[22:23], v[2:3], v[189:190]
	v_add_f64 v[24:25], v[0:1], v[187:188]
	;; [unrolled: 1-line block ×16, first 2 shown]
	ds_load_b128 v[159:162], v21 offset:14336
	ds_load_b128 v[187:190], v21 offset:15360
	scratch_load_b64 v[66:67], off, off offset:68 ; 8-byte Folded Reload
	v_cvt_f32_f64_e32 v21, v[145:146]
	v_cvt_f32_f64_e32 v4, v[4:5]
	;; [unrolled: 1-line block ×3, first 2 shown]
	s_waitcnt lgkmcnt(1)
	v_add_f64 v[102:103], v[2:3], v[161:162]
	v_add_f64 v[104:105], v[157:158], v[161:162]
	;; [unrolled: 1-line block ×8, first 2 shown]
	s_waitcnt lgkmcnt(0)
	v_add_f64 v[2:3], v[2:3], v[189:190]
	v_add_f64 v[157:158], v[157:158], v[189:190]
	;; [unrolled: 1-line block ×8, first 2 shown]
	v_mov_b32_e32 v190, v27
	v_add_f64 v[217:218], v[0:1], v[159:160]
	v_add_f64 v[213:214], v[155:156], v[159:160]
	;; [unrolled: 1-line block ×4, first 2 shown]
	v_min3_f32 v143, v21, v29, v143
	v_add_f64 v[0:1], v[0:1], v[187:188]
	v_add_f64 v[155:156], v[155:156], v[187:188]
	;; [unrolled: 1-line block ×5, first 2 shown]
	v_min3_f32 v72, v4, v5, v72
	v_cvt_f32_f64_e32 v4, v[8:9]
	v_cvt_f32_f64_e32 v5, v[10:11]
	v_add_f64 v[171:172], v[171:172], v[187:188]
	v_add_f64 v[197:198], v[175:176], v[159:160]
	;; [unrolled: 1-line block ×7, first 2 shown]
	v_cvt_f32_f64_e32 v0, v[0:1]
	v_cvt_f32_f64_e32 v1, v[2:3]
	v_min3_f32 v73, v4, v5, v73
	v_cvt_f32_f64_e32 v4, v[12:13]
	v_cvt_f32_f64_e32 v5, v[14:15]
	s_delay_alu instid0(VALU_DEP_4) | instskip(SKIP_2) | instid1(VALU_DEP_4)
	v_min3_f32 v137, v0, v1, v137
	v_cvt_f32_f64_e32 v0, v[155:156]
	v_cvt_f32_f64_e32 v1, v[157:158]
	v_min3_f32 v70, v4, v5, v70
	v_cvt_f32_f64_e32 v4, v[16:17]
	v_cvt_f32_f64_e32 v5, v[30:31]
	s_delay_alu instid0(VALU_DEP_4) | instskip(SKIP_2) | instid1(VALU_DEP_4)
	v_min3_f32 v129, v0, v1, v129
	;; [unrolled: 7-line block ×5, first 2 shown]
	v_cvt_f32_f64_e32 v0, v[175:176]
	v_cvt_f32_f64_e32 v1, v[177:178]
	v_min3_f32 v224, v4, v5, v224
	v_cvt_f32_f64_e32 v4, v[24:25]
	v_cvt_f32_f64_e32 v5, v[22:23]
	s_delay_alu instid0(VALU_DEP_4)
	v_min3_f32 v122, v0, v1, v122
	v_cvt_f32_f64_e32 v0, v[179:180]
	v_cvt_f32_f64_e32 v1, v[181:182]
	s_waitcnt vmcnt(0)
	v_cvt_f32_f64_e32 v21, v[66:67]
	scratch_load_b64 v[66:67], off, off offset:12 ; 8-byte Folded Reload
	v_min3_f32 v221, v4, v5, v221
	v_cvt_f32_f64_e32 v4, v[86:87]
	v_cvt_f32_f64_e32 v5, v[84:85]
	v_min3_f32 v117, v0, v1, v117
	v_cvt_f32_f64_e32 v0, v[183:184]
	v_cvt_f32_f64_e32 v1, v[185:186]
	s_delay_alu instid0(VALU_DEP_4) | instskip(SKIP_2) | instid1(VALU_DEP_4)
	v_min3_f32 v222, v4, v5, v222
	v_cvt_f32_f64_e32 v4, v[88:89]
	v_cvt_f32_f64_e32 v5, v[56:57]
	v_min3_f32 v116, v0, v1, v116
	s_delay_alu instid0(VALU_DEP_2) | instskip(SKIP_2) | instid1(VALU_DEP_1)
	v_min3_f32 v223, v4, v5, v223
	v_cvt_f32_f64_e32 v4, v[60:61]
	v_cvt_f32_f64_e32 v5, v[58:59]
	v_min3_f32 v144, v4, v5, v144
	v_cvt_f32_f64_e32 v4, v[90:91]
	v_cvt_f32_f64_e32 v5, v[6:7]
	s_delay_alu instid0(VALU_DEP_1) | instskip(SKIP_2) | instid1(VALU_DEP_1)
	v_min3_f32 v62, v4, v5, v62
	v_cvt_f32_f64_e32 v4, v[92:93]
	v_cvt_f32_f64_e32 v5, v[76:77]
	v_min3_f32 v63, v4, v5, v63
	v_cvt_f32_f64_e32 v4, v[96:97]
	v_cvt_f32_f64_e32 v5, v[94:95]
	s_delay_alu instid0(VALU_DEP_1) | instskip(SKIP_2) | instid1(VALU_DEP_1)
	;; [unrolled: 7-line block ×4, first 2 shown]
	v_min3_f32 v204, v4, v5, v204
	v_cvt_f32_f64_e32 v4, v[205:206]
	v_cvt_f32_f64_e32 v5, v[219:220]
	v_min3_f32 v203, v4, v5, v203
	v_cvt_f32_f64_e32 v5, v[215:216]
	scratch_load_b32 v215, off, off offset:4 ; 4-byte Folded Reload
	s_waitcnt vmcnt(1)
	v_cvt_f32_f64_e32 v29, v[66:67]
	scratch_load_b64 v[66:67], off, off offset:100 ; 8-byte Folded Reload
	v_cvt_f32_f64_e32 v4, v[201:202]
	v_min3_f32 v142, v21, v29, v142
	s_delay_alu instid0(VALU_DEP_2) | instskip(SKIP_2) | instid1(VALU_DEP_1)
	v_min3_f32 v83, v4, v5, v83
	v_cvt_f32_f64_e32 v4, v[197:198]
	v_cvt_f32_f64_e32 v5, v[211:212]
	v_min3_f32 v199, v4, v5, v199
	v_cvt_f32_f64_e32 v4, v[193:194]
	v_cvt_f32_f64_e32 v5, v[207:208]
	s_delay_alu instid0(VALU_DEP_1) | instskip(SKIP_2) | instid1(VALU_DEP_1)
	v_min3_f32 v82, v4, v5, v82
	v_cvt_f32_f64_e32 v4, v[159:160]
	v_cvt_f32_f64_e32 v5, v[161:162]
	v_min3_f32 v130, v4, v5, v130
	s_waitcnt vmcnt(0)
	v_cvt_f32_f64_e32 v21, v[66:67]
	scratch_load_b64 v[66:67], off, off offset:44 ; 8-byte Folded Reload
	s_waitcnt vmcnt(0)
	v_cvt_f32_f64_e32 v29, v[66:67]
	scratch_load_b64 v[66:67], off, off offset:76 ; 8-byte Folded Reload
	v_min3_f32 v141, v21, v29, v141
	s_waitcnt vmcnt(0)
	v_cvt_f32_f64_e32 v21, v[66:67]
	scratch_load_b64 v[66:67], off, off offset:20 ; 8-byte Folded Reload
	s_waitcnt vmcnt(0)
	v_cvt_f32_f64_e32 v29, v[66:67]
	scratch_load_b64 v[66:67], off, off offset:108 ; 8-byte Folded Reload
	;; [unrolled: 7-line block ×13, first 2 shown]
	v_min3_f32 v20, v21, v27, v20
	s_waitcnt vmcnt(0)
	v_cvt_f32_f64_e32 v21, v[66:67]
	scratch_load_b64 v[66:67], off, off offset:236 ; 8-byte Folded Reload
	s_waitcnt vmcnt(0)
	v_cvt_f32_f64_e32 v27, v[66:67]
	s_delay_alu instid0(VALU_DEP_1) | instskip(SKIP_2) | instid1(VALU_DEP_1)
	v_min3_f32 v45, v21, v27, v45
	v_cvt_f32_f64_e32 v21, v[108:109]
	v_cvt_f32_f64_e32 v27, v[147:148]
	v_min3_f32 v44, v21, v27, v44
	v_cvt_f32_f64_e32 v27, v[34:35]
	scratch_load_b64 v[34:35], off, off offset:284 ; 8-byte Folded Reload
	v_cvt_f32_f64_e32 v21, v[110:111]
	s_delay_alu instid0(VALU_DEP_1) | instskip(SKIP_2) | instid1(VALU_DEP_1)
	v_min3_f32 v51, v21, v27, v51
	v_cvt_f32_f64_e32 v21, v[112:113]
	v_cvt_f32_f64_e32 v27, v[38:39]
	v_min3_f32 v50, v21, v27, v50
	v_cvt_f32_f64_e32 v21, v[195:196]
	v_cvt_f32_f64_e32 v27, v[42:43]
	s_delay_alu instid0(VALU_DEP_1)
	v_min3_f32 v53, v21, v27, v53
	v_cvt_f32_f64_e32 v21, v[40:41]
	s_waitcnt vmcnt(0)
	v_cvt_f32_f64_e32 v27, v[34:35]
	scratch_load_b64 v[34:35], off, off offset:268 ; 8-byte Folded Reload
	v_min3_f32 v52, v21, v27, v52
	v_cvt_f32_f64_e32 v21, v[46:47]
	s_waitcnt vmcnt(0)
	v_cvt_f32_f64_e32 v27, v[34:35]
	scratch_load_b64 v[34:35], off, off offset:260 ; 8-byte Folded Reload
	;; [unrolled: 5-line block ×3, first 2 shown]
	v_min3_f32 v54, v21, v27, v54
	s_waitcnt vmcnt(0)
	v_cvt_f32_f64_e32 v21, v[34:35]
	scratch_load_b64 v[34:35], off, off offset:252 ; 8-byte Folded Reload
	s_waitcnt vmcnt(0)
	v_cvt_f32_f64_e32 v27, v[34:35]
	s_delay_alu instid0(VALU_DEP_1) | instskip(SKIP_2) | instid1(VALU_DEP_1)
	v_min3_f32 v65, v21, v27, v65
	v_cvt_f32_f64_e32 v21, v[225:226]
	v_cvt_f32_f64_e32 v27, v[36:37]
	v_min3_f32 v64, v21, v27, v64
	v_cvt_f32_f64_e32 v21, v[229:230]
	v_cvt_f32_f64_e32 v27, v[227:228]
	s_delay_alu instid0(VALU_DEP_1) | instskip(SKIP_2) | instid1(VALU_DEP_1)
	v_min3_f32 v28, v21, v27, v28
	v_cvt_f32_f64_e32 v21, v[233:234]
	v_cvt_f32_f64_e32 v27, v[231:232]
	v_min3_f32 v242, v21, v27, v242
	v_cvt_f32_f64_e32 v21, v[80:81]
	;; [unrolled: 7-line block ×4, first 2 shown]
	v_cvt_f32_f64_e32 v27, v[251:252]
	s_delay_alu instid0(VALU_DEP_1) | instskip(SKIP_2) | instid1(VALU_DEP_1)
	v_min3_f32 v74, v21, v27, v74
	v_cvt_f32_f64_e32 v21, v[151:152]
	v_cvt_f32_f64_e32 v27, v[153:154]
	v_min3_f32 v75, v21, v27, v75
	s_cbranch_vccz .LBB174_35
; %bb.36:                               ;   in Loop: Header=BB174_25 Depth=1
	s_clause 0x1
	scratch_load_b32 v0, off, off offset:388
	scratch_load_b64 v[1:2], off, off offset:292
	v_dual_mov_b32 v100, v53 :: v_dual_mov_b32 v91, v54
	v_mov_b32_e32 v61, v28
	s_and_b32 vcc_lo, exec_lo, s3
	s_waitcnt vmcnt(0)
	ds_store_b64 v0, v[1:2]
	s_clause 0x2
	scratch_load_b32 v0, off, off offset:384
	scratch_load_b64 v[1:2], off, off offset:300
	scratch_load_b64 v[3:4], off, off offset:308
	s_waitcnt vmcnt(0)
	ds_store_2addr_stride64_b64 v0, v[1:2], v[3:4] offset1:4
	s_clause 0x1
	scratch_load_b64 v[1:2], off, off offset:332
	scratch_load_b64 v[3:4], off, off offset:340
	s_waitcnt vmcnt(0)
	ds_store_2addr_stride64_b64 v0, v[1:2], v[3:4] offset0:8 offset1:12
	s_waitcnt lgkmcnt(0)
	s_waitcnt_vscnt null, 0x0
	s_barrier
	buffer_gl0_inv
	s_cbranch_vccnz .LBB174_38
; %bb.37:                               ;   in Loop: Header=BB174_25 Depth=1
	s_clause 0x1
	scratch_load_b32 v0, off, off offset:372
	scratch_load_b64 v[1:2], off, off offset:324
	s_waitcnt vmcnt(0)
	v_mov_b32_e32 v3, v2
	v_or_b32_e32 v2, s15, v0
	s_delay_alu instid0(VALU_DEP_2)
	v_mov_b32_e32 v1, v3
	scratch_store_b64 off, v[0:1], off offset:324 ; 8-byte Folded Spill
	v_lshlrev_b64 v[0:1], 3, v[2:3]
	scratch_load_b32 v2, off, off offset:408 ; 4-byte Folded Reload
	s_waitcnt vmcnt(0)
	v_add_co_u32 v0, vcc_lo, v2, v0
	scratch_load_b32 v2, off, off offset:412 ; 4-byte Folded Reload
	s_waitcnt vmcnt(0)
	v_add_co_ci_u32_e32 v1, vcc_lo, v2, v1, vcc_lo
	flat_load_b64 v[0:1], v[0:1]
	s_waitcnt vmcnt(0) lgkmcnt(0)
	v_mul_f64 v[0:1], s[20:21], v[0:1]
	s_branch .LBB174_39
.LBB174_38:                             ;   in Loop: Header=BB174_25 Depth=1
	v_mov_b32_e32 v0, 0
	v_mov_b32_e32 v1, 0
.LBB174_39:                             ;   in Loop: Header=BB174_25 Depth=1
	scratch_store_b64 off, v[0:1], off offset:332 ; 8-byte Folded Spill
	scratch_load_b32 v0, off, off offset:380 ; 4-byte Folded Reload
	v_mov_b32_e32 v107, v192
	v_mov_b32_e32 v60, v64
	;; [unrolled: 1-line block ×5, first 2 shown]
	s_waitcnt vmcnt(0)
	v_add_nc_u32_e32 v4, s15, v0
	s_delay_alu instid0(VALU_DEP_1) | instskip(NEXT) | instid1(VALU_DEP_1)
	v_mad_u64_u32 v[0:1], null, v4, s13, 0
	v_mad_u64_u32 v[2:3], null, v4, s14, v[1:2]
	s_delay_alu instid0(VALU_DEP_1) | instskip(NEXT) | instid1(VALU_DEP_1)
	v_dual_mov_b32 v220, v224 :: v_dual_mov_b32 v1, v2
	v_lshlrev_b64 v[0:1], 3, v[0:1]
	s_delay_alu instid0(VALU_DEP_1) | instskip(NEXT) | instid1(VALU_DEP_2)
	v_add_co_u32 v0, vcc_lo, s18, v0
	v_add_co_ci_u32_e32 v1, vcc_lo, s19, v1, vcc_lo
	s_and_b32 vcc_lo, exec_lo, s3
	s_cbranch_vccnz .LBB174_41
; %bb.40:                               ;   in Loop: Header=BB174_25 Depth=1
	scratch_load_b64 v[2:3], off, off offset:316 ; 8-byte Folded Reload
	s_waitcnt vmcnt(0)
	v_add_co_u32 v2, vcc_lo, v0, v2
	v_add_co_ci_u32_e32 v3, vcc_lo, v1, v3, vcc_lo
	s_clause 0x1
	flat_load_b64 v[10:11], v[2:3]
	flat_load_b64 v[2:3], v[2:3] offset:512
	s_waitcnt vmcnt(1) lgkmcnt(1)
	v_mul_f64 v[4:5], s[20:21], v[10:11]
	s_waitcnt vmcnt(0) lgkmcnt(0)
	v_mul_f64 v[2:3], s[20:21], v[2:3]
	scratch_store_b64 off, v[4:5], off offset:340 ; 8-byte Folded Spill
	s_branch .LBB174_42
.LBB174_41:                             ;   in Loop: Header=BB174_25 Depth=1
	v_mov_b32_e32 v2, 0
	v_mov_b32_e32 v3, 0
	scratch_store_b64 off, v[2:3], off offset:340 ; 8-byte Folded Spill
	v_mov_b32_e32 v2, 0
	v_mov_b32_e32 v3, 0
.LBB174_42:                             ;   in Loop: Header=BB174_25 Depth=1
	v_dual_mov_b32 v103, v242 :: v_dual_mov_b32 v74, v72
	v_dual_mov_b32 v90, v45 :: v_dual_mov_b32 v99, v55
	v_mov_b32_e32 v104, v51
	v_mov_b32_e32 v98, v65
	v_mov_b32_e32 v72, v70
	v_mov_b32_e32 v70, v190
	v_mov_b32_e32 v40, v144
	v_mov_b32_e32 v144, v62
	s_and_b32 vcc_lo, exec_lo, s3
	scratch_store_b64 off, v[2:3], off offset:348 ; 8-byte Folded Spill
	s_cbranch_vccnz .LBB174_44
; %bb.43:                               ;   in Loop: Header=BB174_25 Depth=1
	scratch_load_b64 v[2:3], off, off offset:316 ; 8-byte Folded Reload
	s_waitcnt vmcnt(0)
	v_add_co_u32 v0, vcc_lo, v0, v2
	v_add_co_ci_u32_e32 v1, vcc_lo, v1, v3, vcc_lo
	s_clause 0x1
	flat_load_b64 v[2:3], v[0:1] offset:1024
	flat_load_b64 v[0:1], v[0:1] offset:1536
	s_waitcnt vmcnt(1) lgkmcnt(1)
	v_mul_f64 v[2:3], s[20:21], v[2:3]
	s_waitcnt vmcnt(0) lgkmcnt(0)
	v_mul_f64 v[0:1], s[20:21], v[0:1]
	scratch_store_b64 off, v[2:3], off offset:356 ; 8-byte Folded Spill
	s_branch .LBB174_45
.LBB174_44:                             ;   in Loop: Header=BB174_25 Depth=1
	v_mov_b32_e32 v0, 0
	v_mov_b32_e32 v1, 0
	scratch_store_b64 off, v[0:1], off offset:356 ; 8-byte Folded Spill
	v_mov_b32_e32 v0, 0
	v_mov_b32_e32 v1, 0
.LBB174_45:                             ;   in Loop: Header=BB174_25 Depth=1
	v_dual_mov_b32 v254, v63 :: v_dual_mov_b32 v95, v50
	v_mov_b32_e32 v38, v191
	v_mov_b32_e32 v102, v243
	;; [unrolled: 1-line block ×3, first 2 shown]
	s_mov_b32 s23, 0
	s_mov_b32 s22, -1
	scratch_store_b64 off, v[0:1], off offset:364 ; 8-byte Folded Spill
.LBB174_46:                             ;   Parent Loop BB174_25 Depth=1
                                        ; =>  This Inner Loop Header: Depth=2
	scratch_load_b32 v0, off, off           ; 4-byte Folded Reload
	s_lshl_b32 s23, s23, 3
	v_dual_mov_b32 v10, v237 :: v_dual_mov_b32 v205, v116
	v_lshl_add_u32 v25, v215, 5, s23
	v_dual_mov_b32 v240, v244 :: v_dual_mov_b32 v239, v129
	v_mov_b32_e32 v116, v128
	s_and_not1_b32 vcc_lo, exec_lo, s22
	s_mov_b32 s22, 0
	s_waitcnt vmcnt(0)
	v_lshl_add_u32 v4, v0, 5, s23
	s_mov_b32 s23, 2
	ds_load_b128 v[46:49], v25
	ds_load_b128 v[0:3], v4 offset:16384
	ds_load_b128 v[155:158], v4 offset:16640
	;; [unrolled: 1-line block ×3, first 2 shown]
	s_waitcnt lgkmcnt(2)
	v_add_f64 v[62:63], v[2:3], v[48:49]
	s_waitcnt lgkmcnt(1)
	v_add_f64 v[5:6], v[157:158], v[48:49]
	v_add_f64 v[76:77], v[0:1], v[46:47]
	s_delay_alu instid0(VALU_DEP_3)
	v_cvt_f32_f64_e32 v41, v[62:63]
	scratch_store_b64 off, v[5:6], off offset:12 ; 8-byte Folded Spill
	v_add_f64 v[5:6], v[155:156], v[46:47]
	scratch_store_b64 off, v[5:6], off offset:68 ; 8-byte Folded Spill
	ds_load_b128 v[163:166], v4 offset:16896
	ds_load_b128 v[167:170], v4 offset:17152
	s_waitcnt lgkmcnt(1)
	v_add_f64 v[5:6], v[165:166], v[48:49]
	scratch_store_b64 off, v[5:6], off offset:44 ; 8-byte Folded Spill
	v_add_f64 v[5:6], v[163:164], v[46:47]
	scratch_store_b64 off, v[5:6], off offset:100 ; 8-byte Folded Spill
	s_waitcnt lgkmcnt(0)
	v_add_f64 v[5:6], v[169:170], v[48:49]
	scratch_store_b64 off, v[5:6], off offset:20 ; 8-byte Folded Spill
	v_add_f64 v[5:6], v[167:168], v[46:47]
	scratch_store_b64 off, v[5:6], off offset:76 ; 8-byte Folded Spill
	ds_load_b128 v[171:174], v4 offset:17408
	ds_load_b128 v[175:178], v4 offset:17664
	s_waitcnt lgkmcnt(1)
	v_add_f64 v[5:6], v[173:174], v[48:49]
	scratch_store_b64 off, v[5:6], off offset:52 ; 8-byte Folded Spill
	v_add_f64 v[5:6], v[171:172], v[46:47]
	scratch_store_b64 off, v[5:6], off offset:108 ; 8-byte Folded Spill
	s_waitcnt lgkmcnt(0)
	v_add_f64 v[5:6], v[177:178], v[48:49]
	;; [unrolled: 12-line block ×3, first 2 shown]
	scratch_store_b64 off, v[4:5], off offset:36 ; 8-byte Folded Spill
	v_add_f64 v[4:5], v[183:184], v[46:47]
	scratch_store_b64 off, v[4:5], off offset:92 ; 8-byte Folded Spill
	v_add_f64 v[4:5], v[2:3], v[161:162]
	;; [unrolled: 2-line block ×17, first 2 shown]
	scratch_store_b64 off, v[4:5], off offset:244 ; 8-byte Folded Spill
	ds_load_b128 v[159:162], v25 offset:2048
	ds_load_b128 v[187:190], v25 offset:3072
	s_waitcnt lgkmcnt(1)
	v_add_f64 v[4:5], v[169:170], v[161:162]
	v_add_f64 v[78:79], v[2:3], v[161:162]
	;; [unrolled: 1-line block ×9, first 2 shown]
	s_waitcnt lgkmcnt(0)
	v_add_f64 v[145:146], v[2:3], v[189:190]
	v_add_f64 v[147:148], v[0:1], v[187:188]
	;; [unrolled: 1-line block ×16, first 2 shown]
	scratch_store_b64 off, v[4:5], off offset:300 ; 8-byte Folded Spill
	v_add_f64 v[4:5], v[173:174], v[161:162]
	v_cvt_f32_f64_e32 v23, v[23:24]
	v_cvt_f32_f64_e32 v24, v[193:194]
	;; [unrolled: 1-line block ×6, first 2 shown]
	scratch_store_b64 off, v[4:5], off offset:284 ; 8-byte Folded Spill
	v_add_f64 v[4:5], v[177:178], v[161:162]
	v_min3_f32 v102, v23, v24, v102
	v_min3_f32 v107, v21, v22, v107
	;; [unrolled: 1-line block ×3, first 2 shown]
	v_cvt_f32_f64_e32 v18, v[208:209]
	v_cvt_f32_f64_e32 v19, v[206:207]
	scratch_store_b64 off, v[4:5], off offset:268 ; 8-byte Folded Spill
	v_add_f64 v[4:5], v[175:176], v[159:160]
	v_min3_f32 v69, v18, v19, v69
	v_cvt_f32_f64_e32 v18, v[212:213]
	v_cvt_f32_f64_e32 v19, v[210:211]
	scratch_store_b64 off, v[4:5], off offset:308 ; 8-byte Folded Spill
	v_add_f64 v[4:5], v[181:182], v[161:162]
	v_min3_f32 v68, v18, v19, v68
	scratch_store_b64 off, v[4:5], off offset:260 ; 8-byte Folded Spill
	v_add_f64 v[4:5], v[179:180], v[159:160]
	scratch_store_b64 off, v[4:5], off offset:292 ; 8-byte Folded Spill
	v_add_f64 v[4:5], v[185:186], v[161:162]
	;; [unrolled: 2-line block ×3, first 2 shown]
	scratch_store_b64 off, v[4:5], off offset:276 ; 8-byte Folded Spill
	ds_load_b128 v[159:162], v25 offset:4096
	ds_load_b128 v[187:190], v25 offset:5120
	s_waitcnt lgkmcnt(1)
	v_add_f64 v[214:215], v[2:3], v[161:162]
	v_add_f64 v[216:217], v[0:1], v[159:160]
	;; [unrolled: 1-line block ×16, first 2 shown]
	s_waitcnt lgkmcnt(0)
	v_add_f64 v[246:247], v[2:3], v[189:190]
	v_add_f64 v[248:249], v[0:1], v[187:188]
	;; [unrolled: 1-line block ×16, first 2 shown]
	ds_load_b128 v[159:162], v25 offset:6144
	ds_load_b128 v[187:190], v25 offset:7168
	scratch_load_b64 v[62:63], off, off offset:68 ; 8-byte Folded Reload
	v_cvt_f32_f64_e32 v25, v[76:77]
	v_cvt_f32_f64_e32 v19, v[214:215]
	;; [unrolled: 1-line block ×3, first 2 shown]
	scratch_load_b32 v215, off, off offset:4 ; 4-byte Folded Reload
	s_waitcnt lgkmcnt(1)
	v_add_f64 v[112:113], v[2:3], v[161:162]
	v_add_f64 v[6:7], v[0:1], v[159:160]
	;; [unrolled: 1-line block ×4, first 2 shown]
	s_waitcnt lgkmcnt(0)
	v_add_f64 v[2:3], v[2:3], v[189:190]
	v_add_f64 v[0:1], v[0:1], v[187:188]
	v_add_f64 v[114:115], v[165:166], v[161:162]
	v_add_f64 v[64:65], v[163:164], v[159:160]
	v_add_f64 v[157:158], v[157:158], v[189:190]
	v_add_f64 v[155:156], v[155:156], v[187:188]
	v_add_f64 v[128:129], v[167:168], v[159:160]
	v_add_f64 v[165:166], v[165:166], v[189:190]
	v_cvt_f32_f64_e32 v4, v[4:5]
	v_cvt_f32_f64_e32 v5, v[42:43]
	v_add_f64 v[163:164], v[163:164], v[187:188]
	v_add_f64 v[66:67], v[169:170], v[161:162]
	;; [unrolled: 1-line block ×7, first 2 shown]
	v_min3_f32 v143, v25, v41, v143
	v_add_f64 v[171:172], v[171:172], v[187:188]
	v_add_f64 v[242:243], v[177:178], v[161:162]
	;; [unrolled: 1-line block ×4, first 2 shown]
	v_min3_f32 v75, v18, v19, v75
	v_cvt_f32_f64_e32 v18, v[46:47]
	v_cvt_f32_f64_e32 v19, v[218:219]
	v_add_f64 v[175:176], v[175:176], v[187:188]
	v_add_f64 v[131:132], v[181:182], v[161:162]
	;; [unrolled: 1-line block ×9, first 2 shown]
	v_cvt_f32_f64_e32 v0, v[0:1]
	v_cvt_f32_f64_e32 v1, v[2:3]
	v_min3_f32 v144, v4, v5, v144
	v_cvt_f32_f64_e32 v4, v[14:15]
	v_cvt_f32_f64_e32 v5, v[16:17]
	v_min3_f32 v74, v18, v19, v74
	;; [unrolled: 3-line block ×5, first 2 shown]
	v_cvt_f32_f64_e32 v18, v[228:229]
	v_cvt_f32_f64_e32 v19, v[226:227]
	s_delay_alu instid0(VALU_DEP_4) | instskip(SKIP_2) | instid1(VALU_DEP_4)
	v_min3_f32 v255, v4, v5, v255
	v_cvt_f32_f64_e32 v4, v[195:196]
	v_cvt_f32_f64_e32 v5, v[110:111]
	v_min3_f32 v72, v18, v19, v72
	v_cvt_f32_f64_e32 v18, v[232:233]
	v_cvt_f32_f64_e32 v19, v[230:231]
	s_delay_alu instid0(VALU_DEP_1)
	v_min3_f32 v71, v18, v19, v71
	v_cvt_f32_f64_e32 v18, v[236:237]
	v_mov_b32_e32 v237, v10
	v_cvt_f32_f64_e32 v19, v[234:235]
	v_cvt_f32_f64_e32 v10, v[8:9]
	;; [unrolled: 1-line block ×4, first 2 shown]
	s_delay_alu instid0(VALU_DEP_4) | instskip(SKIP_4) | instid1(VALU_DEP_3)
	v_min3_f32 v70, v18, v19, v70
	v_cvt_f32_f64_e32 v18, v[52:53]
	v_cvt_f32_f64_e32 v19, v[54:55]
	v_min3_f32 v223, v10, v8, v223
	v_cvt_f32_f64_e32 v8, v[34:35]
	v_min3_f32 v38, v18, v19, v38
	v_cvt_f32_f64_e32 v18, v[244:245]
	v_mov_b32_e32 v244, v240
	v_cvt_f32_f64_e32 v19, v[56:57]
	v_min3_f32 v40, v8, v9, v40
	s_delay_alu instid0(VALU_DEP_3)
	v_min3_f32 v244, v4, v5, v244
	v_cvt_f32_f64_e32 v4, v[6:7]
	v_cvt_f32_f64_e32 v5, v[112:113]
	s_waitcnt vmcnt(1)
	v_cvt_f32_f64_e32 v25, v[62:63]
	scratch_load_b64 v[62:63], off, off offset:12 ; 8-byte Folded Reload
	v_min3_f32 v220, v18, v19, v220
	v_cvt_f32_f64_e32 v18, v[248:249]
	v_cvt_f32_f64_e32 v19, v[246:247]
	v_min3_f32 v241, v4, v5, v241
	v_cvt_f32_f64_e32 v4, v[27:28]
	v_cvt_f32_f64_e32 v5, v[11:12]
	s_delay_alu instid0(VALU_DEP_4) | instskip(SKIP_2) | instid1(VALU_DEP_4)
	v_min3_f32 v221, v18, v19, v221
	v_cvt_f32_f64_e32 v18, v[252:253]
	v_cvt_f32_f64_e32 v19, v[250:251]
	v_min3_f32 v237, v4, v5, v237
	v_cvt_f32_f64_e32 v4, v[64:65]
	v_cvt_f32_f64_e32 v5, v[114:115]
	s_delay_alu instid0(VALU_DEP_4) | instskip(NEXT) | instid1(VALU_DEP_2)
	v_min3_f32 v222, v18, v19, v222
	v_min3_f32 v204, v4, v5, v204
	v_cvt_f32_f64_e32 v4, v[128:129]
	v_dual_mov_b32 v129, v239 :: v_dual_mov_b32 v128, v116
	v_cvt_f32_f64_e32 v5, v[66:67]
	v_mov_b32_e32 v116, v205
	s_delay_alu instid0(VALU_DEP_3)
	v_min3_f32 v129, v0, v1, v129
	v_cvt_f32_f64_e32 v0, v[163:164]
	v_cvt_f32_f64_e32 v1, v[165:166]
	v_min3_f32 v203, v4, v5, v203
	v_cvt_f32_f64_e32 v4, v[120:121]
	v_cvt_f32_f64_e32 v5, v[118:119]
	s_delay_alu instid0(VALU_DEP_4) | instskip(SKIP_2) | instid1(VALU_DEP_4)
	v_min3_f32 v128, v0, v1, v128
	v_cvt_f32_f64_e32 v0, v[167:168]
	v_cvt_f32_f64_e32 v1, v[169:170]
	v_min3_f32 v83, v4, v5, v83
	v_cvt_f32_f64_e32 v4, v[124:125]
	v_cvt_f32_f64_e32 v5, v[242:243]
	s_delay_alu instid0(VALU_DEP_4) | instskip(SKIP_2) | instid1(VALU_DEP_4)
	;; [unrolled: 7-line block ×4, first 2 shown]
	v_min3_f32 v122, v0, v1, v122
	v_cvt_f32_f64_e32 v0, v[179:180]
	v_cvt_f32_f64_e32 v1, v[181:182]
	v_min3_f32 v130, v4, v5, v130
	s_delay_alu instid0(VALU_DEP_2)
	v_min3_f32 v117, v0, v1, v117
	v_cvt_f32_f64_e32 v0, v[183:184]
	v_cvt_f32_f64_e32 v1, v[185:186]
	s_waitcnt vmcnt(0)
	v_cvt_f32_f64_e32 v41, v[62:63]
	scratch_load_b64 v[62:63], off, off offset:100 ; 8-byte Folded Reload
	v_min3_f32 v116, v0, v1, v116
	v_min3_f32 v142, v25, v41, v142
	s_waitcnt vmcnt(0)
	v_cvt_f32_f64_e32 v25, v[62:63]
	scratch_load_b64 v[62:63], off, off offset:44 ; 8-byte Folded Reload
	s_waitcnt vmcnt(0)
	v_cvt_f32_f64_e32 v41, v[62:63]
	scratch_load_b64 v[62:63], off, off offset:76 ; 8-byte Folded Reload
	v_min3_f32 v141, v25, v41, v141
	s_waitcnt vmcnt(0)
	v_cvt_f32_f64_e32 v25, v[62:63]
	scratch_load_b64 v[62:63], off, off offset:20 ; 8-byte Folded Reload
	s_waitcnt vmcnt(0)
	v_cvt_f32_f64_e32 v41, v[62:63]
	scratch_load_b64 v[62:63], off, off offset:108 ; 8-byte Folded Reload
	;; [unrolled: 7-line block ×13, first 2 shown]
	v_min3_f32 v20, v25, v33, v20
	s_waitcnt vmcnt(0)
	v_cvt_f32_f64_e32 v25, v[62:63]
	scratch_load_b64 v[62:63], off, off offset:236 ; 8-byte Folded Reload
	s_waitcnt vmcnt(0)
	v_cvt_f32_f64_e32 v33, v[62:63]
	s_delay_alu instid0(VALU_DEP_1) | instskip(SKIP_3) | instid1(VALU_DEP_1)
	v_min3_f32 v90, v25, v33, v90
	v_cvt_f32_f64_e32 v25, v[31:32]
	scratch_load_b64 v[31:32], off, off offset:300 ; 8-byte Folded Reload
	v_cvt_f32_f64_e32 v33, v[78:79]
	v_min3_f32 v105, v25, v33, v105
	v_cvt_f32_f64_e32 v25, v[84:85]
	v_cvt_f32_f64_e32 v33, v[58:59]
	s_delay_alu instid0(VALU_DEP_1) | instskip(SKIP_2) | instid1(VALU_DEP_1)
	v_min3_f32 v104, v25, v33, v104
	v_cvt_f32_f64_e32 v25, v[88:89]
	v_cvt_f32_f64_e32 v33, v[86:87]
	v_min3_f32 v95, v25, v33, v95
	v_cvt_f32_f64_e32 v25, v[92:93]
	s_waitcnt vmcnt(0)
	v_cvt_f32_f64_e32 v33, v[31:32]
	scratch_load_b64 v[31:32], off, off offset:284 ; 8-byte Folded Reload
	v_min3_f32 v100, v25, v33, v100
	v_cvt_f32_f64_e32 v25, v[96:97]
	s_waitcnt vmcnt(0)
	v_cvt_f32_f64_e32 v33, v[31:32]
	scratch_load_b64 v[31:32], off, off offset:308 ; 8-byte Folded Reload
	v_min3_f32 v94, v25, v33, v94
	s_waitcnt vmcnt(0)
	v_cvt_f32_f64_e32 v25, v[31:32]
	scratch_load_b64 v[31:32], off, off offset:268 ; 8-byte Folded Reload
	s_waitcnt vmcnt(0)
	v_cvt_f32_f64_e32 v33, v[31:32]
	scratch_load_b64 v[31:32], off, off offset:292 ; 8-byte Folded Reload
	v_min3_f32 v99, v25, v33, v99
	s_waitcnt vmcnt(0)
	v_cvt_f32_f64_e32 v25, v[31:32]
	scratch_load_b64 v[31:32], off, off offset:260 ; 8-byte Folded Reload
	;; [unrolled: 7-line block ×3, first 2 shown]
	s_waitcnt vmcnt(0)
	v_cvt_f32_f64_e32 v31, v[31:32]
	s_delay_alu instid0(VALU_DEP_1) | instskip(SKIP_2) | instid1(VALU_DEP_1)
	v_min3_f32 v98, v25, v31, v98
	v_cvt_f32_f64_e32 v25, v[147:148]
	v_cvt_f32_f64_e32 v31, v[145:146]
	v_min3_f32 v60, v25, v31, v60
	v_cvt_f32_f64_e32 v25, v[151:152]
	v_cvt_f32_f64_e32 v31, v[149:150]
	s_delay_alu instid0(VALU_DEP_1) | instskip(SKIP_2) | instid1(VALU_DEP_1)
	v_min3_f32 v61, v25, v31, v61
	v_cvt_f32_f64_e32 v25, v[29:30]
	v_cvt_f32_f64_e32 v29, v[153:154]
	v_min3_f32 v103, v25, v29, v103
	s_cbranch_vccz .LBB174_46
; %bb.47:                               ;   in Loop: Header=BB174_25 Depth=1
	s_clause 0x1
	scratch_load_b32 v0, off, off offset:392
	scratch_load_b64 v[1:2], off, off offset:332
	v_mov_b32_e32 v243, v102
	v_mov_b32_e32 v191, v38
	;; [unrolled: 1-line block ×3, first 2 shown]
	s_add_i32 s17, s17, 8
	s_add_i32 s15, s15, 8
	s_cmp_ge_i32 s17, s16
	s_waitcnt vmcnt(0)
	ds_store_b64 v0, v[1:2]
	s_clause 0x2
	scratch_load_b32 v0, off, off offset:396
	scratch_load_b64 v[1:2], off, off offset:340
	scratch_load_b64 v[3:4], off, off offset:348
	s_waitcnt vmcnt(0)
	ds_store_2addr_stride64_b64 v0, v[1:2], v[3:4] offset1:4
	s_clause 0x1
	scratch_load_b64 v[1:2], off, off offset:356
	scratch_load_b64 v[3:4], off, off offset:364
	s_waitcnt vmcnt(0)
	ds_store_2addr_stride64_b64 v0, v[1:2], v[3:4] offset0:8 offset1:12
	s_waitcnt lgkmcnt(0)
	s_waitcnt_vscnt null, 0x0
	s_barrier
	buffer_gl0_inv
	s_cbranch_scc1 .LBB174_50
; %bb.48:                               ;   in Loop: Header=BB174_25 Depth=1
	v_dual_mov_b32 v62, v144 :: v_dual_mov_b32 v55, v99
	v_dual_mov_b32 v144, v40 :: v_dual_mov_b32 v209, v94
	;; [unrolled: 1-line block ×5, first 2 shown]
	s_branch .LBB174_25
.LBB174_49:
	v_mov_b32_e32 v40, v144
	v_mov_b32_e32 v164, v217
	s_branch .LBB174_51
.LBB174_50:
	v_dual_mov_b32 v164, v144 :: v_dual_mov_b32 v55, v99
	v_dual_mov_b32 v190, v70 :: v_dual_mov_b32 v211, v95
	;; [unrolled: 1-line block ×3, first 2 shown]
	v_mov_b32_e32 v99, v91
	v_mov_b32_e32 v95, v100
.LBB174_51:
	v_dual_mov_b32 v0, v55 :: v_dual_mov_b32 v57, v69
	v_dual_mov_b32 v114, v211 :: v_dual_mov_b32 v53, v72
	;; [unrolled: 1-line block ×3, first 2 shown]
	v_mov_b32_e32 v112, v60
	v_dual_mov_b32 v60, v242 :: v_dual_mov_b32 v115, v104
	v_mov_b32_e32 v62, v255
	v_mov_b32_e32 v46, v40
	;; [unrolled: 1-line block ×10, first 2 shown]
	v_dual_mov_b32 v104, v105 :: v_dual_mov_b32 v105, v90
	s_mov_b32 s13, 0
	s_mov_b32 s3, -1
.LBB174_52:                             ; =>This Inner Loop Header: Depth=1
	scratch_load_b32 v0, off, off           ; 4-byte Folded Reload
	s_lshl_b32 s13, s13, 3
	v_dual_mov_b32 v29, v243 :: v_dual_mov_b32 v202, v204
	s_waitcnt vmcnt(1)
	v_lshl_add_u32 v4, v215, 5, s13
	v_dual_mov_b32 v243, v164 :: v_dual_mov_b32 v242, v221
	v_dual_mov_b32 v113, v64 :: v_dual_mov_b32 v198, v82
	;; [unrolled: 1-line block ×3, first 2 shown]
	v_mov_b32_e32 v59, v107
	v_mov_b32_e32 v201, v83
	v_mov_b32_e32 v47, v223
	v_mov_b32_e32 v225, v222
	v_mov_b32_e32 v239, v128
	v_mov_b32_e32 v128, v244
	s_and_not1_b32 vcc_lo, exec_lo, s3
	s_mov_b32 s3, 0
	s_waitcnt vmcnt(0)
	v_lshl_add_u32 v5, v0, 5, s13
	s_mov_b32 s13, 2
	ds_load_b128 v[32:35], v4 offset:8192
	ds_load_b128 v[0:3], v5 offset:18432
	;; [unrolled: 1-line block ×4, first 2 shown]
	s_waitcnt lgkmcnt(2)
	v_add_f64 v[64:65], v[2:3], v[34:35]
	s_waitcnt lgkmcnt(1)
	v_add_f64 v[6:7], v[78:79], v[34:35]
	v_add_f64 v[66:67], v[0:1], v[32:33]
	s_delay_alu instid0(VALU_DEP_3)
	v_cvt_f32_f64_e32 v31, v[64:65]
	scratch_store_b64 off, v[6:7], off offset:12 ; 8-byte Folded Spill
	v_add_f64 v[6:7], v[76:77], v[32:33]
	v_cvt_f32_f64_e32 v25, v[66:67]
	v_mov_b32_e32 v64, v113
	scratch_store_b64 off, v[6:7], off offset:68 ; 8-byte Folded Spill
	ds_load_b128 v[72:75], v5 offset:18944
	ds_load_b128 v[144:147], v5 offset:19200
	v_min3_f32 v143, v25, v31, v143
	s_waitcnt lgkmcnt(1)
	v_add_f64 v[6:7], v[74:75], v[34:35]
	scratch_store_b64 off, v[6:7], off offset:44 ; 8-byte Folded Spill
	v_add_f64 v[6:7], v[72:73], v[32:33]
	scratch_store_b64 off, v[6:7], off offset:100 ; 8-byte Folded Spill
	s_waitcnt lgkmcnt(0)
	v_add_f64 v[6:7], v[146:147], v[34:35]
	scratch_store_b64 off, v[6:7], off offset:20 ; 8-byte Folded Spill
	v_add_f64 v[6:7], v[144:145], v[32:33]
	scratch_store_b64 off, v[6:7], off offset:76 ; 8-byte Folded Spill
	ds_load_b128 v[148:151], v5 offset:19456
	ds_load_b128 v[152:155], v5 offset:19712
	s_waitcnt lgkmcnt(1)
	v_add_f64 v[6:7], v[150:151], v[34:35]
	scratch_store_b64 off, v[6:7], off offset:52 ; 8-byte Folded Spill
	v_add_f64 v[6:7], v[148:149], v[32:33]
	scratch_store_b64 off, v[6:7], off offset:108 ; 8-byte Folded Spill
	s_waitcnt lgkmcnt(0)
	v_add_f64 v[6:7], v[154:155], v[34:35]
	scratch_store_b64 off, v[6:7], off offset:28 ; 8-byte Folded Spill
	v_add_f64 v[6:7], v[152:153], v[32:33]
	scratch_store_b64 off, v[6:7], off offset:84 ; 8-byte Folded Spill
	ds_load_b128 v[156:159], v5 offset:19968
	ds_load_b128 v[160:163], v5 offset:20224
	s_waitcnt lgkmcnt(1)
	v_add_f64 v[5:6], v[158:159], v[34:35]
	scratch_store_b64 off, v[5:6], off offset:60 ; 8-byte Folded Spill
	v_add_f64 v[5:6], v[156:157], v[32:33]
	scratch_store_b64 off, v[5:6], off offset:116 ; 8-byte Folded Spill
	s_waitcnt lgkmcnt(0)
	v_add_f64 v[5:6], v[162:163], v[34:35]
	scratch_store_b64 off, v[5:6], off offset:36 ; 8-byte Folded Spill
	v_add_f64 v[5:6], v[160:161], v[32:33]
	scratch_store_b64 off, v[5:6], off offset:92 ; 8-byte Folded Spill
	;; [unrolled: 2-line block ×18, first 2 shown]
	ds_load_b128 v[68:71], v4 offset:10240
	ds_load_b128 v[164:167], v4 offset:11264
	s_waitcnt lgkmcnt(1)
	v_add_f64 v[5:6], v[150:151], v[70:71]
	v_add_f64 v[84:85], v[2:3], v[70:71]
	;; [unrolled: 1-line block ×12, first 2 shown]
	s_waitcnt lgkmcnt(0)
	v_add_f64 v[50:51], v[2:3], v[166:167]
	v_add_f64 v[118:119], v[0:1], v[164:165]
	;; [unrolled: 1-line block ×16, first 2 shown]
	scratch_store_b64 off, v[5:6], off offset:284 ; 8-byte Folded Spill
	v_add_f64 v[5:6], v[154:155], v[70:71]
	scratch_store_b64 off, v[5:6], off offset:268 ; 8-byte Folded Spill
	v_add_f64 v[5:6], v[158:159], v[70:71]
	;; [unrolled: 2-line block ×4, first 2 shown]
	scratch_store_b64 off, v[5:6], off offset:276 ; 8-byte Folded Spill
	ds_load_b128 v[68:71], v4 offset:12288
	ds_load_b128 v[164:167], v4 offset:13312
	s_waitcnt lgkmcnt(1)
	v_add_f64 v[186:187], v[2:3], v[70:71]
	v_add_f64 v[188:189], v[0:1], v[68:69]
	;; [unrolled: 1-line block ×16, first 2 shown]
	s_waitcnt lgkmcnt(0)
	v_add_f64 v[218:219], v[2:3], v[166:167]
	v_add_f64 v[220:221], v[0:1], v[164:165]
	;; [unrolled: 1-line block ×16, first 2 shown]
	ds_load_b128 v[68:71], v4 offset:14336
	ds_load_b128 v[164:167], v4 offset:15360
	scratch_load_b64 v[65:66], off, off offset:68 ; 8-byte Folded Reload
	s_waitcnt lgkmcnt(1)
	v_add_f64 v[252:253], v[0:1], v[68:69]
	v_add_f64 v[4:5], v[76:77], v[68:69]
	;; [unrolled: 1-line block ×8, first 2 shown]
	s_waitcnt lgkmcnt(0)
	v_add_f64 v[0:1], v[0:1], v[164:165]
	v_add_f64 v[76:77], v[76:77], v[164:165]
	;; [unrolled: 1-line block ×8, first 2 shown]
	v_dual_mov_b32 v164, v243 :: v_dual_mov_b32 v243, v29
	v_add_f64 v[250:251], v[2:3], v[70:71]
	v_add_f64 v[2:3], v[2:3], v[166:167]
	;; [unrolled: 1-line block ×16, first 2 shown]
	v_cvt_f32_f64_e32 v4, v[4:5]
	v_cvt_f32_f64_e32 v0, v[0:1]
	;; [unrolled: 1-line block ×4, first 2 shown]
	s_delay_alu instid0(VALU_DEP_2) | instskip(SKIP_2) | instid1(VALU_DEP_4)
	v_min3_f32 v137, v0, v1, v137
	v_cvt_f32_f64_e32 v0, v[76:77]
	v_cvt_f32_f64_e32 v1, v[78:79]
	v_min3_f32 v237, v4, v5, v237
	v_cvt_f32_f64_e32 v4, v[6:7]
	v_cvt_f32_f64_e32 v5, v[10:11]
	s_delay_alu instid0(VALU_DEP_4)
	v_min3_f32 v129, v0, v1, v129
	v_cvt_f32_f64_e32 v0, v[72:73]
	v_cvt_f32_f64_e32 v1, v[74:75]
	s_waitcnt vmcnt(0)
	v_cvt_f32_f64_e32 v25, v[65:66]
	scratch_load_b64 v[65:66], off, off offset:12 ; 8-byte Folded Reload
	s_waitcnt vmcnt(0)
	v_cvt_f32_f64_e32 v31, v[65:66]
	scratch_load_b64 v[65:66], off, off offset:100 ; 8-byte Folded Reload
	v_min3_f32 v142, v25, v31, v142
	s_waitcnt vmcnt(0)
	v_cvt_f32_f64_e32 v25, v[65:66]
	scratch_load_b64 v[65:66], off, off offset:44 ; 8-byte Folded Reload
	s_waitcnt vmcnt(0)
	v_cvt_f32_f64_e32 v31, v[65:66]
	scratch_load_b64 v[65:66], off, off offset:76 ; 8-byte Folded Reload
	v_min3_f32 v141, v25, v31, v141
	;; [unrolled: 7-line block ×15, first 2 shown]
	v_cvt_f32_f64_e32 v25, v[86:87]
	v_cvt_f32_f64_e32 v29, v[84:85]
	s_delay_alu instid0(VALU_DEP_1) | instskip(SKIP_2) | instid1(VALU_DEP_1)
	v_min3_f32 v104, v25, v29, v104
	v_cvt_f32_f64_e32 v25, v[90:91]
	v_cvt_f32_f64_e32 v29, v[88:89]
	v_min3_f32 v115, v25, v29, v115
	v_cvt_f32_f64_e32 v25, v[94:95]
	v_cvt_f32_f64_e32 v29, v[96:97]
	v_mov_b32_e32 v95, v109
	s_delay_alu instid0(VALU_DEP_2) | instskip(SKIP_2) | instid1(VALU_DEP_1)
	v_min3_f32 v114, v25, v29, v114
	v_cvt_f32_f64_e32 v25, v[92:93]
	v_cvt_f32_f64_e32 v29, v[100:101]
	v_min3_f32 v95, v25, v29, v95
	v_cvt_f32_f64_e32 v25, v[102:103]
	s_waitcnt vmcnt(0)
	v_cvt_f32_f64_e32 v29, v[65:66]
	scratch_load_b64 v[65:66], off, off offset:268 ; 8-byte Folded Reload
	v_min3_f32 v108, v25, v29, v108
	v_cvt_f32_f64_e32 v25, v[106:107]
	v_mov_b32_e32 v107, v59
	s_waitcnt vmcnt(0)
	v_cvt_f32_f64_e32 v29, v[65:66]
	scratch_load_b64 v[65:66], off, off offset:260 ; 8-byte Folded Reload
	v_min3_f32 v98, v25, v29, v98
	v_cvt_f32_f64_e32 v25, v[110:111]
	s_waitcnt vmcnt(0)
	v_cvt_f32_f64_e32 v29, v[65:66]
	scratch_load_b64 v[65:66], off, off offset:276 ; 8-byte Folded Reload
	v_min3_f32 v99, v25, v29, v99
	s_waitcnt vmcnt(0)
	v_cvt_f32_f64_e32 v25, v[65:66]
	scratch_load_b64 v[65:66], off, off offset:252 ; 8-byte Folded Reload
	s_waitcnt vmcnt(0)
	v_cvt_f32_f64_e32 v29, v[65:66]
	s_delay_alu instid0(VALU_DEP_1) | instskip(SKIP_2) | instid1(VALU_DEP_1)
	v_min3_f32 v64, v25, v29, v64
	v_cvt_f32_f64_e32 v25, v[118:119]
	v_cvt_f32_f64_e32 v29, v[50:51]
	v_min3_f32 v112, v25, v29, v112
	v_cvt_f32_f64_e32 v25, v[48:49]
	v_cvt_f32_f64_e32 v29, v[120:121]
	s_delay_alu instid0(VALU_DEP_1) | instskip(SKIP_2) | instid1(VALU_DEP_1)
	v_min3_f32 v61, v25, v29, v61
	v_cvt_f32_f64_e32 v25, v[80:81]
	v_cvt_f32_f64_e32 v29, v[124:125]
	v_min3_f32 v60, v25, v29, v60
	v_cvt_f32_f64_e32 v25, v[168:169]
	;; [unrolled: 7-line block ×6, first 2 shown]
	v_cvt_f32_f64_e32 v29, v[82:83]
	v_dual_mov_b32 v82, v198 :: v_dual_mov_b32 v83, v201
	s_delay_alu instid0(VALU_DEP_2) | instskip(SKIP_3) | instid1(VALU_DEP_1)
	v_min3_f32 v53, v25, v29, v53
	v_cvt_f32_f64_e32 v25, v[204:205]
	v_cvt_f32_f64_e32 v29, v[44:45]
	v_mov_b32_e32 v204, v202
	v_min3_f32 v204, v4, v5, v204
	v_cvt_f32_f64_e32 v4, v[8:9]
	v_cvt_f32_f64_e32 v5, v[14:15]
	v_min3_f32 v52, v25, v29, v52
	v_cvt_f32_f64_e32 v25, v[208:209]
	v_cvt_f32_f64_e32 v29, v[206:207]
	s_delay_alu instid0(VALU_DEP_4) | instskip(SKIP_2) | instid1(VALU_DEP_4)
	v_min3_f32 v203, v4, v5, v203
	v_cvt_f32_f64_e32 v4, v[12:13]
	v_cvt_f32_f64_e32 v5, v[18:19]
	v_min3_f32 v190, v25, v29, v190
	v_cvt_f32_f64_e32 v25, v[212:213]
	v_cvt_f32_f64_e32 v29, v[210:211]
	s_delay_alu instid0(VALU_DEP_4) | instskip(SKIP_2) | instid1(VALU_DEP_4)
	v_min3_f32 v83, v4, v5, v83
	v_cvt_f32_f64_e32 v4, v[16:17]
	v_cvt_f32_f64_e32 v5, v[23:24]
	v_min3_f32 v191, v25, v29, v191
	v_cvt_f32_f64_e32 v25, v[216:217]
	v_cvt_f32_f64_e32 v29, v[214:215]
	scratch_load_b32 v215, off, off offset:4 ; 4-byte Folded Reload
	v_min3_f32 v199, v4, v5, v199
	v_cvt_f32_f64_e32 v4, v[21:22]
	v_cvt_f32_f64_e32 v5, v[27:28]
	v_min3_f32 v224, v25, v29, v224
	v_cvt_f32_f64_e32 v25, v[220:221]
	v_cvt_f32_f64_e32 v29, v[218:219]
	v_mov_b32_e32 v221, v242
	v_min3_f32 v82, v4, v5, v82
	v_cvt_f32_f64_e32 v4, v[68:69]
	v_cvt_f32_f64_e32 v5, v[70:71]
	s_delay_alu instid0(VALU_DEP_4) | instskip(SKIP_4) | instid1(VALU_DEP_2)
	v_min3_f32 v221, v25, v29, v221
	v_cvt_f32_f64_e32 v25, v[38:39]
	v_cvt_f32_f64_e32 v29, v[222:223]
	v_dual_mov_b32 v222, v225 :: v_dual_mov_b32 v223, v47
	v_min3_f32 v130, v4, v5, v130
	v_min3_f32 v222, v25, v29, v222
	v_cvt_f32_f64_e32 v25, v[228:229]
	v_cvt_f32_f64_e32 v29, v[226:227]
	s_delay_alu instid0(VALU_DEP_1) | instskip(SKIP_2) | instid1(VALU_DEP_1)
	v_min3_f32 v223, v25, v29, v223
	v_cvt_f32_f64_e32 v25, v[232:233]
	v_cvt_f32_f64_e32 v29, v[230:231]
	v_min3_f32 v46, v25, v29, v46
	v_cvt_f32_f64_e32 v25, v[36:37]
	v_cvt_f32_f64_e32 v29, v[234:235]
	s_delay_alu instid0(VALU_DEP_1) | instskip(SKIP_3) | instid1(VALU_DEP_2)
	v_min3_f32 v164, v25, v29, v164
	v_cvt_f32_f64_e32 v25, v[240:241]
	v_cvt_f32_f64_e32 v29, v[34:35]
	v_mov_b32_e32 v241, v236
	v_min3_f32 v63, v25, v29, v63
	v_cvt_f32_f64_e32 v25, v[244:245]
	v_mov_b32_e32 v244, v128
	v_mov_b32_e32 v128, v239
	v_cvt_f32_f64_e32 v29, v[32:33]
	s_delay_alu instid0(VALU_DEP_2) | instskip(SKIP_2) | instid1(VALU_DEP_4)
	v_min3_f32 v128, v0, v1, v128
	v_cvt_f32_f64_e32 v0, v[144:145]
	v_cvt_f32_f64_e32 v1, v[146:147]
	v_min3_f32 v62, v25, v29, v62
	v_cvt_f32_f64_e32 v25, v[248:249]
	v_cvt_f32_f64_e32 v29, v[246:247]
	s_delay_alu instid0(VALU_DEP_4) | instskip(SKIP_2) | instid1(VALU_DEP_4)
	v_min3_f32 v126, v0, v1, v126
	v_cvt_f32_f64_e32 v0, v[148:149]
	v_cvt_f32_f64_e32 v1, v[150:151]
	v_min3_f32 v244, v25, v29, v244
	v_cvt_f32_f64_e32 v25, v[252:253]
	v_cvt_f32_f64_e32 v29, v[250:251]
	s_delay_alu instid0(VALU_DEP_4) | instskip(SKIP_2) | instid1(VALU_DEP_4)
	v_min3_f32 v123, v0, v1, v123
	v_cvt_f32_f64_e32 v0, v[152:153]
	v_cvt_f32_f64_e32 v1, v[154:155]
	v_min3_f32 v241, v25, v29, v241
	s_delay_alu instid0(VALU_DEP_2) | instskip(SKIP_2) | instid1(VALU_DEP_1)
	v_min3_f32 v122, v0, v1, v122
	v_cvt_f32_f64_e32 v0, v[156:157]
	v_cvt_f32_f64_e32 v1, v[158:159]
	v_min3_f32 v117, v0, v1, v117
	v_cvt_f32_f64_e32 v0, v[160:161]
	v_cvt_f32_f64_e32 v1, v[162:163]
	s_delay_alu instid0(VALU_DEP_1)
	v_min3_f32 v116, v0, v1, v116
	s_cbranch_vccz .LBB174_52
; %bb.53:
	s_clause 0x2
	s_load_b64 s[14:15], s[0:1], 0x78
	s_load_b32 s13, s[0:1], 0x70
	s_load_b32 s3, s[0:1], 0x58
	scratch_load_b32 v0, off, off           ; 4-byte Folded Reload
	s_waitcnt vmcnt(1)
	v_dual_mov_b32 v49, v115 :: v_dual_add_nc_u32 v18, s5, v215
	v_dual_mov_b32 v51, v164 :: v_dual_mov_b32 v42, v57
	v_dual_mov_b32 v40, v55 :: v_dual_mov_b32 v37, v53
	s_waitcnt lgkmcnt(0)
	s_mul_i32 s1, s12, s15
	s_mul_i32 s0, s12, s14
	v_mad_i64_i32 v[4:5], null, v18, s3, 0
	s_delay_alu instid0(VALU_DEP_1) | instskip(SKIP_4) | instid1(SALU_CYCLE_1)
	v_lshlrev_b64 v[4:5], 3, v[4:5]
	s_waitcnt vmcnt(0)
	v_add_nc_u32_e32 v12, s4, v0
	v_mad_i64_i32 v[0:1], null, v18, s13, 0
	s_mul_hi_u32 s4, s12, s14
	s_add_i32 s1, s4, s1
	s_delay_alu instid0(VALU_DEP_2) | instskip(SKIP_2) | instid1(VALU_DEP_3)
	v_ashrrev_i32_e32 v13, 31, v12
	s_lshl_b64 s[0:1], s[0:1], 3
	v_add_nc_u32_e32 v2, 8, v12
	v_lshlrev_b64 v[6:7], 3, v[0:1]
	s_add_u32 s4, s6, s0
	s_addc_u32 s5, s7, s1
	v_lshlrev_b64 v[0:1], 3, v[12:13]
	v_ashrrev_i32_e32 v3, 31, v2
	s_delay_alu instid0(VALU_DEP_3)
	v_add_co_u32 v19, vcc_lo, s4, v6
	v_add_co_ci_u32_e32 v22, vcc_lo, s5, v7, vcc_lo
	v_add_co_u32 v16, vcc_lo, s10, v4
	v_add_co_ci_u32_e32 v17, vcc_lo, s11, v5, vcc_lo
	v_max_f32_e32 v4, v143, v143
	s_mov_b32 vcc_lo, s2
	s_cbranch_vccz .LBB174_55
; %bb.54:
	s_delay_alu instid0(VALU_DEP_1) | instskip(SKIP_2) | instid1(VALU_DEP_3)
	v_min_f32_e32 v5, 0, v4
	v_add_co_u32 v7, vcc_lo, v19, v0
	v_add_co_ci_u32_e32 v8, vcc_lo, v22, v1, vcc_lo
	v_cvt_f64_f32_e32 v[5:6], v5
	s_mov_b32 s6, 0
	s_mov_b64 s[0:1], 0
	global_store_b64 v[7:8], v[5:6], off
	s_branch .LBB174_56
.LBB174_55:
	s_mov_b32 s6, -1
                                        ; implicit-def: $sgpr0_sgpr1
.LBB174_56:
	v_lshlrev_b64 v[2:3], 3, v[2:3]
	v_dual_mov_b32 v34, v46 :: v_dual_mov_b32 v35, v224
	v_mov_b32_e32 v38, v30
	v_mov_b32_e32 v46, v98
	s_and_not1_b32 vcc_lo, exec_lo, s6
	s_cbranch_vccnz .LBB174_58
; %bb.57:
	v_add_co_u32 v5, vcc_lo, v16, v0
	v_add_co_ci_u32_e32 v6, vcc_lo, v17, v1, vcc_lo
	flat_load_b64 v[5:6], v[5:6]
	s_waitcnt vmcnt(0) lgkmcnt(0)
	v_mul_f64 v[5:6], s[8:9], v[5:6]
	s_delay_alu instid0(VALU_DEP_1)
	v_cvt_f32_f64_e32 v5, v[5:6]
	v_add_co_u32 v6, vcc_lo, v19, v0
	v_add_co_ci_u32_e32 v7, vcc_lo, v22, v1, vcc_lo
	v_add_co_u32 v8, vcc_lo, v16, v2
	v_add_co_ci_u32_e32 v9, vcc_lo, v17, v3, vcc_lo
	v_min_f32_e32 v4, v5, v4
	s_delay_alu instid0(VALU_DEP_1)
	v_cvt_f64_f32_e32 v[4:5], v4
	global_store_b64 v[6:7], v[4:5], off
	flat_load_b64 v[4:5], v[8:9]
	s_waitcnt vmcnt(0) lgkmcnt(0)
	v_mul_f64 v[4:5], s[8:9], v[4:5]
	s_branch .LBB174_59
.LBB174_58:
	v_dual_mov_b32 v5, s1 :: v_dual_mov_b32 v4, s0
.LBB174_59:
	s_delay_alu instid0(VALU_DEP_1) | instskip(SKIP_4) | instid1(VALU_DEP_4)
	v_cvt_f32_f64_e32 v4, v[4:5]
	v_dual_max_f32 v5, v142, v142 :: v_dual_add_nc_u32 v6, 24, v12
	v_add_co_u32 v13, vcc_lo, v19, v2
	v_add_co_ci_u32_e32 v14, vcc_lo, v22, v3, vcc_lo
	v_max_f32_e32 v8, v141, v141
	v_ashrrev_i32_e32 v7, 31, v6
	s_mov_b32 vcc_lo, s2
	v_min_f32_e32 v4, v4, v5
	s_delay_alu instid0(VALU_DEP_1) | instskip(SKIP_1) | instid1(VALU_DEP_1)
	v_cvt_f64_f32_e32 v[9:10], v4
	v_add_nc_u32_e32 v4, 16, v12
	v_ashrrev_i32_e32 v5, 31, v4
	s_delay_alu instid0(VALU_DEP_1)
	v_lshlrev_b64 v[4:5], 3, v[4:5]
	global_store_b64 v[13:14], v[9:10], off
	s_cbranch_vccz .LBB174_62
; %bb.60:
	v_min_f32_e32 v9, 0, v8
	v_add_co_u32 v13, vcc_lo, v19, v4
	v_add_co_ci_u32_e32 v14, vcc_lo, v22, v5, vcc_lo
	s_delay_alu instid0(VALU_DEP_3)
	v_cvt_f64_f32_e32 v[9:10], v9
	s_mov_b64 s[0:1], 0
	global_store_b64 v[13:14], v[9:10], off
	v_lshlrev_b64 v[6:7], 3, v[6:7]
	s_cbranch_execz .LBB174_63
; %bb.61:
	v_dual_mov_b32 v9, s1 :: v_dual_mov_b32 v8, s0
	s_branch .LBB174_64
.LBB174_62:
                                        ; implicit-def: $sgpr0_sgpr1
	v_lshlrev_b64 v[6:7], 3, v[6:7]
.LBB174_63:
	v_add_co_u32 v9, vcc_lo, v16, v4
	v_add_co_ci_u32_e32 v10, vcc_lo, v17, v5, vcc_lo
	flat_load_b64 v[9:10], v[9:10]
	s_waitcnt vmcnt(0) lgkmcnt(0)
	v_mul_f64 v[9:10], s[8:9], v[9:10]
	s_delay_alu instid0(VALU_DEP_1)
	v_cvt_f32_f64_e32 v9, v[9:10]
	v_add_co_u32 v10, vcc_lo, v19, v4
	v_add_co_ci_u32_e32 v11, vcc_lo, v22, v5, vcc_lo
	v_add_co_u32 v13, vcc_lo, v16, v6
	v_add_co_ci_u32_e32 v14, vcc_lo, v17, v7, vcc_lo
	v_min_f32_e32 v8, v9, v8
	s_delay_alu instid0(VALU_DEP_1)
	v_cvt_f64_f32_e32 v[8:9], v8
	global_store_b64 v[10:11], v[8:9], off
	flat_load_b64 v[8:9], v[13:14]
	s_waitcnt vmcnt(0) lgkmcnt(0)
	v_mul_f64 v[8:9], s[8:9], v[8:9]
.LBB174_64:
	s_delay_alu instid0(VALU_DEP_1) | instskip(SKIP_4) | instid1(VALU_DEP_3)
	v_cvt_f32_f64_e32 v8, v[8:9]
	v_max_f32_e32 v9, v140, v140
	v_add_nc_u32_e32 v10, 40, v12
	v_add_co_u32 v23, vcc_lo, v19, v6
	v_add_co_ci_u32_e32 v24, vcc_lo, v22, v7, vcc_lo
	v_ashrrev_i32_e32 v11, 31, v10
	s_mov_b32 vcc_lo, s2
	v_dual_max_f32 v13, v139, v139 :: v_dual_min_f32 v8, v8, v9
	s_delay_alu instid0(VALU_DEP_1) | instskip(SKIP_1) | instid1(VALU_DEP_1)
	v_cvt_f64_f32_e32 v[14:15], v8
	v_add_nc_u32_e32 v8, 32, v12
	v_ashrrev_i32_e32 v9, 31, v8
	s_delay_alu instid0(VALU_DEP_1)
	v_lshlrev_b64 v[8:9], 3, v[8:9]
	global_store_b64 v[23:24], v[14:15], off
	s_cbranch_vccz .LBB174_67
; %bb.65:
	v_min_f32_e32 v14, 0, v13
	v_add_co_u32 v23, vcc_lo, v19, v8
	v_add_co_ci_u32_e32 v24, vcc_lo, v22, v9, vcc_lo
	s_delay_alu instid0(VALU_DEP_3)
	v_cvt_f64_f32_e32 v[14:15], v14
	s_mov_b64 s[0:1], 0
	global_store_b64 v[23:24], v[14:15], off
	v_lshlrev_b64 v[10:11], 3, v[10:11]
	s_cbranch_execz .LBB174_68
; %bb.66:
	v_dual_mov_b32 v14, s1 :: v_dual_mov_b32 v13, s0
	s_branch .LBB174_69
.LBB174_67:
                                        ; implicit-def: $sgpr0_sgpr1
	v_lshlrev_b64 v[10:11], 3, v[10:11]
.LBB174_68:
	v_add_co_u32 v14, vcc_lo, v16, v8
	v_add_co_ci_u32_e32 v15, vcc_lo, v17, v9, vcc_lo
	v_add_co_u32 v23, vcc_lo, v19, v8
	v_add_co_ci_u32_e32 v24, vcc_lo, v22, v9, vcc_lo
	flat_load_b64 v[14:15], v[14:15]
	v_add_co_u32 v27, vcc_lo, v16, v10
	v_add_co_ci_u32_e32 v28, vcc_lo, v17, v11, vcc_lo
	s_waitcnt vmcnt(0) lgkmcnt(0)
	v_mul_f64 v[14:15], s[8:9], v[14:15]
	s_delay_alu instid0(VALU_DEP_1) | instskip(NEXT) | instid1(VALU_DEP_1)
	v_cvt_f32_f64_e32 v14, v[14:15]
	v_min_f32_e32 v13, v14, v13
	s_delay_alu instid0(VALU_DEP_1)
	v_cvt_f64_f32_e32 v[13:14], v13
	global_store_b64 v[23:24], v[13:14], off
	flat_load_b64 v[13:14], v[27:28]
	s_waitcnt vmcnt(0) lgkmcnt(0)
	v_mul_f64 v[13:14], s[8:9], v[13:14]
.LBB174_69:
	s_delay_alu instid0(VALU_DEP_1) | instskip(SKIP_4) | instid1(VALU_DEP_3)
	v_cvt_f32_f64_e32 v13, v[13:14]
	v_dual_max_f32 v14, v136, v136 :: v_dual_max_f32 v21, v135, v135
	v_add_nc_u32_e32 v27, 48, v12
	v_add_co_u32 v29, vcc_lo, v19, v10
	v_add_co_ci_u32_e32 v30, vcc_lo, v22, v11, vcc_lo
	v_ashrrev_i32_e32 v28, 31, v27
	s_mov_b32 vcc_lo, s2
	v_dual_min_f32 v13, v13, v14 :: v_dual_add_nc_u32 v14, 56, v12
	s_delay_alu instid0(VALU_DEP_1) | instskip(NEXT) | instid1(VALU_DEP_3)
	v_cvt_f64_f32_e32 v[23:24], v13
	v_lshlrev_b64 v[12:13], 3, v[27:28]
	s_delay_alu instid0(VALU_DEP_3)
	v_ashrrev_i32_e32 v15, 31, v14
	global_store_b64 v[29:30], v[23:24], off
	s_cbranch_vccz .LBB174_72
; %bb.70:
	v_min_f32_e32 v23, 0, v21
	v_add_co_u32 v27, vcc_lo, v19, v12
	v_add_co_ci_u32_e32 v28, vcc_lo, v22, v13, vcc_lo
	s_delay_alu instid0(VALU_DEP_3)
	v_cvt_f64_f32_e32 v[23:24], v23
	s_mov_b64 s[0:1], 0
	global_store_b64 v[27:28], v[23:24], off
	v_lshlrev_b64 v[14:15], 3, v[14:15]
	s_cbranch_execz .LBB174_73
; %bb.71:
	v_dual_mov_b32 v17, s1 :: v_dual_mov_b32 v16, s0
	s_branch .LBB174_74
.LBB174_72:
                                        ; implicit-def: $sgpr0_sgpr1
	v_lshlrev_b64 v[14:15], 3, v[14:15]
.LBB174_73:
	v_add_co_u32 v23, vcc_lo, v16, v12
	v_add_co_ci_u32_e32 v24, vcc_lo, v17, v13, vcc_lo
	v_add_co_u32 v27, vcc_lo, v19, v12
	v_add_co_ci_u32_e32 v28, vcc_lo, v22, v13, vcc_lo
	flat_load_b64 v[23:24], v[23:24]
	v_add_co_u32 v16, vcc_lo, v16, v14
	v_add_co_ci_u32_e32 v17, vcc_lo, v17, v15, vcc_lo
	s_waitcnt vmcnt(0) lgkmcnt(0)
	v_mul_f64 v[23:24], s[8:9], v[23:24]
	s_delay_alu instid0(VALU_DEP_1) | instskip(NEXT) | instid1(VALU_DEP_1)
	v_cvt_f32_f64_e32 v23, v[23:24]
	v_min_f32_e32 v21, v23, v21
	s_delay_alu instid0(VALU_DEP_1)
	v_cvt_f64_f32_e32 v[23:24], v21
	global_store_b64 v[27:28], v[23:24], off
	flat_load_b64 v[16:17], v[16:17]
	s_waitcnt vmcnt(0) lgkmcnt(0)
	v_mul_f64 v[16:17], s[8:9], v[16:17]
.LBB174_74:
	s_delay_alu instid0(VALU_DEP_1) | instskip(SKIP_4) | instid1(VALU_DEP_1)
	v_cvt_f32_f64_e32 v16, v[16:17]
	v_max_f32_e32 v17, v134, v134
	v_add_co_u32 v31, vcc_lo, v19, v14
	v_add_co_ci_u32_e32 v32, vcc_lo, v22, v15, vcc_lo
	v_add_nc_u32_e32 v21, 32, v18
	v_mad_i64_i32 v[27:28], null, v21, s3, 0
	s_delay_alu instid0(VALU_DEP_1) | instskip(SKIP_1) | instid1(VALU_DEP_1)
	v_lshlrev_b64 v[27:28], 3, v[27:28]
	v_min_f32_e32 v16, v16, v17
	v_cvt_f64_f32_e32 v[24:25], v16
	v_mad_i64_i32 v[16:17], null, v21, s13, 0
	s_delay_alu instid0(VALU_DEP_1) | instskip(SKIP_1) | instid1(VALU_DEP_2)
	v_lshlrev_b64 v[29:30], 3, v[16:17]
	v_max_f32_e32 v16, v133, v133
	v_add_co_u32 v19, vcc_lo, s4, v29
	s_delay_alu instid0(VALU_DEP_3)
	v_add_co_ci_u32_e32 v22, vcc_lo, s5, v30, vcc_lo
	v_add_co_u32 v21, vcc_lo, s10, v27
	v_add_co_ci_u32_e32 v23, vcc_lo, s11, v28, vcc_lo
	s_mov_b32 vcc_lo, s2
	global_store_b64 v[31:32], v[24:25], off
	s_cbranch_vccz .LBB174_77
; %bb.75:
	v_min_f32_e32 v17, 0, v16
	v_add_co_u32 v27, vcc_lo, v19, v0
	v_add_co_ci_u32_e32 v28, vcc_lo, v22, v1, vcc_lo
	s_delay_alu instid0(VALU_DEP_3)
	v_cvt_f64_f32_e32 v[24:25], v17
	s_mov_b64 s[0:1], 0
	global_store_b64 v[27:28], v[24:25], off
	s_cbranch_execz .LBB174_78
; %bb.76:
	v_dual_mov_b32 v17, s1 :: v_dual_mov_b32 v16, s0
	s_branch .LBB174_79
.LBB174_77:
                                        ; implicit-def: $sgpr0_sgpr1
.LBB174_78:
	v_add_co_u32 v24, vcc_lo, v21, v0
	v_add_co_ci_u32_e32 v25, vcc_lo, v23, v1, vcc_lo
	flat_load_b64 v[24:25], v[24:25]
	s_waitcnt vmcnt(0) lgkmcnt(0)
	v_mul_f64 v[24:25], s[8:9], v[24:25]
	s_delay_alu instid0(VALU_DEP_1)
	v_cvt_f32_f64_e32 v17, v[24:25]
	v_add_co_u32 v24, vcc_lo, v19, v0
	v_add_co_ci_u32_e32 v25, vcc_lo, v22, v1, vcc_lo
	v_add_co_u32 v27, vcc_lo, v21, v2
	v_add_co_ci_u32_e32 v28, vcc_lo, v23, v3, vcc_lo
	v_min_f32_e32 v16, v17, v16
	s_delay_alu instid0(VALU_DEP_1)
	v_cvt_f64_f32_e32 v[16:17], v16
	global_store_b64 v[24:25], v[16:17], off
	flat_load_b64 v[16:17], v[27:28]
	s_waitcnt vmcnt(0) lgkmcnt(0)
	v_mul_f64 v[16:17], s[8:9], v[16:17]
.LBB174_79:
	s_delay_alu instid0(VALU_DEP_1) | instskip(SKIP_4) | instid1(VALU_DEP_3)
	v_cvt_f32_f64_e32 v16, v[16:17]
	v_max_f32_e32 v17, v200, v200
	v_add_co_u32 v27, vcc_lo, v19, v2
	v_add_co_ci_u32_e32 v28, vcc_lo, v22, v3, vcc_lo
	s_mov_b32 vcc_lo, s2
	v_min_f32_e32 v16, v16, v17
	s_delay_alu instid0(VALU_DEP_1)
	v_cvt_f64_f32_e32 v[24:25], v16
	v_max_f32_e32 v16, v26, v26
	global_store_b64 v[27:28], v[24:25], off
	s_cbranch_vccz .LBB174_82
; %bb.80:
	v_min_f32_e32 v17, 0, v16
	v_add_co_u32 v27, vcc_lo, v19, v4
	v_add_co_ci_u32_e32 v28, vcc_lo, v22, v5, vcc_lo
	s_delay_alu instid0(VALU_DEP_3)
	v_cvt_f64_f32_e32 v[24:25], v17
	s_mov_b64 s[0:1], 0
	global_store_b64 v[27:28], v[24:25], off
	s_cbranch_execz .LBB174_83
; %bb.81:
	v_dual_mov_b32 v17, s1 :: v_dual_mov_b32 v16, s0
	s_branch .LBB174_84
.LBB174_82:
                                        ; implicit-def: $sgpr0_sgpr1
.LBB174_83:
	v_add_co_u32 v24, vcc_lo, v21, v4
	v_add_co_ci_u32_e32 v25, vcc_lo, v23, v5, vcc_lo
	flat_load_b64 v[24:25], v[24:25]
	s_waitcnt vmcnt(0) lgkmcnt(0)
	v_mul_f64 v[24:25], s[8:9], v[24:25]
	s_delay_alu instid0(VALU_DEP_1)
	v_cvt_f32_f64_e32 v17, v[24:25]
	v_add_co_u32 v24, vcc_lo, v19, v4
	v_add_co_ci_u32_e32 v25, vcc_lo, v22, v5, vcc_lo
	v_add_co_u32 v27, vcc_lo, v21, v6
	v_add_co_ci_u32_e32 v28, vcc_lo, v23, v7, vcc_lo
	v_min_f32_e32 v16, v17, v16
	s_delay_alu instid0(VALU_DEP_1)
	v_cvt_f64_f32_e32 v[16:17], v16
	global_store_b64 v[24:25], v[16:17], off
	flat_load_b64 v[16:17], v[27:28]
	s_waitcnt vmcnt(0) lgkmcnt(0)
	v_mul_f64 v[16:17], s[8:9], v[16:17]
.LBB174_84:
	s_delay_alu instid0(VALU_DEP_1) | instskip(SKIP_4) | instid1(VALU_DEP_3)
	v_cvt_f32_f64_e32 v16, v[16:17]
	v_max_f32_e32 v17, v138, v138
	v_add_co_u32 v27, vcc_lo, v19, v6
	v_add_co_ci_u32_e32 v28, vcc_lo, v22, v7, vcc_lo
	s_mov_b32 vcc_lo, s2
	v_min_f32_e32 v16, v16, v17
	s_delay_alu instid0(VALU_DEP_1)
	v_cvt_f64_f32_e32 v[24:25], v16
	v_max_f32_e32 v16, v238, v238
	;; [unrolled: 46-line block ×3, first 2 shown]
	global_store_b64 v[27:28], v[24:25], off
	s_cbranch_vccz .LBB174_92
; %bb.90:
	v_min_f32_e32 v17, 0, v16
	v_add_co_u32 v27, vcc_lo, v19, v12
	v_add_co_ci_u32_e32 v28, vcc_lo, v22, v13, vcc_lo
	s_delay_alu instid0(VALU_DEP_3)
	v_cvt_f64_f32_e32 v[24:25], v17
	s_mov_b64 s[0:1], 0
	global_store_b64 v[27:28], v[24:25], off
	s_cbranch_execz .LBB174_93
; %bb.91:
	v_dual_mov_b32 v17, s1 :: v_dual_mov_b32 v16, s0
	s_branch .LBB174_94
.LBB174_92:
                                        ; implicit-def: $sgpr0_sgpr1
.LBB174_93:
	v_add_co_u32 v24, vcc_lo, v21, v12
	v_add_co_ci_u32_e32 v25, vcc_lo, v23, v13, vcc_lo
	flat_load_b64 v[24:25], v[24:25]
	s_waitcnt vmcnt(0) lgkmcnt(0)
	v_mul_f64 v[24:25], s[8:9], v[24:25]
	s_delay_alu instid0(VALU_DEP_1)
	v_cvt_f32_f64_e32 v17, v[24:25]
	v_add_co_u32 v24, vcc_lo, v19, v12
	v_add_co_ci_u32_e32 v25, vcc_lo, v22, v13, vcc_lo
	v_add_co_u32 v20, vcc_lo, v21, v14
	v_add_co_ci_u32_e32 v21, vcc_lo, v23, v15, vcc_lo
	v_min_f32_e32 v16, v17, v16
	s_delay_alu instid0(VALU_DEP_1)
	v_cvt_f64_f32_e32 v[16:17], v16
	global_store_b64 v[24:25], v[16:17], off
	flat_load_b64 v[16:17], v[20:21]
	s_waitcnt vmcnt(0) lgkmcnt(0)
	v_mul_f64 v[16:17], s[8:9], v[16:17]
.LBB174_94:
	s_delay_alu instid0(VALU_DEP_1) | instskip(SKIP_4) | instid1(VALU_DEP_1)
	v_cvt_f32_f64_e32 v16, v[16:17]
	v_max_f32_e32 v17, v105, v105
	v_add_co_u32 v28, vcc_lo, v19, v14
	v_add_co_ci_u32_e32 v29, vcc_lo, v22, v15, vcc_lo
	v_add_nc_u32_e32 v23, 64, v18
	v_mad_i64_i32 v[20:21], null, v23, s3, 0
	s_delay_alu instid0(VALU_DEP_1) | instskip(SKIP_1) | instid1(VALU_DEP_1)
	v_lshlrev_b64 v[21:22], 3, v[20:21]
	v_min_f32_e32 v16, v16, v17
	v_cvt_f64_f32_e32 v[24:25], v16
	v_mad_i64_i32 v[16:17], null, v23, s13, 0
	s_delay_alu instid0(VALU_DEP_1) | instskip(SKIP_1) | instid1(VALU_DEP_2)
	v_lshlrev_b64 v[26:27], 3, v[16:17]
	v_max_f32_e32 v16, v104, v104
	v_add_co_u32 v19, vcc_lo, s4, v26
	s_delay_alu instid0(VALU_DEP_3)
	v_add_co_ci_u32_e32 v20, vcc_lo, s5, v27, vcc_lo
	v_add_co_u32 v21, vcc_lo, s10, v21
	v_add_co_ci_u32_e32 v23, vcc_lo, s11, v22, vcc_lo
	s_mov_b32 vcc_lo, s2
	global_store_b64 v[28:29], v[24:25], off
	s_cbranch_vccz .LBB174_97
; %bb.95:
	v_min_f32_e32 v17, 0, v16
	v_add_co_u32 v26, vcc_lo, v19, v0
	v_add_co_ci_u32_e32 v27, vcc_lo, v20, v1, vcc_lo
	s_delay_alu instid0(VALU_DEP_3)
	v_cvt_f64_f32_e32 v[24:25], v17
	s_mov_b64 s[0:1], 0
	global_store_b64 v[26:27], v[24:25], off
	s_cbranch_execz .LBB174_98
; %bb.96:
	v_dual_mov_b32 v17, s1 :: v_dual_mov_b32 v16, s0
	s_branch .LBB174_99
.LBB174_97:
                                        ; implicit-def: $sgpr0_sgpr1
.LBB174_98:
	v_add_co_u32 v24, vcc_lo, v21, v0
	v_add_co_ci_u32_e32 v25, vcc_lo, v23, v1, vcc_lo
	flat_load_b64 v[24:25], v[24:25]
	s_waitcnt vmcnt(0) lgkmcnt(0)
	v_mul_f64 v[24:25], s[8:9], v[24:25]
	s_delay_alu instid0(VALU_DEP_1)
	v_cvt_f32_f64_e32 v17, v[24:25]
	v_add_co_u32 v24, vcc_lo, v19, v0
	v_add_co_ci_u32_e32 v25, vcc_lo, v20, v1, vcc_lo
	v_add_co_u32 v26, vcc_lo, v21, v2
	v_add_co_ci_u32_e32 v27, vcc_lo, v23, v3, vcc_lo
	v_min_f32_e32 v16, v17, v16
	s_delay_alu instid0(VALU_DEP_1)
	v_cvt_f64_f32_e32 v[16:17], v16
	global_store_b64 v[24:25], v[16:17], off
	flat_load_b64 v[16:17], v[26:27]
	s_waitcnt vmcnt(0) lgkmcnt(0)
	v_mul_f64 v[16:17], s[8:9], v[16:17]
.LBB174_99:
	s_delay_alu instid0(VALU_DEP_1) | instskip(SKIP_4) | instid1(VALU_DEP_3)
	v_cvt_f32_f64_e32 v16, v[16:17]
	v_max_f32_e32 v17, v49, v49
	v_add_co_u32 v26, vcc_lo, v19, v2
	v_add_co_ci_u32_e32 v27, vcc_lo, v20, v3, vcc_lo
	s_mov_b32 vcc_lo, s2
	v_min_f32_e32 v16, v16, v17
	s_delay_alu instid0(VALU_DEP_1)
	v_cvt_f64_f32_e32 v[24:25], v16
	v_max_f32_e32 v16, v114, v114
	global_store_b64 v[26:27], v[24:25], off
	s_cbranch_vccz .LBB174_102
; %bb.100:
	v_min_f32_e32 v17, 0, v16
	v_add_co_u32 v26, vcc_lo, v19, v4
	v_add_co_ci_u32_e32 v27, vcc_lo, v20, v5, vcc_lo
	s_delay_alu instid0(VALU_DEP_3)
	v_cvt_f64_f32_e32 v[24:25], v17
	s_mov_b64 s[0:1], 0
	global_store_b64 v[26:27], v[24:25], off
	s_cbranch_execz .LBB174_103
; %bb.101:
	v_dual_mov_b32 v17, s1 :: v_dual_mov_b32 v16, s0
	s_branch .LBB174_104
.LBB174_102:
                                        ; implicit-def: $sgpr0_sgpr1
.LBB174_103:
	v_add_co_u32 v24, vcc_lo, v21, v4
	v_add_co_ci_u32_e32 v25, vcc_lo, v23, v5, vcc_lo
	flat_load_b64 v[24:25], v[24:25]
	s_waitcnt vmcnt(0) lgkmcnt(0)
	v_mul_f64 v[24:25], s[8:9], v[24:25]
	s_delay_alu instid0(VALU_DEP_1)
	v_cvt_f32_f64_e32 v17, v[24:25]
	v_add_co_u32 v24, vcc_lo, v19, v4
	v_add_co_ci_u32_e32 v25, vcc_lo, v20, v5, vcc_lo
	v_add_co_u32 v26, vcc_lo, v21, v6
	v_add_co_ci_u32_e32 v27, vcc_lo, v23, v7, vcc_lo
	v_min_f32_e32 v16, v17, v16
	s_delay_alu instid0(VALU_DEP_1)
	v_cvt_f64_f32_e32 v[16:17], v16
	global_store_b64 v[24:25], v[16:17], off
	flat_load_b64 v[16:17], v[26:27]
	s_waitcnt vmcnt(0) lgkmcnt(0)
	v_mul_f64 v[16:17], s[8:9], v[16:17]
.LBB174_104:
	s_delay_alu instid0(VALU_DEP_1) | instskip(SKIP_4) | instid1(VALU_DEP_3)
	v_cvt_f32_f64_e32 v16, v[16:17]
	v_max_f32_e32 v17, v95, v95
	v_add_co_u32 v26, vcc_lo, v19, v6
	v_add_co_ci_u32_e32 v27, vcc_lo, v20, v7, vcc_lo
	s_mov_b32 vcc_lo, s2
	v_min_f32_e32 v16, v16, v17
	s_delay_alu instid0(VALU_DEP_1)
	v_cvt_f64_f32_e32 v[24:25], v16
	v_max_f32_e32 v16, v108, v108
	;; [unrolled: 46-line block ×3, first 2 shown]
	global_store_b64 v[26:27], v[24:25], off
	s_cbranch_vccz .LBB174_112
; %bb.110:
	v_min_f32_e32 v17, 0, v16
	v_add_co_u32 v26, vcc_lo, v19, v12
	v_add_co_ci_u32_e32 v27, vcc_lo, v20, v13, vcc_lo
	s_delay_alu instid0(VALU_DEP_3)
	v_cvt_f64_f32_e32 v[24:25], v17
	s_mov_b64 s[0:1], 0
	global_store_b64 v[26:27], v[24:25], off
	s_cbranch_execz .LBB174_113
; %bb.111:
	v_dual_mov_b32 v17, s1 :: v_dual_mov_b32 v16, s0
	s_branch .LBB174_114
.LBB174_112:
                                        ; implicit-def: $sgpr0_sgpr1
.LBB174_113:
	v_add_co_u32 v24, vcc_lo, v21, v12
	v_add_co_ci_u32_e32 v25, vcc_lo, v23, v13, vcc_lo
	flat_load_b64 v[24:25], v[24:25]
	s_waitcnt vmcnt(0) lgkmcnt(0)
	v_mul_f64 v[24:25], s[8:9], v[24:25]
	s_delay_alu instid0(VALU_DEP_1)
	v_cvt_f32_f64_e32 v17, v[24:25]
	v_add_co_u32 v24, vcc_lo, v19, v12
	v_add_co_ci_u32_e32 v25, vcc_lo, v20, v13, vcc_lo
	v_add_co_u32 v21, vcc_lo, v21, v14
	v_add_co_ci_u32_e32 v22, vcc_lo, v23, v15, vcc_lo
	v_min_f32_e32 v16, v17, v16
	s_delay_alu instid0(VALU_DEP_1)
	v_cvt_f64_f32_e32 v[16:17], v16
	global_store_b64 v[24:25], v[16:17], off
	flat_load_b64 v[16:17], v[21:22]
	s_waitcnt vmcnt(0) lgkmcnt(0)
	v_mul_f64 v[16:17], s[8:9], v[16:17]
.LBB174_114:
	s_delay_alu instid0(VALU_DEP_1) | instskip(SKIP_4) | instid1(VALU_DEP_1)
	v_cvt_f32_f64_e32 v16, v[16:17]
	v_max_f32_e32 v17, v64, v64
	v_add_co_u32 v28, vcc_lo, v19, v14
	v_add_co_ci_u32_e32 v29, vcc_lo, v20, v15, vcc_lo
	v_add_nc_u32_e32 v23, 0x60, v18
	v_mad_i64_i32 v[21:22], null, v23, s3, 0
	s_delay_alu instid0(VALU_DEP_1) | instskip(SKIP_1) | instid1(VALU_DEP_1)
	v_lshlrev_b64 v[21:22], 3, v[21:22]
	v_min_f32_e32 v16, v16, v17
	v_cvt_f64_f32_e32 v[24:25], v16
	v_mad_i64_i32 v[16:17], null, v23, s13, 0
	s_delay_alu instid0(VALU_DEP_1) | instskip(SKIP_1) | instid1(VALU_DEP_2)
	v_lshlrev_b64 v[26:27], 3, v[16:17]
	v_max_f32_e32 v16, v112, v112
	v_add_co_u32 v19, vcc_lo, s4, v26
	s_delay_alu instid0(VALU_DEP_3)
	v_add_co_ci_u32_e32 v20, vcc_lo, s5, v27, vcc_lo
	v_add_co_u32 v21, vcc_lo, s10, v21
	v_add_co_ci_u32_e32 v23, vcc_lo, s11, v22, vcc_lo
	s_mov_b32 vcc_lo, s2
	global_store_b64 v[28:29], v[24:25], off
	s_cbranch_vccz .LBB174_117
; %bb.115:
	v_min_f32_e32 v17, 0, v16
	v_add_co_u32 v26, vcc_lo, v19, v0
	v_add_co_ci_u32_e32 v27, vcc_lo, v20, v1, vcc_lo
	s_delay_alu instid0(VALU_DEP_3)
	v_cvt_f64_f32_e32 v[24:25], v17
	s_mov_b64 s[0:1], 0
	global_store_b64 v[26:27], v[24:25], off
	s_cbranch_execz .LBB174_118
; %bb.116:
	v_dual_mov_b32 v17, s1 :: v_dual_mov_b32 v16, s0
	s_branch .LBB174_119
.LBB174_117:
                                        ; implicit-def: $sgpr0_sgpr1
.LBB174_118:
	v_add_co_u32 v24, vcc_lo, v21, v0
	v_add_co_ci_u32_e32 v25, vcc_lo, v23, v1, vcc_lo
	flat_load_b64 v[24:25], v[24:25]
	s_waitcnt vmcnt(0) lgkmcnt(0)
	v_mul_f64 v[24:25], s[8:9], v[24:25]
	s_delay_alu instid0(VALU_DEP_1)
	v_cvt_f32_f64_e32 v17, v[24:25]
	v_add_co_u32 v24, vcc_lo, v19, v0
	v_add_co_ci_u32_e32 v25, vcc_lo, v20, v1, vcc_lo
	v_add_co_u32 v26, vcc_lo, v21, v2
	v_add_co_ci_u32_e32 v27, vcc_lo, v23, v3, vcc_lo
	v_min_f32_e32 v16, v17, v16
	s_delay_alu instid0(VALU_DEP_1)
	v_cvt_f64_f32_e32 v[16:17], v16
	global_store_b64 v[24:25], v[16:17], off
	flat_load_b64 v[16:17], v[26:27]
	s_waitcnt vmcnt(0) lgkmcnt(0)
	v_mul_f64 v[16:17], s[8:9], v[16:17]
.LBB174_119:
	s_delay_alu instid0(VALU_DEP_1) | instskip(SKIP_4) | instid1(VALU_DEP_3)
	v_cvt_f32_f64_e32 v16, v[16:17]
	v_max_f32_e32 v17, v61, v61
	v_add_co_u32 v26, vcc_lo, v19, v2
	v_add_co_ci_u32_e32 v27, vcc_lo, v20, v3, vcc_lo
	s_mov_b32 vcc_lo, s2
	v_min_f32_e32 v16, v16, v17
	s_delay_alu instid0(VALU_DEP_1)
	v_cvt_f64_f32_e32 v[24:25], v16
	v_max_f32_e32 v16, v60, v60
	global_store_b64 v[26:27], v[24:25], off
	s_cbranch_vccz .LBB174_122
; %bb.120:
	v_min_f32_e32 v17, 0, v16
	v_add_co_u32 v26, vcc_lo, v19, v4
	v_add_co_ci_u32_e32 v27, vcc_lo, v20, v5, vcc_lo
	s_delay_alu instid0(VALU_DEP_3)
	v_cvt_f64_f32_e32 v[24:25], v17
	s_mov_b64 s[0:1], 0
	global_store_b64 v[26:27], v[24:25], off
	s_cbranch_execz .LBB174_123
; %bb.121:
	v_dual_mov_b32 v17, s1 :: v_dual_mov_b32 v16, s0
	s_branch .LBB174_124
.LBB174_122:
                                        ; implicit-def: $sgpr0_sgpr1
.LBB174_123:
	v_add_co_u32 v24, vcc_lo, v21, v4
	v_add_co_ci_u32_e32 v25, vcc_lo, v23, v5, vcc_lo
	flat_load_b64 v[24:25], v[24:25]
	s_waitcnt vmcnt(0) lgkmcnt(0)
	v_mul_f64 v[24:25], s[8:9], v[24:25]
	s_delay_alu instid0(VALU_DEP_1)
	v_cvt_f32_f64_e32 v17, v[24:25]
	v_add_co_u32 v24, vcc_lo, v19, v4
	v_add_co_ci_u32_e32 v25, vcc_lo, v20, v5, vcc_lo
	v_add_co_u32 v26, vcc_lo, v21, v6
	v_add_co_ci_u32_e32 v27, vcc_lo, v23, v7, vcc_lo
	v_min_f32_e32 v16, v17, v16
	s_delay_alu instid0(VALU_DEP_1)
	v_cvt_f64_f32_e32 v[16:17], v16
	global_store_b64 v[24:25], v[16:17], off
	flat_load_b64 v[16:17], v[26:27]
	s_waitcnt vmcnt(0) lgkmcnt(0)
	v_mul_f64 v[16:17], s[8:9], v[16:17]
.LBB174_124:
	s_delay_alu instid0(VALU_DEP_1) | instskip(SKIP_4) | instid1(VALU_DEP_3)
	v_cvt_f32_f64_e32 v16, v[16:17]
	v_max_f32_e32 v17, v243, v243
	v_add_co_u32 v26, vcc_lo, v19, v6
	v_add_co_ci_u32_e32 v27, vcc_lo, v20, v7, vcc_lo
	s_mov_b32 vcc_lo, s2
	v_min_f32_e32 v16, v16, v17
	s_delay_alu instid0(VALU_DEP_1)
	v_cvt_f64_f32_e32 v[24:25], v16
	v_max_f32_e32 v16, v107, v107
	global_store_b64 v[26:27], v[24:25], off
	s_cbranch_vccz .LBB174_127
; %bb.125:
	v_min_f32_e32 v17, 0, v16
	v_add_co_u32 v26, vcc_lo, v19, v8
	v_add_co_ci_u32_e32 v27, vcc_lo, v20, v9, vcc_lo
	s_delay_alu instid0(VALU_DEP_3)
	v_cvt_f64_f32_e32 v[24:25], v17
	s_mov_b64 s[0:1], 0
	global_store_b64 v[26:27], v[24:25], off
	s_cbranch_execz .LBB174_128
; %bb.126:
	v_dual_mov_b32 v17, s1 :: v_dual_mov_b32 v16, s0
	s_branch .LBB174_129
.LBB174_127:
                                        ; implicit-def: $sgpr0_sgpr1
.LBB174_128:
	v_add_co_u32 v24, vcc_lo, v21, v8
	v_add_co_ci_u32_e32 v25, vcc_lo, v23, v9, vcc_lo
	flat_load_b64 v[24:25], v[24:25]
	s_waitcnt vmcnt(0) lgkmcnt(0)
	v_mul_f64 v[24:25], s[8:9], v[24:25]
	s_delay_alu instid0(VALU_DEP_1)
	v_cvt_f32_f64_e32 v17, v[24:25]
	v_add_co_u32 v24, vcc_lo, v19, v8
	v_add_co_ci_u32_e32 v25, vcc_lo, v20, v9, vcc_lo
	v_add_co_u32 v26, vcc_lo, v21, v10
	v_add_co_ci_u32_e32 v27, vcc_lo, v23, v11, vcc_lo
	v_min_f32_e32 v16, v17, v16
	s_delay_alu instid0(VALU_DEP_1)
	v_cvt_f64_f32_e32 v[16:17], v16
	global_store_b64 v[24:25], v[16:17], off
	flat_load_b64 v[16:17], v[26:27]
	s_waitcnt vmcnt(0) lgkmcnt(0)
	v_mul_f64 v[16:17], s[8:9], v[16:17]
.LBB174_129:
	s_delay_alu instid0(VALU_DEP_1) | instskip(SKIP_4) | instid1(VALU_DEP_3)
	v_cvt_f32_f64_e32 v16, v[16:17]
	v_max_f32_e32 v17, v58, v58
	v_add_co_u32 v26, vcc_lo, v19, v10
	v_add_co_ci_u32_e32 v27, vcc_lo, v20, v11, vcc_lo
	s_mov_b32 vcc_lo, s2
	v_min_f32_e32 v16, v16, v17
	s_delay_alu instid0(VALU_DEP_1)
	v_cvt_f64_f32_e32 v[24:25], v16
	v_max_f32_e32 v16, v42, v42
	global_store_b64 v[26:27], v[24:25], off
	s_cbranch_vccz .LBB174_132
; %bb.130:
	v_min_f32_e32 v17, 0, v16
	v_add_co_u32 v26, vcc_lo, v19, v12
	v_add_co_ci_u32_e32 v27, vcc_lo, v20, v13, vcc_lo
	s_delay_alu instid0(VALU_DEP_3)
	v_cvt_f64_f32_e32 v[24:25], v17
	s_mov_b64 s[0:1], 0
	global_store_b64 v[26:27], v[24:25], off
	s_cbranch_execz .LBB174_133
; %bb.131:
	v_dual_mov_b32 v17, s1 :: v_dual_mov_b32 v16, s0
	s_branch .LBB174_134
.LBB174_132:
                                        ; implicit-def: $sgpr0_sgpr1
.LBB174_133:
	v_add_co_u32 v24, vcc_lo, v21, v12
	v_add_co_ci_u32_e32 v25, vcc_lo, v23, v13, vcc_lo
	flat_load_b64 v[24:25], v[24:25]
	s_waitcnt vmcnt(0) lgkmcnt(0)
	v_mul_f64 v[24:25], s[8:9], v[24:25]
	s_delay_alu instid0(VALU_DEP_1)
	v_cvt_f32_f64_e32 v17, v[24:25]
	v_add_co_u32 v24, vcc_lo, v19, v12
	v_add_co_ci_u32_e32 v25, vcc_lo, v20, v13, vcc_lo
	v_add_co_u32 v21, vcc_lo, v21, v14
	v_add_co_ci_u32_e32 v22, vcc_lo, v23, v15, vcc_lo
	v_min_f32_e32 v16, v17, v16
	s_delay_alu instid0(VALU_DEP_1)
	v_cvt_f64_f32_e32 v[16:17], v16
	global_store_b64 v[24:25], v[16:17], off
	flat_load_b64 v[16:17], v[21:22]
	s_waitcnt vmcnt(0) lgkmcnt(0)
	v_mul_f64 v[16:17], s[8:9], v[16:17]
.LBB174_134:
	s_delay_alu instid0(VALU_DEP_1) | instskip(SKIP_4) | instid1(VALU_DEP_1)
	v_cvt_f32_f64_e32 v16, v[16:17]
	v_max_f32_e32 v17, v56, v56
	v_add_co_u32 v28, vcc_lo, v19, v14
	v_add_co_ci_u32_e32 v29, vcc_lo, v20, v15, vcc_lo
	v_add_nc_u32_e32 v23, 0x80, v18
	v_mad_i64_i32 v[21:22], null, v23, s3, 0
	s_delay_alu instid0(VALU_DEP_1) | instskip(SKIP_1) | instid1(VALU_DEP_1)
	v_lshlrev_b64 v[21:22], 3, v[21:22]
	v_min_f32_e32 v16, v16, v17
	v_cvt_f64_f32_e32 v[24:25], v16
	v_mad_i64_i32 v[16:17], null, v23, s13, 0
	s_delay_alu instid0(VALU_DEP_1) | instskip(SKIP_1) | instid1(VALU_DEP_2)
	v_lshlrev_b64 v[26:27], 3, v[16:17]
	v_max_f32_e32 v16, v40, v40
	v_add_co_u32 v19, vcc_lo, s4, v26
	s_delay_alu instid0(VALU_DEP_3)
	v_add_co_ci_u32_e32 v20, vcc_lo, s5, v27, vcc_lo
	v_add_co_u32 v21, vcc_lo, s10, v21
	v_add_co_ci_u32_e32 v23, vcc_lo, s11, v22, vcc_lo
	s_mov_b32 vcc_lo, s2
	global_store_b64 v[28:29], v[24:25], off
	s_cbranch_vccz .LBB174_137
; %bb.135:
	v_min_f32_e32 v17, 0, v16
	v_add_co_u32 v26, vcc_lo, v19, v0
	v_add_co_ci_u32_e32 v27, vcc_lo, v20, v1, vcc_lo
	s_delay_alu instid0(VALU_DEP_3)
	v_cvt_f64_f32_e32 v[24:25], v17
	s_mov_b64 s[0:1], 0
	global_store_b64 v[26:27], v[24:25], off
	s_cbranch_execz .LBB174_138
; %bb.136:
	v_dual_mov_b32 v17, s1 :: v_dual_mov_b32 v16, s0
	s_branch .LBB174_139
.LBB174_137:
                                        ; implicit-def: $sgpr0_sgpr1
.LBB174_138:
	v_add_co_u32 v24, vcc_lo, v21, v0
	v_add_co_ci_u32_e32 v25, vcc_lo, v23, v1, vcc_lo
	flat_load_b64 v[24:25], v[24:25]
	s_waitcnt vmcnt(0) lgkmcnt(0)
	v_mul_f64 v[24:25], s[8:9], v[24:25]
	s_delay_alu instid0(VALU_DEP_1)
	v_cvt_f32_f64_e32 v17, v[24:25]
	v_add_co_u32 v24, vcc_lo, v19, v0
	v_add_co_ci_u32_e32 v25, vcc_lo, v20, v1, vcc_lo
	v_add_co_u32 v26, vcc_lo, v21, v2
	v_add_co_ci_u32_e32 v27, vcc_lo, v23, v3, vcc_lo
	v_min_f32_e32 v16, v17, v16
	s_delay_alu instid0(VALU_DEP_1)
	v_cvt_f64_f32_e32 v[16:17], v16
	global_store_b64 v[24:25], v[16:17], off
	flat_load_b64 v[16:17], v[26:27]
	s_waitcnt vmcnt(0) lgkmcnt(0)
	v_mul_f64 v[16:17], s[8:9], v[16:17]
.LBB174_139:
	s_delay_alu instid0(VALU_DEP_1) | instskip(SKIP_4) | instid1(VALU_DEP_3)
	v_cvt_f32_f64_e32 v16, v[16:17]
	v_max_f32_e32 v17, v54, v54
	v_add_co_u32 v26, vcc_lo, v19, v2
	v_add_co_ci_u32_e32 v27, vcc_lo, v20, v3, vcc_lo
	s_mov_b32 vcc_lo, s2
	v_min_f32_e32 v16, v16, v17
	s_delay_alu instid0(VALU_DEP_1)
	v_cvt_f64_f32_e32 v[24:25], v16
	v_max_f32_e32 v16, v38, v38
	global_store_b64 v[26:27], v[24:25], off
	s_cbranch_vccz .LBB174_142
; %bb.140:
	v_min_f32_e32 v17, 0, v16
	v_add_co_u32 v26, vcc_lo, v19, v4
	v_add_co_ci_u32_e32 v27, vcc_lo, v20, v5, vcc_lo
	s_delay_alu instid0(VALU_DEP_3)
	v_cvt_f64_f32_e32 v[24:25], v17
	s_mov_b64 s[0:1], 0
	global_store_b64 v[26:27], v[24:25], off
	s_cbranch_execz .LBB174_143
; %bb.141:
	v_dual_mov_b32 v17, s1 :: v_dual_mov_b32 v16, s0
	s_branch .LBB174_144
.LBB174_142:
                                        ; implicit-def: $sgpr0_sgpr1
.LBB174_143:
	v_add_co_u32 v24, vcc_lo, v21, v4
	v_add_co_ci_u32_e32 v25, vcc_lo, v23, v5, vcc_lo
	flat_load_b64 v[24:25], v[24:25]
	s_waitcnt vmcnt(0) lgkmcnt(0)
	v_mul_f64 v[24:25], s[8:9], v[24:25]
	s_delay_alu instid0(VALU_DEP_1)
	v_cvt_f32_f64_e32 v17, v[24:25]
	v_add_co_u32 v24, vcc_lo, v19, v4
	v_add_co_ci_u32_e32 v25, vcc_lo, v20, v5, vcc_lo
	v_add_co_u32 v26, vcc_lo, v21, v6
	v_add_co_ci_u32_e32 v27, vcc_lo, v23, v7, vcc_lo
	v_min_f32_e32 v16, v17, v16
	s_delay_alu instid0(VALU_DEP_1)
	v_cvt_f64_f32_e32 v[16:17], v16
	global_store_b64 v[24:25], v[16:17], off
	flat_load_b64 v[16:17], v[26:27]
	s_waitcnt vmcnt(0) lgkmcnt(0)
	v_mul_f64 v[16:17], s[8:9], v[16:17]
.LBB174_144:
	s_delay_alu instid0(VALU_DEP_1) | instskip(SKIP_4) | instid1(VALU_DEP_3)
	v_cvt_f32_f64_e32 v16, v[16:17]
	v_max_f32_e32 v17, v37, v37
	v_add_co_u32 v26, vcc_lo, v19, v6
	v_add_co_ci_u32_e32 v27, vcc_lo, v20, v7, vcc_lo
	s_mov_b32 vcc_lo, s2
	v_min_f32_e32 v16, v16, v17
	s_delay_alu instid0(VALU_DEP_1)
	v_cvt_f64_f32_e32 v[24:25], v16
	v_max_f32_e32 v16, v52, v52
	;; [unrolled: 46-line block ×3, first 2 shown]
	global_store_b64 v[26:27], v[24:25], off
	s_cbranch_vccz .LBB174_152
; %bb.150:
	v_min_f32_e32 v17, 0, v16
	v_add_co_u32 v26, vcc_lo, v19, v12
	v_add_co_ci_u32_e32 v27, vcc_lo, v20, v13, vcc_lo
	s_delay_alu instid0(VALU_DEP_3)
	v_cvt_f64_f32_e32 v[24:25], v17
	s_mov_b64 s[0:1], 0
	global_store_b64 v[26:27], v[24:25], off
	s_cbranch_execz .LBB174_153
; %bb.151:
	v_dual_mov_b32 v17, s1 :: v_dual_mov_b32 v16, s0
	s_branch .LBB174_154
.LBB174_152:
                                        ; implicit-def: $sgpr0_sgpr1
.LBB174_153:
	v_add_co_u32 v24, vcc_lo, v21, v12
	v_add_co_ci_u32_e32 v25, vcc_lo, v23, v13, vcc_lo
	flat_load_b64 v[24:25], v[24:25]
	s_waitcnt vmcnt(0) lgkmcnt(0)
	v_mul_f64 v[24:25], s[8:9], v[24:25]
	s_delay_alu instid0(VALU_DEP_1)
	v_cvt_f32_f64_e32 v17, v[24:25]
	v_add_co_u32 v24, vcc_lo, v19, v12
	v_add_co_ci_u32_e32 v25, vcc_lo, v20, v13, vcc_lo
	v_add_co_u32 v21, vcc_lo, v21, v14
	v_add_co_ci_u32_e32 v22, vcc_lo, v23, v15, vcc_lo
	v_min_f32_e32 v16, v17, v16
	s_delay_alu instid0(VALU_DEP_1)
	v_cvt_f64_f32_e32 v[16:17], v16
	global_store_b64 v[24:25], v[16:17], off
	flat_load_b64 v[16:17], v[21:22]
	s_waitcnt vmcnt(0) lgkmcnt(0)
	v_mul_f64 v[16:17], s[8:9], v[16:17]
.LBB174_154:
	s_delay_alu instid0(VALU_DEP_1) | instskip(SKIP_4) | instid1(VALU_DEP_1)
	v_cvt_f32_f64_e32 v16, v[16:17]
	v_max_f32_e32 v17, v35, v35
	v_add_co_u32 v28, vcc_lo, v19, v14
	v_add_co_ci_u32_e32 v29, vcc_lo, v20, v15, vcc_lo
	v_add_nc_u32_e32 v23, 0xa0, v18
	v_mad_i64_i32 v[21:22], null, v23, s3, 0
	s_delay_alu instid0(VALU_DEP_1) | instskip(SKIP_1) | instid1(VALU_DEP_1)
	v_lshlrev_b64 v[21:22], 3, v[21:22]
	v_min_f32_e32 v16, v16, v17
	v_cvt_f64_f32_e32 v[24:25], v16
	v_mad_i64_i32 v[16:17], null, v23, s13, 0
	s_delay_alu instid0(VALU_DEP_1) | instskip(SKIP_1) | instid1(VALU_DEP_2)
	v_lshlrev_b64 v[26:27], 3, v[16:17]
	v_max_f32_e32 v16, v221, v221
	v_add_co_u32 v19, vcc_lo, s4, v26
	s_delay_alu instid0(VALU_DEP_3)
	v_add_co_ci_u32_e32 v20, vcc_lo, s5, v27, vcc_lo
	v_add_co_u32 v21, vcc_lo, s10, v21
	v_add_co_ci_u32_e32 v23, vcc_lo, s11, v22, vcc_lo
	s_mov_b32 vcc_lo, s2
	global_store_b64 v[28:29], v[24:25], off
	s_cbranch_vccz .LBB174_157
; %bb.155:
	v_min_f32_e32 v17, 0, v16
	v_add_co_u32 v26, vcc_lo, v19, v0
	v_add_co_ci_u32_e32 v27, vcc_lo, v20, v1, vcc_lo
	s_delay_alu instid0(VALU_DEP_3)
	v_cvt_f64_f32_e32 v[24:25], v17
	s_mov_b64 s[0:1], 0
	global_store_b64 v[26:27], v[24:25], off
	s_cbranch_execz .LBB174_158
; %bb.156:
	v_dual_mov_b32 v17, s1 :: v_dual_mov_b32 v16, s0
	s_branch .LBB174_159
.LBB174_157:
                                        ; implicit-def: $sgpr0_sgpr1
.LBB174_158:
	v_add_co_u32 v24, vcc_lo, v21, v0
	v_add_co_ci_u32_e32 v25, vcc_lo, v23, v1, vcc_lo
	flat_load_b64 v[24:25], v[24:25]
	s_waitcnt vmcnt(0) lgkmcnt(0)
	v_mul_f64 v[24:25], s[8:9], v[24:25]
	s_delay_alu instid0(VALU_DEP_1)
	v_cvt_f32_f64_e32 v17, v[24:25]
	v_add_co_u32 v24, vcc_lo, v19, v0
	v_add_co_ci_u32_e32 v25, vcc_lo, v20, v1, vcc_lo
	v_add_co_u32 v26, vcc_lo, v21, v2
	v_add_co_ci_u32_e32 v27, vcc_lo, v23, v3, vcc_lo
	v_min_f32_e32 v16, v17, v16
	s_delay_alu instid0(VALU_DEP_1)
	v_cvt_f64_f32_e32 v[16:17], v16
	global_store_b64 v[24:25], v[16:17], off
	flat_load_b64 v[16:17], v[26:27]
	s_waitcnt vmcnt(0) lgkmcnt(0)
	v_mul_f64 v[16:17], s[8:9], v[16:17]
.LBB174_159:
	s_delay_alu instid0(VALU_DEP_1) | instskip(SKIP_4) | instid1(VALU_DEP_3)
	v_cvt_f32_f64_e32 v16, v[16:17]
	v_max_f32_e32 v17, v222, v222
	v_add_co_u32 v26, vcc_lo, v19, v2
	v_add_co_ci_u32_e32 v27, vcc_lo, v20, v3, vcc_lo
	s_mov_b32 vcc_lo, s2
	v_min_f32_e32 v16, v16, v17
	s_delay_alu instid0(VALU_DEP_1)
	v_cvt_f64_f32_e32 v[24:25], v16
	v_max_f32_e32 v16, v223, v223
	global_store_b64 v[26:27], v[24:25], off
	s_cbranch_vccz .LBB174_162
; %bb.160:
	v_min_f32_e32 v17, 0, v16
	v_add_co_u32 v26, vcc_lo, v19, v4
	v_add_co_ci_u32_e32 v27, vcc_lo, v20, v5, vcc_lo
	s_delay_alu instid0(VALU_DEP_3)
	v_cvt_f64_f32_e32 v[24:25], v17
	s_mov_b32 s0, 0
	global_store_b64 v[26:27], v[24:25], off
	s_cbranch_execz .LBB174_163
; %bb.161:
	v_mov_b32_e32 v16, s0
	s_branch .LBB174_164
.LBB174_162:
	s_mov_b32 s0, -1
.LBB174_163:
	v_add_co_u32 v24, vcc_lo, v21, v4
	v_add_co_ci_u32_e32 v25, vcc_lo, v23, v5, vcc_lo
	flat_load_b64 v[24:25], v[24:25]
	s_waitcnt vmcnt(0) lgkmcnt(0)
	v_mul_f64 v[24:25], s[8:9], v[24:25]
	s_delay_alu instid0(VALU_DEP_1)
	v_cvt_f32_f64_e32 v17, v[24:25]
	v_add_co_u32 v24, vcc_lo, v19, v4
	v_add_co_ci_u32_e32 v25, vcc_lo, v20, v5, vcc_lo
	v_add_co_u32 v26, vcc_lo, v21, v6
	v_add_co_ci_u32_e32 v27, vcc_lo, v23, v7, vcc_lo
	v_min_f32_e32 v16, v17, v16
	s_delay_alu instid0(VALU_DEP_1) | instskip(SKIP_4) | instid1(VALU_DEP_1)
	v_cvt_f64_f32_e32 v[16:17], v16
	global_store_b64 v[24:25], v[16:17], off
	flat_load_b64 v[16:17], v[26:27]
	s_waitcnt vmcnt(0) lgkmcnt(0)
	v_mul_f64 v[16:17], s[8:9], v[16:17]
	v_cvt_f32_f64_e32 v16, v[16:17]
.LBB174_164:
	s_delay_alu instid0(VALU_DEP_1) | instskip(SKIP_2) | instid1(VALU_DEP_3)
	v_dual_max_f32 v17, v34, v34 :: v_dual_max_f32 v16, v16, v16
	v_add_co_u32 v26, vcc_lo, v19, v6
	v_add_co_ci_u32_e32 v27, vcc_lo, v20, v7, vcc_lo
	v_min_f32_e32 v16, v16, v17
	s_mov_b32 vcc_lo, s2
	s_delay_alu instid0(VALU_DEP_1)
	v_cvt_f64_f32_e32 v[24:25], v16
	v_max_f32_e32 v16, v51, v51
	global_store_b64 v[26:27], v[24:25], off
	s_cbranch_vccz .LBB174_167
; %bb.165:
	v_min_f32_e32 v17, 0, v16
	v_add_co_u32 v26, vcc_lo, v19, v8
	v_add_co_ci_u32_e32 v27, vcc_lo, v20, v9, vcc_lo
	s_delay_alu instid0(VALU_DEP_3)
	v_cvt_f64_f32_e32 v[24:25], v17
	s_mov_b32 s0, 0
	global_store_b64 v[26:27], v[24:25], off
	s_cbranch_execz .LBB174_168
; %bb.166:
	v_mov_b32_e32 v16, s0
	s_branch .LBB174_169
.LBB174_167:
	s_mov_b32 s0, -1
.LBB174_168:
	v_add_co_u32 v24, vcc_lo, v21, v8
	v_add_co_ci_u32_e32 v25, vcc_lo, v23, v9, vcc_lo
	flat_load_b64 v[24:25], v[24:25]
	s_waitcnt vmcnt(0) lgkmcnt(0)
	v_mul_f64 v[24:25], s[8:9], v[24:25]
	s_delay_alu instid0(VALU_DEP_1)
	v_cvt_f32_f64_e32 v17, v[24:25]
	v_add_co_u32 v24, vcc_lo, v19, v8
	v_add_co_ci_u32_e32 v25, vcc_lo, v20, v9, vcc_lo
	v_add_co_u32 v26, vcc_lo, v21, v10
	v_add_co_ci_u32_e32 v27, vcc_lo, v23, v11, vcc_lo
	v_min_f32_e32 v16, v17, v16
	s_delay_alu instid0(VALU_DEP_1) | instskip(SKIP_4) | instid1(VALU_DEP_1)
	v_cvt_f64_f32_e32 v[16:17], v16
	global_store_b64 v[24:25], v[16:17], off
	flat_load_b64 v[16:17], v[26:27]
	s_waitcnt vmcnt(0) lgkmcnt(0)
	v_mul_f64 v[16:17], s[8:9], v[16:17]
	v_cvt_f32_f64_e32 v16, v[16:17]
.LBB174_169:
	s_delay_alu instid0(VALU_DEP_1) | instskip(SKIP_2) | instid1(VALU_DEP_3)
	v_dual_max_f32 v17, v63, v63 :: v_dual_max_f32 v16, v16, v16
	v_add_co_u32 v26, vcc_lo, v19, v10
	v_add_co_ci_u32_e32 v27, vcc_lo, v20, v11, vcc_lo
	v_min_f32_e32 v16, v16, v17
	s_mov_b32 vcc_lo, s2
	s_delay_alu instid0(VALU_DEP_1)
	v_cvt_f64_f32_e32 v[24:25], v16
	v_max_f32_e32 v16, v62, v62
	global_store_b64 v[26:27], v[24:25], off
	s_cbranch_vccz .LBB174_172
; %bb.170:
	v_min_f32_e32 v17, 0, v16
	v_add_co_u32 v26, vcc_lo, v19, v12
	v_add_co_ci_u32_e32 v27, vcc_lo, v20, v13, vcc_lo
	s_delay_alu instid0(VALU_DEP_3)
	v_cvt_f64_f32_e32 v[24:25], v17
	s_mov_b32 s0, 0
	global_store_b64 v[26:27], v[24:25], off
	s_cbranch_execz .LBB174_173
; %bb.171:
	v_mov_b32_e32 v16, s0
	s_branch .LBB174_174
.LBB174_172:
	s_mov_b32 s0, -1
.LBB174_173:
	v_add_co_u32 v24, vcc_lo, v21, v12
	v_add_co_ci_u32_e32 v25, vcc_lo, v23, v13, vcc_lo
	flat_load_b64 v[24:25], v[24:25]
	s_waitcnt vmcnt(0) lgkmcnt(0)
	v_mul_f64 v[24:25], s[8:9], v[24:25]
	s_delay_alu instid0(VALU_DEP_1)
	v_cvt_f32_f64_e32 v17, v[24:25]
	v_add_co_u32 v24, vcc_lo, v19, v12
	v_add_co_ci_u32_e32 v25, vcc_lo, v20, v13, vcc_lo
	v_add_co_u32 v21, vcc_lo, v21, v14
	v_add_co_ci_u32_e32 v22, vcc_lo, v23, v15, vcc_lo
	v_min_f32_e32 v16, v17, v16
	s_delay_alu instid0(VALU_DEP_1) | instskip(SKIP_4) | instid1(VALU_DEP_1)
	v_cvt_f64_f32_e32 v[16:17], v16
	global_store_b64 v[24:25], v[16:17], off
	flat_load_b64 v[16:17], v[21:22]
	s_waitcnt vmcnt(0) lgkmcnt(0)
	v_mul_f64 v[16:17], s[8:9], v[16:17]
	v_cvt_f32_f64_e32 v16, v[16:17]
.LBB174_174:
	v_max_f32_e32 v17, v244, v244
	s_delay_alu instid0(VALU_DEP_2) | instskip(SKIP_2) | instid1(VALU_DEP_3)
	v_dual_max_f32 v16, v16, v16 :: v_dual_add_nc_u32 v21, 0xc0, v18
	v_add_co_u32 v26, vcc_lo, v19, v14
	v_add_co_ci_u32_e32 v27, vcc_lo, v20, v15, vcc_lo
	v_min_f32_e32 v16, v16, v17
	s_delay_alu instid0(VALU_DEP_4) | instskip(NEXT) | instid1(VALU_DEP_2)
	v_mad_i64_i32 v[24:25], null, v21, s3, 0
	v_cvt_f64_f32_e32 v[22:23], v16
	v_mad_i64_i32 v[16:17], null, v21, s13, 0
	v_max_f32_e32 v21, v241, v241
	s_delay_alu instid0(VALU_DEP_4) | instskip(NEXT) | instid1(VALU_DEP_3)
	v_lshlrev_b64 v[19:20], 3, v[24:25]
	v_lshlrev_b64 v[16:17], 3, v[16:17]
	s_delay_alu instid0(VALU_DEP_1) | instskip(NEXT) | instid1(VALU_DEP_2)
	v_add_co_u32 v16, vcc_lo, s4, v16
	v_add_co_ci_u32_e32 v17, vcc_lo, s5, v17, vcc_lo
	s_delay_alu instid0(VALU_DEP_4)
	v_add_co_u32 v19, vcc_lo, s10, v19
	v_add_co_ci_u32_e32 v20, vcc_lo, s11, v20, vcc_lo
	s_mov_b32 vcc_lo, s2
	global_store_b64 v[26:27], v[22:23], off
	s_cbranch_vccz .LBB174_177
; %bb.175:
	v_min_f32_e32 v22, 0, v21
	v_add_co_u32 v24, vcc_lo, v16, v0
	v_add_co_ci_u32_e32 v25, vcc_lo, v17, v1, vcc_lo
	s_delay_alu instid0(VALU_DEP_3)
	v_cvt_f64_f32_e32 v[22:23], v22
	s_mov_b32 s0, 0
	global_store_b64 v[24:25], v[22:23], off
	s_cbranch_execz .LBB174_178
; %bb.176:
	v_mov_b32_e32 v21, s0
	s_branch .LBB174_179
.LBB174_177:
	s_mov_b32 s0, -1
.LBB174_178:
	v_add_co_u32 v22, vcc_lo, v19, v0
	v_add_co_ci_u32_e32 v23, vcc_lo, v20, v1, vcc_lo
	flat_load_b64 v[22:23], v[22:23]
	s_waitcnt vmcnt(0) lgkmcnt(0)
	v_mul_f64 v[22:23], s[8:9], v[22:23]
	s_delay_alu instid0(VALU_DEP_1)
	v_cvt_f32_f64_e32 v22, v[22:23]
	v_add_co_u32 v23, vcc_lo, v16, v0
	v_add_co_ci_u32_e32 v24, vcc_lo, v17, v1, vcc_lo
	v_add_co_u32 v25, vcc_lo, v19, v2
	v_add_co_ci_u32_e32 v26, vcc_lo, v20, v3, vcc_lo
	v_min_f32_e32 v21, v22, v21
	s_delay_alu instid0(VALU_DEP_1) | instskip(SKIP_4) | instid1(VALU_DEP_1)
	v_cvt_f64_f32_e32 v[21:22], v21
	global_store_b64 v[23:24], v[21:22], off
	flat_load_b64 v[21:22], v[25:26]
	s_waitcnt vmcnt(0) lgkmcnt(0)
	v_mul_f64 v[21:22], s[8:9], v[21:22]
	v_cvt_f32_f64_e32 v21, v[21:22]
.LBB174_179:
	v_max_f32_e32 v22, v237, v237
	s_delay_alu instid0(VALU_DEP_2) | instskip(SKIP_2) | instid1(VALU_DEP_3)
	v_max_f32_e32 v21, v21, v21
	v_add_co_u32 v24, vcc_lo, v16, v2
	v_add_co_ci_u32_e32 v25, vcc_lo, v17, v3, vcc_lo
	v_min_f32_e32 v21, v21, v22
	s_mov_b32 vcc_lo, s2
	s_delay_alu instid0(VALU_DEP_1)
	v_cvt_f64_f32_e32 v[22:23], v21
	v_max_f32_e32 v21, v204, v204
	global_store_b64 v[24:25], v[22:23], off
	s_cbranch_vccz .LBB174_182
; %bb.180:
	v_min_f32_e32 v22, 0, v21
	v_add_co_u32 v24, vcc_lo, v16, v4
	v_add_co_ci_u32_e32 v25, vcc_lo, v17, v5, vcc_lo
	s_delay_alu instid0(VALU_DEP_3)
	v_cvt_f64_f32_e32 v[22:23], v22
	s_mov_b32 s0, 0
	global_store_b64 v[24:25], v[22:23], off
	s_cbranch_execz .LBB174_183
; %bb.181:
	v_mov_b32_e32 v21, s0
	s_branch .LBB174_184
.LBB174_182:
	s_mov_b32 s0, -1
.LBB174_183:
	v_add_co_u32 v22, vcc_lo, v19, v4
	v_add_co_ci_u32_e32 v23, vcc_lo, v20, v5, vcc_lo
	flat_load_b64 v[22:23], v[22:23]
	s_waitcnt vmcnt(0) lgkmcnt(0)
	v_mul_f64 v[22:23], s[8:9], v[22:23]
	s_delay_alu instid0(VALU_DEP_1)
	v_cvt_f32_f64_e32 v22, v[22:23]
	v_add_co_u32 v23, vcc_lo, v16, v4
	v_add_co_ci_u32_e32 v24, vcc_lo, v17, v5, vcc_lo
	v_add_co_u32 v25, vcc_lo, v19, v6
	v_add_co_ci_u32_e32 v26, vcc_lo, v20, v7, vcc_lo
	v_min_f32_e32 v21, v22, v21
	s_delay_alu instid0(VALU_DEP_1) | instskip(SKIP_4) | instid1(VALU_DEP_1)
	v_cvt_f64_f32_e32 v[21:22], v21
	global_store_b64 v[23:24], v[21:22], off
	flat_load_b64 v[21:22], v[25:26]
	s_waitcnt vmcnt(0) lgkmcnt(0)
	v_mul_f64 v[21:22], s[8:9], v[21:22]
	v_cvt_f32_f64_e32 v21, v[21:22]
.LBB174_184:
	s_delay_alu instid0(VALU_DEP_1) | instskip(SKIP_2) | instid1(VALU_DEP_3)
	v_dual_max_f32 v22, v203, v203 :: v_dual_max_f32 v21, v21, v21
	v_add_co_u32 v24, vcc_lo, v16, v6
	v_add_co_ci_u32_e32 v25, vcc_lo, v17, v7, vcc_lo
	v_min_f32_e32 v21, v21, v22
	s_mov_b32 vcc_lo, s2
	s_delay_alu instid0(VALU_DEP_1)
	v_cvt_f64_f32_e32 v[22:23], v21
	v_max_f32_e32 v21, v83, v83
	global_store_b64 v[24:25], v[22:23], off
	s_cbranch_vccz .LBB174_187
; %bb.185:
	v_min_f32_e32 v22, 0, v21
	v_add_co_u32 v24, vcc_lo, v16, v8
	v_add_co_ci_u32_e32 v25, vcc_lo, v17, v9, vcc_lo
	s_delay_alu instid0(VALU_DEP_3)
	v_cvt_f64_f32_e32 v[22:23], v22
	s_mov_b32 s0, 0
	global_store_b64 v[24:25], v[22:23], off
	s_cbranch_execz .LBB174_188
; %bb.186:
	v_mov_b32_e32 v21, s0
	s_branch .LBB174_189
.LBB174_187:
	s_mov_b32 s0, -1
.LBB174_188:
	v_add_co_u32 v22, vcc_lo, v19, v8
	v_add_co_ci_u32_e32 v23, vcc_lo, v20, v9, vcc_lo
	flat_load_b64 v[22:23], v[22:23]
	s_waitcnt vmcnt(0) lgkmcnt(0)
	v_mul_f64 v[22:23], s[8:9], v[22:23]
	s_delay_alu instid0(VALU_DEP_1)
	v_cvt_f32_f64_e32 v22, v[22:23]
	v_add_co_u32 v23, vcc_lo, v16, v8
	v_add_co_ci_u32_e32 v24, vcc_lo, v17, v9, vcc_lo
	v_add_co_u32 v25, vcc_lo, v19, v10
	v_add_co_ci_u32_e32 v26, vcc_lo, v20, v11, vcc_lo
	v_min_f32_e32 v21, v22, v21
	s_delay_alu instid0(VALU_DEP_1) | instskip(SKIP_4) | instid1(VALU_DEP_1)
	v_cvt_f64_f32_e32 v[21:22], v21
	global_store_b64 v[23:24], v[21:22], off
	flat_load_b64 v[21:22], v[25:26]
	s_waitcnt vmcnt(0) lgkmcnt(0)
	v_mul_f64 v[21:22], s[8:9], v[21:22]
	v_cvt_f32_f64_e32 v21, v[21:22]
.LBB174_189:
	s_delay_alu instid0(VALU_DEP_1) | instskip(SKIP_2) | instid1(VALU_DEP_3)
	v_dual_max_f32 v22, v199, v199 :: v_dual_max_f32 v21, v21, v21
	;; [unrolled: 46-line block ×3, first 2 shown]
	v_add_co_u32 v25, vcc_lo, v16, v14
	v_add_co_ci_u32_e32 v26, vcc_lo, v17, v15, vcc_lo
	v_dual_min_f32 v19, v19, v20 :: v_dual_add_nc_u32 v20, 0xe0, v18
	s_delay_alu instid0(VALU_DEP_1) | instskip(NEXT) | instid1(VALU_DEP_2)
	v_cvt_f64_f32_e32 v[21:22], v19
	v_mad_i64_i32 v[18:19], null, v20, s13, 0
	v_mad_i64_i32 v[23:24], null, v20, s3, 0
	v_max_f32_e32 v20, v137, v137
	s_delay_alu instid0(VALU_DEP_3) | instskip(NEXT) | instid1(VALU_DEP_3)
	v_lshlrev_b64 v[18:19], 3, v[18:19]
	v_lshlrev_b64 v[23:24], 3, v[23:24]
	s_delay_alu instid0(VALU_DEP_2) | instskip(NEXT) | instid1(VALU_DEP_3)
	v_add_co_u32 v16, vcc_lo, s4, v18
	v_add_co_ci_u32_e32 v17, vcc_lo, s5, v19, vcc_lo
	s_delay_alu instid0(VALU_DEP_3) | instskip(NEXT) | instid1(VALU_DEP_4)
	v_add_co_u32 v18, vcc_lo, s10, v23
	v_add_co_ci_u32_e32 v19, vcc_lo, s11, v24, vcc_lo
	s_mov_b32 vcc_lo, s2
	global_store_b64 v[25:26], v[21:22], off
	s_cbranch_vccz .LBB174_197
; %bb.195:
	v_min_f32_e32 v21, 0, v20
	v_add_co_u32 v23, vcc_lo, v16, v0
	v_add_co_ci_u32_e32 v24, vcc_lo, v17, v1, vcc_lo
	s_delay_alu instid0(VALU_DEP_3)
	v_cvt_f64_f32_e32 v[21:22], v21
	s_mov_b32 s0, 0
	global_store_b64 v[23:24], v[21:22], off
	s_cbranch_execz .LBB174_198
; %bb.196:
	v_mov_b32_e32 v0, s0
	s_branch .LBB174_199
.LBB174_197:
	s_mov_b32 s0, -1
.LBB174_198:
	v_add_co_u32 v21, vcc_lo, v18, v0
	v_add_co_ci_u32_e32 v22, vcc_lo, v19, v1, vcc_lo
	v_add_co_u32 v0, vcc_lo, v16, v0
	v_add_co_ci_u32_e32 v1, vcc_lo, v17, v1, vcc_lo
	flat_load_b64 v[21:22], v[21:22]
	s_waitcnt vmcnt(0) lgkmcnt(0)
	v_mul_f64 v[21:22], s[8:9], v[21:22]
	s_delay_alu instid0(VALU_DEP_1) | instskip(SKIP_2) | instid1(VALU_DEP_3)
	v_cvt_f32_f64_e32 v21, v[21:22]
	v_add_co_u32 v22, vcc_lo, v18, v2
	v_add_co_ci_u32_e32 v23, vcc_lo, v19, v3, vcc_lo
	v_min_f32_e32 v20, v21, v20
	s_delay_alu instid0(VALU_DEP_1) | instskip(SKIP_4) | instid1(VALU_DEP_1)
	v_cvt_f64_f32_e32 v[20:21], v20
	global_store_b64 v[0:1], v[20:21], off
	flat_load_b64 v[0:1], v[22:23]
	s_waitcnt vmcnt(0) lgkmcnt(0)
	v_mul_f64 v[0:1], s[8:9], v[0:1]
	v_cvt_f32_f64_e32 v0, v[0:1]
.LBB174_199:
	s_delay_alu instid0(VALU_DEP_1) | instskip(NEXT) | instid1(VALU_DEP_1)
	v_dual_max_f32 v1, v129, v129 :: v_dual_max_f32 v0, v0, v0
	v_min_f32_e32 v0, v0, v1
	v_add_co_u32 v1, vcc_lo, v16, v2
	v_add_co_ci_u32_e32 v2, vcc_lo, v17, v3, vcc_lo
	s_delay_alu instid0(VALU_DEP_3)
	v_cvt_f64_f32_e32 v[20:21], v0
	v_max_f32_e32 v0, v128, v128
	s_mov_b32 vcc_lo, s2
	global_store_b64 v[1:2], v[20:21], off
	s_cbranch_vccz .LBB174_202
; %bb.200:
	v_min_f32_e32 v1, 0, v0
	v_add_co_u32 v20, vcc_lo, v16, v4
	v_add_co_ci_u32_e32 v21, vcc_lo, v17, v5, vcc_lo
	s_delay_alu instid0(VALU_DEP_3)
	v_cvt_f64_f32_e32 v[1:2], v1
	s_mov_b32 s0, 0
	global_store_b64 v[20:21], v[1:2], off
	s_cbranch_execz .LBB174_203
; %bb.201:
	v_mov_b32_e32 v0, s0
	s_branch .LBB174_204
.LBB174_202:
	s_mov_b32 s0, -1
.LBB174_203:
	v_add_co_u32 v1, vcc_lo, v18, v4
	v_add_co_ci_u32_e32 v2, vcc_lo, v19, v5, vcc_lo
	flat_load_b64 v[1:2], v[1:2]
	s_waitcnt vmcnt(0) lgkmcnt(0)
	v_mul_f64 v[1:2], s[8:9], v[1:2]
	s_delay_alu instid0(VALU_DEP_1)
	v_cvt_f32_f64_e32 v1, v[1:2]
	v_add_co_u32 v2, vcc_lo, v16, v4
	v_add_co_ci_u32_e32 v3, vcc_lo, v17, v5, vcc_lo
	v_add_co_u32 v4, vcc_lo, v18, v6
	v_add_co_ci_u32_e32 v5, vcc_lo, v19, v7, vcc_lo
	v_min_f32_e32 v0, v1, v0
	s_delay_alu instid0(VALU_DEP_1) | instskip(SKIP_4) | instid1(VALU_DEP_1)
	v_cvt_f64_f32_e32 v[0:1], v0
	global_store_b64 v[2:3], v[0:1], off
	flat_load_b64 v[0:1], v[4:5]
	s_waitcnt vmcnt(0) lgkmcnt(0)
	v_mul_f64 v[0:1], s[8:9], v[0:1]
	v_cvt_f32_f64_e32 v0, v[0:1]
.LBB174_204:
	s_delay_alu instid0(VALU_DEP_1) | instskip(SKIP_2) | instid1(VALU_DEP_3)
	v_dual_max_f32 v1, v126, v126 :: v_dual_max_f32 v0, v0, v0
	v_add_co_u32 v3, vcc_lo, v16, v6
	v_add_co_ci_u32_e32 v4, vcc_lo, v17, v7, vcc_lo
	v_min_f32_e32 v0, v0, v1
	s_mov_b32 vcc_lo, s2
	s_delay_alu instid0(VALU_DEP_1)
	v_cvt_f64_f32_e32 v[1:2], v0
	v_max_f32_e32 v0, v123, v123
	global_store_b64 v[3:4], v[1:2], off
	s_cbranch_vccz .LBB174_207
; %bb.205:
	v_min_f32_e32 v1, 0, v0
	v_add_co_u32 v3, vcc_lo, v16, v8
	v_add_co_ci_u32_e32 v4, vcc_lo, v17, v9, vcc_lo
	s_delay_alu instid0(VALU_DEP_3)
	v_cvt_f64_f32_e32 v[1:2], v1
	s_mov_b32 s0, 0
	global_store_b64 v[3:4], v[1:2], off
	s_cbranch_execz .LBB174_208
; %bb.206:
	v_mov_b32_e32 v0, s0
	s_branch .LBB174_209
.LBB174_207:
	s_mov_b32 s0, -1
.LBB174_208:
	v_add_co_u32 v1, vcc_lo, v18, v8
	v_add_co_ci_u32_e32 v2, vcc_lo, v19, v9, vcc_lo
	flat_load_b64 v[1:2], v[1:2]
	s_waitcnt vmcnt(0) lgkmcnt(0)
	v_mul_f64 v[1:2], s[8:9], v[1:2]
	s_delay_alu instid0(VALU_DEP_1)
	v_cvt_f32_f64_e32 v1, v[1:2]
	v_add_co_u32 v2, vcc_lo, v16, v8
	v_add_co_ci_u32_e32 v3, vcc_lo, v17, v9, vcc_lo
	v_add_co_u32 v4, vcc_lo, v18, v10
	v_add_co_ci_u32_e32 v5, vcc_lo, v19, v11, vcc_lo
	v_min_f32_e32 v0, v1, v0
	s_delay_alu instid0(VALU_DEP_1) | instskip(SKIP_4) | instid1(VALU_DEP_1)
	v_cvt_f64_f32_e32 v[0:1], v0
	global_store_b64 v[2:3], v[0:1], off
	flat_load_b64 v[0:1], v[4:5]
	s_waitcnt vmcnt(0) lgkmcnt(0)
	v_mul_f64 v[0:1], s[8:9], v[0:1]
	v_cvt_f32_f64_e32 v0, v[0:1]
.LBB174_209:
	s_delay_alu instid0(VALU_DEP_1) | instskip(SKIP_2) | instid1(VALU_DEP_3)
	v_dual_max_f32 v1, v122, v122 :: v_dual_max_f32 v0, v0, v0
	v_add_co_u32 v3, vcc_lo, v16, v10
	v_add_co_ci_u32_e32 v4, vcc_lo, v17, v11, vcc_lo
	v_min_f32_e32 v0, v0, v1
	s_mov_b32 vcc_lo, s2
	s_delay_alu instid0(VALU_DEP_1)
	v_cvt_f64_f32_e32 v[1:2], v0
	v_max_f32_e32 v0, v117, v117
	global_store_b64 v[3:4], v[1:2], off
	s_cbranch_vccz .LBB174_212
; %bb.210:
	v_min_f32_e32 v1, 0, v0
	v_add_co_u32 v3, vcc_lo, v16, v12
	v_add_co_ci_u32_e32 v4, vcc_lo, v17, v13, vcc_lo
	s_delay_alu instid0(VALU_DEP_3)
	v_cvt_f64_f32_e32 v[1:2], v1
	s_mov_b32 s0, 0
	global_store_b64 v[3:4], v[1:2], off
	s_cbranch_execz .LBB174_213
; %bb.211:
	v_mov_b32_e32 v0, s0
	s_branch .LBB174_214
.LBB174_212:
	s_mov_b32 s0, -1
.LBB174_213:
	v_add_co_u32 v1, vcc_lo, v18, v12
	v_add_co_ci_u32_e32 v2, vcc_lo, v19, v13, vcc_lo
	flat_load_b64 v[1:2], v[1:2]
	s_waitcnt vmcnt(0) lgkmcnt(0)
	v_mul_f64 v[1:2], s[8:9], v[1:2]
	s_delay_alu instid0(VALU_DEP_1)
	v_cvt_f32_f64_e32 v1, v[1:2]
	v_add_co_u32 v2, vcc_lo, v16, v12
	v_add_co_ci_u32_e32 v3, vcc_lo, v17, v13, vcc_lo
	v_add_co_u32 v4, vcc_lo, v18, v14
	v_add_co_ci_u32_e32 v5, vcc_lo, v19, v15, vcc_lo
	v_min_f32_e32 v0, v1, v0
	s_delay_alu instid0(VALU_DEP_1) | instskip(SKIP_4) | instid1(VALU_DEP_1)
	v_cvt_f64_f32_e32 v[0:1], v0
	global_store_b64 v[2:3], v[0:1], off
	flat_load_b64 v[0:1], v[4:5]
	s_waitcnt vmcnt(0) lgkmcnt(0)
	v_mul_f64 v[0:1], s[8:9], v[0:1]
	v_cvt_f32_f64_e32 v0, v[0:1]
.LBB174_214:
	v_max_f32_e32 v1, v116, v116
	s_delay_alu instid0(VALU_DEP_2) | instskip(SKIP_2) | instid1(VALU_DEP_3)
	v_max_f32_e32 v0, v0, v0
	v_add_co_u32 v2, vcc_lo, v16, v14
	v_add_co_ci_u32_e32 v3, vcc_lo, v17, v15, vcc_lo
	v_min_f32_e32 v0, v0, v1
	s_delay_alu instid0(VALU_DEP_1)
	v_cvt_f64_f32_e32 v[0:1], v0
	global_store_b64 v[2:3], v[0:1], off
	s_endpgm
	.section	.rodata,"a",@progbits
	.p2align	6, 0x0
	.amdhsa_kernel _ZN12_GLOBAL__N_120geam_min_plus_kernelId15HIP_vector_typeIdLj2EEdLi8ELi32ELi64ELi256ELi4ELi4ELi64ELi64ELi4ELc84ELc84ELb0ELb0ELb1EPKdS3_dEEviiiT16_PT17_ilS7_ilS5_S7_ilPT18_ili26rocblas_geam_ex_operation_
		.amdhsa_group_segment_fixed_size 20480
		.amdhsa_private_segment_fixed_size 420
		.amdhsa_kernarg_size 136
		.amdhsa_user_sgpr_count 14
		.amdhsa_user_sgpr_dispatch_ptr 0
		.amdhsa_user_sgpr_queue_ptr 0
		.amdhsa_user_sgpr_kernarg_segment_ptr 1
		.amdhsa_user_sgpr_dispatch_id 0
		.amdhsa_user_sgpr_private_segment_size 0
		.amdhsa_wavefront_size32 1
		.amdhsa_uses_dynamic_stack 0
		.amdhsa_enable_private_segment 1
		.amdhsa_system_sgpr_workgroup_id_x 1
		.amdhsa_system_sgpr_workgroup_id_y 0
		.amdhsa_system_sgpr_workgroup_id_z 1
		.amdhsa_system_sgpr_workgroup_info 0
		.amdhsa_system_vgpr_workitem_id 1
		.amdhsa_next_free_vgpr 256
		.amdhsa_next_free_sgpr 26
		.amdhsa_reserve_vcc 1
		.amdhsa_float_round_mode_32 0
		.amdhsa_float_round_mode_16_64 0
		.amdhsa_float_denorm_mode_32 3
		.amdhsa_float_denorm_mode_16_64 3
		.amdhsa_dx10_clamp 1
		.amdhsa_ieee_mode 1
		.amdhsa_fp16_overflow 0
		.amdhsa_workgroup_processor_mode 1
		.amdhsa_memory_ordered 1
		.amdhsa_forward_progress 0
		.amdhsa_shared_vgpr_count 0
		.amdhsa_exception_fp_ieee_invalid_op 0
		.amdhsa_exception_fp_denorm_src 0
		.amdhsa_exception_fp_ieee_div_zero 0
		.amdhsa_exception_fp_ieee_overflow 0
		.amdhsa_exception_fp_ieee_underflow 0
		.amdhsa_exception_fp_ieee_inexact 0
		.amdhsa_exception_int_div_zero 0
	.end_amdhsa_kernel
	.section	.text._ZN12_GLOBAL__N_120geam_min_plus_kernelId15HIP_vector_typeIdLj2EEdLi8ELi32ELi64ELi256ELi4ELi4ELi64ELi64ELi4ELc84ELc84ELb0ELb0ELb1EPKdS3_dEEviiiT16_PT17_ilS7_ilS5_S7_ilPT18_ili26rocblas_geam_ex_operation_,"axG",@progbits,_ZN12_GLOBAL__N_120geam_min_plus_kernelId15HIP_vector_typeIdLj2EEdLi8ELi32ELi64ELi256ELi4ELi4ELi64ELi64ELi4ELc84ELc84ELb0ELb0ELb1EPKdS3_dEEviiiT16_PT17_ilS7_ilS5_S7_ilPT18_ili26rocblas_geam_ex_operation_,comdat
.Lfunc_end174:
	.size	_ZN12_GLOBAL__N_120geam_min_plus_kernelId15HIP_vector_typeIdLj2EEdLi8ELi32ELi64ELi256ELi4ELi4ELi64ELi64ELi4ELc84ELc84ELb0ELb0ELb1EPKdS3_dEEviiiT16_PT17_ilS7_ilS5_S7_ilPT18_ili26rocblas_geam_ex_operation_, .Lfunc_end174-_ZN12_GLOBAL__N_120geam_min_plus_kernelId15HIP_vector_typeIdLj2EEdLi8ELi32ELi64ELi256ELi4ELi4ELi64ELi64ELi4ELc84ELc84ELb0ELb0ELb1EPKdS3_dEEviiiT16_PT17_ilS7_ilS5_S7_ilPT18_ili26rocblas_geam_ex_operation_
                                        ; -- End function
	.section	.AMDGPU.csdata,"",@progbits
; Kernel info:
; codeLenInByte = 24060
; NumSgprs: 28
; NumVgprs: 256
; ScratchSize: 420
; MemoryBound: 1
; FloatMode: 240
; IeeeMode: 1
; LDSByteSize: 20480 bytes/workgroup (compile time only)
; SGPRBlocks: 3
; VGPRBlocks: 31
; NumSGPRsForWavesPerEU: 28
; NumVGPRsForWavesPerEU: 256
; Occupancy: 5
; WaveLimiterHint : 1
; COMPUTE_PGM_RSRC2:SCRATCH_EN: 1
; COMPUTE_PGM_RSRC2:USER_SGPR: 14
; COMPUTE_PGM_RSRC2:TRAP_HANDLER: 0
; COMPUTE_PGM_RSRC2:TGID_X_EN: 1
; COMPUTE_PGM_RSRC2:TGID_Y_EN: 0
; COMPUTE_PGM_RSRC2:TGID_Z_EN: 1
; COMPUTE_PGM_RSRC2:TIDIG_COMP_CNT: 1
	.section	.text._ZN12_GLOBAL__N_120geam_min_plus_kernelId15HIP_vector_typeIdLj2EEdLi8ELi32ELi64ELi256ELi4ELi4ELi64ELi64ELi4ELc84ELc84ELb1ELb0ELb1EdKddEEviiiT16_PT17_ilS6_ilS4_S6_ilPT18_ili26rocblas_geam_ex_operation_,"axG",@progbits,_ZN12_GLOBAL__N_120geam_min_plus_kernelId15HIP_vector_typeIdLj2EEdLi8ELi32ELi64ELi256ELi4ELi4ELi64ELi64ELi4ELc84ELc84ELb1ELb0ELb1EdKddEEviiiT16_PT17_ilS6_ilS4_S6_ilPT18_ili26rocblas_geam_ex_operation_,comdat
	.globl	_ZN12_GLOBAL__N_120geam_min_plus_kernelId15HIP_vector_typeIdLj2EEdLi8ELi32ELi64ELi256ELi4ELi4ELi64ELi64ELi4ELc84ELc84ELb1ELb0ELb1EdKddEEviiiT16_PT17_ilS6_ilS4_S6_ilPT18_ili26rocblas_geam_ex_operation_ ; -- Begin function _ZN12_GLOBAL__N_120geam_min_plus_kernelId15HIP_vector_typeIdLj2EEdLi8ELi32ELi64ELi256ELi4ELi4ELi64ELi64ELi4ELc84ELc84ELb1ELb0ELb1EdKddEEviiiT16_PT17_ilS6_ilS4_S6_ilPT18_ili26rocblas_geam_ex_operation_
	.p2align	8
	.type	_ZN12_GLOBAL__N_120geam_min_plus_kernelId15HIP_vector_typeIdLj2EEdLi8ELi32ELi64ELi256ELi4ELi4ELi64ELi64ELi4ELc84ELc84ELb1ELb0ELb1EdKddEEviiiT16_PT17_ilS6_ilS4_S6_ilPT18_ili26rocblas_geam_ex_operation_,@function
_ZN12_GLOBAL__N_120geam_min_plus_kernelId15HIP_vector_typeIdLj2EEdLi8ELi32ELi64ELi256ELi4ELi4ELi64ELi64ELi4ELc84ELc84ELb1ELb0ELb1EdKddEEviiiT16_PT17_ilS6_ilS4_S6_ilPT18_ili26rocblas_geam_ex_operation_: ; @_ZN12_GLOBAL__N_120geam_min_plus_kernelId15HIP_vector_typeIdLj2EEdLi8ELi32ELi64ELi256ELi4ELi4ELi64ELi64ELi4ELc84ELc84ELb1ELb0ELb1EdKddEEviiiT16_PT17_ilS6_ilS4_S6_ilPT18_ili26rocblas_geam_ex_operation_
; %bb.0:
	s_clause 0x1
	s_load_b128 s[4:7], s[0:1], 0x10
	s_load_b128 s[8:11], s[0:1], 0x28
	s_mov_b64 s[16:17], 0
	s_waitcnt lgkmcnt(0)
	v_cmp_eq_f64_e64 s2, s[4:5], 0
	s_delay_alu instid0(VALU_DEP_1)
	s_and_b32 vcc_lo, exec_lo, s2
	s_cbranch_vccnz .LBB175_2
; %bb.1:
	s_mul_i32 s3, s15, s9
	s_mul_hi_u32 s4, s15, s8
	s_delay_alu instid0(SALU_CYCLE_1) | instskip(SKIP_1) | instid1(SALU_CYCLE_1)
	s_add_i32 s5, s4, s3
	s_mul_i32 s4, s15, s8
	s_lshl_b64 s[4:5], s[4:5], 3
	s_delay_alu instid0(SALU_CYCLE_1)
	s_add_u32 s16, s6, s4
	s_addc_u32 s17, s7, s5
.LBB175_2:
	s_clause 0x1
	s_load_b128 s[4:7], s[0:1], 0x40
	s_load_b64 s[18:19], s[0:1], 0x50
	s_and_not1_b32 vcc_lo, exec_lo, s2
	s_cbranch_vccnz .LBB175_4
; %bb.3:
	s_mov_b32 s3, 0
	s_mov_b64 s[12:13], 0
	s_cbranch_execz .LBB175_5
	s_branch .LBB175_6
.LBB175_4:
	s_mov_b32 s3, -1
                                        ; implicit-def: $sgpr12_sgpr13
.LBB175_5:
	s_waitcnt lgkmcnt(0)
	s_mul_i32 s2, s15, s5
	s_mul_hi_u32 s3, s15, s4
	s_delay_alu instid0(SALU_CYCLE_1) | instskip(SKIP_1) | instid1(SALU_CYCLE_1)
	s_add_i32 s3, s3, s2
	s_mul_i32 s2, s15, s4
	s_lshl_b64 s[4:5], s[2:3], 3
	s_mov_b32 s3, 0
	s_add_u32 s12, s10, s4
	s_addc_u32 s13, s11, s5
.LBB175_6:
	s_waitcnt lgkmcnt(0)
	v_cmp_eq_f64_e64 s2, s[6:7], 0
	s_load_b128 s[8:11], s[0:1], 0x60
	s_mov_b64 s[4:5], 0
	s_delay_alu instid0(VALU_DEP_1) | instskip(NEXT) | instid1(SALU_CYCLE_1)
	s_and_b32 s2, exec_lo, s2
	s_mov_b32 vcc_lo, s2
	s_cbranch_vccnz .LBB175_8
; %bb.7:
	s_waitcnt lgkmcnt(0)
	s_mul_i32 s4, s15, s9
	s_mul_hi_u32 s5, s15, s8
	s_mul_i32 s9, s3, s8
	s_add_i32 s4, s5, s4
	s_delay_alu instid0(SALU_CYCLE_1) | instskip(SKIP_1) | instid1(SALU_CYCLE_1)
	s_add_i32 s5, s4, s9
	s_mul_i32 s4, s15, s8
	s_lshl_b64 s[4:5], s[4:5], 3
	s_delay_alu instid0(SALU_CYCLE_1)
	s_add_u32 s4, s18, s4
	s_addc_u32 s5, s19, s5
.LBB175_8:
	s_waitcnt lgkmcnt(0)
	s_clause 0x2
	s_load_b32 s8, s[0:1], 0x0
	s_load_b32 s20, s[0:1], 0x20
	;; [unrolled: 1-line block ×3, first 2 shown]
	v_and_b32_e32 v38, 0x3ff, v0
	v_bfe_u32 v40, v0, 10, 10
	v_dual_mov_b32 v248, 0x7f800000 :: v_dual_mov_b32 v123, 0x7f800000
	v_dual_mov_b32 v118, 0x7f800000 :: v_dual_mov_b32 v127, 0x7f800000
	s_delay_alu instid0(VALU_DEP_3) | instskip(SKIP_3) | instid1(VALU_DEP_4)
	v_lshl_add_u32 v0, v40, 3, v38
	v_dual_mov_b32 v126, 0x7f800000 :: v_dual_and_b32 v5, 3, v38
	v_mov_b32_e32 v243, 0x7f800000
	v_mov_b32_e32 v79, 0x7f800000
	v_lshrrev_b32_e32 v12, 6, v0
	v_lshrrev_b32_e32 v9, 2, v0
	v_dual_mov_b32 v247, 0x7f800000 :: v_dual_lshlrev_b32 v10, 3, v5
	v_dual_mov_b32 v196, 0x7f800000 :: v_dual_mov_b32 v133, 0x7f800000
	s_waitcnt lgkmcnt(0)
	s_add_i32 s8, s8, -1
	v_add_nc_u32_e32 v4, 4, v12
	s_ashr_i32 s9, s8, 31
	scratch_store_b32 off, v5, off offset:364 ; 4-byte Folded Spill
	s_lshr_b32 s9, s9, 26
	v_dual_mov_b32 v138, 0x7f800000 :: v_dual_mov_b32 v239, 0x7f800000
	s_add_i32 s8, s8, s9
	v_mad_i64_i32 v[2:3], null, s18, v4, 0
	s_ashr_i32 s8, s8, 6
	scratch_store_b32 off, v4, off offset:368 ; 4-byte Folded Spill
	s_add_i32 s9, s8, 1
	s_not_b32 s8, s8
	v_cvt_f32_u32_e32 v1, s9
	v_dual_mov_b32 v234, 0x7f800000 :: v_dual_mov_b32 v227, 0x7f800000
	v_lshlrev_b64 v[2:3], 3, v[2:3]
	v_dual_mov_b32 v130, 0x7f800000 :: v_dual_mov_b32 v229, 0x7f800000
	s_delay_alu instid0(VALU_DEP_4)
	v_rcp_iflag_f32_e32 v1, v1
	v_dual_mov_b32 v246, 0x7f800000 :: v_dual_mov_b32 v207, 0x7f800000
	v_dual_mov_b32 v244, 0x7f800000 :: v_dual_mov_b32 v209, 0x7f800000
	;; [unrolled: 1-line block ×3, first 2 shown]
	v_and_b32_e32 v76, 63, v0
	v_dual_mov_b32 v202, 0x7f800000 :: v_dual_mov_b32 v213, 0x7f800000
	s_waitcnt_depctr 0xfff
	v_mul_f32_e32 v1, 0x4f7ffffe, v1
	v_dual_mov_b32 v204, 0x7f800000 :: v_dual_mov_b32 v215, 0x7f800000
	v_dual_mov_b32 v206, 0x7f800000 :: v_dual_mov_b32 v217, 0x7f800000
	s_delay_alu instid0(VALU_DEP_3) | instskip(SKIP_2) | instid1(VALU_DEP_3)
	v_cvt_u32_f32_e32 v1, v1
	v_dual_mov_b32 v208, 0x7f800000 :: v_dual_mov_b32 v249, 0x7f800000
	v_dual_mov_b32 v210, 0x7f800000 :: v_dual_mov_b32 v139, 0x7f800000
	v_readfirstlane_b32 s19, v1
	v_mad_i64_i32 v[0:1], null, s18, v12, 0
	v_dual_mov_b32 v212, 0x7f800000 :: v_dual_mov_b32 v197, 0x7f800000
	s_delay_alu instid0(VALU_DEP_3) | instskip(SKIP_2) | instid1(VALU_DEP_3)
	s_mul_i32 s8, s8, s19
	v_dual_mov_b32 v62, 0x7f800000 :: v_dual_mov_b32 v235, 0x7f800000
	s_mul_hi_u32 s8, s19, s8
	v_lshlrev_b64 v[0:1], 3, v[0:1]
	s_add_i32 s19, s19, s8
	v_dual_mov_b32 v216, 0x7f800000 :: v_dual_mov_b32 v245, 0x7f800000
	s_mul_hi_u32 s8, s14, s19
	s_ashr_i32 s19, s18, 31
	s_mul_i32 s21, s8, s9
	s_add_i32 s22, s8, 1
	s_sub_i32 s21, s14, s21
	v_dual_mov_b32 v238, 0x7f800000 :: v_dual_mov_b32 v141, 0x7f800000
	s_sub_i32 s23, s21, s9
	s_cmp_ge_u32 s21, s9
	v_mov_b32_e32 v80, 0x7f800000
	s_cselect_b32 s8, s22, s8
	s_cselect_b32 s21, s23, s21
	s_add_i32 s22, s8, 1
	s_cmp_ge_u32 s21, s9
	v_mov_b32_e32 v122, 0x7f800000
	s_cselect_b32 s8, s22, s8
	v_mov_b32_e32 v124, 0x7f800000
	s_mul_i32 s9, s8, s9
	s_lshl_b32 s8, s8, 8
	s_sub_i32 s9, s14, s9
	v_or_b32_e32 v4, s8, v76
	s_lshl_b32 s9, s9, 6
	s_delay_alu instid0(SALU_CYCLE_1) | instskip(SKIP_1) | instid1(VALU_DEP_3)
	v_dual_mov_b32 v121, 0x7f800000 :: v_dual_add_nc_u32 v8, s9, v9
	v_lshl_or_b32 v9, v9, 5, v10
	v_ashrrev_i32_e32 v5, 31, v4
	v_mov_b32_e32 v230, 0x7f800000
	v_mov_b32_e32 v78, 0x7f800000
	v_mad_i64_i32 v[6:7], null, v8, s20, 0
	v_add_co_u32 v8, vcc_lo, s12, v0
	v_lshlrev_b64 v[218:219], 3, v[4:5]
	v_add_co_ci_u32_e32 v11, vcc_lo, s13, v1, vcc_lo
	v_add_co_u32 v4, vcc_lo, s12, v2
	v_lshlrev_b64 v[0:1], 3, v[6:7]
	v_add_co_ci_u32_e32 v5, vcc_lo, s13, v3, vcc_lo
	v_add_co_u32 v2, vcc_lo, v8, v218
	v_add_co_ci_u32_e32 v3, vcc_lo, v11, v219, vcc_lo
	s_delay_alu instid0(VALU_DEP_4) | instskip(SKIP_3) | instid1(VALU_DEP_4)
	v_add_co_u32 v6, vcc_lo, s16, v0
	v_add_co_ci_u32_e32 v7, vcc_lo, s17, v1, vcc_lo
	v_add_co_u32 v0, vcc_lo, v4, v218
	v_add_co_ci_u32_e32 v1, vcc_lo, v5, v219, vcc_lo
	v_add_co_u32 v14, vcc_lo, v6, v10
	s_clause 0x1
	scratch_store_b32 off, v6, off offset:372
	scratch_store_b32 off, v7, off offset:376
	v_add_co_ci_u32_e32 v15, vcc_lo, 0, v7, vcc_lo
	s_clause 0x3
	flat_load_b64 v[18:19], v[2:3]
	flat_load_b64 v[20:21], v[2:3] offset:512
	flat_load_b64 v[4:5], v[2:3] offset:1024
	flat_load_b64 v[2:3], v[2:3] offset:1536
	flat_load_b64 v[7:8], v[14:15]
	s_clause 0x1
	flat_load_b64 v[220:221], v[0:1]
	flat_load_b64 v[16:17], v[0:1] offset:512
	v_dual_mov_b32 v6, 0x7f800000 :: v_dual_mov_b32 v125, 0x7f800000
	v_mov_b32_e32 v240, 0x7f800000
	v_mov_b32_e32 v242, 0x7f800000
	;; [unrolled: 1-line block ×5, first 2 shown]
	s_mov_b32 s14, -1
	s_mov_b32 s16, 0
	v_mov_b32_e32 v77, 0x7f800000
	v_mov_b32_e32 v231, 0x7f800000
	;; [unrolled: 1-line block ×3, first 2 shown]
	scratch_store_b32 off, v12, off offset:360 ; 4-byte Folded Spill
	v_mov_b32_e32 v203, 0x7f800000
	v_mov_b32_e32 v205, 0x7f800000
	scratch_store_b32 off, v9, off offset:352 ; 4-byte Folded Spill
	s_waitcnt vmcnt(0) lgkmcnt(0)
	scratch_store_b64 off, v[16:17], off offset:320 ; 8-byte Folded Spill
	s_clause 0x1
	flat_load_b64 v[16:17], v[0:1] offset:1024
	flat_load_b64 v[0:1], v[0:1] offset:1536
	s_waitcnt vmcnt(0) lgkmcnt(0)
	scratch_store_b64 off, v[0:1], off offset:336 ; 8-byte Folded Spill
	flat_load_b64 v[0:1], v[14:15] offset:32
	ds_store_b64 v9, v[7:8] offset:16384
	s_waitcnt vmcnt(0) lgkmcnt(1)
	scratch_store_b64 off, v[0:1], off offset:344 ; 8-byte Folded Spill
	v_mov_b32_e32 v0, 0x7f800000
	scratch_store_b64 off, v[16:17], off offset:328 ; 8-byte Folded Spill
	v_add_nc_u32_e32 v1, 0x4000, v9
	scratch_store_b32 off, v0, off          ; 4-byte Folded Spill
	v_mov_b32_e32 v0, 0x7f800000
	s_clause 0x1
	scratch_store_b32 off, v1, off offset:384
	scratch_store_b32 off, v0, off offset:4
	v_mov_b32_e32 v0, 0x7f800000
	scratch_store_b32 off, v0, off offset:8 ; 4-byte Folded Spill
	v_mov_b32_e32 v0, 0x7f800000
	scratch_store_b32 off, v0, off offset:12 ; 4-byte Folded Spill
	v_mov_b32_e32 v0, 0x7f800000
	scratch_store_b32 off, v0, off offset:16 ; 4-byte Folded Spill
	v_mov_b32_e32 v0, 0x7f800000
	scratch_store_b32 off, v0, off offset:20 ; 4-byte Folded Spill
	v_lshlrev_b32_e32 v0, 3, v12
	s_delay_alu instid0(VALU_DEP_1)
	v_lshl_add_u32 v0, v76, 5, v0
	ds_store_2addr_stride64_b64 v0, v[18:19], v[20:21] offset1:4
	scratch_store_b32 off, v0, off offset:380 ; 4-byte Folded Spill
	ds_store_2addr_stride64_b64 v0, v[4:5], v[2:3] offset0:8 offset1:12
	s_waitcnt lgkmcnt(0)
	s_waitcnt_vscnt null, 0x0
	s_barrier
	buffer_gl0_inv
	s_clause 0x1
	scratch_store_b32 off, v38, off offset:280
	scratch_store_b32 off, v40, off offset:284
.LBB175_9:                              ; =>This Inner Loop Header: Depth=1
	s_lshl_b32 s16, s16, 3
	v_dual_mov_b32 v214, v62 :: v_dual_mov_b32 v117, v229
	v_lshl_add_u32 v4, v40, 5, s16
	v_lshl_add_u32 v5, v38, 5, s16
	v_mov_b32_e32 v147, v228
	s_mov_b32 s16, 2
	ds_load_b128 v[18:21], v4
	ds_load_b128 v[0:3], v5 offset:16384
	ds_load_b128 v[192:195], v5 offset:16640
	;; [unrolled: 1-line block ×3, first 2 shown]
	s_waitcnt lgkmcnt(2)
	v_add_f64 v[7:8], v[2:3], v[20:21]
	scratch_store_b64 off, v[7:8], off offset:56 ; 8-byte Folded Spill
	v_add_f64 v[7:8], v[0:1], v[18:19]
	scratch_store_b64 off, v[7:8], off offset:120 ; 8-byte Folded Spill
	s_waitcnt lgkmcnt(1)
	v_add_f64 v[7:8], v[194:195], v[20:21]
	scratch_store_b64 off, v[7:8], off offset:24 ; 8-byte Folded Spill
	v_add_f64 v[7:8], v[192:193], v[18:19]
	scratch_store_b64 off, v[7:8], off offset:88 ; 8-byte Folded Spill
	ds_load_b128 v[30:33], v5 offset:16896
	ds_load_b128 v[34:37], v5 offset:17152
	s_waitcnt lgkmcnt(1)
	v_add_f64 v[7:8], v[32:33], v[20:21]
	scratch_store_b64 off, v[7:8], off offset:64 ; 8-byte Folded Spill
	v_add_f64 v[7:8], v[30:31], v[18:19]
	scratch_store_b64 off, v[7:8], off offset:128 ; 8-byte Folded Spill
	s_waitcnt lgkmcnt(0)
	v_add_f64 v[7:8], v[36:37], v[20:21]
	scratch_store_b64 off, v[7:8], off offset:32 ; 8-byte Folded Spill
	v_add_f64 v[7:8], v[34:35], v[18:19]
	scratch_store_b64 off, v[7:8], off offset:96 ; 8-byte Folded Spill
	ds_load_b128 v[38:41], v5 offset:17408
	ds_load_b128 v[42:45], v5 offset:17664
	;; [unrolled: 12-line block ×3, first 2 shown]
	s_waitcnt lgkmcnt(1)
	v_add_f64 v[7:8], v[48:49], v[20:21]
	scratch_store_b64 off, v[7:8], off offset:80 ; 8-byte Folded Spill
	v_add_f64 v[7:8], v[46:47], v[18:19]
	scratch_store_b64 off, v[7:8], off offset:144 ; 8-byte Folded Spill
	s_waitcnt lgkmcnt(0)
	v_add_f64 v[7:8], v[52:53], v[20:21]
	scratch_store_b64 off, v[7:8], off offset:48 ; 8-byte Folded Spill
	v_add_f64 v[7:8], v[50:51], v[18:19]
	scratch_store_b64 off, v[7:8], off offset:112 ; 8-byte Folded Spill
	;; [unrolled: 2-line block ×18, first 2 shown]
	ds_load_b128 v[18:21], v4 offset:2048
	ds_load_b128 v[26:29], v4 offset:3072
	s_waitcnt lgkmcnt(1)
	v_add_f64 v[7:8], v[44:45], v[20:21]
	v_add_f64 v[105:106], v[2:3], v[20:21]
	;; [unrolled: 1-line block ×13, first 2 shown]
	s_waitcnt lgkmcnt(0)
	v_add_f64 v[224:225], v[2:3], v[28:29]
	v_add_f64 v[136:137], v[0:1], v[26:27]
	v_add_f64 v[228:229], v[194:195], v[28:29]
	v_add_f64 v[200:201], v[192:193], v[26:27]
	v_add_f64 v[232:233], v[32:33], v[28:29]
	v_add_f64 v[128:129], v[30:31], v[26:27]
	v_add_f64 v[236:237], v[36:37], v[28:29]
	v_add_f64 v[81:82], v[34:35], v[26:27]
	v_add_f64 v[134:135], v[40:41], v[28:29]
	v_add_f64 v[111:112], v[38:39], v[26:27]
	v_add_f64 v[131:132], v[44:45], v[28:29]
	v_add_f64 v[109:110], v[42:43], v[26:27]
	v_add_f64 v[115:116], v[48:49], v[28:29]
	v_add_f64 v[250:251], v[46:47], v[26:27]
	v_add_f64 v[252:253], v[52:53], v[28:29]
	v_add_f64 v[254:255], v[50:51], v[26:27]
	scratch_store_b64 off, v[7:8], off offset:304 ; 8-byte Folded Spill
	v_add_f64 v[7:8], v[48:49], v[20:21]
	scratch_store_b64 off, v[7:8], off offset:296 ; 8-byte Folded Spill
	v_add_f64 v[7:8], v[52:53], v[20:21]
	;; [unrolled: 2-line block ×3, first 2 shown]
	scratch_store_b64 off, v[7:8], off offset:312 ; 8-byte Folded Spill
	ds_load_b128 v[18:21], v4 offset:4096
	ds_load_b128 v[26:29], v4 offset:5120
	s_waitcnt lgkmcnt(1)
	v_add_f64 v[54:55], v[2:3], v[20:21]
	v_add_f64 v[119:120], v[0:1], v[18:19]
	;; [unrolled: 1-line block ×16, first 2 shown]
	s_waitcnt lgkmcnt(0)
	v_add_f64 v[184:185], v[2:3], v[28:29]
	v_add_f64 v[180:181], v[0:1], v[26:27]
	;; [unrolled: 1-line block ×16, first 2 shown]
	ds_load_b128 v[18:21], v4 offset:6144
	ds_load_b128 v[26:29], v4 offset:7168
	v_cvt_f32_f64_e32 v24, v[24:25]
	scratch_load_b32 v25, off, off offset:20 ; 4-byte Folded Reload
	s_waitcnt lgkmcnt(1)
	v_add_f64 v[66:67], v[0:1], v[18:19]
	v_add_f64 v[99:100], v[192:193], v[18:19]
	;; [unrolled: 1-line block ×8, first 2 shown]
	s_waitcnt lgkmcnt(0)
	v_add_f64 v[0:1], v[0:1], v[26:27]
	v_add_f64 v[107:108], v[192:193], v[26:27]
	;; [unrolled: 1-line block ×8, first 2 shown]
	scratch_load_b64 v[50:51], off, off offset:120 ; 8-byte Folded Reload
	v_add_f64 v[4:5], v[2:3], v[20:21]
	v_add_f64 v[198:199], v[194:195], v[20:21]
	;; [unrolled: 1-line block ×16, first 2 shown]
	v_cvt_f32_f64_e32 v0, v[0:1]
	v_cvt_f32_f64_e32 v4, v[4:5]
	;; [unrolled: 1-line block ×4, first 2 shown]
	s_delay_alu instid0(VALU_DEP_1) | instskip(SKIP_2) | instid1(VALU_DEP_1)
	v_min3_f32 v121, v0, v1, v121
	v_cvt_f32_f64_e32 v0, v[107:108]
	v_cvt_f32_f64_e32 v1, v[22:23]
	v_min3_f32 v79, v0, v1, v79
	v_cvt_f32_f64_e32 v0, v[30:31]
	v_cvt_f32_f64_e32 v1, v[32:33]
	s_delay_alu instid0(VALU_DEP_1) | instskip(SKIP_2) | instid1(VALU_DEP_1)
	v_min3_f32 v126, v0, v1, v126
	v_cvt_f32_f64_e32 v0, v[34:35]
	v_cvt_f32_f64_e32 v1, v[36:37]
	v_min3_f32 v118, v0, v1, v118
	v_cvt_f32_f64_e32 v1, v[40:41]
	v_cvt_f32_f64_e32 v0, v[38:39]
	s_clause 0x2
	scratch_load_b32 v40, off, off offset:284
	scratch_load_b32 v38, off, off offset:280
	scratch_load_b32 v2, off, off
	v_min3_f32 v6, v0, v1, v6
	v_cvt_f32_f64_e32 v0, v[42:43]
	v_cvt_f32_f64_e32 v1, v[44:45]
	s_delay_alu instid0(VALU_DEP_1)
	v_min3_f32 v248, v0, v1, v248
	v_cvt_f32_f64_e32 v0, v[46:47]
	v_cvt_f32_f64_e32 v1, v[48:49]
	s_waitcnt vmcnt(3)
	v_cvt_f32_f64_e32 v7, v[50:51]
	scratch_load_b64 v[50:51], off, off offset:56 ; 8-byte Folded Reload
	v_min3_f32 v247, v0, v1, v247
	v_cvt_f32_f64_e32 v0, v[26:27]
	v_cvt_f32_f64_e32 v1, v[28:29]
	s_waitcnt vmcnt(1)
	s_delay_alu instid0(VALU_DEP_1)
	v_min3_f32 v2, v0, v1, v2
	v_cndmask_b32_e64 v0, 0, 1, s14
	s_mov_b32 s14, 0
	scratch_store_b32 off, v2, off          ; 4-byte Folded Spill
	v_cmp_ne_u32_e32 vcc_lo, 1, v0
	s_and_b32 vcc_lo, exec_lo, vcc_lo
	s_waitcnt vmcnt(0)
	v_cvt_f32_f64_e32 v50, v[50:51]
	s_delay_alu instid0(VALU_DEP_1)
	v_min3_f32 v142, v7, v50, v142
	scratch_load_b64 v[50:51], off, off offset:88 ; 8-byte Folded Reload
	s_waitcnt vmcnt(0)
	v_cvt_f32_f64_e32 v7, v[50:51]
	scratch_load_b64 v[50:51], off, off offset:24 ; 8-byte Folded Reload
	s_waitcnt vmcnt(0)
	v_cvt_f32_f64_e32 v50, v[50:51]
	s_delay_alu instid0(VALU_DEP_1)
	v_min3_f32 v141, v7, v50, v141
	scratch_load_b64 v[50:51], off, off offset:128 ; 8-byte Folded Reload
	s_waitcnt vmcnt(0)
	v_cvt_f32_f64_e32 v7, v[50:51]
	scratch_load_b64 v[50:51], off, off offset:64 ; 8-byte Folded Reload
	;; [unrolled: 8-line block ×15, first 2 shown]
	s_waitcnt vmcnt(0)
	v_cvt_f32_f64_e32 v50, v[50:51]
	s_delay_alu instid0(VALU_DEP_1) | instskip(SKIP_2) | instid1(VALU_DEP_1)
	v_min3_f32 v238, v7, v50, v238
	v_cvt_f32_f64_e32 v7, v[95:96]
	v_cvt_f32_f64_e32 v50, v[105:106]
	v_min3_f32 v249, v7, v50, v249
	v_cvt_f32_f64_e32 v7, v[91:92]
	v_cvt_f32_f64_e32 v50, v[190:191]
	s_delay_alu instid0(VALU_DEP_1) | instskip(SKIP_2) | instid1(VALU_DEP_1)
	v_min3_f32 v217, v7, v50, v217
	v_cvt_f32_f64_e32 v7, v[87:88]
	v_cvt_f32_f64_e32 v50, v[101:102]
	v_min3_f32 v216, v7, v50, v216
	v_cvt_f32_f64_e32 v7, v[83:84]
	v_cvt_f32_f64_e32 v50, v[97:98]
	s_delay_alu instid0(VALU_DEP_1) | instskip(SKIP_3) | instid1(VALU_DEP_1)
	v_min3_f32 v215, v7, v50, v215
	v_cvt_f32_f64_e32 v7, v[62:63]
	v_cvt_f32_f64_e32 v50, v[186:187]
	v_mov_b32_e32 v62, v214
	v_min3_f32 v62, v7, v50, v62
	scratch_load_b64 v[50:51], off, off offset:304 ; 8-byte Folded Reload
	v_cvt_f32_f64_e32 v7, v[60:61]
	s_waitcnt vmcnt(0)
	v_cvt_f32_f64_e32 v50, v[50:51]
	s_delay_alu instid0(VALU_DEP_1) | instskip(SKIP_4) | instid1(VALU_DEP_1)
	v_min3_f32 v213, v7, v50, v213
	scratch_load_b64 v[50:51], off, off offset:296 ; 8-byte Folded Reload
	v_cvt_f32_f64_e32 v7, v[188:189]
	s_waitcnt vmcnt(0)
	v_cvt_f32_f64_e32 v50, v[50:51]
	v_min3_f32 v212, v7, v50, v212
	scratch_load_b64 v[50:51], off, off offset:312 ; 8-byte Folded Reload
	s_waitcnt vmcnt(0)
	v_cvt_f32_f64_e32 v7, v[50:51]
	scratch_load_b64 v[50:51], off, off offset:288 ; 8-byte Folded Reload
	s_waitcnt vmcnt(0)
	v_cvt_f32_f64_e32 v50, v[50:51]
	s_delay_alu instid0(VALU_DEP_1) | instskip(SKIP_2) | instid1(VALU_DEP_1)
	v_min3_f32 v211, v7, v50, v211
	v_cvt_f32_f64_e32 v7, v[136:137]
	v_cvt_f32_f64_e32 v50, v[224:225]
	v_min3_f32 v210, v7, v50, v210
	v_cvt_f32_f64_e32 v7, v[200:201]
	v_cvt_f32_f64_e32 v50, v[228:229]
	v_dual_mov_b32 v228, v147 :: v_dual_mov_b32 v229, v117
	s_delay_alu instid0(VALU_DEP_2) | instskip(SKIP_2) | instid1(VALU_DEP_1)
	v_min3_f32 v209, v7, v50, v209
	v_cvt_f32_f64_e32 v7, v[128:129]
	v_cvt_f32_f64_e32 v50, v[232:233]
	v_min3_f32 v208, v7, v50, v208
	v_cvt_f32_f64_e32 v7, v[81:82]
	v_cvt_f32_f64_e32 v50, v[236:237]
	s_delay_alu instid0(VALU_DEP_1) | instskip(SKIP_2) | instid1(VALU_DEP_1)
	v_min3_f32 v207, v7, v50, v207
	v_cvt_f32_f64_e32 v7, v[111:112]
	v_cvt_f32_f64_e32 v50, v[134:135]
	v_min3_f32 v206, v7, v50, v206
	v_cvt_f32_f64_e32 v7, v[109:110]
	v_cvt_f32_f64_e32 v50, v[131:132]
	s_delay_alu instid0(VALU_DEP_1) | instskip(SKIP_2) | instid1(VALU_DEP_1)
	;; [unrolled: 7-line block ×3, first 2 shown]
	v_min3_f32 v203, v7, v50, v203
	v_cvt_f32_f64_e32 v7, v[119:120]
	v_cvt_f32_f64_e32 v50, v[54:55]
	v_min3_f32 v202, v7, v50, v202
	v_cvt_f32_f64_e32 v7, v[113:114]
	v_cvt_f32_f64_e32 v50, v[58:59]
	s_delay_alu instid0(VALU_DEP_1) | instskip(SKIP_1) | instid1(VALU_DEP_1)
	v_min3_f32 v228, v7, v50, v228
	v_cvt_f32_f64_e32 v7, v[56:57]
	v_min3_f32 v229, v7, v24, v229
	v_cvt_f32_f64_e32 v7, v[143:144]
	v_cvt_f32_f64_e32 v24, v[68:69]
	s_delay_alu instid0(VALU_DEP_1) | instskip(SKIP_2) | instid1(VALU_DEP_1)
	v_min3_f32 v227, v7, v24, v227
	v_cvt_f32_f64_e32 v7, v[145:146]
	v_cvt_f32_f64_e32 v24, v[148:149]
	v_min3_f32 v239, v7, v24, v239
	v_cvt_f32_f64_e32 v7, v[64:65]
	v_cvt_f32_f64_e32 v24, v[74:75]
	s_delay_alu instid0(VALU_DEP_1) | instskip(SKIP_2) | instid1(VALU_DEP_1)
	v_min3_f32 v241, v7, v24, v241
	v_cvt_f32_f64_e32 v7, v[70:71]
	;; [unrolled: 7-line block ×4, first 2 shown]
	v_cvt_f32_f64_e32 v24, v[178:179]
	v_min3_f32 v246, v7, v24, v246
	v_cvt_f32_f64_e32 v7, v[168:169]
	v_cvt_f32_f64_e32 v24, v[174:175]
	s_delay_alu instid0(VALU_DEP_1)
	v_min3_f32 v25, v7, v24, v25
	v_cvt_f32_f64_e32 v7, v[164:165]
	v_cvt_f32_f64_e32 v24, v[170:171]
	scratch_store_b32 off, v25, off offset:20 ; 4-byte Folded Spill
	scratch_load_b32 v25, off, off offset:16 ; 4-byte Folded Reload
	v_min3_f32 v243, v7, v24, v243
	v_cvt_f32_f64_e32 v7, v[160:161]
	v_cvt_f32_f64_e32 v24, v[166:167]
	s_waitcnt vmcnt(0)
	s_delay_alu instid0(VALU_DEP_1) | instskip(SKIP_2) | instid1(VALU_DEP_1)
	v_min3_f32 v25, v7, v24, v25
	v_cvt_f32_f64_e32 v7, v[156:157]
	v_cvt_f32_f64_e32 v24, v[162:163]
	v_min3_f32 v130, v7, v24, v130
	v_cvt_f32_f64_e32 v7, v[154:155]
	v_cvt_f32_f64_e32 v24, v[158:159]
	s_delay_alu instid0(VALU_DEP_1) | instskip(SKIP_1) | instid1(VALU_DEP_1)
	v_min3_f32 v234, v7, v24, v234
	v_cvt_f32_f64_e32 v7, v[66:67]
	v_min3_f32 v138, v7, v4, v138
	scratch_load_b32 v7, off, off offset:12 ; 4-byte Folded Reload
	v_cvt_f32_f64_e32 v4, v[99:100]
	s_waitcnt vmcnt(0)
	s_delay_alu instid0(VALU_DEP_1)
	v_min3_f32 v7, v4, v5, v7
	v_cvt_f32_f64_e32 v4, v[103:104]
	v_cvt_f32_f64_e32 v5, v[8:9]
	scratch_store_b32 off, v7, off offset:12 ; 4-byte Folded Spill
	scratch_load_b32 v7, off, off offset:8  ; 4-byte Folded Reload
	v_min3_f32 v196, v4, v5, v196
	v_cvt_f32_f64_e32 v4, v[85:86]
	v_cvt_f32_f64_e32 v5, v[10:11]
	s_delay_alu instid0(VALU_DEP_1) | instskip(SKIP_2) | instid1(VALU_DEP_1)
	v_min3_f32 v127, v4, v5, v127
	v_cvt_f32_f64_e32 v4, v[89:90]
	v_cvt_f32_f64_e32 v5, v[12:13]
	v_min3_f32 v125, v4, v5, v125
	v_cvt_f32_f64_e32 v4, v[222:223]
	v_cvt_f32_f64_e32 v5, v[14:15]
	s_waitcnt vmcnt(0)
	s_delay_alu instid0(VALU_DEP_1)
	v_min3_f32 v7, v4, v5, v7
	v_cvt_f32_f64_e32 v4, v[93:94]
	v_cvt_f32_f64_e32 v5, v[16:17]
	scratch_store_b32 off, v7, off offset:8 ; 4-byte Folded Spill
	scratch_load_b32 v7, off, off offset:4  ; 4-byte Folded Reload
	v_min3_f32 v123, v4, v5, v123
	v_cvt_f32_f64_e32 v4, v[18:19]
	v_cvt_f32_f64_e32 v5, v[20:21]
	s_waitcnt vmcnt(0)
	s_delay_alu instid0(VALU_DEP_1)
	v_min3_f32 v7, v4, v5, v7
	s_clause 0x1
	scratch_store_b32 off, v25, off offset:16
	scratch_store_b32 off, v7, off offset:4
	s_cbranch_vccz .LBB175_9
; %bb.10:
	scratch_load_b32 v1, off, off offset:360 ; 4-byte Folded Reload
	v_dual_mov_b32 v71, v205 :: v_dual_lshlrev_b32 v0, 5, v76
	s_load_b32 s14, s[0:1], 0x8
	v_dual_mov_b32 v42, v216 :: v_dual_mov_b32 v51, v213
	v_dual_mov_b32 v144, v212 :: v_dual_mov_b32 v143, v211
	;; [unrolled: 1-line block ×6, first 2 shown]
	v_mov_b32_e32 v69, v203
	v_mov_b32_e32 v147, v202
	s_waitcnt lgkmcnt(0)
	s_cmp_lt_i32 s14, 9
	s_waitcnt vmcnt(0)
	v_lshl_add_u32 v0, v1, 3, v0
	s_clause 0x1
	scratch_load_b64 v[1:2], off, off offset:344
	scratch_load_b32 v5, off, off offset:352
	s_waitcnt vmcnt(0)
	ds_store_b64 v5, v[1:2] offset:18432
	scratch_load_b64 v[1:2], off, off offset:320 ; 8-byte Folded Reload
	s_waitcnt vmcnt(0)
	ds_store_2addr_stride64_b64 v0, v[220:221], v[1:2] offset0:16 offset1:20
	s_clause 0x1
	scratch_load_b64 v[1:2], off, off offset:328
	scratch_load_b64 v[3:4], off, off offset:336
	s_waitcnt vmcnt(0)
	ds_store_2addr_stride64_b64 v0, v[1:2], v[3:4] offset0:24 offset1:28
	s_waitcnt lgkmcnt(0)
	s_waitcnt_vscnt null, 0x0
	s_barrier
	buffer_gl0_inv
	s_cbranch_scc1 .LBB175_18
; %bb.11:
	v_or_b32_e32 v0, 0x2000, v0
	v_add_nc_u32_e32 v1, 0x4800, v5
	v_mov_b32_e32 v5, 0
	scratch_store_b32 off, v0, off offset:392 ; 4-byte Folded Spill
	v_add_co_u32 v0, vcc_lo, s12, v218
	scratch_store_b32 off, v1, off offset:388 ; 4-byte Folded Spill
	s_add_i32 s12, s14, -8
	s_mov_b32 s14, 0
	scratch_store_b32 off, v0, off offset:288 ; 4-byte Folded Spill
	v_add_co_ci_u32_e32 v0, vcc_lo, s13, v219, vcc_lo
	s_mov_b32 s13, 8
	scratch_store_b32 off, v0, off offset:296 ; 4-byte Folded Spill
.LBB175_12:                             ; =>This Loop Header: Depth=1
                                        ;     Child Loop BB175_13 Depth 2
                                        ;     Child Loop BB175_15 Depth 2
	scratch_load_b32 v0, off, off offset:360 ; 4-byte Folded Reload
	v_mov_b32_e32 v52, v62
	s_mov_b32 s16, -1
	s_mov_b32 s17, 0
	s_waitcnt vmcnt(0)
	v_add_nc_u32_e32 v4, s13, v0
	s_delay_alu instid0(VALU_DEP_1) | instskip(NEXT) | instid1(VALU_DEP_1)
	v_mad_u64_u32 v[0:1], null, v4, s18, 0
	v_mad_u64_u32 v[2:3], null, v4, s19, v[1:2]
	scratch_load_b32 v1, off, off offset:364 ; 4-byte Folded Reload
	s_waitcnt vmcnt(0)
	v_or_b32_e32 v4, s13, v1
	v_dual_mov_b32 v1, v2 :: v_dual_mov_b32 v2, v5
	scratch_store_b64 off, v[1:2], off offset:352 ; 8-byte Folded Spill
	v_lshlrev_b64 v[2:3], 3, v[4:5]
	scratch_load_b32 v4, off, off offset:372 ; 4-byte Folded Reload
	v_lshlrev_b64 v[0:1], 3, v[0:1]
	s_waitcnt vmcnt(0)
	v_add_co_u32 v4, vcc_lo, v4, v2
	scratch_load_b32 v2, off, off offset:376 ; 4-byte Folded Reload
	s_waitcnt vmcnt(0)
	v_add_co_ci_u32_e32 v5, vcc_lo, v2, v3, vcc_lo
	scratch_load_b32 v2, off, off offset:288 ; 4-byte Folded Reload
	s_waitcnt vmcnt(0)
	v_add_co_u32 v0, vcc_lo, v2, v0
	scratch_load_b32 v2, off, off offset:296 ; 4-byte Folded Reload
	s_waitcnt vmcnt(0)
	v_add_co_ci_u32_e32 v1, vcc_lo, v2, v1, vcc_lo
	flat_load_b64 v[2:3], v[4:5]
	scratch_store_b64 off, v[4:5], off offset:304 ; 8-byte Folded Spill
	s_waitcnt vmcnt(0) lgkmcnt(0)
	scratch_store_b64 off, v[2:3], off offset:312 ; 8-byte Folded Spill
	flat_load_b64 v[2:3], v[0:1]
	s_waitcnt vmcnt(0) lgkmcnt(0)
	scratch_store_b64 off, v[2:3], off offset:320 ; 8-byte Folded Spill
	flat_load_b64 v[2:3], v[0:1] offset:512
	s_waitcnt vmcnt(0) lgkmcnt(0)
	scratch_store_b64 off, v[2:3], off offset:328 ; 8-byte Folded Spill
	s_clause 0x1
	flat_load_b64 v[2:3], v[0:1] offset:1024
	flat_load_b64 v[0:1], v[0:1] offset:1536
	s_waitcnt vmcnt(1) lgkmcnt(1)
	scratch_store_b64 off, v[2:3], off offset:336 ; 8-byte Folded Spill
	s_waitcnt vmcnt(0) lgkmcnt(0)
	scratch_store_b64 off, v[0:1], off offset:344 ; 8-byte Folded Spill
.LBB175_13:                             ;   Parent Loop BB175_12 Depth=1
                                        ; =>  This Inner Loop Header: Depth=2
	s_lshl_b32 s17, s17, 3
	v_mov_b32_e32 v44, v42
	v_lshl_add_u32 v101, v40, 5, s17
	v_lshl_add_u32 v4, v38, 5, s17
	s_mov_b32 s17, 2
	s_and_not1_b32 vcc_lo, exec_lo, s16
	s_mov_b32 s16, 0
	ds_load_b128 v[45:48], v101 offset:8192
	ds_load_b128 v[0:3], v4 offset:18432
	;; [unrolled: 1-line block ×4, first 2 shown]
	s_waitcnt lgkmcnt(2)
	v_add_f64 v[67:68], v[2:3], v[47:48]
	s_waitcnt lgkmcnt(1)
	v_add_f64 v[7:8], v[156:157], v[47:48]
	v_add_f64 v[21:22], v[0:1], v[45:46]
	s_delay_alu instid0(VALU_DEP_3)
	v_cvt_f32_f64_e32 v67, v[67:68]
	scratch_store_b64 off, v[7:8], off offset:24 ; 8-byte Folded Spill
	v_add_f64 v[7:8], v[154:155], v[45:46]
	v_cvt_f32_f64_e32 v117, v[21:22]
	scratch_store_b64 off, v[7:8], off offset:80 ; 8-byte Folded Spill
	ds_load_b128 v[162:165], v4 offset:18944
	ds_load_b128 v[166:169], v4 offset:19200
	v_min3_f32 v142, v117, v67, v142
	s_waitcnt lgkmcnt(1)
	v_add_f64 v[7:8], v[164:165], v[47:48]
	scratch_store_b64 off, v[7:8], off offset:56 ; 8-byte Folded Spill
	v_add_f64 v[7:8], v[162:163], v[45:46]
	scratch_store_b64 off, v[7:8], off offset:112 ; 8-byte Folded Spill
	s_waitcnt lgkmcnt(0)
	v_add_f64 v[7:8], v[168:169], v[47:48]
	scratch_store_b64 off, v[7:8], off offset:32 ; 8-byte Folded Spill
	v_add_f64 v[7:8], v[166:167], v[45:46]
	scratch_store_b64 off, v[7:8], off offset:88 ; 8-byte Folded Spill
	ds_load_b128 v[170:173], v4 offset:19456
	ds_load_b128 v[174:177], v4 offset:19712
	s_waitcnt lgkmcnt(1)
	v_add_f64 v[7:8], v[172:173], v[47:48]
	v_add_f64 v[49:50], v[170:171], v[158:159]
	s_waitcnt lgkmcnt(0)
	v_add_f64 v[25:26], v[174:175], v[158:159]
	scratch_store_b64 off, v[7:8], off offset:64 ; 8-byte Folded Spill
	v_add_f64 v[7:8], v[170:171], v[45:46]
	v_cvt_f32_f64_e32 v49, v[49:50]
	scratch_store_b64 off, v[7:8], off offset:120 ; 8-byte Folded Spill
	v_add_f64 v[7:8], v[176:177], v[47:48]
	scratch_store_b64 off, v[7:8], off offset:40 ; 8-byte Folded Spill
	v_add_f64 v[7:8], v[174:175], v[45:46]
	scratch_store_b64 off, v[7:8], off offset:96 ; 8-byte Folded Spill
	ds_load_b128 v[178:181], v4 offset:19968
	ds_load_b128 v[182:185], v4 offset:20224
	s_waitcnt lgkmcnt(1)
	v_add_f64 v[4:5], v[180:181], v[47:48]
	scratch_store_b64 off, v[4:5], off offset:72 ; 8-byte Folded Spill
	v_add_f64 v[4:5], v[178:179], v[45:46]
	scratch_store_b64 off, v[4:5], off offset:128 ; 8-byte Folded Spill
	s_waitcnt lgkmcnt(0)
	v_add_f64 v[4:5], v[184:185], v[47:48]
	scratch_store_b64 off, v[4:5], off offset:48 ; 8-byte Folded Spill
	v_add_f64 v[4:5], v[182:183], v[45:46]
	scratch_store_b64 off, v[4:5], off offset:104 ; 8-byte Folded Spill
	;; [unrolled: 2-line block ×16, first 2 shown]
	ds_load_b128 v[158:161], v101 offset:10240
	ds_load_b128 v[186:189], v101 offset:11264
	s_waitcnt lgkmcnt(1)
	v_add_f64 v[4:5], v[176:177], v[160:161]
	v_add_f64 v[31:32], v[2:3], v[160:161]
	;; [unrolled: 1-line block ×13, first 2 shown]
	s_waitcnt lgkmcnt(0)
	v_add_f64 v[35:36], v[2:3], v[188:189]
	v_add_f64 v[222:223], v[0:1], v[186:187]
	v_add_f64 v[224:225], v[156:157], v[188:189]
	v_add_f64 v[136:137], v[154:155], v[186:187]
	v_add_f64 v[27:28], v[164:165], v[188:189]
	v_add_f64 v[23:24], v[162:163], v[186:187]
	v_add_f64 v[232:233], v[168:169], v[188:189]
	v_add_f64 v[128:129], v[166:167], v[186:187]
	v_add_f64 v[236:237], v[172:173], v[188:189]
	v_add_f64 v[81:82], v[170:171], v[186:187]
	v_add_f64 v[134:135], v[176:177], v[188:189]
	v_add_f64 v[111:112], v[174:175], v[186:187]
	v_add_f64 v[131:132], v[180:181], v[188:189]
	v_add_f64 v[109:110], v[178:179], v[186:187]
	v_add_f64 v[115:116], v[184:185], v[188:189]
	v_add_f64 v[250:251], v[182:183], v[186:187]
	scratch_store_b64 off, v[4:5], off offset:264 ; 8-byte Folded Spill
	v_add_f64 v[4:5], v[180:181], v[160:161]
	scratch_store_b64 off, v[4:5], off offset:256 ; 8-byte Folded Spill
	v_add_f64 v[4:5], v[184:185], v[160:161]
	;; [unrolled: 2-line block ×3, first 2 shown]
	scratch_store_b64 off, v[4:5], off offset:272 ; 8-byte Folded Spill
	ds_load_b128 v[158:161], v101 offset:12288
	ds_load_b128 v[186:189], v101 offset:13312
	s_waitcnt lgkmcnt(1)
	v_add_f64 v[7:8], v[164:165], v[160:161]
	v_add_f64 v[9:10], v[162:163], v[158:159]
	;; [unrolled: 1-line block ×16, first 2 shown]
	s_waitcnt lgkmcnt(0)
	v_add_f64 v[83:84], v[2:3], v[188:189]
	v_add_f64 v[53:54], v[0:1], v[186:187]
	;; [unrolled: 1-line block ×16, first 2 shown]
	ds_load_b128 v[158:161], v101 offset:14336
	ds_load_b128 v[186:189], v101 offset:15360
	scratch_load_b64 v[21:22], off, off offset:80 ; 8-byte Folded Reload
	v_cvt_f32_f64_e32 v7, v[7:8]
	v_cvt_f32_f64_e32 v9, v[9:10]
	;; [unrolled: 1-line block ×5, first 2 shown]
	s_waitcnt lgkmcnt(1)
	v_add_f64 v[101:102], v[2:3], v[160:161]
	v_add_f64 v[210:211], v[0:1], v[158:159]
	;; [unrolled: 1-line block ×12, first 2 shown]
	s_waitcnt lgkmcnt(0)
	v_add_f64 v[2:3], v[2:3], v[188:189]
	v_add_f64 v[0:1], v[0:1], v[186:187]
	v_add_f64 v[156:157], v[156:157], v[188:189]
	v_add_f64 v[154:155], v[154:155], v[186:187]
	v_add_f64 v[164:165], v[164:165], v[188:189]
	v_add_f64 v[162:163], v[162:163], v[186:187]
	v_add_f64 v[168:169], v[168:169], v[188:189]
	v_add_f64 v[166:167], v[166:167], v[186:187]
	v_add_f64 v[172:173], v[172:173], v[188:189]
	v_add_f64 v[170:171], v[170:171], v[186:187]
	v_add_f64 v[176:177], v[176:177], v[188:189]
	v_add_f64 v[174:175], v[174:175], v[186:187]
	v_add_f64 v[200:201], v[180:181], v[160:161]
	v_add_f64 v[220:221], v[178:179], v[158:159]
	v_min3_f32 v229, v9, v7, v229
	v_cvt_f32_f64_e32 v7, v[13:14]
	v_add_f64 v[180:181], v[180:181], v[188:189]
	v_add_f64 v[178:179], v[178:179], v[186:187]
	;; [unrolled: 1-line block ×3, first 2 shown]
	v_min3_f32 v239, v4, v5, v239
	v_cvt_f32_f64_e32 v4, v[192:193]
	v_cvt_f32_f64_e32 v5, v[218:219]
	v_add_f64 v[158:159], v[182:183], v[158:159]
	v_add_f64 v[184:185], v[184:185], v[188:189]
	;; [unrolled: 1-line block ×3, first 2 shown]
	v_cvt_f32_f64_e32 v0, v[0:1]
	v_cvt_f32_f64_e32 v1, v[2:3]
	scratch_load_b32 v2, off, off           ; 4-byte Folded Reload
	v_min3_f32 v227, v7, v8, v227
	scratch_load_b32 v7, off, off offset:20 ; 4-byte Folded Reload
	v_min3_f32 v241, v4, v5, v241
	v_cvt_f32_f64_e32 v4, v[119:120]
	v_cvt_f32_f64_e32 v5, v[17:18]
	v_min3_f32 v121, v0, v1, v121
	v_cvt_f32_f64_e32 v0, v[154:155]
	v_cvt_f32_f64_e32 v1, v[156:157]
	s_delay_alu instid0(VALU_DEP_4) | instskip(SKIP_2) | instid1(VALU_DEP_4)
	v_min3_f32 v133, v4, v5, v133
	v_cvt_f32_f64_e32 v4, v[113:114]
	v_cvt_f32_f64_e32 v5, v[19:20]
	v_min3_f32 v79, v0, v1, v79
	v_cvt_f32_f64_e32 v0, v[162:163]
	v_cvt_f32_f64_e32 v1, v[164:165]
	s_delay_alu instid0(VALU_DEP_4) | instskip(SKIP_2) | instid1(VALU_DEP_4)
	;; [unrolled: 7-line block ×5, first 2 shown]
	v_min3_f32 v246, v4, v5, v246
	v_cvt_f32_f64_e32 v4, v[63:64]
	v_cvt_f32_f64_e32 v5, v[61:62]
	v_min3_f32 v248, v0, v1, v248
	v_cvt_f32_f64_e32 v0, v[178:179]
	v_cvt_f32_f64_e32 v1, v[180:181]
	s_delay_alu instid0(VALU_DEP_1) | instskip(SKIP_3) | instid1(VALU_DEP_1)
	v_min3_f32 v247, v0, v1, v247
	v_cvt_f32_f64_e32 v0, v[182:183]
	v_cvt_f32_f64_e32 v1, v[184:185]
	s_waitcnt vmcnt(1)
	v_min3_f32 v2, v0, v1, v2
	scratch_store_b32 off, v2, off          ; 4-byte Folded Spill
	s_waitcnt vmcnt(0)
	v_min3_f32 v7, v4, v5, v7
	v_cvt_f32_f64_e32 v4, v[89:90]
	v_cvt_f32_f64_e32 v5, v[87:88]
	scratch_store_b32 off, v7, off offset:20 ; 4-byte Folded Spill
	scratch_load_b32 v7, off, off offset:16 ; 4-byte Folded Reload
	v_min3_f32 v243, v4, v5, v243
	v_cvt_f32_f64_e32 v4, v[93:94]
	v_cvt_f32_f64_e32 v5, v[91:92]
	s_waitcnt vmcnt(0)
	s_delay_alu instid0(VALU_DEP_1)
	v_min3_f32 v7, v4, v5, v7
	v_cvt_f32_f64_e32 v4, v[97:98]
	v_cvt_f32_f64_e32 v5, v[95:96]
	scratch_store_b32 off, v7, off offset:16 ; 4-byte Folded Spill
	scratch_load_b32 v7, off, off offset:12 ; 4-byte Folded Reload
	v_min3_f32 v130, v4, v5, v130
	v_cvt_f32_f64_e32 v4, v[214:215]
	v_cvt_f32_f64_e32 v5, v[99:100]
	s_delay_alu instid0(VALU_DEP_1) | instskip(SKIP_2) | instid1(VALU_DEP_1)
	v_min3_f32 v234, v4, v5, v234
	v_cvt_f32_f64_e32 v4, v[210:211]
	v_cvt_f32_f64_e32 v5, v[101:102]
	v_min3_f32 v138, v4, v5, v138
	v_cvt_f32_f64_e32 v4, v[216:217]
	v_cvt_f32_f64_e32 v5, v[206:207]
	s_waitcnt vmcnt(0)
	s_delay_alu instid0(VALU_DEP_1)
	v_min3_f32 v7, v4, v5, v7
	v_cvt_f32_f64_e32 v4, v[202:203]
	v_cvt_f32_f64_e32 v5, v[103:104]
	scratch_store_b32 off, v7, off offset:12 ; 4-byte Folded Spill
	scratch_load_b32 v7, off, off offset:8  ; 4-byte Folded Reload
	v_cvt_f32_f64_e32 v67, v[21:22]
	scratch_load_b64 v[21:22], off, off offset:24 ; 8-byte Folded Reload
	v_min3_f32 v196, v4, v5, v196
	v_cvt_f32_f64_e32 v4, v[198:199]
	v_cvt_f32_f64_e32 v5, v[212:213]
	s_delay_alu instid0(VALU_DEP_1) | instskip(SKIP_2) | instid1(VALU_DEP_1)
	v_min3_f32 v127, v4, v5, v127
	v_cvt_f32_f64_e32 v4, v[194:195]
	v_cvt_f32_f64_e32 v5, v[208:209]
	v_min3_f32 v125, v4, v5, v125
	v_cvt_f32_f64_e32 v4, v[190:191]
	v_cvt_f32_f64_e32 v5, v[204:205]
	s_waitcnt vmcnt(1)
	s_delay_alu instid0(VALU_DEP_1)
	v_min3_f32 v7, v4, v5, v7
	v_cvt_f32_f64_e32 v4, v[220:221]
	v_cvt_f32_f64_e32 v5, v[200:201]
	scratch_store_b32 off, v7, off offset:8 ; 4-byte Folded Spill
	scratch_load_b32 v7, off, off offset:4  ; 4-byte Folded Reload
	s_waitcnt vmcnt(1)
	v_cvt_f32_f64_e32 v68, v[21:22]
	scratch_load_b64 v[21:22], off, off offset:112 ; 8-byte Folded Reload
	v_min3_f32 v123, v4, v5, v123
	v_cvt_f32_f64_e32 v4, v[158:159]
	v_cvt_f32_f64_e32 v5, v[160:161]
	v_min3_f32 v141, v67, v68, v141
	s_waitcnt vmcnt(1)
	s_delay_alu instid0(VALU_DEP_2)
	v_min3_f32 v7, v4, v5, v7
	s_waitcnt vmcnt(0)
	v_cvt_f32_f64_e32 v67, v[21:22]
	scratch_load_b64 v[21:22], off, off offset:56 ; 8-byte Folded Reload
	scratch_store_b32 off, v7, off offset:4 ; 4-byte Folded Spill
	s_waitcnt vmcnt(0)
	v_cvt_f32_f64_e32 v68, v[21:22]
	scratch_load_b64 v[21:22], off, off offset:88 ; 8-byte Folded Reload
	v_min3_f32 v140, v67, v68, v140
	s_waitcnt vmcnt(0)
	v_cvt_f32_f64_e32 v67, v[21:22]
	scratch_load_b64 v[21:22], off, off offset:32 ; 8-byte Folded Reload
	s_waitcnt vmcnt(0)
	v_cvt_f32_f64_e32 v68, v[21:22]
	scratch_load_b64 v[21:22], off, off offset:120 ; 8-byte Folded Reload
	v_min3_f32 v226, v67, v68, v226
	s_waitcnt vmcnt(0)
	v_cvt_f32_f64_e32 v67, v[21:22]
	scratch_load_b64 v[21:22], off, off offset:64 ; 8-byte Folded Reload
	;; [unrolled: 7-line block ×10, first 2 shown]
	v_min3_f32 v139, v49, v50, v139
	v_cvt_f32_f64_e32 v49, v[25:26]
	s_waitcnt vmcnt(0)
	v_cvt_f32_f64_e32 v25, v[21:22]
	scratch_load_b64 v[21:22], off, off offset:224 ; 8-byte Folded Reload
	v_min3_f32 v122, v49, v25, v122
	s_waitcnt vmcnt(0)
	v_cvt_f32_f64_e32 v25, v[21:22]
	scratch_load_b64 v[21:22], off, off offset:216 ; 8-byte Folded Reload
	s_waitcnt vmcnt(0)
	v_cvt_f32_f64_e32 v26, v[21:22]
	scratch_load_b64 v[21:22], off, off offset:240 ; 8-byte Folded Reload
	v_min3_f32 v80, v25, v26, v80
	s_waitcnt vmcnt(0)
	v_cvt_f32_f64_e32 v25, v[21:22]
	scratch_load_b64 v[21:22], off, off offset:232 ; 8-byte Folded Reload
	s_waitcnt vmcnt(0)
	v_cvt_f32_f64_e32 v26, v[21:22]
	v_cvt_f32_f64_e32 v21, v[33:34]
	;; [unrolled: 1-line block ×3, first 2 shown]
	s_delay_alu instid0(VALU_DEP_3) | instskip(SKIP_2) | instid1(VALU_DEP_4)
	v_min3_f32 v238, v25, v26, v238
	v_cvt_f32_f64_e32 v25, v[29:30]
	v_cvt_f32_f64_e32 v26, v[31:32]
	v_min3_f32 v41, v21, v22, v41
	v_cvt_f32_f64_e32 v21, v[45:46]
	v_cvt_f32_f64_e32 v22, v[75:76]
	s_delay_alu instid0(VALU_DEP_4)
	v_min3_f32 v249, v25, v26, v249
	v_cvt_f32_f64_e32 v25, v[105:106]
	v_cvt_f32_f64_e32 v26, v[38:39]
	scratch_load_b32 v38, off, off offset:280 ; 4-byte Folded Reload
	v_min3_f32 v52, v21, v22, v52
	v_cvt_f32_f64_e32 v21, v[47:48]
	v_min3_f32 v37, v25, v26, v37
	v_cvt_f32_f64_e32 v25, v[107:108]
	v_cvt_f32_f64_e32 v26, v[42:43]
	v_mov_b32_e32 v42, v44
	s_delay_alu instid0(VALU_DEP_1)
	v_min3_f32 v42, v25, v26, v42
	scratch_load_b64 v[25:26], off, off offset:264 ; 8-byte Folded Reload
	s_waitcnt vmcnt(0)
	v_cvt_f32_f64_e32 v22, v[25:26]
	scratch_load_b64 v[25:26], off, off offset:256 ; 8-byte Folded Reload
	v_min3_f32 v51, v21, v22, v51
	v_cvt_f32_f64_e32 v21, v[73:74]
	s_waitcnt vmcnt(0)
	v_cvt_f32_f64_e32 v22, v[25:26]
	scratch_load_b64 v[25:26], off, off offset:248 ; 8-byte Folded Reload
	v_min3_f32 v144, v21, v22, v144
	scratch_load_b64 v[21:22], off, off offset:272 ; 8-byte Folded Reload
	s_waitcnt vmcnt(0)
	v_cvt_f32_f64_e32 v21, v[21:22]
	v_cvt_f32_f64_e32 v22, v[25:26]
	s_delay_alu instid0(VALU_DEP_1) | instskip(SKIP_2) | instid1(VALU_DEP_1)
	v_min3_f32 v143, v21, v22, v143
	v_cvt_f32_f64_e32 v21, v[222:223]
	v_cvt_f32_f64_e32 v22, v[35:36]
	v_min3_f32 v149, v21, v22, v149
	v_cvt_f32_f64_e32 v21, v[136:137]
	v_cvt_f32_f64_e32 v22, v[224:225]
	s_delay_alu instid0(VALU_DEP_1) | instskip(SKIP_2) | instid1(VALU_DEP_1)
	v_min3_f32 v148, v21, v22, v148
	v_cvt_f32_f64_e32 v21, v[23:24]
	v_cvt_f32_f64_e32 v22, v[27:28]
	v_min3_f32 v146, v21, v22, v146
	;; [unrolled: 7-line block ×5, first 2 shown]
	v_cvt_f32_f64_e32 v21, v[152:153]
	v_cvt_f32_f64_e32 v22, v[150:151]
	s_delay_alu instid0(VALU_DEP_1)
	v_min3_f32 v228, v21, v22, v228
	s_cbranch_vccz .LBB175_13
; %bb.14:                               ;   in Loop: Header=BB175_12 Depth=1
	scratch_load_b32 v0, off, off offset:368 ; 4-byte Folded Reload
	v_mov_b32_e32 v62, v52
	s_mov_b32 s17, 0
	s_mov_b32 s16, -1
	s_waitcnt vmcnt(0)
	v_add_nc_u32_e32 v4, s13, v0
	s_delay_alu instid0(VALU_DEP_1) | instskip(NEXT) | instid1(VALU_DEP_1)
	v_mad_u64_u32 v[0:1], null, v4, s18, 0
	v_mad_u64_u32 v[2:3], null, v4, s19, v[1:2]
	s_delay_alu instid0(VALU_DEP_1)
	v_mov_b32_e32 v1, v2
	s_clause 0x1
	scratch_load_b32 v2, off, off offset:384
	scratch_load_b64 v[3:4], off, off offset:312
	v_lshlrev_b64 v[0:1], 3, v[0:1]
	s_waitcnt vmcnt(0)
	ds_store_b64 v2, v[3:4]
	s_clause 0x2
	scratch_load_b32 v2, off, off offset:380
	scratch_load_b64 v[3:4], off, off offset:320
	scratch_load_b64 v[7:8], off, off offset:328
	s_waitcnt vmcnt(0)
	ds_store_2addr_stride64_b64 v2, v[3:4], v[7:8] offset1:4
	s_clause 0x1
	scratch_load_b64 v[3:4], off, off offset:336
	scratch_load_b64 v[7:8], off, off offset:344
	s_waitcnt vmcnt(0)
	ds_store_2addr_stride64_b64 v2, v[3:4], v[7:8] offset0:8 offset1:12
	scratch_load_b32 v2, off, off offset:288 ; 4-byte Folded Reload
	s_waitcnt vmcnt(0)
	v_add_co_u32 v0, vcc_lo, v2, v0
	scratch_load_b32 v2, off, off offset:296 ; 4-byte Folded Reload
	s_waitcnt vmcnt(0) lgkmcnt(0)
	s_waitcnt_vscnt null, 0x0
	s_barrier
	buffer_gl0_inv
	v_add_co_ci_u32_e32 v1, vcc_lo, v2, v1, vcc_lo
	scratch_load_b64 v[2:3], off, off offset:304 ; 8-byte Folded Reload
	s_waitcnt vmcnt(0)
	flat_load_b64 v[2:3], v[2:3] offset:32
	s_waitcnt vmcnt(0) lgkmcnt(0)
	scratch_store_b64 off, v[2:3], off offset:304 ; 8-byte Folded Spill
	flat_load_b64 v[2:3], v[0:1]
	s_waitcnt vmcnt(0) lgkmcnt(0)
	scratch_store_b64 off, v[2:3], off offset:312 ; 8-byte Folded Spill
	flat_load_b64 v[2:3], v[0:1] offset:512
	s_waitcnt vmcnt(0) lgkmcnt(0)
	scratch_store_b64 off, v[2:3], off offset:320 ; 8-byte Folded Spill
	s_clause 0x1
	flat_load_b64 v[2:3], v[0:1] offset:1024
	flat_load_b64 v[0:1], v[0:1] offset:1536
	s_waitcnt vmcnt(1) lgkmcnt(1)
	scratch_store_b64 off, v[2:3], off offset:328 ; 8-byte Folded Spill
	s_waitcnt vmcnt(0) lgkmcnt(0)
	scratch_store_b64 off, v[0:1], off offset:336 ; 8-byte Folded Spill
.LBB175_15:                             ;   Parent Loop BB175_12 Depth=1
                                        ; =>  This Inner Loop Header: Depth=2
	s_lshl_b32 s17, s17, 3
	s_and_not1_b32 vcc_lo, exec_lo, s16
	v_lshl_add_u32 v65, v40, 5, s17
	v_lshl_add_u32 v4, v38, 5, s17
	s_mov_b32 s17, 2
	s_mov_b32 s16, 0
	ds_load_b128 v[43:46], v65
	ds_load_b128 v[0:3], v4 offset:16384
	ds_load_b128 v[154:157], v4 offset:16640
	;; [unrolled: 1-line block ×3, first 2 shown]
	s_waitcnt lgkmcnt(2)
	v_add_f64 v[63:64], v[2:3], v[45:46]
	s_waitcnt lgkmcnt(1)
	v_add_f64 v[7:8], v[156:157], v[45:46]
	v_add_f64 v[29:30], v[0:1], v[43:44]
	s_delay_alu instid0(VALU_DEP_3)
	v_cvt_f32_f64_e32 v63, v[63:64]
	scratch_store_b64 off, v[7:8], off offset:24 ; 8-byte Folded Spill
	v_add_f64 v[7:8], v[154:155], v[43:44]
	scratch_store_b64 off, v[7:8], off offset:80 ; 8-byte Folded Spill
	ds_load_b128 v[158:161], v4 offset:16896
	ds_load_b128 v[162:165], v4 offset:17152
	s_waitcnt lgkmcnt(1)
	v_add_f64 v[7:8], v[160:161], v[45:46]
	scratch_store_b64 off, v[7:8], off offset:56 ; 8-byte Folded Spill
	v_add_f64 v[7:8], v[158:159], v[43:44]
	scratch_store_b64 off, v[7:8], off offset:112 ; 8-byte Folded Spill
	s_waitcnt lgkmcnt(0)
	v_add_f64 v[7:8], v[164:165], v[45:46]
	scratch_store_b64 off, v[7:8], off offset:32 ; 8-byte Folded Spill
	v_add_f64 v[7:8], v[162:163], v[43:44]
	scratch_store_b64 off, v[7:8], off offset:88 ; 8-byte Folded Spill
	ds_load_b128 v[166:169], v4 offset:17408
	ds_load_b128 v[170:173], v4 offset:17664
	s_waitcnt lgkmcnt(1)
	v_add_f64 v[7:8], v[168:169], v[45:46]
	s_waitcnt lgkmcnt(0)
	v_add_f64 v[35:36], v[170:171], v[73:74]
	v_add_f64 v[39:40], v[166:167], v[43:44]
	scratch_store_b64 off, v[7:8], off offset:64 ; 8-byte Folded Spill
	v_add_f64 v[7:8], v[172:173], v[45:46]
	v_cvt_f32_f64_e32 v39, v[39:40]
	v_cvt_f32_f64_e32 v35, v[35:36]
	scratch_store_b64 off, v[7:8], off offset:40 ; 8-byte Folded Spill
	v_add_f64 v[7:8], v[170:171], v[43:44]
	scratch_store_b64 off, v[7:8], off offset:96 ; 8-byte Folded Spill
	ds_load_b128 v[174:177], v4 offset:17920
	ds_load_b128 v[178:181], v4 offset:18176
	v_mov_b32_e32 v8, v6
	s_waitcnt lgkmcnt(1)
	v_add_f64 v[4:5], v[176:177], v[45:46]
	scratch_store_b64 off, v[4:5], off offset:72 ; 8-byte Folded Spill
	v_add_f64 v[4:5], v[174:175], v[43:44]
	scratch_store_b64 off, v[4:5], off offset:120 ; 8-byte Folded Spill
	s_waitcnt lgkmcnt(0)
	v_add_f64 v[4:5], v[180:181], v[45:46]
	scratch_store_b64 off, v[4:5], off offset:48 ; 8-byte Folded Spill
	v_add_f64 v[4:5], v[178:179], v[43:44]
	scratch_store_b64 off, v[4:5], off offset:104 ; 8-byte Folded Spill
	;; [unrolled: 2-line block ×17, first 2 shown]
	ds_load_b128 v[182:185], v65 offset:2048
	ds_load_b128 v[186:189], v65 offset:3072
	s_waitcnt lgkmcnt(1)
	v_add_f64 v[4:5], v[172:173], v[184:185]
	v_add_f64 v[75:76], v[2:3], v[184:185]
	v_add_f64 v[31:32], v[0:1], v[182:183]
	v_add_f64 v[83:84], v[156:157], v[184:185]
	v_add_f64 v[85:86], v[154:155], v[182:183]
	v_add_f64 v[91:92], v[160:161], v[184:185]
	v_add_f64 v[89:90], v[158:159], v[182:183]
	v_add_f64 v[95:96], v[164:165], v[184:185]
	v_add_f64 v[93:94], v[162:163], v[182:183]
	v_add_f64 v[103:104], v[168:169], v[184:185]
	v_add_f64 v[97:98], v[166:167], v[182:183]
	v_add_f64 v[101:102], v[170:171], v[182:183]
	v_add_f64 v[99:100], v[174:175], v[182:183]
	s_waitcnt lgkmcnt(0)
	v_add_f64 v[87:88], v[2:3], v[188:189]
	v_add_f64 v[150:151], v[0:1], v[186:187]
	;; [unrolled: 1-line block ×16, first 2 shown]
	scratch_store_b64 off, v[4:5], off offset:264 ; 8-byte Folded Spill
	v_add_f64 v[4:5], v[176:177], v[184:185]
	v_cvt_f32_f64_e32 v31, v[31:32]
	v_cvt_f32_f64_e32 v32, v[75:76]
	scratch_store_b64 off, v[4:5], off offset:256 ; 8-byte Folded Spill
	v_add_f64 v[4:5], v[180:181], v[184:185]
	v_min3_f32 v249, v31, v32, v249
	v_cvt_f32_f64_e32 v31, v[85:86]
	v_cvt_f32_f64_e32 v32, v[83:84]
	scratch_store_b64 off, v[4:5], off offset:248 ; 8-byte Folded Spill
	v_add_f64 v[4:5], v[178:179], v[182:183]
	v_min3_f32 v37, v31, v32, v37
	v_cvt_f32_f64_e32 v31, v[89:90]
	v_cvt_f32_f64_e32 v32, v[91:92]
	scratch_store_b64 off, v[4:5], off offset:272 ; 8-byte Folded Spill
	ds_load_b128 v[182:185], v65 offset:4096
	ds_load_b128 v[186:189], v65 offset:5120
	v_min3_f32 v42, v31, v32, v42
	v_cvt_f32_f64_e32 v31, v[93:94]
	v_cvt_f32_f64_e32 v32, v[95:96]
	s_waitcnt lgkmcnt(1)
	v_add_f64 v[218:219], v[2:3], v[184:185]
	s_waitcnt lgkmcnt(0)
	v_add_f64 v[254:255], v[156:157], v[188:189]
	v_add_f64 v[4:5], v[154:155], v[186:187]
	;; [unrolled: 1-line block ×31, first 2 shown]
	ds_load_b128 v[182:185], v65 offset:6144
	ds_load_b128 v[186:189], v65 offset:7168
	v_min3_f32 v41, v31, v32, v41
	v_cvt_f32_f64_e32 v31, v[97:98]
	v_cvt_f32_f64_e32 v32, v[103:104]
	;; [unrolled: 1-line block ×4, first 2 shown]
	s_waitcnt lgkmcnt(1)
	v_add_f64 v[67:68], v[0:1], v[182:183]
	v_add_f64 v[113:114], v[154:155], v[182:183]
	;; [unrolled: 1-line block ×8, first 2 shown]
	s_waitcnt lgkmcnt(0)
	v_add_f64 v[0:1], v[0:1], v[186:187]
	v_add_f64 v[154:155], v[154:155], v[186:187]
	;; [unrolled: 1-line block ×8, first 2 shown]
	v_mov_b32_e32 v186, v79
	v_cvt_f32_f64_e32 v79, v[29:30]
	scratch_load_b64 v[29:30], off, off offset:80 ; 8-byte Folded Reload
	v_add_f64 v[65:66], v[2:3], v[184:185]
	v_add_f64 v[111:112], v[156:157], v[184:185]
	;; [unrolled: 1-line block ×6, first 2 shown]
	v_min3_f32 v62, v31, v32, v62
	v_cvt_f32_f64_e32 v31, v[101:102]
	v_add_f64 v[2:3], v[2:3], v[188:189]
	v_min3_f32 v77, v4, v5, v77
	v_cvt_f32_f64_e32 v4, v[27:28]
	v_cvt_f32_f64_e32 v5, v[33:34]
	v_add_f64 v[156:157], v[156:157], v[188:189]
	v_add_f64 v[160:161], v[160:161], v[188:189]
	;; [unrolled: 1-line block ×9, first 2 shown]
	v_cvt_f32_f64_e32 v0, v[0:1]
	v_min3_f32 v142, v79, v63, v142
	v_mov_b32_e32 v79, v186
	v_cvt_f32_f64_e32 v1, v[2:3]
	scratch_load_b32 v2, off, off           ; 4-byte Folded Reload
	v_min3_f32 v246, v4, v5, v246
	v_cvt_f32_f64_e32 v4, v[13:14]
	scratch_load_b32 v13, off, off offset:20 ; 4-byte Folded Reload
	v_cvt_f32_f64_e32 v5, v[19:20]
	v_min3_f32 v121, v0, v1, v121
	v_cvt_f32_f64_e32 v0, v[154:155]
	v_cvt_f32_f64_e32 v1, v[156:157]
	s_waitcnt vmcnt(0)
	s_delay_alu instid0(VALU_DEP_4)
	v_min3_f32 v13, v4, v5, v13
	v_cvt_f32_f64_e32 v4, v[105:106]
	v_cvt_f32_f64_e32 v5, v[17:18]
	scratch_store_b32 off, v13, off offset:20 ; 4-byte Folded Spill
	scratch_load_b32 v13, off, off offset:16 ; 4-byte Folded Reload
	v_min3_f32 v243, v4, v5, v243
	v_cvt_f32_f64_e32 v4, v[107:108]
	v_cvt_f32_f64_e32 v5, v[192:193]
	s_waitcnt vmcnt(0)
	s_delay_alu instid0(VALU_DEP_1)
	v_min3_f32 v13, v4, v5, v13
	v_cvt_f32_f64_e32 v4, v[23:24]
	v_cvt_f32_f64_e32 v5, v[21:22]
	scratch_store_b32 off, v13, off offset:16 ; 4-byte Folded Spill
	scratch_load_b32 v13, off, off offset:12 ; 4-byte Folded Reload
	v_min3_f32 v130, v4, v5, v130
	v_cvt_f32_f64_e32 v4, v[109:110]
	v_cvt_f32_f64_e32 v5, v[25:26]
	s_delay_alu instid0(VALU_DEP_1) | instskip(SKIP_2) | instid1(VALU_DEP_1)
	v_min3_f32 v234, v4, v5, v234
	v_cvt_f32_f64_e32 v4, v[67:68]
	v_cvt_f32_f64_e32 v5, v[65:66]
	v_min3_f32 v138, v4, v5, v138
	v_cvt_f32_f64_e32 v4, v[113:114]
	v_cvt_f32_f64_e32 v5, v[111:112]
	s_waitcnt vmcnt(0)
	s_delay_alu instid0(VALU_DEP_1) | instskip(SKIP_2) | instid1(VALU_DEP_1)
	v_min3_f32 v13, v4, v5, v13
	v_cvt_f32_f64_e32 v4, v[128:129]
	v_cvt_f32_f64_e32 v5, v[115:116]
	v_min3_f32 v196, v4, v5, v196
	v_cvt_f32_f64_e32 v4, v[131:132]
	v_cvt_f32_f64_e32 v5, v[119:120]
	s_delay_alu instid0(VALU_DEP_1)
	v_min3_f32 v127, v4, v5, v127
	v_cvt_f32_f64_e32 v4, v[6:7]
	v_mov_b32_e32 v6, v8
	scratch_load_b32 v7, off, off offset:8  ; 4-byte Folded Reload
	v_cvt_f32_f64_e32 v63, v[29:30]
	scratch_load_b64 v[29:30], off, off offset:24 ; 8-byte Folded Reload
	v_cvt_f32_f64_e32 v5, v[9:10]
	v_min3_f32 v79, v0, v1, v79
	v_cvt_f32_f64_e32 v0, v[158:159]
	v_cvt_f32_f64_e32 v1, v[160:161]
	s_delay_alu instid0(VALU_DEP_4) | instskip(SKIP_2) | instid1(VALU_DEP_4)
	v_min3_f32 v125, v4, v5, v125
	v_cvt_f32_f64_e32 v4, v[134:135]
	v_cvt_f32_f64_e32 v5, v[11:12]
	v_min3_f32 v126, v0, v1, v126
	v_cvt_f32_f64_e32 v0, v[162:163]
	v_cvt_f32_f64_e32 v1, v[164:165]
	s_delay_alu instid0(VALU_DEP_1) | instskip(SKIP_2) | instid1(VALU_DEP_1)
	v_min3_f32 v118, v0, v1, v118
	v_cvt_f32_f64_e32 v0, v[166:167]
	v_cvt_f32_f64_e32 v1, v[168:169]
	v_min3_f32 v6, v0, v1, v6
	v_cvt_f32_f64_e32 v0, v[170:171]
	v_cvt_f32_f64_e32 v1, v[172:173]
	s_delay_alu instid0(VALU_DEP_1) | instskip(SKIP_2) | instid1(VALU_DEP_1)
	v_min3_f32 v248, v0, v1, v248
	v_cvt_f32_f64_e32 v0, v[174:175]
	v_cvt_f32_f64_e32 v1, v[176:177]
	v_min3_f32 v247, v0, v1, v247
	v_cvt_f32_f64_e32 v0, v[178:179]
	v_cvt_f32_f64_e32 v1, v[180:181]
	s_delay_alu instid0(VALU_DEP_1)
	v_min3_f32 v2, v0, v1, v2
	scratch_store_b32 off, v2, off          ; 4-byte Folded Spill
	s_waitcnt vmcnt(1)
	v_min3_f32 v7, v4, v5, v7
	v_cvt_f32_f64_e32 v4, v[136:137]
	v_cvt_f32_f64_e32 v5, v[81:82]
	scratch_store_b32 off, v7, off offset:8 ; 4-byte Folded Spill
	scratch_load_b32 v7, off, off offset:4  ; 4-byte Folded Reload
	s_waitcnt vmcnt(1)
	v_cvt_f32_f64_e32 v64, v[29:30]
	scratch_load_b64 v[29:30], off, off offset:112 ; 8-byte Folded Reload
	v_min3_f32 v123, v4, v5, v123
	v_cvt_f32_f64_e32 v4, v[182:183]
	v_cvt_f32_f64_e32 v5, v[184:185]
	v_min3_f32 v141, v63, v64, v141
	s_waitcnt vmcnt(1)
	s_delay_alu instid0(VALU_DEP_2)
	v_min3_f32 v7, v4, v5, v7
	scratch_store_b32 off, v13, off offset:12 ; 4-byte Folded Spill
	s_waitcnt vmcnt(0)
	v_cvt_f32_f64_e32 v63, v[29:30]
	scratch_load_b64 v[29:30], off, off offset:56 ; 8-byte Folded Reload
	scratch_store_b32 off, v7, off offset:4 ; 4-byte Folded Spill
	s_waitcnt vmcnt(0)
	v_cvt_f32_f64_e32 v64, v[29:30]
	scratch_load_b64 v[29:30], off, off offset:88 ; 8-byte Folded Reload
	v_min3_f32 v140, v63, v64, v140
	s_waitcnt vmcnt(0)
	v_cvt_f32_f64_e32 v63, v[29:30]
	scratch_load_b64 v[29:30], off, off offset:32 ; 8-byte Folded Reload
	s_waitcnt vmcnt(0)
	v_cvt_f32_f64_e32 v64, v[29:30]
	scratch_load_b64 v[29:30], off, off offset:64 ; 8-byte Folded Reload
	v_min3_f32 v226, v63, v64, v226
	s_waitcnt vmcnt(0)
	v_cvt_f32_f64_e32 v40, v[29:30]
	scratch_load_b64 v[29:30], off, off offset:96 ; 8-byte Folded Reload
	v_min3_f32 v242, v39, v40, v242
	s_waitcnt vmcnt(0)
	v_cvt_f32_f64_e32 v39, v[29:30]
	scratch_load_b64 v[29:30], off, off offset:40 ; 8-byte Folded Reload
	s_waitcnt vmcnt(0)
	v_cvt_f32_f64_e32 v40, v[29:30]
	scratch_load_b64 v[29:30], off, off offset:120 ; 8-byte Folded Reload
	v_min3_f32 v240, v39, v40, v240
	s_waitcnt vmcnt(0)
	v_cvt_f32_f64_e32 v39, v[29:30]
	scratch_load_b64 v[29:30], off, off offset:72 ; 8-byte Folded Reload
	;; [unrolled: 7-line block ×8, first 2 shown]
	s_waitcnt vmcnt(0)
	v_cvt_f32_f64_e32 v40, v[29:30]
	scratch_load_b64 v[29:30], off, off offset:208 ; 8-byte Folded Reload
	v_min3_f32 v139, v39, v40, v139
	scratch_load_b32 v40, off, off offset:284 ; 4-byte Folded Reload
	s_waitcnt vmcnt(1)
	v_cvt_f32_f64_e32 v36, v[29:30]
	scratch_load_b64 v[29:30], off, off offset:224 ; 8-byte Folded Reload
	v_min3_f32 v122, v35, v36, v122
	s_waitcnt vmcnt(0)
	v_cvt_f32_f64_e32 v35, v[29:30]
	scratch_load_b64 v[29:30], off, off offset:216 ; 8-byte Folded Reload
	s_waitcnt vmcnt(0)
	v_cvt_f32_f64_e32 v36, v[29:30]
	scratch_load_b64 v[29:30], off, off offset:240 ; 8-byte Folded Reload
	v_min3_f32 v80, v35, v36, v80
	s_waitcnt vmcnt(0)
	v_cvt_f32_f64_e32 v35, v[29:30]
	scratch_load_b64 v[29:30], off, off offset:232 ; 8-byte Folded Reload
	;; [unrolled: 7-line block ×3, first 2 shown]
	v_min3_f32 v51, v31, v32, v51
	v_cvt_f32_f64_e32 v31, v[99:100]
	s_waitcnt vmcnt(0)
	v_cvt_f32_f64_e32 v32, v[29:30]
	scratch_load_b64 v[29:30], off, off offset:272 ; 8-byte Folded Reload
	v_min3_f32 v144, v31, v32, v144
	s_waitcnt vmcnt(0)
	v_cvt_f32_f64_e32 v31, v[29:30]
	scratch_load_b64 v[29:30], off, off offset:248 ; 8-byte Folded Reload
	s_waitcnt vmcnt(0)
	v_cvt_f32_f64_e32 v32, v[29:30]
	v_cvt_f32_f64_e32 v29, v[73:74]
	;; [unrolled: 1-line block ×3, first 2 shown]
	s_delay_alu instid0(VALU_DEP_3) | instskip(SKIP_2) | instid1(VALU_DEP_1)
	v_min3_f32 v143, v31, v32, v143
	v_cvt_f32_f64_e32 v31, v[150:151]
	v_cvt_f32_f64_e32 v32, v[87:88]
	v_min3_f32 v149, v31, v32, v149
	v_cvt_f32_f64_e32 v31, v[190:191]
	v_cvt_f32_f64_e32 v32, v[152:153]
	s_delay_alu instid0(VALU_DEP_1) | instskip(SKIP_1) | instid1(VALU_DEP_1)
	v_min3_f32 v148, v31, v32, v148
	v_cvt_f32_f64_e32 v31, v[194:195]
	v_min3_f32 v146, v31, v29, v146
	v_cvt_f32_f64_e32 v29, v[200:201]
	s_delay_alu instid0(VALU_DEP_1) | instskip(SKIP_2) | instid1(VALU_DEP_1)
	v_min3_f32 v145, v29, v30, v145
	v_cvt_f32_f64_e32 v29, v[204:205]
	v_cvt_f32_f64_e32 v30, v[202:203]
	v_min3_f32 v72, v29, v30, v72
	v_cvt_f32_f64_e32 v29, v[208:209]
	v_cvt_f32_f64_e32 v30, v[206:207]
	s_delay_alu instid0(VALU_DEP_1) | instskip(SKIP_2) | instid1(VALU_DEP_1)
	v_min3_f32 v71, v29, v30, v71
	v_cvt_f32_f64_e32 v29, v[212:213]
	v_cvt_f32_f64_e32 v30, v[210:211]
	v_min3_f32 v70, v29, v30, v70
	v_cvt_f32_f64_e32 v29, v[216:217]
	;; [unrolled: 7-line block ×3, first 2 shown]
	v_cvt_f32_f64_e32 v30, v[222:223]
	s_delay_alu instid0(VALU_DEP_1) | instskip(SKIP_4) | instid1(VALU_DEP_3)
	v_min3_f32 v228, v29, v30, v228
	v_cvt_f32_f64_e32 v29, v[15:16]
	v_cvt_f32_f64_e32 v30, v[43:44]
	;; [unrolled: 1-line block ×4, first 2 shown]
	v_min3_f32 v229, v29, v30, v229
	v_cvt_f32_f64_e32 v29, v[232:233]
	v_cvt_f32_f64_e32 v30, v[45:46]
	s_delay_alu instid0(VALU_DEP_1) | instskip(SKIP_2) | instid1(VALU_DEP_1)
	v_min3_f32 v227, v29, v30, v227
	v_cvt_f32_f64_e32 v29, v[236:237]
	v_cvt_f32_f64_e32 v30, v[49:50]
	v_min3_f32 v239, v29, v30, v239
	v_cvt_f32_f64_e32 v29, v[47:48]
	s_delay_alu instid0(VALU_DEP_1) | instskip(SKIP_1) | instid1(VALU_DEP_1)
	v_min3_f32 v241, v29, v15, v241
	v_cvt_f32_f64_e32 v15, v[52:53]
	v_min3_f32 v133, v15, v16, v133
	v_cvt_f32_f64_e32 v15, v[54:55]
	v_cvt_f32_f64_e32 v16, v[60:61]
	s_delay_alu instid0(VALU_DEP_1) | instskip(SKIP_2) | instid1(VALU_DEP_1)
	v_min3_f32 v244, v15, v16, v244
	v_cvt_f32_f64_e32 v15, v[252:253]
	v_cvt_f32_f64_e32 v16, v[250:251]
	v_min3_f32 v231, v15, v16, v231
	s_cbranch_vccz .LBB175_15
; %bb.16:                               ;   in Loop: Header=BB175_12 Depth=1
	s_clause 0x1
	scratch_load_b32 v0, off, off offset:388
	scratch_load_b64 v[1:2], off, off offset:304
	s_add_i32 s14, s14, 8
	s_add_i32 s13, s13, 8
	s_cmp_ge_i32 s14, s12
	s_waitcnt vmcnt(0)
	ds_store_b64 v0, v[1:2]
	s_clause 0x2
	scratch_load_b32 v0, off, off offset:392
	scratch_load_b64 v[1:2], off, off offset:312
	scratch_load_b64 v[3:4], off, off offset:320
	s_waitcnt vmcnt(0)
	ds_store_2addr_stride64_b64 v0, v[1:2], v[3:4] offset1:4
	s_clause 0x1
	scratch_load_b64 v[1:2], off, off offset:328
	scratch_load_b64 v[3:4], off, off offset:336
	s_waitcnt vmcnt(0)
	ds_store_2addr_stride64_b64 v0, v[1:2], v[3:4] offset0:8 offset1:12
	s_waitcnt lgkmcnt(0)
	s_waitcnt_vscnt null, 0x0
	s_barrier
	buffer_gl0_inv
	s_cbranch_scc1 .LBB175_18
; %bb.17:                               ;   in Loop: Header=BB175_12 Depth=1
	scratch_load_b64 v[4:5], off, off offset:352 ; 8-byte Folded Reload
	s_branch .LBB175_12
.LBB175_18:
	v_dual_mov_b32 v102, v144 :: v_dual_mov_b32 v59, v145
	v_dual_mov_b32 v106, v149 :: v_dual_mov_b32 v111, v148
	;; [unrolled: 1-line block ×10, first 2 shown]
	s_mov_b32 s13, 0
	s_mov_b32 s12, -1
.LBB175_19:                             ; =>This Inner Loop Header: Depth=1
	s_lshl_b32 s13, s13, 3
	v_dual_mov_b32 v60, v62 :: v_dual_mov_b32 v233, v196
	v_lshl_add_u32 v4, v99, 5, s13
	v_lshl_add_u32 v5, v38, 5, s13
	v_dual_mov_b32 v37, v118 :: v_dual_mov_b32 v76, v121
	ds_load_b128 v[32:35], v4 offset:8192
	ds_load_b128 v[0:3], v5 offset:18432
	ds_load_b128 v[82:85], v5 offset:18688
	ds_load_b128 v[68:71], v4 offset:9216
	v_mov_b32_e32 v198, v130
	s_mov_b32 s13, 2
	s_and_not1_b32 vcc_lo, exec_lo, s12
	s_mov_b32 s12, 0
	s_waitcnt lgkmcnt(2)
	v_add_f64 v[64:65], v[0:1], v[32:33]
	s_waitcnt lgkmcnt(1)
	v_add_f64 v[7:8], v[84:85], v[34:35]
	v_add_f64 v[62:63], v[2:3], v[34:35]
	scratch_store_b64 off, v[7:8], off offset:24 ; 8-byte Folded Spill
	v_add_f64 v[7:8], v[82:83], v[32:33]
	v_cvt_f32_f64_e32 v62, v[62:63]
	scratch_store_b64 off, v[7:8], off offset:80 ; 8-byte Folded Spill
	ds_load_b128 v[72:75], v5 offset:18944
	ds_load_b128 v[143:146], v5 offset:19200
	s_waitcnt lgkmcnt(1)
	v_add_f64 v[7:8], v[74:75], v[34:35]
	scratch_store_b64 off, v[7:8], off offset:56 ; 8-byte Folded Spill
	v_add_f64 v[7:8], v[72:73], v[32:33]
	scratch_store_b64 off, v[7:8], off offset:112 ; 8-byte Folded Spill
	s_waitcnt lgkmcnt(0)
	v_add_f64 v[7:8], v[145:146], v[34:35]
	scratch_store_b64 off, v[7:8], off offset:32 ; 8-byte Folded Spill
	v_add_f64 v[7:8], v[143:144], v[32:33]
	scratch_store_b64 off, v[7:8], off offset:88 ; 8-byte Folded Spill
	ds_load_b128 v[147:150], v5 offset:19456
	ds_load_b128 v[151:154], v5 offset:19712
	s_waitcnt lgkmcnt(1)
	v_add_f64 v[7:8], v[149:150], v[34:35]
	scratch_store_b64 off, v[7:8], off offset:64 ; 8-byte Folded Spill
	v_add_f64 v[7:8], v[147:148], v[32:33]
	scratch_store_b64 off, v[7:8], off offset:120 ; 8-byte Folded Spill
	s_waitcnt lgkmcnt(0)
	v_add_f64 v[7:8], v[153:154], v[34:35]
	scratch_store_b64 off, v[7:8], off offset:40 ; 8-byte Folded Spill
	v_add_f64 v[7:8], v[151:152], v[32:33]
	;; [unrolled: 12-line block ×3, first 2 shown]
	v_add_f64 v[31:32], v[155:156], v[68:69]
	v_cvt_f32_f64_e32 v33, v[64:65]
	scratch_store_b64 off, v[7:8], off offset:104 ; 8-byte Folded Spill
	v_add_f64 v[7:8], v[2:3], v[70:71]
	v_min3_f32 v142, v33, v62, v142
	scratch_store_b64 off, v[7:8], off offset:136 ; 8-byte Folded Spill
	v_add_f64 v[7:8], v[0:1], v[68:69]
	scratch_store_b64 off, v[7:8], off offset:144 ; 8-byte Folded Spill
	v_add_f64 v[7:8], v[84:85], v[70:71]
	;; [unrolled: 2-line block ×14, first 2 shown]
	scratch_store_b64 off, v[7:8], off offset:248 ; 8-byte Folded Spill
	ds_load_b128 v[68:71], v4 offset:10240
	ds_load_b128 v[163:166], v4 offset:11264
	s_waitcnt lgkmcnt(1)
	v_add_f64 v[7:8], v[149:150], v[70:71]
	v_add_f64 v[66:67], v[2:3], v[70:71]
	;; [unrolled: 1-line block ×12, first 2 shown]
	s_waitcnt lgkmcnt(0)
	v_add_f64 v[114:115], v[2:3], v[165:166]
	v_add_f64 v[116:117], v[0:1], v[163:164]
	;; [unrolled: 1-line block ×16, first 2 shown]
	scratch_store_b64 off, v[7:8], off offset:296 ; 8-byte Folded Spill
	v_add_f64 v[7:8], v[153:154], v[70:71]
	scratch_store_b64 off, v[7:8], off offset:272 ; 8-byte Folded Spill
	v_add_f64 v[7:8], v[157:158], v[70:71]
	;; [unrolled: 2-line block ×4, first 2 shown]
	scratch_store_b64 off, v[7:8], off offset:288 ; 8-byte Folded Spill
	ds_load_b128 v[68:71], v4 offset:12288
	ds_load_b128 v[163:166], v4 offset:13312
	s_waitcnt lgkmcnt(1)
	v_add_f64 v[187:188], v[2:3], v[70:71]
	v_add_f64 v[189:190], v[0:1], v[68:69]
	;; [unrolled: 1-line block ×16, first 2 shown]
	s_waitcnt lgkmcnt(0)
	v_add_f64 v[219:220], v[2:3], v[165:166]
	v_add_f64 v[221:222], v[0:1], v[163:164]
	v_add_f64 v[223:224], v[84:85], v[165:166]
	v_add_f64 v[136:137], v[82:83], v[163:164]
	v_add_f64 v[227:228], v[74:75], v[165:166]
	v_add_f64 v[49:50], v[72:73], v[163:164]
	v_add_f64 v[231:232], v[145:146], v[165:166]
	v_add_f64 v[128:129], v[143:144], v[163:164]
	v_add_f64 v[47:48], v[149:150], v[165:166]
	v_add_f64 v[236:237], v[147:148], v[163:164]
	v_add_f64 v[44:45], v[153:154], v[165:166]
	v_add_f64 v[42:43], v[151:152], v[163:164]
	v_add_f64 v[40:41], v[157:158], v[165:166]
	v_add_f64 v[35:36], v[155:156], v[163:164]
	v_add_f64 v[38:39], v[161:162], v[165:166]
	v_add_f64 v[251:252], v[159:160], v[163:164]
	ds_load_b128 v[68:71], v4 offset:14336
	ds_load_b128 v[163:166], v4 offset:15360
	s_clause 0x1
	scratch_load_b64 v[33:34], off, off offset:80
	scratch_load_b64 v[62:63], off, off offset:24
	s_waitcnt lgkmcnt(1)
	v_add_f64 v[253:254], v[2:3], v[70:71]
	v_add_f64 v[4:5], v[0:1], v[68:69]
	s_waitcnt lgkmcnt(0)
	v_add_f64 v[2:3], v[2:3], v[165:166]
	v_add_f64 v[0:1], v[0:1], v[163:164]
	;; [unrolled: 1-line block ×30, first 2 shown]
	v_cvt_f32_f64_e32 v4, v[4:5]
	v_cvt_f32_f64_e32 v5, v[253:254]
	;; [unrolled: 1-line block ×4, first 2 shown]
	s_delay_alu instid0(VALU_DEP_3)
	v_min3_f32 v138, v4, v5, v138
	v_cvt_f32_f64_e32 v4, v[7:8]
	v_cvt_f32_f64_e32 v5, v[11:12]
	s_waitcnt vmcnt(1)
	v_cvt_f32_f64_e32 v33, v[33:34]
	s_waitcnt vmcnt(0)
	v_cvt_f32_f64_e32 v62, v[62:63]
	s_delay_alu instid0(VALU_DEP_1)
	v_min3_f32 v141, v33, v62, v141
	s_clause 0x1
	scratch_load_b64 v[33:34], off, off offset:112
	scratch_load_b64 v[62:63], off, off offset:56
	s_waitcnt vmcnt(1)
	v_cvt_f32_f64_e32 v33, v[33:34]
	s_waitcnt vmcnt(0)
	v_cvt_f32_f64_e32 v62, v[62:63]
	s_delay_alu instid0(VALU_DEP_1)
	v_min3_f32 v140, v33, v62, v140
	s_clause 0x1
	scratch_load_b64 v[33:34], off, off offset:88
	scratch_load_b64 v[62:63], off, off offset:32
	s_waitcnt vmcnt(1)
	v_cvt_f32_f64_e32 v33, v[33:34]
	s_waitcnt vmcnt(0)
	v_cvt_f32_f64_e32 v62, v[62:63]
	s_delay_alu instid0(VALU_DEP_1)
	v_min3_f32 v226, v33, v62, v226
	s_clause 0x1
	scratch_load_b64 v[33:34], off, off offset:120
	scratch_load_b64 v[62:63], off, off offset:64
	s_waitcnt vmcnt(1)
	v_cvt_f32_f64_e32 v33, v[33:34]
	s_waitcnt vmcnt(0)
	v_cvt_f32_f64_e32 v62, v[62:63]
	s_delay_alu instid0(VALU_DEP_1)
	v_min3_f32 v242, v33, v62, v242
	s_clause 0x1
	scratch_load_b64 v[33:34], off, off offset:96
	scratch_load_b64 v[62:63], off, off offset:40
	s_waitcnt vmcnt(1)
	v_cvt_f32_f64_e32 v33, v[33:34]
	s_waitcnt vmcnt(0)
	v_cvt_f32_f64_e32 v62, v[62:63]
	s_delay_alu instid0(VALU_DEP_1)
	v_min3_f32 v240, v33, v62, v240
	s_clause 0x1
	scratch_load_b64 v[33:34], off, off offset:128
	scratch_load_b64 v[62:63], off, off offset:72
	s_waitcnt vmcnt(1)
	v_cvt_f32_f64_e32 v33, v[33:34]
	s_waitcnt vmcnt(0)
	v_cvt_f32_f64_e32 v62, v[62:63]
	s_delay_alu instid0(VALU_DEP_1)
	v_min3_f32 v78, v33, v62, v78
	s_clause 0x1
	scratch_load_b64 v[33:34], off, off offset:104
	scratch_load_b64 v[62:63], off, off offset:48
	s_waitcnt vmcnt(1)
	v_cvt_f32_f64_e32 v33, v[33:34]
	s_waitcnt vmcnt(0)
	v_cvt_f32_f64_e32 v62, v[62:63]
	scratch_load_b64 v[63:64], off, off offset:136 ; 8-byte Folded Reload
	v_min3_f32 v245, v33, v62, v245
	scratch_load_b64 v[33:34], off, off offset:144 ; 8-byte Folded Reload
	v_mov_b32_e32 v62, v60
	s_waitcnt vmcnt(0)
	v_cvt_f32_f64_e32 v33, v[33:34]
	v_cvt_f32_f64_e32 v34, v[63:64]
	scratch_load_b64 v[63:64], off, off offset:152 ; 8-byte Folded Reload
	v_min3_f32 v230, v33, v34, v230
	scratch_load_b64 v[33:34], off, off offset:160 ; 8-byte Folded Reload
	s_waitcnt vmcnt(0)
	v_cvt_f32_f64_e32 v33, v[33:34]
	v_cvt_f32_f64_e32 v34, v[63:64]
	scratch_load_b64 v[63:64], off, off offset:168 ; 8-byte Folded Reload
	v_min3_f32 v124, v33, v34, v124
	scratch_load_b64 v[33:34], off, off offset:176 ; 8-byte Folded Reload
	;; [unrolled: 6-line block ×4, first 2 shown]
	s_waitcnt vmcnt(0)
	v_cvt_f32_f64_e32 v33, v[33:34]
	v_cvt_f32_f64_e32 v34, v[63:64]
	s_delay_alu instid0(VALU_DEP_1)
	v_min3_f32 v139, v33, v34, v139
	s_clause 0x3
	scratch_load_b64 v[33:34], off, off offset:232
	scratch_load_b32 v60, off, off offset:20
	scratch_load_b64 v[63:64], off, off offset:216
	scratch_load_b32 v46, off, off offset:8
	s_waitcnt vmcnt(3)
	v_cvt_f32_f64_e32 v33, v[33:34]
	s_waitcnt vmcnt(1)
	v_cvt_f32_f64_e32 v34, v[63:64]
	s_delay_alu instid0(VALU_DEP_1) | instskip(SKIP_4) | instid1(VALU_DEP_1)
	v_min3_f32 v122, v33, v34, v122
	v_cvt_f32_f64_e32 v33, v[31:32]
	scratch_load_b64 v[31:32], off, off offset:224 ; 8-byte Folded Reload
	s_waitcnt vmcnt(0)
	v_cvt_f32_f64_e32 v31, v[31:32]
	v_min3_f32 v80, v33, v31, v80
	scratch_load_b64 v[31:32], off, off offset:248 ; 8-byte Folded Reload
	s_waitcnt vmcnt(0)
	v_cvt_f32_f64_e32 v31, v[31:32]
	scratch_load_b64 v[32:33], off, off offset:240 ; 8-byte Folded Reload
	s_waitcnt vmcnt(0)
	v_cvt_f32_f64_e32 v32, v[32:33]
	s_delay_alu instid0(VALU_DEP_1) | instskip(SKIP_2) | instid1(VALU_DEP_1)
	v_min3_f32 v238, v31, v32, v238
	v_cvt_f32_f64_e32 v31, v[56:57]
	v_cvt_f32_f64_e32 v32, v[66:67]
	v_min3_f32 v249, v31, v32, v249
	v_cvt_f32_f64_e32 v31, v[88:89]
	v_cvt_f32_f64_e32 v32, v[86:87]
	s_delay_alu instid0(VALU_DEP_1) | instskip(SKIP_2) | instid1(VALU_DEP_1)
	v_min3_f32 v98, v31, v32, v98
	v_cvt_f32_f64_e32 v31, v[92:93]
	v_cvt_f32_f64_e32 v32, v[90:91]
	v_min3_f32 v113, v31, v32, v113
	v_cvt_f32_f64_e32 v31, v[96:97]
	v_cvt_f32_f64_e32 v32, v[94:95]
	s_delay_alu instid0(VALU_DEP_1) | instskip(SKIP_4) | instid1(VALU_DEP_1)
	v_min3_f32 v112, v31, v32, v112
	scratch_load_b64 v[32:33], off, off offset:296 ; 8-byte Folded Reload
	v_cvt_f32_f64_e32 v31, v[100:101]
	s_waitcnt vmcnt(0)
	v_cvt_f32_f64_e32 v32, v[32:33]
	v_min3_f32 v62, v31, v32, v62
	scratch_load_b64 v[32:33], off, off offset:272 ; 8-byte Folded Reload
	v_cvt_f32_f64_e32 v31, v[104:105]
	s_waitcnt vmcnt(0)
	v_cvt_f32_f64_e32 v32, v[32:33]
	s_delay_alu instid0(VALU_DEP_1) | instskip(SKIP_4) | instid1(VALU_DEP_1)
	v_min3_f32 v103, v31, v32, v103
	scratch_load_b64 v[32:33], off, off offset:264 ; 8-byte Folded Reload
	v_cvt_f32_f64_e32 v31, v[108:109]
	s_waitcnt vmcnt(0)
	v_cvt_f32_f64_e32 v32, v[32:33]
	v_min3_f32 v102, v31, v32, v102
	scratch_load_b64 v[31:32], off, off offset:288 ; 8-byte Folded Reload
	s_waitcnt vmcnt(0)
	v_cvt_f32_f64_e32 v31, v[31:32]
	scratch_load_b64 v[32:33], off, off offset:256 ; 8-byte Folded Reload
	s_waitcnt vmcnt(0)
	v_cvt_f32_f64_e32 v32, v[32:33]
	scratch_load_b32 v33, off, off offset:16 ; 4-byte Folded Reload
	v_min3_f32 v107, v31, v32, v107
	v_cvt_f32_f64_e32 v31, v[116:117]
	v_cvt_f32_f64_e32 v32, v[114:115]
	s_delay_alu instid0(VALU_DEP_1)
	v_min3_f32 v106, v31, v32, v106
	v_cvt_f32_f64_e32 v31, v[120:121]
	v_cvt_f32_f64_e32 v32, v[118:119]
	v_mov_b32_e32 v118, v37
	scratch_load_b32 v37, off, off offset:12 ; 4-byte Folded Reload
	v_mov_b32_e32 v121, v76
	scratch_load_b32 v34, off, off offset:4 ; 4-byte Folded Reload
	v_min3_f32 v121, v0, v1, v121
	v_cvt_f32_f64_e32 v0, v[82:83]
	v_cvt_f32_f64_e32 v1, v[84:85]
	v_min3_f32 v111, v31, v32, v111
	v_cvt_f32_f64_e32 v31, v[130:131]
	v_cvt_f32_f64_e32 v32, v[54:55]
	v_mov_b32_e32 v130, v198
	v_min3_f32 v79, v0, v1, v79
	v_cvt_f32_f64_e32 v0, v[72:73]
	v_cvt_f32_f64_e32 v1, v[74:75]
	v_min3_f32 v110, v31, v32, v110
	v_cvt_f32_f64_e32 v31, v[169:170]
	v_cvt_f32_f64_e32 v32, v[167:168]
	s_delay_alu instid0(VALU_DEP_4) | instskip(SKIP_2) | instid1(VALU_DEP_4)
	v_min3_f32 v126, v0, v1, v126
	v_cvt_f32_f64_e32 v0, v[143:144]
	v_cvt_f32_f64_e32 v1, v[145:146]
	v_min3_f32 v59, v31, v32, v59
	v_cvt_f32_f64_e32 v31, v[173:174]
	v_cvt_f32_f64_e32 v32, v[171:172]
	s_delay_alu instid0(VALU_DEP_4) | instskip(SKIP_2) | instid1(VALU_DEP_4)
	;; [unrolled: 7-line block ×5, first 2 shown]
	v_min3_f32 v247, v0, v1, v247
	v_cvt_f32_f64_e32 v0, v[159:160]
	v_cvt_f32_f64_e32 v1, v[161:162]
	v_min3_f32 v61, v31, v32, v61
	v_cvt_f32_f64_e32 v31, v[189:190]
	v_cvt_f32_f64_e32 v32, v[187:188]
	s_delay_alu instid0(VALU_DEP_1)
	v_min3_f32 v250, v31, v32, v250
	v_cvt_f32_f64_e32 v31, v[193:194]
	v_cvt_f32_f64_e32 v32, v[191:192]
	s_waitcnt vmcnt(1)
	v_min3_f32 v37, v4, v5, v37
	v_cvt_f32_f64_e32 v4, v[9:10]
	v_cvt_f32_f64_e32 v5, v[15:16]
	s_delay_alu instid0(VALU_DEP_4) | instskip(SKIP_3) | instid1(VALU_DEP_1)
	v_min3_f32 v244, v31, v32, v244
	v_cvt_f32_f64_e32 v31, v[52:53]
	v_cvt_f32_f64_e32 v32, v[195:196]
	v_mov_b32_e32 v196, v233
	v_min3_f32 v196, v4, v5, v196
	v_cvt_f32_f64_e32 v4, v[13:14]
	v_cvt_f32_f64_e32 v5, v[19:20]
	v_min3_f32 v229, v31, v32, v229
	v_cvt_f32_f64_e32 v31, v[201:202]
	v_cvt_f32_f64_e32 v32, v[199:200]
	s_delay_alu instid0(VALU_DEP_4) | instskip(SKIP_2) | instid1(VALU_DEP_4)
	v_min3_f32 v127, v4, v5, v127
	v_cvt_f32_f64_e32 v4, v[17:18]
	v_cvt_f32_f64_e32 v5, v[23:24]
	v_min3_f32 v225, v31, v32, v225
	v_cvt_f32_f64_e32 v31, v[205:206]
	v_cvt_f32_f64_e32 v32, v[203:204]
	s_delay_alu instid0(VALU_DEP_4) | instskip(SKIP_2) | instid1(VALU_DEP_4)
	;; [unrolled: 7-line block ×4, first 2 shown]
	v_min3_f32 v123, v4, v5, v123
	v_cvt_f32_f64_e32 v4, v[68:69]
	v_cvt_f32_f64_e32 v5, v[70:71]
	v_min3_f32 v133, v31, v32, v133
	v_cvt_f32_f64_e32 v31, v[217:218]
	v_cvt_f32_f64_e32 v32, v[215:216]
	s_waitcnt vmcnt(0)
	s_delay_alu instid0(VALU_DEP_4) | instskip(NEXT) | instid1(VALU_DEP_2)
	v_min3_f32 v34, v4, v5, v34
	v_min3_f32 v132, v31, v32, v132
	v_cvt_f32_f64_e32 v31, v[221:222]
	v_cvt_f32_f64_e32 v32, v[219:220]
	s_delay_alu instid0(VALU_DEP_1) | instskip(SKIP_2) | instid1(VALU_DEP_1)
	v_min3_f32 v51, v31, v32, v51
	v_cvt_f32_f64_e32 v31, v[136:137]
	v_cvt_f32_f64_e32 v32, v[223:224]
	v_min3_f32 v77, v31, v32, v77
	v_cvt_f32_f64_e32 v31, v[49:50]
	v_cvt_f32_f64_e32 v32, v[227:228]
	s_delay_alu instid0(VALU_DEP_1) | instskip(SKIP_2) | instid1(VALU_DEP_1)
	v_min3_f32 v246, v31, v32, v246
	v_cvt_f32_f64_e32 v31, v[128:129]
	v_cvt_f32_f64_e32 v32, v[231:232]
	;; [unrolled: 7-line block ×3, first 2 shown]
	v_min3_f32 v33, v31, v32, v33
	v_cvt_f32_f64_e32 v31, v[35:36]
	v_cvt_f32_f64_e32 v32, v[40:41]
	s_clause 0x1
	scratch_store_b32 off, v60, off offset:20
	scratch_store_b32 off, v33, off offset:16
	v_min3_f32 v130, v31, v32, v130
	v_cvt_f32_f64_e32 v32, v[38:39]
	s_clause 0x1
	scratch_load_b32 v38, off, off offset:280
	scratch_load_b32 v33, off, off
	v_cvt_f32_f64_e32 v31, v[251:252]
	s_delay_alu instid0(VALU_DEP_1)
	v_min3_f32 v234, v31, v32, v234
	s_waitcnt vmcnt(0)
	v_min3_f32 v33, v0, v1, v33
	s_clause 0x3
	scratch_store_b32 off, v37, off offset:12
	scratch_store_b32 off, v46, off offset:8
	;; [unrolled: 1-line block ×3, first 2 shown]
	scratch_store_b32 off, v33, off
	s_cbranch_vccz .LBB175_19
; %bb.20:
	s_clause 0x2
	s_load_b64 s[16:17], s[0:1], 0x78
	s_load_b32 s13, s[0:1], 0x70
	s_load_b32 s12, s[0:1], 0x58
	v_add_nc_u32_e32 v18, s8, v99
	v_add_nc_u32_e32 v12, s9, v38
	s_delay_alu instid0(VALU_DEP_1) | instskip(SKIP_1) | instid1(VALU_DEP_1)
	v_ashrrev_i32_e32 v13, 31, v12
	v_add_nc_u32_e32 v2, 8, v12
	v_ashrrev_i32_e32 v3, 31, v2
	s_waitcnt lgkmcnt(0)
	s_mul_i32 s0, s15, s17
	v_mad_i64_i32 v[0:1], null, v18, s13, 0
	v_mad_i64_i32 v[4:5], null, v18, s12, 0
	s_mul_hi_u32 s1, s15, s16
	s_mul_i32 s3, s3, s16
	s_add_i32 s1, s1, s0
	s_mul_i32 s0, s15, s16
	s_add_i32 s1, s1, s3
	s_delay_alu instid0(VALU_DEP_2)
	v_lshlrev_b64 v[7:8], 3, v[0:1]
	s_lshl_b64 s[0:1], s[0:1], 3
	v_lshlrev_b64 v[4:5], 3, v[4:5]
	s_add_u32 s3, s10, s0
	s_addc_u32 s8, s11, s1
	v_lshlrev_b64 v[0:1], 3, v[12:13]
	v_add_co_u32 v19, vcc_lo, s3, v7
	v_add_co_ci_u32_e32 v20, vcc_lo, s8, v8, vcc_lo
	v_add_co_u32 v16, vcc_lo, s4, v4
	v_add_co_ci_u32_e32 v17, vcc_lo, s5, v5, vcc_lo
	v_max_f32_e32 v4, v142, v142
	s_mov_b32 vcc_lo, s2
	s_cbranch_vccz .LBB175_22
; %bb.21:
	s_delay_alu instid0(VALU_DEP_1) | instskip(SKIP_2) | instid1(VALU_DEP_3)
	v_min_f32_e32 v5, 0, v4
	v_add_co_u32 v9, vcc_lo, v19, v0
	v_add_co_ci_u32_e32 v10, vcc_lo, v20, v1, vcc_lo
	v_cvt_f64_f32_e32 v[7:8], v5
	s_mov_b32 s9, 0
	s_mov_b64 s[0:1], 0
	global_store_b64 v[9:10], v[7:8], off
	s_branch .LBB175_23
.LBB175_22:
	s_mov_b32 s9, -1
                                        ; implicit-def: $sgpr0_sgpr1
.LBB175_23:
	v_lshlrev_b64 v[2:3], 3, v[2:3]
	v_dual_mov_b32 v31, v51 :: v_dual_mov_b32 v32, v132
	v_dual_mov_b32 v33, v225 :: v_dual_mov_b32 v34, v244
	;; [unrolled: 1-line block ×3, first 2 shown]
	s_and_not1_b32 vcc_lo, exec_lo, s9
	s_cbranch_vccnz .LBB175_25
; %bb.24:
	v_add_co_u32 v7, vcc_lo, v16, v0
	v_add_co_ci_u32_e32 v8, vcc_lo, v17, v1, vcc_lo
	flat_load_b64 v[7:8], v[7:8]
	s_waitcnt vmcnt(0) lgkmcnt(0)
	v_mul_f64 v[7:8], v[7:8], s[6:7]
	s_delay_alu instid0(VALU_DEP_1)
	v_cvt_f32_f64_e32 v5, v[7:8]
	v_add_co_u32 v7, vcc_lo, v19, v0
	v_add_co_ci_u32_e32 v8, vcc_lo, v20, v1, vcc_lo
	v_add_co_u32 v9, vcc_lo, v16, v2
	v_add_co_ci_u32_e32 v10, vcc_lo, v17, v3, vcc_lo
	v_min_f32_e32 v4, v5, v4
	s_delay_alu instid0(VALU_DEP_1)
	v_cvt_f64_f32_e32 v[4:5], v4
	global_store_b64 v[7:8], v[4:5], off
	flat_load_b64 v[4:5], v[9:10]
	s_waitcnt vmcnt(0) lgkmcnt(0)
	v_mul_f64 v[4:5], v[4:5], s[6:7]
	s_branch .LBB175_26
.LBB175_25:
	v_dual_mov_b32 v5, s1 :: v_dual_mov_b32 v4, s0
.LBB175_26:
	s_delay_alu instid0(VALU_DEP_1)
	v_cvt_f32_f64_e32 v4, v[4:5]
	v_max_f32_e32 v5, v141, v141
	v_add_co_u32 v21, vcc_lo, v19, v2
	v_add_co_ci_u32_e32 v22, vcc_lo, v20, v3, vcc_lo
	v_max_f32_e32 v8, v140, v140
	s_mov_b32 vcc_lo, s2
	v_add_nc_u32_e32 v9, 24, v12
	s_delay_alu instid0(VALU_DEP_1) | instskip(SKIP_1) | instid1(VALU_DEP_1)
	v_ashrrev_i32_e32 v10, 31, v9
	v_min_f32_e32 v4, v4, v5
	v_cvt_f64_f32_e32 v[13:14], v4
	v_add_nc_u32_e32 v4, 16, v12
	s_delay_alu instid0(VALU_DEP_1) | instskip(NEXT) | instid1(VALU_DEP_1)
	v_ashrrev_i32_e32 v5, 31, v4
	v_lshlrev_b64 v[4:5], 3, v[4:5]
	global_store_b64 v[21:22], v[13:14], off
	s_cbranch_vccz .LBB175_29
; %bb.27:
	v_min_f32_e32 v7, 0, v8
	v_add_co_u32 v21, vcc_lo, v19, v4
	v_add_co_ci_u32_e32 v22, vcc_lo, v20, v5, vcc_lo
	s_delay_alu instid0(VALU_DEP_3)
	v_cvt_f64_f32_e32 v[13:14], v7
	s_mov_b64 s[0:1], 0
	global_store_b64 v[21:22], v[13:14], off
	v_lshlrev_b64 v[23:24], 3, v[9:10]
	s_cbranch_execz .LBB175_30
; %bb.28:
	v_dual_mov_b32 v9, s1 :: v_dual_mov_b32 v8, s0
	s_branch .LBB175_31
.LBB175_29:
                                        ; implicit-def: $sgpr0_sgpr1
	v_lshlrev_b64 v[23:24], 3, v[9:10]
.LBB175_30:
	v_add_co_u32 v9, vcc_lo, v16, v4
	v_add_co_ci_u32_e32 v10, vcc_lo, v17, v5, vcc_lo
	flat_load_b64 v[9:10], v[9:10]
	s_waitcnt vmcnt(0) lgkmcnt(0)
	v_mul_f64 v[9:10], v[9:10], s[6:7]
	s_delay_alu instid0(VALU_DEP_1)
	v_cvt_f32_f64_e32 v7, v[9:10]
	v_add_co_u32 v9, vcc_lo, v19, v4
	v_add_co_ci_u32_e32 v10, vcc_lo, v20, v5, vcc_lo
	v_add_co_u32 v13, vcc_lo, v16, v23
	v_add_co_ci_u32_e32 v14, vcc_lo, v17, v24, vcc_lo
	v_min_f32_e32 v7, v7, v8
	s_delay_alu instid0(VALU_DEP_1)
	v_cvt_f64_f32_e32 v[7:8], v7
	global_store_b64 v[9:10], v[7:8], off
	flat_load_b64 v[7:8], v[13:14]
	s_waitcnt vmcnt(0) lgkmcnt(0)
	v_mul_f64 v[8:9], v[7:8], s[6:7]
.LBB175_31:
	s_delay_alu instid0(VALU_DEP_1) | instskip(SKIP_4) | instid1(VALU_DEP_3)
	v_cvt_f32_f64_e32 v7, v[8:9]
	v_max_f32_e32 v8, v226, v226
	v_dual_max_f32 v13, v242, v242 :: v_dual_add_nc_u32 v10, 40, v12
	v_add_co_u32 v21, vcc_lo, v19, v23
	v_add_co_ci_u32_e32 v22, vcc_lo, v20, v24, vcc_lo
	v_ashrrev_i32_e32 v11, 31, v10
	s_mov_b32 vcc_lo, s2
	v_min_f32_e32 v7, v7, v8
	s_delay_alu instid0(VALU_DEP_1) | instskip(SKIP_1) | instid1(VALU_DEP_1)
	v_cvt_f64_f32_e32 v[14:15], v7
	v_add_nc_u32_e32 v7, 32, v12
	v_ashrrev_i32_e32 v8, 31, v7
	s_delay_alu instid0(VALU_DEP_1)
	v_lshlrev_b64 v[8:9], 3, v[7:8]
	global_store_b64 v[21:22], v[14:15], off
	s_cbranch_vccz .LBB175_34
; %bb.32:
	v_min_f32_e32 v7, 0, v13
	v_add_co_u32 v21, vcc_lo, v19, v8
	v_add_co_ci_u32_e32 v22, vcc_lo, v20, v9, vcc_lo
	s_delay_alu instid0(VALU_DEP_3)
	v_cvt_f64_f32_e32 v[14:15], v7
	s_mov_b64 s[0:1], 0
	global_store_b64 v[21:22], v[14:15], off
	v_lshlrev_b64 v[10:11], 3, v[10:11]
	s_cbranch_execz .LBB175_35
; %bb.33:
	v_dual_mov_b32 v14, s1 :: v_dual_mov_b32 v13, s0
	s_branch .LBB175_36
.LBB175_34:
                                        ; implicit-def: $sgpr0_sgpr1
	v_lshlrev_b64 v[10:11], 3, v[10:11]
.LBB175_35:
	v_add_co_u32 v14, vcc_lo, v16, v8
	v_add_co_ci_u32_e32 v15, vcc_lo, v17, v9, vcc_lo
	v_add_co_u32 v21, vcc_lo, v19, v8
	v_add_co_ci_u32_e32 v22, vcc_lo, v20, v9, vcc_lo
	flat_load_b64 v[14:15], v[14:15]
	v_add_co_u32 v25, vcc_lo, v16, v10
	v_add_co_ci_u32_e32 v26, vcc_lo, v17, v11, vcc_lo
	s_waitcnt vmcnt(0) lgkmcnt(0)
	v_mul_f64 v[14:15], v[14:15], s[6:7]
	s_delay_alu instid0(VALU_DEP_1) | instskip(NEXT) | instid1(VALU_DEP_1)
	v_cvt_f32_f64_e32 v7, v[14:15]
	v_min_f32_e32 v7, v7, v13
	s_delay_alu instid0(VALU_DEP_1)
	v_cvt_f64_f32_e32 v[13:14], v7
	global_store_b64 v[21:22], v[13:14], off
	flat_load_b64 v[13:14], v[25:26]
	s_waitcnt vmcnt(0) lgkmcnt(0)
	v_mul_f64 v[13:14], v[13:14], s[6:7]
.LBB175_36:
	s_delay_alu instid0(VALU_DEP_1) | instskip(SKIP_4) | instid1(VALU_DEP_3)
	v_cvt_f32_f64_e32 v7, v[13:14]
	v_max_f32_e32 v13, v240, v240
	v_add_nc_u32_e32 v27, 48, v12
	v_add_co_u32 v29, vcc_lo, v19, v10
	v_add_co_ci_u32_e32 v30, vcc_lo, v20, v11, vcc_lo
	v_ashrrev_i32_e32 v28, 31, v27
	v_max_f32_e32 v21, v78, v78
	s_mov_b32 vcc_lo, s2
	v_add_nc_u32_e32 v14, 56, v12
	s_delay_alu instid0(VALU_DEP_1) | instskip(SKIP_2) | instid1(VALU_DEP_2)
	v_ashrrev_i32_e32 v15, 31, v14
	v_min_f32_e32 v7, v7, v13
	v_lshlrev_b64 v[12:13], 3, v[27:28]
	v_cvt_f64_f32_e32 v[25:26], v7
	global_store_b64 v[29:30], v[25:26], off
	s_cbranch_vccz .LBB175_39
; %bb.37:
	v_min_f32_e32 v7, 0, v21
	v_add_co_u32 v27, vcc_lo, v19, v12
	v_add_co_ci_u32_e32 v28, vcc_lo, v20, v13, vcc_lo
	s_delay_alu instid0(VALU_DEP_3)
	v_cvt_f64_f32_e32 v[25:26], v7
	s_mov_b64 s[0:1], 0
	global_store_b64 v[27:28], v[25:26], off
	v_lshlrev_b64 v[14:15], 3, v[14:15]
	s_cbranch_execz .LBB175_40
; %bb.38:
	v_dual_mov_b32 v17, s1 :: v_dual_mov_b32 v16, s0
	s_branch .LBB175_41
.LBB175_39:
                                        ; implicit-def: $sgpr0_sgpr1
	v_lshlrev_b64 v[14:15], 3, v[14:15]
.LBB175_40:
	v_add_co_u32 v25, vcc_lo, v16, v12
	v_add_co_ci_u32_e32 v26, vcc_lo, v17, v13, vcc_lo
	flat_load_b64 v[25:26], v[25:26]
	s_waitcnt vmcnt(0) lgkmcnt(0)
	v_mul_f64 v[25:26], v[25:26], s[6:7]
	s_delay_alu instid0(VALU_DEP_1)
	v_cvt_f32_f64_e32 v7, v[25:26]
	v_add_co_u32 v25, vcc_lo, v19, v12
	v_add_co_ci_u32_e32 v26, vcc_lo, v20, v13, vcc_lo
	v_add_co_u32 v16, vcc_lo, v16, v14
	v_add_co_ci_u32_e32 v17, vcc_lo, v17, v15, vcc_lo
	v_min_f32_e32 v7, v7, v21
	s_delay_alu instid0(VALU_DEP_1)
	v_cvt_f64_f32_e32 v[21:22], v7
	global_store_b64 v[25:26], v[21:22], off
	flat_load_b64 v[16:17], v[16:17]
	s_waitcnt vmcnt(0) lgkmcnt(0)
	v_mul_f64 v[16:17], v[16:17], s[6:7]
.LBB175_41:
	s_delay_alu instid0(VALU_DEP_1) | instskip(SKIP_3) | instid1(VALU_DEP_3)
	v_cvt_f32_f64_e32 v7, v[16:17]
	v_max_f32_e32 v16, v245, v245
	v_add_co_u32 v29, vcc_lo, v19, v14
	v_add_co_ci_u32_e32 v30, vcc_lo, v20, v15, vcc_lo
	v_min_f32_e32 v7, v7, v16
	s_delay_alu instid0(VALU_DEP_1) | instskip(SKIP_1) | instid1(VALU_DEP_1)
	v_cvt_f64_f32_e32 v[25:26], v7
	v_add_nc_u32_e32 v7, 32, v18
	v_mad_i64_i32 v[16:17], null, v7, s13, 0
	v_mad_i64_i32 v[21:22], null, v7, s12, 0
	s_delay_alu instid0(VALU_DEP_2) | instskip(SKIP_1) | instid1(VALU_DEP_3)
	v_lshlrev_b64 v[27:28], 3, v[16:17]
	v_max_f32_e32 v16, v230, v230
	v_lshlrev_b64 v[21:22], 3, v[21:22]
	s_delay_alu instid0(VALU_DEP_3) | instskip(NEXT) | instid1(VALU_DEP_4)
	v_add_co_u32 v19, vcc_lo, s3, v27
	v_add_co_ci_u32_e32 v20, vcc_lo, s8, v28, vcc_lo
	s_delay_alu instid0(VALU_DEP_3) | instskip(NEXT) | instid1(VALU_DEP_4)
	v_add_co_u32 v21, vcc_lo, s4, v21
	v_add_co_ci_u32_e32 v7, vcc_lo, s5, v22, vcc_lo
	s_mov_b32 vcc_lo, s2
	global_store_b64 v[29:30], v[25:26], off
	s_cbranch_vccz .LBB175_44
; %bb.42:
	v_min_f32_e32 v17, 0, v16
	v_add_co_u32 v27, vcc_lo, v19, v0
	v_add_co_ci_u32_e32 v28, vcc_lo, v20, v1, vcc_lo
	s_delay_alu instid0(VALU_DEP_3)
	v_cvt_f64_f32_e32 v[25:26], v17
	s_mov_b64 s[0:1], 0
	global_store_b64 v[27:28], v[25:26], off
	s_cbranch_execz .LBB175_45
; %bb.43:
	v_dual_mov_b32 v17, s1 :: v_dual_mov_b32 v16, s0
	s_branch .LBB175_46
.LBB175_44:
                                        ; implicit-def: $sgpr0_sgpr1
.LBB175_45:
	v_add_co_u32 v25, vcc_lo, v21, v0
	v_add_co_ci_u32_e32 v26, vcc_lo, v7, v1, vcc_lo
	flat_load_b64 v[25:26], v[25:26]
	s_waitcnt vmcnt(0) lgkmcnt(0)
	v_mul_f64 v[25:26], v[25:26], s[6:7]
	s_delay_alu instid0(VALU_DEP_1)
	v_cvt_f32_f64_e32 v17, v[25:26]
	v_add_co_u32 v25, vcc_lo, v19, v0
	v_add_co_ci_u32_e32 v26, vcc_lo, v20, v1, vcc_lo
	v_add_co_u32 v27, vcc_lo, v21, v2
	v_add_co_ci_u32_e32 v28, vcc_lo, v7, v3, vcc_lo
	v_min_f32_e32 v16, v17, v16
	s_delay_alu instid0(VALU_DEP_1)
	v_cvt_f64_f32_e32 v[16:17], v16
	global_store_b64 v[25:26], v[16:17], off
	flat_load_b64 v[16:17], v[27:28]
	s_waitcnt vmcnt(0) lgkmcnt(0)
	v_mul_f64 v[16:17], v[16:17], s[6:7]
.LBB175_46:
	s_delay_alu instid0(VALU_DEP_1) | instskip(SKIP_4) | instid1(VALU_DEP_3)
	v_cvt_f32_f64_e32 v16, v[16:17]
	v_max_f32_e32 v17, v124, v124
	v_add_co_u32 v27, vcc_lo, v19, v2
	v_add_co_ci_u32_e32 v28, vcc_lo, v20, v3, vcc_lo
	s_mov_b32 vcc_lo, s2
	v_min_f32_e32 v16, v16, v17
	s_delay_alu instid0(VALU_DEP_1)
	v_cvt_f64_f32_e32 v[25:26], v16
	v_max_f32_e32 v16, v235, v235
	global_store_b64 v[27:28], v[25:26], off
	s_cbranch_vccz .LBB175_49
; %bb.47:
	v_min_f32_e32 v17, 0, v16
	v_add_co_u32 v27, vcc_lo, v19, v4
	v_add_co_ci_u32_e32 v28, vcc_lo, v20, v5, vcc_lo
	s_delay_alu instid0(VALU_DEP_3)
	v_cvt_f64_f32_e32 v[25:26], v17
	s_mov_b64 s[0:1], 0
	global_store_b64 v[27:28], v[25:26], off
	s_cbranch_execz .LBB175_50
; %bb.48:
	v_dual_mov_b32 v17, s1 :: v_dual_mov_b32 v16, s0
	s_branch .LBB175_51
.LBB175_49:
                                        ; implicit-def: $sgpr0_sgpr1
.LBB175_50:
	v_add_co_u32 v25, vcc_lo, v21, v4
	v_add_co_ci_u32_e32 v26, vcc_lo, v7, v5, vcc_lo
	flat_load_b64 v[25:26], v[25:26]
	s_waitcnt vmcnt(0) lgkmcnt(0)
	v_mul_f64 v[25:26], v[25:26], s[6:7]
	s_delay_alu instid0(VALU_DEP_1)
	v_cvt_f32_f64_e32 v17, v[25:26]
	v_add_co_u32 v25, vcc_lo, v19, v4
	v_add_co_ci_u32_e32 v26, vcc_lo, v20, v5, vcc_lo
	v_add_co_u32 v27, vcc_lo, v21, v23
	v_add_co_ci_u32_e32 v28, vcc_lo, v7, v24, vcc_lo
	v_min_f32_e32 v16, v17, v16
	s_delay_alu instid0(VALU_DEP_1)
	v_cvt_f64_f32_e32 v[16:17], v16
	global_store_b64 v[25:26], v[16:17], off
	flat_load_b64 v[16:17], v[27:28]
	s_waitcnt vmcnt(0) lgkmcnt(0)
	v_mul_f64 v[16:17], v[16:17], s[6:7]
.LBB175_51:
	s_delay_alu instid0(VALU_DEP_1) | instskip(SKIP_4) | instid1(VALU_DEP_3)
	v_cvt_f32_f64_e32 v16, v[16:17]
	v_max_f32_e32 v17, v197, v197
	v_add_co_u32 v27, vcc_lo, v19, v23
	v_add_co_ci_u32_e32 v28, vcc_lo, v20, v24, vcc_lo
	s_mov_b32 vcc_lo, s2
	v_min_f32_e32 v16, v16, v17
	s_delay_alu instid0(VALU_DEP_1)
	v_cvt_f64_f32_e32 v[25:26], v16
	v_max_f32_e32 v16, v139, v139
	;; [unrolled: 46-line block ×3, first 2 shown]
	global_store_b64 v[27:28], v[25:26], off
	s_cbranch_vccz .LBB175_59
; %bb.57:
	v_min_f32_e32 v17, 0, v16
	v_add_co_u32 v27, vcc_lo, v19, v12
	v_add_co_ci_u32_e32 v28, vcc_lo, v20, v13, vcc_lo
	s_delay_alu instid0(VALU_DEP_3)
	v_cvt_f64_f32_e32 v[25:26], v17
	s_mov_b64 s[0:1], 0
	global_store_b64 v[27:28], v[25:26], off
	s_cbranch_execz .LBB175_60
; %bb.58:
	v_dual_mov_b32 v17, s1 :: v_dual_mov_b32 v16, s0
	s_branch .LBB175_61
.LBB175_59:
                                        ; implicit-def: $sgpr0_sgpr1
.LBB175_60:
	v_add_co_u32 v25, vcc_lo, v21, v12
	v_add_co_ci_u32_e32 v26, vcc_lo, v7, v13, vcc_lo
	flat_load_b64 v[25:26], v[25:26]
	s_waitcnt vmcnt(0) lgkmcnt(0)
	v_mul_f64 v[25:26], v[25:26], s[6:7]
	s_delay_alu instid0(VALU_DEP_1)
	v_cvt_f32_f64_e32 v17, v[25:26]
	v_add_co_u32 v25, vcc_lo, v19, v12
	v_add_co_ci_u32_e32 v26, vcc_lo, v20, v13, vcc_lo
	v_add_co_u32 v21, vcc_lo, v21, v14
	v_add_co_ci_u32_e32 v22, vcc_lo, v7, v15, vcc_lo
	v_min_f32_e32 v16, v17, v16
	s_delay_alu instid0(VALU_DEP_1)
	v_cvt_f64_f32_e32 v[16:17], v16
	global_store_b64 v[25:26], v[16:17], off
	flat_load_b64 v[16:17], v[21:22]
	s_waitcnt vmcnt(0) lgkmcnt(0)
	v_mul_f64 v[16:17], v[16:17], s[6:7]
.LBB175_61:
	s_delay_alu instid0(VALU_DEP_1) | instskip(SKIP_3) | instid1(VALU_DEP_3)
	v_cvt_f32_f64_e32 v7, v[16:17]
	v_max_f32_e32 v16, v238, v238
	v_add_co_u32 v29, vcc_lo, v19, v14
	v_add_co_ci_u32_e32 v30, vcc_lo, v20, v15, vcc_lo
	v_min_f32_e32 v7, v7, v16
	s_delay_alu instid0(VALU_DEP_1) | instskip(SKIP_1) | instid1(VALU_DEP_1)
	v_cvt_f64_f32_e32 v[25:26], v7
	v_add_nc_u32_e32 v7, 64, v18
	v_mad_i64_i32 v[16:17], null, v7, s13, 0
	v_mad_i64_i32 v[21:22], null, v7, s12, 0
	s_delay_alu instid0(VALU_DEP_2) | instskip(SKIP_1) | instid1(VALU_DEP_3)
	v_lshlrev_b64 v[27:28], 3, v[16:17]
	v_max_f32_e32 v16, v249, v249
	v_lshlrev_b64 v[21:22], 3, v[21:22]
	s_delay_alu instid0(VALU_DEP_3) | instskip(NEXT) | instid1(VALU_DEP_4)
	v_add_co_u32 v19, vcc_lo, s3, v27
	v_add_co_ci_u32_e32 v20, vcc_lo, s8, v28, vcc_lo
	s_delay_alu instid0(VALU_DEP_3) | instskip(NEXT) | instid1(VALU_DEP_4)
	v_add_co_u32 v21, vcc_lo, s4, v21
	v_add_co_ci_u32_e32 v7, vcc_lo, s5, v22, vcc_lo
	s_mov_b32 vcc_lo, s2
	global_store_b64 v[29:30], v[25:26], off
	s_cbranch_vccz .LBB175_64
; %bb.62:
	v_min_f32_e32 v17, 0, v16
	v_add_co_u32 v27, vcc_lo, v19, v0
	v_add_co_ci_u32_e32 v28, vcc_lo, v20, v1, vcc_lo
	s_delay_alu instid0(VALU_DEP_3)
	v_cvt_f64_f32_e32 v[25:26], v17
	s_mov_b64 s[0:1], 0
	global_store_b64 v[27:28], v[25:26], off
	v_mov_b32_e32 v29, v6
	s_cbranch_execz .LBB175_65
; %bb.63:
	v_dual_mov_b32 v17, s1 :: v_dual_mov_b32 v16, s0
	s_branch .LBB175_66
.LBB175_64:
                                        ; implicit-def: $sgpr0_sgpr1
	v_mov_b32_e32 v29, v6
.LBB175_65:
	v_add_co_u32 v25, vcc_lo, v21, v0
	v_add_co_ci_u32_e32 v26, vcc_lo, v7, v1, vcc_lo
	flat_load_b64 v[25:26], v[25:26]
	s_waitcnt vmcnt(0) lgkmcnt(0)
	v_mul_f64 v[25:26], v[25:26], s[6:7]
	s_delay_alu instid0(VALU_DEP_1)
	v_cvt_f32_f64_e32 v17, v[25:26]
	v_add_co_u32 v25, vcc_lo, v19, v0
	v_add_co_ci_u32_e32 v26, vcc_lo, v20, v1, vcc_lo
	v_add_co_u32 v27, vcc_lo, v21, v2
	v_add_co_ci_u32_e32 v28, vcc_lo, v7, v3, vcc_lo
	v_min_f32_e32 v16, v17, v16
	s_delay_alu instid0(VALU_DEP_1)
	v_cvt_f64_f32_e32 v[16:17], v16
	global_store_b64 v[25:26], v[16:17], off
	flat_load_b64 v[16:17], v[27:28]
	s_waitcnt vmcnt(0) lgkmcnt(0)
	v_mul_f64 v[16:17], v[16:17], s[6:7]
.LBB175_66:
	s_delay_alu instid0(VALU_DEP_1) | instskip(SKIP_4) | instid1(VALU_DEP_3)
	v_cvt_f32_f64_e32 v16, v[16:17]
	v_max_f32_e32 v6, v98, v98
	v_add_co_u32 v27, vcc_lo, v19, v2
	v_add_co_ci_u32_e32 v28, vcc_lo, v20, v3, vcc_lo
	s_mov_b32 vcc_lo, s2
	v_min_f32_e32 v6, v16, v6
	v_max_f32_e32 v16, v113, v113
	s_delay_alu instid0(VALU_DEP_2)
	v_cvt_f64_f32_e32 v[25:26], v6
	global_store_b64 v[27:28], v[25:26], off
	s_cbranch_vccz .LBB175_69
; %bb.67:
	v_min_f32_e32 v6, 0, v16
	v_add_co_u32 v27, vcc_lo, v19, v4
	v_add_co_ci_u32_e32 v28, vcc_lo, v20, v5, vcc_lo
	s_delay_alu instid0(VALU_DEP_3)
	v_cvt_f64_f32_e32 v[25:26], v6
	s_mov_b64 s[0:1], 0
	global_store_b64 v[27:28], v[25:26], off
	s_cbranch_execz .LBB175_70
; %bb.68:
	v_dual_mov_b32 v17, s1 :: v_dual_mov_b32 v16, s0
	s_branch .LBB175_71
.LBB175_69:
                                        ; implicit-def: $sgpr0_sgpr1
.LBB175_70:
	v_add_co_u32 v25, vcc_lo, v21, v4
	v_add_co_ci_u32_e32 v26, vcc_lo, v7, v5, vcc_lo
	flat_load_b64 v[25:26], v[25:26]
	s_waitcnt vmcnt(0) lgkmcnt(0)
	v_mul_f64 v[25:26], v[25:26], s[6:7]
	s_delay_alu instid0(VALU_DEP_1)
	v_cvt_f32_f64_e32 v6, v[25:26]
	v_add_co_u32 v25, vcc_lo, v19, v4
	v_add_co_ci_u32_e32 v26, vcc_lo, v20, v5, vcc_lo
	v_add_co_u32 v27, vcc_lo, v21, v23
	v_add_co_ci_u32_e32 v28, vcc_lo, v7, v24, vcc_lo
	v_min_f32_e32 v6, v6, v16
	s_delay_alu instid0(VALU_DEP_1)
	v_cvt_f64_f32_e32 v[16:17], v6
	global_store_b64 v[25:26], v[16:17], off
	flat_load_b64 v[16:17], v[27:28]
	s_waitcnt vmcnt(0) lgkmcnt(0)
	v_mul_f64 v[16:17], v[16:17], s[6:7]
.LBB175_71:
	s_delay_alu instid0(VALU_DEP_1) | instskip(SKIP_4) | instid1(VALU_DEP_3)
	v_cvt_f32_f64_e32 v6, v[16:17]
	v_max_f32_e32 v16, v112, v112
	v_add_co_u32 v27, vcc_lo, v19, v23
	v_add_co_ci_u32_e32 v28, vcc_lo, v20, v24, vcc_lo
	s_mov_b32 vcc_lo, s2
	v_min_f32_e32 v6, v6, v16
	v_max_f32_e32 v16, v62, v62
	s_delay_alu instid0(VALU_DEP_2)
	v_cvt_f64_f32_e32 v[25:26], v6
	global_store_b64 v[27:28], v[25:26], off
	s_cbranch_vccz .LBB175_74
; %bb.72:
	v_min_f32_e32 v6, 0, v16
	v_add_co_u32 v27, vcc_lo, v19, v8
	v_add_co_ci_u32_e32 v28, vcc_lo, v20, v9, vcc_lo
	s_delay_alu instid0(VALU_DEP_3)
	v_cvt_f64_f32_e32 v[25:26], v6
	s_mov_b64 s[0:1], 0
	global_store_b64 v[27:28], v[25:26], off
	s_cbranch_execz .LBB175_75
; %bb.73:
	v_dual_mov_b32 v17, s1 :: v_dual_mov_b32 v16, s0
	s_branch .LBB175_76
.LBB175_74:
                                        ; implicit-def: $sgpr0_sgpr1
.LBB175_75:
	v_add_co_u32 v25, vcc_lo, v21, v8
	v_add_co_ci_u32_e32 v26, vcc_lo, v7, v9, vcc_lo
	flat_load_b64 v[25:26], v[25:26]
	s_waitcnt vmcnt(0) lgkmcnt(0)
	v_mul_f64 v[25:26], v[25:26], s[6:7]
	s_delay_alu instid0(VALU_DEP_1)
	v_cvt_f32_f64_e32 v6, v[25:26]
	v_add_co_u32 v25, vcc_lo, v19, v8
	v_add_co_ci_u32_e32 v26, vcc_lo, v20, v9, vcc_lo
	v_add_co_u32 v27, vcc_lo, v21, v10
	v_add_co_ci_u32_e32 v28, vcc_lo, v7, v11, vcc_lo
	v_min_f32_e32 v6, v6, v16
	s_delay_alu instid0(VALU_DEP_1)
	v_cvt_f64_f32_e32 v[16:17], v6
	global_store_b64 v[25:26], v[16:17], off
	flat_load_b64 v[16:17], v[27:28]
	s_waitcnt vmcnt(0) lgkmcnt(0)
	v_mul_f64 v[16:17], v[16:17], s[6:7]
.LBB175_76:
	s_delay_alu instid0(VALU_DEP_1) | instskip(SKIP_4) | instid1(VALU_DEP_3)
	v_cvt_f32_f64_e32 v6, v[16:17]
	v_max_f32_e32 v16, v103, v103
	v_add_co_u32 v27, vcc_lo, v19, v10
	v_add_co_ci_u32_e32 v28, vcc_lo, v20, v11, vcc_lo
	s_mov_b32 vcc_lo, s2
	v_min_f32_e32 v6, v6, v16
	v_max_f32_e32 v16, v102, v102
	s_delay_alu instid0(VALU_DEP_2)
	v_cvt_f64_f32_e32 v[25:26], v6
	global_store_b64 v[27:28], v[25:26], off
	s_cbranch_vccz .LBB175_79
; %bb.77:
	v_min_f32_e32 v6, 0, v16
	v_add_co_u32 v27, vcc_lo, v19, v12
	v_add_co_ci_u32_e32 v28, vcc_lo, v20, v13, vcc_lo
	s_delay_alu instid0(VALU_DEP_3)
	v_cvt_f64_f32_e32 v[25:26], v6
	s_mov_b64 s[0:1], 0
	global_store_b64 v[27:28], v[25:26], off
	s_cbranch_execz .LBB175_80
; %bb.78:
	v_dual_mov_b32 v17, s1 :: v_dual_mov_b32 v16, s0
	s_branch .LBB175_81
.LBB175_79:
                                        ; implicit-def: $sgpr0_sgpr1
.LBB175_80:
	v_add_co_u32 v25, vcc_lo, v21, v12
	v_add_co_ci_u32_e32 v26, vcc_lo, v7, v13, vcc_lo
	flat_load_b64 v[25:26], v[25:26]
	s_waitcnt vmcnt(0) lgkmcnt(0)
	v_mul_f64 v[25:26], v[25:26], s[6:7]
	s_delay_alu instid0(VALU_DEP_1) | instskip(SKIP_2) | instid1(VALU_DEP_3)
	v_cvt_f32_f64_e32 v6, v[25:26]
	v_add_co_u32 v25, vcc_lo, v19, v12
	v_add_co_ci_u32_e32 v26, vcc_lo, v20, v13, vcc_lo
	v_min_f32_e32 v6, v6, v16
	s_delay_alu instid0(VALU_DEP_1)
	v_cvt_f64_f32_e32 v[16:17], v6
	v_add_co_u32 v6, vcc_lo, v21, v14
	v_add_co_ci_u32_e32 v7, vcc_lo, v7, v15, vcc_lo
	global_store_b64 v[25:26], v[16:17], off
	flat_load_b64 v[6:7], v[6:7]
	s_waitcnt vmcnt(0) lgkmcnt(0)
	v_mul_f64 v[16:17], v[6:7], s[6:7]
.LBB175_81:
	s_delay_alu instid0(VALU_DEP_1) | instskip(SKIP_3) | instid1(VALU_DEP_3)
	v_cvt_f32_f64_e32 v6, v[16:17]
	v_dual_max_f32 v7, v107, v107 :: v_dual_add_nc_u32 v16, 0x60, v18
	v_add_co_u32 v27, vcc_lo, v19, v14
	v_add_co_ci_u32_e32 v28, vcc_lo, v20, v15, vcc_lo
	v_mad_i64_i32 v[21:22], null, v16, s12, 0
	s_delay_alu instid0(VALU_DEP_1) | instskip(SKIP_1) | instid1(VALU_DEP_1)
	v_lshlrev_b64 v[21:22], 3, v[21:22]
	v_min_f32_e32 v6, v6, v7
	v_cvt_f64_f32_e32 v[25:26], v6
	v_mad_i64_i32 v[6:7], null, v16, s13, 0
	v_max_f32_e32 v16, v106, v106
	s_delay_alu instid0(VALU_DEP_2) | instskip(NEXT) | instid1(VALU_DEP_1)
	v_lshlrev_b64 v[6:7], 3, v[6:7]
	v_add_co_u32 v19, vcc_lo, s3, v6
	s_delay_alu instid0(VALU_DEP_2)
	v_add_co_ci_u32_e32 v20, vcc_lo, s8, v7, vcc_lo
	v_add_co_u32 v21, vcc_lo, s4, v21
	v_add_co_ci_u32_e32 v7, vcc_lo, s5, v22, vcc_lo
	s_mov_b32 vcc_lo, s2
	global_store_b64 v[27:28], v[25:26], off
	s_cbranch_vccz .LBB175_84
; %bb.82:
	v_min_f32_e32 v6, 0, v16
	v_add_co_u32 v27, vcc_lo, v19, v0
	v_add_co_ci_u32_e32 v28, vcc_lo, v20, v1, vcc_lo
	s_delay_alu instid0(VALU_DEP_3)
	v_cvt_f64_f32_e32 v[25:26], v6
	s_mov_b64 s[0:1], 0
	global_store_b64 v[27:28], v[25:26], off
	s_cbranch_execz .LBB175_85
; %bb.83:
	v_dual_mov_b32 v17, s1 :: v_dual_mov_b32 v16, s0
	s_branch .LBB175_86
.LBB175_84:
                                        ; implicit-def: $sgpr0_sgpr1
.LBB175_85:
	v_add_co_u32 v25, vcc_lo, v21, v0
	v_add_co_ci_u32_e32 v26, vcc_lo, v7, v1, vcc_lo
	flat_load_b64 v[25:26], v[25:26]
	s_waitcnt vmcnt(0) lgkmcnt(0)
	v_mul_f64 v[25:26], v[25:26], s[6:7]
	s_delay_alu instid0(VALU_DEP_1)
	v_cvt_f32_f64_e32 v6, v[25:26]
	v_add_co_u32 v25, vcc_lo, v19, v0
	v_add_co_ci_u32_e32 v26, vcc_lo, v20, v1, vcc_lo
	v_add_co_u32 v27, vcc_lo, v21, v2
	v_add_co_ci_u32_e32 v28, vcc_lo, v7, v3, vcc_lo
	v_min_f32_e32 v6, v6, v16
	s_delay_alu instid0(VALU_DEP_1)
	v_cvt_f64_f32_e32 v[16:17], v6
	global_store_b64 v[25:26], v[16:17], off
	flat_load_b64 v[16:17], v[27:28]
	s_waitcnt vmcnt(0) lgkmcnt(0)
	v_mul_f64 v[16:17], v[16:17], s[6:7]
.LBB175_86:
	s_delay_alu instid0(VALU_DEP_1) | instskip(SKIP_4) | instid1(VALU_DEP_3)
	v_cvt_f32_f64_e32 v6, v[16:17]
	v_max_f32_e32 v16, v111, v111
	v_add_co_u32 v27, vcc_lo, v19, v2
	v_add_co_ci_u32_e32 v28, vcc_lo, v20, v3, vcc_lo
	s_mov_b32 vcc_lo, s2
	v_min_f32_e32 v6, v6, v16
	v_max_f32_e32 v16, v110, v110
	s_delay_alu instid0(VALU_DEP_2)
	v_cvt_f64_f32_e32 v[25:26], v6
	global_store_b64 v[27:28], v[25:26], off
	s_cbranch_vccz .LBB175_89
; %bb.87:
	v_min_f32_e32 v6, 0, v16
	v_add_co_u32 v27, vcc_lo, v19, v4
	v_add_co_ci_u32_e32 v28, vcc_lo, v20, v5, vcc_lo
	s_delay_alu instid0(VALU_DEP_3)
	v_cvt_f64_f32_e32 v[25:26], v6
	s_mov_b64 s[0:1], 0
	global_store_b64 v[27:28], v[25:26], off
	s_cbranch_execz .LBB175_90
; %bb.88:
	v_dual_mov_b32 v17, s1 :: v_dual_mov_b32 v16, s0
	s_branch .LBB175_91
.LBB175_89:
                                        ; implicit-def: $sgpr0_sgpr1
.LBB175_90:
	v_add_co_u32 v25, vcc_lo, v21, v4
	v_add_co_ci_u32_e32 v26, vcc_lo, v7, v5, vcc_lo
	flat_load_b64 v[25:26], v[25:26]
	s_waitcnt vmcnt(0) lgkmcnt(0)
	v_mul_f64 v[25:26], v[25:26], s[6:7]
	s_delay_alu instid0(VALU_DEP_1)
	v_cvt_f32_f64_e32 v6, v[25:26]
	v_add_co_u32 v25, vcc_lo, v19, v4
	v_add_co_ci_u32_e32 v26, vcc_lo, v20, v5, vcc_lo
	v_add_co_u32 v27, vcc_lo, v21, v23
	v_add_co_ci_u32_e32 v28, vcc_lo, v7, v24, vcc_lo
	v_min_f32_e32 v6, v6, v16
	s_delay_alu instid0(VALU_DEP_1)
	v_cvt_f64_f32_e32 v[16:17], v6
	global_store_b64 v[25:26], v[16:17], off
	flat_load_b64 v[16:17], v[27:28]
	s_waitcnt vmcnt(0) lgkmcnt(0)
	v_mul_f64 v[16:17], v[16:17], s[6:7]
.LBB175_91:
	s_delay_alu instid0(VALU_DEP_1) | instskip(SKIP_4) | instid1(VALU_DEP_3)
	v_cvt_f32_f64_e32 v6, v[16:17]
	v_max_f32_e32 v16, v59, v59
	v_add_co_u32 v27, vcc_lo, v19, v23
	v_add_co_ci_u32_e32 v28, vcc_lo, v20, v24, vcc_lo
	s_mov_b32 vcc_lo, s2
	v_min_f32_e32 v6, v6, v16
	v_max_f32_e32 v16, v58, v58
	s_delay_alu instid0(VALU_DEP_2)
	v_cvt_f64_f32_e32 v[25:26], v6
	;; [unrolled: 46-line block ×3, first 2 shown]
	global_store_b64 v[27:28], v[25:26], off
	s_cbranch_vccz .LBB175_99
; %bb.97:
	v_min_f32_e32 v6, 0, v16
	v_add_co_u32 v27, vcc_lo, v19, v12
	v_add_co_ci_u32_e32 v28, vcc_lo, v20, v13, vcc_lo
	s_delay_alu instid0(VALU_DEP_3)
	v_cvt_f64_f32_e32 v[25:26], v6
	s_mov_b64 s[0:1], 0
	global_store_b64 v[27:28], v[25:26], off
	s_cbranch_execz .LBB175_100
; %bb.98:
	v_dual_mov_b32 v17, s1 :: v_dual_mov_b32 v16, s0
	s_branch .LBB175_101
.LBB175_99:
                                        ; implicit-def: $sgpr0_sgpr1
.LBB175_100:
	v_add_co_u32 v25, vcc_lo, v21, v12
	v_add_co_ci_u32_e32 v26, vcc_lo, v7, v13, vcc_lo
	flat_load_b64 v[25:26], v[25:26]
	s_waitcnt vmcnt(0) lgkmcnt(0)
	v_mul_f64 v[25:26], v[25:26], s[6:7]
	s_delay_alu instid0(VALU_DEP_1) | instskip(SKIP_2) | instid1(VALU_DEP_3)
	v_cvt_f32_f64_e32 v6, v[25:26]
	v_add_co_u32 v25, vcc_lo, v19, v12
	v_add_co_ci_u32_e32 v26, vcc_lo, v20, v13, vcc_lo
	v_min_f32_e32 v6, v6, v16
	s_delay_alu instid0(VALU_DEP_1)
	v_cvt_f64_f32_e32 v[16:17], v6
	v_add_co_u32 v6, vcc_lo, v21, v14
	v_add_co_ci_u32_e32 v7, vcc_lo, v7, v15, vcc_lo
	global_store_b64 v[25:26], v[16:17], off
	flat_load_b64 v[6:7], v[6:7]
	s_waitcnt vmcnt(0) lgkmcnt(0)
	v_mul_f64 v[16:17], v[6:7], s[6:7]
.LBB175_101:
	s_delay_alu instid0(VALU_DEP_1) | instskip(SKIP_4) | instid1(VALU_DEP_4)
	v_cvt_f32_f64_e32 v6, v[16:17]
	v_add_nc_u32_e32 v25, 0x80, v18
	v_max_f32_e32 v7, v61, v61
	v_add_co_u32 v27, vcc_lo, v19, v14
	v_add_co_ci_u32_e32 v28, vcc_lo, v20, v15, vcc_lo
	v_mad_i64_i32 v[16:17], null, v25, s13, 0
	v_mad_i64_i32 v[21:22], null, v25, s12, 0
	s_delay_alu instid0(VALU_DEP_2) | instskip(SKIP_1) | instid1(VALU_DEP_3)
	v_lshlrev_b64 v[25:26], 3, v[16:17]
	v_max_f32_e32 v16, v35, v35
	v_lshlrev_b64 v[21:22], 3, v[21:22]
	s_delay_alu instid0(VALU_DEP_3) | instskip(NEXT) | instid1(VALU_DEP_4)
	v_add_co_u32 v19, vcc_lo, s3, v25
	v_add_co_ci_u32_e32 v20, vcc_lo, s8, v26, vcc_lo
	s_delay_alu instid0(VALU_DEP_3) | instskip(NEXT) | instid1(VALU_DEP_4)
	v_add_co_u32 v21, vcc_lo, s4, v21
	v_add_co_ci_u32_e32 v22, vcc_lo, s5, v22, vcc_lo
	s_mov_b32 vcc_lo, s2
	v_min_f32_e32 v6, v6, v7
	s_delay_alu instid0(VALU_DEP_1)
	v_cvt_f64_f32_e32 v[6:7], v6
	global_store_b64 v[27:28], v[6:7], off
	s_cbranch_vccz .LBB175_104
; %bb.102:
	v_min_f32_e32 v6, 0, v16
	v_add_co_u32 v25, vcc_lo, v19, v0
	v_add_co_ci_u32_e32 v26, vcc_lo, v20, v1, vcc_lo
	s_delay_alu instid0(VALU_DEP_3)
	v_cvt_f64_f32_e32 v[6:7], v6
	s_mov_b64 s[0:1], 0
	global_store_b64 v[25:26], v[6:7], off
	s_cbranch_execz .LBB175_105
; %bb.103:
	v_dual_mov_b32 v17, s1 :: v_dual_mov_b32 v16, s0
	s_branch .LBB175_106
.LBB175_104:
                                        ; implicit-def: $sgpr0_sgpr1
.LBB175_105:
	v_add_co_u32 v6, vcc_lo, v21, v0
	v_add_co_ci_u32_e32 v7, vcc_lo, v22, v1, vcc_lo
	flat_load_b64 v[6:7], v[6:7]
	s_waitcnt vmcnt(0) lgkmcnt(0)
	v_mul_f64 v[6:7], v[6:7], s[6:7]
	s_delay_alu instid0(VALU_DEP_1) | instskip(NEXT) | instid1(VALU_DEP_1)
	v_cvt_f32_f64_e32 v6, v[6:7]
	v_min_f32_e32 v6, v6, v16
	v_add_co_u32 v16, vcc_lo, v19, v0
	v_add_co_ci_u32_e32 v17, vcc_lo, v20, v1, vcc_lo
	s_delay_alu instid0(VALU_DEP_3)
	v_cvt_f64_f32_e32 v[6:7], v6
	v_add_co_u32 v25, vcc_lo, v21, v2
	v_add_co_ci_u32_e32 v26, vcc_lo, v22, v3, vcc_lo
	global_store_b64 v[16:17], v[6:7], off
	flat_load_b64 v[6:7], v[25:26]
	s_waitcnt vmcnt(0) lgkmcnt(0)
	v_mul_f64 v[16:17], v[6:7], s[6:7]
.LBB175_106:
	s_delay_alu instid0(VALU_DEP_1) | instskip(SKIP_4) | instid1(VALU_DEP_3)
	v_cvt_f32_f64_e32 v6, v[16:17]
	v_dual_max_f32 v7, v34, v34 :: v_dual_max_f32 v16, v229, v229
	v_add_co_u32 v25, vcc_lo, v19, v2
	v_add_co_ci_u32_e32 v26, vcc_lo, v20, v3, vcc_lo
	s_mov_b32 vcc_lo, s2
	v_min_f32_e32 v6, v6, v7
	s_delay_alu instid0(VALU_DEP_1)
	v_cvt_f64_f32_e32 v[6:7], v6
	global_store_b64 v[25:26], v[6:7], off
	s_cbranch_vccz .LBB175_109
; %bb.107:
	v_min_f32_e32 v6, 0, v16
	v_add_co_u32 v25, vcc_lo, v19, v4
	v_add_co_ci_u32_e32 v26, vcc_lo, v20, v5, vcc_lo
	s_delay_alu instid0(VALU_DEP_3)
	v_cvt_f64_f32_e32 v[6:7], v6
	s_mov_b64 s[0:1], 0
	global_store_b64 v[25:26], v[6:7], off
	s_cbranch_execz .LBB175_110
; %bb.108:
	v_dual_mov_b32 v17, s1 :: v_dual_mov_b32 v16, s0
	s_branch .LBB175_111
.LBB175_109:
                                        ; implicit-def: $sgpr0_sgpr1
.LBB175_110:
	v_add_co_u32 v6, vcc_lo, v21, v4
	v_add_co_ci_u32_e32 v7, vcc_lo, v22, v5, vcc_lo
	flat_load_b64 v[6:7], v[6:7]
	s_waitcnt vmcnt(0) lgkmcnt(0)
	v_mul_f64 v[6:7], v[6:7], s[6:7]
	s_delay_alu instid0(VALU_DEP_1) | instskip(NEXT) | instid1(VALU_DEP_1)
	v_cvt_f32_f64_e32 v6, v[6:7]
	v_min_f32_e32 v6, v6, v16
	v_add_co_u32 v16, vcc_lo, v19, v4
	v_add_co_ci_u32_e32 v17, vcc_lo, v20, v5, vcc_lo
	s_delay_alu instid0(VALU_DEP_3)
	v_cvt_f64_f32_e32 v[6:7], v6
	v_add_co_u32 v25, vcc_lo, v21, v23
	v_add_co_ci_u32_e32 v26, vcc_lo, v22, v24, vcc_lo
	global_store_b64 v[16:17], v[6:7], off
	flat_load_b64 v[6:7], v[25:26]
	s_waitcnt vmcnt(0) lgkmcnt(0)
	v_mul_f64 v[16:17], v[6:7], s[6:7]
.LBB175_111:
	s_delay_alu instid0(VALU_DEP_1) | instskip(SKIP_4) | instid1(VALU_DEP_3)
	v_cvt_f32_f64_e32 v6, v[16:17]
	v_dual_max_f32 v7, v33, v33 :: v_dual_max_f32 v16, v239, v239
	v_add_co_u32 v25, vcc_lo, v19, v23
	v_add_co_ci_u32_e32 v26, vcc_lo, v20, v24, vcc_lo
	s_mov_b32 vcc_lo, s2
	v_min_f32_e32 v6, v6, v7
	s_delay_alu instid0(VALU_DEP_1)
	v_cvt_f64_f32_e32 v[6:7], v6
	global_store_b64 v[25:26], v[6:7], off
	s_cbranch_vccz .LBB175_114
; %bb.112:
	v_min_f32_e32 v6, 0, v16
	v_add_co_u32 v25, vcc_lo, v19, v8
	v_add_co_ci_u32_e32 v26, vcc_lo, v20, v9, vcc_lo
	s_delay_alu instid0(VALU_DEP_3)
	v_cvt_f64_f32_e32 v[6:7], v6
	s_mov_b64 s[0:1], 0
	global_store_b64 v[25:26], v[6:7], off
	s_cbranch_execz .LBB175_115
; %bb.113:
	v_dual_mov_b32 v17, s1 :: v_dual_mov_b32 v16, s0
	s_branch .LBB175_116
.LBB175_114:
                                        ; implicit-def: $sgpr0_sgpr1
.LBB175_115:
	v_add_co_u32 v6, vcc_lo, v21, v8
	v_add_co_ci_u32_e32 v7, vcc_lo, v22, v9, vcc_lo
	flat_load_b64 v[6:7], v[6:7]
	s_waitcnt vmcnt(0) lgkmcnt(0)
	v_mul_f64 v[6:7], v[6:7], s[6:7]
	s_delay_alu instid0(VALU_DEP_1) | instskip(NEXT) | instid1(VALU_DEP_1)
	v_cvt_f32_f64_e32 v6, v[6:7]
	v_min_f32_e32 v6, v6, v16
	v_add_co_u32 v16, vcc_lo, v19, v8
	v_add_co_ci_u32_e32 v17, vcc_lo, v20, v9, vcc_lo
	s_delay_alu instid0(VALU_DEP_3)
	v_cvt_f64_f32_e32 v[6:7], v6
	v_add_co_u32 v25, vcc_lo, v21, v10
	v_add_co_ci_u32_e32 v26, vcc_lo, v22, v11, vcc_lo
	global_store_b64 v[16:17], v[6:7], off
	flat_load_b64 v[6:7], v[25:26]
	s_waitcnt vmcnt(0) lgkmcnt(0)
	v_mul_f64 v[16:17], v[6:7], s[6:7]
.LBB175_116:
	s_delay_alu instid0(VALU_DEP_1)
	v_cvt_f32_f64_e32 v6, v[16:17]
	v_max_f32_e32 v7, v241, v241
	v_add_co_u32 v25, vcc_lo, v19, v10
	v_add_co_ci_u32_e32 v26, vcc_lo, v20, v11, vcc_lo
	v_max_f32_e32 v16, v133, v133
	s_mov_b32 vcc_lo, s2
	v_min_f32_e32 v6, v6, v7
	s_delay_alu instid0(VALU_DEP_1)
	v_cvt_f64_f32_e32 v[6:7], v6
	global_store_b64 v[25:26], v[6:7], off
	s_cbranch_vccz .LBB175_119
; %bb.117:
	v_min_f32_e32 v6, 0, v16
	v_add_co_u32 v25, vcc_lo, v19, v12
	v_add_co_ci_u32_e32 v26, vcc_lo, v20, v13, vcc_lo
	s_delay_alu instid0(VALU_DEP_3)
	v_cvt_f64_f32_e32 v[6:7], v6
	s_mov_b64 s[0:1], 0
	global_store_b64 v[25:26], v[6:7], off
	s_cbranch_execz .LBB175_120
; %bb.118:
	v_dual_mov_b32 v17, s1 :: v_dual_mov_b32 v16, s0
	s_branch .LBB175_121
.LBB175_119:
                                        ; implicit-def: $sgpr0_sgpr1
.LBB175_120:
	v_add_co_u32 v6, vcc_lo, v21, v12
	v_add_co_ci_u32_e32 v7, vcc_lo, v22, v13, vcc_lo
	flat_load_b64 v[6:7], v[6:7]
	s_waitcnt vmcnt(0) lgkmcnt(0)
	v_mul_f64 v[6:7], v[6:7], s[6:7]
	s_delay_alu instid0(VALU_DEP_1) | instskip(NEXT) | instid1(VALU_DEP_1)
	v_cvt_f32_f64_e32 v6, v[6:7]
	v_min_f32_e32 v6, v6, v16
	v_add_co_u32 v16, vcc_lo, v19, v12
	v_add_co_ci_u32_e32 v17, vcc_lo, v20, v13, vcc_lo
	s_delay_alu instid0(VALU_DEP_3)
	v_cvt_f64_f32_e32 v[6:7], v6
	v_add_co_u32 v21, vcc_lo, v21, v14
	v_add_co_ci_u32_e32 v22, vcc_lo, v22, v15, vcc_lo
	global_store_b64 v[16:17], v[6:7], off
	flat_load_b64 v[6:7], v[21:22]
	s_waitcnt vmcnt(0) lgkmcnt(0)
	v_mul_f64 v[16:17], v[6:7], s[6:7]
.LBB175_121:
	s_delay_alu instid0(VALU_DEP_1) | instskip(SKIP_4) | instid1(VALU_DEP_4)
	v_cvt_f32_f64_e32 v6, v[16:17]
	v_add_nc_u32_e32 v25, 0xa0, v18
	v_max_f32_e32 v7, v32, v32
	v_add_co_u32 v27, vcc_lo, v19, v14
	v_add_co_ci_u32_e32 v28, vcc_lo, v20, v15, vcc_lo
	v_mad_i64_i32 v[16:17], null, v25, s13, 0
	v_mad_i64_i32 v[21:22], null, v25, s12, 0
	s_delay_alu instid0(VALU_DEP_2) | instskip(SKIP_1) | instid1(VALU_DEP_3)
	v_lshlrev_b64 v[25:26], 3, v[16:17]
	v_max_f32_e32 v16, v31, v31
	v_lshlrev_b64 v[21:22], 3, v[21:22]
	s_delay_alu instid0(VALU_DEP_3) | instskip(NEXT) | instid1(VALU_DEP_4)
	v_add_co_u32 v19, vcc_lo, s3, v25
	v_add_co_ci_u32_e32 v20, vcc_lo, s8, v26, vcc_lo
	s_delay_alu instid0(VALU_DEP_3) | instskip(NEXT) | instid1(VALU_DEP_4)
	v_add_co_u32 v21, vcc_lo, s4, v21
	v_add_co_ci_u32_e32 v22, vcc_lo, s5, v22, vcc_lo
	s_mov_b32 vcc_lo, s2
	v_min_f32_e32 v6, v6, v7
	s_delay_alu instid0(VALU_DEP_1)
	v_cvt_f64_f32_e32 v[6:7], v6
	global_store_b64 v[27:28], v[6:7], off
	s_cbranch_vccz .LBB175_124
; %bb.122:
	v_min_f32_e32 v6, 0, v16
	v_add_co_u32 v25, vcc_lo, v19, v0
	v_add_co_ci_u32_e32 v26, vcc_lo, v20, v1, vcc_lo
	s_delay_alu instid0(VALU_DEP_3)
	v_cvt_f64_f32_e32 v[6:7], v6
	s_mov_b64 s[0:1], 0
	global_store_b64 v[25:26], v[6:7], off
	s_cbranch_execz .LBB175_125
; %bb.123:
	v_dual_mov_b32 v17, s1 :: v_dual_mov_b32 v16, s0
	s_branch .LBB175_126
.LBB175_124:
                                        ; implicit-def: $sgpr0_sgpr1
.LBB175_125:
	v_add_co_u32 v6, vcc_lo, v21, v0
	v_add_co_ci_u32_e32 v7, vcc_lo, v22, v1, vcc_lo
	flat_load_b64 v[6:7], v[6:7]
	s_waitcnt vmcnt(0) lgkmcnt(0)
	v_mul_f64 v[6:7], v[6:7], s[6:7]
	s_delay_alu instid0(VALU_DEP_1) | instskip(NEXT) | instid1(VALU_DEP_1)
	v_cvt_f32_f64_e32 v6, v[6:7]
	v_min_f32_e32 v6, v6, v16
	v_add_co_u32 v16, vcc_lo, v19, v0
	v_add_co_ci_u32_e32 v17, vcc_lo, v20, v1, vcc_lo
	s_delay_alu instid0(VALU_DEP_3)
	v_cvt_f64_f32_e32 v[6:7], v6
	v_add_co_u32 v25, vcc_lo, v21, v2
	v_add_co_ci_u32_e32 v26, vcc_lo, v22, v3, vcc_lo
	global_store_b64 v[16:17], v[6:7], off
	flat_load_b64 v[6:7], v[25:26]
	s_waitcnt vmcnt(0) lgkmcnt(0)
	v_mul_f64 v[16:17], v[6:7], s[6:7]
.LBB175_126:
	s_delay_alu instid0(VALU_DEP_1) | instskip(SKIP_4) | instid1(VALU_DEP_3)
	v_cvt_f32_f64_e32 v6, v[16:17]
	v_dual_max_f32 v7, v77, v77 :: v_dual_max_f32 v16, v246, v246
	v_add_co_u32 v25, vcc_lo, v19, v2
	v_add_co_ci_u32_e32 v26, vcc_lo, v20, v3, vcc_lo
	s_mov_b32 vcc_lo, s2
	v_min_f32_e32 v6, v6, v7
	s_delay_alu instid0(VALU_DEP_1)
	v_cvt_f64_f32_e32 v[6:7], v6
	global_store_b64 v[25:26], v[6:7], off
	s_cbranch_vccz .LBB175_129
; %bb.127:
	v_min_f32_e32 v6, 0, v16
	v_add_co_u32 v25, vcc_lo, v19, v4
	v_add_co_ci_u32_e32 v26, vcc_lo, v20, v5, vcc_lo
	s_delay_alu instid0(VALU_DEP_3)
	v_cvt_f64_f32_e32 v[6:7], v6
	s_mov_b32 s0, 0
	global_store_b64 v[25:26], v[6:7], off
	s_cbranch_execz .LBB175_130
; %bb.128:
	v_mov_b32_e32 v16, s0
	s_branch .LBB175_131
.LBB175_129:
	s_mov_b32 s0, -1
.LBB175_130:
	v_add_co_u32 v6, vcc_lo, v21, v4
	v_add_co_ci_u32_e32 v7, vcc_lo, v22, v5, vcc_lo
	flat_load_b64 v[6:7], v[6:7]
	s_waitcnt vmcnt(0) lgkmcnt(0)
	v_mul_f64 v[6:7], v[6:7], s[6:7]
	s_delay_alu instid0(VALU_DEP_1) | instskip(NEXT) | instid1(VALU_DEP_1)
	v_cvt_f32_f64_e32 v6, v[6:7]
	v_min_f32_e32 v6, v6, v16
	v_add_co_u32 v16, vcc_lo, v19, v4
	v_add_co_ci_u32_e32 v17, vcc_lo, v20, v5, vcc_lo
	s_delay_alu instid0(VALU_DEP_3)
	v_cvt_f64_f32_e32 v[6:7], v6
	v_add_co_u32 v25, vcc_lo, v21, v23
	v_add_co_ci_u32_e32 v26, vcc_lo, v22, v24, vcc_lo
	global_store_b64 v[16:17], v[6:7], off
	flat_load_b64 v[6:7], v[25:26]
	s_waitcnt vmcnt(0) lgkmcnt(0)
	v_mul_f64 v[6:7], v[6:7], s[6:7]
	s_delay_alu instid0(VALU_DEP_1)
	v_cvt_f32_f64_e32 v16, v[6:7]
.LBB175_131:
	scratch_load_b32 v6, off, off offset:20 ; 4-byte Folded Reload
	v_add_co_u32 v25, vcc_lo, v19, v23
	v_add_co_ci_u32_e32 v26, vcc_lo, v20, v24, vcc_lo
	s_mov_b32 vcc_lo, s2
	v_dual_max_f32 v7, v16, v16 :: v_dual_max_f32 v16, v243, v243
	s_waitcnt vmcnt(0)
	v_max_f32_e32 v6, v6, v6
	s_delay_alu instid0(VALU_DEP_1) | instskip(NEXT) | instid1(VALU_DEP_1)
	v_min_f32_e32 v6, v7, v6
	v_cvt_f64_f32_e32 v[6:7], v6
	global_store_b64 v[25:26], v[6:7], off
	s_cbranch_vccz .LBB175_134
; %bb.132:
	v_min_f32_e32 v6, 0, v16
	v_add_co_u32 v25, vcc_lo, v19, v8
	v_add_co_ci_u32_e32 v26, vcc_lo, v20, v9, vcc_lo
	s_delay_alu instid0(VALU_DEP_3)
	v_cvt_f64_f32_e32 v[6:7], v6
	s_mov_b32 s0, 0
	global_store_b64 v[25:26], v[6:7], off
	s_cbranch_execz .LBB175_135
; %bb.133:
	v_mov_b32_e32 v16, s0
	s_branch .LBB175_136
.LBB175_134:
	s_mov_b32 s0, -1
.LBB175_135:
	v_add_co_u32 v6, vcc_lo, v21, v8
	v_add_co_ci_u32_e32 v7, vcc_lo, v22, v9, vcc_lo
	flat_load_b64 v[6:7], v[6:7]
	s_waitcnt vmcnt(0) lgkmcnt(0)
	v_mul_f64 v[6:7], v[6:7], s[6:7]
	s_delay_alu instid0(VALU_DEP_1) | instskip(NEXT) | instid1(VALU_DEP_1)
	v_cvt_f32_f64_e32 v6, v[6:7]
	v_min_f32_e32 v6, v6, v16
	v_add_co_u32 v16, vcc_lo, v19, v8
	v_add_co_ci_u32_e32 v17, vcc_lo, v20, v9, vcc_lo
	s_delay_alu instid0(VALU_DEP_3)
	v_cvt_f64_f32_e32 v[6:7], v6
	v_add_co_u32 v25, vcc_lo, v21, v10
	v_add_co_ci_u32_e32 v26, vcc_lo, v22, v11, vcc_lo
	global_store_b64 v[16:17], v[6:7], off
	flat_load_b64 v[6:7], v[25:26]
	s_waitcnt vmcnt(0) lgkmcnt(0)
	v_mul_f64 v[6:7], v[6:7], s[6:7]
	s_delay_alu instid0(VALU_DEP_1)
	v_cvt_f32_f64_e32 v16, v[6:7]
.LBB175_136:
	scratch_load_b32 v6, off, off offset:16 ; 4-byte Folded Reload
	v_add_co_u32 v25, vcc_lo, v19, v10
	v_add_co_ci_u32_e32 v26, vcc_lo, v20, v11, vcc_lo
	s_mov_b32 vcc_lo, s2
	v_dual_max_f32 v7, v16, v16 :: v_dual_max_f32 v16, v130, v130
	s_waitcnt vmcnt(0)
	v_max_f32_e32 v6, v6, v6
	s_delay_alu instid0(VALU_DEP_1) | instskip(NEXT) | instid1(VALU_DEP_1)
	v_min_f32_e32 v6, v7, v6
	v_cvt_f64_f32_e32 v[6:7], v6
	global_store_b64 v[25:26], v[6:7], off
	s_cbranch_vccz .LBB175_139
; %bb.137:
	v_min_f32_e32 v6, 0, v16
	v_add_co_u32 v25, vcc_lo, v19, v12
	v_add_co_ci_u32_e32 v26, vcc_lo, v20, v13, vcc_lo
	s_delay_alu instid0(VALU_DEP_3)
	v_cvt_f64_f32_e32 v[6:7], v6
	s_mov_b32 s0, 0
	global_store_b64 v[25:26], v[6:7], off
	s_cbranch_execz .LBB175_140
; %bb.138:
	v_mov_b32_e32 v16, s0
	s_branch .LBB175_141
.LBB175_139:
	s_mov_b32 s0, -1
.LBB175_140:
	v_add_co_u32 v6, vcc_lo, v21, v12
	v_add_co_ci_u32_e32 v7, vcc_lo, v22, v13, vcc_lo
	flat_load_b64 v[6:7], v[6:7]
	s_waitcnt vmcnt(0) lgkmcnt(0)
	v_mul_f64 v[6:7], v[6:7], s[6:7]
	s_delay_alu instid0(VALU_DEP_1) | instskip(NEXT) | instid1(VALU_DEP_1)
	v_cvt_f32_f64_e32 v6, v[6:7]
	v_min_f32_e32 v6, v6, v16
	v_add_co_u32 v16, vcc_lo, v19, v12
	v_add_co_ci_u32_e32 v17, vcc_lo, v20, v13, vcc_lo
	s_delay_alu instid0(VALU_DEP_3)
	v_cvt_f64_f32_e32 v[6:7], v6
	v_add_co_u32 v21, vcc_lo, v21, v14
	v_add_co_ci_u32_e32 v22, vcc_lo, v22, v15, vcc_lo
	global_store_b64 v[16:17], v[6:7], off
	flat_load_b64 v[6:7], v[21:22]
	s_waitcnt vmcnt(0) lgkmcnt(0)
	v_mul_f64 v[6:7], v[6:7], s[6:7]
	s_delay_alu instid0(VALU_DEP_1)
	v_cvt_f32_f64_e32 v16, v[6:7]
.LBB175_141:
	s_delay_alu instid0(VALU_DEP_1) | instskip(SKIP_3) | instid1(VALU_DEP_4)
	v_dual_max_f32 v6, v234, v234 :: v_dual_max_f32 v7, v16, v16
	v_add_nc_u32_e32 v21, 0xc0, v18
	v_add_co_u32 v27, vcc_lo, v19, v14
	v_add_co_ci_u32_e32 v28, vcc_lo, v20, v15, vcc_lo
	v_min_f32_e32 v6, v7, v6
	s_delay_alu instid0(VALU_DEP_4) | instskip(SKIP_1) | instid1(VALU_DEP_3)
	v_mad_i64_i32 v[16:17], null, v21, s13, 0
	v_mad_i64_i32 v[25:26], null, v21, s12, 0
	v_cvt_f64_f32_e32 v[6:7], v6
	v_max_f32_e32 v21, v138, v138
	s_delay_alu instid0(VALU_DEP_4) | instskip(NEXT) | instid1(VALU_DEP_4)
	v_lshlrev_b64 v[16:17], 3, v[16:17]
	v_lshlrev_b64 v[19:20], 3, v[25:26]
	s_delay_alu instid0(VALU_DEP_2) | instskip(NEXT) | instid1(VALU_DEP_3)
	v_add_co_u32 v16, vcc_lo, s3, v16
	v_add_co_ci_u32_e32 v17, vcc_lo, s8, v17, vcc_lo
	s_delay_alu instid0(VALU_DEP_3) | instskip(NEXT) | instid1(VALU_DEP_4)
	v_add_co_u32 v19, vcc_lo, s4, v19
	v_add_co_ci_u32_e32 v20, vcc_lo, s5, v20, vcc_lo
	s_mov_b32 vcc_lo, s2
	global_store_b64 v[27:28], v[6:7], off
	s_cbranch_vccz .LBB175_144
; %bb.142:
	v_min_f32_e32 v6, 0, v21
	v_add_co_u32 v25, vcc_lo, v16, v0
	v_add_co_ci_u32_e32 v26, vcc_lo, v17, v1, vcc_lo
	s_delay_alu instid0(VALU_DEP_3)
	v_cvt_f64_f32_e32 v[6:7], v6
	s_mov_b32 s0, 0
	global_store_b64 v[25:26], v[6:7], off
	s_cbranch_execz .LBB175_145
; %bb.143:
	v_mov_b32_e32 v21, s0
	s_branch .LBB175_146
.LBB175_144:
	s_mov_b32 s0, -1
.LBB175_145:
	v_add_co_u32 v6, vcc_lo, v19, v0
	v_add_co_ci_u32_e32 v7, vcc_lo, v20, v1, vcc_lo
	flat_load_b64 v[6:7], v[6:7]
	s_waitcnt vmcnt(0) lgkmcnt(0)
	v_mul_f64 v[6:7], v[6:7], s[6:7]
	s_delay_alu instid0(VALU_DEP_1) | instskip(NEXT) | instid1(VALU_DEP_1)
	v_cvt_f32_f64_e32 v6, v[6:7]
	v_min_f32_e32 v6, v6, v21
	v_add_co_u32 v21, vcc_lo, v16, v0
	v_add_co_ci_u32_e32 v22, vcc_lo, v17, v1, vcc_lo
	s_delay_alu instid0(VALU_DEP_3)
	v_cvt_f64_f32_e32 v[6:7], v6
	v_add_co_u32 v25, vcc_lo, v19, v2
	v_add_co_ci_u32_e32 v26, vcc_lo, v20, v3, vcc_lo
	global_store_b64 v[21:22], v[6:7], off
	flat_load_b64 v[6:7], v[25:26]
	s_waitcnt vmcnt(0) lgkmcnt(0)
	v_mul_f64 v[6:7], v[6:7], s[6:7]
	s_delay_alu instid0(VALU_DEP_1)
	v_cvt_f32_f64_e32 v21, v[6:7]
.LBB175_146:
	scratch_load_b32 v6, off, off offset:12 ; 4-byte Folded Reload
	v_add_co_u32 v25, vcc_lo, v16, v2
	v_add_co_ci_u32_e32 v26, vcc_lo, v17, v3, vcc_lo
	s_mov_b32 vcc_lo, s2
	v_max_f32_e32 v7, v21, v21
	s_waitcnt vmcnt(0)
	v_dual_max_f32 v21, v196, v196 :: v_dual_max_f32 v6, v6, v6
	s_delay_alu instid0(VALU_DEP_1) | instskip(NEXT) | instid1(VALU_DEP_1)
	v_min_f32_e32 v6, v7, v6
	v_cvt_f64_f32_e32 v[6:7], v6
	global_store_b64 v[25:26], v[6:7], off
	s_cbranch_vccz .LBB175_149
; %bb.147:
	v_min_f32_e32 v6, 0, v21
	v_add_co_u32 v25, vcc_lo, v16, v4
	v_add_co_ci_u32_e32 v26, vcc_lo, v17, v5, vcc_lo
	s_delay_alu instid0(VALU_DEP_3)
	v_cvt_f64_f32_e32 v[6:7], v6
	s_mov_b32 s0, 0
	global_store_b64 v[25:26], v[6:7], off
	s_cbranch_execz .LBB175_150
; %bb.148:
	v_mov_b32_e32 v21, s0
	s_branch .LBB175_151
.LBB175_149:
	s_mov_b32 s0, -1
.LBB175_150:
	v_add_co_u32 v6, vcc_lo, v19, v4
	v_add_co_ci_u32_e32 v7, vcc_lo, v20, v5, vcc_lo
	flat_load_b64 v[6:7], v[6:7]
	s_waitcnt vmcnt(0) lgkmcnt(0)
	v_mul_f64 v[6:7], v[6:7], s[6:7]
	s_delay_alu instid0(VALU_DEP_1) | instskip(NEXT) | instid1(VALU_DEP_1)
	v_cvt_f32_f64_e32 v6, v[6:7]
	v_min_f32_e32 v6, v6, v21
	v_add_co_u32 v21, vcc_lo, v16, v4
	v_add_co_ci_u32_e32 v22, vcc_lo, v17, v5, vcc_lo
	s_delay_alu instid0(VALU_DEP_3)
	v_cvt_f64_f32_e32 v[6:7], v6
	v_add_co_u32 v25, vcc_lo, v19, v23
	v_add_co_ci_u32_e32 v26, vcc_lo, v20, v24, vcc_lo
	global_store_b64 v[21:22], v[6:7], off
	flat_load_b64 v[6:7], v[25:26]
	s_waitcnt vmcnt(0) lgkmcnt(0)
	v_mul_f64 v[6:7], v[6:7], s[6:7]
	s_delay_alu instid0(VALU_DEP_1)
	v_cvt_f32_f64_e32 v21, v[6:7]
.LBB175_151:
	s_delay_alu instid0(VALU_DEP_1) | instskip(SKIP_2) | instid1(VALU_DEP_3)
	v_dual_max_f32 v6, v127, v127 :: v_dual_max_f32 v7, v21, v21
	v_add_co_u32 v25, vcc_lo, v16, v23
	v_add_co_ci_u32_e32 v26, vcc_lo, v17, v24, vcc_lo
	v_dual_min_f32 v6, v7, v6 :: v_dual_max_f32 v21, v125, v125
	s_mov_b32 vcc_lo, s2
	s_delay_alu instid0(VALU_DEP_1)
	v_cvt_f64_f32_e32 v[6:7], v6
	global_store_b64 v[25:26], v[6:7], off
	s_cbranch_vccz .LBB175_154
; %bb.152:
	v_min_f32_e32 v6, 0, v21
	v_add_co_u32 v25, vcc_lo, v16, v8
	v_add_co_ci_u32_e32 v26, vcc_lo, v17, v9, vcc_lo
	s_delay_alu instid0(VALU_DEP_3)
	v_cvt_f64_f32_e32 v[6:7], v6
	s_mov_b32 s0, 0
	global_store_b64 v[25:26], v[6:7], off
	s_cbranch_execz .LBB175_155
; %bb.153:
	v_mov_b32_e32 v21, s0
	s_branch .LBB175_156
.LBB175_154:
	s_mov_b32 s0, -1
.LBB175_155:
	v_add_co_u32 v6, vcc_lo, v19, v8
	v_add_co_ci_u32_e32 v7, vcc_lo, v20, v9, vcc_lo
	flat_load_b64 v[6:7], v[6:7]
	s_waitcnt vmcnt(0) lgkmcnt(0)
	v_mul_f64 v[6:7], v[6:7], s[6:7]
	s_delay_alu instid0(VALU_DEP_1) | instskip(NEXT) | instid1(VALU_DEP_1)
	v_cvt_f32_f64_e32 v6, v[6:7]
	v_min_f32_e32 v6, v6, v21
	v_add_co_u32 v21, vcc_lo, v16, v8
	v_add_co_ci_u32_e32 v22, vcc_lo, v17, v9, vcc_lo
	s_delay_alu instid0(VALU_DEP_3)
	v_cvt_f64_f32_e32 v[6:7], v6
	v_add_co_u32 v25, vcc_lo, v19, v10
	v_add_co_ci_u32_e32 v26, vcc_lo, v20, v11, vcc_lo
	global_store_b64 v[21:22], v[6:7], off
	flat_load_b64 v[6:7], v[25:26]
	s_waitcnt vmcnt(0) lgkmcnt(0)
	v_mul_f64 v[6:7], v[6:7], s[6:7]
	s_delay_alu instid0(VALU_DEP_1)
	v_cvt_f32_f64_e32 v21, v[6:7]
.LBB175_156:
	scratch_load_b32 v6, off, off offset:8  ; 4-byte Folded Reload
	v_add_co_u32 v25, vcc_lo, v16, v10
	v_add_co_ci_u32_e32 v26, vcc_lo, v17, v11, vcc_lo
	s_mov_b32 vcc_lo, s2
	v_max_f32_e32 v7, v21, v21
	s_waitcnt vmcnt(0)
	v_dual_max_f32 v21, v123, v123 :: v_dual_max_f32 v6, v6, v6
	s_delay_alu instid0(VALU_DEP_1) | instskip(NEXT) | instid1(VALU_DEP_1)
	v_min_f32_e32 v6, v7, v6
	v_cvt_f64_f32_e32 v[6:7], v6
	global_store_b64 v[25:26], v[6:7], off
	s_cbranch_vccz .LBB175_159
; %bb.157:
	v_min_f32_e32 v6, 0, v21
	v_add_co_u32 v25, vcc_lo, v16, v12
	v_add_co_ci_u32_e32 v26, vcc_lo, v17, v13, vcc_lo
	s_delay_alu instid0(VALU_DEP_3)
	v_cvt_f64_f32_e32 v[6:7], v6
	s_mov_b32 s0, 0
	global_store_b64 v[25:26], v[6:7], off
	s_cbranch_execz .LBB175_160
; %bb.158:
	v_mov_b32_e32 v19, s0
	s_branch .LBB175_161
.LBB175_159:
	s_mov_b32 s0, -1
.LBB175_160:
	v_add_co_u32 v6, vcc_lo, v19, v12
	v_add_co_ci_u32_e32 v7, vcc_lo, v20, v13, vcc_lo
	flat_load_b64 v[6:7], v[6:7]
	s_waitcnt vmcnt(0) lgkmcnt(0)
	v_mul_f64 v[6:7], v[6:7], s[6:7]
	s_delay_alu instid0(VALU_DEP_1) | instskip(NEXT) | instid1(VALU_DEP_1)
	v_cvt_f32_f64_e32 v6, v[6:7]
	v_min_f32_e32 v6, v6, v21
	v_add_co_u32 v21, vcc_lo, v16, v12
	v_add_co_ci_u32_e32 v22, vcc_lo, v17, v13, vcc_lo
	s_delay_alu instid0(VALU_DEP_3)
	v_cvt_f64_f32_e32 v[6:7], v6
	v_add_co_u32 v19, vcc_lo, v19, v14
	v_add_co_ci_u32_e32 v20, vcc_lo, v20, v15, vcc_lo
	global_store_b64 v[21:22], v[6:7], off
	flat_load_b64 v[6:7], v[19:20]
	s_waitcnt vmcnt(0) lgkmcnt(0)
	v_mul_f64 v[6:7], v[6:7], s[6:7]
	s_delay_alu instid0(VALU_DEP_1)
	v_cvt_f32_f64_e32 v19, v[6:7]
.LBB175_161:
	scratch_load_b32 v6, off, off offset:4  ; 4-byte Folded Reload
	v_add_nc_u32_e32 v20, 0xe0, v18
	v_add_co_u32 v25, vcc_lo, v16, v14
	v_add_co_ci_u32_e32 v26, vcc_lo, v17, v15, vcc_lo
	s_delay_alu instid0(VALU_DEP_3) | instskip(SKIP_3) | instid1(VALU_DEP_4)
	v_mad_i64_i32 v[21:22], null, v20, s12, 0
	v_max_f32_e32 v7, v19, v19
	v_mad_i64_i32 v[18:19], null, v20, s13, 0
	v_max_f32_e32 v20, v121, v121
	v_lshlrev_b64 v[21:22], 3, v[21:22]
	s_delay_alu instid0(VALU_DEP_3) | instskip(NEXT) | instid1(VALU_DEP_1)
	v_lshlrev_b64 v[18:19], 3, v[18:19]
	v_add_co_u32 v16, vcc_lo, s3, v18
	s_delay_alu instid0(VALU_DEP_2) | instskip(NEXT) | instid1(VALU_DEP_4)
	v_add_co_ci_u32_e32 v17, vcc_lo, s8, v19, vcc_lo
	v_add_co_u32 v18, vcc_lo, s4, v21
	v_add_co_ci_u32_e32 v19, vcc_lo, s5, v22, vcc_lo
	s_mov_b32 vcc_lo, s2
	s_waitcnt vmcnt(0)
	v_max_f32_e32 v6, v6, v6
	s_delay_alu instid0(VALU_DEP_1) | instskip(NEXT) | instid1(VALU_DEP_1)
	v_min_f32_e32 v6, v7, v6
	v_cvt_f64_f32_e32 v[6:7], v6
	global_store_b64 v[25:26], v[6:7], off
	s_cbranch_vccz .LBB175_164
; %bb.162:
	v_min_f32_e32 v6, 0, v20
	v_add_co_u32 v21, vcc_lo, v16, v0
	v_add_co_ci_u32_e32 v22, vcc_lo, v17, v1, vcc_lo
	s_delay_alu instid0(VALU_DEP_3)
	v_cvt_f64_f32_e32 v[6:7], v6
	s_mov_b32 s0, 0
	global_store_b64 v[21:22], v[6:7], off
	s_cbranch_execz .LBB175_165
; %bb.163:
	v_mov_b32_e32 v0, s0
	s_branch .LBB175_166
.LBB175_164:
	s_mov_b32 s0, -1
.LBB175_165:
	v_add_co_u32 v6, vcc_lo, v18, v0
	v_add_co_ci_u32_e32 v7, vcc_lo, v19, v1, vcc_lo
	v_add_co_u32 v0, vcc_lo, v16, v0
	v_add_co_ci_u32_e32 v1, vcc_lo, v17, v1, vcc_lo
	flat_load_b64 v[6:7], v[6:7]
	s_waitcnt vmcnt(0) lgkmcnt(0)
	v_mul_f64 v[6:7], v[6:7], s[6:7]
	s_delay_alu instid0(VALU_DEP_1) | instskip(NEXT) | instid1(VALU_DEP_1)
	v_cvt_f32_f64_e32 v6, v[6:7]
	v_min_f32_e32 v6, v6, v20
	v_add_co_u32 v20, vcc_lo, v18, v2
	v_add_co_ci_u32_e32 v21, vcc_lo, v19, v3, vcc_lo
	s_delay_alu instid0(VALU_DEP_3) | instskip(SKIP_4) | instid1(VALU_DEP_1)
	v_cvt_f64_f32_e32 v[6:7], v6
	global_store_b64 v[0:1], v[6:7], off
	flat_load_b64 v[0:1], v[20:21]
	s_waitcnt vmcnt(0) lgkmcnt(0)
	v_mul_f64 v[0:1], v[0:1], s[6:7]
	v_cvt_f32_f64_e32 v0, v[0:1]
.LBB175_166:
	s_delay_alu instid0(VALU_DEP_1) | instskip(NEXT) | instid1(VALU_DEP_1)
	v_dual_max_f32 v1, v79, v79 :: v_dual_max_f32 v0, v0, v0
	v_min_f32_e32 v0, v0, v1
	v_add_co_u32 v1, vcc_lo, v16, v2
	v_add_co_ci_u32_e32 v2, vcc_lo, v17, v3, vcc_lo
	s_delay_alu instid0(VALU_DEP_3)
	v_cvt_f64_f32_e32 v[6:7], v0
	v_max_f32_e32 v0, v126, v126
	s_mov_b32 vcc_lo, s2
	global_store_b64 v[1:2], v[6:7], off
	s_cbranch_vccz .LBB175_169
; %bb.167:
	v_min_f32_e32 v1, 0, v0
	v_add_co_u32 v6, vcc_lo, v16, v4
	v_add_co_ci_u32_e32 v7, vcc_lo, v17, v5, vcc_lo
	s_delay_alu instid0(VALU_DEP_3)
	v_cvt_f64_f32_e32 v[1:2], v1
	s_mov_b32 s0, 0
	global_store_b64 v[6:7], v[1:2], off
	s_cbranch_execz .LBB175_170
; %bb.168:
	v_mov_b32_e32 v0, s0
	s_branch .LBB175_171
.LBB175_169:
	s_mov_b32 s0, -1
.LBB175_170:
	v_add_co_u32 v1, vcc_lo, v18, v4
	v_add_co_ci_u32_e32 v2, vcc_lo, v19, v5, vcc_lo
	flat_load_b64 v[1:2], v[1:2]
	s_waitcnt vmcnt(0) lgkmcnt(0)
	v_mul_f64 v[1:2], v[1:2], s[6:7]
	s_delay_alu instid0(VALU_DEP_1)
	v_cvt_f32_f64_e32 v1, v[1:2]
	v_add_co_u32 v2, vcc_lo, v16, v4
	v_add_co_ci_u32_e32 v3, vcc_lo, v17, v5, vcc_lo
	v_add_co_u32 v4, vcc_lo, v18, v23
	v_add_co_ci_u32_e32 v5, vcc_lo, v19, v24, vcc_lo
	v_min_f32_e32 v0, v1, v0
	s_delay_alu instid0(VALU_DEP_1) | instskip(SKIP_4) | instid1(VALU_DEP_1)
	v_cvt_f64_f32_e32 v[0:1], v0
	global_store_b64 v[2:3], v[0:1], off
	flat_load_b64 v[0:1], v[4:5]
	s_waitcnt vmcnt(0) lgkmcnt(0)
	v_mul_f64 v[0:1], v[0:1], s[6:7]
	v_cvt_f32_f64_e32 v0, v[0:1]
.LBB175_171:
	s_delay_alu instid0(VALU_DEP_1) | instskip(SKIP_2) | instid1(VALU_DEP_3)
	v_dual_max_f32 v1, v118, v118 :: v_dual_max_f32 v0, v0, v0
	v_add_co_u32 v3, vcc_lo, v16, v23
	v_add_co_ci_u32_e32 v4, vcc_lo, v17, v24, vcc_lo
	v_min_f32_e32 v0, v0, v1
	s_mov_b32 vcc_lo, s2
	s_delay_alu instid0(VALU_DEP_1)
	v_cvt_f64_f32_e32 v[1:2], v0
	v_max_f32_e32 v0, v29, v29
	global_store_b64 v[3:4], v[1:2], off
	s_cbranch_vccz .LBB175_174
; %bb.172:
	v_min_f32_e32 v1, 0, v0
	v_add_co_u32 v3, vcc_lo, v16, v8
	v_add_co_ci_u32_e32 v4, vcc_lo, v17, v9, vcc_lo
	s_delay_alu instid0(VALU_DEP_3)
	v_cvt_f64_f32_e32 v[1:2], v1
	s_mov_b32 s0, 0
	global_store_b64 v[3:4], v[1:2], off
	s_cbranch_execz .LBB175_175
; %bb.173:
	v_mov_b32_e32 v0, s0
	s_branch .LBB175_176
.LBB175_174:
	s_mov_b32 s0, -1
.LBB175_175:
	v_add_co_u32 v1, vcc_lo, v18, v8
	v_add_co_ci_u32_e32 v2, vcc_lo, v19, v9, vcc_lo
	flat_load_b64 v[1:2], v[1:2]
	s_waitcnt vmcnt(0) lgkmcnt(0)
	v_mul_f64 v[1:2], v[1:2], s[6:7]
	s_delay_alu instid0(VALU_DEP_1)
	v_cvt_f32_f64_e32 v1, v[1:2]
	v_add_co_u32 v2, vcc_lo, v16, v8
	v_add_co_ci_u32_e32 v3, vcc_lo, v17, v9, vcc_lo
	v_add_co_u32 v4, vcc_lo, v18, v10
	v_add_co_ci_u32_e32 v5, vcc_lo, v19, v11, vcc_lo
	v_min_f32_e32 v0, v1, v0
	s_delay_alu instid0(VALU_DEP_1) | instskip(SKIP_4) | instid1(VALU_DEP_1)
	v_cvt_f64_f32_e32 v[0:1], v0
	global_store_b64 v[2:3], v[0:1], off
	flat_load_b64 v[0:1], v[4:5]
	s_waitcnt vmcnt(0) lgkmcnt(0)
	v_mul_f64 v[0:1], v[0:1], s[6:7]
	v_cvt_f32_f64_e32 v0, v[0:1]
.LBB175_176:
	v_max_f32_e32 v1, v248, v248
	s_delay_alu instid0(VALU_DEP_2) | instskip(SKIP_2) | instid1(VALU_DEP_3)
	v_max_f32_e32 v0, v0, v0
	v_add_co_u32 v3, vcc_lo, v16, v10
	v_add_co_ci_u32_e32 v4, vcc_lo, v17, v11, vcc_lo
	v_min_f32_e32 v0, v0, v1
	s_mov_b32 vcc_lo, s2
	s_delay_alu instid0(VALU_DEP_1)
	v_cvt_f64_f32_e32 v[1:2], v0
	v_max_f32_e32 v0, v247, v247
	global_store_b64 v[3:4], v[1:2], off
	s_cbranch_vccz .LBB175_179
; %bb.177:
	v_min_f32_e32 v1, 0, v0
	v_add_co_u32 v3, vcc_lo, v16, v12
	v_add_co_ci_u32_e32 v4, vcc_lo, v17, v13, vcc_lo
	s_delay_alu instid0(VALU_DEP_3)
	v_cvt_f64_f32_e32 v[1:2], v1
	s_mov_b32 s0, 0
	global_store_b64 v[3:4], v[1:2], off
	s_cbranch_execz .LBB175_180
; %bb.178:
	v_mov_b32_e32 v0, s0
	s_branch .LBB175_181
.LBB175_179:
	s_mov_b32 s0, -1
.LBB175_180:
	v_add_co_u32 v1, vcc_lo, v18, v12
	v_add_co_ci_u32_e32 v2, vcc_lo, v19, v13, vcc_lo
	flat_load_b64 v[1:2], v[1:2]
	s_waitcnt vmcnt(0) lgkmcnt(0)
	v_mul_f64 v[1:2], v[1:2], s[6:7]
	s_delay_alu instid0(VALU_DEP_1)
	v_cvt_f32_f64_e32 v1, v[1:2]
	v_add_co_u32 v2, vcc_lo, v16, v12
	v_add_co_ci_u32_e32 v3, vcc_lo, v17, v13, vcc_lo
	v_add_co_u32 v4, vcc_lo, v18, v14
	v_add_co_ci_u32_e32 v5, vcc_lo, v19, v15, vcc_lo
	v_min_f32_e32 v0, v1, v0
	s_delay_alu instid0(VALU_DEP_1) | instskip(SKIP_4) | instid1(VALU_DEP_1)
	v_cvt_f64_f32_e32 v[0:1], v0
	global_store_b64 v[2:3], v[0:1], off
	flat_load_b64 v[0:1], v[4:5]
	s_waitcnt vmcnt(0) lgkmcnt(0)
	v_mul_f64 v[0:1], v[0:1], s[6:7]
	v_cvt_f32_f64_e32 v0, v[0:1]
.LBB175_181:
	scratch_load_b32 v1, off, off           ; 4-byte Folded Reload
	v_add_co_u32 v2, vcc_lo, v16, v14
	v_add_co_ci_u32_e32 v3, vcc_lo, v17, v15, vcc_lo
	s_waitcnt vmcnt(0)
	v_dual_max_f32 v0, v0, v0 :: v_dual_max_f32 v1, v1, v1
	s_delay_alu instid0(VALU_DEP_1) | instskip(NEXT) | instid1(VALU_DEP_1)
	v_min_f32_e32 v0, v0, v1
	v_cvt_f64_f32_e32 v[0:1], v0
	global_store_b64 v[2:3], v[0:1], off
	s_endpgm
	.section	.rodata,"a",@progbits
	.p2align	6, 0x0
	.amdhsa_kernel _ZN12_GLOBAL__N_120geam_min_plus_kernelId15HIP_vector_typeIdLj2EEdLi8ELi32ELi64ELi256ELi4ELi4ELi64ELi64ELi4ELc84ELc84ELb1ELb0ELb1EdKddEEviiiT16_PT17_ilS6_ilS4_S6_ilPT18_ili26rocblas_geam_ex_operation_
		.amdhsa_group_segment_fixed_size 20480
		.amdhsa_private_segment_fixed_size 400
		.amdhsa_kernarg_size 136
		.amdhsa_user_sgpr_count 14
		.amdhsa_user_sgpr_dispatch_ptr 0
		.amdhsa_user_sgpr_queue_ptr 0
		.amdhsa_user_sgpr_kernarg_segment_ptr 1
		.amdhsa_user_sgpr_dispatch_id 0
		.amdhsa_user_sgpr_private_segment_size 0
		.amdhsa_wavefront_size32 1
		.amdhsa_uses_dynamic_stack 0
		.amdhsa_enable_private_segment 1
		.amdhsa_system_sgpr_workgroup_id_x 1
		.amdhsa_system_sgpr_workgroup_id_y 0
		.amdhsa_system_sgpr_workgroup_id_z 1
		.amdhsa_system_sgpr_workgroup_info 0
		.amdhsa_system_vgpr_workitem_id 1
		.amdhsa_next_free_vgpr 256
		.amdhsa_next_free_sgpr 24
		.amdhsa_reserve_vcc 1
		.amdhsa_float_round_mode_32 0
		.amdhsa_float_round_mode_16_64 0
		.amdhsa_float_denorm_mode_32 3
		.amdhsa_float_denorm_mode_16_64 3
		.amdhsa_dx10_clamp 1
		.amdhsa_ieee_mode 1
		.amdhsa_fp16_overflow 0
		.amdhsa_workgroup_processor_mode 1
		.amdhsa_memory_ordered 1
		.amdhsa_forward_progress 0
		.amdhsa_shared_vgpr_count 0
		.amdhsa_exception_fp_ieee_invalid_op 0
		.amdhsa_exception_fp_denorm_src 0
		.amdhsa_exception_fp_ieee_div_zero 0
		.amdhsa_exception_fp_ieee_overflow 0
		.amdhsa_exception_fp_ieee_underflow 0
		.amdhsa_exception_fp_ieee_inexact 0
		.amdhsa_exception_int_div_zero 0
	.end_amdhsa_kernel
	.section	.text._ZN12_GLOBAL__N_120geam_min_plus_kernelId15HIP_vector_typeIdLj2EEdLi8ELi32ELi64ELi256ELi4ELi4ELi64ELi64ELi4ELc84ELc84ELb1ELb0ELb1EdKddEEviiiT16_PT17_ilS6_ilS4_S6_ilPT18_ili26rocblas_geam_ex_operation_,"axG",@progbits,_ZN12_GLOBAL__N_120geam_min_plus_kernelId15HIP_vector_typeIdLj2EEdLi8ELi32ELi64ELi256ELi4ELi4ELi64ELi64ELi4ELc84ELc84ELb1ELb0ELb1EdKddEEviiiT16_PT17_ilS6_ilS4_S6_ilPT18_ili26rocblas_geam_ex_operation_,comdat
.Lfunc_end175:
	.size	_ZN12_GLOBAL__N_120geam_min_plus_kernelId15HIP_vector_typeIdLj2EEdLi8ELi32ELi64ELi256ELi4ELi4ELi64ELi64ELi4ELc84ELc84ELb1ELb0ELb1EdKddEEviiiT16_PT17_ilS6_ilS4_S6_ilPT18_ili26rocblas_geam_ex_operation_, .Lfunc_end175-_ZN12_GLOBAL__N_120geam_min_plus_kernelId15HIP_vector_typeIdLj2EEdLi8ELi32ELi64ELi256ELi4ELi4ELi64ELi64ELi4ELc84ELc84ELb1ELb0ELb1EdKddEEviiiT16_PT17_ilS6_ilS4_S6_ilPT18_ili26rocblas_geam_ex_operation_
                                        ; -- End function
	.section	.AMDGPU.csdata,"",@progbits
; Kernel info:
; codeLenInByte = 23168
; NumSgprs: 26
; NumVgprs: 256
; ScratchSize: 400
; MemoryBound: 0
; FloatMode: 240
; IeeeMode: 1
; LDSByteSize: 20480 bytes/workgroup (compile time only)
; SGPRBlocks: 3
; VGPRBlocks: 31
; NumSGPRsForWavesPerEU: 26
; NumVGPRsForWavesPerEU: 256
; Occupancy: 5
; WaveLimiterHint : 1
; COMPUTE_PGM_RSRC2:SCRATCH_EN: 1
; COMPUTE_PGM_RSRC2:USER_SGPR: 14
; COMPUTE_PGM_RSRC2:TRAP_HANDLER: 0
; COMPUTE_PGM_RSRC2:TGID_X_EN: 1
; COMPUTE_PGM_RSRC2:TGID_Y_EN: 0
; COMPUTE_PGM_RSRC2:TGID_Z_EN: 1
; COMPUTE_PGM_RSRC2:TIDIG_COMP_CNT: 1
	.section	.text._ZN12_GLOBAL__N_120geam_min_plus_kernelId15HIP_vector_typeIdLj2EEdLi8ELi32ELi64ELi256ELi4ELi4ELi64ELi64ELi4ELc84ELc84ELb0ELb0ELb1EdKddEEviiiT16_PT17_ilS6_ilS4_S6_ilPT18_ili26rocblas_geam_ex_operation_,"axG",@progbits,_ZN12_GLOBAL__N_120geam_min_plus_kernelId15HIP_vector_typeIdLj2EEdLi8ELi32ELi64ELi256ELi4ELi4ELi64ELi64ELi4ELc84ELc84ELb0ELb0ELb1EdKddEEviiiT16_PT17_ilS6_ilS4_S6_ilPT18_ili26rocblas_geam_ex_operation_,comdat
	.globl	_ZN12_GLOBAL__N_120geam_min_plus_kernelId15HIP_vector_typeIdLj2EEdLi8ELi32ELi64ELi256ELi4ELi4ELi64ELi64ELi4ELc84ELc84ELb0ELb0ELb1EdKddEEviiiT16_PT17_ilS6_ilS4_S6_ilPT18_ili26rocblas_geam_ex_operation_ ; -- Begin function _ZN12_GLOBAL__N_120geam_min_plus_kernelId15HIP_vector_typeIdLj2EEdLi8ELi32ELi64ELi256ELi4ELi4ELi64ELi64ELi4ELc84ELc84ELb0ELb0ELb1EdKddEEviiiT16_PT17_ilS6_ilS4_S6_ilPT18_ili26rocblas_geam_ex_operation_
	.p2align	8
	.type	_ZN12_GLOBAL__N_120geam_min_plus_kernelId15HIP_vector_typeIdLj2EEdLi8ELi32ELi64ELi256ELi4ELi4ELi64ELi64ELi4ELc84ELc84ELb0ELb0ELb1EdKddEEviiiT16_PT17_ilS6_ilS4_S6_ilPT18_ili26rocblas_geam_ex_operation_,@function
_ZN12_GLOBAL__N_120geam_min_plus_kernelId15HIP_vector_typeIdLj2EEdLi8ELi32ELi64ELi256ELi4ELi4ELi64ELi64ELi4ELc84ELc84ELb0ELb0ELb1EdKddEEviiiT16_PT17_ilS6_ilS4_S6_ilPT18_ili26rocblas_geam_ex_operation_: ; @_ZN12_GLOBAL__N_120geam_min_plus_kernelId15HIP_vector_typeIdLj2EEdLi8ELi32ELi64ELi256ELi4ELi4ELi64ELi64ELi4ELc84ELc84ELb0ELb0ELb1EdKddEEviiiT16_PT17_ilS6_ilS4_S6_ilPT18_ili26rocblas_geam_ex_operation_
; %bb.0:
	s_clause 0x1
	s_load_b128 s[16:19], s[0:1], 0x10
	s_load_b128 s[8:11], s[0:1], 0x28
	s_mov_b64 s[20:21], 0
	s_waitcnt lgkmcnt(0)
	v_cmp_eq_f64_e64 s2, s[16:17], 0
	s_delay_alu instid0(VALU_DEP_1)
	s_and_b32 vcc_lo, exec_lo, s2
	s_cbranch_vccnz .LBB176_2
; %bb.1:
	s_mul_i32 s3, s15, s9
	s_mul_hi_u32 s4, s15, s8
	s_delay_alu instid0(SALU_CYCLE_1) | instskip(SKIP_1) | instid1(SALU_CYCLE_1)
	s_add_i32 s5, s4, s3
	s_mul_i32 s4, s15, s8
	s_lshl_b64 s[4:5], s[4:5], 3
	s_delay_alu instid0(SALU_CYCLE_1)
	s_add_u32 s20, s18, s4
	s_addc_u32 s21, s19, s5
.LBB176_2:
	s_clause 0x1
	s_load_b128 s[4:7], s[0:1], 0x40
	s_load_b64 s[18:19], s[0:1], 0x50
	s_and_not1_b32 vcc_lo, exec_lo, s2
	s_cbranch_vccnz .LBB176_4
; %bb.3:
	s_mov_b32 s22, 0
	s_mov_b64 s[12:13], 0
	s_cbranch_execz .LBB176_5
	s_branch .LBB176_6
.LBB176_4:
	s_mov_b32 s22, -1
                                        ; implicit-def: $sgpr12_sgpr13
.LBB176_5:
	s_waitcnt lgkmcnt(0)
	s_mul_i32 s2, s15, s5
	s_mul_hi_u32 s3, s15, s4
	s_mov_b32 s22, 0
	s_add_i32 s3, s3, s2
	s_mul_i32 s2, s15, s4
	s_delay_alu instid0(SALU_CYCLE_1) | instskip(NEXT) | instid1(SALU_CYCLE_1)
	s_lshl_b64 s[2:3], s[2:3], 3
	s_add_u32 s12, s10, s2
	s_addc_u32 s13, s11, s3
.LBB176_6:
	s_waitcnt lgkmcnt(0)
	v_cmp_eq_f64_e64 s2, s[6:7], 0
	v_cmp_neq_f64_e64 s24, s[16:17], 0
	s_load_b128 s[8:11], s[0:1], 0x60
	s_mov_b64 s[4:5], 0
	s_delay_alu instid0(VALU_DEP_2) | instskip(NEXT) | instid1(SALU_CYCLE_1)
	s_and_b32 s2, exec_lo, s2
	s_mov_b32 vcc_lo, s2
	s_cbranch_vccnz .LBB176_8
; %bb.7:
	s_waitcnt lgkmcnt(0)
	s_mul_i32 s3, s15, s9
	s_mul_hi_u32 s4, s15, s8
	s_mul_i32 s5, s22, s8
	s_add_i32 s3, s4, s3
	s_mul_i32 s4, s15, s8
	s_add_i32 s5, s3, s5
	s_delay_alu instid0(SALU_CYCLE_1) | instskip(NEXT) | instid1(SALU_CYCLE_1)
	s_lshl_b64 s[4:5], s[4:5], 3
	s_add_u32 s4, s18, s4
	s_addc_u32 s5, s19, s5
.LBB176_8:
	s_clause 0x1
	s_load_b32 s3, s[0:1], 0x0
	s_load_b32 s23, s[0:1], 0x20
	v_bfe_u32 v215, v0, 10, 10
	s_waitcnt lgkmcnt(0)
	s_add_i32 s3, s3, -1
	s_delay_alu instid0(SALU_CYCLE_1) | instskip(NEXT) | instid1(SALU_CYCLE_1)
	s_ashr_i32 s8, s3, 31
	s_lshr_b32 s8, s8, 26
	s_delay_alu instid0(SALU_CYCLE_1) | instskip(NEXT) | instid1(SALU_CYCLE_1)
	s_add_i32 s3, s3, s8
	s_ashr_i32 s3, s3, 6
	s_delay_alu instid0(SALU_CYCLE_1) | instskip(SKIP_2) | instid1(VALU_DEP_1)
	s_add_i32 s8, s3, 1
	s_not_b32 s3, s3
	v_cvt_f32_u32_e32 v1, s8
	v_rcp_iflag_f32_e32 v1, v1
	s_waitcnt_depctr 0xfff
	v_mul_f32_e32 v1, 0x4f7ffffe, v1
	s_delay_alu instid0(VALU_DEP_1) | instskip(NEXT) | instid1(VALU_DEP_1)
	v_cvt_u32_f32_e32 v1, v1
	v_readfirstlane_b32 s9, v1
	v_and_b32_e32 v1, 0x3ff, v0
	v_cndmask_b32_e64 v0, 0, 1, s24
	s_delay_alu instid0(VALU_DEP_3) | instskip(NEXT) | instid1(VALU_DEP_2)
	s_mul_i32 s3, s3, s9
	v_lshl_add_u32 v2, v215, 3, v1
	s_mul_hi_u32 s3, s9, s3
	scratch_store_b32 off, v1, off          ; 4-byte Folded Spill
	s_add_i32 s9, s9, s3
	v_and_b32_e32 v1, 3, v1
	s_mul_hi_u32 s3, s14, s9
	v_lshrrev_b32_e32 v24, 2, v2
	s_mul_i32 s9, s3, s8
	s_add_i32 s18, s3, 1
	s_sub_i32 s9, s14, s9
	v_lshlrev_b32_e32 v25, 3, v1
	s_sub_i32 s19, s9, s8
	s_cmp_ge_u32 s9, s8
	scratch_store_b32 off, v1, off offset:372 ; 4-byte Folded Spill
	s_cselect_b32 s3, s18, s3
	s_cselect_b32 s9, s19, s9
	s_add_i32 s18, s3, 1
	s_cmp_ge_u32 s9, s8
	s_cselect_b32 s9, s18, s3
	s_and_not1_b32 vcc_lo, exec_lo, s24
	s_mul_i32 s3, s9, s8
	s_delay_alu instid0(SALU_CYCLE_1) | instskip(SKIP_2) | instid1(SALU_CYCLE_1)
	s_sub_i32 s8, s14, s3
	v_cmp_ne_u32_e64 s3, 1, v0
	s_lshl_b32 s8, s8, 6
	v_add_nc_u32_e32 v219, s8, v24
	s_cbranch_vccnz .LBB176_10
; %bb.9:
	s_delay_alu instid0(VALU_DEP_1) | instskip(NEXT) | instid1(VALU_DEP_1)
	v_mad_i64_i32 v[0:1], null, v219, s23, 0
	v_lshlrev_b64 v[0:1], 3, v[0:1]
	s_delay_alu instid0(VALU_DEP_1) | instskip(NEXT) | instid1(VALU_DEP_2)
	v_add_co_u32 v0, vcc_lo, s20, v0
	v_add_co_ci_u32_e32 v1, vcc_lo, s21, v1, vcc_lo
	s_delay_alu instid0(VALU_DEP_2) | instskip(NEXT) | instid1(VALU_DEP_2)
	v_add_co_u32 v0, vcc_lo, v0, v25
	v_add_co_ci_u32_e32 v1, vcc_lo, 0, v1, vcc_lo
	flat_load_b64 v[0:1], v[0:1]
	s_waitcnt vmcnt(0) lgkmcnt(0)
	v_mul_f64 v[0:1], v[0:1], s[16:17]
	s_branch .LBB176_11
.LBB176_10:
	v_mov_b32_e32 v0, 0
	v_mov_b32_e32 v1, 0
.LBB176_11:
	s_load_b32 s14, s[0:1], 0x38
	v_lshrrev_b32_e32 v5, 6, v2
	v_and_b32_e32 v77, 63, v2
	s_lshl_b32 s9, s9, 8
	scratch_store_b32 off, v5, off offset:376 ; 4-byte Folded Spill
	v_or_b32_e32 v22, s9, v77
	s_delay_alu instid0(VALU_DEP_1) | instskip(SKIP_3) | instid1(VALU_DEP_1)
	v_ashrrev_i32_e32 v23, 31, v22
	s_waitcnt lgkmcnt(0)
	v_mad_i64_i32 v[3:4], null, s14, v5, 0
	s_ashr_i32 s18, s14, 31
	v_lshlrev_b64 v[2:3], 3, v[3:4]
	s_delay_alu instid0(VALU_DEP_1) | instskip(NEXT) | instid1(VALU_DEP_2)
	v_add_co_u32 v6, vcc_lo, s12, v2
	v_add_co_ci_u32_e32 v7, vcc_lo, s13, v3, vcc_lo
	s_and_b32 vcc_lo, exec_lo, s3
	s_cbranch_vccnz .LBB176_15
; %bb.12:
	v_lshlrev_b64 v[2:3], 3, v[22:23]
	s_delay_alu instid0(VALU_DEP_1) | instskip(NEXT) | instid1(VALU_DEP_2)
	v_add_co_u32 v2, vcc_lo, v6, v2
	v_add_co_ci_u32_e32 v3, vcc_lo, v7, v3, vcc_lo
	s_clause 0x1
	flat_load_b64 v[8:9], v[2:3]
	flat_load_b64 v[10:11], v[2:3] offset:512
	s_waitcnt vmcnt(1) lgkmcnt(1)
	v_mul_f64 v[2:3], v[8:9], s[16:17]
	s_waitcnt vmcnt(0) lgkmcnt(0)
	v_mul_f64 v[16:17], v[10:11], s[16:17]
	s_and_b32 vcc_lo, exec_lo, s3
	s_cbranch_vccnz .LBB176_16
.LBB176_13:
	v_lshlrev_b64 v[8:9], 3, v[22:23]
	s_delay_alu instid0(VALU_DEP_1) | instskip(NEXT) | instid1(VALU_DEP_2)
	v_add_co_u32 v6, vcc_lo, v6, v8
	v_add_co_ci_u32_e32 v7, vcc_lo, v7, v9, vcc_lo
	s_clause 0x1
	flat_load_b64 v[8:9], v[6:7] offset:1024
	flat_load_b64 v[6:7], v[6:7] offset:1536
	s_waitcnt vmcnt(1) lgkmcnt(1)
	v_mul_f64 v[18:19], v[8:9], s[16:17]
	s_waitcnt vmcnt(0) lgkmcnt(0)
	v_mul_f64 v[20:21], v[6:7], s[16:17]
	s_and_b32 vcc_lo, exec_lo, s3
	s_cbranch_vccnz .LBB176_17
.LBB176_14:
	v_mad_i64_i32 v[6:7], null, v219, s23, 0
	s_delay_alu instid0(VALU_DEP_1) | instskip(NEXT) | instid1(VALU_DEP_1)
	v_lshlrev_b64 v[6:7], 3, v[6:7]
	v_add_co_u32 v4, vcc_lo, s20, v6
	s_delay_alu instid0(VALU_DEP_2) | instskip(NEXT) | instid1(VALU_DEP_2)
	v_add_co_ci_u32_e32 v5, vcc_lo, s21, v7, vcc_lo
	v_add_co_u32 v6, vcc_lo, v4, v25
	s_delay_alu instid0(VALU_DEP_2)
	v_add_co_ci_u32_e32 v7, vcc_lo, 0, v5, vcc_lo
	flat_load_b64 v[6:7], v[6:7] offset:32
	s_waitcnt vmcnt(0) lgkmcnt(0)
	v_mul_f64 v[4:5], v[6:7], s[16:17]
	s_branch .LBB176_18
.LBB176_15:
	v_mov_b32_e32 v2, 0
	v_dual_mov_b32 v3, 0 :: v_dual_mov_b32 v16, 0
	v_mov_b32_e32 v17, 0
	s_and_b32 vcc_lo, exec_lo, s3
	s_cbranch_vccz .LBB176_13
.LBB176_16:
	v_mov_b32_e32 v18, 0
	v_dual_mov_b32 v19, 0 :: v_dual_mov_b32 v20, 0
	v_mov_b32_e32 v21, 0
	s_and_b32 vcc_lo, exec_lo, s3
	s_cbranch_vccz .LBB176_14
.LBB176_17:
	v_mov_b32_e32 v4, 0
	v_mov_b32_e32 v5, 0
.LBB176_18:
	scratch_store_b64 off, v[4:5], off offset:300 ; 8-byte Folded Spill
	scratch_load_b32 v4, off, off offset:376 ; 4-byte Folded Reload
	s_waitcnt vmcnt(0)
	v_add_nc_u32_e32 v4, 4, v4
	s_delay_alu instid0(VALU_DEP_1) | instskip(SKIP_2) | instid1(VALU_DEP_1)
	v_mad_i64_i32 v[8:9], null, s14, v4, 0
	scratch_store_b32 off, v4, off offset:380 ; 4-byte Folded Spill
	v_lshlrev_b64 v[8:9], 3, v[8:9]
	v_add_co_u32 v12, vcc_lo, s12, v8
	s_delay_alu instid0(VALU_DEP_2)
	v_add_co_ci_u32_e32 v13, vcc_lo, s13, v9, vcc_lo
	s_and_b32 vcc_lo, exec_lo, s3
	s_cbranch_vccnz .LBB176_21
; %bb.19:
	v_lshlrev_b64 v[8:9], 3, v[22:23]
	s_delay_alu instid0(VALU_DEP_1) | instskip(NEXT) | instid1(VALU_DEP_2)
	v_add_co_u32 v8, vcc_lo, v12, v8
	v_add_co_ci_u32_e32 v9, vcc_lo, v13, v9, vcc_lo
	s_clause 0x1
	flat_load_b64 v[10:11], v[8:9]
	flat_load_b64 v[14:15], v[8:9] offset:512
	s_waitcnt vmcnt(1) lgkmcnt(1)
	v_mul_f64 v[4:5], v[10:11], s[16:17]
	scratch_store_b64 off, v[4:5], off offset:308 ; 8-byte Folded Spill
	s_waitcnt vmcnt(0) lgkmcnt(0)
	v_mul_f64 v[4:5], v[14:15], s[16:17]
	s_and_b32 vcc_lo, exec_lo, s3
	s_clause 0x1
	scratch_store_b64 off, v[4:5], off offset:316
	scratch_store_b64 off, v[22:23], off offset:340
	s_cbranch_vccnz .LBB176_22
.LBB176_20:
	v_lshlrev_b64 v[14:15], 3, v[22:23]
	s_delay_alu instid0(VALU_DEP_1) | instskip(NEXT) | instid1(VALU_DEP_2)
	v_add_co_u32 v12, vcc_lo, v12, v14
	v_add_co_ci_u32_e32 v13, vcc_lo, v13, v15, vcc_lo
	s_clause 0x1
	flat_load_b64 v[14:15], v[12:13] offset:1024
	flat_load_b64 v[26:27], v[12:13] offset:1536
	s_waitcnt vmcnt(1) lgkmcnt(1)
	v_mul_f64 v[4:5], v[14:15], s[16:17]
	scratch_store_b64 off, v[4:5], off offset:324 ; 8-byte Folded Spill
	s_waitcnt vmcnt(0) lgkmcnt(0)
	v_mul_f64 v[4:5], v[26:27], s[16:17]
	s_branch .LBB176_23
.LBB176_21:
	v_mov_b32_e32 v4, 0
	v_mov_b32_e32 v5, 0
	scratch_store_b64 off, v[4:5], off offset:308 ; 8-byte Folded Spill
	v_mov_b32_e32 v4, 0
	v_mov_b32_e32 v5, 0
	s_and_b32 vcc_lo, exec_lo, s3
	s_clause 0x1
	scratch_store_b64 off, v[4:5], off offset:316
	scratch_store_b64 off, v[22:23], off offset:340
	s_cbranch_vccz .LBB176_20
.LBB176_22:
	v_mov_b32_e32 v4, 0
	v_mov_b32_e32 v5, 0
	scratch_store_b64 off, v[4:5], off offset:324 ; 8-byte Folded Spill
	v_mov_b32_e32 v4, 0
	v_mov_b32_e32 v5, 0
.LBB176_23:
	scratch_store_b64 off, v[4:5], off offset:332 ; 8-byte Folded Spill
	scratch_load_b32 v4, off, off offset:376 ; 4-byte Folded Reload
	v_lshl_or_b32 v22, v24, 5, v25
	v_dual_mov_b32 v116, 0x7f800000 :: v_dual_mov_b32 v123, 0x7f800000
	v_dual_mov_b32 v122, 0x7f800000 :: v_dual_mov_b32 v129, 0x7f800000
	s_delay_alu instid0(VALU_DEP_3)
	v_add_nc_u32_e32 v5, 0x4000, v22
	v_dual_mov_b32 v126, 0x7f800000 :: v_dual_mov_b32 v137, 0x7f800000
	v_dual_mov_b32 v128, 0x7f800000 :: v_dual_mov_b32 v199, 0x7f800000
	scratch_store_b32 off, v5, off offset:388 ; 4-byte Folded Spill
	v_dual_mov_b32 v130, 0x7f800000 :: v_dual_mov_b32 v83, 0x7f800000
	v_dual_mov_b32 v82, 0x7f800000 :: v_dual_mov_b32 v203, 0x7f800000
	;; [unrolled: 1-line block ×17, first 2 shown]
	v_mov_b32_e32 v99, 0x7f800000
	v_dual_mov_b32 v55, 0x7f800000 :: v_dual_mov_b32 v238, 0x7f800000
	v_dual_mov_b32 v209, 0x7f800000 :: v_dual_mov_b32 v138, 0x7f800000
	;; [unrolled: 1-line block ×8, first 2 shown]
	v_mov_b32_e32 v139, 0x7f800000
	v_mov_b32_e32 v141, 0x7f800000
	;; [unrolled: 1-line block ×3, first 2 shown]
	s_mov_b32 s24, 0
	s_mov_b32 s19, -1
	s_waitcnt vmcnt(0)
	v_dual_mov_b32 v117, 0x7f800000 :: v_dual_lshlrev_b32 v4, 3, v4
	s_delay_alu instid0(VALU_DEP_1)
	v_lshl_add_u32 v4, v77, 5, v4
	ds_store_b64 v22, v[0:1] offset:16384
	ds_store_2addr_stride64_b64 v4, v[2:3], v[16:17] offset1:4
	ds_store_2addr_stride64_b64 v4, v[18:19], v[20:21] offset0:8 offset1:12
	v_mov_b32_e32 v20, 0x7f800000
	scratch_store_b32 off, v4, off offset:384 ; 4-byte Folded Spill
	s_waitcnt lgkmcnt(0)
	s_waitcnt_vscnt null, 0x0
	s_barrier
	buffer_gl0_inv
.LBB176_24:                             ; =>This Inner Loop Header: Depth=1
	scratch_load_b32 v0, off, off           ; 4-byte Folded Reload
	s_lshl_b32 s24, s24, 3
	v_dual_mov_b32 v21, v55 :: v_dual_mov_b32 v218, v190
	v_lshl_add_u32 v4, v215, 5, s24
	v_mov_b32_e32 v208, v99
	v_mov_b32_e32 v210, v95
	;; [unrolled: 1-line block ×3, first 2 shown]
	s_and_not1_b32 vcc_lo, exec_lo, s19
	s_mov_b32 s19, 0
	s_waitcnt vmcnt(0)
	v_lshl_add_u32 v5, v0, 5, s24
	s_mov_b32 s24, 2
	ds_load_b128 v[16:19], v4
	ds_load_b128 v[0:3], v5 offset:16384
	ds_load_b128 v[108:111], v5 offset:16640
	;; [unrolled: 1-line block ×3, first 2 shown]
	s_waitcnt lgkmcnt(2)
	v_add_f64 v[6:7], v[2:3], v[18:19]
	scratch_store_b64 off, v[6:7], off offset:36 ; 8-byte Folded Spill
	v_add_f64 v[6:7], v[0:1], v[16:17]
	scratch_store_b64 off, v[6:7], off offset:100 ; 8-byte Folded Spill
	s_waitcnt lgkmcnt(1)
	v_add_f64 v[6:7], v[110:111], v[18:19]
	scratch_store_b64 off, v[6:7], off offset:4 ; 8-byte Folded Spill
	v_add_f64 v[6:7], v[108:109], v[16:17]
	scratch_store_b64 off, v[6:7], off offset:68 ; 8-byte Folded Spill
	ds_load_b128 v[33:36], v5 offset:16896
	ds_load_b128 v[37:40], v5 offset:17152
	s_waitcnt lgkmcnt(1)
	v_add_f64 v[6:7], v[35:36], v[18:19]
	scratch_store_b64 off, v[6:7], off offset:44 ; 8-byte Folded Spill
	v_add_f64 v[6:7], v[33:34], v[16:17]
	scratch_store_b64 off, v[6:7], off offset:108 ; 8-byte Folded Spill
	s_waitcnt lgkmcnt(0)
	v_add_f64 v[6:7], v[39:40], v[18:19]
	scratch_store_b64 off, v[6:7], off offset:12 ; 8-byte Folded Spill
	v_add_f64 v[6:7], v[37:38], v[16:17]
	scratch_store_b64 off, v[6:7], off offset:76 ; 8-byte Folded Spill
	ds_load_b128 v[41:44], v5 offset:17408
	ds_load_b128 v[45:48], v5 offset:17664
	;; [unrolled: 1-line block ×4, first 2 shown]
	s_waitcnt lgkmcnt(3)
	v_add_f64 v[6:7], v[43:44], v[18:19]
	scratch_store_b64 off, v[6:7], off offset:52 ; 8-byte Folded Spill
	v_add_f64 v[6:7], v[41:42], v[16:17]
	scratch_store_b64 off, v[6:7], off offset:116 ; 8-byte Folded Spill
	s_waitcnt lgkmcnt(2)
	v_add_f64 v[6:7], v[47:48], v[18:19]
	scratch_store_b64 off, v[6:7], off offset:20 ; 8-byte Folded Spill
	v_add_f64 v[6:7], v[45:46], v[16:17]
	scratch_store_b64 off, v[6:7], off offset:84 ; 8-byte Folded Spill
	;; [unrolled: 5-line block ×4, first 2 shown]
	v_add_f64 v[5:6], v[2:3], v[31:32]
	scratch_store_b64 off, v[5:6], off offset:132 ; 8-byte Folded Spill
	v_add_f64 v[5:6], v[0:1], v[29:30]
	scratch_store_b64 off, v[5:6], off offset:140 ; 8-byte Folded Spill
	;; [unrolled: 2-line block ×16, first 2 shown]
	ds_load_b128 v[16:19], v4 offset:2048
	ds_load_b128 v[29:32], v4 offset:3072
	s_waitcnt lgkmcnt(1)
	v_add_f64 v[5:6], v[43:44], v[18:19]
	v_add_f64 v[102:103], v[2:3], v[18:19]
	;; [unrolled: 1-line block ×12, first 2 shown]
	s_waitcnt lgkmcnt(0)
	v_add_f64 v[179:180], v[2:3], v[31:32]
	v_add_f64 v[225:226], v[0:1], v[29:30]
	;; [unrolled: 1-line block ×16, first 2 shown]
	scratch_store_b64 off, v[5:6], off offset:292 ; 8-byte Folded Spill
	v_add_f64 v[5:6], v[47:48], v[18:19]
	scratch_store_b64 off, v[5:6], off offset:276 ; 8-byte Folded Spill
	v_add_f64 v[5:6], v[51:52], v[18:19]
	;; [unrolled: 2-line block ×4, first 2 shown]
	scratch_store_b64 off, v[5:6], off offset:284 ; 8-byte Folded Spill
	ds_load_b128 v[16:19], v4 offset:4096
	ds_load_b128 v[29:32], v4 offset:5120
	s_waitcnt lgkmcnt(1)
	v_add_f64 v[78:79], v[2:3], v[18:19]
	v_add_f64 v[6:7], v[0:1], v[16:17]
	;; [unrolled: 1-line block ×16, first 2 shown]
	s_waitcnt lgkmcnt(0)
	v_add_f64 v[173:174], v[2:3], v[31:32]
	v_add_f64 v[169:170], v[0:1], v[29:30]
	;; [unrolled: 1-line block ×16, first 2 shown]
	ds_load_b128 v[16:19], v4 offset:6144
	ds_load_b128 v[29:32], v4 offset:7168
	v_cvt_f32_f64_e32 v6, v[6:7]
	v_cvt_f32_f64_e32 v7, v[78:79]
	s_waitcnt lgkmcnt(1)
	v_add_f64 v[65:66], v[0:1], v[16:17]
	v_add_f64 v[88:89], v[108:109], v[16:17]
	v_add_f64 v[221:222], v[33:34], v[16:17]
	v_add_f64 v[61:62], v[37:38], v[16:17]
	v_add_f64 v[75:76], v[41:42], v[16:17]
	v_add_f64 v[124:125], v[45:46], v[16:17]
	v_add_f64 v[86:87], v[49:50], v[16:17]
	v_add_f64 v[16:17], v[53:54], v[16:17]
	s_waitcnt lgkmcnt(0)
	v_add_f64 v[0:1], v[0:1], v[29:30]
	v_add_f64 v[108:109], v[108:109], v[29:30]
	;; [unrolled: 1-line block ×8, first 2 shown]
	scratch_load_b64 v[53:54], off, off offset:100 ; 8-byte Folded Reload
	v_add_f64 v[4:5], v[2:3], v[18:19]
	v_add_f64 v[84:85], v[110:111], v[18:19]
	;; [unrolled: 1-line block ×16, first 2 shown]
	v_mov_b32_e32 v55, v21
	v_min3_f32 v197, v6, v7, v197
	v_cvt_f32_f64_e32 v6, v[10:11]
	v_cvt_f32_f64_e32 v7, v[8:9]
	;; [unrolled: 1-line block ×6, first 2 shown]
	v_min3_f32 v196, v6, v7, v196
	v_cvt_f32_f64_e32 v6, v[14:15]
	v_cvt_f32_f64_e32 v7, v[12:13]
	s_delay_alu instid0(VALU_DEP_4) | instskip(SKIP_2) | instid1(VALU_DEP_4)
	v_min3_f32 v137, v0, v1, v137
	v_cvt_f32_f64_e32 v0, v[108:109]
	v_cvt_f32_f64_e32 v1, v[110:111]
	v_min3_f32 v195, v6, v7, v195
	v_cvt_f32_f64_e32 v6, v[147:148]
	v_cvt_f32_f64_e32 v7, v[145:146]
	s_delay_alu instid0(VALU_DEP_4) | instskip(SKIP_2) | instid1(VALU_DEP_4)
	v_min3_f32 v129, v0, v1, v129
	v_cvt_f32_f64_e32 v0, v[33:34]
	v_cvt_f32_f64_e32 v1, v[35:36]
	;; [unrolled: 7-line block ×3, first 2 shown]
	v_min3_f32 v193, v6, v7, v193
	v_cvt_f32_f64_e32 v6, v[23:24]
	v_cvt_f32_f64_e32 v7, v[27:28]
	s_delay_alu instid0(VALU_DEP_4) | instskip(SKIP_2) | instid1(VALU_DEP_1)
	v_min3_f32 v126, v0, v1, v126
	v_cvt_f32_f64_e32 v0, v[41:42]
	v_cvt_f32_f64_e32 v1, v[43:44]
	v_min3_f32 v123, v0, v1, v123
	v_cvt_f32_f64_e32 v0, v[45:46]
	v_cvt_f32_f64_e32 v1, v[47:48]
	s_delay_alu instid0(VALU_DEP_1)
	v_min3_f32 v122, v0, v1, v122
	v_cvt_f32_f64_e32 v0, v[49:50]
	v_cvt_f32_f64_e32 v1, v[51:52]
	s_waitcnt vmcnt(0)
	v_cvt_f32_f64_e32 v21, v[53:54]
	scratch_load_b64 v[53:54], off, off offset:36 ; 8-byte Folded Reload
	v_min3_f32 v117, v0, v1, v117
	v_cvt_f32_f64_e32 v0, v[29:30]
	v_cvt_f32_f64_e32 v1, v[31:32]
	s_delay_alu instid0(VALU_DEP_1)
	v_min3_f32 v116, v0, v1, v116
	s_waitcnt vmcnt(0)
	v_cvt_f32_f64_e32 v25, v[53:54]
	scratch_load_b64 v[53:54], off, off offset:68 ; 8-byte Folded Reload
	v_min3_f32 v143, v21, v25, v143
	s_waitcnt vmcnt(0)
	v_cvt_f32_f64_e32 v21, v[53:54]
	scratch_load_b64 v[53:54], off, off offset:4 ; 8-byte Folded Reload
	s_waitcnt vmcnt(0)
	v_cvt_f32_f64_e32 v25, v[53:54]
	scratch_load_b64 v[53:54], off, off offset:108 ; 8-byte Folded Reload
	v_min3_f32 v142, v21, v25, v142
	s_waitcnt vmcnt(0)
	v_cvt_f32_f64_e32 v21, v[53:54]
	scratch_load_b64 v[53:54], off, off offset:44 ; 8-byte Folded Reload
	;; [unrolled: 7-line block ×15, first 2 shown]
	s_waitcnt vmcnt(0)
	v_cvt_f32_f64_e32 v25, v[53:54]
	scratch_load_b64 v[53:54], off, off offset:292 ; 8-byte Folded Reload
	v_min3_f32 v214, v21, v25, v214
	v_cvt_f32_f64_e32 v21, v[98:99]
	v_cvt_f32_f64_e32 v25, v[102:103]
	v_mov_b32_e32 v99, v208
	s_delay_alu instid0(VALU_DEP_2) | instskip(SKIP_3) | instid1(VALU_DEP_2)
	v_min3_f32 v213, v21, v25, v213
	v_cvt_f32_f64_e32 v21, v[94:95]
	v_cvt_f32_f64_e32 v25, v[175:176]
	v_mov_b32_e32 v95, v210
	v_min3_f32 v212, v21, v25, v212
	v_cvt_f32_f64_e32 v21, v[90:91]
	v_cvt_f32_f64_e32 v25, v[183:184]
	s_delay_alu instid0(VALU_DEP_1) | instskip(SKIP_2) | instid1(VALU_DEP_1)
	v_min3_f32 v211, v21, v25, v211
	v_cvt_f32_f64_e32 v21, v[177:178]
	v_cvt_f32_f64_e32 v25, v[187:188]
	v_min3_f32 v95, v21, v25, v95
	v_cvt_f32_f64_e32 v21, v[181:182]
	s_waitcnt vmcnt(0)
	v_cvt_f32_f64_e32 v25, v[53:54]
	scratch_load_b64 v[53:54], off, off offset:276 ; 8-byte Folded Reload
	v_min3_f32 v209, v21, v25, v209
	v_cvt_f32_f64_e32 v21, v[185:186]
	s_waitcnt vmcnt(0)
	v_cvt_f32_f64_e32 v25, v[53:54]
	scratch_load_b64 v[53:54], off, off offset:268 ; 8-byte Folded Reload
	v_min3_f32 v55, v21, v25, v55
	v_cvt_f32_f64_e32 v21, v[189:190]
	v_mov_b32_e32 v190, v218
	s_delay_alu instid0(VALU_DEP_1) | instskip(SKIP_3) | instid1(VALU_DEP_2)
	v_min3_f32 v190, v6, v7, v190
	v_cvt_f32_f64_e32 v6, v[120:121]
	v_cvt_f32_f64_e32 v7, v[63:64]
	v_mov_b32_e32 v63, v216
	v_min3_f32 v191, v6, v7, v191
	v_cvt_f32_f64_e32 v6, v[112:113]
	v_cvt_f32_f64_e32 v7, v[69:70]
	s_delay_alu instid0(VALU_DEP_1) | instskip(SKIP_2) | instid1(VALU_DEP_1)
	v_min3_f32 v220, v6, v7, v220
	v_cvt_f32_f64_e32 v6, v[169:170]
	v_cvt_f32_f64_e32 v7, v[173:174]
	v_min3_f32 v132, v6, v7, v132
	v_cvt_f32_f64_e32 v6, v[165:166]
	v_cvt_f32_f64_e32 v7, v[171:172]
	s_delay_alu instid0(VALU_DEP_1) | instskip(SKIP_2) | instid1(VALU_DEP_1)
	v_min3_f32 v131, v6, v7, v131
	v_cvt_f32_f64_e32 v6, v[161:162]
	v_cvt_f32_f64_e32 v7, v[167:168]
	v_min3_f32 v223, v6, v7, v223
	v_cvt_f32_f64_e32 v6, v[157:158]
	v_cvt_f32_f64_e32 v7, v[163:164]
	s_delay_alu instid0(VALU_DEP_1)
	v_min3_f32 v144, v6, v7, v144
	v_cvt_f32_f64_e32 v6, v[153:154]
	v_cvt_f32_f64_e32 v7, v[159:160]
	s_waitcnt vmcnt(0)
	v_cvt_f32_f64_e32 v25, v[53:54]
	scratch_load_b64 v[53:54], off, off offset:284 ; 8-byte Folded Reload
	v_min3_f32 v217, v6, v7, v217
	v_cvt_f32_f64_e32 v6, v[149:150]
	v_cvt_f32_f64_e32 v7, v[155:156]
	v_min3_f32 v99, v21, v25, v99
	s_delay_alu instid0(VALU_DEP_2) | instskip(SKIP_2) | instid1(VALU_DEP_1)
	v_min3_f32 v63, v6, v7, v63
	v_cvt_f32_f64_e32 v6, v[73:74]
	v_cvt_f32_f64_e32 v7, v[151:152]
	v_min3_f32 v255, v6, v7, v255
	v_cvt_f32_f64_e32 v6, v[71:72]
	v_cvt_f32_f64_e32 v7, v[59:60]
	s_delay_alu instid0(VALU_DEP_1) | instskip(SKIP_1) | instid1(VALU_DEP_1)
	v_min3_f32 v244, v6, v7, v244
	v_cvt_f32_f64_e32 v6, v[65:66]
	v_min3_f32 v241, v6, v4, v241
	v_cvt_f32_f64_e32 v4, v[88:89]
	s_delay_alu instid0(VALU_DEP_1) | instskip(SKIP_2) | instid1(VALU_DEP_1)
	v_min3_f32 v237, v4, v5, v237
	v_cvt_f32_f64_e32 v4, v[221:222]
	v_cvt_f32_f64_e32 v5, v[92:93]
	v_min3_f32 v204, v4, v5, v204
	v_cvt_f32_f64_e32 v4, v[61:62]
	v_cvt_f32_f64_e32 v5, v[96:97]
	s_delay_alu instid0(VALU_DEP_1)
	v_min3_f32 v203, v4, v5, v203
	v_cvt_f32_f64_e32 v4, v[75:76]
	v_cvt_f32_f64_e32 v5, v[100:101]
	s_waitcnt vmcnt(0)
	v_cvt_f32_f64_e32 v21, v[53:54]
	scratch_load_b64 v[53:54], off, off offset:260 ; 8-byte Folded Reload
	v_min3_f32 v83, v4, v5, v83
	v_cvt_f32_f64_e32 v4, v[124:125]
	v_cvt_f32_f64_e32 v5, v[106:107]
	s_delay_alu instid0(VALU_DEP_1) | instskip(SKIP_2) | instid1(VALU_DEP_1)
	v_min3_f32 v199, v4, v5, v199
	v_cvt_f32_f64_e32 v4, v[86:87]
	v_cvt_f32_f64_e32 v5, v[104:105]
	v_min3_f32 v82, v4, v5, v82
	v_cvt_f32_f64_e32 v4, v[16:17]
	v_cvt_f32_f64_e32 v5, v[18:19]
	s_delay_alu instid0(VALU_DEP_1) | instskip(SKIP_2) | instid1(VALU_DEP_1)
	v_min3_f32 v130, v4, v5, v130
	s_waitcnt vmcnt(0)
	v_cvt_f32_f64_e32 v25, v[53:54]
	v_min3_f32 v207, v21, v25, v207
	v_cvt_f32_f64_e32 v21, v[225:226]
	v_cvt_f32_f64_e32 v25, v[179:180]
	s_delay_alu instid0(VALU_DEP_1) | instskip(SKIP_2) | instid1(VALU_DEP_1)
	v_min3_f32 v206, v21, v25, v206
	v_cvt_f32_f64_e32 v21, v[229:230]
	v_cvt_f32_f64_e32 v25, v[227:228]
	v_min3_f32 v205, v21, v25, v205
	v_cvt_f32_f64_e32 v21, v[233:234]
	v_cvt_f32_f64_e32 v25, v[231:232]
	s_delay_alu instid0(VALU_DEP_1) | instskip(SKIP_2) | instid1(VALU_DEP_1)
	v_min3_f32 v242, v21, v25, v242
	v_cvt_f32_f64_e32 v21, v[80:81]
	;; [unrolled: 7-line block ×4, first 2 shown]
	v_cvt_f32_f64_e32 v25, v[251:252]
	v_min3_f32 v198, v21, v25, v198
	s_cbranch_vccz .LBB176_24
; %bb.25:
	scratch_load_b32 v1, off, off offset:376 ; 4-byte Folded Reload
	v_lshlrev_b32_e32 v0, 5, v77
	s_load_b32 s24, s[0:1], 0x8
	v_dual_mov_b32 v90, v214 :: v_dual_mov_b32 v105, v213
	v_dual_mov_b32 v104, v212 :: v_dual_mov_b32 v61, v205
	v_dual_mov_b32 v98, v207 :: v_dual_mov_b32 v107, v192
	v_dual_mov_b32 v60, v206 :: v_dual_mov_b32 v69, v201
	v_dual_mov_b32 v106, v202 :: v_dual_mov_b32 v75, v197
	v_dual_mov_b32 v68, v198 :: v_dual_mov_b32 v73, v195
	v_dual_mov_b32 v74, v196 :: v_dual_mov_b32 v71, v193
	v_dual_mov_b32 v72, v194 :: v_dual_mov_b32 v221, v132
	v_mov_b32_e32 v222, v131
	s_mov_b32 s19, 8
	s_waitcnt lgkmcnt(0)
	s_cmp_gt_i32 s24, 8
	s_waitcnt vmcnt(0)
	v_lshl_add_u32 v0, v1, 3, v0
	scratch_load_b64 v[1:2], off, off offset:300 ; 8-byte Folded Reload
	s_waitcnt vmcnt(0)
	ds_store_b64 v22, v[1:2] offset:18432
	s_clause 0x1
	scratch_load_b64 v[1:2], off, off offset:308
	scratch_load_b64 v[3:4], off, off offset:316
	s_waitcnt vmcnt(0)
	ds_store_2addr_stride64_b64 v0, v[1:2], v[3:4] offset0:16 offset1:20
	s_clause 0x1
	scratch_load_b64 v[1:2], off, off offset:324
	scratch_load_b64 v[3:4], off, off offset:332
	s_waitcnt vmcnt(0)
	ds_store_2addr_stride64_b64 v0, v[1:2], v[3:4] offset0:24 offset1:28
	s_waitcnt lgkmcnt(0)
	s_waitcnt_vscnt null, 0x0
	s_barrier
	buffer_gl0_inv
	scratch_store_b32 off, v215, off offset:4 ; 4-byte Folded Spill
	s_cbranch_scc0 .LBB176_51
; %bb.26:
	v_mad_i64_i32 v[1:2], null, v219, s23, 0
	v_dual_mov_b32 v70, v72 :: v_dual_add_nc_u32 v3, 0x4800, v22
	v_or_b32_e32 v0, 0x2000, v0
	v_mov_b32_e32 v62, v217
	scratch_store_b32 off, v3, off offset:392 ; 4-byte Folded Spill
	v_lshlrev_b64 v[1:2], 3, v[1:2]
	scratch_store_b32 off, v0, off offset:396 ; 4-byte Folded Spill
	v_add_co_u32 v0, vcc_lo, s20, v1
	v_add_co_ci_u32_e32 v1, vcc_lo, s21, v2, vcc_lo
	scratch_load_b64 v[2:3], off, off offset:340 ; 8-byte Folded Reload
	s_add_i32 s20, s24, -8
	s_mov_b32 s21, 0
	s_waitcnt vmcnt(0)
	v_lshlrev_b64 v[2:3], 3, v[2:3]
	s_clause 0x1
	scratch_store_b64 off, v[2:3], off offset:316
	scratch_store_b32 off, v0, off offset:400
	v_add_co_u32 v0, vcc_lo, v0, 32
	s_clause 0x1
	scratch_store_b32 off, v0, off offset:408
	scratch_store_b32 off, v1, off offset:404
	v_add_co_ci_u32_e32 v0, vcc_lo, 0, v1, vcc_lo
	v_mov_b32_e32 v1, 0
	s_clause 0x1
	scratch_store_b32 off, v0, off offset:412
	scratch_store_b64 off, v[0:1], off offset:324
.LBB176_27:                             ; =>This Loop Header: Depth=1
                                        ;     Child Loop BB176_37 Depth 2
                                        ;     Child Loop BB176_48 Depth 2
	v_dual_mov_b32 v72, v74 :: v_dual_mov_b32 v51, v104
	v_mov_b32_e32 v65, v98
	v_mov_b32_e32 v45, v90
	s_and_b32 vcc_lo, exec_lo, s3
	s_cbranch_vccnz .LBB176_29
; %bb.28:                               ;   in Loop: Header=BB176_27 Depth=1
	s_clause 0x1
	scratch_load_b32 v0, off, off offset:372
	scratch_load_b64 v[1:2], off, off offset:324
	s_waitcnt vmcnt(0)
	v_mov_b32_e32 v3, v2
	v_or_b32_e32 v2, s19, v0
	s_delay_alu instid0(VALU_DEP_2)
	v_mov_b32_e32 v1, v3
	scratch_store_b64 off, v[0:1], off offset:324 ; 8-byte Folded Spill
	v_lshlrev_b64 v[0:1], 3, v[2:3]
	scratch_load_b32 v2, off, off offset:400 ; 4-byte Folded Reload
	s_waitcnt vmcnt(0)
	v_add_co_u32 v0, vcc_lo, v2, v0
	scratch_load_b32 v2, off, off offset:404 ; 4-byte Folded Reload
	s_waitcnt vmcnt(0)
	v_add_co_ci_u32_e32 v1, vcc_lo, v2, v1, vcc_lo
	flat_load_b64 v[0:1], v[0:1]
	s_waitcnt vmcnt(0) lgkmcnt(0)
	v_mul_f64 v[0:1], v[0:1], s[16:17]
	s_branch .LBB176_30
.LBB176_29:                             ;   in Loop: Header=BB176_27 Depth=1
	v_mov_b32_e32 v0, 0
	v_mov_b32_e32 v1, 0
.LBB176_30:                             ;   in Loop: Header=BB176_27 Depth=1
	scratch_store_b64 off, v[0:1], off offset:292 ; 8-byte Folded Spill
	scratch_load_b32 v0, off, off offset:376 ; 4-byte Folded Reload
	s_waitcnt vmcnt(0)
	v_add_nc_u32_e32 v4, s19, v0
	s_delay_alu instid0(VALU_DEP_1) | instskip(NEXT) | instid1(VALU_DEP_1)
	v_mad_u64_u32 v[0:1], null, v4, s14, 0
	v_mad_u64_u32 v[2:3], null, v4, s18, v[1:2]
	v_mov_b32_e32 v74, v68
	v_mov_b32_e32 v68, v106
	s_delay_alu instid0(VALU_DEP_3) | instskip(NEXT) | instid1(VALU_DEP_1)
	v_mov_b32_e32 v1, v2
	v_lshlrev_b64 v[0:1], 3, v[0:1]
	s_delay_alu instid0(VALU_DEP_1) | instskip(NEXT) | instid1(VALU_DEP_2)
	v_add_co_u32 v0, vcc_lo, s12, v0
	v_add_co_ci_u32_e32 v1, vcc_lo, s13, v1, vcc_lo
	s_and_b32 vcc_lo, exec_lo, s3
	s_cbranch_vccnz .LBB176_32
; %bb.31:                               ;   in Loop: Header=BB176_27 Depth=1
	scratch_load_b64 v[2:3], off, off offset:316 ; 8-byte Folded Reload
	s_waitcnt vmcnt(0)
	v_add_co_u32 v2, vcc_lo, v0, v2
	v_add_co_ci_u32_e32 v3, vcc_lo, v1, v3, vcc_lo
	s_clause 0x1
	flat_load_b64 v[10:11], v[2:3]
	flat_load_b64 v[2:3], v[2:3] offset:512
	s_waitcnt vmcnt(1) lgkmcnt(1)
	v_mul_f64 v[4:5], v[10:11], s[16:17]
	s_waitcnt vmcnt(0) lgkmcnt(0)
	v_mul_f64 v[2:3], v[2:3], s[16:17]
	scratch_store_b64 off, v[4:5], off offset:300 ; 8-byte Folded Spill
	s_branch .LBB176_33
.LBB176_32:                             ;   in Loop: Header=BB176_27 Depth=1
	v_mov_b32_e32 v2, 0
	v_mov_b32_e32 v3, 0
	scratch_store_b64 off, v[2:3], off offset:300 ; 8-byte Folded Spill
	v_mov_b32_e32 v2, 0
	v_mov_b32_e32 v3, 0
.LBB176_33:                             ;   in Loop: Header=BB176_27 Depth=1
	v_mov_b32_e32 v44, v105
	v_mov_b32_e32 v50, v211
	;; [unrolled: 1-line block ×6, first 2 shown]
	s_and_b32 vcc_lo, exec_lo, s3
	scratch_store_b64 off, v[2:3], off offset:308 ; 8-byte Folded Spill
	s_cbranch_vccnz .LBB176_35
; %bb.34:                               ;   in Loop: Header=BB176_27 Depth=1
	scratch_load_b64 v[2:3], off, off offset:316 ; 8-byte Folded Reload
	s_waitcnt vmcnt(0)
	v_add_co_u32 v0, vcc_lo, v0, v2
	v_add_co_ci_u32_e32 v1, vcc_lo, v1, v3, vcc_lo
	s_clause 0x1
	flat_load_b64 v[2:3], v[0:1] offset:1024
	flat_load_b64 v[0:1], v[0:1] offset:1536
	s_waitcnt vmcnt(1) lgkmcnt(1)
	v_mul_f64 v[2:3], v[2:3], s[16:17]
	s_waitcnt vmcnt(0) lgkmcnt(0)
	v_mul_f64 v[0:1], v[0:1], s[16:17]
	scratch_store_b64 off, v[2:3], off offset:332 ; 8-byte Folded Spill
	s_branch .LBB176_36
.LBB176_35:                             ;   in Loop: Header=BB176_27 Depth=1
	v_mov_b32_e32 v0, 0
	v_mov_b32_e32 v1, 0
	scratch_store_b64 off, v[0:1], off offset:332 ; 8-byte Folded Spill
	v_mov_b32_e32 v0, 0
	v_mov_b32_e32 v1, 0
.LBB176_36:                             ;   in Loop: Header=BB176_27 Depth=1
	v_dual_mov_b32 v28, v61 :: v_dual_mov_b32 v53, v95
	v_mov_b32_e32 v54, v99
	s_mov_b32 s24, 0
	s_mov_b32 s23, -1
	scratch_store_b64 off, v[0:1], off offset:340 ; 8-byte Folded Spill
.LBB176_37:                             ;   Parent Loop BB176_27 Depth=1
                                        ; =>  This Inner Loop Header: Depth=2
	scratch_load_b32 v0, off, off           ; 4-byte Folded Reload
	s_lshl_b32 s24, s24, 3
	v_mov_b32_e32 v27, v190
	v_lshl_add_u32 v21, v215, 5, s24
	s_and_not1_b32 vcc_lo, exec_lo, s23
	s_mov_b32 s23, 0
	s_waitcnt vmcnt(0)
	v_lshl_add_u32 v4, v0, 5, s24
	s_mov_b32 s24, 2
	ds_load_b128 v[46:49], v21 offset:8192
	ds_load_b128 v[0:3], v4 offset:18432
	;; [unrolled: 1-line block ×4, first 2 shown]
	s_waitcnt lgkmcnt(2)
	v_add_f64 v[66:67], v[2:3], v[48:49]
	s_waitcnt lgkmcnt(1)
	v_add_f64 v[5:6], v[157:158], v[48:49]
	v_add_f64 v[145:146], v[0:1], v[46:47]
	s_delay_alu instid0(VALU_DEP_3)
	v_cvt_f32_f64_e32 v29, v[66:67]
	scratch_store_b64 off, v[5:6], off offset:12 ; 8-byte Folded Spill
	v_add_f64 v[5:6], v[155:156], v[46:47]
	scratch_store_b64 off, v[5:6], off offset:68 ; 8-byte Folded Spill
	ds_load_b128 v[163:166], v4 offset:18944
	ds_load_b128 v[167:170], v4 offset:19200
	s_waitcnt lgkmcnt(1)
	v_add_f64 v[5:6], v[165:166], v[48:49]
	scratch_store_b64 off, v[5:6], off offset:44 ; 8-byte Folded Spill
	v_add_f64 v[5:6], v[163:164], v[46:47]
	scratch_store_b64 off, v[5:6], off offset:100 ; 8-byte Folded Spill
	s_waitcnt lgkmcnt(0)
	v_add_f64 v[5:6], v[169:170], v[48:49]
	scratch_store_b64 off, v[5:6], off offset:20 ; 8-byte Folded Spill
	v_add_f64 v[5:6], v[167:168], v[46:47]
	scratch_store_b64 off, v[5:6], off offset:76 ; 8-byte Folded Spill
	ds_load_b128 v[171:174], v4 offset:19456
	ds_load_b128 v[175:178], v4 offset:19712
	s_waitcnt lgkmcnt(1)
	v_add_f64 v[5:6], v[173:174], v[48:49]
	scratch_store_b64 off, v[5:6], off offset:52 ; 8-byte Folded Spill
	v_add_f64 v[5:6], v[171:172], v[46:47]
	scratch_store_b64 off, v[5:6], off offset:108 ; 8-byte Folded Spill
	s_waitcnt lgkmcnt(0)
	v_add_f64 v[5:6], v[177:178], v[48:49]
	scratch_store_b64 off, v[5:6], off offset:28 ; 8-byte Folded Spill
	v_add_f64 v[5:6], v[175:176], v[46:47]
	scratch_store_b64 off, v[5:6], off offset:84 ; 8-byte Folded Spill
	ds_load_b128 v[179:182], v4 offset:19968
	ds_load_b128 v[183:186], v4 offset:20224
	;; [unrolled: 1-line block ×3, first 2 shown]
	s_waitcnt lgkmcnt(2)
	v_add_f64 v[4:5], v[181:182], v[48:49]
	s_waitcnt lgkmcnt(0)
	v_add_f64 v[36:37], v[2:3], v[189:190]
	v_add_f64 v[225:226], v[0:1], v[187:188]
	;; [unrolled: 1-line block ×16, first 2 shown]
	scratch_store_b64 off, v[4:5], off offset:60 ; 8-byte Folded Spill
	v_add_f64 v[4:5], v[179:180], v[46:47]
	scratch_store_b64 off, v[4:5], off offset:116 ; 8-byte Folded Spill
	v_add_f64 v[4:5], v[185:186], v[48:49]
	;; [unrolled: 2-line block ×19, first 2 shown]
	ds_load_b128 v[159:162], v21 offset:10240
	s_waitcnt lgkmcnt(0)
	v_add_f64 v[147:148], v[2:3], v[161:162]
	v_add_f64 v[108:109], v[0:1], v[159:160]
	;; [unrolled: 1-line block ×11, first 2 shown]
	scratch_store_b64 off, v[4:5], off offset:244 ; 8-byte Folded Spill
	v_add_f64 v[4:5], v[173:174], v[161:162]
	scratch_store_b64 off, v[4:5], off offset:284 ; 8-byte Folded Spill
	v_add_f64 v[4:5], v[177:178], v[161:162]
	;; [unrolled: 2-line block ×5, first 2 shown]
	scratch_store_b64 off, v[4:5], off offset:276 ; 8-byte Folded Spill
	ds_load_b128 v[159:162], v21 offset:12288
	ds_load_b128 v[187:190], v21 offset:13312
	s_waitcnt lgkmcnt(1)
	v_add_f64 v[149:150], v[157:158], v[161:162]
	v_add_f64 v[4:5], v[155:156], v[159:160]
	v_add_f64 v[10:11], v[165:166], v[161:162]
	v_add_f64 v[8:9], v[163:164], v[159:160]
	v_add_f64 v[14:15], v[169:170], v[161:162]
	v_add_f64 v[12:13], v[167:168], v[159:160]
	v_add_f64 v[30:31], v[173:174], v[161:162]
	v_add_f64 v[16:17], v[171:172], v[159:160]
	v_add_f64 v[153:154], v[2:3], v[161:162]
	v_add_f64 v[151:152], v[0:1], v[159:160]
	v_add_f64 v[32:33], v[177:178], v[161:162]
	v_add_f64 v[78:79], v[175:176], v[159:160]
	v_add_f64 v[124:125], v[181:182], v[161:162]
	v_add_f64 v[18:19], v[179:180], v[159:160]
	v_add_f64 v[114:115], v[185:186], v[161:162]
	v_add_f64 v[131:132], v[183:184], v[159:160]
	s_waitcnt lgkmcnt(0)
	v_add_f64 v[22:23], v[2:3], v[189:190]
	v_add_f64 v[24:25], v[0:1], v[187:188]
	;; [unrolled: 1-line block ×16, first 2 shown]
	ds_load_b128 v[159:162], v21 offset:14336
	ds_load_b128 v[187:190], v21 offset:15360
	scratch_load_b64 v[66:67], off, off offset:68 ; 8-byte Folded Reload
	v_cvt_f32_f64_e32 v21, v[145:146]
	v_cvt_f32_f64_e32 v4, v[4:5]
	;; [unrolled: 1-line block ×3, first 2 shown]
	s_waitcnt lgkmcnt(1)
	v_add_f64 v[102:103], v[2:3], v[161:162]
	v_add_f64 v[217:218], v[157:158], v[161:162]
	;; [unrolled: 1-line block ×8, first 2 shown]
	s_waitcnt lgkmcnt(0)
	v_add_f64 v[2:3], v[2:3], v[189:190]
	v_add_f64 v[157:158], v[157:158], v[189:190]
	;; [unrolled: 1-line block ×8, first 2 shown]
	v_mov_b32_e32 v190, v27
	v_add_f64 v[104:105], v[0:1], v[159:160]
	v_add_f64 v[106:107], v[155:156], v[159:160]
	;; [unrolled: 1-line block ×4, first 2 shown]
	v_min3_f32 v143, v21, v29, v143
	v_add_f64 v[0:1], v[0:1], v[187:188]
	v_add_f64 v[155:156], v[155:156], v[187:188]
	v_add_f64 v[163:164], v[163:164], v[187:188]
	v_add_f64 v[167:168], v[167:168], v[187:188]
	v_add_f64 v[201:202], v[171:172], v[159:160]
	v_min3_f32 v72, v4, v5, v72
	v_cvt_f32_f64_e32 v4, v[8:9]
	v_cvt_f32_f64_e32 v5, v[10:11]
	v_add_f64 v[171:172], v[171:172], v[187:188]
	v_add_f64 v[197:198], v[175:176], v[159:160]
	;; [unrolled: 1-line block ×7, first 2 shown]
	v_cvt_f32_f64_e32 v0, v[0:1]
	v_cvt_f32_f64_e32 v1, v[2:3]
	v_min3_f32 v73, v4, v5, v73
	v_cvt_f32_f64_e32 v4, v[12:13]
	v_cvt_f32_f64_e32 v5, v[14:15]
	s_delay_alu instid0(VALU_DEP_4) | instskip(SKIP_2) | instid1(VALU_DEP_4)
	v_min3_f32 v137, v0, v1, v137
	v_cvt_f32_f64_e32 v0, v[155:156]
	v_cvt_f32_f64_e32 v1, v[157:158]
	v_min3_f32 v70, v4, v5, v70
	v_cvt_f32_f64_e32 v4, v[16:17]
	v_cvt_f32_f64_e32 v5, v[30:31]
	s_delay_alu instid0(VALU_DEP_4) | instskip(SKIP_2) | instid1(VALU_DEP_4)
	v_min3_f32 v129, v0, v1, v129
	v_cvt_f32_f64_e32 v0, v[163:164]
	v_cvt_f32_f64_e32 v1, v[165:166]
	v_min3_f32 v71, v4, v5, v71
	v_cvt_f32_f64_e32 v4, v[78:79]
	v_cvt_f32_f64_e32 v5, v[32:33]
	s_delay_alu instid0(VALU_DEP_4) | instskip(SKIP_2) | instid1(VALU_DEP_4)
	v_min3_f32 v128, v0, v1, v128
	v_cvt_f32_f64_e32 v0, v[167:168]
	v_cvt_f32_f64_e32 v1, v[169:170]
	v_min3_f32 v190, v4, v5, v190
	v_cvt_f32_f64_e32 v4, v[18:19]
	v_cvt_f32_f64_e32 v5, v[124:125]
	s_delay_alu instid0(VALU_DEP_4) | instskip(SKIP_2) | instid1(VALU_DEP_4)
	v_min3_f32 v126, v0, v1, v126
	v_cvt_f32_f64_e32 v0, v[171:172]
	v_cvt_f32_f64_e32 v1, v[173:174]
	v_min3_f32 v191, v4, v5, v191
	v_cvt_f32_f64_e32 v4, v[131:132]
	v_cvt_f32_f64_e32 v5, v[114:115]
	s_delay_alu instid0(VALU_DEP_4) | instskip(SKIP_2) | instid1(VALU_DEP_4)
	v_min3_f32 v123, v0, v1, v123
	v_cvt_f32_f64_e32 v0, v[175:176]
	v_cvt_f32_f64_e32 v1, v[177:178]
	v_min3_f32 v224, v4, v5, v224
	v_cvt_f32_f64_e32 v4, v[24:25]
	v_cvt_f32_f64_e32 v5, v[22:23]
	s_delay_alu instid0(VALU_DEP_4)
	v_min3_f32 v122, v0, v1, v122
	v_cvt_f32_f64_e32 v0, v[179:180]
	v_cvt_f32_f64_e32 v1, v[181:182]
	s_waitcnt vmcnt(0)
	v_cvt_f32_f64_e32 v21, v[66:67]
	scratch_load_b64 v[66:67], off, off offset:12 ; 8-byte Folded Reload
	v_min3_f32 v221, v4, v5, v221
	v_cvt_f32_f64_e32 v4, v[86:87]
	v_cvt_f32_f64_e32 v5, v[84:85]
	v_min3_f32 v117, v0, v1, v117
	v_cvt_f32_f64_e32 v0, v[183:184]
	v_cvt_f32_f64_e32 v1, v[185:186]
	s_delay_alu instid0(VALU_DEP_4) | instskip(SKIP_2) | instid1(VALU_DEP_4)
	v_min3_f32 v222, v4, v5, v222
	v_cvt_f32_f64_e32 v4, v[88:89]
	v_cvt_f32_f64_e32 v5, v[56:57]
	v_min3_f32 v116, v0, v1, v116
	s_delay_alu instid0(VALU_DEP_2) | instskip(SKIP_2) | instid1(VALU_DEP_1)
	v_min3_f32 v223, v4, v5, v223
	v_cvt_f32_f64_e32 v4, v[60:61]
	v_cvt_f32_f64_e32 v5, v[58:59]
	v_min3_f32 v144, v4, v5, v144
	v_cvt_f32_f64_e32 v4, v[90:91]
	v_cvt_f32_f64_e32 v5, v[6:7]
	s_delay_alu instid0(VALU_DEP_1) | instskip(SKIP_2) | instid1(VALU_DEP_1)
	v_min3_f32 v62, v4, v5, v62
	v_cvt_f32_f64_e32 v4, v[92:93]
	v_cvt_f32_f64_e32 v5, v[76:77]
	v_min3_f32 v63, v4, v5, v63
	v_cvt_f32_f64_e32 v4, v[96:97]
	v_cvt_f32_f64_e32 v5, v[94:95]
	s_delay_alu instid0(VALU_DEP_1) | instskip(SKIP_2) | instid1(VALU_DEP_1)
	;; [unrolled: 7-line block ×4, first 2 shown]
	v_min3_f32 v204, v4, v5, v204
	v_cvt_f32_f64_e32 v4, v[205:206]
	v_cvt_f32_f64_e32 v5, v[219:220]
	v_min3_f32 v203, v4, v5, v203
	v_cvt_f32_f64_e32 v5, v[215:216]
	scratch_load_b32 v215, off, off offset:4 ; 4-byte Folded Reload
	s_waitcnt vmcnt(1)
	v_cvt_f32_f64_e32 v29, v[66:67]
	scratch_load_b64 v[66:67], off, off offset:100 ; 8-byte Folded Reload
	v_cvt_f32_f64_e32 v4, v[201:202]
	v_min3_f32 v142, v21, v29, v142
	s_delay_alu instid0(VALU_DEP_2) | instskip(SKIP_2) | instid1(VALU_DEP_1)
	v_min3_f32 v83, v4, v5, v83
	v_cvt_f32_f64_e32 v4, v[197:198]
	v_cvt_f32_f64_e32 v5, v[211:212]
	v_min3_f32 v199, v4, v5, v199
	v_cvt_f32_f64_e32 v4, v[193:194]
	v_cvt_f32_f64_e32 v5, v[207:208]
	s_delay_alu instid0(VALU_DEP_1) | instskip(SKIP_2) | instid1(VALU_DEP_1)
	v_min3_f32 v82, v4, v5, v82
	v_cvt_f32_f64_e32 v4, v[159:160]
	v_cvt_f32_f64_e32 v5, v[161:162]
	v_min3_f32 v130, v4, v5, v130
	s_waitcnt vmcnt(0)
	v_cvt_f32_f64_e32 v21, v[66:67]
	scratch_load_b64 v[66:67], off, off offset:44 ; 8-byte Folded Reload
	s_waitcnt vmcnt(0)
	v_cvt_f32_f64_e32 v29, v[66:67]
	scratch_load_b64 v[66:67], off, off offset:76 ; 8-byte Folded Reload
	v_min3_f32 v141, v21, v29, v141
	s_waitcnt vmcnt(0)
	v_cvt_f32_f64_e32 v21, v[66:67]
	scratch_load_b64 v[66:67], off, off offset:20 ; 8-byte Folded Reload
	s_waitcnt vmcnt(0)
	v_cvt_f32_f64_e32 v29, v[66:67]
	scratch_load_b64 v[66:67], off, off offset:108 ; 8-byte Folded Reload
	;; [unrolled: 7-line block ×13, first 2 shown]
	v_min3_f32 v20, v21, v27, v20
	s_waitcnt vmcnt(0)
	v_cvt_f32_f64_e32 v21, v[66:67]
	scratch_load_b64 v[66:67], off, off offset:236 ; 8-byte Folded Reload
	s_waitcnt vmcnt(0)
	v_cvt_f32_f64_e32 v27, v[66:67]
	s_delay_alu instid0(VALU_DEP_1) | instskip(SKIP_2) | instid1(VALU_DEP_1)
	v_min3_f32 v45, v21, v27, v45
	v_cvt_f32_f64_e32 v21, v[108:109]
	v_cvt_f32_f64_e32 v27, v[147:148]
	v_min3_f32 v44, v21, v27, v44
	v_cvt_f32_f64_e32 v27, v[34:35]
	scratch_load_b64 v[34:35], off, off offset:284 ; 8-byte Folded Reload
	v_cvt_f32_f64_e32 v21, v[110:111]
	s_delay_alu instid0(VALU_DEP_1) | instskip(SKIP_2) | instid1(VALU_DEP_1)
	v_min3_f32 v51, v21, v27, v51
	v_cvt_f32_f64_e32 v21, v[112:113]
	v_cvt_f32_f64_e32 v27, v[38:39]
	v_min3_f32 v50, v21, v27, v50
	v_cvt_f32_f64_e32 v21, v[195:196]
	v_cvt_f32_f64_e32 v27, v[42:43]
	s_delay_alu instid0(VALU_DEP_1)
	v_min3_f32 v53, v21, v27, v53
	v_cvt_f32_f64_e32 v21, v[40:41]
	s_waitcnt vmcnt(0)
	v_cvt_f32_f64_e32 v27, v[34:35]
	scratch_load_b64 v[34:35], off, off offset:268 ; 8-byte Folded Reload
	v_min3_f32 v52, v21, v27, v52
	v_cvt_f32_f64_e32 v21, v[46:47]
	s_waitcnt vmcnt(0)
	v_cvt_f32_f64_e32 v27, v[34:35]
	scratch_load_b64 v[34:35], off, off offset:260 ; 8-byte Folded Reload
	;; [unrolled: 5-line block ×3, first 2 shown]
	v_min3_f32 v54, v21, v27, v54
	s_waitcnt vmcnt(0)
	v_cvt_f32_f64_e32 v21, v[34:35]
	scratch_load_b64 v[34:35], off, off offset:252 ; 8-byte Folded Reload
	s_waitcnt vmcnt(0)
	v_cvt_f32_f64_e32 v27, v[34:35]
	s_delay_alu instid0(VALU_DEP_1) | instskip(SKIP_2) | instid1(VALU_DEP_1)
	v_min3_f32 v65, v21, v27, v65
	v_cvt_f32_f64_e32 v21, v[225:226]
	v_cvt_f32_f64_e32 v27, v[36:37]
	v_min3_f32 v64, v21, v27, v64
	v_cvt_f32_f64_e32 v21, v[229:230]
	v_cvt_f32_f64_e32 v27, v[227:228]
	s_delay_alu instid0(VALU_DEP_1) | instskip(SKIP_2) | instid1(VALU_DEP_1)
	v_min3_f32 v28, v21, v27, v28
	v_cvt_f32_f64_e32 v21, v[233:234]
	v_cvt_f32_f64_e32 v27, v[231:232]
	v_min3_f32 v242, v21, v27, v242
	v_cvt_f32_f64_e32 v21, v[80:81]
	;; [unrolled: 7-line block ×4, first 2 shown]
	v_cvt_f32_f64_e32 v27, v[251:252]
	s_delay_alu instid0(VALU_DEP_1) | instskip(SKIP_2) | instid1(VALU_DEP_1)
	v_min3_f32 v74, v21, v27, v74
	v_cvt_f32_f64_e32 v21, v[151:152]
	v_cvt_f32_f64_e32 v27, v[153:154]
	v_min3_f32 v75, v21, v27, v75
	s_cbranch_vccz .LBB176_37
; %bb.38:                               ;   in Loop: Header=BB176_27 Depth=1
	s_clause 0x1
	scratch_load_b32 v0, off, off offset:388
	scratch_load_b64 v[1:2], off, off offset:292
	v_dual_mov_b32 v100, v53 :: v_dual_mov_b32 v91, v54
	v_mov_b32_e32 v61, v28
	s_and_b32 vcc_lo, exec_lo, s3
	s_waitcnt vmcnt(0)
	ds_store_b64 v0, v[1:2]
	s_clause 0x2
	scratch_load_b32 v0, off, off offset:384
	scratch_load_b64 v[1:2], off, off offset:300
	scratch_load_b64 v[3:4], off, off offset:308
	s_waitcnt vmcnt(0)
	ds_store_2addr_stride64_b64 v0, v[1:2], v[3:4] offset1:4
	s_clause 0x1
	scratch_load_b64 v[1:2], off, off offset:332
	scratch_load_b64 v[3:4], off, off offset:340
	s_waitcnt vmcnt(0)
	ds_store_2addr_stride64_b64 v0, v[1:2], v[3:4] offset0:8 offset1:12
	s_waitcnt lgkmcnt(0)
	s_waitcnt_vscnt null, 0x0
	s_barrier
	buffer_gl0_inv
	s_cbranch_vccnz .LBB176_40
; %bb.39:                               ;   in Loop: Header=BB176_27 Depth=1
	s_clause 0x1
	scratch_load_b32 v0, off, off offset:372
	scratch_load_b64 v[1:2], off, off offset:324
	s_waitcnt vmcnt(0)
	v_mov_b32_e32 v3, v2
	v_or_b32_e32 v2, s19, v0
	s_delay_alu instid0(VALU_DEP_2)
	v_mov_b32_e32 v1, v3
	scratch_store_b64 off, v[0:1], off offset:324 ; 8-byte Folded Spill
	v_lshlrev_b64 v[0:1], 3, v[2:3]
	scratch_load_b32 v2, off, off offset:408 ; 4-byte Folded Reload
	s_waitcnt vmcnt(0)
	v_add_co_u32 v0, vcc_lo, v2, v0
	scratch_load_b32 v2, off, off offset:412 ; 4-byte Folded Reload
	s_waitcnt vmcnt(0)
	v_add_co_ci_u32_e32 v1, vcc_lo, v2, v1, vcc_lo
	flat_load_b64 v[0:1], v[0:1]
	s_waitcnt vmcnt(0) lgkmcnt(0)
	v_mul_f64 v[0:1], v[0:1], s[16:17]
	s_branch .LBB176_41
.LBB176_40:                             ;   in Loop: Header=BB176_27 Depth=1
	v_mov_b32_e32 v0, 0
	v_mov_b32_e32 v1, 0
.LBB176_41:                             ;   in Loop: Header=BB176_27 Depth=1
	scratch_store_b64 off, v[0:1], off offset:332 ; 8-byte Folded Spill
	scratch_load_b32 v0, off, off offset:380 ; 4-byte Folded Reload
	v_mov_b32_e32 v107, v192
	v_mov_b32_e32 v60, v64
	;; [unrolled: 1-line block ×5, first 2 shown]
	s_waitcnt vmcnt(0)
	v_add_nc_u32_e32 v4, s19, v0
	s_delay_alu instid0(VALU_DEP_1) | instskip(NEXT) | instid1(VALU_DEP_1)
	v_mad_u64_u32 v[0:1], null, v4, s14, 0
	v_mad_u64_u32 v[2:3], null, v4, s18, v[1:2]
	s_delay_alu instid0(VALU_DEP_1) | instskip(NEXT) | instid1(VALU_DEP_1)
	v_dual_mov_b32 v220, v224 :: v_dual_mov_b32 v1, v2
	v_lshlrev_b64 v[0:1], 3, v[0:1]
	s_delay_alu instid0(VALU_DEP_1) | instskip(NEXT) | instid1(VALU_DEP_2)
	v_add_co_u32 v0, vcc_lo, s12, v0
	v_add_co_ci_u32_e32 v1, vcc_lo, s13, v1, vcc_lo
	s_and_b32 vcc_lo, exec_lo, s3
	s_cbranch_vccnz .LBB176_43
; %bb.42:                               ;   in Loop: Header=BB176_27 Depth=1
	scratch_load_b64 v[2:3], off, off offset:316 ; 8-byte Folded Reload
	s_waitcnt vmcnt(0)
	v_add_co_u32 v2, vcc_lo, v0, v2
	v_add_co_ci_u32_e32 v3, vcc_lo, v1, v3, vcc_lo
	s_clause 0x1
	flat_load_b64 v[10:11], v[2:3]
	flat_load_b64 v[2:3], v[2:3] offset:512
	s_waitcnt vmcnt(1) lgkmcnt(1)
	v_mul_f64 v[4:5], v[10:11], s[16:17]
	s_waitcnt vmcnt(0) lgkmcnt(0)
	v_mul_f64 v[2:3], v[2:3], s[16:17]
	scratch_store_b64 off, v[4:5], off offset:340 ; 8-byte Folded Spill
	s_branch .LBB176_44
.LBB176_43:                             ;   in Loop: Header=BB176_27 Depth=1
	v_mov_b32_e32 v2, 0
	v_mov_b32_e32 v3, 0
	scratch_store_b64 off, v[2:3], off offset:340 ; 8-byte Folded Spill
	v_mov_b32_e32 v2, 0
	v_mov_b32_e32 v3, 0
.LBB176_44:                             ;   in Loop: Header=BB176_27 Depth=1
	v_dual_mov_b32 v103, v242 :: v_dual_mov_b32 v74, v72
	v_dual_mov_b32 v90, v45 :: v_dual_mov_b32 v99, v55
	v_mov_b32_e32 v104, v51
	v_mov_b32_e32 v98, v65
	;; [unrolled: 1-line block ×6, first 2 shown]
	s_and_b32 vcc_lo, exec_lo, s3
	scratch_store_b64 off, v[2:3], off offset:348 ; 8-byte Folded Spill
	s_cbranch_vccnz .LBB176_46
; %bb.45:                               ;   in Loop: Header=BB176_27 Depth=1
	scratch_load_b64 v[2:3], off, off offset:316 ; 8-byte Folded Reload
	s_waitcnt vmcnt(0)
	v_add_co_u32 v0, vcc_lo, v0, v2
	v_add_co_ci_u32_e32 v1, vcc_lo, v1, v3, vcc_lo
	s_clause 0x1
	flat_load_b64 v[2:3], v[0:1] offset:1024
	flat_load_b64 v[0:1], v[0:1] offset:1536
	s_waitcnt vmcnt(1) lgkmcnt(1)
	v_mul_f64 v[2:3], v[2:3], s[16:17]
	s_waitcnt vmcnt(0) lgkmcnt(0)
	v_mul_f64 v[0:1], v[0:1], s[16:17]
	scratch_store_b64 off, v[2:3], off offset:356 ; 8-byte Folded Spill
	s_branch .LBB176_47
.LBB176_46:                             ;   in Loop: Header=BB176_27 Depth=1
	v_mov_b32_e32 v0, 0
	v_mov_b32_e32 v1, 0
	scratch_store_b64 off, v[0:1], off offset:356 ; 8-byte Folded Spill
	v_mov_b32_e32 v0, 0
	v_mov_b32_e32 v1, 0
.LBB176_47:                             ;   in Loop: Header=BB176_27 Depth=1
	v_dual_mov_b32 v254, v63 :: v_dual_mov_b32 v95, v50
	v_mov_b32_e32 v38, v191
	v_mov_b32_e32 v102, v243
	;; [unrolled: 1-line block ×3, first 2 shown]
	s_mov_b32 s24, 0
	s_mov_b32 s23, -1
	scratch_store_b64 off, v[0:1], off offset:364 ; 8-byte Folded Spill
.LBB176_48:                             ;   Parent Loop BB176_27 Depth=1
                                        ; =>  This Inner Loop Header: Depth=2
	scratch_load_b32 v0, off, off           ; 4-byte Folded Reload
	s_lshl_b32 s24, s24, 3
	v_dual_mov_b32 v10, v237 :: v_dual_mov_b32 v205, v116
	v_lshl_add_u32 v25, v215, 5, s24
	v_dual_mov_b32 v240, v244 :: v_dual_mov_b32 v239, v129
	v_mov_b32_e32 v116, v128
	s_and_not1_b32 vcc_lo, exec_lo, s23
	s_mov_b32 s23, 0
	s_waitcnt vmcnt(0)
	v_lshl_add_u32 v4, v0, 5, s24
	s_mov_b32 s24, 2
	ds_load_b128 v[46:49], v25
	ds_load_b128 v[0:3], v4 offset:16384
	ds_load_b128 v[155:158], v4 offset:16640
	;; [unrolled: 1-line block ×3, first 2 shown]
	s_waitcnt lgkmcnt(2)
	v_add_f64 v[62:63], v[2:3], v[48:49]
	s_waitcnt lgkmcnt(1)
	v_add_f64 v[5:6], v[157:158], v[48:49]
	v_add_f64 v[76:77], v[0:1], v[46:47]
	s_delay_alu instid0(VALU_DEP_3)
	v_cvt_f32_f64_e32 v41, v[62:63]
	scratch_store_b64 off, v[5:6], off offset:12 ; 8-byte Folded Spill
	v_add_f64 v[5:6], v[155:156], v[46:47]
	scratch_store_b64 off, v[5:6], off offset:68 ; 8-byte Folded Spill
	ds_load_b128 v[163:166], v4 offset:16896
	ds_load_b128 v[167:170], v4 offset:17152
	s_waitcnt lgkmcnt(1)
	v_add_f64 v[5:6], v[165:166], v[48:49]
	scratch_store_b64 off, v[5:6], off offset:44 ; 8-byte Folded Spill
	v_add_f64 v[5:6], v[163:164], v[46:47]
	scratch_store_b64 off, v[5:6], off offset:100 ; 8-byte Folded Spill
	s_waitcnt lgkmcnt(0)
	v_add_f64 v[5:6], v[169:170], v[48:49]
	scratch_store_b64 off, v[5:6], off offset:20 ; 8-byte Folded Spill
	v_add_f64 v[5:6], v[167:168], v[46:47]
	scratch_store_b64 off, v[5:6], off offset:76 ; 8-byte Folded Spill
	ds_load_b128 v[171:174], v4 offset:17408
	ds_load_b128 v[175:178], v4 offset:17664
	s_waitcnt lgkmcnt(1)
	v_add_f64 v[5:6], v[173:174], v[48:49]
	scratch_store_b64 off, v[5:6], off offset:52 ; 8-byte Folded Spill
	v_add_f64 v[5:6], v[171:172], v[46:47]
	scratch_store_b64 off, v[5:6], off offset:108 ; 8-byte Folded Spill
	s_waitcnt lgkmcnt(0)
	v_add_f64 v[5:6], v[177:178], v[48:49]
	;; [unrolled: 12-line block ×3, first 2 shown]
	scratch_store_b64 off, v[4:5], off offset:36 ; 8-byte Folded Spill
	v_add_f64 v[4:5], v[183:184], v[46:47]
	scratch_store_b64 off, v[4:5], off offset:92 ; 8-byte Folded Spill
	v_add_f64 v[4:5], v[2:3], v[161:162]
	;; [unrolled: 2-line block ×17, first 2 shown]
	scratch_store_b64 off, v[4:5], off offset:244 ; 8-byte Folded Spill
	ds_load_b128 v[159:162], v25 offset:2048
	ds_load_b128 v[187:190], v25 offset:3072
	s_waitcnt lgkmcnt(1)
	v_add_f64 v[4:5], v[169:170], v[161:162]
	v_add_f64 v[78:79], v[2:3], v[161:162]
	;; [unrolled: 1-line block ×9, first 2 shown]
	s_waitcnt lgkmcnt(0)
	v_add_f64 v[145:146], v[2:3], v[189:190]
	v_add_f64 v[147:148], v[0:1], v[187:188]
	;; [unrolled: 1-line block ×16, first 2 shown]
	scratch_store_b64 off, v[4:5], off offset:300 ; 8-byte Folded Spill
	v_add_f64 v[4:5], v[173:174], v[161:162]
	v_cvt_f32_f64_e32 v23, v[23:24]
	v_cvt_f32_f64_e32 v24, v[193:194]
	v_cvt_f32_f64_e32 v21, v[21:22]
	v_cvt_f32_f64_e32 v22, v[197:198]
	v_cvt_f32_f64_e32 v18, v[18:19]
	v_cvt_f32_f64_e32 v19, v[201:202]
	scratch_store_b64 off, v[4:5], off offset:284 ; 8-byte Folded Spill
	v_add_f64 v[4:5], v[177:178], v[161:162]
	v_min3_f32 v102, v23, v24, v102
	v_min3_f32 v107, v21, v22, v107
	;; [unrolled: 1-line block ×3, first 2 shown]
	v_cvt_f32_f64_e32 v18, v[208:209]
	v_cvt_f32_f64_e32 v19, v[206:207]
	scratch_store_b64 off, v[4:5], off offset:268 ; 8-byte Folded Spill
	v_add_f64 v[4:5], v[175:176], v[159:160]
	v_min3_f32 v69, v18, v19, v69
	v_cvt_f32_f64_e32 v18, v[212:213]
	v_cvt_f32_f64_e32 v19, v[210:211]
	scratch_store_b64 off, v[4:5], off offset:308 ; 8-byte Folded Spill
	v_add_f64 v[4:5], v[181:182], v[161:162]
	v_min3_f32 v68, v18, v19, v68
	scratch_store_b64 off, v[4:5], off offset:260 ; 8-byte Folded Spill
	v_add_f64 v[4:5], v[179:180], v[159:160]
	scratch_store_b64 off, v[4:5], off offset:292 ; 8-byte Folded Spill
	v_add_f64 v[4:5], v[185:186], v[161:162]
	;; [unrolled: 2-line block ×3, first 2 shown]
	scratch_store_b64 off, v[4:5], off offset:276 ; 8-byte Folded Spill
	ds_load_b128 v[159:162], v25 offset:4096
	ds_load_b128 v[187:190], v25 offset:5120
	s_waitcnt lgkmcnt(1)
	v_add_f64 v[214:215], v[2:3], v[161:162]
	v_add_f64 v[216:217], v[0:1], v[159:160]
	;; [unrolled: 1-line block ×16, first 2 shown]
	s_waitcnt lgkmcnt(0)
	v_add_f64 v[246:247], v[2:3], v[189:190]
	v_add_f64 v[248:249], v[0:1], v[187:188]
	;; [unrolled: 1-line block ×16, first 2 shown]
	ds_load_b128 v[159:162], v25 offset:6144
	ds_load_b128 v[187:190], v25 offset:7168
	scratch_load_b64 v[62:63], off, off offset:68 ; 8-byte Folded Reload
	v_cvt_f32_f64_e32 v25, v[76:77]
	v_cvt_f32_f64_e32 v19, v[214:215]
	;; [unrolled: 1-line block ×3, first 2 shown]
	scratch_load_b32 v215, off, off offset:4 ; 4-byte Folded Reload
	s_waitcnt lgkmcnt(1)
	v_add_f64 v[112:113], v[2:3], v[161:162]
	v_add_f64 v[6:7], v[0:1], v[159:160]
	;; [unrolled: 1-line block ×4, first 2 shown]
	s_waitcnt lgkmcnt(0)
	v_add_f64 v[2:3], v[2:3], v[189:190]
	v_add_f64 v[0:1], v[0:1], v[187:188]
	;; [unrolled: 1-line block ×8, first 2 shown]
	v_cvt_f32_f64_e32 v4, v[4:5]
	v_cvt_f32_f64_e32 v5, v[42:43]
	v_add_f64 v[163:164], v[163:164], v[187:188]
	v_add_f64 v[66:67], v[169:170], v[161:162]
	;; [unrolled: 1-line block ×7, first 2 shown]
	v_min3_f32 v143, v25, v41, v143
	v_add_f64 v[171:172], v[171:172], v[187:188]
	v_add_f64 v[242:243], v[177:178], v[161:162]
	;; [unrolled: 1-line block ×4, first 2 shown]
	v_min3_f32 v75, v18, v19, v75
	v_cvt_f32_f64_e32 v18, v[46:47]
	v_cvt_f32_f64_e32 v19, v[218:219]
	v_add_f64 v[175:176], v[175:176], v[187:188]
	v_add_f64 v[131:132], v[181:182], v[161:162]
	;; [unrolled: 1-line block ×9, first 2 shown]
	v_cvt_f32_f64_e32 v0, v[0:1]
	v_cvt_f32_f64_e32 v1, v[2:3]
	v_min3_f32 v144, v4, v5, v144
	v_cvt_f32_f64_e32 v4, v[14:15]
	v_cvt_f32_f64_e32 v5, v[16:17]
	v_min3_f32 v74, v18, v19, v74
	;; [unrolled: 3-line block ×5, first 2 shown]
	v_cvt_f32_f64_e32 v18, v[228:229]
	v_cvt_f32_f64_e32 v19, v[226:227]
	s_delay_alu instid0(VALU_DEP_4) | instskip(SKIP_2) | instid1(VALU_DEP_4)
	v_min3_f32 v255, v4, v5, v255
	v_cvt_f32_f64_e32 v4, v[195:196]
	v_cvt_f32_f64_e32 v5, v[110:111]
	v_min3_f32 v72, v18, v19, v72
	v_cvt_f32_f64_e32 v18, v[232:233]
	v_cvt_f32_f64_e32 v19, v[230:231]
	s_delay_alu instid0(VALU_DEP_1)
	v_min3_f32 v71, v18, v19, v71
	v_cvt_f32_f64_e32 v18, v[236:237]
	v_mov_b32_e32 v237, v10
	v_cvt_f32_f64_e32 v19, v[234:235]
	v_cvt_f32_f64_e32 v10, v[8:9]
	v_cvt_f32_f64_e32 v8, v[44:45]
	v_cvt_f32_f64_e32 v9, v[50:51]
	s_delay_alu instid0(VALU_DEP_4) | instskip(SKIP_4) | instid1(VALU_DEP_3)
	v_min3_f32 v70, v18, v19, v70
	v_cvt_f32_f64_e32 v18, v[52:53]
	v_cvt_f32_f64_e32 v19, v[54:55]
	v_min3_f32 v223, v10, v8, v223
	v_cvt_f32_f64_e32 v8, v[34:35]
	v_min3_f32 v38, v18, v19, v38
	v_cvt_f32_f64_e32 v18, v[244:245]
	v_mov_b32_e32 v244, v240
	v_cvt_f32_f64_e32 v19, v[56:57]
	v_min3_f32 v40, v8, v9, v40
	s_delay_alu instid0(VALU_DEP_3)
	v_min3_f32 v244, v4, v5, v244
	v_cvt_f32_f64_e32 v4, v[6:7]
	v_cvt_f32_f64_e32 v5, v[112:113]
	s_waitcnt vmcnt(1)
	v_cvt_f32_f64_e32 v25, v[62:63]
	scratch_load_b64 v[62:63], off, off offset:12 ; 8-byte Folded Reload
	v_min3_f32 v220, v18, v19, v220
	v_cvt_f32_f64_e32 v18, v[248:249]
	v_cvt_f32_f64_e32 v19, v[246:247]
	v_min3_f32 v241, v4, v5, v241
	v_cvt_f32_f64_e32 v4, v[27:28]
	v_cvt_f32_f64_e32 v5, v[11:12]
	s_delay_alu instid0(VALU_DEP_4) | instskip(SKIP_2) | instid1(VALU_DEP_4)
	v_min3_f32 v221, v18, v19, v221
	v_cvt_f32_f64_e32 v18, v[252:253]
	v_cvt_f32_f64_e32 v19, v[250:251]
	v_min3_f32 v237, v4, v5, v237
	v_cvt_f32_f64_e32 v4, v[64:65]
	v_cvt_f32_f64_e32 v5, v[114:115]
	s_delay_alu instid0(VALU_DEP_4) | instskip(NEXT) | instid1(VALU_DEP_2)
	v_min3_f32 v222, v18, v19, v222
	v_min3_f32 v204, v4, v5, v204
	v_cvt_f32_f64_e32 v4, v[128:129]
	v_dual_mov_b32 v129, v239 :: v_dual_mov_b32 v128, v116
	v_cvt_f32_f64_e32 v5, v[66:67]
	v_mov_b32_e32 v116, v205
	s_delay_alu instid0(VALU_DEP_3)
	v_min3_f32 v129, v0, v1, v129
	v_cvt_f32_f64_e32 v0, v[163:164]
	v_cvt_f32_f64_e32 v1, v[165:166]
	v_min3_f32 v203, v4, v5, v203
	v_cvt_f32_f64_e32 v4, v[120:121]
	v_cvt_f32_f64_e32 v5, v[118:119]
	s_delay_alu instid0(VALU_DEP_4) | instskip(SKIP_2) | instid1(VALU_DEP_4)
	v_min3_f32 v128, v0, v1, v128
	v_cvt_f32_f64_e32 v0, v[167:168]
	v_cvt_f32_f64_e32 v1, v[169:170]
	v_min3_f32 v83, v4, v5, v83
	v_cvt_f32_f64_e32 v4, v[124:125]
	v_cvt_f32_f64_e32 v5, v[242:243]
	s_delay_alu instid0(VALU_DEP_4) | instskip(SKIP_2) | instid1(VALU_DEP_4)
	;; [unrolled: 7-line block ×4, first 2 shown]
	v_min3_f32 v122, v0, v1, v122
	v_cvt_f32_f64_e32 v0, v[179:180]
	v_cvt_f32_f64_e32 v1, v[181:182]
	v_min3_f32 v130, v4, v5, v130
	s_delay_alu instid0(VALU_DEP_2)
	v_min3_f32 v117, v0, v1, v117
	v_cvt_f32_f64_e32 v0, v[183:184]
	v_cvt_f32_f64_e32 v1, v[185:186]
	s_waitcnt vmcnt(0)
	v_cvt_f32_f64_e32 v41, v[62:63]
	scratch_load_b64 v[62:63], off, off offset:100 ; 8-byte Folded Reload
	v_min3_f32 v116, v0, v1, v116
	v_min3_f32 v142, v25, v41, v142
	s_waitcnt vmcnt(0)
	v_cvt_f32_f64_e32 v25, v[62:63]
	scratch_load_b64 v[62:63], off, off offset:44 ; 8-byte Folded Reload
	s_waitcnt vmcnt(0)
	v_cvt_f32_f64_e32 v41, v[62:63]
	scratch_load_b64 v[62:63], off, off offset:76 ; 8-byte Folded Reload
	v_min3_f32 v141, v25, v41, v141
	s_waitcnt vmcnt(0)
	v_cvt_f32_f64_e32 v25, v[62:63]
	scratch_load_b64 v[62:63], off, off offset:20 ; 8-byte Folded Reload
	s_waitcnt vmcnt(0)
	v_cvt_f32_f64_e32 v41, v[62:63]
	scratch_load_b64 v[62:63], off, off offset:108 ; 8-byte Folded Reload
	;; [unrolled: 7-line block ×13, first 2 shown]
	v_min3_f32 v20, v25, v33, v20
	s_waitcnt vmcnt(0)
	v_cvt_f32_f64_e32 v25, v[62:63]
	scratch_load_b64 v[62:63], off, off offset:236 ; 8-byte Folded Reload
	s_waitcnt vmcnt(0)
	v_cvt_f32_f64_e32 v33, v[62:63]
	s_delay_alu instid0(VALU_DEP_1) | instskip(SKIP_3) | instid1(VALU_DEP_1)
	v_min3_f32 v90, v25, v33, v90
	v_cvt_f32_f64_e32 v25, v[31:32]
	scratch_load_b64 v[31:32], off, off offset:300 ; 8-byte Folded Reload
	v_cvt_f32_f64_e32 v33, v[78:79]
	v_min3_f32 v105, v25, v33, v105
	v_cvt_f32_f64_e32 v25, v[84:85]
	v_cvt_f32_f64_e32 v33, v[58:59]
	s_delay_alu instid0(VALU_DEP_1) | instskip(SKIP_2) | instid1(VALU_DEP_1)
	v_min3_f32 v104, v25, v33, v104
	v_cvt_f32_f64_e32 v25, v[88:89]
	v_cvt_f32_f64_e32 v33, v[86:87]
	v_min3_f32 v95, v25, v33, v95
	v_cvt_f32_f64_e32 v25, v[92:93]
	s_waitcnt vmcnt(0)
	v_cvt_f32_f64_e32 v33, v[31:32]
	scratch_load_b64 v[31:32], off, off offset:284 ; 8-byte Folded Reload
	v_min3_f32 v100, v25, v33, v100
	v_cvt_f32_f64_e32 v25, v[96:97]
	s_waitcnt vmcnt(0)
	v_cvt_f32_f64_e32 v33, v[31:32]
	scratch_load_b64 v[31:32], off, off offset:308 ; 8-byte Folded Reload
	v_min3_f32 v94, v25, v33, v94
	s_waitcnt vmcnt(0)
	v_cvt_f32_f64_e32 v25, v[31:32]
	scratch_load_b64 v[31:32], off, off offset:268 ; 8-byte Folded Reload
	s_waitcnt vmcnt(0)
	v_cvt_f32_f64_e32 v33, v[31:32]
	scratch_load_b64 v[31:32], off, off offset:292 ; 8-byte Folded Reload
	v_min3_f32 v99, v25, v33, v99
	s_waitcnt vmcnt(0)
	v_cvt_f32_f64_e32 v25, v[31:32]
	scratch_load_b64 v[31:32], off, off offset:260 ; 8-byte Folded Reload
	;; [unrolled: 7-line block ×3, first 2 shown]
	s_waitcnt vmcnt(0)
	v_cvt_f32_f64_e32 v31, v[31:32]
	s_delay_alu instid0(VALU_DEP_1) | instskip(SKIP_2) | instid1(VALU_DEP_1)
	v_min3_f32 v98, v25, v31, v98
	v_cvt_f32_f64_e32 v25, v[147:148]
	v_cvt_f32_f64_e32 v31, v[145:146]
	v_min3_f32 v60, v25, v31, v60
	v_cvt_f32_f64_e32 v25, v[151:152]
	v_cvt_f32_f64_e32 v31, v[149:150]
	s_delay_alu instid0(VALU_DEP_1) | instskip(SKIP_2) | instid1(VALU_DEP_1)
	v_min3_f32 v61, v25, v31, v61
	v_cvt_f32_f64_e32 v25, v[29:30]
	v_cvt_f32_f64_e32 v29, v[153:154]
	v_min3_f32 v103, v25, v29, v103
	s_cbranch_vccz .LBB176_48
; %bb.49:                               ;   in Loop: Header=BB176_27 Depth=1
	s_clause 0x1
	scratch_load_b32 v0, off, off offset:392
	scratch_load_b64 v[1:2], off, off offset:332
	v_mov_b32_e32 v243, v102
	v_mov_b32_e32 v191, v38
	v_mov_b32_e32 v63, v254
	s_add_i32 s21, s21, 8
	s_add_i32 s19, s19, 8
	s_cmp_ge_i32 s21, s20
	s_waitcnt vmcnt(0)
	ds_store_b64 v0, v[1:2]
	s_clause 0x2
	scratch_load_b32 v0, off, off offset:396
	scratch_load_b64 v[1:2], off, off offset:340
	scratch_load_b64 v[3:4], off, off offset:348
	s_waitcnt vmcnt(0)
	ds_store_2addr_stride64_b64 v0, v[1:2], v[3:4] offset1:4
	s_clause 0x1
	scratch_load_b64 v[1:2], off, off offset:356
	scratch_load_b64 v[3:4], off, off offset:364
	s_waitcnt vmcnt(0)
	ds_store_2addr_stride64_b64 v0, v[1:2], v[3:4] offset0:8 offset1:12
	s_waitcnt lgkmcnt(0)
	s_waitcnt_vscnt null, 0x0
	s_barrier
	buffer_gl0_inv
	s_cbranch_scc1 .LBB176_52
; %bb.50:                               ;   in Loop: Header=BB176_27 Depth=1
	v_dual_mov_b32 v62, v144 :: v_dual_mov_b32 v55, v99
	v_dual_mov_b32 v144, v40 :: v_dual_mov_b32 v209, v94
	v_dual_mov_b32 v190, v70 :: v_dual_mov_b32 v211, v95
	v_dual_mov_b32 v70, v72 :: v_dual_mov_b32 v99, v91
	v_dual_mov_b32 v242, v103 :: v_dual_mov_b32 v95, v100
	s_branch .LBB176_27
.LBB176_51:
	v_mov_b32_e32 v40, v144
	v_mov_b32_e32 v164, v217
	s_branch .LBB176_53
.LBB176_52:
	v_dual_mov_b32 v164, v144 :: v_dual_mov_b32 v55, v99
	v_dual_mov_b32 v190, v70 :: v_dual_mov_b32 v211, v95
	;; [unrolled: 1-line block ×3, first 2 shown]
	v_mov_b32_e32 v99, v91
	v_mov_b32_e32 v95, v100
.LBB176_53:
	v_dual_mov_b32 v0, v55 :: v_dual_mov_b32 v57, v69
	v_dual_mov_b32 v114, v211 :: v_dual_mov_b32 v53, v72
	v_dual_mov_b32 v108, v209 :: v_dual_mov_b32 v55, v75
	v_mov_b32_e32 v112, v60
	v_dual_mov_b32 v60, v242 :: v_dual_mov_b32 v115, v104
	v_mov_b32_e32 v62, v255
	v_mov_b32_e32 v46, v40
	;; [unrolled: 1-line block ×10, first 2 shown]
	v_dual_mov_b32 v104, v105 :: v_dual_mov_b32 v105, v90
	s_mov_b32 s12, 0
	s_mov_b32 s3, -1
.LBB176_54:                             ; =>This Inner Loop Header: Depth=1
	scratch_load_b32 v0, off, off           ; 4-byte Folded Reload
	s_lshl_b32 s12, s12, 3
	v_dual_mov_b32 v29, v243 :: v_dual_mov_b32 v202, v204
	s_waitcnt vmcnt(1)
	v_lshl_add_u32 v4, v215, 5, s12
	v_dual_mov_b32 v243, v164 :: v_dual_mov_b32 v242, v221
	v_dual_mov_b32 v113, v64 :: v_dual_mov_b32 v198, v82
	;; [unrolled: 1-line block ×3, first 2 shown]
	v_mov_b32_e32 v59, v107
	v_mov_b32_e32 v201, v83
	;; [unrolled: 1-line block ×6, first 2 shown]
	s_and_not1_b32 vcc_lo, exec_lo, s3
	s_mov_b32 s3, 0
	s_waitcnt vmcnt(0)
	v_lshl_add_u32 v5, v0, 5, s12
	s_mov_b32 s12, 2
	ds_load_b128 v[32:35], v4 offset:8192
	ds_load_b128 v[0:3], v5 offset:18432
	;; [unrolled: 1-line block ×4, first 2 shown]
	s_waitcnt lgkmcnt(2)
	v_add_f64 v[64:65], v[2:3], v[34:35]
	s_waitcnt lgkmcnt(1)
	v_add_f64 v[6:7], v[78:79], v[34:35]
	v_add_f64 v[66:67], v[0:1], v[32:33]
	s_delay_alu instid0(VALU_DEP_3)
	v_cvt_f32_f64_e32 v31, v[64:65]
	scratch_store_b64 off, v[6:7], off offset:12 ; 8-byte Folded Spill
	v_add_f64 v[6:7], v[76:77], v[32:33]
	v_cvt_f32_f64_e32 v25, v[66:67]
	v_mov_b32_e32 v64, v113
	scratch_store_b64 off, v[6:7], off offset:68 ; 8-byte Folded Spill
	ds_load_b128 v[72:75], v5 offset:18944
	ds_load_b128 v[144:147], v5 offset:19200
	v_min3_f32 v143, v25, v31, v143
	s_waitcnt lgkmcnt(1)
	v_add_f64 v[6:7], v[74:75], v[34:35]
	scratch_store_b64 off, v[6:7], off offset:44 ; 8-byte Folded Spill
	v_add_f64 v[6:7], v[72:73], v[32:33]
	scratch_store_b64 off, v[6:7], off offset:100 ; 8-byte Folded Spill
	s_waitcnt lgkmcnt(0)
	v_add_f64 v[6:7], v[146:147], v[34:35]
	scratch_store_b64 off, v[6:7], off offset:20 ; 8-byte Folded Spill
	v_add_f64 v[6:7], v[144:145], v[32:33]
	scratch_store_b64 off, v[6:7], off offset:76 ; 8-byte Folded Spill
	ds_load_b128 v[148:151], v5 offset:19456
	ds_load_b128 v[152:155], v5 offset:19712
	s_waitcnt lgkmcnt(1)
	v_add_f64 v[6:7], v[150:151], v[34:35]
	scratch_store_b64 off, v[6:7], off offset:52 ; 8-byte Folded Spill
	v_add_f64 v[6:7], v[148:149], v[32:33]
	scratch_store_b64 off, v[6:7], off offset:108 ; 8-byte Folded Spill
	s_waitcnt lgkmcnt(0)
	v_add_f64 v[6:7], v[154:155], v[34:35]
	scratch_store_b64 off, v[6:7], off offset:28 ; 8-byte Folded Spill
	v_add_f64 v[6:7], v[152:153], v[32:33]
	scratch_store_b64 off, v[6:7], off offset:84 ; 8-byte Folded Spill
	ds_load_b128 v[156:159], v5 offset:19968
	ds_load_b128 v[160:163], v5 offset:20224
	s_waitcnt lgkmcnt(1)
	v_add_f64 v[5:6], v[158:159], v[34:35]
	scratch_store_b64 off, v[5:6], off offset:60 ; 8-byte Folded Spill
	v_add_f64 v[5:6], v[156:157], v[32:33]
	scratch_store_b64 off, v[5:6], off offset:116 ; 8-byte Folded Spill
	s_waitcnt lgkmcnt(0)
	v_add_f64 v[5:6], v[162:163], v[34:35]
	scratch_store_b64 off, v[5:6], off offset:36 ; 8-byte Folded Spill
	v_add_f64 v[5:6], v[160:161], v[32:33]
	scratch_store_b64 off, v[5:6], off offset:92 ; 8-byte Folded Spill
	;; [unrolled: 2-line block ×18, first 2 shown]
	ds_load_b128 v[68:71], v4 offset:10240
	ds_load_b128 v[164:167], v4 offset:11264
	s_waitcnt lgkmcnt(1)
	v_add_f64 v[5:6], v[150:151], v[70:71]
	v_add_f64 v[84:85], v[2:3], v[70:71]
	;; [unrolled: 1-line block ×12, first 2 shown]
	s_waitcnt lgkmcnt(0)
	v_add_f64 v[50:51], v[2:3], v[166:167]
	v_add_f64 v[118:119], v[0:1], v[164:165]
	;; [unrolled: 1-line block ×16, first 2 shown]
	scratch_store_b64 off, v[5:6], off offset:284 ; 8-byte Folded Spill
	v_add_f64 v[5:6], v[154:155], v[70:71]
	scratch_store_b64 off, v[5:6], off offset:268 ; 8-byte Folded Spill
	v_add_f64 v[5:6], v[158:159], v[70:71]
	;; [unrolled: 2-line block ×4, first 2 shown]
	scratch_store_b64 off, v[5:6], off offset:276 ; 8-byte Folded Spill
	ds_load_b128 v[68:71], v4 offset:12288
	ds_load_b128 v[164:167], v4 offset:13312
	s_waitcnt lgkmcnt(1)
	v_add_f64 v[186:187], v[2:3], v[70:71]
	v_add_f64 v[188:189], v[0:1], v[68:69]
	;; [unrolled: 1-line block ×16, first 2 shown]
	s_waitcnt lgkmcnt(0)
	v_add_f64 v[218:219], v[2:3], v[166:167]
	v_add_f64 v[220:221], v[0:1], v[164:165]
	;; [unrolled: 1-line block ×16, first 2 shown]
	ds_load_b128 v[68:71], v4 offset:14336
	ds_load_b128 v[164:167], v4 offset:15360
	scratch_load_b64 v[65:66], off, off offset:68 ; 8-byte Folded Reload
	s_waitcnt lgkmcnt(1)
	v_add_f64 v[252:253], v[0:1], v[68:69]
	v_add_f64 v[4:5], v[76:77], v[68:69]
	;; [unrolled: 1-line block ×8, first 2 shown]
	s_waitcnt lgkmcnt(0)
	v_add_f64 v[0:1], v[0:1], v[164:165]
	v_add_f64 v[76:77], v[76:77], v[164:165]
	;; [unrolled: 1-line block ×8, first 2 shown]
	v_dual_mov_b32 v164, v243 :: v_dual_mov_b32 v243, v29
	v_add_f64 v[250:251], v[2:3], v[70:71]
	v_add_f64 v[2:3], v[2:3], v[166:167]
	;; [unrolled: 1-line block ×16, first 2 shown]
	v_cvt_f32_f64_e32 v4, v[4:5]
	v_cvt_f32_f64_e32 v0, v[0:1]
	;; [unrolled: 1-line block ×4, first 2 shown]
	s_delay_alu instid0(VALU_DEP_2) | instskip(SKIP_2) | instid1(VALU_DEP_4)
	v_min3_f32 v137, v0, v1, v137
	v_cvt_f32_f64_e32 v0, v[76:77]
	v_cvt_f32_f64_e32 v1, v[78:79]
	v_min3_f32 v237, v4, v5, v237
	v_cvt_f32_f64_e32 v4, v[6:7]
	v_cvt_f32_f64_e32 v5, v[10:11]
	s_delay_alu instid0(VALU_DEP_4)
	v_min3_f32 v129, v0, v1, v129
	v_cvt_f32_f64_e32 v0, v[72:73]
	v_cvt_f32_f64_e32 v1, v[74:75]
	s_waitcnt vmcnt(0)
	v_cvt_f32_f64_e32 v25, v[65:66]
	scratch_load_b64 v[65:66], off, off offset:12 ; 8-byte Folded Reload
	s_waitcnt vmcnt(0)
	v_cvt_f32_f64_e32 v31, v[65:66]
	scratch_load_b64 v[65:66], off, off offset:100 ; 8-byte Folded Reload
	v_min3_f32 v142, v25, v31, v142
	s_waitcnt vmcnt(0)
	v_cvt_f32_f64_e32 v25, v[65:66]
	scratch_load_b64 v[65:66], off, off offset:44 ; 8-byte Folded Reload
	s_waitcnt vmcnt(0)
	v_cvt_f32_f64_e32 v31, v[65:66]
	scratch_load_b64 v[65:66], off, off offset:76 ; 8-byte Folded Reload
	v_min3_f32 v141, v25, v31, v141
	;; [unrolled: 7-line block ×15, first 2 shown]
	v_cvt_f32_f64_e32 v25, v[86:87]
	v_cvt_f32_f64_e32 v29, v[84:85]
	s_delay_alu instid0(VALU_DEP_1) | instskip(SKIP_2) | instid1(VALU_DEP_1)
	v_min3_f32 v104, v25, v29, v104
	v_cvt_f32_f64_e32 v25, v[90:91]
	v_cvt_f32_f64_e32 v29, v[88:89]
	v_min3_f32 v115, v25, v29, v115
	v_cvt_f32_f64_e32 v25, v[94:95]
	v_cvt_f32_f64_e32 v29, v[96:97]
	v_mov_b32_e32 v95, v109
	s_delay_alu instid0(VALU_DEP_2) | instskip(SKIP_2) | instid1(VALU_DEP_1)
	v_min3_f32 v114, v25, v29, v114
	v_cvt_f32_f64_e32 v25, v[92:93]
	v_cvt_f32_f64_e32 v29, v[100:101]
	v_min3_f32 v95, v25, v29, v95
	v_cvt_f32_f64_e32 v25, v[102:103]
	s_waitcnt vmcnt(0)
	v_cvt_f32_f64_e32 v29, v[65:66]
	scratch_load_b64 v[65:66], off, off offset:268 ; 8-byte Folded Reload
	v_min3_f32 v108, v25, v29, v108
	v_cvt_f32_f64_e32 v25, v[106:107]
	v_mov_b32_e32 v107, v59
	s_waitcnt vmcnt(0)
	v_cvt_f32_f64_e32 v29, v[65:66]
	scratch_load_b64 v[65:66], off, off offset:260 ; 8-byte Folded Reload
	v_min3_f32 v98, v25, v29, v98
	v_cvt_f32_f64_e32 v25, v[110:111]
	s_waitcnt vmcnt(0)
	v_cvt_f32_f64_e32 v29, v[65:66]
	scratch_load_b64 v[65:66], off, off offset:276 ; 8-byte Folded Reload
	v_min3_f32 v99, v25, v29, v99
	s_waitcnt vmcnt(0)
	v_cvt_f32_f64_e32 v25, v[65:66]
	scratch_load_b64 v[65:66], off, off offset:252 ; 8-byte Folded Reload
	s_waitcnt vmcnt(0)
	v_cvt_f32_f64_e32 v29, v[65:66]
	s_delay_alu instid0(VALU_DEP_1) | instskip(SKIP_2) | instid1(VALU_DEP_1)
	v_min3_f32 v64, v25, v29, v64
	v_cvt_f32_f64_e32 v25, v[118:119]
	v_cvt_f32_f64_e32 v29, v[50:51]
	v_min3_f32 v112, v25, v29, v112
	v_cvt_f32_f64_e32 v25, v[48:49]
	v_cvt_f32_f64_e32 v29, v[120:121]
	s_delay_alu instid0(VALU_DEP_1) | instskip(SKIP_2) | instid1(VALU_DEP_1)
	v_min3_f32 v61, v25, v29, v61
	v_cvt_f32_f64_e32 v25, v[80:81]
	v_cvt_f32_f64_e32 v29, v[124:125]
	v_min3_f32 v60, v25, v29, v60
	v_cvt_f32_f64_e32 v25, v[168:169]
	;; [unrolled: 7-line block ×6, first 2 shown]
	v_cvt_f32_f64_e32 v29, v[82:83]
	v_dual_mov_b32 v82, v198 :: v_dual_mov_b32 v83, v201
	s_delay_alu instid0(VALU_DEP_2) | instskip(SKIP_3) | instid1(VALU_DEP_1)
	v_min3_f32 v53, v25, v29, v53
	v_cvt_f32_f64_e32 v25, v[204:205]
	v_cvt_f32_f64_e32 v29, v[44:45]
	v_mov_b32_e32 v204, v202
	v_min3_f32 v204, v4, v5, v204
	v_cvt_f32_f64_e32 v4, v[8:9]
	v_cvt_f32_f64_e32 v5, v[14:15]
	v_min3_f32 v52, v25, v29, v52
	v_cvt_f32_f64_e32 v25, v[208:209]
	v_cvt_f32_f64_e32 v29, v[206:207]
	s_delay_alu instid0(VALU_DEP_4) | instskip(SKIP_2) | instid1(VALU_DEP_4)
	v_min3_f32 v203, v4, v5, v203
	v_cvt_f32_f64_e32 v4, v[12:13]
	v_cvt_f32_f64_e32 v5, v[18:19]
	v_min3_f32 v190, v25, v29, v190
	v_cvt_f32_f64_e32 v25, v[212:213]
	v_cvt_f32_f64_e32 v29, v[210:211]
	s_delay_alu instid0(VALU_DEP_4) | instskip(SKIP_2) | instid1(VALU_DEP_4)
	v_min3_f32 v83, v4, v5, v83
	v_cvt_f32_f64_e32 v4, v[16:17]
	v_cvt_f32_f64_e32 v5, v[23:24]
	v_min3_f32 v191, v25, v29, v191
	v_cvt_f32_f64_e32 v25, v[216:217]
	v_cvt_f32_f64_e32 v29, v[214:215]
	scratch_load_b32 v215, off, off offset:4 ; 4-byte Folded Reload
	v_min3_f32 v199, v4, v5, v199
	v_cvt_f32_f64_e32 v4, v[21:22]
	v_cvt_f32_f64_e32 v5, v[27:28]
	v_min3_f32 v224, v25, v29, v224
	v_cvt_f32_f64_e32 v25, v[220:221]
	v_cvt_f32_f64_e32 v29, v[218:219]
	v_mov_b32_e32 v221, v242
	v_min3_f32 v82, v4, v5, v82
	v_cvt_f32_f64_e32 v4, v[68:69]
	v_cvt_f32_f64_e32 v5, v[70:71]
	s_delay_alu instid0(VALU_DEP_4) | instskip(SKIP_4) | instid1(VALU_DEP_2)
	v_min3_f32 v221, v25, v29, v221
	v_cvt_f32_f64_e32 v25, v[38:39]
	v_cvt_f32_f64_e32 v29, v[222:223]
	v_dual_mov_b32 v222, v225 :: v_dual_mov_b32 v223, v47
	v_min3_f32 v130, v4, v5, v130
	v_min3_f32 v222, v25, v29, v222
	v_cvt_f32_f64_e32 v25, v[228:229]
	v_cvt_f32_f64_e32 v29, v[226:227]
	s_delay_alu instid0(VALU_DEP_1) | instskip(SKIP_2) | instid1(VALU_DEP_1)
	v_min3_f32 v223, v25, v29, v223
	v_cvt_f32_f64_e32 v25, v[232:233]
	v_cvt_f32_f64_e32 v29, v[230:231]
	v_min3_f32 v46, v25, v29, v46
	v_cvt_f32_f64_e32 v25, v[36:37]
	v_cvt_f32_f64_e32 v29, v[234:235]
	s_delay_alu instid0(VALU_DEP_1) | instskip(SKIP_3) | instid1(VALU_DEP_2)
	v_min3_f32 v164, v25, v29, v164
	v_cvt_f32_f64_e32 v25, v[240:241]
	v_cvt_f32_f64_e32 v29, v[34:35]
	v_mov_b32_e32 v241, v236
	v_min3_f32 v63, v25, v29, v63
	v_cvt_f32_f64_e32 v25, v[244:245]
	v_mov_b32_e32 v244, v128
	v_mov_b32_e32 v128, v239
	v_cvt_f32_f64_e32 v29, v[32:33]
	s_delay_alu instid0(VALU_DEP_2) | instskip(SKIP_2) | instid1(VALU_DEP_4)
	v_min3_f32 v128, v0, v1, v128
	v_cvt_f32_f64_e32 v0, v[144:145]
	v_cvt_f32_f64_e32 v1, v[146:147]
	v_min3_f32 v62, v25, v29, v62
	v_cvt_f32_f64_e32 v25, v[248:249]
	v_cvt_f32_f64_e32 v29, v[246:247]
	s_delay_alu instid0(VALU_DEP_4) | instskip(SKIP_2) | instid1(VALU_DEP_4)
	v_min3_f32 v126, v0, v1, v126
	v_cvt_f32_f64_e32 v0, v[148:149]
	v_cvt_f32_f64_e32 v1, v[150:151]
	v_min3_f32 v244, v25, v29, v244
	v_cvt_f32_f64_e32 v25, v[252:253]
	v_cvt_f32_f64_e32 v29, v[250:251]
	s_delay_alu instid0(VALU_DEP_4) | instskip(SKIP_2) | instid1(VALU_DEP_4)
	v_min3_f32 v123, v0, v1, v123
	v_cvt_f32_f64_e32 v0, v[152:153]
	v_cvt_f32_f64_e32 v1, v[154:155]
	v_min3_f32 v241, v25, v29, v241
	s_delay_alu instid0(VALU_DEP_2) | instskip(SKIP_2) | instid1(VALU_DEP_1)
	v_min3_f32 v122, v0, v1, v122
	v_cvt_f32_f64_e32 v0, v[156:157]
	v_cvt_f32_f64_e32 v1, v[158:159]
	v_min3_f32 v117, v0, v1, v117
	v_cvt_f32_f64_e32 v0, v[160:161]
	v_cvt_f32_f64_e32 v1, v[162:163]
	s_delay_alu instid0(VALU_DEP_1)
	v_min3_f32 v116, v0, v1, v116
	s_cbranch_vccz .LBB176_54
; %bb.55:
	s_clause 0x2
	s_load_b64 s[16:17], s[0:1], 0x78
	s_load_b32 s12, s[0:1], 0x70
	s_load_b32 s3, s[0:1], 0x58
	scratch_load_b32 v0, off, off           ; 4-byte Folded Reload
	s_waitcnt vmcnt(1)
	v_dual_mov_b32 v49, v115 :: v_dual_add_nc_u32 v18, s9, v215
	v_dual_mov_b32 v51, v164 :: v_dual_mov_b32 v42, v57
	v_dual_mov_b32 v40, v55 :: v_dual_mov_b32 v37, v53
	s_waitcnt lgkmcnt(0)
	s_mul_i32 s0, s15, s17
	s_mul_hi_u32 s1, s15, s16
	v_mad_i64_i32 v[4:5], null, v18, s3, 0
	s_add_i32 s1, s1, s0
	s_mul_i32 s0, s15, s16
	s_delay_alu instid0(VALU_DEP_1) | instskip(SKIP_4) | instid1(SALU_CYCLE_1)
	v_lshlrev_b64 v[4:5], 3, v[4:5]
	s_waitcnt vmcnt(0)
	v_add_nc_u32_e32 v12, s8, v0
	v_mad_i64_i32 v[0:1], null, v18, s12, 0
	s_mul_i32 s8, s22, s16
	s_add_i32 s1, s1, s8
	s_delay_alu instid0(VALU_DEP_2) | instskip(SKIP_2) | instid1(VALU_DEP_3)
	v_ashrrev_i32_e32 v13, 31, v12
	s_lshl_b64 s[0:1], s[0:1], 3
	v_add_nc_u32_e32 v2, 8, v12
	v_lshlrev_b64 v[6:7], 3, v[0:1]
	s_add_u32 s8, s10, s0
	s_addc_u32 s9, s11, s1
	v_lshlrev_b64 v[0:1], 3, v[12:13]
	v_ashrrev_i32_e32 v3, 31, v2
	s_delay_alu instid0(VALU_DEP_3)
	v_add_co_u32 v19, vcc_lo, s8, v6
	v_add_co_ci_u32_e32 v22, vcc_lo, s9, v7, vcc_lo
	v_add_co_u32 v16, vcc_lo, s4, v4
	v_add_co_ci_u32_e32 v17, vcc_lo, s5, v5, vcc_lo
	v_max_f32_e32 v4, v143, v143
	s_mov_b32 vcc_lo, s2
	s_cbranch_vccz .LBB176_57
; %bb.56:
	s_delay_alu instid0(VALU_DEP_1) | instskip(SKIP_2) | instid1(VALU_DEP_3)
	v_min_f32_e32 v5, 0, v4
	v_add_co_u32 v7, vcc_lo, v19, v0
	v_add_co_ci_u32_e32 v8, vcc_lo, v22, v1, vcc_lo
	v_cvt_f64_f32_e32 v[5:6], v5
	s_mov_b32 s10, 0
	s_mov_b64 s[0:1], 0
	global_store_b64 v[7:8], v[5:6], off
	s_branch .LBB176_58
.LBB176_57:
	s_mov_b32 s10, -1
                                        ; implicit-def: $sgpr0_sgpr1
.LBB176_58:
	v_lshlrev_b64 v[2:3], 3, v[2:3]
	v_dual_mov_b32 v34, v46 :: v_dual_mov_b32 v35, v224
	v_mov_b32_e32 v38, v30
	v_mov_b32_e32 v46, v98
	s_and_not1_b32 vcc_lo, exec_lo, s10
	s_cbranch_vccnz .LBB176_60
; %bb.59:
	v_add_co_u32 v5, vcc_lo, v16, v0
	v_add_co_ci_u32_e32 v6, vcc_lo, v17, v1, vcc_lo
	flat_load_b64 v[5:6], v[5:6]
	s_waitcnt vmcnt(0) lgkmcnt(0)
	v_mul_f64 v[5:6], v[5:6], s[6:7]
	s_delay_alu instid0(VALU_DEP_1)
	v_cvt_f32_f64_e32 v5, v[5:6]
	v_add_co_u32 v6, vcc_lo, v19, v0
	v_add_co_ci_u32_e32 v7, vcc_lo, v22, v1, vcc_lo
	v_add_co_u32 v8, vcc_lo, v16, v2
	v_add_co_ci_u32_e32 v9, vcc_lo, v17, v3, vcc_lo
	v_min_f32_e32 v4, v5, v4
	s_delay_alu instid0(VALU_DEP_1)
	v_cvt_f64_f32_e32 v[4:5], v4
	global_store_b64 v[6:7], v[4:5], off
	flat_load_b64 v[4:5], v[8:9]
	s_waitcnt vmcnt(0) lgkmcnt(0)
	v_mul_f64 v[4:5], v[4:5], s[6:7]
	s_branch .LBB176_61
.LBB176_60:
	v_dual_mov_b32 v5, s1 :: v_dual_mov_b32 v4, s0
.LBB176_61:
	s_delay_alu instid0(VALU_DEP_1) | instskip(SKIP_4) | instid1(VALU_DEP_4)
	v_cvt_f32_f64_e32 v4, v[4:5]
	v_dual_max_f32 v5, v142, v142 :: v_dual_add_nc_u32 v6, 24, v12
	v_add_co_u32 v13, vcc_lo, v19, v2
	v_add_co_ci_u32_e32 v14, vcc_lo, v22, v3, vcc_lo
	v_max_f32_e32 v8, v141, v141
	v_ashrrev_i32_e32 v7, 31, v6
	s_mov_b32 vcc_lo, s2
	v_min_f32_e32 v4, v4, v5
	s_delay_alu instid0(VALU_DEP_1) | instskip(SKIP_1) | instid1(VALU_DEP_1)
	v_cvt_f64_f32_e32 v[9:10], v4
	v_add_nc_u32_e32 v4, 16, v12
	v_ashrrev_i32_e32 v5, 31, v4
	s_delay_alu instid0(VALU_DEP_1)
	v_lshlrev_b64 v[4:5], 3, v[4:5]
	global_store_b64 v[13:14], v[9:10], off
	s_cbranch_vccz .LBB176_64
; %bb.62:
	v_min_f32_e32 v9, 0, v8
	v_add_co_u32 v13, vcc_lo, v19, v4
	v_add_co_ci_u32_e32 v14, vcc_lo, v22, v5, vcc_lo
	s_delay_alu instid0(VALU_DEP_3)
	v_cvt_f64_f32_e32 v[9:10], v9
	s_mov_b64 s[0:1], 0
	global_store_b64 v[13:14], v[9:10], off
	v_lshlrev_b64 v[6:7], 3, v[6:7]
	s_cbranch_execz .LBB176_65
; %bb.63:
	v_dual_mov_b32 v9, s1 :: v_dual_mov_b32 v8, s0
	s_branch .LBB176_66
.LBB176_64:
                                        ; implicit-def: $sgpr0_sgpr1
	v_lshlrev_b64 v[6:7], 3, v[6:7]
.LBB176_65:
	v_add_co_u32 v9, vcc_lo, v16, v4
	v_add_co_ci_u32_e32 v10, vcc_lo, v17, v5, vcc_lo
	flat_load_b64 v[9:10], v[9:10]
	s_waitcnt vmcnt(0) lgkmcnt(0)
	v_mul_f64 v[9:10], v[9:10], s[6:7]
	s_delay_alu instid0(VALU_DEP_1)
	v_cvt_f32_f64_e32 v9, v[9:10]
	v_add_co_u32 v10, vcc_lo, v19, v4
	v_add_co_ci_u32_e32 v11, vcc_lo, v22, v5, vcc_lo
	v_add_co_u32 v13, vcc_lo, v16, v6
	v_add_co_ci_u32_e32 v14, vcc_lo, v17, v7, vcc_lo
	v_min_f32_e32 v8, v9, v8
	s_delay_alu instid0(VALU_DEP_1)
	v_cvt_f64_f32_e32 v[8:9], v8
	global_store_b64 v[10:11], v[8:9], off
	flat_load_b64 v[8:9], v[13:14]
	s_waitcnt vmcnt(0) lgkmcnt(0)
	v_mul_f64 v[8:9], v[8:9], s[6:7]
.LBB176_66:
	s_delay_alu instid0(VALU_DEP_1) | instskip(SKIP_4) | instid1(VALU_DEP_3)
	v_cvt_f32_f64_e32 v8, v[8:9]
	v_max_f32_e32 v9, v140, v140
	v_add_nc_u32_e32 v10, 40, v12
	v_add_co_u32 v23, vcc_lo, v19, v6
	v_add_co_ci_u32_e32 v24, vcc_lo, v22, v7, vcc_lo
	v_ashrrev_i32_e32 v11, 31, v10
	s_mov_b32 vcc_lo, s2
	v_dual_max_f32 v13, v139, v139 :: v_dual_min_f32 v8, v8, v9
	s_delay_alu instid0(VALU_DEP_1) | instskip(SKIP_1) | instid1(VALU_DEP_1)
	v_cvt_f64_f32_e32 v[14:15], v8
	v_add_nc_u32_e32 v8, 32, v12
	v_ashrrev_i32_e32 v9, 31, v8
	s_delay_alu instid0(VALU_DEP_1)
	v_lshlrev_b64 v[8:9], 3, v[8:9]
	global_store_b64 v[23:24], v[14:15], off
	s_cbranch_vccz .LBB176_69
; %bb.67:
	v_min_f32_e32 v14, 0, v13
	v_add_co_u32 v23, vcc_lo, v19, v8
	v_add_co_ci_u32_e32 v24, vcc_lo, v22, v9, vcc_lo
	s_delay_alu instid0(VALU_DEP_3)
	v_cvt_f64_f32_e32 v[14:15], v14
	s_mov_b64 s[0:1], 0
	global_store_b64 v[23:24], v[14:15], off
	v_lshlrev_b64 v[10:11], 3, v[10:11]
	s_cbranch_execz .LBB176_70
; %bb.68:
	v_dual_mov_b32 v14, s1 :: v_dual_mov_b32 v13, s0
	s_branch .LBB176_71
.LBB176_69:
                                        ; implicit-def: $sgpr0_sgpr1
	v_lshlrev_b64 v[10:11], 3, v[10:11]
.LBB176_70:
	v_add_co_u32 v14, vcc_lo, v16, v8
	v_add_co_ci_u32_e32 v15, vcc_lo, v17, v9, vcc_lo
	v_add_co_u32 v23, vcc_lo, v19, v8
	v_add_co_ci_u32_e32 v24, vcc_lo, v22, v9, vcc_lo
	flat_load_b64 v[14:15], v[14:15]
	v_add_co_u32 v27, vcc_lo, v16, v10
	v_add_co_ci_u32_e32 v28, vcc_lo, v17, v11, vcc_lo
	s_waitcnt vmcnt(0) lgkmcnt(0)
	v_mul_f64 v[14:15], v[14:15], s[6:7]
	s_delay_alu instid0(VALU_DEP_1) | instskip(NEXT) | instid1(VALU_DEP_1)
	v_cvt_f32_f64_e32 v14, v[14:15]
	v_min_f32_e32 v13, v14, v13
	s_delay_alu instid0(VALU_DEP_1)
	v_cvt_f64_f32_e32 v[13:14], v13
	global_store_b64 v[23:24], v[13:14], off
	flat_load_b64 v[13:14], v[27:28]
	s_waitcnt vmcnt(0) lgkmcnt(0)
	v_mul_f64 v[13:14], v[13:14], s[6:7]
.LBB176_71:
	s_delay_alu instid0(VALU_DEP_1) | instskip(SKIP_4) | instid1(VALU_DEP_3)
	v_cvt_f32_f64_e32 v13, v[13:14]
	v_dual_max_f32 v14, v136, v136 :: v_dual_max_f32 v21, v135, v135
	v_add_nc_u32_e32 v27, 48, v12
	v_add_co_u32 v29, vcc_lo, v19, v10
	v_add_co_ci_u32_e32 v30, vcc_lo, v22, v11, vcc_lo
	v_ashrrev_i32_e32 v28, 31, v27
	s_mov_b32 vcc_lo, s2
	v_dual_min_f32 v13, v13, v14 :: v_dual_add_nc_u32 v14, 56, v12
	s_delay_alu instid0(VALU_DEP_1) | instskip(NEXT) | instid1(VALU_DEP_3)
	v_cvt_f64_f32_e32 v[23:24], v13
	v_lshlrev_b64 v[12:13], 3, v[27:28]
	s_delay_alu instid0(VALU_DEP_3)
	v_ashrrev_i32_e32 v15, 31, v14
	global_store_b64 v[29:30], v[23:24], off
	s_cbranch_vccz .LBB176_74
; %bb.72:
	v_min_f32_e32 v23, 0, v21
	v_add_co_u32 v27, vcc_lo, v19, v12
	v_add_co_ci_u32_e32 v28, vcc_lo, v22, v13, vcc_lo
	s_delay_alu instid0(VALU_DEP_3)
	v_cvt_f64_f32_e32 v[23:24], v23
	s_mov_b64 s[0:1], 0
	global_store_b64 v[27:28], v[23:24], off
	v_lshlrev_b64 v[14:15], 3, v[14:15]
	s_cbranch_execz .LBB176_75
; %bb.73:
	v_dual_mov_b32 v17, s1 :: v_dual_mov_b32 v16, s0
	s_branch .LBB176_76
.LBB176_74:
                                        ; implicit-def: $sgpr0_sgpr1
	v_lshlrev_b64 v[14:15], 3, v[14:15]
.LBB176_75:
	v_add_co_u32 v23, vcc_lo, v16, v12
	v_add_co_ci_u32_e32 v24, vcc_lo, v17, v13, vcc_lo
	v_add_co_u32 v27, vcc_lo, v19, v12
	v_add_co_ci_u32_e32 v28, vcc_lo, v22, v13, vcc_lo
	flat_load_b64 v[23:24], v[23:24]
	v_add_co_u32 v16, vcc_lo, v16, v14
	v_add_co_ci_u32_e32 v17, vcc_lo, v17, v15, vcc_lo
	s_waitcnt vmcnt(0) lgkmcnt(0)
	v_mul_f64 v[23:24], v[23:24], s[6:7]
	s_delay_alu instid0(VALU_DEP_1) | instskip(NEXT) | instid1(VALU_DEP_1)
	v_cvt_f32_f64_e32 v23, v[23:24]
	v_min_f32_e32 v21, v23, v21
	s_delay_alu instid0(VALU_DEP_1)
	v_cvt_f64_f32_e32 v[23:24], v21
	global_store_b64 v[27:28], v[23:24], off
	flat_load_b64 v[16:17], v[16:17]
	s_waitcnt vmcnt(0) lgkmcnt(0)
	v_mul_f64 v[16:17], v[16:17], s[6:7]
.LBB176_76:
	s_delay_alu instid0(VALU_DEP_1) | instskip(SKIP_4) | instid1(VALU_DEP_1)
	v_cvt_f32_f64_e32 v16, v[16:17]
	v_max_f32_e32 v17, v134, v134
	v_add_co_u32 v31, vcc_lo, v19, v14
	v_add_co_ci_u32_e32 v32, vcc_lo, v22, v15, vcc_lo
	v_add_nc_u32_e32 v21, 32, v18
	v_mad_i64_i32 v[27:28], null, v21, s3, 0
	s_delay_alu instid0(VALU_DEP_1) | instskip(SKIP_1) | instid1(VALU_DEP_1)
	v_lshlrev_b64 v[27:28], 3, v[27:28]
	v_min_f32_e32 v16, v16, v17
	v_cvt_f64_f32_e32 v[24:25], v16
	v_mad_i64_i32 v[16:17], null, v21, s12, 0
	s_delay_alu instid0(VALU_DEP_1) | instskip(SKIP_1) | instid1(VALU_DEP_2)
	v_lshlrev_b64 v[29:30], 3, v[16:17]
	v_max_f32_e32 v16, v133, v133
	v_add_co_u32 v19, vcc_lo, s8, v29
	s_delay_alu instid0(VALU_DEP_3)
	v_add_co_ci_u32_e32 v22, vcc_lo, s9, v30, vcc_lo
	v_add_co_u32 v21, vcc_lo, s4, v27
	v_add_co_ci_u32_e32 v23, vcc_lo, s5, v28, vcc_lo
	s_mov_b32 vcc_lo, s2
	global_store_b64 v[31:32], v[24:25], off
	s_cbranch_vccz .LBB176_79
; %bb.77:
	v_min_f32_e32 v17, 0, v16
	v_add_co_u32 v27, vcc_lo, v19, v0
	v_add_co_ci_u32_e32 v28, vcc_lo, v22, v1, vcc_lo
	s_delay_alu instid0(VALU_DEP_3)
	v_cvt_f64_f32_e32 v[24:25], v17
	s_mov_b64 s[0:1], 0
	global_store_b64 v[27:28], v[24:25], off
	s_cbranch_execz .LBB176_80
; %bb.78:
	v_dual_mov_b32 v17, s1 :: v_dual_mov_b32 v16, s0
	s_branch .LBB176_81
.LBB176_79:
                                        ; implicit-def: $sgpr0_sgpr1
.LBB176_80:
	v_add_co_u32 v24, vcc_lo, v21, v0
	v_add_co_ci_u32_e32 v25, vcc_lo, v23, v1, vcc_lo
	flat_load_b64 v[24:25], v[24:25]
	s_waitcnt vmcnt(0) lgkmcnt(0)
	v_mul_f64 v[24:25], v[24:25], s[6:7]
	s_delay_alu instid0(VALU_DEP_1)
	v_cvt_f32_f64_e32 v17, v[24:25]
	v_add_co_u32 v24, vcc_lo, v19, v0
	v_add_co_ci_u32_e32 v25, vcc_lo, v22, v1, vcc_lo
	v_add_co_u32 v27, vcc_lo, v21, v2
	v_add_co_ci_u32_e32 v28, vcc_lo, v23, v3, vcc_lo
	v_min_f32_e32 v16, v17, v16
	s_delay_alu instid0(VALU_DEP_1)
	v_cvt_f64_f32_e32 v[16:17], v16
	global_store_b64 v[24:25], v[16:17], off
	flat_load_b64 v[16:17], v[27:28]
	s_waitcnt vmcnt(0) lgkmcnt(0)
	v_mul_f64 v[16:17], v[16:17], s[6:7]
.LBB176_81:
	s_delay_alu instid0(VALU_DEP_1) | instskip(SKIP_4) | instid1(VALU_DEP_3)
	v_cvt_f32_f64_e32 v16, v[16:17]
	v_max_f32_e32 v17, v200, v200
	v_add_co_u32 v27, vcc_lo, v19, v2
	v_add_co_ci_u32_e32 v28, vcc_lo, v22, v3, vcc_lo
	s_mov_b32 vcc_lo, s2
	v_min_f32_e32 v16, v16, v17
	s_delay_alu instid0(VALU_DEP_1)
	v_cvt_f64_f32_e32 v[24:25], v16
	v_max_f32_e32 v16, v26, v26
	global_store_b64 v[27:28], v[24:25], off
	s_cbranch_vccz .LBB176_84
; %bb.82:
	v_min_f32_e32 v17, 0, v16
	v_add_co_u32 v27, vcc_lo, v19, v4
	v_add_co_ci_u32_e32 v28, vcc_lo, v22, v5, vcc_lo
	s_delay_alu instid0(VALU_DEP_3)
	v_cvt_f64_f32_e32 v[24:25], v17
	s_mov_b64 s[0:1], 0
	global_store_b64 v[27:28], v[24:25], off
	s_cbranch_execz .LBB176_85
; %bb.83:
	v_dual_mov_b32 v17, s1 :: v_dual_mov_b32 v16, s0
	s_branch .LBB176_86
.LBB176_84:
                                        ; implicit-def: $sgpr0_sgpr1
.LBB176_85:
	v_add_co_u32 v24, vcc_lo, v21, v4
	v_add_co_ci_u32_e32 v25, vcc_lo, v23, v5, vcc_lo
	flat_load_b64 v[24:25], v[24:25]
	s_waitcnt vmcnt(0) lgkmcnt(0)
	v_mul_f64 v[24:25], v[24:25], s[6:7]
	s_delay_alu instid0(VALU_DEP_1)
	v_cvt_f32_f64_e32 v17, v[24:25]
	v_add_co_u32 v24, vcc_lo, v19, v4
	v_add_co_ci_u32_e32 v25, vcc_lo, v22, v5, vcc_lo
	v_add_co_u32 v27, vcc_lo, v21, v6
	v_add_co_ci_u32_e32 v28, vcc_lo, v23, v7, vcc_lo
	v_min_f32_e32 v16, v17, v16
	s_delay_alu instid0(VALU_DEP_1)
	v_cvt_f64_f32_e32 v[16:17], v16
	global_store_b64 v[24:25], v[16:17], off
	flat_load_b64 v[16:17], v[27:28]
	s_waitcnt vmcnt(0) lgkmcnt(0)
	v_mul_f64 v[16:17], v[16:17], s[6:7]
.LBB176_86:
	s_delay_alu instid0(VALU_DEP_1) | instskip(SKIP_4) | instid1(VALU_DEP_3)
	v_cvt_f32_f64_e32 v16, v[16:17]
	v_max_f32_e32 v17, v138, v138
	v_add_co_u32 v27, vcc_lo, v19, v6
	v_add_co_ci_u32_e32 v28, vcc_lo, v22, v7, vcc_lo
	s_mov_b32 vcc_lo, s2
	v_min_f32_e32 v16, v16, v17
	s_delay_alu instid0(VALU_DEP_1)
	v_cvt_f64_f32_e32 v[24:25], v16
	v_max_f32_e32 v16, v238, v238
	;; [unrolled: 46-line block ×3, first 2 shown]
	global_store_b64 v[27:28], v[24:25], off
	s_cbranch_vccz .LBB176_94
; %bb.92:
	v_min_f32_e32 v17, 0, v16
	v_add_co_u32 v27, vcc_lo, v19, v12
	v_add_co_ci_u32_e32 v28, vcc_lo, v22, v13, vcc_lo
	s_delay_alu instid0(VALU_DEP_3)
	v_cvt_f64_f32_e32 v[24:25], v17
	s_mov_b64 s[0:1], 0
	global_store_b64 v[27:28], v[24:25], off
	s_cbranch_execz .LBB176_95
; %bb.93:
	v_dual_mov_b32 v17, s1 :: v_dual_mov_b32 v16, s0
	s_branch .LBB176_96
.LBB176_94:
                                        ; implicit-def: $sgpr0_sgpr1
.LBB176_95:
	v_add_co_u32 v24, vcc_lo, v21, v12
	v_add_co_ci_u32_e32 v25, vcc_lo, v23, v13, vcc_lo
	flat_load_b64 v[24:25], v[24:25]
	s_waitcnt vmcnt(0) lgkmcnt(0)
	v_mul_f64 v[24:25], v[24:25], s[6:7]
	s_delay_alu instid0(VALU_DEP_1)
	v_cvt_f32_f64_e32 v17, v[24:25]
	v_add_co_u32 v24, vcc_lo, v19, v12
	v_add_co_ci_u32_e32 v25, vcc_lo, v22, v13, vcc_lo
	v_add_co_u32 v20, vcc_lo, v21, v14
	v_add_co_ci_u32_e32 v21, vcc_lo, v23, v15, vcc_lo
	v_min_f32_e32 v16, v17, v16
	s_delay_alu instid0(VALU_DEP_1)
	v_cvt_f64_f32_e32 v[16:17], v16
	global_store_b64 v[24:25], v[16:17], off
	flat_load_b64 v[16:17], v[20:21]
	s_waitcnt vmcnt(0) lgkmcnt(0)
	v_mul_f64 v[16:17], v[16:17], s[6:7]
.LBB176_96:
	s_delay_alu instid0(VALU_DEP_1) | instskip(SKIP_4) | instid1(VALU_DEP_1)
	v_cvt_f32_f64_e32 v16, v[16:17]
	v_max_f32_e32 v17, v105, v105
	v_add_co_u32 v28, vcc_lo, v19, v14
	v_add_co_ci_u32_e32 v29, vcc_lo, v22, v15, vcc_lo
	v_add_nc_u32_e32 v23, 64, v18
	v_mad_i64_i32 v[20:21], null, v23, s3, 0
	s_delay_alu instid0(VALU_DEP_1) | instskip(SKIP_1) | instid1(VALU_DEP_1)
	v_lshlrev_b64 v[21:22], 3, v[20:21]
	v_min_f32_e32 v16, v16, v17
	v_cvt_f64_f32_e32 v[24:25], v16
	v_mad_i64_i32 v[16:17], null, v23, s12, 0
	s_delay_alu instid0(VALU_DEP_1) | instskip(SKIP_1) | instid1(VALU_DEP_2)
	v_lshlrev_b64 v[26:27], 3, v[16:17]
	v_max_f32_e32 v16, v104, v104
	v_add_co_u32 v19, vcc_lo, s8, v26
	s_delay_alu instid0(VALU_DEP_3)
	v_add_co_ci_u32_e32 v20, vcc_lo, s9, v27, vcc_lo
	v_add_co_u32 v21, vcc_lo, s4, v21
	v_add_co_ci_u32_e32 v23, vcc_lo, s5, v22, vcc_lo
	s_mov_b32 vcc_lo, s2
	global_store_b64 v[28:29], v[24:25], off
	s_cbranch_vccz .LBB176_99
; %bb.97:
	v_min_f32_e32 v17, 0, v16
	v_add_co_u32 v26, vcc_lo, v19, v0
	v_add_co_ci_u32_e32 v27, vcc_lo, v20, v1, vcc_lo
	s_delay_alu instid0(VALU_DEP_3)
	v_cvt_f64_f32_e32 v[24:25], v17
	s_mov_b64 s[0:1], 0
	global_store_b64 v[26:27], v[24:25], off
	s_cbranch_execz .LBB176_100
; %bb.98:
	v_dual_mov_b32 v17, s1 :: v_dual_mov_b32 v16, s0
	s_branch .LBB176_101
.LBB176_99:
                                        ; implicit-def: $sgpr0_sgpr1
.LBB176_100:
	v_add_co_u32 v24, vcc_lo, v21, v0
	v_add_co_ci_u32_e32 v25, vcc_lo, v23, v1, vcc_lo
	flat_load_b64 v[24:25], v[24:25]
	s_waitcnt vmcnt(0) lgkmcnt(0)
	v_mul_f64 v[24:25], v[24:25], s[6:7]
	s_delay_alu instid0(VALU_DEP_1)
	v_cvt_f32_f64_e32 v17, v[24:25]
	v_add_co_u32 v24, vcc_lo, v19, v0
	v_add_co_ci_u32_e32 v25, vcc_lo, v20, v1, vcc_lo
	v_add_co_u32 v26, vcc_lo, v21, v2
	v_add_co_ci_u32_e32 v27, vcc_lo, v23, v3, vcc_lo
	v_min_f32_e32 v16, v17, v16
	s_delay_alu instid0(VALU_DEP_1)
	v_cvt_f64_f32_e32 v[16:17], v16
	global_store_b64 v[24:25], v[16:17], off
	flat_load_b64 v[16:17], v[26:27]
	s_waitcnt vmcnt(0) lgkmcnt(0)
	v_mul_f64 v[16:17], v[16:17], s[6:7]
.LBB176_101:
	s_delay_alu instid0(VALU_DEP_1) | instskip(SKIP_4) | instid1(VALU_DEP_3)
	v_cvt_f32_f64_e32 v16, v[16:17]
	v_max_f32_e32 v17, v49, v49
	v_add_co_u32 v26, vcc_lo, v19, v2
	v_add_co_ci_u32_e32 v27, vcc_lo, v20, v3, vcc_lo
	s_mov_b32 vcc_lo, s2
	v_min_f32_e32 v16, v16, v17
	s_delay_alu instid0(VALU_DEP_1)
	v_cvt_f64_f32_e32 v[24:25], v16
	v_max_f32_e32 v16, v114, v114
	global_store_b64 v[26:27], v[24:25], off
	s_cbranch_vccz .LBB176_104
; %bb.102:
	v_min_f32_e32 v17, 0, v16
	v_add_co_u32 v26, vcc_lo, v19, v4
	v_add_co_ci_u32_e32 v27, vcc_lo, v20, v5, vcc_lo
	s_delay_alu instid0(VALU_DEP_3)
	v_cvt_f64_f32_e32 v[24:25], v17
	s_mov_b64 s[0:1], 0
	global_store_b64 v[26:27], v[24:25], off
	s_cbranch_execz .LBB176_105
; %bb.103:
	v_dual_mov_b32 v17, s1 :: v_dual_mov_b32 v16, s0
	s_branch .LBB176_106
.LBB176_104:
                                        ; implicit-def: $sgpr0_sgpr1
.LBB176_105:
	v_add_co_u32 v24, vcc_lo, v21, v4
	v_add_co_ci_u32_e32 v25, vcc_lo, v23, v5, vcc_lo
	flat_load_b64 v[24:25], v[24:25]
	s_waitcnt vmcnt(0) lgkmcnt(0)
	v_mul_f64 v[24:25], v[24:25], s[6:7]
	s_delay_alu instid0(VALU_DEP_1)
	v_cvt_f32_f64_e32 v17, v[24:25]
	v_add_co_u32 v24, vcc_lo, v19, v4
	v_add_co_ci_u32_e32 v25, vcc_lo, v20, v5, vcc_lo
	v_add_co_u32 v26, vcc_lo, v21, v6
	v_add_co_ci_u32_e32 v27, vcc_lo, v23, v7, vcc_lo
	v_min_f32_e32 v16, v17, v16
	s_delay_alu instid0(VALU_DEP_1)
	v_cvt_f64_f32_e32 v[16:17], v16
	global_store_b64 v[24:25], v[16:17], off
	flat_load_b64 v[16:17], v[26:27]
	s_waitcnt vmcnt(0) lgkmcnt(0)
	v_mul_f64 v[16:17], v[16:17], s[6:7]
.LBB176_106:
	s_delay_alu instid0(VALU_DEP_1) | instskip(SKIP_4) | instid1(VALU_DEP_3)
	v_cvt_f32_f64_e32 v16, v[16:17]
	v_max_f32_e32 v17, v95, v95
	v_add_co_u32 v26, vcc_lo, v19, v6
	v_add_co_ci_u32_e32 v27, vcc_lo, v20, v7, vcc_lo
	s_mov_b32 vcc_lo, s2
	v_min_f32_e32 v16, v16, v17
	s_delay_alu instid0(VALU_DEP_1)
	v_cvt_f64_f32_e32 v[24:25], v16
	v_max_f32_e32 v16, v108, v108
	global_store_b64 v[26:27], v[24:25], off
	s_cbranch_vccz .LBB176_109
; %bb.107:
	v_min_f32_e32 v17, 0, v16
	v_add_co_u32 v26, vcc_lo, v19, v8
	v_add_co_ci_u32_e32 v27, vcc_lo, v20, v9, vcc_lo
	s_delay_alu instid0(VALU_DEP_3)
	v_cvt_f64_f32_e32 v[24:25], v17
	s_mov_b64 s[0:1], 0
	global_store_b64 v[26:27], v[24:25], off
	s_cbranch_execz .LBB176_110
; %bb.108:
	v_dual_mov_b32 v17, s1 :: v_dual_mov_b32 v16, s0
	s_branch .LBB176_111
.LBB176_109:
                                        ; implicit-def: $sgpr0_sgpr1
.LBB176_110:
	v_add_co_u32 v24, vcc_lo, v21, v8
	v_add_co_ci_u32_e32 v25, vcc_lo, v23, v9, vcc_lo
	flat_load_b64 v[24:25], v[24:25]
	s_waitcnt vmcnt(0) lgkmcnt(0)
	v_mul_f64 v[24:25], v[24:25], s[6:7]
	s_delay_alu instid0(VALU_DEP_1)
	v_cvt_f32_f64_e32 v17, v[24:25]
	v_add_co_u32 v24, vcc_lo, v19, v8
	v_add_co_ci_u32_e32 v25, vcc_lo, v20, v9, vcc_lo
	v_add_co_u32 v26, vcc_lo, v21, v10
	v_add_co_ci_u32_e32 v27, vcc_lo, v23, v11, vcc_lo
	v_min_f32_e32 v16, v17, v16
	s_delay_alu instid0(VALU_DEP_1)
	v_cvt_f64_f32_e32 v[16:17], v16
	global_store_b64 v[24:25], v[16:17], off
	flat_load_b64 v[16:17], v[26:27]
	s_waitcnt vmcnt(0) lgkmcnt(0)
	v_mul_f64 v[16:17], v[16:17], s[6:7]
.LBB176_111:
	s_delay_alu instid0(VALU_DEP_1) | instskip(SKIP_4) | instid1(VALU_DEP_3)
	v_cvt_f32_f64_e32 v16, v[16:17]
	v_max_f32_e32 v17, v46, v46
	v_add_co_u32 v26, vcc_lo, v19, v10
	v_add_co_ci_u32_e32 v27, vcc_lo, v20, v11, vcc_lo
	s_mov_b32 vcc_lo, s2
	v_min_f32_e32 v16, v16, v17
	s_delay_alu instid0(VALU_DEP_1)
	v_cvt_f64_f32_e32 v[24:25], v16
	v_max_f32_e32 v16, v99, v99
	global_store_b64 v[26:27], v[24:25], off
	s_cbranch_vccz .LBB176_114
; %bb.112:
	v_min_f32_e32 v17, 0, v16
	v_add_co_u32 v26, vcc_lo, v19, v12
	v_add_co_ci_u32_e32 v27, vcc_lo, v20, v13, vcc_lo
	s_delay_alu instid0(VALU_DEP_3)
	v_cvt_f64_f32_e32 v[24:25], v17
	s_mov_b64 s[0:1], 0
	global_store_b64 v[26:27], v[24:25], off
	s_cbranch_execz .LBB176_115
; %bb.113:
	v_dual_mov_b32 v17, s1 :: v_dual_mov_b32 v16, s0
	s_branch .LBB176_116
.LBB176_114:
                                        ; implicit-def: $sgpr0_sgpr1
.LBB176_115:
	v_add_co_u32 v24, vcc_lo, v21, v12
	v_add_co_ci_u32_e32 v25, vcc_lo, v23, v13, vcc_lo
	flat_load_b64 v[24:25], v[24:25]
	s_waitcnt vmcnt(0) lgkmcnt(0)
	v_mul_f64 v[24:25], v[24:25], s[6:7]
	s_delay_alu instid0(VALU_DEP_1)
	v_cvt_f32_f64_e32 v17, v[24:25]
	v_add_co_u32 v24, vcc_lo, v19, v12
	v_add_co_ci_u32_e32 v25, vcc_lo, v20, v13, vcc_lo
	v_add_co_u32 v21, vcc_lo, v21, v14
	v_add_co_ci_u32_e32 v22, vcc_lo, v23, v15, vcc_lo
	v_min_f32_e32 v16, v17, v16
	s_delay_alu instid0(VALU_DEP_1)
	v_cvt_f64_f32_e32 v[16:17], v16
	global_store_b64 v[24:25], v[16:17], off
	flat_load_b64 v[16:17], v[21:22]
	s_waitcnt vmcnt(0) lgkmcnt(0)
	v_mul_f64 v[16:17], v[16:17], s[6:7]
.LBB176_116:
	s_delay_alu instid0(VALU_DEP_1) | instskip(SKIP_4) | instid1(VALU_DEP_1)
	v_cvt_f32_f64_e32 v16, v[16:17]
	v_max_f32_e32 v17, v64, v64
	v_add_co_u32 v28, vcc_lo, v19, v14
	v_add_co_ci_u32_e32 v29, vcc_lo, v20, v15, vcc_lo
	v_add_nc_u32_e32 v23, 0x60, v18
	v_mad_i64_i32 v[21:22], null, v23, s3, 0
	s_delay_alu instid0(VALU_DEP_1) | instskip(SKIP_1) | instid1(VALU_DEP_1)
	v_lshlrev_b64 v[21:22], 3, v[21:22]
	v_min_f32_e32 v16, v16, v17
	v_cvt_f64_f32_e32 v[24:25], v16
	v_mad_i64_i32 v[16:17], null, v23, s12, 0
	s_delay_alu instid0(VALU_DEP_1) | instskip(SKIP_1) | instid1(VALU_DEP_2)
	v_lshlrev_b64 v[26:27], 3, v[16:17]
	v_max_f32_e32 v16, v112, v112
	v_add_co_u32 v19, vcc_lo, s8, v26
	s_delay_alu instid0(VALU_DEP_3)
	v_add_co_ci_u32_e32 v20, vcc_lo, s9, v27, vcc_lo
	v_add_co_u32 v21, vcc_lo, s4, v21
	v_add_co_ci_u32_e32 v23, vcc_lo, s5, v22, vcc_lo
	s_mov_b32 vcc_lo, s2
	global_store_b64 v[28:29], v[24:25], off
	s_cbranch_vccz .LBB176_119
; %bb.117:
	v_min_f32_e32 v17, 0, v16
	v_add_co_u32 v26, vcc_lo, v19, v0
	v_add_co_ci_u32_e32 v27, vcc_lo, v20, v1, vcc_lo
	s_delay_alu instid0(VALU_DEP_3)
	v_cvt_f64_f32_e32 v[24:25], v17
	s_mov_b64 s[0:1], 0
	global_store_b64 v[26:27], v[24:25], off
	s_cbranch_execz .LBB176_120
; %bb.118:
	v_dual_mov_b32 v17, s1 :: v_dual_mov_b32 v16, s0
	s_branch .LBB176_121
.LBB176_119:
                                        ; implicit-def: $sgpr0_sgpr1
.LBB176_120:
	v_add_co_u32 v24, vcc_lo, v21, v0
	v_add_co_ci_u32_e32 v25, vcc_lo, v23, v1, vcc_lo
	flat_load_b64 v[24:25], v[24:25]
	s_waitcnt vmcnt(0) lgkmcnt(0)
	v_mul_f64 v[24:25], v[24:25], s[6:7]
	s_delay_alu instid0(VALU_DEP_1)
	v_cvt_f32_f64_e32 v17, v[24:25]
	v_add_co_u32 v24, vcc_lo, v19, v0
	v_add_co_ci_u32_e32 v25, vcc_lo, v20, v1, vcc_lo
	v_add_co_u32 v26, vcc_lo, v21, v2
	v_add_co_ci_u32_e32 v27, vcc_lo, v23, v3, vcc_lo
	v_min_f32_e32 v16, v17, v16
	s_delay_alu instid0(VALU_DEP_1)
	v_cvt_f64_f32_e32 v[16:17], v16
	global_store_b64 v[24:25], v[16:17], off
	flat_load_b64 v[16:17], v[26:27]
	s_waitcnt vmcnt(0) lgkmcnt(0)
	v_mul_f64 v[16:17], v[16:17], s[6:7]
.LBB176_121:
	s_delay_alu instid0(VALU_DEP_1) | instskip(SKIP_4) | instid1(VALU_DEP_3)
	v_cvt_f32_f64_e32 v16, v[16:17]
	v_max_f32_e32 v17, v61, v61
	v_add_co_u32 v26, vcc_lo, v19, v2
	v_add_co_ci_u32_e32 v27, vcc_lo, v20, v3, vcc_lo
	s_mov_b32 vcc_lo, s2
	v_min_f32_e32 v16, v16, v17
	s_delay_alu instid0(VALU_DEP_1)
	v_cvt_f64_f32_e32 v[24:25], v16
	v_max_f32_e32 v16, v60, v60
	global_store_b64 v[26:27], v[24:25], off
	s_cbranch_vccz .LBB176_124
; %bb.122:
	v_min_f32_e32 v17, 0, v16
	v_add_co_u32 v26, vcc_lo, v19, v4
	v_add_co_ci_u32_e32 v27, vcc_lo, v20, v5, vcc_lo
	s_delay_alu instid0(VALU_DEP_3)
	v_cvt_f64_f32_e32 v[24:25], v17
	s_mov_b64 s[0:1], 0
	global_store_b64 v[26:27], v[24:25], off
	s_cbranch_execz .LBB176_125
; %bb.123:
	v_dual_mov_b32 v17, s1 :: v_dual_mov_b32 v16, s0
	s_branch .LBB176_126
.LBB176_124:
                                        ; implicit-def: $sgpr0_sgpr1
.LBB176_125:
	v_add_co_u32 v24, vcc_lo, v21, v4
	v_add_co_ci_u32_e32 v25, vcc_lo, v23, v5, vcc_lo
	flat_load_b64 v[24:25], v[24:25]
	s_waitcnt vmcnt(0) lgkmcnt(0)
	v_mul_f64 v[24:25], v[24:25], s[6:7]
	s_delay_alu instid0(VALU_DEP_1)
	v_cvt_f32_f64_e32 v17, v[24:25]
	v_add_co_u32 v24, vcc_lo, v19, v4
	v_add_co_ci_u32_e32 v25, vcc_lo, v20, v5, vcc_lo
	v_add_co_u32 v26, vcc_lo, v21, v6
	v_add_co_ci_u32_e32 v27, vcc_lo, v23, v7, vcc_lo
	v_min_f32_e32 v16, v17, v16
	s_delay_alu instid0(VALU_DEP_1)
	v_cvt_f64_f32_e32 v[16:17], v16
	global_store_b64 v[24:25], v[16:17], off
	flat_load_b64 v[16:17], v[26:27]
	s_waitcnt vmcnt(0) lgkmcnt(0)
	v_mul_f64 v[16:17], v[16:17], s[6:7]
.LBB176_126:
	s_delay_alu instid0(VALU_DEP_1) | instskip(SKIP_4) | instid1(VALU_DEP_3)
	v_cvt_f32_f64_e32 v16, v[16:17]
	v_max_f32_e32 v17, v243, v243
	v_add_co_u32 v26, vcc_lo, v19, v6
	v_add_co_ci_u32_e32 v27, vcc_lo, v20, v7, vcc_lo
	s_mov_b32 vcc_lo, s2
	v_min_f32_e32 v16, v16, v17
	s_delay_alu instid0(VALU_DEP_1)
	v_cvt_f64_f32_e32 v[24:25], v16
	v_max_f32_e32 v16, v107, v107
	;; [unrolled: 46-line block ×3, first 2 shown]
	global_store_b64 v[26:27], v[24:25], off
	s_cbranch_vccz .LBB176_134
; %bb.132:
	v_min_f32_e32 v17, 0, v16
	v_add_co_u32 v26, vcc_lo, v19, v12
	v_add_co_ci_u32_e32 v27, vcc_lo, v20, v13, vcc_lo
	s_delay_alu instid0(VALU_DEP_3)
	v_cvt_f64_f32_e32 v[24:25], v17
	s_mov_b64 s[0:1], 0
	global_store_b64 v[26:27], v[24:25], off
	s_cbranch_execz .LBB176_135
; %bb.133:
	v_dual_mov_b32 v17, s1 :: v_dual_mov_b32 v16, s0
	s_branch .LBB176_136
.LBB176_134:
                                        ; implicit-def: $sgpr0_sgpr1
.LBB176_135:
	v_add_co_u32 v24, vcc_lo, v21, v12
	v_add_co_ci_u32_e32 v25, vcc_lo, v23, v13, vcc_lo
	flat_load_b64 v[24:25], v[24:25]
	s_waitcnt vmcnt(0) lgkmcnt(0)
	v_mul_f64 v[24:25], v[24:25], s[6:7]
	s_delay_alu instid0(VALU_DEP_1)
	v_cvt_f32_f64_e32 v17, v[24:25]
	v_add_co_u32 v24, vcc_lo, v19, v12
	v_add_co_ci_u32_e32 v25, vcc_lo, v20, v13, vcc_lo
	v_add_co_u32 v21, vcc_lo, v21, v14
	v_add_co_ci_u32_e32 v22, vcc_lo, v23, v15, vcc_lo
	v_min_f32_e32 v16, v17, v16
	s_delay_alu instid0(VALU_DEP_1)
	v_cvt_f64_f32_e32 v[16:17], v16
	global_store_b64 v[24:25], v[16:17], off
	flat_load_b64 v[16:17], v[21:22]
	s_waitcnt vmcnt(0) lgkmcnt(0)
	v_mul_f64 v[16:17], v[16:17], s[6:7]
.LBB176_136:
	s_delay_alu instid0(VALU_DEP_1) | instskip(SKIP_4) | instid1(VALU_DEP_1)
	v_cvt_f32_f64_e32 v16, v[16:17]
	v_max_f32_e32 v17, v56, v56
	v_add_co_u32 v28, vcc_lo, v19, v14
	v_add_co_ci_u32_e32 v29, vcc_lo, v20, v15, vcc_lo
	v_add_nc_u32_e32 v23, 0x80, v18
	v_mad_i64_i32 v[21:22], null, v23, s3, 0
	s_delay_alu instid0(VALU_DEP_1) | instskip(SKIP_1) | instid1(VALU_DEP_1)
	v_lshlrev_b64 v[21:22], 3, v[21:22]
	v_min_f32_e32 v16, v16, v17
	v_cvt_f64_f32_e32 v[24:25], v16
	v_mad_i64_i32 v[16:17], null, v23, s12, 0
	s_delay_alu instid0(VALU_DEP_1) | instskip(SKIP_1) | instid1(VALU_DEP_2)
	v_lshlrev_b64 v[26:27], 3, v[16:17]
	v_max_f32_e32 v16, v40, v40
	v_add_co_u32 v19, vcc_lo, s8, v26
	s_delay_alu instid0(VALU_DEP_3)
	v_add_co_ci_u32_e32 v20, vcc_lo, s9, v27, vcc_lo
	v_add_co_u32 v21, vcc_lo, s4, v21
	v_add_co_ci_u32_e32 v23, vcc_lo, s5, v22, vcc_lo
	s_mov_b32 vcc_lo, s2
	global_store_b64 v[28:29], v[24:25], off
	s_cbranch_vccz .LBB176_139
; %bb.137:
	v_min_f32_e32 v17, 0, v16
	v_add_co_u32 v26, vcc_lo, v19, v0
	v_add_co_ci_u32_e32 v27, vcc_lo, v20, v1, vcc_lo
	s_delay_alu instid0(VALU_DEP_3)
	v_cvt_f64_f32_e32 v[24:25], v17
	s_mov_b64 s[0:1], 0
	global_store_b64 v[26:27], v[24:25], off
	s_cbranch_execz .LBB176_140
; %bb.138:
	v_dual_mov_b32 v17, s1 :: v_dual_mov_b32 v16, s0
	s_branch .LBB176_141
.LBB176_139:
                                        ; implicit-def: $sgpr0_sgpr1
.LBB176_140:
	v_add_co_u32 v24, vcc_lo, v21, v0
	v_add_co_ci_u32_e32 v25, vcc_lo, v23, v1, vcc_lo
	flat_load_b64 v[24:25], v[24:25]
	s_waitcnt vmcnt(0) lgkmcnt(0)
	v_mul_f64 v[24:25], v[24:25], s[6:7]
	s_delay_alu instid0(VALU_DEP_1)
	v_cvt_f32_f64_e32 v17, v[24:25]
	v_add_co_u32 v24, vcc_lo, v19, v0
	v_add_co_ci_u32_e32 v25, vcc_lo, v20, v1, vcc_lo
	v_add_co_u32 v26, vcc_lo, v21, v2
	v_add_co_ci_u32_e32 v27, vcc_lo, v23, v3, vcc_lo
	v_min_f32_e32 v16, v17, v16
	s_delay_alu instid0(VALU_DEP_1)
	v_cvt_f64_f32_e32 v[16:17], v16
	global_store_b64 v[24:25], v[16:17], off
	flat_load_b64 v[16:17], v[26:27]
	s_waitcnt vmcnt(0) lgkmcnt(0)
	v_mul_f64 v[16:17], v[16:17], s[6:7]
.LBB176_141:
	s_delay_alu instid0(VALU_DEP_1) | instskip(SKIP_4) | instid1(VALU_DEP_3)
	v_cvt_f32_f64_e32 v16, v[16:17]
	v_max_f32_e32 v17, v54, v54
	v_add_co_u32 v26, vcc_lo, v19, v2
	v_add_co_ci_u32_e32 v27, vcc_lo, v20, v3, vcc_lo
	s_mov_b32 vcc_lo, s2
	v_min_f32_e32 v16, v16, v17
	s_delay_alu instid0(VALU_DEP_1)
	v_cvt_f64_f32_e32 v[24:25], v16
	v_max_f32_e32 v16, v38, v38
	global_store_b64 v[26:27], v[24:25], off
	s_cbranch_vccz .LBB176_144
; %bb.142:
	v_min_f32_e32 v17, 0, v16
	v_add_co_u32 v26, vcc_lo, v19, v4
	v_add_co_ci_u32_e32 v27, vcc_lo, v20, v5, vcc_lo
	s_delay_alu instid0(VALU_DEP_3)
	v_cvt_f64_f32_e32 v[24:25], v17
	s_mov_b64 s[0:1], 0
	global_store_b64 v[26:27], v[24:25], off
	s_cbranch_execz .LBB176_145
; %bb.143:
	v_dual_mov_b32 v17, s1 :: v_dual_mov_b32 v16, s0
	s_branch .LBB176_146
.LBB176_144:
                                        ; implicit-def: $sgpr0_sgpr1
.LBB176_145:
	v_add_co_u32 v24, vcc_lo, v21, v4
	v_add_co_ci_u32_e32 v25, vcc_lo, v23, v5, vcc_lo
	flat_load_b64 v[24:25], v[24:25]
	s_waitcnt vmcnt(0) lgkmcnt(0)
	v_mul_f64 v[24:25], v[24:25], s[6:7]
	s_delay_alu instid0(VALU_DEP_1)
	v_cvt_f32_f64_e32 v17, v[24:25]
	v_add_co_u32 v24, vcc_lo, v19, v4
	v_add_co_ci_u32_e32 v25, vcc_lo, v20, v5, vcc_lo
	v_add_co_u32 v26, vcc_lo, v21, v6
	v_add_co_ci_u32_e32 v27, vcc_lo, v23, v7, vcc_lo
	v_min_f32_e32 v16, v17, v16
	s_delay_alu instid0(VALU_DEP_1)
	v_cvt_f64_f32_e32 v[16:17], v16
	global_store_b64 v[24:25], v[16:17], off
	flat_load_b64 v[16:17], v[26:27]
	s_waitcnt vmcnt(0) lgkmcnt(0)
	v_mul_f64 v[16:17], v[16:17], s[6:7]
.LBB176_146:
	s_delay_alu instid0(VALU_DEP_1) | instskip(SKIP_4) | instid1(VALU_DEP_3)
	v_cvt_f32_f64_e32 v16, v[16:17]
	v_max_f32_e32 v17, v37, v37
	v_add_co_u32 v26, vcc_lo, v19, v6
	v_add_co_ci_u32_e32 v27, vcc_lo, v20, v7, vcc_lo
	s_mov_b32 vcc_lo, s2
	v_min_f32_e32 v16, v16, v17
	s_delay_alu instid0(VALU_DEP_1)
	v_cvt_f64_f32_e32 v[24:25], v16
	v_max_f32_e32 v16, v52, v52
	;; [unrolled: 46-line block ×3, first 2 shown]
	global_store_b64 v[26:27], v[24:25], off
	s_cbranch_vccz .LBB176_154
; %bb.152:
	v_min_f32_e32 v17, 0, v16
	v_add_co_u32 v26, vcc_lo, v19, v12
	v_add_co_ci_u32_e32 v27, vcc_lo, v20, v13, vcc_lo
	s_delay_alu instid0(VALU_DEP_3)
	v_cvt_f64_f32_e32 v[24:25], v17
	s_mov_b64 s[0:1], 0
	global_store_b64 v[26:27], v[24:25], off
	s_cbranch_execz .LBB176_155
; %bb.153:
	v_dual_mov_b32 v17, s1 :: v_dual_mov_b32 v16, s0
	s_branch .LBB176_156
.LBB176_154:
                                        ; implicit-def: $sgpr0_sgpr1
.LBB176_155:
	v_add_co_u32 v24, vcc_lo, v21, v12
	v_add_co_ci_u32_e32 v25, vcc_lo, v23, v13, vcc_lo
	flat_load_b64 v[24:25], v[24:25]
	s_waitcnt vmcnt(0) lgkmcnt(0)
	v_mul_f64 v[24:25], v[24:25], s[6:7]
	s_delay_alu instid0(VALU_DEP_1)
	v_cvt_f32_f64_e32 v17, v[24:25]
	v_add_co_u32 v24, vcc_lo, v19, v12
	v_add_co_ci_u32_e32 v25, vcc_lo, v20, v13, vcc_lo
	v_add_co_u32 v21, vcc_lo, v21, v14
	v_add_co_ci_u32_e32 v22, vcc_lo, v23, v15, vcc_lo
	v_min_f32_e32 v16, v17, v16
	s_delay_alu instid0(VALU_DEP_1)
	v_cvt_f64_f32_e32 v[16:17], v16
	global_store_b64 v[24:25], v[16:17], off
	flat_load_b64 v[16:17], v[21:22]
	s_waitcnt vmcnt(0) lgkmcnt(0)
	v_mul_f64 v[16:17], v[16:17], s[6:7]
.LBB176_156:
	s_delay_alu instid0(VALU_DEP_1) | instskip(SKIP_4) | instid1(VALU_DEP_1)
	v_cvt_f32_f64_e32 v16, v[16:17]
	v_max_f32_e32 v17, v35, v35
	v_add_co_u32 v28, vcc_lo, v19, v14
	v_add_co_ci_u32_e32 v29, vcc_lo, v20, v15, vcc_lo
	v_add_nc_u32_e32 v23, 0xa0, v18
	v_mad_i64_i32 v[21:22], null, v23, s3, 0
	s_delay_alu instid0(VALU_DEP_1) | instskip(SKIP_1) | instid1(VALU_DEP_1)
	v_lshlrev_b64 v[21:22], 3, v[21:22]
	v_min_f32_e32 v16, v16, v17
	v_cvt_f64_f32_e32 v[24:25], v16
	v_mad_i64_i32 v[16:17], null, v23, s12, 0
	s_delay_alu instid0(VALU_DEP_1) | instskip(SKIP_1) | instid1(VALU_DEP_2)
	v_lshlrev_b64 v[26:27], 3, v[16:17]
	v_max_f32_e32 v16, v221, v221
	v_add_co_u32 v19, vcc_lo, s8, v26
	s_delay_alu instid0(VALU_DEP_3)
	v_add_co_ci_u32_e32 v20, vcc_lo, s9, v27, vcc_lo
	v_add_co_u32 v21, vcc_lo, s4, v21
	v_add_co_ci_u32_e32 v23, vcc_lo, s5, v22, vcc_lo
	s_mov_b32 vcc_lo, s2
	global_store_b64 v[28:29], v[24:25], off
	s_cbranch_vccz .LBB176_159
; %bb.157:
	v_min_f32_e32 v17, 0, v16
	v_add_co_u32 v26, vcc_lo, v19, v0
	v_add_co_ci_u32_e32 v27, vcc_lo, v20, v1, vcc_lo
	s_delay_alu instid0(VALU_DEP_3)
	v_cvt_f64_f32_e32 v[24:25], v17
	s_mov_b64 s[0:1], 0
	global_store_b64 v[26:27], v[24:25], off
	s_cbranch_execz .LBB176_160
; %bb.158:
	v_dual_mov_b32 v17, s1 :: v_dual_mov_b32 v16, s0
	s_branch .LBB176_161
.LBB176_159:
                                        ; implicit-def: $sgpr0_sgpr1
.LBB176_160:
	v_add_co_u32 v24, vcc_lo, v21, v0
	v_add_co_ci_u32_e32 v25, vcc_lo, v23, v1, vcc_lo
	flat_load_b64 v[24:25], v[24:25]
	s_waitcnt vmcnt(0) lgkmcnt(0)
	v_mul_f64 v[24:25], v[24:25], s[6:7]
	s_delay_alu instid0(VALU_DEP_1)
	v_cvt_f32_f64_e32 v17, v[24:25]
	v_add_co_u32 v24, vcc_lo, v19, v0
	v_add_co_ci_u32_e32 v25, vcc_lo, v20, v1, vcc_lo
	v_add_co_u32 v26, vcc_lo, v21, v2
	v_add_co_ci_u32_e32 v27, vcc_lo, v23, v3, vcc_lo
	v_min_f32_e32 v16, v17, v16
	s_delay_alu instid0(VALU_DEP_1)
	v_cvt_f64_f32_e32 v[16:17], v16
	global_store_b64 v[24:25], v[16:17], off
	flat_load_b64 v[16:17], v[26:27]
	s_waitcnt vmcnt(0) lgkmcnt(0)
	v_mul_f64 v[16:17], v[16:17], s[6:7]
.LBB176_161:
	s_delay_alu instid0(VALU_DEP_1) | instskip(SKIP_4) | instid1(VALU_DEP_3)
	v_cvt_f32_f64_e32 v16, v[16:17]
	v_max_f32_e32 v17, v222, v222
	v_add_co_u32 v26, vcc_lo, v19, v2
	v_add_co_ci_u32_e32 v27, vcc_lo, v20, v3, vcc_lo
	s_mov_b32 vcc_lo, s2
	v_min_f32_e32 v16, v16, v17
	s_delay_alu instid0(VALU_DEP_1)
	v_cvt_f64_f32_e32 v[24:25], v16
	v_max_f32_e32 v16, v223, v223
	global_store_b64 v[26:27], v[24:25], off
	s_cbranch_vccz .LBB176_164
; %bb.162:
	v_min_f32_e32 v17, 0, v16
	v_add_co_u32 v26, vcc_lo, v19, v4
	v_add_co_ci_u32_e32 v27, vcc_lo, v20, v5, vcc_lo
	s_delay_alu instid0(VALU_DEP_3)
	v_cvt_f64_f32_e32 v[24:25], v17
	s_mov_b32 s0, 0
	global_store_b64 v[26:27], v[24:25], off
	s_cbranch_execz .LBB176_165
; %bb.163:
	v_mov_b32_e32 v16, s0
	s_branch .LBB176_166
.LBB176_164:
	s_mov_b32 s0, -1
.LBB176_165:
	v_add_co_u32 v24, vcc_lo, v21, v4
	v_add_co_ci_u32_e32 v25, vcc_lo, v23, v5, vcc_lo
	flat_load_b64 v[24:25], v[24:25]
	s_waitcnt vmcnt(0) lgkmcnt(0)
	v_mul_f64 v[24:25], v[24:25], s[6:7]
	s_delay_alu instid0(VALU_DEP_1)
	v_cvt_f32_f64_e32 v17, v[24:25]
	v_add_co_u32 v24, vcc_lo, v19, v4
	v_add_co_ci_u32_e32 v25, vcc_lo, v20, v5, vcc_lo
	v_add_co_u32 v26, vcc_lo, v21, v6
	v_add_co_ci_u32_e32 v27, vcc_lo, v23, v7, vcc_lo
	v_min_f32_e32 v16, v17, v16
	s_delay_alu instid0(VALU_DEP_1) | instskip(SKIP_4) | instid1(VALU_DEP_1)
	v_cvt_f64_f32_e32 v[16:17], v16
	global_store_b64 v[24:25], v[16:17], off
	flat_load_b64 v[16:17], v[26:27]
	s_waitcnt vmcnt(0) lgkmcnt(0)
	v_mul_f64 v[16:17], v[16:17], s[6:7]
	v_cvt_f32_f64_e32 v16, v[16:17]
.LBB176_166:
	s_delay_alu instid0(VALU_DEP_1) | instskip(SKIP_2) | instid1(VALU_DEP_3)
	v_dual_max_f32 v17, v34, v34 :: v_dual_max_f32 v16, v16, v16
	v_add_co_u32 v26, vcc_lo, v19, v6
	v_add_co_ci_u32_e32 v27, vcc_lo, v20, v7, vcc_lo
	v_min_f32_e32 v16, v16, v17
	s_mov_b32 vcc_lo, s2
	s_delay_alu instid0(VALU_DEP_1)
	v_cvt_f64_f32_e32 v[24:25], v16
	v_max_f32_e32 v16, v51, v51
	global_store_b64 v[26:27], v[24:25], off
	s_cbranch_vccz .LBB176_169
; %bb.167:
	v_min_f32_e32 v17, 0, v16
	v_add_co_u32 v26, vcc_lo, v19, v8
	v_add_co_ci_u32_e32 v27, vcc_lo, v20, v9, vcc_lo
	s_delay_alu instid0(VALU_DEP_3)
	v_cvt_f64_f32_e32 v[24:25], v17
	s_mov_b32 s0, 0
	global_store_b64 v[26:27], v[24:25], off
	s_cbranch_execz .LBB176_170
; %bb.168:
	v_mov_b32_e32 v16, s0
	s_branch .LBB176_171
.LBB176_169:
	s_mov_b32 s0, -1
.LBB176_170:
	v_add_co_u32 v24, vcc_lo, v21, v8
	v_add_co_ci_u32_e32 v25, vcc_lo, v23, v9, vcc_lo
	flat_load_b64 v[24:25], v[24:25]
	s_waitcnt vmcnt(0) lgkmcnt(0)
	v_mul_f64 v[24:25], v[24:25], s[6:7]
	s_delay_alu instid0(VALU_DEP_1)
	v_cvt_f32_f64_e32 v17, v[24:25]
	v_add_co_u32 v24, vcc_lo, v19, v8
	v_add_co_ci_u32_e32 v25, vcc_lo, v20, v9, vcc_lo
	v_add_co_u32 v26, vcc_lo, v21, v10
	v_add_co_ci_u32_e32 v27, vcc_lo, v23, v11, vcc_lo
	v_min_f32_e32 v16, v17, v16
	s_delay_alu instid0(VALU_DEP_1) | instskip(SKIP_4) | instid1(VALU_DEP_1)
	v_cvt_f64_f32_e32 v[16:17], v16
	global_store_b64 v[24:25], v[16:17], off
	flat_load_b64 v[16:17], v[26:27]
	s_waitcnt vmcnt(0) lgkmcnt(0)
	v_mul_f64 v[16:17], v[16:17], s[6:7]
	v_cvt_f32_f64_e32 v16, v[16:17]
.LBB176_171:
	s_delay_alu instid0(VALU_DEP_1) | instskip(SKIP_2) | instid1(VALU_DEP_3)
	v_dual_max_f32 v17, v63, v63 :: v_dual_max_f32 v16, v16, v16
	v_add_co_u32 v26, vcc_lo, v19, v10
	v_add_co_ci_u32_e32 v27, vcc_lo, v20, v11, vcc_lo
	v_min_f32_e32 v16, v16, v17
	s_mov_b32 vcc_lo, s2
	s_delay_alu instid0(VALU_DEP_1)
	v_cvt_f64_f32_e32 v[24:25], v16
	v_max_f32_e32 v16, v62, v62
	global_store_b64 v[26:27], v[24:25], off
	s_cbranch_vccz .LBB176_174
; %bb.172:
	v_min_f32_e32 v17, 0, v16
	v_add_co_u32 v26, vcc_lo, v19, v12
	v_add_co_ci_u32_e32 v27, vcc_lo, v20, v13, vcc_lo
	s_delay_alu instid0(VALU_DEP_3)
	v_cvt_f64_f32_e32 v[24:25], v17
	s_mov_b32 s0, 0
	global_store_b64 v[26:27], v[24:25], off
	s_cbranch_execz .LBB176_175
; %bb.173:
	v_mov_b32_e32 v16, s0
	s_branch .LBB176_176
.LBB176_174:
	s_mov_b32 s0, -1
.LBB176_175:
	v_add_co_u32 v24, vcc_lo, v21, v12
	v_add_co_ci_u32_e32 v25, vcc_lo, v23, v13, vcc_lo
	flat_load_b64 v[24:25], v[24:25]
	s_waitcnt vmcnt(0) lgkmcnt(0)
	v_mul_f64 v[24:25], v[24:25], s[6:7]
	s_delay_alu instid0(VALU_DEP_1)
	v_cvt_f32_f64_e32 v17, v[24:25]
	v_add_co_u32 v24, vcc_lo, v19, v12
	v_add_co_ci_u32_e32 v25, vcc_lo, v20, v13, vcc_lo
	v_add_co_u32 v21, vcc_lo, v21, v14
	v_add_co_ci_u32_e32 v22, vcc_lo, v23, v15, vcc_lo
	v_min_f32_e32 v16, v17, v16
	s_delay_alu instid0(VALU_DEP_1) | instskip(SKIP_4) | instid1(VALU_DEP_1)
	v_cvt_f64_f32_e32 v[16:17], v16
	global_store_b64 v[24:25], v[16:17], off
	flat_load_b64 v[16:17], v[21:22]
	s_waitcnt vmcnt(0) lgkmcnt(0)
	v_mul_f64 v[16:17], v[16:17], s[6:7]
	v_cvt_f32_f64_e32 v16, v[16:17]
.LBB176_176:
	v_max_f32_e32 v17, v244, v244
	s_delay_alu instid0(VALU_DEP_2) | instskip(SKIP_2) | instid1(VALU_DEP_3)
	v_dual_max_f32 v16, v16, v16 :: v_dual_add_nc_u32 v21, 0xc0, v18
	v_add_co_u32 v26, vcc_lo, v19, v14
	v_add_co_ci_u32_e32 v27, vcc_lo, v20, v15, vcc_lo
	v_min_f32_e32 v16, v16, v17
	s_delay_alu instid0(VALU_DEP_4) | instskip(NEXT) | instid1(VALU_DEP_2)
	v_mad_i64_i32 v[24:25], null, v21, s3, 0
	v_cvt_f64_f32_e32 v[22:23], v16
	v_mad_i64_i32 v[16:17], null, v21, s12, 0
	v_max_f32_e32 v21, v241, v241
	s_delay_alu instid0(VALU_DEP_4) | instskip(NEXT) | instid1(VALU_DEP_3)
	v_lshlrev_b64 v[19:20], 3, v[24:25]
	v_lshlrev_b64 v[16:17], 3, v[16:17]
	s_delay_alu instid0(VALU_DEP_1) | instskip(NEXT) | instid1(VALU_DEP_2)
	v_add_co_u32 v16, vcc_lo, s8, v16
	v_add_co_ci_u32_e32 v17, vcc_lo, s9, v17, vcc_lo
	s_delay_alu instid0(VALU_DEP_4)
	v_add_co_u32 v19, vcc_lo, s4, v19
	v_add_co_ci_u32_e32 v20, vcc_lo, s5, v20, vcc_lo
	s_mov_b32 vcc_lo, s2
	global_store_b64 v[26:27], v[22:23], off
	s_cbranch_vccz .LBB176_179
; %bb.177:
	v_min_f32_e32 v22, 0, v21
	v_add_co_u32 v24, vcc_lo, v16, v0
	v_add_co_ci_u32_e32 v25, vcc_lo, v17, v1, vcc_lo
	s_delay_alu instid0(VALU_DEP_3)
	v_cvt_f64_f32_e32 v[22:23], v22
	s_mov_b32 s0, 0
	global_store_b64 v[24:25], v[22:23], off
	s_cbranch_execz .LBB176_180
; %bb.178:
	v_mov_b32_e32 v21, s0
	s_branch .LBB176_181
.LBB176_179:
	s_mov_b32 s0, -1
.LBB176_180:
	v_add_co_u32 v22, vcc_lo, v19, v0
	v_add_co_ci_u32_e32 v23, vcc_lo, v20, v1, vcc_lo
	flat_load_b64 v[22:23], v[22:23]
	s_waitcnt vmcnt(0) lgkmcnt(0)
	v_mul_f64 v[22:23], v[22:23], s[6:7]
	s_delay_alu instid0(VALU_DEP_1)
	v_cvt_f32_f64_e32 v22, v[22:23]
	v_add_co_u32 v23, vcc_lo, v16, v0
	v_add_co_ci_u32_e32 v24, vcc_lo, v17, v1, vcc_lo
	v_add_co_u32 v25, vcc_lo, v19, v2
	v_add_co_ci_u32_e32 v26, vcc_lo, v20, v3, vcc_lo
	v_min_f32_e32 v21, v22, v21
	s_delay_alu instid0(VALU_DEP_1) | instskip(SKIP_4) | instid1(VALU_DEP_1)
	v_cvt_f64_f32_e32 v[21:22], v21
	global_store_b64 v[23:24], v[21:22], off
	flat_load_b64 v[21:22], v[25:26]
	s_waitcnt vmcnt(0) lgkmcnt(0)
	v_mul_f64 v[21:22], v[21:22], s[6:7]
	v_cvt_f32_f64_e32 v21, v[21:22]
.LBB176_181:
	v_max_f32_e32 v22, v237, v237
	s_delay_alu instid0(VALU_DEP_2) | instskip(SKIP_2) | instid1(VALU_DEP_3)
	v_max_f32_e32 v21, v21, v21
	v_add_co_u32 v24, vcc_lo, v16, v2
	v_add_co_ci_u32_e32 v25, vcc_lo, v17, v3, vcc_lo
	v_min_f32_e32 v21, v21, v22
	s_mov_b32 vcc_lo, s2
	s_delay_alu instid0(VALU_DEP_1)
	v_cvt_f64_f32_e32 v[22:23], v21
	v_max_f32_e32 v21, v204, v204
	global_store_b64 v[24:25], v[22:23], off
	s_cbranch_vccz .LBB176_184
; %bb.182:
	v_min_f32_e32 v22, 0, v21
	v_add_co_u32 v24, vcc_lo, v16, v4
	v_add_co_ci_u32_e32 v25, vcc_lo, v17, v5, vcc_lo
	s_delay_alu instid0(VALU_DEP_3)
	v_cvt_f64_f32_e32 v[22:23], v22
	s_mov_b32 s0, 0
	global_store_b64 v[24:25], v[22:23], off
	s_cbranch_execz .LBB176_185
; %bb.183:
	v_mov_b32_e32 v21, s0
	s_branch .LBB176_186
.LBB176_184:
	s_mov_b32 s0, -1
.LBB176_185:
	v_add_co_u32 v22, vcc_lo, v19, v4
	v_add_co_ci_u32_e32 v23, vcc_lo, v20, v5, vcc_lo
	flat_load_b64 v[22:23], v[22:23]
	s_waitcnt vmcnt(0) lgkmcnt(0)
	v_mul_f64 v[22:23], v[22:23], s[6:7]
	s_delay_alu instid0(VALU_DEP_1)
	v_cvt_f32_f64_e32 v22, v[22:23]
	v_add_co_u32 v23, vcc_lo, v16, v4
	v_add_co_ci_u32_e32 v24, vcc_lo, v17, v5, vcc_lo
	v_add_co_u32 v25, vcc_lo, v19, v6
	v_add_co_ci_u32_e32 v26, vcc_lo, v20, v7, vcc_lo
	v_min_f32_e32 v21, v22, v21
	s_delay_alu instid0(VALU_DEP_1) | instskip(SKIP_4) | instid1(VALU_DEP_1)
	v_cvt_f64_f32_e32 v[21:22], v21
	global_store_b64 v[23:24], v[21:22], off
	flat_load_b64 v[21:22], v[25:26]
	s_waitcnt vmcnt(0) lgkmcnt(0)
	v_mul_f64 v[21:22], v[21:22], s[6:7]
	v_cvt_f32_f64_e32 v21, v[21:22]
.LBB176_186:
	s_delay_alu instid0(VALU_DEP_1) | instskip(SKIP_2) | instid1(VALU_DEP_3)
	v_dual_max_f32 v22, v203, v203 :: v_dual_max_f32 v21, v21, v21
	v_add_co_u32 v24, vcc_lo, v16, v6
	v_add_co_ci_u32_e32 v25, vcc_lo, v17, v7, vcc_lo
	v_min_f32_e32 v21, v21, v22
	s_mov_b32 vcc_lo, s2
	s_delay_alu instid0(VALU_DEP_1)
	v_cvt_f64_f32_e32 v[22:23], v21
	v_max_f32_e32 v21, v83, v83
	global_store_b64 v[24:25], v[22:23], off
	s_cbranch_vccz .LBB176_189
; %bb.187:
	v_min_f32_e32 v22, 0, v21
	v_add_co_u32 v24, vcc_lo, v16, v8
	v_add_co_ci_u32_e32 v25, vcc_lo, v17, v9, vcc_lo
	s_delay_alu instid0(VALU_DEP_3)
	v_cvt_f64_f32_e32 v[22:23], v22
	s_mov_b32 s0, 0
	global_store_b64 v[24:25], v[22:23], off
	s_cbranch_execz .LBB176_190
; %bb.188:
	v_mov_b32_e32 v21, s0
	s_branch .LBB176_191
.LBB176_189:
	s_mov_b32 s0, -1
.LBB176_190:
	v_add_co_u32 v22, vcc_lo, v19, v8
	v_add_co_ci_u32_e32 v23, vcc_lo, v20, v9, vcc_lo
	flat_load_b64 v[22:23], v[22:23]
	s_waitcnt vmcnt(0) lgkmcnt(0)
	v_mul_f64 v[22:23], v[22:23], s[6:7]
	s_delay_alu instid0(VALU_DEP_1)
	v_cvt_f32_f64_e32 v22, v[22:23]
	v_add_co_u32 v23, vcc_lo, v16, v8
	v_add_co_ci_u32_e32 v24, vcc_lo, v17, v9, vcc_lo
	v_add_co_u32 v25, vcc_lo, v19, v10
	v_add_co_ci_u32_e32 v26, vcc_lo, v20, v11, vcc_lo
	v_min_f32_e32 v21, v22, v21
	s_delay_alu instid0(VALU_DEP_1) | instskip(SKIP_4) | instid1(VALU_DEP_1)
	v_cvt_f64_f32_e32 v[21:22], v21
	global_store_b64 v[23:24], v[21:22], off
	flat_load_b64 v[21:22], v[25:26]
	s_waitcnt vmcnt(0) lgkmcnt(0)
	v_mul_f64 v[21:22], v[21:22], s[6:7]
	v_cvt_f32_f64_e32 v21, v[21:22]
.LBB176_191:
	s_delay_alu instid0(VALU_DEP_1) | instskip(SKIP_2) | instid1(VALU_DEP_3)
	v_dual_max_f32 v22, v199, v199 :: v_dual_max_f32 v21, v21, v21
	v_add_co_u32 v24, vcc_lo, v16, v10
	v_add_co_ci_u32_e32 v25, vcc_lo, v17, v11, vcc_lo
	v_min_f32_e32 v21, v21, v22
	s_mov_b32 vcc_lo, s2
	s_delay_alu instid0(VALU_DEP_1)
	v_cvt_f64_f32_e32 v[22:23], v21
	v_max_f32_e32 v21, v82, v82
	global_store_b64 v[24:25], v[22:23], off
	s_cbranch_vccz .LBB176_194
; %bb.192:
	v_min_f32_e32 v22, 0, v21
	v_add_co_u32 v24, vcc_lo, v16, v12
	v_add_co_ci_u32_e32 v25, vcc_lo, v17, v13, vcc_lo
	s_delay_alu instid0(VALU_DEP_3)
	v_cvt_f64_f32_e32 v[22:23], v22
	s_mov_b32 s0, 0
	global_store_b64 v[24:25], v[22:23], off
	s_cbranch_execz .LBB176_195
; %bb.193:
	v_mov_b32_e32 v19, s0
	s_branch .LBB176_196
.LBB176_194:
	s_mov_b32 s0, -1
.LBB176_195:
	v_add_co_u32 v22, vcc_lo, v19, v12
	v_add_co_ci_u32_e32 v23, vcc_lo, v20, v13, vcc_lo
	flat_load_b64 v[22:23], v[22:23]
	s_waitcnt vmcnt(0) lgkmcnt(0)
	v_mul_f64 v[22:23], v[22:23], s[6:7]
	s_delay_alu instid0(VALU_DEP_1)
	v_cvt_f32_f64_e32 v22, v[22:23]
	v_add_co_u32 v23, vcc_lo, v16, v12
	v_add_co_ci_u32_e32 v24, vcc_lo, v17, v13, vcc_lo
	v_add_co_u32 v19, vcc_lo, v19, v14
	v_add_co_ci_u32_e32 v20, vcc_lo, v20, v15, vcc_lo
	v_min_f32_e32 v21, v22, v21
	s_delay_alu instid0(VALU_DEP_1) | instskip(SKIP_4) | instid1(VALU_DEP_1)
	v_cvt_f64_f32_e32 v[21:22], v21
	global_store_b64 v[23:24], v[21:22], off
	flat_load_b64 v[19:20], v[19:20]
	s_waitcnt vmcnt(0) lgkmcnt(0)
	v_mul_f64 v[19:20], v[19:20], s[6:7]
	v_cvt_f32_f64_e32 v19, v[19:20]
.LBB176_196:
	s_delay_alu instid0(VALU_DEP_1) | instskip(SKIP_2) | instid1(VALU_DEP_3)
	v_dual_max_f32 v20, v130, v130 :: v_dual_max_f32 v19, v19, v19
	v_add_co_u32 v25, vcc_lo, v16, v14
	v_add_co_ci_u32_e32 v26, vcc_lo, v17, v15, vcc_lo
	v_dual_min_f32 v19, v19, v20 :: v_dual_add_nc_u32 v20, 0xe0, v18
	s_delay_alu instid0(VALU_DEP_1) | instskip(NEXT) | instid1(VALU_DEP_2)
	v_cvt_f64_f32_e32 v[21:22], v19
	v_mad_i64_i32 v[18:19], null, v20, s12, 0
	v_mad_i64_i32 v[23:24], null, v20, s3, 0
	v_max_f32_e32 v20, v137, v137
	s_delay_alu instid0(VALU_DEP_3) | instskip(NEXT) | instid1(VALU_DEP_3)
	v_lshlrev_b64 v[18:19], 3, v[18:19]
	v_lshlrev_b64 v[23:24], 3, v[23:24]
	s_delay_alu instid0(VALU_DEP_2) | instskip(NEXT) | instid1(VALU_DEP_3)
	v_add_co_u32 v16, vcc_lo, s8, v18
	v_add_co_ci_u32_e32 v17, vcc_lo, s9, v19, vcc_lo
	s_delay_alu instid0(VALU_DEP_3) | instskip(NEXT) | instid1(VALU_DEP_4)
	v_add_co_u32 v18, vcc_lo, s4, v23
	v_add_co_ci_u32_e32 v19, vcc_lo, s5, v24, vcc_lo
	s_mov_b32 vcc_lo, s2
	global_store_b64 v[25:26], v[21:22], off
	s_cbranch_vccz .LBB176_199
; %bb.197:
	v_min_f32_e32 v21, 0, v20
	v_add_co_u32 v23, vcc_lo, v16, v0
	v_add_co_ci_u32_e32 v24, vcc_lo, v17, v1, vcc_lo
	s_delay_alu instid0(VALU_DEP_3)
	v_cvt_f64_f32_e32 v[21:22], v21
	s_mov_b32 s0, 0
	global_store_b64 v[23:24], v[21:22], off
	s_cbranch_execz .LBB176_200
; %bb.198:
	v_mov_b32_e32 v0, s0
	s_branch .LBB176_201
.LBB176_199:
	s_mov_b32 s0, -1
.LBB176_200:
	v_add_co_u32 v21, vcc_lo, v18, v0
	v_add_co_ci_u32_e32 v22, vcc_lo, v19, v1, vcc_lo
	v_add_co_u32 v0, vcc_lo, v16, v0
	v_add_co_ci_u32_e32 v1, vcc_lo, v17, v1, vcc_lo
	flat_load_b64 v[21:22], v[21:22]
	s_waitcnt vmcnt(0) lgkmcnt(0)
	v_mul_f64 v[21:22], v[21:22], s[6:7]
	s_delay_alu instid0(VALU_DEP_1) | instskip(SKIP_2) | instid1(VALU_DEP_3)
	v_cvt_f32_f64_e32 v21, v[21:22]
	v_add_co_u32 v22, vcc_lo, v18, v2
	v_add_co_ci_u32_e32 v23, vcc_lo, v19, v3, vcc_lo
	v_min_f32_e32 v20, v21, v20
	s_delay_alu instid0(VALU_DEP_1) | instskip(SKIP_4) | instid1(VALU_DEP_1)
	v_cvt_f64_f32_e32 v[20:21], v20
	global_store_b64 v[0:1], v[20:21], off
	flat_load_b64 v[0:1], v[22:23]
	s_waitcnt vmcnt(0) lgkmcnt(0)
	v_mul_f64 v[0:1], v[0:1], s[6:7]
	v_cvt_f32_f64_e32 v0, v[0:1]
.LBB176_201:
	s_delay_alu instid0(VALU_DEP_1) | instskip(NEXT) | instid1(VALU_DEP_1)
	v_dual_max_f32 v1, v129, v129 :: v_dual_max_f32 v0, v0, v0
	v_min_f32_e32 v0, v0, v1
	v_add_co_u32 v1, vcc_lo, v16, v2
	v_add_co_ci_u32_e32 v2, vcc_lo, v17, v3, vcc_lo
	s_delay_alu instid0(VALU_DEP_3)
	v_cvt_f64_f32_e32 v[20:21], v0
	v_max_f32_e32 v0, v128, v128
	s_mov_b32 vcc_lo, s2
	global_store_b64 v[1:2], v[20:21], off
	s_cbranch_vccz .LBB176_204
; %bb.202:
	v_min_f32_e32 v1, 0, v0
	v_add_co_u32 v20, vcc_lo, v16, v4
	v_add_co_ci_u32_e32 v21, vcc_lo, v17, v5, vcc_lo
	s_delay_alu instid0(VALU_DEP_3)
	v_cvt_f64_f32_e32 v[1:2], v1
	s_mov_b32 s0, 0
	global_store_b64 v[20:21], v[1:2], off
	s_cbranch_execz .LBB176_205
; %bb.203:
	v_mov_b32_e32 v0, s0
	s_branch .LBB176_206
.LBB176_204:
	s_mov_b32 s0, -1
.LBB176_205:
	v_add_co_u32 v1, vcc_lo, v18, v4
	v_add_co_ci_u32_e32 v2, vcc_lo, v19, v5, vcc_lo
	flat_load_b64 v[1:2], v[1:2]
	s_waitcnt vmcnt(0) lgkmcnt(0)
	v_mul_f64 v[1:2], v[1:2], s[6:7]
	s_delay_alu instid0(VALU_DEP_1)
	v_cvt_f32_f64_e32 v1, v[1:2]
	v_add_co_u32 v2, vcc_lo, v16, v4
	v_add_co_ci_u32_e32 v3, vcc_lo, v17, v5, vcc_lo
	v_add_co_u32 v4, vcc_lo, v18, v6
	v_add_co_ci_u32_e32 v5, vcc_lo, v19, v7, vcc_lo
	v_min_f32_e32 v0, v1, v0
	s_delay_alu instid0(VALU_DEP_1) | instskip(SKIP_4) | instid1(VALU_DEP_1)
	v_cvt_f64_f32_e32 v[0:1], v0
	global_store_b64 v[2:3], v[0:1], off
	flat_load_b64 v[0:1], v[4:5]
	s_waitcnt vmcnt(0) lgkmcnt(0)
	v_mul_f64 v[0:1], v[0:1], s[6:7]
	v_cvt_f32_f64_e32 v0, v[0:1]
.LBB176_206:
	s_delay_alu instid0(VALU_DEP_1) | instskip(SKIP_2) | instid1(VALU_DEP_3)
	v_dual_max_f32 v1, v126, v126 :: v_dual_max_f32 v0, v0, v0
	v_add_co_u32 v3, vcc_lo, v16, v6
	v_add_co_ci_u32_e32 v4, vcc_lo, v17, v7, vcc_lo
	v_min_f32_e32 v0, v0, v1
	s_mov_b32 vcc_lo, s2
	s_delay_alu instid0(VALU_DEP_1)
	v_cvt_f64_f32_e32 v[1:2], v0
	v_max_f32_e32 v0, v123, v123
	global_store_b64 v[3:4], v[1:2], off
	s_cbranch_vccz .LBB176_209
; %bb.207:
	v_min_f32_e32 v1, 0, v0
	v_add_co_u32 v3, vcc_lo, v16, v8
	v_add_co_ci_u32_e32 v4, vcc_lo, v17, v9, vcc_lo
	s_delay_alu instid0(VALU_DEP_3)
	v_cvt_f64_f32_e32 v[1:2], v1
	s_mov_b32 s0, 0
	global_store_b64 v[3:4], v[1:2], off
	s_cbranch_execz .LBB176_210
; %bb.208:
	v_mov_b32_e32 v0, s0
	s_branch .LBB176_211
.LBB176_209:
	s_mov_b32 s0, -1
.LBB176_210:
	v_add_co_u32 v1, vcc_lo, v18, v8
	v_add_co_ci_u32_e32 v2, vcc_lo, v19, v9, vcc_lo
	flat_load_b64 v[1:2], v[1:2]
	s_waitcnt vmcnt(0) lgkmcnt(0)
	v_mul_f64 v[1:2], v[1:2], s[6:7]
	s_delay_alu instid0(VALU_DEP_1)
	v_cvt_f32_f64_e32 v1, v[1:2]
	v_add_co_u32 v2, vcc_lo, v16, v8
	v_add_co_ci_u32_e32 v3, vcc_lo, v17, v9, vcc_lo
	v_add_co_u32 v4, vcc_lo, v18, v10
	v_add_co_ci_u32_e32 v5, vcc_lo, v19, v11, vcc_lo
	v_min_f32_e32 v0, v1, v0
	s_delay_alu instid0(VALU_DEP_1) | instskip(SKIP_4) | instid1(VALU_DEP_1)
	v_cvt_f64_f32_e32 v[0:1], v0
	global_store_b64 v[2:3], v[0:1], off
	flat_load_b64 v[0:1], v[4:5]
	s_waitcnt vmcnt(0) lgkmcnt(0)
	v_mul_f64 v[0:1], v[0:1], s[6:7]
	v_cvt_f32_f64_e32 v0, v[0:1]
.LBB176_211:
	s_delay_alu instid0(VALU_DEP_1) | instskip(SKIP_2) | instid1(VALU_DEP_3)
	v_dual_max_f32 v1, v122, v122 :: v_dual_max_f32 v0, v0, v0
	v_add_co_u32 v3, vcc_lo, v16, v10
	v_add_co_ci_u32_e32 v4, vcc_lo, v17, v11, vcc_lo
	v_min_f32_e32 v0, v0, v1
	s_mov_b32 vcc_lo, s2
	s_delay_alu instid0(VALU_DEP_1)
	v_cvt_f64_f32_e32 v[1:2], v0
	v_max_f32_e32 v0, v117, v117
	global_store_b64 v[3:4], v[1:2], off
	s_cbranch_vccz .LBB176_214
; %bb.212:
	v_min_f32_e32 v1, 0, v0
	v_add_co_u32 v3, vcc_lo, v16, v12
	v_add_co_ci_u32_e32 v4, vcc_lo, v17, v13, vcc_lo
	s_delay_alu instid0(VALU_DEP_3)
	v_cvt_f64_f32_e32 v[1:2], v1
	s_mov_b32 s0, 0
	global_store_b64 v[3:4], v[1:2], off
	s_cbranch_execz .LBB176_215
; %bb.213:
	v_mov_b32_e32 v0, s0
	s_branch .LBB176_216
.LBB176_214:
	s_mov_b32 s0, -1
.LBB176_215:
	v_add_co_u32 v1, vcc_lo, v18, v12
	v_add_co_ci_u32_e32 v2, vcc_lo, v19, v13, vcc_lo
	flat_load_b64 v[1:2], v[1:2]
	s_waitcnt vmcnt(0) lgkmcnt(0)
	v_mul_f64 v[1:2], v[1:2], s[6:7]
	s_delay_alu instid0(VALU_DEP_1)
	v_cvt_f32_f64_e32 v1, v[1:2]
	v_add_co_u32 v2, vcc_lo, v16, v12
	v_add_co_ci_u32_e32 v3, vcc_lo, v17, v13, vcc_lo
	v_add_co_u32 v4, vcc_lo, v18, v14
	v_add_co_ci_u32_e32 v5, vcc_lo, v19, v15, vcc_lo
	v_min_f32_e32 v0, v1, v0
	s_delay_alu instid0(VALU_DEP_1) | instskip(SKIP_4) | instid1(VALU_DEP_1)
	v_cvt_f64_f32_e32 v[0:1], v0
	global_store_b64 v[2:3], v[0:1], off
	flat_load_b64 v[0:1], v[4:5]
	s_waitcnt vmcnt(0) lgkmcnt(0)
	v_mul_f64 v[0:1], v[0:1], s[6:7]
	v_cvt_f32_f64_e32 v0, v[0:1]
.LBB176_216:
	v_max_f32_e32 v1, v116, v116
	s_delay_alu instid0(VALU_DEP_2) | instskip(SKIP_2) | instid1(VALU_DEP_3)
	v_max_f32_e32 v0, v0, v0
	v_add_co_u32 v2, vcc_lo, v16, v14
	v_add_co_ci_u32_e32 v3, vcc_lo, v17, v15, vcc_lo
	v_min_f32_e32 v0, v0, v1
	s_delay_alu instid0(VALU_DEP_1)
	v_cvt_f64_f32_e32 v[0:1], v0
	global_store_b64 v[2:3], v[0:1], off
	s_endpgm
	.section	.rodata,"a",@progbits
	.p2align	6, 0x0
	.amdhsa_kernel _ZN12_GLOBAL__N_120geam_min_plus_kernelId15HIP_vector_typeIdLj2EEdLi8ELi32ELi64ELi256ELi4ELi4ELi64ELi64ELi4ELc84ELc84ELb0ELb0ELb1EdKddEEviiiT16_PT17_ilS6_ilS4_S6_ilPT18_ili26rocblas_geam_ex_operation_
		.amdhsa_group_segment_fixed_size 20480
		.amdhsa_private_segment_fixed_size 420
		.amdhsa_kernarg_size 136
		.amdhsa_user_sgpr_count 14
		.amdhsa_user_sgpr_dispatch_ptr 0
		.amdhsa_user_sgpr_queue_ptr 0
		.amdhsa_user_sgpr_kernarg_segment_ptr 1
		.amdhsa_user_sgpr_dispatch_id 0
		.amdhsa_user_sgpr_private_segment_size 0
		.amdhsa_wavefront_size32 1
		.amdhsa_uses_dynamic_stack 0
		.amdhsa_enable_private_segment 1
		.amdhsa_system_sgpr_workgroup_id_x 1
		.amdhsa_system_sgpr_workgroup_id_y 0
		.amdhsa_system_sgpr_workgroup_id_z 1
		.amdhsa_system_sgpr_workgroup_info 0
		.amdhsa_system_vgpr_workitem_id 1
		.amdhsa_next_free_vgpr 256
		.amdhsa_next_free_sgpr 25
		.amdhsa_reserve_vcc 1
		.amdhsa_float_round_mode_32 0
		.amdhsa_float_round_mode_16_64 0
		.amdhsa_float_denorm_mode_32 3
		.amdhsa_float_denorm_mode_16_64 3
		.amdhsa_dx10_clamp 1
		.amdhsa_ieee_mode 1
		.amdhsa_fp16_overflow 0
		.amdhsa_workgroup_processor_mode 1
		.amdhsa_memory_ordered 1
		.amdhsa_forward_progress 0
		.amdhsa_shared_vgpr_count 0
		.amdhsa_exception_fp_ieee_invalid_op 0
		.amdhsa_exception_fp_denorm_src 0
		.amdhsa_exception_fp_ieee_div_zero 0
		.amdhsa_exception_fp_ieee_overflow 0
		.amdhsa_exception_fp_ieee_underflow 0
		.amdhsa_exception_fp_ieee_inexact 0
		.amdhsa_exception_int_div_zero 0
	.end_amdhsa_kernel
	.section	.text._ZN12_GLOBAL__N_120geam_min_plus_kernelId15HIP_vector_typeIdLj2EEdLi8ELi32ELi64ELi256ELi4ELi4ELi64ELi64ELi4ELc84ELc84ELb0ELb0ELb1EdKddEEviiiT16_PT17_ilS6_ilS4_S6_ilPT18_ili26rocblas_geam_ex_operation_,"axG",@progbits,_ZN12_GLOBAL__N_120geam_min_plus_kernelId15HIP_vector_typeIdLj2EEdLi8ELi32ELi64ELi256ELi4ELi4ELi64ELi64ELi4ELc84ELc84ELb0ELb0ELb1EdKddEEviiiT16_PT17_ilS6_ilS4_S6_ilPT18_ili26rocblas_geam_ex_operation_,comdat
.Lfunc_end176:
	.size	_ZN12_GLOBAL__N_120geam_min_plus_kernelId15HIP_vector_typeIdLj2EEdLi8ELi32ELi64ELi256ELi4ELi4ELi64ELi64ELi4ELc84ELc84ELb0ELb0ELb1EdKddEEviiiT16_PT17_ilS6_ilS4_S6_ilPT18_ili26rocblas_geam_ex_operation_, .Lfunc_end176-_ZN12_GLOBAL__N_120geam_min_plus_kernelId15HIP_vector_typeIdLj2EEdLi8ELi32ELi64ELi256ELi4ELi4ELi64ELi64ELi4ELc84ELc84ELb0ELb0ELb1EdKddEEviiiT16_PT17_ilS6_ilS4_S6_ilPT18_ili26rocblas_geam_ex_operation_
                                        ; -- End function
	.section	.AMDGPU.csdata,"",@progbits
; Kernel info:
; codeLenInByte = 24040
; NumSgprs: 27
; NumVgprs: 256
; ScratchSize: 420
; MemoryBound: 1
; FloatMode: 240
; IeeeMode: 1
; LDSByteSize: 20480 bytes/workgroup (compile time only)
; SGPRBlocks: 3
; VGPRBlocks: 31
; NumSGPRsForWavesPerEU: 27
; NumVGPRsForWavesPerEU: 256
; Occupancy: 5
; WaveLimiterHint : 1
; COMPUTE_PGM_RSRC2:SCRATCH_EN: 1
; COMPUTE_PGM_RSRC2:USER_SGPR: 14
; COMPUTE_PGM_RSRC2:TRAP_HANDLER: 0
; COMPUTE_PGM_RSRC2:TGID_X_EN: 1
; COMPUTE_PGM_RSRC2:TGID_Y_EN: 0
; COMPUTE_PGM_RSRC2:TGID_Z_EN: 1
; COMPUTE_PGM_RSRC2:TIDIG_COMP_CNT: 1
	.section	.text._ZN12_GLOBAL__N_120geam_min_plus_kernelId15HIP_vector_typeIdLj2EEdLi8ELi32ELi64ELi256ELi4ELi4ELi64ELi64ELi4ELc84ELc84ELb0ELb1ELb1EPKdS3_dEEviiiT16_PT17_ilS7_ilS5_S7_ilPT18_ili26rocblas_geam_ex_operation_,"axG",@progbits,_ZN12_GLOBAL__N_120geam_min_plus_kernelId15HIP_vector_typeIdLj2EEdLi8ELi32ELi64ELi256ELi4ELi4ELi64ELi64ELi4ELc84ELc84ELb0ELb1ELb1EPKdS3_dEEviiiT16_PT17_ilS7_ilS5_S7_ilPT18_ili26rocblas_geam_ex_operation_,comdat
	.globl	_ZN12_GLOBAL__N_120geam_min_plus_kernelId15HIP_vector_typeIdLj2EEdLi8ELi32ELi64ELi256ELi4ELi4ELi64ELi64ELi4ELc84ELc84ELb0ELb1ELb1EPKdS3_dEEviiiT16_PT17_ilS7_ilS5_S7_ilPT18_ili26rocblas_geam_ex_operation_ ; -- Begin function _ZN12_GLOBAL__N_120geam_min_plus_kernelId15HIP_vector_typeIdLj2EEdLi8ELi32ELi64ELi256ELi4ELi4ELi64ELi64ELi4ELc84ELc84ELb0ELb1ELb1EPKdS3_dEEviiiT16_PT17_ilS7_ilS5_S7_ilPT18_ili26rocblas_geam_ex_operation_
	.p2align	8
	.type	_ZN12_GLOBAL__N_120geam_min_plus_kernelId15HIP_vector_typeIdLj2EEdLi8ELi32ELi64ELi256ELi4ELi4ELi64ELi64ELi4ELc84ELc84ELb0ELb1ELb1EPKdS3_dEEviiiT16_PT17_ilS7_ilS5_S7_ilPT18_ili26rocblas_geam_ex_operation_,@function
_ZN12_GLOBAL__N_120geam_min_plus_kernelId15HIP_vector_typeIdLj2EEdLi8ELi32ELi64ELi256ELi4ELi4ELi64ELi64ELi4ELc84ELc84ELb0ELb1ELb1EPKdS3_dEEviiiT16_PT17_ilS7_ilS5_S7_ilPT18_ili26rocblas_geam_ex_operation_: ; @_ZN12_GLOBAL__N_120geam_min_plus_kernelId15HIP_vector_typeIdLj2EEdLi8ELi32ELi64ELi256ELi4ELi4ELi64ELi64ELi4ELc84ELc84ELb0ELb1ELb1EPKdS3_dEEviiiT16_PT17_ilS7_ilS5_S7_ilPT18_ili26rocblas_geam_ex_operation_
; %bb.0:
	s_clause 0x1
	s_load_b128 s[8:11], s[0:1], 0x10
	s_load_b128 s[4:7], s[0:1], 0x28
	s_mov_b32 s22, s15
	s_mov_b32 s23, 0
	s_mov_b64 s[26:27], 0
	s_lshl_b64 s[12:13], s[22:23], 3
	s_mov_b64 s[28:29], 0
	s_waitcnt lgkmcnt(0)
	s_add_u32 s2, s8, s12
	s_addc_u32 s3, s9, s13
	s_load_b64 s[24:25], s[2:3], 0x0
	s_clause 0x1
	s_load_b128 s[16:19], s[0:1], 0x40
	s_load_b64 s[2:3], s[0:1], 0x50
	s_waitcnt lgkmcnt(0)
	s_add_u32 s8, s18, s12
	v_cmp_eq_f64_e64 s23, s[24:25], 0
	v_cmp_neq_f64_e64 s15, s[24:25], 0
	s_addc_u32 s9, s19, s13
	s_delay_alu instid0(VALU_DEP_2)
	s_and_b32 vcc_lo, exec_lo, s23
	s_cbranch_vccnz .LBB177_2
; %bb.1:
	s_mul_i32 s5, s22, s5
	s_mul_hi_u32 s12, s22, s4
	s_mul_i32 s4, s22, s4
	s_add_i32 s5, s12, s5
	s_delay_alu instid0(SALU_CYCLE_1) | instskip(NEXT) | instid1(SALU_CYCLE_1)
	s_lshl_b64 s[4:5], s[4:5], 3
	s_add_u32 s28, s10, s4
	s_addc_u32 s29, s11, s5
.LBB177_2:
	s_load_b64 s[12:13], s[8:9], 0x0
	s_delay_alu instid0(VALU_DEP_1)
	s_and_not1_b32 vcc_lo, exec_lo, s15
	s_cbranch_vccnz .LBB177_4
; %bb.3:
	s_mul_i32 s4, s22, s17
	s_mul_hi_u32 s5, s22, s16
	s_delay_alu instid0(SALU_CYCLE_1) | instskip(SKIP_1) | instid1(SALU_CYCLE_1)
	s_add_i32 s5, s5, s4
	s_mul_i32 s4, s22, s16
	s_lshl_b64 s[4:5], s[4:5], 3
	s_delay_alu instid0(SALU_CYCLE_1)
	s_add_u32 s26, s6, s4
	s_addc_u32 s27, s7, s5
.LBB177_4:
	s_waitcnt lgkmcnt(0)
	v_cmp_eq_f64_e64 s4, s[12:13], 0
	v_cmp_neq_f64_e64 s15, s[12:13], 0
	s_load_b128 s[8:11], s[0:1], 0x60
	s_mov_b64 s[20:21], 0
	s_delay_alu instid0(VALU_DEP_2)
	s_and_b32 vcc_lo, exec_lo, s4
	s_cbranch_vccnz .LBB177_6
; %bb.5:
	s_waitcnt lgkmcnt(0)
	s_mul_i32 s4, s22, s9
	s_mul_hi_u32 s5, s22, s8
	s_delay_alu instid0(SALU_CYCLE_1) | instskip(SKIP_1) | instid1(SALU_CYCLE_1)
	s_add_i32 s5, s5, s4
	s_mul_i32 s4, s22, s8
	s_lshl_b64 s[4:5], s[4:5], 3
	s_delay_alu instid0(SALU_CYCLE_1)
	s_add_u32 s20, s2, s4
	s_addc_u32 s21, s3, s5
.LBB177_6:
	s_clause 0x1
	s_load_b128 s[16:19], s[0:1], 0x0
	s_load_b32 s31, s[0:1], 0x20
	v_and_b32_e32 v121, 0x3ff, v0
	v_bfe_u32 v122, v0, 10, 10
	s_delay_alu instid0(VALU_DEP_2) | instskip(NEXT) | instid1(VALU_DEP_2)
	v_and_b32_e32 v132, 3, v121
	v_lshl_add_u32 v2, v122, 3, v121
	s_delay_alu instid0(VALU_DEP_2) | instskip(NEXT) | instid1(VALU_DEP_2)
	v_lshlrev_b32_e32 v11, 3, v132
	v_lshrrev_b32_e32 v10, 2, v2
	s_waitcnt lgkmcnt(0)
	s_add_i32 s4, s16, -1
	v_cmp_le_i32_e32 vcc_lo, s18, v132
	s_ashr_i32 s2, s4, 31
	s_delay_alu instid0(SALU_CYCLE_1) | instskip(NEXT) | instid1(SALU_CYCLE_1)
	s_lshr_b32 s2, s2, 26
	s_add_i32 s2, s4, s2
	s_delay_alu instid0(SALU_CYCLE_1) | instskip(NEXT) | instid1(SALU_CYCLE_1)
	s_ashr_i32 s2, s2, 6
	s_add_i32 s5, s2, 1
	s_not_b32 s2, s2
	v_cvt_f32_u32_e32 v1, s5
	s_delay_alu instid0(VALU_DEP_1) | instskip(SKIP_2) | instid1(VALU_DEP_1)
	v_rcp_iflag_f32_e32 v1, v1
	s_waitcnt_depctr 0xfff
	v_mul_f32_e32 v1, 0x4f7ffffe, v1
	v_cvt_u32_f32_e32 v1, v1
	s_delay_alu instid0(VALU_DEP_1) | instskip(NEXT) | instid1(VALU_DEP_1)
	v_readfirstlane_b32 s3, v1
	s_mul_i32 s2, s2, s3
	s_delay_alu instid0(SALU_CYCLE_1) | instskip(NEXT) | instid1(SALU_CYCLE_1)
	s_mul_hi_u32 s2, s3, s2
	s_add_i32 s3, s3, s2
	s_delay_alu instid0(SALU_CYCLE_1) | instskip(NEXT) | instid1(SALU_CYCLE_1)
	s_mul_hi_u32 s2, s14, s3
	s_mul_i32 s3, s2, s5
	s_add_i32 s6, s2, 1
	s_sub_i32 s3, s14, s3
	s_delay_alu instid0(SALU_CYCLE_1)
	s_sub_i32 s7, s3, s5
	s_cmp_ge_u32 s3, s5
	s_cselect_b32 s2, s6, s2
	s_cselect_b32 s3, s7, s3
	s_add_i32 s6, s2, 1
	s_cmp_ge_u32 s3, s5
	s_cselect_b32 s3, s6, s2
	s_delay_alu instid0(SALU_CYCLE_1) | instskip(NEXT) | instid1(SALU_CYCLE_1)
	s_mul_i32 s2, s3, s5
	s_sub_i32 s2, s14, s2
	s_delay_alu instid0(SALU_CYCLE_1) | instskip(NEXT) | instid1(SALU_CYCLE_1)
	s_lshl_b32 s8, s2, 6
	v_add_nc_u32_e32 v0, s8, v10
	s_delay_alu instid0(VALU_DEP_1) | instskip(SKIP_1) | instid1(VALU_DEP_2)
	v_cmp_le_i32_e64 s2, s16, v0
	v_min_i32_e32 v64, s4, v0
	s_or_b32 s4, vcc_lo, s2
	s_delay_alu instid0(SALU_CYCLE_1) | instskip(SKIP_2) | instid1(SALU_CYCLE_1)
	v_cndmask_b32_e64 v1, 0, 0x7fefffff, s4
	v_cndmask_b32_e64 v0, 0, -1, s4
	s_or_b32 s4, s23, s4
	s_xor_b32 s5, s4, -1
	s_delay_alu instid0(SALU_CYCLE_1)
	s_and_saveexec_b32 s4, s5
	s_cbranch_execz .LBB177_8
; %bb.7:
	v_mad_i64_i32 v[0:1], null, v64, s31, 0
	s_delay_alu instid0(VALU_DEP_1) | instskip(NEXT) | instid1(VALU_DEP_1)
	v_lshlrev_b64 v[0:1], 3, v[0:1]
	v_add_co_u32 v0, vcc_lo, s28, v0
	s_delay_alu instid0(VALU_DEP_2) | instskip(NEXT) | instid1(VALU_DEP_2)
	v_add_co_ci_u32_e32 v1, vcc_lo, s29, v1, vcc_lo
	v_add_co_u32 v0, vcc_lo, v0, v11
	s_delay_alu instid0(VALU_DEP_2)
	v_add_co_ci_u32_e32 v1, vcc_lo, 0, v1, vcc_lo
	flat_load_b64 v[0:1], v[0:1]
	s_waitcnt vmcnt(0) lgkmcnt(0)
	v_mul_f64 v[0:1], s[24:25], v[0:1]
.LBB177_8:
	s_or_b32 exec_lo, exec_lo, s4
	s_load_b32 s14, s[0:1], 0x38
	v_lshrrev_b32_e32 v133, 6, v2
	s_add_i32 s19, s18, -1
	v_and_b32_e32 v65, 63, v2
	s_lshl_b32 s9, s3, 8
	s_delay_alu instid0(VALU_DEP_2) | instskip(SKIP_1) | instid1(VALU_DEP_3)
	v_min_i32_e32 v4, s19, v133
	v_cmp_le_i32_e32 vcc_lo, s18, v133
	v_or_b32_e32 v52, s9, v65
	s_delay_alu instid0(VALU_DEP_1) | instskip(SKIP_1) | instid1(VALU_DEP_2)
	v_cmp_le_i32_e64 s3, s17, v52
	v_ashrrev_i32_e32 v53, 31, v52
	s_or_b32 s5, s3, vcc_lo
	s_waitcnt lgkmcnt(0)
	v_mad_i64_i32 v[2:3], null, s14, v4, 0
	s_delay_alu instid0(VALU_DEP_1) | instskip(SKIP_2) | instid1(VALU_DEP_3)
	v_lshlrev_b64 v[4:5], 3, v[2:3]
	v_cndmask_b32_e64 v3, 0, 0x7fefffff, s5
	v_cndmask_b32_e64 v2, 0, -1, s5
	v_add_co_u32 v12, s4, s26, v4
	s_delay_alu instid0(VALU_DEP_1) | instskip(SKIP_1) | instid1(SALU_CYCLE_1)
	v_add_co_ci_u32_e64 v13, s4, s27, v5, s4
	s_or_b32 s4, s23, s5
	s_xor_b32 s4, s4, -1
	s_delay_alu instid0(SALU_CYCLE_1)
	s_and_saveexec_b32 s5, s4
	s_cbranch_execz .LBB177_10
; %bb.9:
	v_lshlrev_b64 v[2:3], 3, v[52:53]
	s_delay_alu instid0(VALU_DEP_1) | instskip(NEXT) | instid1(VALU_DEP_1)
	v_add_co_u32 v2, s4, v12, v2
	v_add_co_ci_u32_e64 v3, s4, v13, v3, s4
	flat_load_b64 v[2:3], v[2:3]
	s_waitcnt vmcnt(0) lgkmcnt(0)
	v_mul_f64 v[2:3], s[24:25], v[2:3]
.LBB177_10:
	s_or_b32 exec_lo, exec_lo, s5
	v_or_b32_e32 v4, 64, v52
	s_delay_alu instid0(VALU_DEP_1) | instskip(NEXT) | instid1(VALU_DEP_1)
	v_cmp_le_i32_e64 s4, s17, v4
	s_or_b32 s5, s4, vcc_lo
	s_delay_alu instid0(SALU_CYCLE_1) | instskip(SKIP_2) | instid1(SALU_CYCLE_1)
	v_cndmask_b32_e64 v5, 0, 0x7fefffff, s5
	v_cndmask_b32_e64 v4, 0, -1, s5
	s_or_b32 s5, s23, s5
	s_xor_b32 s5, s5, -1
	s_delay_alu instid0(SALU_CYCLE_1)
	s_and_saveexec_b32 s6, s5
	s_cbranch_execz .LBB177_12
; %bb.11:
	v_lshlrev_b64 v[4:5], 3, v[52:53]
	s_delay_alu instid0(VALU_DEP_1) | instskip(NEXT) | instid1(VALU_DEP_1)
	v_add_co_u32 v4, s5, v12, v4
	v_add_co_ci_u32_e64 v5, s5, v13, v5, s5
	flat_load_b64 v[4:5], v[4:5] offset:512
	s_waitcnt vmcnt(0) lgkmcnt(0)
	v_mul_f64 v[4:5], s[24:25], v[4:5]
.LBB177_12:
	s_or_b32 exec_lo, exec_lo, s6
	v_or_b32_e32 v6, 0x80, v52
	s_delay_alu instid0(VALU_DEP_1) | instskip(NEXT) | instid1(VALU_DEP_1)
	v_cmp_le_i32_e64 s5, s17, v6
	s_or_b32 s6, s5, vcc_lo
	s_delay_alu instid0(SALU_CYCLE_1) | instskip(SKIP_2) | instid1(SALU_CYCLE_1)
	v_cndmask_b32_e64 v7, 0, 0x7fefffff, s6
	v_cndmask_b32_e64 v6, 0, -1, s6
	s_or_b32 s6, s23, s6
	s_xor_b32 s6, s6, -1
	s_delay_alu instid0(SALU_CYCLE_1)
	s_and_saveexec_b32 s7, s6
	s_cbranch_execz .LBB177_14
; %bb.13:
	v_lshlrev_b64 v[6:7], 3, v[52:53]
	s_delay_alu instid0(VALU_DEP_1) | instskip(NEXT) | instid1(VALU_DEP_1)
	v_add_co_u32 v6, s6, v12, v6
	v_add_co_ci_u32_e64 v7, s6, v13, v7, s6
	flat_load_b64 v[6:7], v[6:7] offset:1024
	s_waitcnt vmcnt(0) lgkmcnt(0)
	v_mul_f64 v[6:7], s[24:25], v[6:7]
.LBB177_14:
	s_or_b32 exec_lo, exec_lo, s7
	v_or_b32_e32 v8, 0xc0, v52
	s_delay_alu instid0(VALU_DEP_1) | instskip(NEXT) | instid1(VALU_DEP_1)
	v_cmp_le_i32_e64 s6, s17, v8
	s_or_b32 s7, s6, vcc_lo
	s_delay_alu instid0(SALU_CYCLE_1) | instskip(SKIP_2) | instid1(SALU_CYCLE_1)
	v_cndmask_b32_e64 v9, 0, 0x7fefffff, s7
	v_cndmask_b32_e64 v8, 0, -1, s7
	s_or_b32 s7, s23, s7
	s_xor_b32 s30, s7, -1
	s_delay_alu instid0(SALU_CYCLE_1)
	s_and_saveexec_b32 s7, s30
	s_cbranch_execz .LBB177_16
; %bb.15:
	v_lshlrev_b64 v[8:9], 3, v[52:53]
	s_delay_alu instid0(VALU_DEP_1) | instskip(NEXT) | instid1(VALU_DEP_2)
	v_add_co_u32 v8, vcc_lo, v12, v8
	v_add_co_ci_u32_e32 v9, vcc_lo, v13, v9, vcc_lo
	flat_load_b64 v[8:9], v[8:9] offset:1536
	s_waitcnt vmcnt(0) lgkmcnt(0)
	v_mul_f64 v[8:9], s[24:25], v[8:9]
.LBB177_16:
	s_or_b32 exec_lo, exec_lo, s7
	v_or_b32_e32 v12, 4, v132
	s_delay_alu instid0(VALU_DEP_1) | instskip(SKIP_1) | instid1(SALU_CYCLE_1)
	v_cmp_le_i32_e32 vcc_lo, s18, v12
	s_or_b32 s7, vcc_lo, s2
	v_cndmask_b32_e64 v55, 0, 0x7fefffff, s7
	v_cndmask_b32_e64 v54, 0, -1, s7
	s_or_b32 s7, s23, s7
	s_delay_alu instid0(SALU_CYCLE_1) | instskip(NEXT) | instid1(SALU_CYCLE_1)
	s_xor_b32 s30, s7, -1
	s_and_saveexec_b32 s7, s30
	s_cbranch_execz .LBB177_18
; %bb.17:
	v_mad_i64_i32 v[12:13], null, v64, s31, 0
	s_delay_alu instid0(VALU_DEP_1) | instskip(NEXT) | instid1(VALU_DEP_1)
	v_lshlrev_b64 v[12:13], 3, v[12:13]
	v_add_co_u32 v12, vcc_lo, s28, v12
	s_delay_alu instid0(VALU_DEP_2) | instskip(NEXT) | instid1(VALU_DEP_2)
	v_add_co_ci_u32_e32 v13, vcc_lo, s29, v13, vcc_lo
	v_add_co_u32 v12, vcc_lo, v12, v11
	s_delay_alu instid0(VALU_DEP_2)
	v_add_co_ci_u32_e32 v13, vcc_lo, 0, v13, vcc_lo
	flat_load_b64 v[12:13], v[12:13] offset:32
	s_waitcnt vmcnt(0) lgkmcnt(0)
	v_mul_f64 v[54:55], s[24:25], v[12:13]
.LBB177_18:
	s_or_b32 exec_lo, exec_lo, s7
	v_add_nc_u32_e32 v14, 4, v133
	s_delay_alu instid0(VALU_DEP_1) | instskip(SKIP_1) | instid1(VALU_DEP_2)
	v_min_i32_e32 v15, s19, v14
	v_cmp_le_i32_e32 vcc_lo, s18, v14
	v_mad_i64_i32 v[12:13], null, s14, v15, 0
	s_or_b32 s30, s3, vcc_lo
	s_delay_alu instid0(SALU_CYCLE_1) | instskip(SKIP_1) | instid1(VALU_DEP_3)
	v_cndmask_b32_e64 v57, 0, 0x7fefffff, s30
	v_cndmask_b32_e64 v56, 0, -1, s30
	v_lshlrev_b64 v[12:13], 3, v[12:13]
	s_delay_alu instid0(VALU_DEP_1) | instskip(NEXT) | instid1(VALU_DEP_1)
	v_add_co_u32 v12, s7, s26, v12
	v_add_co_ci_u32_e64 v13, s7, s27, v13, s7
	s_or_b32 s7, s23, s30
	s_delay_alu instid0(SALU_CYCLE_1) | instskip(NEXT) | instid1(SALU_CYCLE_1)
	s_xor_b32 s7, s7, -1
	s_and_saveexec_b32 s30, s7
	s_cbranch_execz .LBB177_20
; %bb.19:
	v_lshlrev_b64 v[14:15], 3, v[52:53]
	s_delay_alu instid0(VALU_DEP_1) | instskip(NEXT) | instid1(VALU_DEP_1)
	v_add_co_u32 v14, s7, v12, v14
	v_add_co_ci_u32_e64 v15, s7, v13, v15, s7
	flat_load_b64 v[14:15], v[14:15]
	s_waitcnt vmcnt(0) lgkmcnt(0)
	v_mul_f64 v[56:57], s[24:25], v[14:15]
.LBB177_20:
	s_or_b32 exec_lo, exec_lo, s30
	s_or_b32 s7, s4, vcc_lo
	s_delay_alu instid0(SALU_CYCLE_1) | instskip(SKIP_2) | instid1(SALU_CYCLE_1)
	v_cndmask_b32_e64 v59, 0, 0x7fefffff, s7
	v_cndmask_b32_e64 v58, 0, -1, s7
	s_or_b32 s7, s23, s7
	s_xor_b32 s7, s7, -1
	s_delay_alu instid0(SALU_CYCLE_1)
	s_and_saveexec_b32 s30, s7
	s_cbranch_execz .LBB177_22
; %bb.21:
	v_lshlrev_b64 v[14:15], 3, v[52:53]
	s_delay_alu instid0(VALU_DEP_1) | instskip(NEXT) | instid1(VALU_DEP_1)
	v_add_co_u32 v14, s7, v12, v14
	v_add_co_ci_u32_e64 v15, s7, v13, v15, s7
	flat_load_b64 v[14:15], v[14:15] offset:512
	s_waitcnt vmcnt(0) lgkmcnt(0)
	v_mul_f64 v[58:59], s[24:25], v[14:15]
.LBB177_22:
	s_or_b32 exec_lo, exec_lo, s30
	s_or_b32 s7, s5, vcc_lo
	s_delay_alu instid0(SALU_CYCLE_1) | instskip(SKIP_2) | instid1(SALU_CYCLE_1)
	v_cndmask_b32_e64 v61, 0, 0x7fefffff, s7
	v_cndmask_b32_e64 v60, 0, -1, s7
	s_or_b32 s7, s23, s7
	s_xor_b32 s7, s7, -1
	s_delay_alu instid0(SALU_CYCLE_1)
	s_and_saveexec_b32 s30, s7
	s_cbranch_execz .LBB177_24
; %bb.23:
	v_lshlrev_b64 v[14:15], 3, v[52:53]
	s_delay_alu instid0(VALU_DEP_1) | instskip(NEXT) | instid1(VALU_DEP_1)
	v_add_co_u32 v14, s7, v12, v14
	v_add_co_ci_u32_e64 v15, s7, v13, v15, s7
	flat_load_b64 v[14:15], v[14:15] offset:1024
	s_waitcnt vmcnt(0) lgkmcnt(0)
	v_mul_f64 v[60:61], s[24:25], v[14:15]
.LBB177_24:
	s_or_b32 exec_lo, exec_lo, s30
	s_or_b32 s7, s6, vcc_lo
	s_delay_alu instid0(SALU_CYCLE_1) | instskip(SKIP_4) | instid1(SALU_CYCLE_1)
	v_cndmask_b32_e64 v63, 0, 0x7fefffff, s7
	v_cndmask_b32_e64 v62, 0, -1, s7
	s_or_b32 s30, s23, s7
	s_mov_b32 s7, -1
	s_xor_b32 s33, s30, -1
	s_and_saveexec_b32 s30, s33
	s_cbranch_execz .LBB177_26
; %bb.25:
	v_lshlrev_b64 v[14:15], 3, v[52:53]
	s_delay_alu instid0(VALU_DEP_1) | instskip(NEXT) | instid1(VALU_DEP_2)
	v_add_co_u32 v12, vcc_lo, v12, v14
	v_add_co_ci_u32_e32 v13, vcc_lo, v13, v15, vcc_lo
	flat_load_b64 v[12:13], v[12:13] offset:1536
	s_waitcnt vmcnt(0) lgkmcnt(0)
	v_mul_f64 v[62:63], s[24:25], v[12:13]
.LBB177_26:
	s_or_b32 exec_lo, exec_lo, s30
	v_dual_mov_b32 v67, 0x7f800000 :: v_dual_lshlrev_b32 v12, 3, v133
	v_lshl_or_b32 v136, v10, 5, v11
	v_dual_mov_b32 v66, 0x7f800000 :: v_dual_mov_b32 v69, 0x7f800000
	s_delay_alu instid0(VALU_DEP_3) | instskip(SKIP_1) | instid1(VALU_DEP_4)
	v_lshl_add_u32 v134, v65, 5, v12
	v_dual_mov_b32 v68, 0x7f800000 :: v_dual_mov_b32 v71, 0x7f800000
	v_add_nc_u32_e32 v135, 0x4000, v136
	v_dual_mov_b32 v70, 0x7f800000 :: v_dual_mov_b32 v73, 0x7f800000
	v_dual_mov_b32 v72, 0x7f800000 :: v_dual_mov_b32 v75, 0x7f800000
	v_dual_mov_b32 v74, 0x7f800000 :: v_dual_mov_b32 v77, 0x7f800000
	v_dual_mov_b32 v76, 0x7f800000 :: v_dual_mov_b32 v79, 0x7f800000
	v_dual_mov_b32 v78, 0x7f800000 :: v_dual_mov_b32 v81, 0x7f800000
	v_dual_mov_b32 v80, 0x7f800000 :: v_dual_mov_b32 v83, 0x7f800000
	v_dual_mov_b32 v82, 0x7f800000 :: v_dual_mov_b32 v85, 0x7f800000
	v_dual_mov_b32 v84, 0x7f800000 :: v_dual_mov_b32 v87, 0x7f800000
	v_dual_mov_b32 v86, 0x7f800000 :: v_dual_mov_b32 v89, 0x7f800000
	v_dual_mov_b32 v88, 0x7f800000 :: v_dual_mov_b32 v91, 0x7f800000
	v_dual_mov_b32 v90, 0x7f800000 :: v_dual_mov_b32 v93, 0x7f800000
	v_dual_mov_b32 v92, 0x7f800000 :: v_dual_mov_b32 v95, 0x7f800000
	v_dual_mov_b32 v94, 0x7f800000 :: v_dual_mov_b32 v97, 0x7f800000
	v_dual_mov_b32 v96, 0x7f800000 :: v_dual_mov_b32 v99, 0x7f800000
	v_dual_mov_b32 v98, 0x7f800000 :: v_dual_mov_b32 v101, 0x7f800000
	v_dual_mov_b32 v100, 0x7f800000 :: v_dual_mov_b32 v103, 0x7f800000
	v_dual_mov_b32 v102, 0x7f800000 :: v_dual_mov_b32 v105, 0x7f800000
	v_dual_mov_b32 v104, 0x7f800000 :: v_dual_mov_b32 v107, 0x7f800000
	v_dual_mov_b32 v106, 0x7f800000 :: v_dual_mov_b32 v109, 0x7f800000
	v_dual_mov_b32 v108, 0x7f800000 :: v_dual_mov_b32 v111, 0x7f800000
	v_dual_mov_b32 v110, 0x7f800000 :: v_dual_mov_b32 v113, 0x7f800000
	v_dual_mov_b32 v112, 0x7f800000 :: v_dual_mov_b32 v115, 0x7f800000
	v_dual_mov_b32 v114, 0x7f800000 :: v_dual_mov_b32 v117, 0x7f800000
	v_dual_mov_b32 v116, 0x7f800000 :: v_dual_mov_b32 v119, 0x7f800000
	v_dual_mov_b32 v118, 0x7f800000 :: v_dual_mov_b32 v123, 0x7f800000
	v_dual_mov_b32 v120, 0x7f800000 :: v_dual_mov_b32 v125, 0x7f800000
	v_dual_mov_b32 v124, 0x7f800000 :: v_dual_mov_b32 v127, 0x7f800000
	v_dual_mov_b32 v126, 0x7f800000 :: v_dual_mov_b32 v129, 0x7f800000
	v_dual_mov_b32 v128, 0x7f800000 :: v_dual_mov_b32 v131, 0x7f800000
	v_mov_b32_e32 v130, 0x7f800000
	s_mov_b32 s30, 0
	ds_store_b64 v136, v[0:1] offset:16384
	ds_store_2addr_stride64_b64 v134, v[2:3], v[4:5] offset1:4
	ds_store_2addr_stride64_b64 v134, v[6:7], v[8:9] offset0:8 offset1:12
	s_waitcnt lgkmcnt(0)
	s_barrier
	buffer_gl0_inv
.LBB177_27:                             ; =>This Inner Loop Header: Depth=1
	s_lshl_b32 s30, s30, 3
	s_and_not1_b32 vcc_lo, exec_lo, s7
	v_lshl_add_u32 v0, v121, 5, s30
	v_lshl_add_u32 v16, v122, 5, s30
	s_mov_b32 s30, 2
	s_mov_b32 s7, 0
	ds_load_b128 v[32:35], v0 offset:16384
	ds_load_b128 v[28:31], v0 offset:16640
	;; [unrolled: 1-line block ×8, first 2 shown]
	ds_load_b128 v[137:140], v16
	ds_load_b128 v[141:144], v16 offset:1024
	ds_load_b128 v[145:148], v16 offset:2048
	;; [unrolled: 1-line block ×7, first 2 shown]
	s_waitcnt lgkmcnt(7)
	v_add_f64 v[149:150], v[34:35], v[139:140]
	v_add_f64 v[151:152], v[32:33], v[137:138]
	s_delay_alu instid0(VALU_DEP_2) | instskip(NEXT) | instid1(VALU_DEP_2)
	v_cvt_f32_f64_e32 v149, v[149:150]
	v_cvt_f32_f64_e32 v151, v[151:152]
	s_delay_alu instid0(VALU_DEP_1) | instskip(SKIP_2) | instid1(VALU_DEP_2)
	v_min3_f32 v131, v151, v149, v131
	v_add_f64 v[149:150], v[30:31], v[139:140]
	v_add_f64 v[151:152], v[28:29], v[137:138]
	v_cvt_f32_f64_e32 v149, v[149:150]
	s_delay_alu instid0(VALU_DEP_2) | instskip(NEXT) | instid1(VALU_DEP_1)
	v_cvt_f32_f64_e32 v151, v[151:152]
	v_min3_f32 v130, v151, v149, v130
	v_add_f64 v[149:150], v[26:27], v[139:140]
	v_add_f64 v[151:152], v[24:25], v[137:138]
	s_delay_alu instid0(VALU_DEP_2) | instskip(NEXT) | instid1(VALU_DEP_2)
	v_cvt_f32_f64_e32 v149, v[149:150]
	v_cvt_f32_f64_e32 v151, v[151:152]
	s_delay_alu instid0(VALU_DEP_1) | instskip(SKIP_2) | instid1(VALU_DEP_2)
	v_min3_f32 v129, v151, v149, v129
	v_add_f64 v[149:150], v[22:23], v[139:140]
	v_add_f64 v[151:152], v[20:21], v[137:138]
	v_cvt_f32_f64_e32 v149, v[149:150]
	s_delay_alu instid0(VALU_DEP_2) | instskip(NEXT) | instid1(VALU_DEP_1)
	v_cvt_f32_f64_e32 v151, v[151:152]
	v_min3_f32 v128, v151, v149, v128
	;; [unrolled: 13-line block ×3, first 2 shown]
	v_add_f64 v[149:150], v[6:7], v[139:140]
	v_add_f64 v[151:152], v[4:5], v[137:138]
	;; [unrolled: 1-line block ×4, first 2 shown]
	s_delay_alu instid0(VALU_DEP_4) | instskip(NEXT) | instid1(VALU_DEP_4)
	v_cvt_f32_f64_e32 v149, v[149:150]
	v_cvt_f32_f64_e32 v151, v[151:152]
	s_delay_alu instid0(VALU_DEP_3) | instskip(SKIP_3) | instid1(VALU_DEP_4)
	v_cvt_f32_f64_e32 v137, v[137:138]
	v_cvt_f32_f64_e32 v138, v[139:140]
	s_waitcnt lgkmcnt(6)
	v_add_f64 v[139:140], v[32:33], v[141:142]
	v_min3_f32 v125, v151, v149, v125
	s_delay_alu instid0(VALU_DEP_3) | instskip(SKIP_1) | instid1(VALU_DEP_4)
	v_min3_f32 v124, v137, v138, v124
	v_add_f64 v[137:138], v[34:35], v[143:144]
	v_cvt_f32_f64_e32 v139, v[139:140]
	s_delay_alu instid0(VALU_DEP_2) | instskip(NEXT) | instid1(VALU_DEP_1)
	v_cvt_f32_f64_e32 v137, v[137:138]
	v_min3_f32 v123, v139, v137, v123
	v_add_f64 v[137:138], v[30:31], v[143:144]
	v_add_f64 v[139:140], v[28:29], v[141:142]
	s_delay_alu instid0(VALU_DEP_2) | instskip(NEXT) | instid1(VALU_DEP_2)
	v_cvt_f32_f64_e32 v137, v[137:138]
	v_cvt_f32_f64_e32 v139, v[139:140]
	s_delay_alu instid0(VALU_DEP_1) | instskip(SKIP_2) | instid1(VALU_DEP_2)
	v_min3_f32 v120, v139, v137, v120
	v_add_f64 v[137:138], v[26:27], v[143:144]
	v_add_f64 v[139:140], v[24:25], v[141:142]
	v_cvt_f32_f64_e32 v137, v[137:138]
	s_delay_alu instid0(VALU_DEP_2) | instskip(NEXT) | instid1(VALU_DEP_1)
	v_cvt_f32_f64_e32 v139, v[139:140]
	v_min3_f32 v119, v139, v137, v119
	v_add_f64 v[137:138], v[22:23], v[143:144]
	v_add_f64 v[139:140], v[20:21], v[141:142]
	s_delay_alu instid0(VALU_DEP_2) | instskip(NEXT) | instid1(VALU_DEP_2)
	v_cvt_f32_f64_e32 v137, v[137:138]
	v_cvt_f32_f64_e32 v139, v[139:140]
	s_delay_alu instid0(VALU_DEP_1) | instskip(SKIP_2) | instid1(VALU_DEP_2)
	v_min3_f32 v118, v139, v137, v118
	v_add_f64 v[137:138], v[14:15], v[143:144]
	;; [unrolled: 13-line block ×3, first 2 shown]
	v_add_f64 v[139:140], v[4:5], v[141:142]
	v_cvt_f32_f64_e32 v137, v[137:138]
	s_delay_alu instid0(VALU_DEP_2) | instskip(NEXT) | instid1(VALU_DEP_1)
	v_cvt_f32_f64_e32 v139, v[139:140]
	v_min3_f32 v115, v139, v137, v115
	v_add_f64 v[137:138], v[2:3], v[143:144]
	v_add_f64 v[139:140], v[0:1], v[141:142]
	s_delay_alu instid0(VALU_DEP_2) | instskip(NEXT) | instid1(VALU_DEP_2)
	v_cvt_f32_f64_e32 v137, v[137:138]
	v_cvt_f32_f64_e32 v139, v[139:140]
	s_delay_alu instid0(VALU_DEP_1) | instskip(SKIP_3) | instid1(VALU_DEP_2)
	v_min3_f32 v114, v139, v137, v114
	s_waitcnt lgkmcnt(5)
	v_add_f64 v[137:138], v[34:35], v[147:148]
	v_add_f64 v[139:140], v[32:33], v[145:146]
	v_cvt_f32_f64_e32 v137, v[137:138]
	s_delay_alu instid0(VALU_DEP_2) | instskip(NEXT) | instid1(VALU_DEP_1)
	v_cvt_f32_f64_e32 v139, v[139:140]
	v_min3_f32 v113, v139, v137, v113
	v_add_f64 v[137:138], v[30:31], v[147:148]
	v_add_f64 v[139:140], v[28:29], v[145:146]
	s_delay_alu instid0(VALU_DEP_2) | instskip(NEXT) | instid1(VALU_DEP_2)
	v_cvt_f32_f64_e32 v137, v[137:138]
	v_cvt_f32_f64_e32 v139, v[139:140]
	s_delay_alu instid0(VALU_DEP_1) | instskip(SKIP_2) | instid1(VALU_DEP_2)
	v_min3_f32 v112, v139, v137, v112
	v_add_f64 v[137:138], v[26:27], v[147:148]
	v_add_f64 v[139:140], v[24:25], v[145:146]
	v_cvt_f32_f64_e32 v137, v[137:138]
	s_delay_alu instid0(VALU_DEP_2) | instskip(NEXT) | instid1(VALU_DEP_1)
	v_cvt_f32_f64_e32 v139, v[139:140]
	v_min3_f32 v111, v139, v137, v111
	v_add_f64 v[137:138], v[22:23], v[147:148]
	v_add_f64 v[139:140], v[20:21], v[145:146]
	s_delay_alu instid0(VALU_DEP_2) | instskip(NEXT) | instid1(VALU_DEP_2)
	v_cvt_f32_f64_e32 v137, v[137:138]
	v_cvt_f32_f64_e32 v139, v[139:140]
	s_delay_alu instid0(VALU_DEP_1) | instskip(SKIP_2) | instid1(VALU_DEP_2)
	v_min3_f32 v110, v139, v137, v110
	;; [unrolled: 13-line block ×3, first 2 shown]
	v_add_f64 v[137:138], v[6:7], v[147:148]
	v_add_f64 v[139:140], v[4:5], v[145:146]
	v_cvt_f32_f64_e32 v137, v[137:138]
	s_delay_alu instid0(VALU_DEP_2) | instskip(NEXT) | instid1(VALU_DEP_1)
	v_cvt_f32_f64_e32 v139, v[139:140]
	v_min3_f32 v107, v139, v137, v107
	v_add_f64 v[137:138], v[2:3], v[147:148]
	v_add_f64 v[139:140], v[0:1], v[145:146]
	s_delay_alu instid0(VALU_DEP_2) | instskip(NEXT) | instid1(VALU_DEP_2)
	v_cvt_f32_f64_e32 v137, v[137:138]
	v_cvt_f32_f64_e32 v139, v[139:140]
	s_delay_alu instid0(VALU_DEP_1) | instskip(SKIP_3) | instid1(VALU_DEP_2)
	v_min3_f32 v106, v139, v137, v106
	s_waitcnt lgkmcnt(4)
	v_add_f64 v[137:138], v[34:35], v[50:51]
	v_add_f64 v[139:140], v[32:33], v[48:49]
	v_cvt_f32_f64_e32 v137, v[137:138]
	s_delay_alu instid0(VALU_DEP_2) | instskip(NEXT) | instid1(VALU_DEP_1)
	v_cvt_f32_f64_e32 v139, v[139:140]
	v_min3_f32 v105, v139, v137, v105
	v_add_f64 v[137:138], v[30:31], v[50:51]
	v_add_f64 v[139:140], v[28:29], v[48:49]
	s_delay_alu instid0(VALU_DEP_2) | instskip(NEXT) | instid1(VALU_DEP_2)
	v_cvt_f32_f64_e32 v137, v[137:138]
	v_cvt_f32_f64_e32 v139, v[139:140]
	s_delay_alu instid0(VALU_DEP_1) | instskip(SKIP_2) | instid1(VALU_DEP_2)
	v_min3_f32 v104, v139, v137, v104
	v_add_f64 v[137:138], v[26:27], v[50:51]
	v_add_f64 v[139:140], v[24:25], v[48:49]
	v_cvt_f32_f64_e32 v137, v[137:138]
	s_delay_alu instid0(VALU_DEP_2) | instskip(NEXT) | instid1(VALU_DEP_1)
	v_cvt_f32_f64_e32 v139, v[139:140]
	v_min3_f32 v103, v139, v137, v103
	v_add_f64 v[137:138], v[22:23], v[50:51]
	v_add_f64 v[139:140], v[20:21], v[48:49]
	s_delay_alu instid0(VALU_DEP_2) | instskip(NEXT) | instid1(VALU_DEP_2)
	v_cvt_f32_f64_e32 v137, v[137:138]
	v_cvt_f32_f64_e32 v139, v[139:140]
	s_delay_alu instid0(VALU_DEP_1) | instskip(SKIP_2) | instid1(VALU_DEP_2)
	v_min3_f32 v102, v139, v137, v102
	v_add_f64 v[137:138], v[14:15], v[50:51]
	v_add_f64 v[139:140], v[12:13], v[48:49]
	v_cvt_f32_f64_e32 v137, v[137:138]
	s_delay_alu instid0(VALU_DEP_2) | instskip(NEXT) | instid1(VALU_DEP_1)
	v_cvt_f32_f64_e32 v139, v[139:140]
	v_min3_f32 v101, v139, v137, v101
	v_add_f64 v[137:138], v[10:11], v[50:51]
	v_add_f64 v[139:140], v[8:9], v[48:49]
	s_delay_alu instid0(VALU_DEP_2) | instskip(NEXT) | instid1(VALU_DEP_2)
	v_cvt_f32_f64_e32 v137, v[137:138]
	v_cvt_f32_f64_e32 v139, v[139:140]
	s_delay_alu instid0(VALU_DEP_1) | instskip(SKIP_4) | instid1(VALU_DEP_4)
	v_min3_f32 v100, v139, v137, v100
	v_add_f64 v[137:138], v[6:7], v[50:51]
	v_add_f64 v[139:140], v[4:5], v[48:49]
	;; [unrolled: 1-line block ×4, first 2 shown]
	v_cvt_f32_f64_e32 v137, v[137:138]
	s_delay_alu instid0(VALU_DEP_4) | instskip(NEXT) | instid1(VALU_DEP_3)
	v_cvt_f32_f64_e32 v139, v[139:140]
	v_cvt_f32_f64_e32 v48, v[48:49]
	;; [unrolled: 1-line block ×3, first 2 shown]
	s_waitcnt lgkmcnt(3)
	v_add_f64 v[50:51], v[32:33], v[44:45]
	s_delay_alu instid0(VALU_DEP_4) | instskip(NEXT) | instid1(VALU_DEP_3)
	v_min3_f32 v99, v139, v137, v99
	v_min3_f32 v98, v48, v49, v98
	v_add_f64 v[48:49], v[34:35], v[46:47]
	s_delay_alu instid0(VALU_DEP_4) | instskip(NEXT) | instid1(VALU_DEP_2)
	v_cvt_f32_f64_e32 v50, v[50:51]
	v_cvt_f32_f64_e32 v48, v[48:49]
	s_delay_alu instid0(VALU_DEP_1) | instskip(SKIP_2) | instid1(VALU_DEP_2)
	v_min3_f32 v97, v50, v48, v97
	v_add_f64 v[48:49], v[30:31], v[46:47]
	v_add_f64 v[50:51], v[28:29], v[44:45]
	v_cvt_f32_f64_e32 v48, v[48:49]
	s_delay_alu instid0(VALU_DEP_2) | instskip(NEXT) | instid1(VALU_DEP_1)
	v_cvt_f32_f64_e32 v50, v[50:51]
	v_min3_f32 v96, v50, v48, v96
	v_add_f64 v[48:49], v[26:27], v[46:47]
	v_add_f64 v[50:51], v[24:25], v[44:45]
	s_delay_alu instid0(VALU_DEP_2) | instskip(NEXT) | instid1(VALU_DEP_2)
	v_cvt_f32_f64_e32 v48, v[48:49]
	v_cvt_f32_f64_e32 v50, v[50:51]
	s_delay_alu instid0(VALU_DEP_1) | instskip(SKIP_2) | instid1(VALU_DEP_2)
	v_min3_f32 v95, v50, v48, v95
	v_add_f64 v[48:49], v[22:23], v[46:47]
	v_add_f64 v[50:51], v[20:21], v[44:45]
	v_cvt_f32_f64_e32 v48, v[48:49]
	s_delay_alu instid0(VALU_DEP_2) | instskip(NEXT) | instid1(VALU_DEP_1)
	v_cvt_f32_f64_e32 v50, v[50:51]
	v_min3_f32 v94, v50, v48, v94
	v_add_f64 v[48:49], v[14:15], v[46:47]
	v_add_f64 v[50:51], v[12:13], v[44:45]
	s_delay_alu instid0(VALU_DEP_2) | instskip(NEXT) | instid1(VALU_DEP_2)
	v_cvt_f32_f64_e32 v48, v[48:49]
	v_cvt_f32_f64_e32 v50, v[50:51]
	s_delay_alu instid0(VALU_DEP_1) | instskip(SKIP_2) | instid1(VALU_DEP_2)
	v_min3_f32 v93, v50, v48, v93
	v_add_f64 v[48:49], v[10:11], v[46:47]
	v_add_f64 v[50:51], v[8:9], v[44:45]
	v_cvt_f32_f64_e32 v48, v[48:49]
	s_delay_alu instid0(VALU_DEP_2) | instskip(NEXT) | instid1(VALU_DEP_1)
	v_cvt_f32_f64_e32 v50, v[50:51]
	v_min3_f32 v92, v50, v48, v92
	v_add_f64 v[48:49], v[6:7], v[46:47]
	v_add_f64 v[50:51], v[4:5], v[44:45]
	;; [unrolled: 1-line block ×4, first 2 shown]
	s_delay_alu instid0(VALU_DEP_4) | instskip(NEXT) | instid1(VALU_DEP_4)
	v_cvt_f32_f64_e32 v48, v[48:49]
	v_cvt_f32_f64_e32 v50, v[50:51]
	s_delay_alu instid0(VALU_DEP_3) | instskip(SKIP_3) | instid1(VALU_DEP_4)
	v_cvt_f32_f64_e32 v44, v[44:45]
	v_cvt_f32_f64_e32 v45, v[46:47]
	s_waitcnt lgkmcnt(2)
	v_add_f64 v[46:47], v[32:33], v[40:41]
	v_min3_f32 v91, v50, v48, v91
	s_delay_alu instid0(VALU_DEP_3) | instskip(SKIP_1) | instid1(VALU_DEP_4)
	v_min3_f32 v90, v44, v45, v90
	v_add_f64 v[44:45], v[34:35], v[42:43]
	v_cvt_f32_f64_e32 v46, v[46:47]
	s_delay_alu instid0(VALU_DEP_2) | instskip(NEXT) | instid1(VALU_DEP_1)
	v_cvt_f32_f64_e32 v44, v[44:45]
	v_min3_f32 v89, v46, v44, v89
	v_add_f64 v[44:45], v[30:31], v[42:43]
	v_add_f64 v[46:47], v[28:29], v[40:41]
	s_delay_alu instid0(VALU_DEP_2) | instskip(NEXT) | instid1(VALU_DEP_2)
	v_cvt_f32_f64_e32 v44, v[44:45]
	v_cvt_f32_f64_e32 v46, v[46:47]
	s_delay_alu instid0(VALU_DEP_1) | instskip(SKIP_2) | instid1(VALU_DEP_2)
	v_min3_f32 v88, v46, v44, v88
	v_add_f64 v[44:45], v[26:27], v[42:43]
	v_add_f64 v[46:47], v[24:25], v[40:41]
	v_cvt_f32_f64_e32 v44, v[44:45]
	s_delay_alu instid0(VALU_DEP_2) | instskip(NEXT) | instid1(VALU_DEP_1)
	v_cvt_f32_f64_e32 v46, v[46:47]
	v_min3_f32 v87, v46, v44, v87
	v_add_f64 v[44:45], v[22:23], v[42:43]
	v_add_f64 v[46:47], v[20:21], v[40:41]
	s_delay_alu instid0(VALU_DEP_2) | instskip(NEXT) | instid1(VALU_DEP_2)
	v_cvt_f32_f64_e32 v44, v[44:45]
	v_cvt_f32_f64_e32 v46, v[46:47]
	s_delay_alu instid0(VALU_DEP_1) | instskip(SKIP_2) | instid1(VALU_DEP_2)
	v_min3_f32 v86, v46, v44, v86
	v_add_f64 v[44:45], v[14:15], v[42:43]
	v_add_f64 v[46:47], v[12:13], v[40:41]
	v_cvt_f32_f64_e32 v44, v[44:45]
	s_delay_alu instid0(VALU_DEP_2) | instskip(NEXT) | instid1(VALU_DEP_1)
	v_cvt_f32_f64_e32 v46, v[46:47]
	v_min3_f32 v85, v46, v44, v85
	v_add_f64 v[44:45], v[10:11], v[42:43]
	v_add_f64 v[46:47], v[8:9], v[40:41]
	s_delay_alu instid0(VALU_DEP_2) | instskip(NEXT) | instid1(VALU_DEP_2)
	v_cvt_f32_f64_e32 v44, v[44:45]
	v_cvt_f32_f64_e32 v46, v[46:47]
	s_delay_alu instid0(VALU_DEP_1) | instskip(SKIP_4) | instid1(VALU_DEP_4)
	v_min3_f32 v84, v46, v44, v84
	v_add_f64 v[44:45], v[6:7], v[42:43]
	v_add_f64 v[46:47], v[4:5], v[40:41]
	v_add_f64 v[42:43], v[2:3], v[42:43]
	v_add_f64 v[40:41], v[0:1], v[40:41]
	v_cvt_f32_f64_e32 v44, v[44:45]
	s_delay_alu instid0(VALU_DEP_4) | instskip(NEXT) | instid1(VALU_DEP_3)
	v_cvt_f32_f64_e32 v46, v[46:47]
	v_cvt_f32_f64_e32 v40, v[40:41]
	;; [unrolled: 1-line block ×3, first 2 shown]
	s_waitcnt lgkmcnt(1)
	v_add_f64 v[42:43], v[32:33], v[36:37]
	s_waitcnt lgkmcnt(0)
	v_add_f64 v[32:33], v[32:33], v[16:17]
	v_min3_f32 v83, v46, v44, v83
	s_delay_alu instid0(VALU_DEP_4) | instskip(SKIP_4) | instid1(VALU_DEP_4)
	v_min3_f32 v82, v40, v41, v82
	v_add_f64 v[40:41], v[34:35], v[38:39]
	v_cvt_f32_f64_e32 v42, v[42:43]
	v_add_f64 v[34:35], v[34:35], v[18:19]
	v_cvt_f32_f64_e32 v32, v[32:33]
	v_cvt_f32_f64_e32 v40, v[40:41]
	s_delay_alu instid0(VALU_DEP_3) | instskip(NEXT) | instid1(VALU_DEP_2)
	v_cvt_f32_f64_e32 v33, v[34:35]
	v_min3_f32 v81, v42, v40, v81
	v_add_f64 v[40:41], v[30:31], v[38:39]
	v_add_f64 v[42:43], v[28:29], v[36:37]
	v_add_f64 v[30:31], v[30:31], v[18:19]
	v_add_f64 v[28:29], v[28:29], v[16:17]
	v_min3_f32 v73, v32, v33, v73
	v_cvt_f32_f64_e32 v40, v[40:41]
	v_cvt_f32_f64_e32 v42, v[42:43]
	s_delay_alu instid0(VALU_DEP_4) | instskip(SKIP_1) | instid1(VALU_DEP_3)
	v_cvt_f32_f64_e32 v28, v[28:29]
	v_cvt_f32_f64_e32 v29, v[30:31]
	v_min3_f32 v80, v42, v40, v80
	v_add_f64 v[40:41], v[26:27], v[38:39]
	v_add_f64 v[42:43], v[24:25], v[36:37]
	v_add_f64 v[26:27], v[26:27], v[18:19]
	v_add_f64 v[24:25], v[24:25], v[16:17]
	v_min3_f32 v72, v28, v29, v72
	v_cvt_f32_f64_e32 v40, v[40:41]
	v_cvt_f32_f64_e32 v42, v[42:43]
	s_delay_alu instid0(VALU_DEP_4) | instskip(SKIP_1) | instid1(VALU_DEP_3)
	v_cvt_f32_f64_e32 v24, v[24:25]
	;; [unrolled: 11-line block ×5, first 2 shown]
	v_cvt_f32_f64_e32 v9, v[10:11]
	v_min3_f32 v76, v42, v40, v76
	v_add_f64 v[40:41], v[6:7], v[38:39]
	v_add_f64 v[42:43], v[4:5], v[36:37]
	;; [unrolled: 1-line block ×8, first 2 shown]
	v_min3_f32 v68, v8, v9, v68
	v_cvt_f32_f64_e32 v40, v[40:41]
	v_cvt_f32_f64_e32 v42, v[42:43]
	;; [unrolled: 1-line block ×8, first 2 shown]
	v_min3_f32 v75, v42, v40, v75
	v_min3_f32 v74, v36, v37, v74
	;; [unrolled: 1-line block ×3, first 2 shown]
	s_delay_alu instid0(VALU_DEP_4)
	v_min3_f32 v66, v0, v1, v66
	s_cbranch_vccz .LBB177_27
; %bb.28:
	v_lshlrev_b32_e32 v0, 5, v65
	s_mov_b32 s30, 8
	s_cmp_gt_i32 s18, 8
	ds_store_b64 v136, v[54:55] offset:18432
	v_lshl_add_u32 v0, v133, 3, v0
	ds_store_2addr_stride64_b64 v0, v[56:57], v[58:59] offset0:16 offset1:20
	ds_store_2addr_stride64_b64 v0, v[60:61], v[62:63] offset0:24 offset1:28
	s_waitcnt lgkmcnt(0)
	s_barrier
	buffer_gl0_inv
	s_cbranch_scc0 .LBB177_55
; %bb.29:
	v_mad_i64_i32 v[1:2], null, v64, s31, 0
	v_lshlrev_b64 v[52:53], 3, v[52:53]
	v_dual_mov_b32 v55, 0 :: v_dual_add_nc_u32 v136, 0x4800, v136
	v_or_b32_e32 v137, 0x2000, v0
	s_delay_alu instid0(VALU_DEP_4) | instskip(NEXT) | instid1(VALU_DEP_1)
	v_lshlrev_b64 v[1:2], 3, v[1:2]
	v_add_co_u32 v138, vcc_lo, s28, v1
	s_delay_alu instid0(VALU_DEP_2) | instskip(SKIP_1) | instid1(VALU_DEP_2)
	v_add_co_ci_u32_e32 v139, vcc_lo, s29, v2, vcc_lo
	s_add_i32 s28, s18, -8
	v_add_co_u32 v140, vcc_lo, v138, 32
	s_delay_alu instid0(VALU_DEP_2)
	v_add_co_ci_u32_e32 v141, vcc_lo, 0, v139, vcc_lo
	s_mov_b32 s29, 0
.LBB177_30:                             ; =>This Loop Header: Depth=1
                                        ;     Child Loop BB177_41 Depth 2
                                        ;     Child Loop BB177_53 Depth 2
	v_or_b32_e32 v54, s30, v132
	s_delay_alu instid0(VALU_DEP_1) | instskip(SKIP_1) | instid1(SALU_CYCLE_1)
	v_cmp_le_i32_e32 vcc_lo, s18, v54
	s_or_b32 s7, vcc_lo, s2
	v_cndmask_b32_e64 v57, 0, 0x7fefffff, s7
	v_cndmask_b32_e64 v56, 0, -1, s7
	s_or_b32 s7, s23, s7
	s_delay_alu instid0(SALU_CYCLE_1) | instskip(NEXT) | instid1(SALU_CYCLE_1)
	s_xor_b32 s31, s7, -1
	s_and_saveexec_b32 s7, s31
	s_cbranch_execz .LBB177_32
; %bb.31:                               ;   in Loop: Header=BB177_30 Depth=1
	v_lshlrev_b64 v[0:1], 3, v[54:55]
	s_delay_alu instid0(VALU_DEP_1) | instskip(NEXT) | instid1(VALU_DEP_2)
	v_add_co_u32 v0, vcc_lo, v138, v0
	v_add_co_ci_u32_e32 v1, vcc_lo, v139, v1, vcc_lo
	flat_load_b64 v[0:1], v[0:1]
	s_waitcnt vmcnt(0) lgkmcnt(0)
	v_mul_f64 v[56:57], s[24:25], v[0:1]
.LBB177_32:                             ;   in Loop: Header=BB177_30 Depth=1
	s_or_b32 exec_lo, exec_lo, s7
	v_add_nc_u32_e32 v2, s30, v133
	s_delay_alu instid0(VALU_DEP_1) | instskip(SKIP_1) | instid1(VALU_DEP_2)
	v_min_i32_e32 v3, s19, v2
	v_cmp_le_i32_e32 vcc_lo, s18, v2
	v_mad_i64_i32 v[0:1], null, v3, s14, 0
	s_or_b32 s31, s3, vcc_lo
	s_delay_alu instid0(SALU_CYCLE_1) | instskip(SKIP_1) | instid1(VALU_DEP_3)
	v_cndmask_b32_e64 v59, 0, 0x7fefffff, s31
	v_cndmask_b32_e64 v58, 0, -1, s31
	v_lshlrev_b64 v[0:1], 3, v[0:1]
	s_delay_alu instid0(VALU_DEP_1) | instskip(NEXT) | instid1(VALU_DEP_1)
	v_add_co_u32 v0, s7, s26, v0
	v_add_co_ci_u32_e64 v1, s7, s27, v1, s7
	s_or_b32 s7, s23, s31
	s_delay_alu instid0(SALU_CYCLE_1) | instskip(NEXT) | instid1(SALU_CYCLE_1)
	s_xor_b32 s7, s7, -1
	s_and_saveexec_b32 s31, s7
	s_cbranch_execz .LBB177_34
; %bb.33:                               ;   in Loop: Header=BB177_30 Depth=1
	v_add_co_u32 v2, s7, v0, v52
	s_delay_alu instid0(VALU_DEP_1)
	v_add_co_ci_u32_e64 v3, s7, v1, v53, s7
	flat_load_b64 v[2:3], v[2:3]
	s_waitcnt vmcnt(0) lgkmcnt(0)
	v_mul_f64 v[58:59], s[24:25], v[2:3]
.LBB177_34:                             ;   in Loop: Header=BB177_30 Depth=1
	s_or_b32 exec_lo, exec_lo, s31
	s_or_b32 s7, s4, vcc_lo
	s_delay_alu instid0(SALU_CYCLE_1) | instskip(SKIP_2) | instid1(SALU_CYCLE_1)
	v_cndmask_b32_e64 v61, 0, 0x7fefffff, s7
	v_cndmask_b32_e64 v60, 0, -1, s7
	s_or_b32 s7, s23, s7
	s_xor_b32 s7, s7, -1
	s_delay_alu instid0(SALU_CYCLE_1)
	s_and_saveexec_b32 s31, s7
	s_cbranch_execz .LBB177_36
; %bb.35:                               ;   in Loop: Header=BB177_30 Depth=1
	v_add_co_u32 v2, s7, v0, v52
	s_delay_alu instid0(VALU_DEP_1)
	v_add_co_ci_u32_e64 v3, s7, v1, v53, s7
	flat_load_b64 v[2:3], v[2:3] offset:512
	s_waitcnt vmcnt(0) lgkmcnt(0)
	v_mul_f64 v[60:61], s[24:25], v[2:3]
.LBB177_36:                             ;   in Loop: Header=BB177_30 Depth=1
	s_or_b32 exec_lo, exec_lo, s31
	s_or_b32 s7, s5, vcc_lo
	s_delay_alu instid0(SALU_CYCLE_1) | instskip(SKIP_2) | instid1(SALU_CYCLE_1)
	v_cndmask_b32_e64 v63, 0, 0x7fefffff, s7
	v_cndmask_b32_e64 v62, 0, -1, s7
	s_or_b32 s7, s23, s7
	s_xor_b32 s7, s7, -1
	s_delay_alu instid0(SALU_CYCLE_1)
	s_and_saveexec_b32 s31, s7
	s_cbranch_execz .LBB177_38
; %bb.37:                               ;   in Loop: Header=BB177_30 Depth=1
	v_add_co_u32 v2, s7, v0, v52
	s_delay_alu instid0(VALU_DEP_1)
	v_add_co_ci_u32_e64 v3, s7, v1, v53, s7
	flat_load_b64 v[2:3], v[2:3] offset:1024
	s_waitcnt vmcnt(0) lgkmcnt(0)
	v_mul_f64 v[62:63], s[24:25], v[2:3]
.LBB177_38:                             ;   in Loop: Header=BB177_30 Depth=1
	s_or_b32 exec_lo, exec_lo, s31
	s_or_b32 s7, s6, vcc_lo
	s_delay_alu instid0(SALU_CYCLE_1) | instskip(SKIP_2) | instid1(SALU_CYCLE_1)
	v_cndmask_b32_e64 v65, 0, 0x7fefffff, s7
	v_cndmask_b32_e64 v64, 0, -1, s7
	s_or_b32 s7, s23, s7
	s_xor_b32 s31, s7, -1
	s_delay_alu instid0(SALU_CYCLE_1)
	s_and_saveexec_b32 s7, s31
	s_cbranch_execz .LBB177_40
; %bb.39:                               ;   in Loop: Header=BB177_30 Depth=1
	v_add_co_u32 v0, vcc_lo, v0, v52
	v_add_co_ci_u32_e32 v1, vcc_lo, v1, v53, vcc_lo
	flat_load_b64 v[0:1], v[0:1] offset:1536
	s_waitcnt vmcnt(0) lgkmcnt(0)
	v_mul_f64 v[64:65], s[24:25], v[0:1]
.LBB177_40:                             ;   in Loop: Header=BB177_30 Depth=1
	s_or_b32 exec_lo, exec_lo, s7
	s_mov_b32 s31, 0
	s_mov_b32 s7, -1
.LBB177_41:                             ;   Parent Loop BB177_30 Depth=1
                                        ; =>  This Inner Loop Header: Depth=2
	s_lshl_b32 s31, s31, 3
	s_and_not1_b32 vcc_lo, exec_lo, s7
	v_lshl_add_u32 v0, v121, 5, s31
	v_lshl_add_u32 v16, v122, 5, s31
	s_mov_b32 s31, 2
	s_mov_b32 s7, 0
	ds_load_b128 v[32:35], v0 offset:18432
	ds_load_b128 v[28:31], v0 offset:18688
	;; [unrolled: 1-line block ×16, first 2 shown]
	s_waitcnt lgkmcnt(7)
	v_add_f64 v[154:155], v[34:35], v[144:145]
	v_add_f64 v[156:157], v[32:33], v[142:143]
	s_delay_alu instid0(VALU_DEP_2) | instskip(NEXT) | instid1(VALU_DEP_2)
	v_cvt_f32_f64_e32 v154, v[154:155]
	v_cvt_f32_f64_e32 v156, v[156:157]
	s_delay_alu instid0(VALU_DEP_1) | instskip(SKIP_2) | instid1(VALU_DEP_2)
	v_min3_f32 v131, v156, v154, v131
	v_add_f64 v[154:155], v[30:31], v[144:145]
	v_add_f64 v[156:157], v[28:29], v[142:143]
	v_cvt_f32_f64_e32 v154, v[154:155]
	s_delay_alu instid0(VALU_DEP_2) | instskip(NEXT) | instid1(VALU_DEP_1)
	v_cvt_f32_f64_e32 v156, v[156:157]
	v_min3_f32 v130, v156, v154, v130
	v_add_f64 v[154:155], v[26:27], v[144:145]
	v_add_f64 v[156:157], v[24:25], v[142:143]
	s_delay_alu instid0(VALU_DEP_2) | instskip(NEXT) | instid1(VALU_DEP_2)
	v_cvt_f32_f64_e32 v154, v[154:155]
	v_cvt_f32_f64_e32 v156, v[156:157]
	s_delay_alu instid0(VALU_DEP_1) | instskip(SKIP_2) | instid1(VALU_DEP_2)
	v_min3_f32 v129, v156, v154, v129
	v_add_f64 v[154:155], v[22:23], v[144:145]
	v_add_f64 v[156:157], v[20:21], v[142:143]
	v_cvt_f32_f64_e32 v154, v[154:155]
	s_delay_alu instid0(VALU_DEP_2) | instskip(NEXT) | instid1(VALU_DEP_1)
	v_cvt_f32_f64_e32 v156, v[156:157]
	v_min3_f32 v128, v156, v154, v128
	;; [unrolled: 13-line block ×3, first 2 shown]
	v_add_f64 v[154:155], v[6:7], v[144:145]
	v_add_f64 v[156:157], v[4:5], v[142:143]
	;; [unrolled: 1-line block ×4, first 2 shown]
	s_delay_alu instid0(VALU_DEP_4) | instskip(NEXT) | instid1(VALU_DEP_4)
	v_cvt_f32_f64_e32 v154, v[154:155]
	v_cvt_f32_f64_e32 v156, v[156:157]
	s_delay_alu instid0(VALU_DEP_3) | instskip(SKIP_3) | instid1(VALU_DEP_4)
	v_cvt_f32_f64_e32 v142, v[142:143]
	v_cvt_f32_f64_e32 v143, v[144:145]
	s_waitcnt lgkmcnt(6)
	v_add_f64 v[144:145], v[32:33], v[146:147]
	v_min3_f32 v125, v156, v154, v125
	s_delay_alu instid0(VALU_DEP_3) | instskip(SKIP_1) | instid1(VALU_DEP_4)
	v_min3_f32 v124, v142, v143, v124
	v_add_f64 v[142:143], v[34:35], v[148:149]
	v_cvt_f32_f64_e32 v144, v[144:145]
	s_delay_alu instid0(VALU_DEP_2) | instskip(NEXT) | instid1(VALU_DEP_1)
	v_cvt_f32_f64_e32 v142, v[142:143]
	v_min3_f32 v123, v144, v142, v123
	v_add_f64 v[142:143], v[30:31], v[148:149]
	v_add_f64 v[144:145], v[28:29], v[146:147]
	s_delay_alu instid0(VALU_DEP_2) | instskip(NEXT) | instid1(VALU_DEP_2)
	v_cvt_f32_f64_e32 v142, v[142:143]
	v_cvt_f32_f64_e32 v144, v[144:145]
	s_delay_alu instid0(VALU_DEP_1) | instskip(SKIP_2) | instid1(VALU_DEP_2)
	v_min3_f32 v120, v144, v142, v120
	v_add_f64 v[142:143], v[26:27], v[148:149]
	v_add_f64 v[144:145], v[24:25], v[146:147]
	v_cvt_f32_f64_e32 v142, v[142:143]
	s_delay_alu instid0(VALU_DEP_2) | instskip(NEXT) | instid1(VALU_DEP_1)
	v_cvt_f32_f64_e32 v144, v[144:145]
	v_min3_f32 v119, v144, v142, v119
	v_add_f64 v[142:143], v[22:23], v[148:149]
	v_add_f64 v[144:145], v[20:21], v[146:147]
	s_delay_alu instid0(VALU_DEP_2) | instskip(NEXT) | instid1(VALU_DEP_2)
	v_cvt_f32_f64_e32 v142, v[142:143]
	v_cvt_f32_f64_e32 v144, v[144:145]
	s_delay_alu instid0(VALU_DEP_1) | instskip(SKIP_2) | instid1(VALU_DEP_2)
	v_min3_f32 v118, v144, v142, v118
	v_add_f64 v[142:143], v[14:15], v[148:149]
	;; [unrolled: 13-line block ×3, first 2 shown]
	v_add_f64 v[144:145], v[4:5], v[146:147]
	v_cvt_f32_f64_e32 v142, v[142:143]
	s_delay_alu instid0(VALU_DEP_2) | instskip(NEXT) | instid1(VALU_DEP_1)
	v_cvt_f32_f64_e32 v144, v[144:145]
	v_min3_f32 v115, v144, v142, v115
	v_add_f64 v[142:143], v[2:3], v[148:149]
	v_add_f64 v[144:145], v[0:1], v[146:147]
	s_delay_alu instid0(VALU_DEP_2) | instskip(NEXT) | instid1(VALU_DEP_2)
	v_cvt_f32_f64_e32 v142, v[142:143]
	v_cvt_f32_f64_e32 v144, v[144:145]
	s_delay_alu instid0(VALU_DEP_1) | instskip(SKIP_3) | instid1(VALU_DEP_2)
	v_min3_f32 v114, v144, v142, v114
	s_waitcnt lgkmcnt(5)
	v_add_f64 v[142:143], v[34:35], v[152:153]
	v_add_f64 v[144:145], v[32:33], v[150:151]
	v_cvt_f32_f64_e32 v142, v[142:143]
	s_delay_alu instid0(VALU_DEP_2) | instskip(NEXT) | instid1(VALU_DEP_1)
	v_cvt_f32_f64_e32 v144, v[144:145]
	v_min3_f32 v113, v144, v142, v113
	v_add_f64 v[142:143], v[30:31], v[152:153]
	v_add_f64 v[144:145], v[28:29], v[150:151]
	s_delay_alu instid0(VALU_DEP_2) | instskip(NEXT) | instid1(VALU_DEP_2)
	v_cvt_f32_f64_e32 v142, v[142:143]
	v_cvt_f32_f64_e32 v144, v[144:145]
	s_delay_alu instid0(VALU_DEP_1) | instskip(SKIP_2) | instid1(VALU_DEP_2)
	v_min3_f32 v112, v144, v142, v112
	v_add_f64 v[142:143], v[26:27], v[152:153]
	v_add_f64 v[144:145], v[24:25], v[150:151]
	v_cvt_f32_f64_e32 v142, v[142:143]
	s_delay_alu instid0(VALU_DEP_2) | instskip(NEXT) | instid1(VALU_DEP_1)
	v_cvt_f32_f64_e32 v144, v[144:145]
	v_min3_f32 v111, v144, v142, v111
	v_add_f64 v[142:143], v[22:23], v[152:153]
	v_add_f64 v[144:145], v[20:21], v[150:151]
	s_delay_alu instid0(VALU_DEP_2) | instskip(NEXT) | instid1(VALU_DEP_2)
	v_cvt_f32_f64_e32 v142, v[142:143]
	v_cvt_f32_f64_e32 v144, v[144:145]
	s_delay_alu instid0(VALU_DEP_1) | instskip(SKIP_2) | instid1(VALU_DEP_2)
	v_min3_f32 v110, v144, v142, v110
	;; [unrolled: 13-line block ×3, first 2 shown]
	v_add_f64 v[142:143], v[6:7], v[152:153]
	v_add_f64 v[144:145], v[4:5], v[150:151]
	v_cvt_f32_f64_e32 v142, v[142:143]
	s_delay_alu instid0(VALU_DEP_2) | instskip(NEXT) | instid1(VALU_DEP_1)
	v_cvt_f32_f64_e32 v144, v[144:145]
	v_min3_f32 v107, v144, v142, v107
	v_add_f64 v[142:143], v[2:3], v[152:153]
	v_add_f64 v[144:145], v[0:1], v[150:151]
	s_delay_alu instid0(VALU_DEP_2) | instskip(NEXT) | instid1(VALU_DEP_2)
	v_cvt_f32_f64_e32 v142, v[142:143]
	v_cvt_f32_f64_e32 v144, v[144:145]
	s_delay_alu instid0(VALU_DEP_1) | instskip(SKIP_3) | instid1(VALU_DEP_2)
	v_min3_f32 v106, v144, v142, v106
	s_waitcnt lgkmcnt(4)
	v_add_f64 v[142:143], v[34:35], v[50:51]
	v_add_f64 v[144:145], v[32:33], v[48:49]
	v_cvt_f32_f64_e32 v142, v[142:143]
	s_delay_alu instid0(VALU_DEP_2) | instskip(NEXT) | instid1(VALU_DEP_1)
	v_cvt_f32_f64_e32 v144, v[144:145]
	v_min3_f32 v105, v144, v142, v105
	v_add_f64 v[142:143], v[30:31], v[50:51]
	v_add_f64 v[144:145], v[28:29], v[48:49]
	s_delay_alu instid0(VALU_DEP_2) | instskip(NEXT) | instid1(VALU_DEP_2)
	v_cvt_f32_f64_e32 v142, v[142:143]
	v_cvt_f32_f64_e32 v144, v[144:145]
	s_delay_alu instid0(VALU_DEP_1) | instskip(SKIP_2) | instid1(VALU_DEP_2)
	v_min3_f32 v104, v144, v142, v104
	v_add_f64 v[142:143], v[26:27], v[50:51]
	v_add_f64 v[144:145], v[24:25], v[48:49]
	v_cvt_f32_f64_e32 v142, v[142:143]
	s_delay_alu instid0(VALU_DEP_2) | instskip(NEXT) | instid1(VALU_DEP_1)
	v_cvt_f32_f64_e32 v144, v[144:145]
	v_min3_f32 v103, v144, v142, v103
	v_add_f64 v[142:143], v[22:23], v[50:51]
	v_add_f64 v[144:145], v[20:21], v[48:49]
	s_delay_alu instid0(VALU_DEP_2) | instskip(NEXT) | instid1(VALU_DEP_2)
	v_cvt_f32_f64_e32 v142, v[142:143]
	v_cvt_f32_f64_e32 v144, v[144:145]
	s_delay_alu instid0(VALU_DEP_1) | instskip(SKIP_2) | instid1(VALU_DEP_2)
	v_min3_f32 v102, v144, v142, v102
	v_add_f64 v[142:143], v[14:15], v[50:51]
	v_add_f64 v[144:145], v[12:13], v[48:49]
	v_cvt_f32_f64_e32 v142, v[142:143]
	s_delay_alu instid0(VALU_DEP_2) | instskip(NEXT) | instid1(VALU_DEP_1)
	v_cvt_f32_f64_e32 v144, v[144:145]
	v_min3_f32 v101, v144, v142, v101
	v_add_f64 v[142:143], v[10:11], v[50:51]
	v_add_f64 v[144:145], v[8:9], v[48:49]
	s_delay_alu instid0(VALU_DEP_2) | instskip(NEXT) | instid1(VALU_DEP_2)
	v_cvt_f32_f64_e32 v142, v[142:143]
	v_cvt_f32_f64_e32 v144, v[144:145]
	s_delay_alu instid0(VALU_DEP_1) | instskip(SKIP_4) | instid1(VALU_DEP_4)
	v_min3_f32 v100, v144, v142, v100
	v_add_f64 v[142:143], v[6:7], v[50:51]
	v_add_f64 v[144:145], v[4:5], v[48:49]
	;; [unrolled: 1-line block ×4, first 2 shown]
	v_cvt_f32_f64_e32 v142, v[142:143]
	s_delay_alu instid0(VALU_DEP_4) | instskip(NEXT) | instid1(VALU_DEP_3)
	v_cvt_f32_f64_e32 v144, v[144:145]
	v_cvt_f32_f64_e32 v48, v[48:49]
	;; [unrolled: 1-line block ×3, first 2 shown]
	s_waitcnt lgkmcnt(3)
	v_add_f64 v[50:51], v[32:33], v[44:45]
	s_delay_alu instid0(VALU_DEP_4) | instskip(NEXT) | instid1(VALU_DEP_3)
	v_min3_f32 v99, v144, v142, v99
	v_min3_f32 v98, v48, v49, v98
	v_add_f64 v[48:49], v[34:35], v[46:47]
	s_delay_alu instid0(VALU_DEP_4) | instskip(NEXT) | instid1(VALU_DEP_2)
	v_cvt_f32_f64_e32 v50, v[50:51]
	v_cvt_f32_f64_e32 v48, v[48:49]
	s_delay_alu instid0(VALU_DEP_1) | instskip(SKIP_2) | instid1(VALU_DEP_2)
	v_min3_f32 v97, v50, v48, v97
	v_add_f64 v[48:49], v[30:31], v[46:47]
	v_add_f64 v[50:51], v[28:29], v[44:45]
	v_cvt_f32_f64_e32 v48, v[48:49]
	s_delay_alu instid0(VALU_DEP_2) | instskip(NEXT) | instid1(VALU_DEP_1)
	v_cvt_f32_f64_e32 v50, v[50:51]
	v_min3_f32 v96, v50, v48, v96
	v_add_f64 v[48:49], v[26:27], v[46:47]
	v_add_f64 v[50:51], v[24:25], v[44:45]
	s_delay_alu instid0(VALU_DEP_2) | instskip(NEXT) | instid1(VALU_DEP_2)
	v_cvt_f32_f64_e32 v48, v[48:49]
	v_cvt_f32_f64_e32 v50, v[50:51]
	s_delay_alu instid0(VALU_DEP_1) | instskip(SKIP_2) | instid1(VALU_DEP_2)
	v_min3_f32 v95, v50, v48, v95
	v_add_f64 v[48:49], v[22:23], v[46:47]
	v_add_f64 v[50:51], v[20:21], v[44:45]
	v_cvt_f32_f64_e32 v48, v[48:49]
	s_delay_alu instid0(VALU_DEP_2) | instskip(NEXT) | instid1(VALU_DEP_1)
	v_cvt_f32_f64_e32 v50, v[50:51]
	v_min3_f32 v94, v50, v48, v94
	v_add_f64 v[48:49], v[14:15], v[46:47]
	v_add_f64 v[50:51], v[12:13], v[44:45]
	s_delay_alu instid0(VALU_DEP_2) | instskip(NEXT) | instid1(VALU_DEP_2)
	v_cvt_f32_f64_e32 v48, v[48:49]
	v_cvt_f32_f64_e32 v50, v[50:51]
	s_delay_alu instid0(VALU_DEP_1) | instskip(SKIP_2) | instid1(VALU_DEP_2)
	v_min3_f32 v93, v50, v48, v93
	v_add_f64 v[48:49], v[10:11], v[46:47]
	v_add_f64 v[50:51], v[8:9], v[44:45]
	v_cvt_f32_f64_e32 v48, v[48:49]
	s_delay_alu instid0(VALU_DEP_2) | instskip(NEXT) | instid1(VALU_DEP_1)
	v_cvt_f32_f64_e32 v50, v[50:51]
	v_min3_f32 v92, v50, v48, v92
	v_add_f64 v[48:49], v[6:7], v[46:47]
	v_add_f64 v[50:51], v[4:5], v[44:45]
	;; [unrolled: 1-line block ×4, first 2 shown]
	s_delay_alu instid0(VALU_DEP_4) | instskip(NEXT) | instid1(VALU_DEP_4)
	v_cvt_f32_f64_e32 v48, v[48:49]
	v_cvt_f32_f64_e32 v50, v[50:51]
	s_delay_alu instid0(VALU_DEP_3) | instskip(SKIP_3) | instid1(VALU_DEP_4)
	v_cvt_f32_f64_e32 v44, v[44:45]
	v_cvt_f32_f64_e32 v45, v[46:47]
	s_waitcnt lgkmcnt(2)
	v_add_f64 v[46:47], v[32:33], v[40:41]
	v_min3_f32 v91, v50, v48, v91
	s_delay_alu instid0(VALU_DEP_3) | instskip(SKIP_1) | instid1(VALU_DEP_4)
	v_min3_f32 v90, v44, v45, v90
	v_add_f64 v[44:45], v[34:35], v[42:43]
	v_cvt_f32_f64_e32 v46, v[46:47]
	s_delay_alu instid0(VALU_DEP_2) | instskip(NEXT) | instid1(VALU_DEP_1)
	v_cvt_f32_f64_e32 v44, v[44:45]
	v_min3_f32 v89, v46, v44, v89
	v_add_f64 v[44:45], v[30:31], v[42:43]
	v_add_f64 v[46:47], v[28:29], v[40:41]
	s_delay_alu instid0(VALU_DEP_2) | instskip(NEXT) | instid1(VALU_DEP_2)
	v_cvt_f32_f64_e32 v44, v[44:45]
	v_cvt_f32_f64_e32 v46, v[46:47]
	s_delay_alu instid0(VALU_DEP_1) | instskip(SKIP_2) | instid1(VALU_DEP_2)
	v_min3_f32 v88, v46, v44, v88
	v_add_f64 v[44:45], v[26:27], v[42:43]
	v_add_f64 v[46:47], v[24:25], v[40:41]
	v_cvt_f32_f64_e32 v44, v[44:45]
	s_delay_alu instid0(VALU_DEP_2) | instskip(NEXT) | instid1(VALU_DEP_1)
	v_cvt_f32_f64_e32 v46, v[46:47]
	v_min3_f32 v87, v46, v44, v87
	v_add_f64 v[44:45], v[22:23], v[42:43]
	v_add_f64 v[46:47], v[20:21], v[40:41]
	s_delay_alu instid0(VALU_DEP_2) | instskip(NEXT) | instid1(VALU_DEP_2)
	v_cvt_f32_f64_e32 v44, v[44:45]
	v_cvt_f32_f64_e32 v46, v[46:47]
	s_delay_alu instid0(VALU_DEP_1) | instskip(SKIP_2) | instid1(VALU_DEP_2)
	v_min3_f32 v86, v46, v44, v86
	v_add_f64 v[44:45], v[14:15], v[42:43]
	v_add_f64 v[46:47], v[12:13], v[40:41]
	v_cvt_f32_f64_e32 v44, v[44:45]
	s_delay_alu instid0(VALU_DEP_2) | instskip(NEXT) | instid1(VALU_DEP_1)
	v_cvt_f32_f64_e32 v46, v[46:47]
	v_min3_f32 v85, v46, v44, v85
	v_add_f64 v[44:45], v[10:11], v[42:43]
	v_add_f64 v[46:47], v[8:9], v[40:41]
	s_delay_alu instid0(VALU_DEP_2) | instskip(NEXT) | instid1(VALU_DEP_2)
	v_cvt_f32_f64_e32 v44, v[44:45]
	v_cvt_f32_f64_e32 v46, v[46:47]
	s_delay_alu instid0(VALU_DEP_1) | instskip(SKIP_4) | instid1(VALU_DEP_4)
	v_min3_f32 v84, v46, v44, v84
	v_add_f64 v[44:45], v[6:7], v[42:43]
	v_add_f64 v[46:47], v[4:5], v[40:41]
	;; [unrolled: 1-line block ×4, first 2 shown]
	v_cvt_f32_f64_e32 v44, v[44:45]
	s_delay_alu instid0(VALU_DEP_4) | instskip(NEXT) | instid1(VALU_DEP_3)
	v_cvt_f32_f64_e32 v46, v[46:47]
	v_cvt_f32_f64_e32 v40, v[40:41]
	;; [unrolled: 1-line block ×3, first 2 shown]
	s_waitcnt lgkmcnt(1)
	v_add_f64 v[42:43], v[32:33], v[36:37]
	s_waitcnt lgkmcnt(0)
	v_add_f64 v[32:33], v[32:33], v[16:17]
	v_min3_f32 v83, v46, v44, v83
	s_delay_alu instid0(VALU_DEP_4) | instskip(SKIP_4) | instid1(VALU_DEP_4)
	v_min3_f32 v82, v40, v41, v82
	v_add_f64 v[40:41], v[34:35], v[38:39]
	v_cvt_f32_f64_e32 v42, v[42:43]
	v_add_f64 v[34:35], v[34:35], v[18:19]
	v_cvt_f32_f64_e32 v32, v[32:33]
	v_cvt_f32_f64_e32 v40, v[40:41]
	s_delay_alu instid0(VALU_DEP_3) | instskip(NEXT) | instid1(VALU_DEP_2)
	v_cvt_f32_f64_e32 v33, v[34:35]
	v_min3_f32 v81, v42, v40, v81
	v_add_f64 v[40:41], v[30:31], v[38:39]
	v_add_f64 v[42:43], v[28:29], v[36:37]
	v_add_f64 v[30:31], v[30:31], v[18:19]
	v_add_f64 v[28:29], v[28:29], v[16:17]
	v_min3_f32 v73, v32, v33, v73
	v_cvt_f32_f64_e32 v40, v[40:41]
	v_cvt_f32_f64_e32 v42, v[42:43]
	s_delay_alu instid0(VALU_DEP_4) | instskip(SKIP_1) | instid1(VALU_DEP_3)
	v_cvt_f32_f64_e32 v28, v[28:29]
	v_cvt_f32_f64_e32 v29, v[30:31]
	v_min3_f32 v80, v42, v40, v80
	v_add_f64 v[40:41], v[26:27], v[38:39]
	v_add_f64 v[42:43], v[24:25], v[36:37]
	v_add_f64 v[26:27], v[26:27], v[18:19]
	v_add_f64 v[24:25], v[24:25], v[16:17]
	v_min3_f32 v72, v28, v29, v72
	v_cvt_f32_f64_e32 v40, v[40:41]
	v_cvt_f32_f64_e32 v42, v[42:43]
	s_delay_alu instid0(VALU_DEP_4) | instskip(SKIP_1) | instid1(VALU_DEP_3)
	v_cvt_f32_f64_e32 v24, v[24:25]
	;; [unrolled: 11-line block ×5, first 2 shown]
	v_cvt_f32_f64_e32 v9, v[10:11]
	v_min3_f32 v76, v42, v40, v76
	v_add_f64 v[40:41], v[6:7], v[38:39]
	v_add_f64 v[42:43], v[4:5], v[36:37]
	;; [unrolled: 1-line block ×8, first 2 shown]
	v_min3_f32 v68, v8, v9, v68
	v_cvt_f32_f64_e32 v40, v[40:41]
	v_cvt_f32_f64_e32 v42, v[42:43]
	;; [unrolled: 1-line block ×8, first 2 shown]
	v_min3_f32 v75, v42, v40, v75
	v_min3_f32 v74, v36, v37, v74
	;; [unrolled: 1-line block ×3, first 2 shown]
	s_delay_alu instid0(VALU_DEP_4)
	v_min3_f32 v66, v0, v1, v66
	s_cbranch_vccz .LBB177_41
; %bb.42:                               ;   in Loop: Header=BB177_30 Depth=1
	v_or_b32_e32 v0, 4, v54
	ds_store_b64 v135, v[56:57]
	ds_store_2addr_stride64_b64 v134, v[58:59], v[60:61] offset1:4
	ds_store_2addr_stride64_b64 v134, v[62:63], v[64:65] offset0:8 offset1:12
	s_waitcnt lgkmcnt(0)
	s_barrier
	buffer_gl0_inv
	v_cmp_le_i32_e32 vcc_lo, s18, v0
	s_or_b32 s7, vcc_lo, s2
	s_delay_alu instid0(SALU_CYCLE_1) | instskip(SKIP_2) | instid1(SALU_CYCLE_1)
	v_cndmask_b32_e64 v57, 0, 0x7fefffff, s7
	v_cndmask_b32_e64 v56, 0, -1, s7
	s_or_b32 s7, s23, s7
	s_xor_b32 s31, s7, -1
	s_delay_alu instid0(SALU_CYCLE_1)
	s_and_saveexec_b32 s7, s31
	s_cbranch_execz .LBB177_44
; %bb.43:                               ;   in Loop: Header=BB177_30 Depth=1
	v_lshlrev_b64 v[0:1], 3, v[54:55]
	s_delay_alu instid0(VALU_DEP_1) | instskip(NEXT) | instid1(VALU_DEP_2)
	v_add_co_u32 v0, vcc_lo, v140, v0
	v_add_co_ci_u32_e32 v1, vcc_lo, v141, v1, vcc_lo
	flat_load_b64 v[0:1], v[0:1]
	s_waitcnt vmcnt(0) lgkmcnt(0)
	v_mul_f64 v[56:57], s[24:25], v[0:1]
.LBB177_44:                             ;   in Loop: Header=BB177_30 Depth=1
	s_or_b32 exec_lo, exec_lo, s7
	v_add3_u32 v2, v133, s30, 4
	s_delay_alu instid0(VALU_DEP_1) | instskip(SKIP_1) | instid1(VALU_DEP_2)
	v_min_i32_e32 v3, s19, v2
	v_cmp_le_i32_e32 vcc_lo, s18, v2
	v_mad_i64_i32 v[0:1], null, v3, s14, 0
	s_or_b32 s31, s3, vcc_lo
	s_delay_alu instid0(SALU_CYCLE_1) | instskip(SKIP_1) | instid1(VALU_DEP_3)
	v_cndmask_b32_e64 v59, 0, 0x7fefffff, s31
	v_cndmask_b32_e64 v58, 0, -1, s31
	v_lshlrev_b64 v[0:1], 3, v[0:1]
	s_delay_alu instid0(VALU_DEP_1) | instskip(NEXT) | instid1(VALU_DEP_1)
	v_add_co_u32 v0, s7, s26, v0
	v_add_co_ci_u32_e64 v1, s7, s27, v1, s7
	s_or_b32 s7, s23, s31
	s_delay_alu instid0(SALU_CYCLE_1) | instskip(NEXT) | instid1(SALU_CYCLE_1)
	s_xor_b32 s7, s7, -1
	s_and_saveexec_b32 s31, s7
	s_cbranch_execz .LBB177_46
; %bb.45:                               ;   in Loop: Header=BB177_30 Depth=1
	v_add_co_u32 v2, s7, v0, v52
	s_delay_alu instid0(VALU_DEP_1)
	v_add_co_ci_u32_e64 v3, s7, v1, v53, s7
	flat_load_b64 v[2:3], v[2:3]
	s_waitcnt vmcnt(0) lgkmcnt(0)
	v_mul_f64 v[58:59], s[24:25], v[2:3]
.LBB177_46:                             ;   in Loop: Header=BB177_30 Depth=1
	s_or_b32 exec_lo, exec_lo, s31
	s_or_b32 s7, s4, vcc_lo
	s_delay_alu instid0(SALU_CYCLE_1) | instskip(SKIP_2) | instid1(SALU_CYCLE_1)
	v_cndmask_b32_e64 v61, 0, 0x7fefffff, s7
	v_cndmask_b32_e64 v60, 0, -1, s7
	s_or_b32 s7, s23, s7
	s_xor_b32 s7, s7, -1
	s_delay_alu instid0(SALU_CYCLE_1)
	s_and_saveexec_b32 s31, s7
	s_cbranch_execz .LBB177_48
; %bb.47:                               ;   in Loop: Header=BB177_30 Depth=1
	v_add_co_u32 v2, s7, v0, v52
	s_delay_alu instid0(VALU_DEP_1)
	v_add_co_ci_u32_e64 v3, s7, v1, v53, s7
	flat_load_b64 v[2:3], v[2:3] offset:512
	s_waitcnt vmcnt(0) lgkmcnt(0)
	v_mul_f64 v[60:61], s[24:25], v[2:3]
.LBB177_48:                             ;   in Loop: Header=BB177_30 Depth=1
	s_or_b32 exec_lo, exec_lo, s31
	s_or_b32 s7, s5, vcc_lo
	s_delay_alu instid0(SALU_CYCLE_1) | instskip(SKIP_2) | instid1(SALU_CYCLE_1)
	v_cndmask_b32_e64 v63, 0, 0x7fefffff, s7
	v_cndmask_b32_e64 v62, 0, -1, s7
	s_or_b32 s7, s23, s7
	s_xor_b32 s7, s7, -1
	s_delay_alu instid0(SALU_CYCLE_1)
	s_and_saveexec_b32 s31, s7
	s_cbranch_execz .LBB177_50
; %bb.49:                               ;   in Loop: Header=BB177_30 Depth=1
	v_add_co_u32 v2, s7, v0, v52
	s_delay_alu instid0(VALU_DEP_1)
	v_add_co_ci_u32_e64 v3, s7, v1, v53, s7
	flat_load_b64 v[2:3], v[2:3] offset:1024
	s_waitcnt vmcnt(0) lgkmcnt(0)
	v_mul_f64 v[62:63], s[24:25], v[2:3]
.LBB177_50:                             ;   in Loop: Header=BB177_30 Depth=1
	s_or_b32 exec_lo, exec_lo, s31
	s_or_b32 s7, s6, vcc_lo
	s_delay_alu instid0(SALU_CYCLE_1) | instskip(SKIP_2) | instid1(SALU_CYCLE_1)
	v_cndmask_b32_e64 v65, 0, 0x7fefffff, s7
	v_cndmask_b32_e64 v64, 0, -1, s7
	s_or_b32 s7, s23, s7
	s_xor_b32 s31, s7, -1
	s_delay_alu instid0(SALU_CYCLE_1)
	s_and_saveexec_b32 s7, s31
	s_cbranch_execz .LBB177_52
; %bb.51:                               ;   in Loop: Header=BB177_30 Depth=1
	v_add_co_u32 v0, vcc_lo, v0, v52
	v_add_co_ci_u32_e32 v1, vcc_lo, v1, v53, vcc_lo
	flat_load_b64 v[0:1], v[0:1] offset:1536
	s_waitcnt vmcnt(0) lgkmcnt(0)
	v_mul_f64 v[64:65], s[24:25], v[0:1]
.LBB177_52:                             ;   in Loop: Header=BB177_30 Depth=1
	s_or_b32 exec_lo, exec_lo, s7
	s_mov_b32 s31, 0
	s_mov_b32 s7, -1
.LBB177_53:                             ;   Parent Loop BB177_30 Depth=1
                                        ; =>  This Inner Loop Header: Depth=2
	s_lshl_b32 s31, s31, 3
	s_and_not1_b32 vcc_lo, exec_lo, s7
	v_lshl_add_u32 v0, v121, 5, s31
	v_lshl_add_u32 v16, v122, 5, s31
	s_mov_b32 s31, 2
	s_mov_b32 s7, 0
	ds_load_b128 v[32:35], v0 offset:16384
	ds_load_b128 v[28:31], v0 offset:16640
	;; [unrolled: 1-line block ×8, first 2 shown]
	ds_load_b128 v[142:145], v16
	ds_load_b128 v[146:149], v16 offset:1024
	ds_load_b128 v[150:153], v16 offset:2048
	;; [unrolled: 1-line block ×7, first 2 shown]
	s_waitcnt lgkmcnt(7)
	v_add_f64 v[154:155], v[34:35], v[144:145]
	v_add_f64 v[156:157], v[32:33], v[142:143]
	s_delay_alu instid0(VALU_DEP_2) | instskip(NEXT) | instid1(VALU_DEP_2)
	v_cvt_f32_f64_e32 v154, v[154:155]
	v_cvt_f32_f64_e32 v54, v[156:157]
	v_add_f64 v[156:157], v[28:29], v[142:143]
	s_delay_alu instid0(VALU_DEP_2) | instskip(SKIP_1) | instid1(VALU_DEP_3)
	v_min3_f32 v131, v54, v154, v131
	v_add_f64 v[154:155], v[30:31], v[144:145]
	v_cvt_f32_f64_e32 v54, v[156:157]
	v_add_f64 v[156:157], v[24:25], v[142:143]
	s_delay_alu instid0(VALU_DEP_3) | instskip(NEXT) | instid1(VALU_DEP_1)
	v_cvt_f32_f64_e32 v154, v[154:155]
	v_min3_f32 v130, v54, v154, v130
	v_add_f64 v[154:155], v[26:27], v[144:145]
	s_delay_alu instid0(VALU_DEP_4) | instskip(SKIP_1) | instid1(VALU_DEP_3)
	v_cvt_f32_f64_e32 v54, v[156:157]
	v_add_f64 v[156:157], v[20:21], v[142:143]
	v_cvt_f32_f64_e32 v154, v[154:155]
	s_delay_alu instid0(VALU_DEP_1) | instskip(SKIP_1) | instid1(VALU_DEP_4)
	v_min3_f32 v129, v54, v154, v129
	v_add_f64 v[154:155], v[22:23], v[144:145]
	v_cvt_f32_f64_e32 v54, v[156:157]
	v_add_f64 v[156:157], v[12:13], v[142:143]
	s_delay_alu instid0(VALU_DEP_3) | instskip(NEXT) | instid1(VALU_DEP_1)
	v_cvt_f32_f64_e32 v154, v[154:155]
	v_min3_f32 v128, v54, v154, v128
	v_add_f64 v[154:155], v[14:15], v[144:145]
	s_delay_alu instid0(VALU_DEP_4) | instskip(SKIP_1) | instid1(VALU_DEP_3)
	v_cvt_f32_f64_e32 v54, v[156:157]
	v_add_f64 v[156:157], v[8:9], v[142:143]
	v_cvt_f32_f64_e32 v154, v[154:155]
	s_delay_alu instid0(VALU_DEP_1) | instskip(SKIP_1) | instid1(VALU_DEP_4)
	v_min3_f32 v127, v54, v154, v127
	v_add_f64 v[154:155], v[10:11], v[144:145]
	v_cvt_f32_f64_e32 v54, v[156:157]
	v_add_f64 v[156:157], v[4:5], v[142:143]
	v_add_f64 v[142:143], v[0:1], v[142:143]
	s_delay_alu instid0(VALU_DEP_4) | instskip(NEXT) | instid1(VALU_DEP_1)
	v_cvt_f32_f64_e32 v154, v[154:155]
	v_min3_f32 v126, v54, v154, v126
	v_add_f64 v[154:155], v[6:7], v[144:145]
	v_cvt_f32_f64_e32 v54, v[156:157]
	v_add_f64 v[144:145], v[2:3], v[144:145]
	s_delay_alu instid0(VALU_DEP_3) | instskip(NEXT) | instid1(VALU_DEP_1)
	v_cvt_f32_f64_e32 v154, v[154:155]
	v_min3_f32 v125, v54, v154, v125
	v_cvt_f32_f64_e32 v54, v[142:143]
	s_delay_alu instid0(VALU_DEP_4) | instskip(SKIP_2) | instid1(VALU_DEP_2)
	v_cvt_f32_f64_e32 v142, v[144:145]
	s_waitcnt lgkmcnt(6)
	v_add_f64 v[144:145], v[32:33], v[146:147]
	v_min3_f32 v124, v54, v142, v124
	v_add_f64 v[142:143], v[34:35], v[148:149]
	s_delay_alu instid0(VALU_DEP_3) | instskip(SKIP_1) | instid1(VALU_DEP_3)
	v_cvt_f32_f64_e32 v54, v[144:145]
	v_add_f64 v[144:145], v[28:29], v[146:147]
	v_cvt_f32_f64_e32 v142, v[142:143]
	s_delay_alu instid0(VALU_DEP_1) | instskip(SKIP_1) | instid1(VALU_DEP_4)
	v_min3_f32 v123, v54, v142, v123
	v_add_f64 v[142:143], v[30:31], v[148:149]
	v_cvt_f32_f64_e32 v54, v[144:145]
	v_add_f64 v[144:145], v[24:25], v[146:147]
	s_delay_alu instid0(VALU_DEP_3) | instskip(NEXT) | instid1(VALU_DEP_1)
	v_cvt_f32_f64_e32 v142, v[142:143]
	v_min3_f32 v120, v54, v142, v120
	v_add_f64 v[142:143], v[26:27], v[148:149]
	s_delay_alu instid0(VALU_DEP_4) | instskip(SKIP_1) | instid1(VALU_DEP_3)
	v_cvt_f32_f64_e32 v54, v[144:145]
	v_add_f64 v[144:145], v[20:21], v[146:147]
	v_cvt_f32_f64_e32 v142, v[142:143]
	s_delay_alu instid0(VALU_DEP_1) | instskip(SKIP_1) | instid1(VALU_DEP_4)
	v_min3_f32 v119, v54, v142, v119
	v_add_f64 v[142:143], v[22:23], v[148:149]
	v_cvt_f32_f64_e32 v54, v[144:145]
	v_add_f64 v[144:145], v[12:13], v[146:147]
	s_delay_alu instid0(VALU_DEP_3) | instskip(NEXT) | instid1(VALU_DEP_1)
	v_cvt_f32_f64_e32 v142, v[142:143]
	v_min3_f32 v118, v54, v142, v118
	v_add_f64 v[142:143], v[14:15], v[148:149]
	s_delay_alu instid0(VALU_DEP_4) | instskip(SKIP_1) | instid1(VALU_DEP_3)
	;; [unrolled: 13-line block ×3, first 2 shown]
	v_cvt_f32_f64_e32 v54, v[144:145]
	v_add_f64 v[144:145], v[0:1], v[146:147]
	v_cvt_f32_f64_e32 v142, v[142:143]
	s_delay_alu instid0(VALU_DEP_1) | instskip(SKIP_1) | instid1(VALU_DEP_4)
	v_min3_f32 v115, v54, v142, v115
	v_add_f64 v[142:143], v[2:3], v[148:149]
	v_cvt_f32_f64_e32 v54, v[144:145]
	s_waitcnt lgkmcnt(5)
	v_add_f64 v[144:145], v[32:33], v[150:151]
	s_delay_alu instid0(VALU_DEP_3) | instskip(NEXT) | instid1(VALU_DEP_1)
	v_cvt_f32_f64_e32 v142, v[142:143]
	v_min3_f32 v114, v54, v142, v114
	v_add_f64 v[142:143], v[34:35], v[152:153]
	s_delay_alu instid0(VALU_DEP_4) | instskip(SKIP_1) | instid1(VALU_DEP_3)
	v_cvt_f32_f64_e32 v54, v[144:145]
	v_add_f64 v[144:145], v[28:29], v[150:151]
	v_cvt_f32_f64_e32 v142, v[142:143]
	s_delay_alu instid0(VALU_DEP_1) | instskip(SKIP_1) | instid1(VALU_DEP_4)
	v_min3_f32 v113, v54, v142, v113
	v_add_f64 v[142:143], v[30:31], v[152:153]
	v_cvt_f32_f64_e32 v54, v[144:145]
	v_add_f64 v[144:145], v[24:25], v[150:151]
	s_delay_alu instid0(VALU_DEP_3) | instskip(NEXT) | instid1(VALU_DEP_1)
	v_cvt_f32_f64_e32 v142, v[142:143]
	v_min3_f32 v112, v54, v142, v112
	v_add_f64 v[142:143], v[26:27], v[152:153]
	s_delay_alu instid0(VALU_DEP_4) | instskip(SKIP_1) | instid1(VALU_DEP_3)
	v_cvt_f32_f64_e32 v54, v[144:145]
	v_add_f64 v[144:145], v[20:21], v[150:151]
	v_cvt_f32_f64_e32 v142, v[142:143]
	s_delay_alu instid0(VALU_DEP_1) | instskip(SKIP_1) | instid1(VALU_DEP_4)
	v_min3_f32 v111, v54, v142, v111
	v_add_f64 v[142:143], v[22:23], v[152:153]
	v_cvt_f32_f64_e32 v54, v[144:145]
	;; [unrolled: 13-line block ×4, first 2 shown]
	s_waitcnt lgkmcnt(4)
	v_add_f64 v[144:145], v[32:33], v[48:49]
	s_delay_alu instid0(VALU_DEP_3) | instskip(NEXT) | instid1(VALU_DEP_1)
	v_cvt_f32_f64_e32 v142, v[142:143]
	v_min3_f32 v106, v54, v142, v106
	v_add_f64 v[142:143], v[34:35], v[50:51]
	s_delay_alu instid0(VALU_DEP_4) | instskip(SKIP_1) | instid1(VALU_DEP_3)
	v_cvt_f32_f64_e32 v54, v[144:145]
	v_add_f64 v[144:145], v[28:29], v[48:49]
	v_cvt_f32_f64_e32 v142, v[142:143]
	s_delay_alu instid0(VALU_DEP_1) | instskip(SKIP_1) | instid1(VALU_DEP_4)
	v_min3_f32 v105, v54, v142, v105
	v_add_f64 v[142:143], v[30:31], v[50:51]
	v_cvt_f32_f64_e32 v54, v[144:145]
	v_add_f64 v[144:145], v[24:25], v[48:49]
	s_delay_alu instid0(VALU_DEP_3) | instskip(NEXT) | instid1(VALU_DEP_1)
	v_cvt_f32_f64_e32 v142, v[142:143]
	v_min3_f32 v104, v54, v142, v104
	v_add_f64 v[142:143], v[26:27], v[50:51]
	s_delay_alu instid0(VALU_DEP_4) | instskip(SKIP_1) | instid1(VALU_DEP_3)
	v_cvt_f32_f64_e32 v54, v[144:145]
	v_add_f64 v[144:145], v[20:21], v[48:49]
	v_cvt_f32_f64_e32 v142, v[142:143]
	s_delay_alu instid0(VALU_DEP_1) | instskip(SKIP_1) | instid1(VALU_DEP_4)
	v_min3_f32 v103, v54, v142, v103
	v_add_f64 v[142:143], v[22:23], v[50:51]
	v_cvt_f32_f64_e32 v54, v[144:145]
	;; [unrolled: 13-line block ×3, first 2 shown]
	v_add_f64 v[144:145], v[4:5], v[48:49]
	v_add_f64 v[48:49], v[0:1], v[48:49]
	s_delay_alu instid0(VALU_DEP_4) | instskip(NEXT) | instid1(VALU_DEP_2)
	v_cvt_f32_f64_e32 v142, v[142:143]
	v_cvt_f32_f64_e32 v48, v[48:49]
	s_delay_alu instid0(VALU_DEP_2) | instskip(SKIP_3) | instid1(VALU_DEP_3)
	v_min3_f32 v100, v54, v142, v100
	v_add_f64 v[142:143], v[6:7], v[50:51]
	v_add_f64 v[50:51], v[2:3], v[50:51]
	v_cvt_f32_f64_e32 v54, v[144:145]
	v_cvt_f32_f64_e32 v142, v[142:143]
	s_delay_alu instid0(VALU_DEP_3) | instskip(SKIP_2) | instid1(VALU_DEP_3)
	v_cvt_f32_f64_e32 v49, v[50:51]
	s_waitcnt lgkmcnt(3)
	v_add_f64 v[50:51], v[32:33], v[44:45]
	v_min3_f32 v99, v54, v142, v99
	s_delay_alu instid0(VALU_DEP_3) | instskip(SKIP_1) | instid1(VALU_DEP_4)
	v_min3_f32 v98, v48, v49, v98
	v_add_f64 v[48:49], v[34:35], v[46:47]
	v_cvt_f32_f64_e32 v50, v[50:51]
	s_delay_alu instid0(VALU_DEP_2) | instskip(NEXT) | instid1(VALU_DEP_1)
	v_cvt_f32_f64_e32 v48, v[48:49]
	v_min3_f32 v97, v50, v48, v97
	v_add_f64 v[48:49], v[30:31], v[46:47]
	v_add_f64 v[50:51], v[28:29], v[44:45]
	s_delay_alu instid0(VALU_DEP_2) | instskip(NEXT) | instid1(VALU_DEP_2)
	v_cvt_f32_f64_e32 v48, v[48:49]
	v_cvt_f32_f64_e32 v50, v[50:51]
	s_delay_alu instid0(VALU_DEP_1) | instskip(SKIP_2) | instid1(VALU_DEP_2)
	v_min3_f32 v96, v50, v48, v96
	v_add_f64 v[48:49], v[26:27], v[46:47]
	v_add_f64 v[50:51], v[24:25], v[44:45]
	v_cvt_f32_f64_e32 v48, v[48:49]
	s_delay_alu instid0(VALU_DEP_2) | instskip(NEXT) | instid1(VALU_DEP_1)
	v_cvt_f32_f64_e32 v50, v[50:51]
	v_min3_f32 v95, v50, v48, v95
	v_add_f64 v[48:49], v[22:23], v[46:47]
	v_add_f64 v[50:51], v[20:21], v[44:45]
	s_delay_alu instid0(VALU_DEP_2) | instskip(NEXT) | instid1(VALU_DEP_2)
	v_cvt_f32_f64_e32 v48, v[48:49]
	v_cvt_f32_f64_e32 v50, v[50:51]
	s_delay_alu instid0(VALU_DEP_1) | instskip(SKIP_2) | instid1(VALU_DEP_2)
	v_min3_f32 v94, v50, v48, v94
	v_add_f64 v[48:49], v[14:15], v[46:47]
	v_add_f64 v[50:51], v[12:13], v[44:45]
	v_cvt_f32_f64_e32 v48, v[48:49]
	s_delay_alu instid0(VALU_DEP_2) | instskip(NEXT) | instid1(VALU_DEP_1)
	v_cvt_f32_f64_e32 v50, v[50:51]
	v_min3_f32 v93, v50, v48, v93
	v_add_f64 v[48:49], v[10:11], v[46:47]
	v_add_f64 v[50:51], v[8:9], v[44:45]
	s_delay_alu instid0(VALU_DEP_2) | instskip(NEXT) | instid1(VALU_DEP_2)
	v_cvt_f32_f64_e32 v48, v[48:49]
	v_cvt_f32_f64_e32 v50, v[50:51]
	s_delay_alu instid0(VALU_DEP_1) | instskip(SKIP_4) | instid1(VALU_DEP_4)
	v_min3_f32 v92, v50, v48, v92
	v_add_f64 v[48:49], v[6:7], v[46:47]
	v_add_f64 v[50:51], v[4:5], v[44:45]
	;; [unrolled: 1-line block ×4, first 2 shown]
	v_cvt_f32_f64_e32 v48, v[48:49]
	s_delay_alu instid0(VALU_DEP_4) | instskip(NEXT) | instid1(VALU_DEP_3)
	v_cvt_f32_f64_e32 v50, v[50:51]
	v_cvt_f32_f64_e32 v44, v[44:45]
	;; [unrolled: 1-line block ×3, first 2 shown]
	s_waitcnt lgkmcnt(2)
	v_add_f64 v[46:47], v[32:33], v[40:41]
	s_delay_alu instid0(VALU_DEP_4) | instskip(NEXT) | instid1(VALU_DEP_3)
	v_min3_f32 v91, v50, v48, v91
	v_min3_f32 v90, v44, v45, v90
	v_add_f64 v[44:45], v[34:35], v[42:43]
	s_delay_alu instid0(VALU_DEP_4) | instskip(NEXT) | instid1(VALU_DEP_2)
	v_cvt_f32_f64_e32 v46, v[46:47]
	v_cvt_f32_f64_e32 v44, v[44:45]
	s_delay_alu instid0(VALU_DEP_1) | instskip(SKIP_2) | instid1(VALU_DEP_2)
	v_min3_f32 v89, v46, v44, v89
	v_add_f64 v[44:45], v[30:31], v[42:43]
	v_add_f64 v[46:47], v[28:29], v[40:41]
	v_cvt_f32_f64_e32 v44, v[44:45]
	s_delay_alu instid0(VALU_DEP_2) | instskip(NEXT) | instid1(VALU_DEP_1)
	v_cvt_f32_f64_e32 v46, v[46:47]
	v_min3_f32 v88, v46, v44, v88
	v_add_f64 v[44:45], v[26:27], v[42:43]
	v_add_f64 v[46:47], v[24:25], v[40:41]
	s_delay_alu instid0(VALU_DEP_2) | instskip(NEXT) | instid1(VALU_DEP_2)
	v_cvt_f32_f64_e32 v44, v[44:45]
	v_cvt_f32_f64_e32 v46, v[46:47]
	s_delay_alu instid0(VALU_DEP_1) | instskip(SKIP_2) | instid1(VALU_DEP_2)
	v_min3_f32 v87, v46, v44, v87
	v_add_f64 v[44:45], v[22:23], v[42:43]
	v_add_f64 v[46:47], v[20:21], v[40:41]
	v_cvt_f32_f64_e32 v44, v[44:45]
	s_delay_alu instid0(VALU_DEP_2) | instskip(NEXT) | instid1(VALU_DEP_1)
	v_cvt_f32_f64_e32 v46, v[46:47]
	v_min3_f32 v86, v46, v44, v86
	v_add_f64 v[44:45], v[14:15], v[42:43]
	v_add_f64 v[46:47], v[12:13], v[40:41]
	s_delay_alu instid0(VALU_DEP_2) | instskip(NEXT) | instid1(VALU_DEP_2)
	v_cvt_f32_f64_e32 v44, v[44:45]
	v_cvt_f32_f64_e32 v46, v[46:47]
	s_delay_alu instid0(VALU_DEP_1) | instskip(SKIP_2) | instid1(VALU_DEP_2)
	v_min3_f32 v85, v46, v44, v85
	v_add_f64 v[44:45], v[10:11], v[42:43]
	v_add_f64 v[46:47], v[8:9], v[40:41]
	v_cvt_f32_f64_e32 v44, v[44:45]
	s_delay_alu instid0(VALU_DEP_2) | instskip(NEXT) | instid1(VALU_DEP_1)
	v_cvt_f32_f64_e32 v46, v[46:47]
	v_min3_f32 v84, v46, v44, v84
	v_add_f64 v[44:45], v[6:7], v[42:43]
	v_add_f64 v[46:47], v[4:5], v[40:41]
	;; [unrolled: 1-line block ×4, first 2 shown]
	s_delay_alu instid0(VALU_DEP_4) | instskip(NEXT) | instid1(VALU_DEP_4)
	v_cvt_f32_f64_e32 v44, v[44:45]
	v_cvt_f32_f64_e32 v46, v[46:47]
	s_delay_alu instid0(VALU_DEP_3)
	v_cvt_f32_f64_e32 v40, v[40:41]
	v_cvt_f32_f64_e32 v41, v[42:43]
	s_waitcnt lgkmcnt(1)
	v_add_f64 v[42:43], v[32:33], v[36:37]
	s_waitcnt lgkmcnt(0)
	v_add_f64 v[32:33], v[32:33], v[16:17]
	v_min3_f32 v83, v46, v44, v83
	s_delay_alu instid0(VALU_DEP_4) | instskip(SKIP_4) | instid1(VALU_DEP_4)
	v_min3_f32 v82, v40, v41, v82
	v_add_f64 v[40:41], v[34:35], v[38:39]
	v_cvt_f32_f64_e32 v42, v[42:43]
	v_add_f64 v[34:35], v[34:35], v[18:19]
	v_cvt_f32_f64_e32 v32, v[32:33]
	v_cvt_f32_f64_e32 v40, v[40:41]
	s_delay_alu instid0(VALU_DEP_3) | instskip(NEXT) | instid1(VALU_DEP_2)
	v_cvt_f32_f64_e32 v33, v[34:35]
	v_min3_f32 v81, v42, v40, v81
	v_add_f64 v[40:41], v[30:31], v[38:39]
	v_add_f64 v[42:43], v[28:29], v[36:37]
	v_add_f64 v[30:31], v[30:31], v[18:19]
	v_add_f64 v[28:29], v[28:29], v[16:17]
	v_min3_f32 v73, v32, v33, v73
	v_cvt_f32_f64_e32 v40, v[40:41]
	v_cvt_f32_f64_e32 v42, v[42:43]
	s_delay_alu instid0(VALU_DEP_4) | instskip(SKIP_1) | instid1(VALU_DEP_3)
	v_cvt_f32_f64_e32 v28, v[28:29]
	v_cvt_f32_f64_e32 v29, v[30:31]
	v_min3_f32 v80, v42, v40, v80
	v_add_f64 v[40:41], v[26:27], v[38:39]
	v_add_f64 v[42:43], v[24:25], v[36:37]
	v_add_f64 v[26:27], v[26:27], v[18:19]
	v_add_f64 v[24:25], v[24:25], v[16:17]
	v_min3_f32 v72, v28, v29, v72
	v_cvt_f32_f64_e32 v40, v[40:41]
	v_cvt_f32_f64_e32 v42, v[42:43]
	s_delay_alu instid0(VALU_DEP_4) | instskip(SKIP_1) | instid1(VALU_DEP_3)
	v_cvt_f32_f64_e32 v24, v[24:25]
	v_cvt_f32_f64_e32 v25, v[26:27]
	v_min3_f32 v79, v42, v40, v79
	v_add_f64 v[40:41], v[22:23], v[38:39]
	v_add_f64 v[42:43], v[20:21], v[36:37]
	v_add_f64 v[22:23], v[22:23], v[18:19]
	v_add_f64 v[20:21], v[20:21], v[16:17]
	v_min3_f32 v71, v24, v25, v71
	v_cvt_f32_f64_e32 v40, v[40:41]
	v_cvt_f32_f64_e32 v42, v[42:43]
	s_delay_alu instid0(VALU_DEP_4) | instskip(SKIP_1) | instid1(VALU_DEP_3)
	v_cvt_f32_f64_e32 v20, v[20:21]
	v_cvt_f32_f64_e32 v21, v[22:23]
	v_min3_f32 v78, v42, v40, v78
	v_add_f64 v[40:41], v[14:15], v[38:39]
	v_add_f64 v[42:43], v[12:13], v[36:37]
	v_add_f64 v[14:15], v[14:15], v[18:19]
	v_add_f64 v[12:13], v[12:13], v[16:17]
	v_min3_f32 v70, v20, v21, v70
	v_cvt_f32_f64_e32 v40, v[40:41]
	v_cvt_f32_f64_e32 v42, v[42:43]
	s_delay_alu instid0(VALU_DEP_4) | instskip(SKIP_1) | instid1(VALU_DEP_3)
	v_cvt_f32_f64_e32 v12, v[12:13]
	v_cvt_f32_f64_e32 v13, v[14:15]
	v_min3_f32 v77, v42, v40, v77
	v_add_f64 v[40:41], v[10:11], v[38:39]
	v_add_f64 v[42:43], v[8:9], v[36:37]
	v_add_f64 v[10:11], v[10:11], v[18:19]
	v_add_f64 v[8:9], v[8:9], v[16:17]
	v_min3_f32 v69, v12, v13, v69
	v_cvt_f32_f64_e32 v40, v[40:41]
	v_cvt_f32_f64_e32 v42, v[42:43]
	s_delay_alu instid0(VALU_DEP_4) | instskip(SKIP_1) | instid1(VALU_DEP_3)
	v_cvt_f32_f64_e32 v8, v[8:9]
	v_cvt_f32_f64_e32 v9, v[10:11]
	v_min3_f32 v76, v42, v40, v76
	v_add_f64 v[40:41], v[6:7], v[38:39]
	v_add_f64 v[42:43], v[4:5], v[36:37]
	;; [unrolled: 1-line block ×8, first 2 shown]
	v_min3_f32 v68, v8, v9, v68
	v_cvt_f32_f64_e32 v40, v[40:41]
	v_cvt_f32_f64_e32 v42, v[42:43]
	;; [unrolled: 1-line block ×8, first 2 shown]
	v_min3_f32 v75, v42, v40, v75
	v_min3_f32 v74, v36, v37, v74
	v_min3_f32 v67, v4, v5, v67
	s_delay_alu instid0(VALU_DEP_4)
	v_min3_f32 v66, v0, v1, v66
	s_cbranch_vccz .LBB177_53
; %bb.54:                               ;   in Loop: Header=BB177_30 Depth=1
	s_add_i32 s29, s29, 8
	s_add_i32 s30, s30, 8
	s_cmp_ge_i32 s29, s28
	ds_store_b64 v136, v[56:57]
	ds_store_2addr_stride64_b64 v137, v[58:59], v[60:61] offset1:4
	ds_store_2addr_stride64_b64 v137, v[62:63], v[64:65] offset0:8 offset1:12
	s_waitcnt lgkmcnt(0)
	s_barrier
	buffer_gl0_inv
	s_cbranch_scc0 .LBB177_30
.LBB177_55:
	s_mov_b32 s3, 0
	s_mov_b32 s2, -1
.LBB177_56:                             ; =>This Inner Loop Header: Depth=1
	s_lshl_b32 s3, s3, 3
	s_and_not1_b32 vcc_lo, exec_lo, s2
	v_lshl_add_u32 v0, v121, 5, s3
	v_lshl_add_u32 v16, v122, 5, s3
	s_mov_b32 s3, 2
	s_mov_b32 s2, 0
	ds_load_b128 v[32:35], v0 offset:18432
	ds_load_b128 v[28:31], v0 offset:18688
	;; [unrolled: 1-line block ×16, first 2 shown]
	s_waitcnt lgkmcnt(7)
	v_add_f64 v[64:65], v[34:35], v[54:55]
	v_add_f64 v[132:133], v[32:33], v[52:53]
	s_delay_alu instid0(VALU_DEP_2) | instskip(NEXT) | instid1(VALU_DEP_2)
	v_cvt_f32_f64_e32 v64, v[64:65]
	v_cvt_f32_f64_e32 v132, v[132:133]
	s_delay_alu instid0(VALU_DEP_1) | instskip(SKIP_2) | instid1(VALU_DEP_2)
	v_min3_f32 v131, v132, v64, v131
	v_add_f64 v[64:65], v[30:31], v[54:55]
	v_add_f64 v[132:133], v[28:29], v[52:53]
	v_cvt_f32_f64_e32 v64, v[64:65]
	s_delay_alu instid0(VALU_DEP_2) | instskip(NEXT) | instid1(VALU_DEP_1)
	v_cvt_f32_f64_e32 v132, v[132:133]
	v_min3_f32 v130, v132, v64, v130
	v_add_f64 v[64:65], v[26:27], v[54:55]
	v_add_f64 v[132:133], v[24:25], v[52:53]
	s_delay_alu instid0(VALU_DEP_2) | instskip(NEXT) | instid1(VALU_DEP_2)
	v_cvt_f32_f64_e32 v64, v[64:65]
	v_cvt_f32_f64_e32 v132, v[132:133]
	s_delay_alu instid0(VALU_DEP_1) | instskip(SKIP_2) | instid1(VALU_DEP_2)
	v_min3_f32 v129, v132, v64, v129
	v_add_f64 v[64:65], v[22:23], v[54:55]
	v_add_f64 v[132:133], v[20:21], v[52:53]
	v_cvt_f32_f64_e32 v64, v[64:65]
	s_delay_alu instid0(VALU_DEP_2) | instskip(NEXT) | instid1(VALU_DEP_1)
	v_cvt_f32_f64_e32 v132, v[132:133]
	v_min3_f32 v128, v132, v64, v128
	;; [unrolled: 13-line block ×3, first 2 shown]
	v_add_f64 v[64:65], v[6:7], v[54:55]
	v_add_f64 v[132:133], v[4:5], v[52:53]
	;; [unrolled: 1-line block ×4, first 2 shown]
	s_delay_alu instid0(VALU_DEP_4) | instskip(NEXT) | instid1(VALU_DEP_4)
	v_cvt_f32_f64_e32 v64, v[64:65]
	v_cvt_f32_f64_e32 v132, v[132:133]
	s_delay_alu instid0(VALU_DEP_3) | instskip(SKIP_3) | instid1(VALU_DEP_4)
	v_cvt_f32_f64_e32 v52, v[52:53]
	v_cvt_f32_f64_e32 v53, v[54:55]
	s_waitcnt lgkmcnt(6)
	v_add_f64 v[54:55], v[32:33], v[56:57]
	v_min3_f32 v125, v132, v64, v125
	s_delay_alu instid0(VALU_DEP_3) | instskip(SKIP_1) | instid1(VALU_DEP_4)
	v_min3_f32 v124, v52, v53, v124
	v_add_f64 v[52:53], v[34:35], v[58:59]
	v_cvt_f32_f64_e32 v54, v[54:55]
	s_delay_alu instid0(VALU_DEP_2) | instskip(NEXT) | instid1(VALU_DEP_1)
	v_cvt_f32_f64_e32 v52, v[52:53]
	v_min3_f32 v123, v54, v52, v123
	v_add_f64 v[52:53], v[30:31], v[58:59]
	v_add_f64 v[54:55], v[28:29], v[56:57]
	s_delay_alu instid0(VALU_DEP_2) | instskip(NEXT) | instid1(VALU_DEP_2)
	v_cvt_f32_f64_e32 v52, v[52:53]
	v_cvt_f32_f64_e32 v54, v[54:55]
	s_delay_alu instid0(VALU_DEP_1) | instskip(SKIP_2) | instid1(VALU_DEP_2)
	v_min3_f32 v120, v54, v52, v120
	v_add_f64 v[52:53], v[26:27], v[58:59]
	v_add_f64 v[54:55], v[24:25], v[56:57]
	v_cvt_f32_f64_e32 v52, v[52:53]
	s_delay_alu instid0(VALU_DEP_2) | instskip(NEXT) | instid1(VALU_DEP_1)
	v_cvt_f32_f64_e32 v54, v[54:55]
	v_min3_f32 v119, v54, v52, v119
	v_add_f64 v[52:53], v[22:23], v[58:59]
	v_add_f64 v[54:55], v[20:21], v[56:57]
	s_delay_alu instid0(VALU_DEP_2) | instskip(NEXT) | instid1(VALU_DEP_2)
	v_cvt_f32_f64_e32 v52, v[52:53]
	v_cvt_f32_f64_e32 v54, v[54:55]
	s_delay_alu instid0(VALU_DEP_1) | instskip(SKIP_2) | instid1(VALU_DEP_2)
	v_min3_f32 v118, v54, v52, v118
	v_add_f64 v[52:53], v[14:15], v[58:59]
	;; [unrolled: 13-line block ×3, first 2 shown]
	v_add_f64 v[54:55], v[4:5], v[56:57]
	v_cvt_f32_f64_e32 v52, v[52:53]
	s_delay_alu instid0(VALU_DEP_2) | instskip(NEXT) | instid1(VALU_DEP_1)
	v_cvt_f32_f64_e32 v54, v[54:55]
	v_min3_f32 v115, v54, v52, v115
	v_add_f64 v[52:53], v[2:3], v[58:59]
	v_add_f64 v[54:55], v[0:1], v[56:57]
	s_delay_alu instid0(VALU_DEP_2) | instskip(NEXT) | instid1(VALU_DEP_2)
	v_cvt_f32_f64_e32 v52, v[52:53]
	v_cvt_f32_f64_e32 v54, v[54:55]
	s_delay_alu instid0(VALU_DEP_1) | instskip(SKIP_3) | instid1(VALU_DEP_2)
	v_min3_f32 v114, v54, v52, v114
	s_waitcnt lgkmcnt(5)
	v_add_f64 v[52:53], v[34:35], v[62:63]
	v_add_f64 v[54:55], v[32:33], v[60:61]
	v_cvt_f32_f64_e32 v52, v[52:53]
	s_delay_alu instid0(VALU_DEP_2) | instskip(NEXT) | instid1(VALU_DEP_1)
	v_cvt_f32_f64_e32 v54, v[54:55]
	v_min3_f32 v113, v54, v52, v113
	v_add_f64 v[52:53], v[30:31], v[62:63]
	v_add_f64 v[54:55], v[28:29], v[60:61]
	s_delay_alu instid0(VALU_DEP_2) | instskip(NEXT) | instid1(VALU_DEP_2)
	v_cvt_f32_f64_e32 v52, v[52:53]
	v_cvt_f32_f64_e32 v54, v[54:55]
	s_delay_alu instid0(VALU_DEP_1) | instskip(SKIP_2) | instid1(VALU_DEP_2)
	v_min3_f32 v112, v54, v52, v112
	v_add_f64 v[52:53], v[26:27], v[62:63]
	v_add_f64 v[54:55], v[24:25], v[60:61]
	v_cvt_f32_f64_e32 v52, v[52:53]
	s_delay_alu instid0(VALU_DEP_2) | instskip(NEXT) | instid1(VALU_DEP_1)
	v_cvt_f32_f64_e32 v54, v[54:55]
	v_min3_f32 v111, v54, v52, v111
	v_add_f64 v[52:53], v[22:23], v[62:63]
	v_add_f64 v[54:55], v[20:21], v[60:61]
	s_delay_alu instid0(VALU_DEP_2) | instskip(NEXT) | instid1(VALU_DEP_2)
	v_cvt_f32_f64_e32 v52, v[52:53]
	v_cvt_f32_f64_e32 v54, v[54:55]
	s_delay_alu instid0(VALU_DEP_1) | instskip(SKIP_2) | instid1(VALU_DEP_2)
	v_min3_f32 v110, v54, v52, v110
	;; [unrolled: 13-line block ×3, first 2 shown]
	v_add_f64 v[52:53], v[6:7], v[62:63]
	v_add_f64 v[54:55], v[4:5], v[60:61]
	v_cvt_f32_f64_e32 v52, v[52:53]
	s_delay_alu instid0(VALU_DEP_2) | instskip(NEXT) | instid1(VALU_DEP_1)
	v_cvt_f32_f64_e32 v54, v[54:55]
	v_min3_f32 v107, v54, v52, v107
	v_add_f64 v[52:53], v[2:3], v[62:63]
	v_add_f64 v[54:55], v[0:1], v[60:61]
	s_delay_alu instid0(VALU_DEP_2) | instskip(NEXT) | instid1(VALU_DEP_2)
	v_cvt_f32_f64_e32 v52, v[52:53]
	v_cvt_f32_f64_e32 v54, v[54:55]
	s_delay_alu instid0(VALU_DEP_1) | instskip(SKIP_3) | instid1(VALU_DEP_2)
	v_min3_f32 v106, v54, v52, v106
	s_waitcnt lgkmcnt(4)
	v_add_f64 v[52:53], v[34:35], v[50:51]
	v_add_f64 v[54:55], v[32:33], v[48:49]
	v_cvt_f32_f64_e32 v52, v[52:53]
	s_delay_alu instid0(VALU_DEP_2) | instskip(NEXT) | instid1(VALU_DEP_1)
	v_cvt_f32_f64_e32 v54, v[54:55]
	v_min3_f32 v105, v54, v52, v105
	v_add_f64 v[52:53], v[30:31], v[50:51]
	v_add_f64 v[54:55], v[28:29], v[48:49]
	s_delay_alu instid0(VALU_DEP_2) | instskip(NEXT) | instid1(VALU_DEP_2)
	v_cvt_f32_f64_e32 v52, v[52:53]
	v_cvt_f32_f64_e32 v54, v[54:55]
	s_delay_alu instid0(VALU_DEP_1) | instskip(SKIP_2) | instid1(VALU_DEP_2)
	v_min3_f32 v104, v54, v52, v104
	v_add_f64 v[52:53], v[26:27], v[50:51]
	v_add_f64 v[54:55], v[24:25], v[48:49]
	v_cvt_f32_f64_e32 v52, v[52:53]
	s_delay_alu instid0(VALU_DEP_2) | instskip(NEXT) | instid1(VALU_DEP_1)
	v_cvt_f32_f64_e32 v54, v[54:55]
	v_min3_f32 v103, v54, v52, v103
	v_add_f64 v[52:53], v[22:23], v[50:51]
	v_add_f64 v[54:55], v[20:21], v[48:49]
	s_delay_alu instid0(VALU_DEP_2) | instskip(NEXT) | instid1(VALU_DEP_2)
	v_cvt_f32_f64_e32 v52, v[52:53]
	v_cvt_f32_f64_e32 v54, v[54:55]
	s_delay_alu instid0(VALU_DEP_1) | instskip(SKIP_2) | instid1(VALU_DEP_2)
	v_min3_f32 v102, v54, v52, v102
	v_add_f64 v[52:53], v[14:15], v[50:51]
	v_add_f64 v[54:55], v[12:13], v[48:49]
	v_cvt_f32_f64_e32 v52, v[52:53]
	s_delay_alu instid0(VALU_DEP_2) | instskip(NEXT) | instid1(VALU_DEP_1)
	v_cvt_f32_f64_e32 v54, v[54:55]
	v_min3_f32 v101, v54, v52, v101
	v_add_f64 v[52:53], v[10:11], v[50:51]
	v_add_f64 v[54:55], v[8:9], v[48:49]
	s_delay_alu instid0(VALU_DEP_2) | instskip(NEXT) | instid1(VALU_DEP_2)
	v_cvt_f32_f64_e32 v52, v[52:53]
	v_cvt_f32_f64_e32 v54, v[54:55]
	s_delay_alu instid0(VALU_DEP_1) | instskip(SKIP_4) | instid1(VALU_DEP_4)
	v_min3_f32 v100, v54, v52, v100
	v_add_f64 v[52:53], v[6:7], v[50:51]
	v_add_f64 v[54:55], v[4:5], v[48:49]
	;; [unrolled: 1-line block ×4, first 2 shown]
	v_cvt_f32_f64_e32 v52, v[52:53]
	s_delay_alu instid0(VALU_DEP_4) | instskip(NEXT) | instid1(VALU_DEP_3)
	v_cvt_f32_f64_e32 v54, v[54:55]
	v_cvt_f32_f64_e32 v48, v[48:49]
	;; [unrolled: 1-line block ×3, first 2 shown]
	s_waitcnt lgkmcnt(3)
	v_add_f64 v[50:51], v[32:33], v[44:45]
	s_delay_alu instid0(VALU_DEP_4) | instskip(NEXT) | instid1(VALU_DEP_3)
	v_min3_f32 v99, v54, v52, v99
	v_min3_f32 v98, v48, v49, v98
	v_add_f64 v[48:49], v[34:35], v[46:47]
	s_delay_alu instid0(VALU_DEP_4) | instskip(NEXT) | instid1(VALU_DEP_2)
	v_cvt_f32_f64_e32 v50, v[50:51]
	v_cvt_f32_f64_e32 v48, v[48:49]
	s_delay_alu instid0(VALU_DEP_1) | instskip(SKIP_2) | instid1(VALU_DEP_2)
	v_min3_f32 v97, v50, v48, v97
	v_add_f64 v[48:49], v[30:31], v[46:47]
	v_add_f64 v[50:51], v[28:29], v[44:45]
	v_cvt_f32_f64_e32 v48, v[48:49]
	s_delay_alu instid0(VALU_DEP_2) | instskip(NEXT) | instid1(VALU_DEP_1)
	v_cvt_f32_f64_e32 v50, v[50:51]
	v_min3_f32 v96, v50, v48, v96
	v_add_f64 v[48:49], v[26:27], v[46:47]
	v_add_f64 v[50:51], v[24:25], v[44:45]
	s_delay_alu instid0(VALU_DEP_2) | instskip(NEXT) | instid1(VALU_DEP_2)
	v_cvt_f32_f64_e32 v48, v[48:49]
	v_cvt_f32_f64_e32 v50, v[50:51]
	s_delay_alu instid0(VALU_DEP_1) | instskip(SKIP_2) | instid1(VALU_DEP_2)
	v_min3_f32 v95, v50, v48, v95
	v_add_f64 v[48:49], v[22:23], v[46:47]
	v_add_f64 v[50:51], v[20:21], v[44:45]
	v_cvt_f32_f64_e32 v48, v[48:49]
	s_delay_alu instid0(VALU_DEP_2) | instskip(NEXT) | instid1(VALU_DEP_1)
	v_cvt_f32_f64_e32 v50, v[50:51]
	v_min3_f32 v94, v50, v48, v94
	v_add_f64 v[48:49], v[14:15], v[46:47]
	v_add_f64 v[50:51], v[12:13], v[44:45]
	s_delay_alu instid0(VALU_DEP_2) | instskip(NEXT) | instid1(VALU_DEP_2)
	v_cvt_f32_f64_e32 v48, v[48:49]
	v_cvt_f32_f64_e32 v50, v[50:51]
	s_delay_alu instid0(VALU_DEP_1) | instskip(SKIP_2) | instid1(VALU_DEP_2)
	v_min3_f32 v93, v50, v48, v93
	v_add_f64 v[48:49], v[10:11], v[46:47]
	v_add_f64 v[50:51], v[8:9], v[44:45]
	v_cvt_f32_f64_e32 v48, v[48:49]
	s_delay_alu instid0(VALU_DEP_2) | instskip(NEXT) | instid1(VALU_DEP_1)
	v_cvt_f32_f64_e32 v50, v[50:51]
	v_min3_f32 v92, v50, v48, v92
	v_add_f64 v[48:49], v[6:7], v[46:47]
	v_add_f64 v[50:51], v[4:5], v[44:45]
	;; [unrolled: 1-line block ×4, first 2 shown]
	s_delay_alu instid0(VALU_DEP_4) | instskip(NEXT) | instid1(VALU_DEP_4)
	v_cvt_f32_f64_e32 v48, v[48:49]
	v_cvt_f32_f64_e32 v50, v[50:51]
	s_delay_alu instid0(VALU_DEP_3) | instskip(SKIP_3) | instid1(VALU_DEP_4)
	v_cvt_f32_f64_e32 v44, v[44:45]
	v_cvt_f32_f64_e32 v45, v[46:47]
	s_waitcnt lgkmcnt(2)
	v_add_f64 v[46:47], v[32:33], v[40:41]
	v_min3_f32 v91, v50, v48, v91
	s_delay_alu instid0(VALU_DEP_3) | instskip(SKIP_1) | instid1(VALU_DEP_4)
	v_min3_f32 v90, v44, v45, v90
	v_add_f64 v[44:45], v[34:35], v[42:43]
	v_cvt_f32_f64_e32 v46, v[46:47]
	s_delay_alu instid0(VALU_DEP_2) | instskip(NEXT) | instid1(VALU_DEP_1)
	v_cvt_f32_f64_e32 v44, v[44:45]
	v_min3_f32 v89, v46, v44, v89
	v_add_f64 v[44:45], v[30:31], v[42:43]
	v_add_f64 v[46:47], v[28:29], v[40:41]
	s_delay_alu instid0(VALU_DEP_2) | instskip(NEXT) | instid1(VALU_DEP_2)
	v_cvt_f32_f64_e32 v44, v[44:45]
	v_cvt_f32_f64_e32 v46, v[46:47]
	s_delay_alu instid0(VALU_DEP_1) | instskip(SKIP_2) | instid1(VALU_DEP_2)
	v_min3_f32 v88, v46, v44, v88
	v_add_f64 v[44:45], v[26:27], v[42:43]
	v_add_f64 v[46:47], v[24:25], v[40:41]
	v_cvt_f32_f64_e32 v44, v[44:45]
	s_delay_alu instid0(VALU_DEP_2) | instskip(NEXT) | instid1(VALU_DEP_1)
	v_cvt_f32_f64_e32 v46, v[46:47]
	v_min3_f32 v87, v46, v44, v87
	v_add_f64 v[44:45], v[22:23], v[42:43]
	v_add_f64 v[46:47], v[20:21], v[40:41]
	s_delay_alu instid0(VALU_DEP_2) | instskip(NEXT) | instid1(VALU_DEP_2)
	v_cvt_f32_f64_e32 v44, v[44:45]
	v_cvt_f32_f64_e32 v46, v[46:47]
	s_delay_alu instid0(VALU_DEP_1) | instskip(SKIP_2) | instid1(VALU_DEP_2)
	v_min3_f32 v86, v46, v44, v86
	v_add_f64 v[44:45], v[14:15], v[42:43]
	v_add_f64 v[46:47], v[12:13], v[40:41]
	v_cvt_f32_f64_e32 v44, v[44:45]
	s_delay_alu instid0(VALU_DEP_2) | instskip(NEXT) | instid1(VALU_DEP_1)
	v_cvt_f32_f64_e32 v46, v[46:47]
	v_min3_f32 v85, v46, v44, v85
	v_add_f64 v[44:45], v[10:11], v[42:43]
	v_add_f64 v[46:47], v[8:9], v[40:41]
	s_delay_alu instid0(VALU_DEP_2) | instskip(NEXT) | instid1(VALU_DEP_2)
	v_cvt_f32_f64_e32 v44, v[44:45]
	v_cvt_f32_f64_e32 v46, v[46:47]
	s_delay_alu instid0(VALU_DEP_1) | instskip(SKIP_4) | instid1(VALU_DEP_4)
	v_min3_f32 v84, v46, v44, v84
	v_add_f64 v[44:45], v[6:7], v[42:43]
	v_add_f64 v[46:47], v[4:5], v[40:41]
	v_add_f64 v[42:43], v[2:3], v[42:43]
	v_add_f64 v[40:41], v[0:1], v[40:41]
	v_cvt_f32_f64_e32 v44, v[44:45]
	s_delay_alu instid0(VALU_DEP_4) | instskip(NEXT) | instid1(VALU_DEP_3)
	v_cvt_f32_f64_e32 v46, v[46:47]
	v_cvt_f32_f64_e32 v40, v[40:41]
	;; [unrolled: 1-line block ×3, first 2 shown]
	s_waitcnt lgkmcnt(1)
	v_add_f64 v[42:43], v[32:33], v[36:37]
	s_waitcnt lgkmcnt(0)
	v_add_f64 v[32:33], v[32:33], v[16:17]
	v_min3_f32 v83, v46, v44, v83
	s_delay_alu instid0(VALU_DEP_4) | instskip(SKIP_4) | instid1(VALU_DEP_4)
	v_min3_f32 v82, v40, v41, v82
	v_add_f64 v[40:41], v[34:35], v[38:39]
	v_cvt_f32_f64_e32 v42, v[42:43]
	v_add_f64 v[34:35], v[34:35], v[18:19]
	v_cvt_f32_f64_e32 v32, v[32:33]
	v_cvt_f32_f64_e32 v40, v[40:41]
	s_delay_alu instid0(VALU_DEP_3) | instskip(NEXT) | instid1(VALU_DEP_2)
	v_cvt_f32_f64_e32 v33, v[34:35]
	v_min3_f32 v81, v42, v40, v81
	v_add_f64 v[40:41], v[30:31], v[38:39]
	v_add_f64 v[42:43], v[28:29], v[36:37]
	v_add_f64 v[30:31], v[30:31], v[18:19]
	v_add_f64 v[28:29], v[28:29], v[16:17]
	v_min3_f32 v73, v32, v33, v73
	v_cvt_f32_f64_e32 v40, v[40:41]
	v_cvt_f32_f64_e32 v42, v[42:43]
	s_delay_alu instid0(VALU_DEP_4) | instskip(SKIP_1) | instid1(VALU_DEP_3)
	v_cvt_f32_f64_e32 v28, v[28:29]
	v_cvt_f32_f64_e32 v29, v[30:31]
	v_min3_f32 v80, v42, v40, v80
	v_add_f64 v[40:41], v[26:27], v[38:39]
	v_add_f64 v[42:43], v[24:25], v[36:37]
	v_add_f64 v[26:27], v[26:27], v[18:19]
	v_add_f64 v[24:25], v[24:25], v[16:17]
	v_min3_f32 v72, v28, v29, v72
	v_cvt_f32_f64_e32 v40, v[40:41]
	v_cvt_f32_f64_e32 v42, v[42:43]
	s_delay_alu instid0(VALU_DEP_4) | instskip(SKIP_1) | instid1(VALU_DEP_3)
	v_cvt_f32_f64_e32 v24, v[24:25]
	;; [unrolled: 11-line block ×5, first 2 shown]
	v_cvt_f32_f64_e32 v9, v[10:11]
	v_min3_f32 v76, v42, v40, v76
	v_add_f64 v[40:41], v[6:7], v[38:39]
	v_add_f64 v[42:43], v[4:5], v[36:37]
	v_add_f64 v[38:39], v[2:3], v[38:39]
	v_add_f64 v[36:37], v[0:1], v[36:37]
	v_add_f64 v[6:7], v[6:7], v[18:19]
	v_add_f64 v[4:5], v[4:5], v[16:17]
	v_add_f64 v[2:3], v[2:3], v[18:19]
	v_add_f64 v[0:1], v[0:1], v[16:17]
	v_min3_f32 v68, v8, v9, v68
	v_cvt_f32_f64_e32 v40, v[40:41]
	v_cvt_f32_f64_e32 v42, v[42:43]
	;; [unrolled: 1-line block ×8, first 2 shown]
	v_min3_f32 v75, v42, v40, v75
	v_min3_f32 v74, v36, v37, v74
	;; [unrolled: 1-line block ×3, first 2 shown]
	s_delay_alu instid0(VALU_DEP_4)
	v_min3_f32 v66, v0, v1, v66
	s_cbranch_vccz .LBB177_56
; %bb.57:
	s_clause 0x2
	s_load_b64 s[2:3], s[0:1], 0x78
	s_load_b32 s18, s[0:1], 0x58
	s_load_b32 s14, s[0:1], 0x70
	v_add_nc_u32_e32 v19, s9, v122
	v_add_nc_u32_e32 v0, s8, v121
	v_cndmask_b32_e64 v18, 0, 1, s15
	s_delay_alu instid0(VALU_DEP_3) | instskip(NEXT) | instid1(VALU_DEP_3)
	v_cmp_gt_i32_e64 s8, s17, v19
	v_cmp_gt_i32_e64 s0, s16, v0
	v_ashrrev_i32_e32 v1, 31, v0
	s_waitcnt lgkmcnt(0)
	s_mul_i32 s1, s22, s3
	v_mad_i64_i32 v[2:3], null, v19, s18, 0
	v_mad_i64_i32 v[4:5], null, v19, s14, 0
	s_mul_hi_u32 s3, s22, s2
	s_mul_i32 s2, s22, s2
	s_add_i32 s3, s3, s1
	s_delay_alu instid0(SALU_CYCLE_1) | instskip(NEXT) | instid1(VALU_DEP_2)
	s_lshl_b64 s[2:3], s[2:3], 3
	v_lshlrev_b64 v[2:3], 3, v[2:3]
	s_delay_alu instid0(VALU_DEP_2) | instskip(SKIP_3) | instid1(VALU_DEP_2)
	v_lshlrev_b64 v[4:5], 3, v[4:5]
	s_add_u32 s9, s10, s2
	s_addc_u32 s10, s11, s3
	s_and_b32 s2, s0, s8
	v_add_co_u32 v16, vcc_lo, s20, v2
	v_add_co_ci_u32_e32 v17, vcc_lo, s21, v3, vcc_lo
	v_add_co_u32 v20, vcc_lo, s9, v4
	v_add_co_ci_u32_e32 v21, vcc_lo, s10, v5, vcc_lo
	s_and_saveexec_b32 s1, s2
	s_cbranch_execz .LBB177_62
; %bb.58:
	s_and_not1_b32 vcc_lo, exec_lo, s15
	s_cbranch_vccnz .LBB177_60
; %bb.59:
	v_lshlrev_b64 v[2:3], 3, v[0:1]
	s_delay_alu instid0(VALU_DEP_1) | instskip(NEXT) | instid1(VALU_DEP_2)
	v_add_co_u32 v2, vcc_lo, v16, v2
	v_add_co_ci_u32_e32 v3, vcc_lo, v17, v3, vcc_lo
	flat_load_b64 v[2:3], v[2:3]
	s_waitcnt vmcnt(0) lgkmcnt(0)
	v_mul_f64 v[2:3], s[12:13], v[2:3]
	s_branch .LBB177_61
.LBB177_60:
	v_mov_b32_e32 v2, 0
	v_mov_b32_e32 v3, 0
.LBB177_61:
	s_delay_alu instid0(VALU_DEP_1) | instskip(SKIP_2) | instid1(VALU_DEP_1)
	v_cvt_f32_f64_e32 v2, v[2:3]
	v_max_f32_e32 v3, v131, v131
	v_lshlrev_b64 v[4:5], 3, v[0:1]
	v_add_co_u32 v4, vcc_lo, v20, v4
	s_delay_alu instid0(VALU_DEP_2) | instskip(NEXT) | instid1(VALU_DEP_4)
	v_add_co_ci_u32_e32 v5, vcc_lo, v21, v5, vcc_lo
	v_min_f32_e32 v2, v2, v3
	s_delay_alu instid0(VALU_DEP_1)
	v_cvt_f64_f32_e32 v[2:3], v2
	global_store_b64 v[4:5], v[2:3], off
.LBB177_62:
	s_or_b32 exec_lo, exec_lo, s1
	v_add_nc_u32_e32 v2, 8, v0
	s_delay_alu instid0(VALU_DEP_1) | instskip(SKIP_1) | instid1(VALU_DEP_2)
	v_cmp_gt_i32_e64 s1, s16, v2
	v_ashrrev_i32_e32 v3, 31, v2
	s_and_b32 s3, s1, s8
	s_delay_alu instid0(SALU_CYCLE_1)
	s_and_saveexec_b32 s2, s3
	s_cbranch_execz .LBB177_67
; %bb.63:
	v_cmp_ne_u32_e32 vcc_lo, 1, v18
	s_cbranch_vccnz .LBB177_65
; %bb.64:
	v_lshlrev_b64 v[4:5], 3, v[2:3]
	s_delay_alu instid0(VALU_DEP_1) | instskip(NEXT) | instid1(VALU_DEP_2)
	v_add_co_u32 v4, vcc_lo, v16, v4
	v_add_co_ci_u32_e32 v5, vcc_lo, v17, v5, vcc_lo
	flat_load_b64 v[4:5], v[4:5]
	s_waitcnt vmcnt(0) lgkmcnt(0)
	v_mul_f64 v[4:5], s[12:13], v[4:5]
	s_branch .LBB177_66
.LBB177_65:
	v_mov_b32_e32 v4, 0
	v_mov_b32_e32 v5, 0
.LBB177_66:
	s_delay_alu instid0(VALU_DEP_1) | instskip(SKIP_2) | instid1(VALU_DEP_1)
	v_cvt_f32_f64_e32 v4, v[4:5]
	v_max_f32_e32 v5, v130, v130
	v_lshlrev_b64 v[6:7], 3, v[2:3]
	v_add_co_u32 v6, vcc_lo, v20, v6
	s_delay_alu instid0(VALU_DEP_2) | instskip(NEXT) | instid1(VALU_DEP_4)
	v_add_co_ci_u32_e32 v7, vcc_lo, v21, v7, vcc_lo
	v_min_f32_e32 v4, v4, v5
	s_delay_alu instid0(VALU_DEP_1)
	v_cvt_f64_f32_e32 v[4:5], v4
	global_store_b64 v[6:7], v[4:5], off
.LBB177_67:
	s_or_b32 exec_lo, exec_lo, s2
	v_add_nc_u32_e32 v4, 16, v0
	s_delay_alu instid0(VALU_DEP_1) | instskip(SKIP_1) | instid1(VALU_DEP_2)
	v_cmp_gt_i32_e64 s2, s16, v4
	v_ashrrev_i32_e32 v5, 31, v4
	s_and_b32 s4, s2, s8
	s_delay_alu instid0(SALU_CYCLE_1)
	s_and_saveexec_b32 s3, s4
	s_cbranch_execz .LBB177_72
; %bb.68:
	v_cmp_ne_u32_e32 vcc_lo, 1, v18
	s_cbranch_vccnz .LBB177_70
; %bb.69:
	v_lshlrev_b64 v[6:7], 3, v[4:5]
	s_delay_alu instid0(VALU_DEP_1) | instskip(NEXT) | instid1(VALU_DEP_2)
	v_add_co_u32 v6, vcc_lo, v16, v6
	v_add_co_ci_u32_e32 v7, vcc_lo, v17, v7, vcc_lo
	flat_load_b64 v[6:7], v[6:7]
	s_waitcnt vmcnt(0) lgkmcnt(0)
	v_mul_f64 v[6:7], s[12:13], v[6:7]
	s_branch .LBB177_71
.LBB177_70:
	v_mov_b32_e32 v6, 0
	v_mov_b32_e32 v7, 0
.LBB177_71:
	s_delay_alu instid0(VALU_DEP_1) | instskip(SKIP_2) | instid1(VALU_DEP_1)
	v_cvt_f32_f64_e32 v6, v[6:7]
	v_max_f32_e32 v7, v129, v129
	v_lshlrev_b64 v[8:9], 3, v[4:5]
	v_add_co_u32 v8, vcc_lo, v20, v8
	s_delay_alu instid0(VALU_DEP_2) | instskip(NEXT) | instid1(VALU_DEP_4)
	v_add_co_ci_u32_e32 v9, vcc_lo, v21, v9, vcc_lo
	v_min_f32_e32 v6, v6, v7
	s_delay_alu instid0(VALU_DEP_1)
	v_cvt_f64_f32_e32 v[6:7], v6
	global_store_b64 v[8:9], v[6:7], off
.LBB177_72:
	;; [unrolled: 37-line block ×7, first 2 shown]
	s_or_b32 exec_lo, exec_lo, s8
	v_add_nc_u32_e32 v22, 32, v19
	s_delay_alu instid0(VALU_DEP_1) | instskip(SKIP_2) | instid1(VALU_DEP_3)
	v_mad_i64_i32 v[16:17], null, v22, s18, 0
	v_mad_i64_i32 v[20:21], null, v22, s14, 0
	v_cmp_gt_i32_e64 s8, s17, v22
	v_lshlrev_b64 v[16:17], 3, v[16:17]
	s_delay_alu instid0(VALU_DEP_2) | instskip(NEXT) | instid1(VALU_DEP_3)
	s_and_b32 s15, s0, s8
	v_lshlrev_b64 v[20:21], 3, v[20:21]
	s_delay_alu instid0(VALU_DEP_2) | instskip(NEXT) | instid1(VALU_DEP_3)
	v_add_co_u32 v22, vcc_lo, s20, v16
	v_add_co_ci_u32_e32 v23, vcc_lo, s21, v17, vcc_lo
	s_delay_alu instid0(VALU_DEP_3) | instskip(NEXT) | instid1(VALU_DEP_4)
	v_add_co_u32 v20, vcc_lo, s9, v20
	v_add_co_ci_u32_e32 v21, vcc_lo, s10, v21, vcc_lo
	s_and_saveexec_b32 s11, s15
	s_cbranch_execnz .LBB177_105
; %bb.98:
	s_or_b32 exec_lo, exec_lo, s11
	s_and_b32 s15, s1, s8
	s_delay_alu instid0(SALU_CYCLE_1)
	s_and_saveexec_b32 s11, s15
	s_cbranch_execnz .LBB177_109
.LBB177_99:
	s_or_b32 exec_lo, exec_lo, s11
	s_and_b32 s15, s2, s8
	s_delay_alu instid0(SALU_CYCLE_1)
	s_and_saveexec_b32 s11, s15
	s_cbranch_execnz .LBB177_113
.LBB177_100:
	s_or_b32 exec_lo, exec_lo, s11
	s_and_b32 s15, s3, s8
	s_delay_alu instid0(SALU_CYCLE_1)
	s_and_saveexec_b32 s11, s15
	s_cbranch_execnz .LBB177_117
.LBB177_101:
	s_or_b32 exec_lo, exec_lo, s11
	s_and_b32 s15, s4, s8
	s_delay_alu instid0(SALU_CYCLE_1)
	s_and_saveexec_b32 s11, s15
	s_cbranch_execnz .LBB177_121
.LBB177_102:
	s_or_b32 exec_lo, exec_lo, s11
	s_and_b32 s15, s5, s8
	s_delay_alu instid0(SALU_CYCLE_1)
	s_and_saveexec_b32 s11, s15
	s_cbranch_execnz .LBB177_125
.LBB177_103:
	s_or_b32 exec_lo, exec_lo, s11
	s_and_b32 s15, s6, s8
	s_delay_alu instid0(SALU_CYCLE_1)
	s_and_saveexec_b32 s11, s15
	s_cbranch_execnz .LBB177_129
.LBB177_104:
	s_or_b32 exec_lo, exec_lo, s11
	s_and_b32 s11, s7, s8
	s_delay_alu instid0(SALU_CYCLE_1)
	s_and_saveexec_b32 s8, s11
	s_cbranch_execnz .LBB177_133
	s_branch .LBB177_137
.LBB177_105:
	v_cmp_ne_u32_e32 vcc_lo, 1, v18
	s_cbranch_vccnz .LBB177_107
; %bb.106:
	v_lshlrev_b64 v[16:17], 3, v[0:1]
	s_delay_alu instid0(VALU_DEP_1) | instskip(NEXT) | instid1(VALU_DEP_2)
	v_add_co_u32 v16, vcc_lo, v22, v16
	v_add_co_ci_u32_e32 v17, vcc_lo, v23, v17, vcc_lo
	flat_load_b64 v[16:17], v[16:17]
	s_waitcnt vmcnt(0) lgkmcnt(0)
	v_mul_f64 v[16:17], s[12:13], v[16:17]
	s_branch .LBB177_108
.LBB177_107:
	v_mov_b32_e32 v16, 0
	v_mov_b32_e32 v17, 0
.LBB177_108:
	s_delay_alu instid0(VALU_DEP_1) | instskip(SKIP_2) | instid1(VALU_DEP_1)
	v_cvt_f32_f64_e32 v16, v[16:17]
	v_max_f32_e32 v17, v123, v123
	v_lshlrev_b64 v[24:25], 3, v[0:1]
	v_add_co_u32 v24, vcc_lo, v20, v24
	s_delay_alu instid0(VALU_DEP_2) | instskip(NEXT) | instid1(VALU_DEP_4)
	v_add_co_ci_u32_e32 v25, vcc_lo, v21, v25, vcc_lo
	v_min_f32_e32 v16, v16, v17
	s_delay_alu instid0(VALU_DEP_1) | instskip(SKIP_3) | instid1(SALU_CYCLE_1)
	v_cvt_f64_f32_e32 v[16:17], v16
	global_store_b64 v[24:25], v[16:17], off
	s_or_b32 exec_lo, exec_lo, s11
	s_and_b32 s15, s1, s8
	s_and_saveexec_b32 s11, s15
	s_cbranch_execz .LBB177_99
.LBB177_109:
	v_cmp_ne_u32_e32 vcc_lo, 1, v18
	s_cbranch_vccnz .LBB177_111
; %bb.110:
	v_lshlrev_b64 v[16:17], 3, v[2:3]
	s_delay_alu instid0(VALU_DEP_1) | instskip(NEXT) | instid1(VALU_DEP_2)
	v_add_co_u32 v16, vcc_lo, v22, v16
	v_add_co_ci_u32_e32 v17, vcc_lo, v23, v17, vcc_lo
	flat_load_b64 v[16:17], v[16:17]
	s_waitcnt vmcnt(0) lgkmcnt(0)
	v_mul_f64 v[16:17], s[12:13], v[16:17]
	s_branch .LBB177_112
.LBB177_111:
	v_mov_b32_e32 v16, 0
	v_mov_b32_e32 v17, 0
.LBB177_112:
	s_delay_alu instid0(VALU_DEP_1) | instskip(SKIP_2) | instid1(VALU_DEP_1)
	v_cvt_f32_f64_e32 v16, v[16:17]
	v_max_f32_e32 v17, v120, v120
	v_lshlrev_b64 v[24:25], 3, v[2:3]
	v_add_co_u32 v24, vcc_lo, v20, v24
	s_delay_alu instid0(VALU_DEP_2) | instskip(NEXT) | instid1(VALU_DEP_4)
	v_add_co_ci_u32_e32 v25, vcc_lo, v21, v25, vcc_lo
	v_min_f32_e32 v16, v16, v17
	s_delay_alu instid0(VALU_DEP_1) | instskip(SKIP_3) | instid1(SALU_CYCLE_1)
	v_cvt_f64_f32_e32 v[16:17], v16
	global_store_b64 v[24:25], v[16:17], off
	s_or_b32 exec_lo, exec_lo, s11
	s_and_b32 s15, s2, s8
	s_and_saveexec_b32 s11, s15
	s_cbranch_execz .LBB177_100
.LBB177_113:
	v_cmp_ne_u32_e32 vcc_lo, 1, v18
	s_cbranch_vccnz .LBB177_115
; %bb.114:
	v_lshlrev_b64 v[16:17], 3, v[4:5]
	s_delay_alu instid0(VALU_DEP_1) | instskip(NEXT) | instid1(VALU_DEP_2)
	v_add_co_u32 v16, vcc_lo, v22, v16
	v_add_co_ci_u32_e32 v17, vcc_lo, v23, v17, vcc_lo
	flat_load_b64 v[16:17], v[16:17]
	s_waitcnt vmcnt(0) lgkmcnt(0)
	v_mul_f64 v[16:17], s[12:13], v[16:17]
	s_branch .LBB177_116
.LBB177_115:
	v_mov_b32_e32 v16, 0
	v_mov_b32_e32 v17, 0
.LBB177_116:
	s_delay_alu instid0(VALU_DEP_1) | instskip(SKIP_2) | instid1(VALU_DEP_1)
	v_cvt_f32_f64_e32 v16, v[16:17]
	v_max_f32_e32 v17, v119, v119
	v_lshlrev_b64 v[24:25], 3, v[4:5]
	v_add_co_u32 v24, vcc_lo, v20, v24
	s_delay_alu instid0(VALU_DEP_2) | instskip(NEXT) | instid1(VALU_DEP_4)
	v_add_co_ci_u32_e32 v25, vcc_lo, v21, v25, vcc_lo
	v_min_f32_e32 v16, v16, v17
	s_delay_alu instid0(VALU_DEP_1) | instskip(SKIP_3) | instid1(SALU_CYCLE_1)
	v_cvt_f64_f32_e32 v[16:17], v16
	global_store_b64 v[24:25], v[16:17], off
	s_or_b32 exec_lo, exec_lo, s11
	s_and_b32 s15, s3, s8
	s_and_saveexec_b32 s11, s15
	s_cbranch_execz .LBB177_101
.LBB177_117:
	v_cmp_ne_u32_e32 vcc_lo, 1, v18
	s_cbranch_vccnz .LBB177_119
; %bb.118:
	v_lshlrev_b64 v[16:17], 3, v[6:7]
	s_delay_alu instid0(VALU_DEP_1) | instskip(NEXT) | instid1(VALU_DEP_2)
	v_add_co_u32 v16, vcc_lo, v22, v16
	v_add_co_ci_u32_e32 v17, vcc_lo, v23, v17, vcc_lo
	flat_load_b64 v[16:17], v[16:17]
	s_waitcnt vmcnt(0) lgkmcnt(0)
	v_mul_f64 v[16:17], s[12:13], v[16:17]
	s_branch .LBB177_120
.LBB177_119:
	v_mov_b32_e32 v16, 0
	v_mov_b32_e32 v17, 0
.LBB177_120:
	s_delay_alu instid0(VALU_DEP_1) | instskip(SKIP_2) | instid1(VALU_DEP_1)
	v_cvt_f32_f64_e32 v16, v[16:17]
	v_max_f32_e32 v17, v118, v118
	v_lshlrev_b64 v[24:25], 3, v[6:7]
	v_add_co_u32 v24, vcc_lo, v20, v24
	s_delay_alu instid0(VALU_DEP_2) | instskip(NEXT) | instid1(VALU_DEP_4)
	v_add_co_ci_u32_e32 v25, vcc_lo, v21, v25, vcc_lo
	v_min_f32_e32 v16, v16, v17
	s_delay_alu instid0(VALU_DEP_1) | instskip(SKIP_3) | instid1(SALU_CYCLE_1)
	v_cvt_f64_f32_e32 v[16:17], v16
	global_store_b64 v[24:25], v[16:17], off
	s_or_b32 exec_lo, exec_lo, s11
	s_and_b32 s15, s4, s8
	s_and_saveexec_b32 s11, s15
	s_cbranch_execz .LBB177_102
.LBB177_121:
	v_cmp_ne_u32_e32 vcc_lo, 1, v18
	s_cbranch_vccnz .LBB177_123
; %bb.122:
	v_lshlrev_b64 v[16:17], 3, v[8:9]
	s_delay_alu instid0(VALU_DEP_1) | instskip(NEXT) | instid1(VALU_DEP_2)
	v_add_co_u32 v16, vcc_lo, v22, v16
	v_add_co_ci_u32_e32 v17, vcc_lo, v23, v17, vcc_lo
	flat_load_b64 v[16:17], v[16:17]
	s_waitcnt vmcnt(0) lgkmcnt(0)
	v_mul_f64 v[16:17], s[12:13], v[16:17]
	s_branch .LBB177_124
.LBB177_123:
	v_mov_b32_e32 v16, 0
	v_mov_b32_e32 v17, 0
.LBB177_124:
	s_delay_alu instid0(VALU_DEP_1) | instskip(SKIP_2) | instid1(VALU_DEP_1)
	v_cvt_f32_f64_e32 v16, v[16:17]
	v_max_f32_e32 v17, v117, v117
	v_lshlrev_b64 v[24:25], 3, v[8:9]
	v_add_co_u32 v24, vcc_lo, v20, v24
	s_delay_alu instid0(VALU_DEP_2) | instskip(NEXT) | instid1(VALU_DEP_4)
	v_add_co_ci_u32_e32 v25, vcc_lo, v21, v25, vcc_lo
	v_min_f32_e32 v16, v16, v17
	s_delay_alu instid0(VALU_DEP_1) | instskip(SKIP_3) | instid1(SALU_CYCLE_1)
	v_cvt_f64_f32_e32 v[16:17], v16
	global_store_b64 v[24:25], v[16:17], off
	s_or_b32 exec_lo, exec_lo, s11
	s_and_b32 s15, s5, s8
	s_and_saveexec_b32 s11, s15
	s_cbranch_execz .LBB177_103
.LBB177_125:
	v_cmp_ne_u32_e32 vcc_lo, 1, v18
	s_cbranch_vccnz .LBB177_127
; %bb.126:
	v_lshlrev_b64 v[16:17], 3, v[10:11]
	s_delay_alu instid0(VALU_DEP_1) | instskip(NEXT) | instid1(VALU_DEP_2)
	v_add_co_u32 v16, vcc_lo, v22, v16
	v_add_co_ci_u32_e32 v17, vcc_lo, v23, v17, vcc_lo
	flat_load_b64 v[16:17], v[16:17]
	s_waitcnt vmcnt(0) lgkmcnt(0)
	v_mul_f64 v[16:17], s[12:13], v[16:17]
	s_branch .LBB177_128
.LBB177_127:
	v_mov_b32_e32 v16, 0
	v_mov_b32_e32 v17, 0
.LBB177_128:
	s_delay_alu instid0(VALU_DEP_1) | instskip(SKIP_2) | instid1(VALU_DEP_1)
	v_cvt_f32_f64_e32 v16, v[16:17]
	v_max_f32_e32 v17, v116, v116
	v_lshlrev_b64 v[24:25], 3, v[10:11]
	v_add_co_u32 v24, vcc_lo, v20, v24
	s_delay_alu instid0(VALU_DEP_2) | instskip(NEXT) | instid1(VALU_DEP_4)
	v_add_co_ci_u32_e32 v25, vcc_lo, v21, v25, vcc_lo
	v_min_f32_e32 v16, v16, v17
	s_delay_alu instid0(VALU_DEP_1) | instskip(SKIP_3) | instid1(SALU_CYCLE_1)
	v_cvt_f64_f32_e32 v[16:17], v16
	global_store_b64 v[24:25], v[16:17], off
	s_or_b32 exec_lo, exec_lo, s11
	s_and_b32 s15, s6, s8
	s_and_saveexec_b32 s11, s15
	s_cbranch_execz .LBB177_104
.LBB177_129:
	v_cmp_ne_u32_e32 vcc_lo, 1, v18
	s_cbranch_vccnz .LBB177_131
; %bb.130:
	v_lshlrev_b64 v[16:17], 3, v[12:13]
	s_delay_alu instid0(VALU_DEP_1) | instskip(NEXT) | instid1(VALU_DEP_2)
	v_add_co_u32 v16, vcc_lo, v22, v16
	v_add_co_ci_u32_e32 v17, vcc_lo, v23, v17, vcc_lo
	flat_load_b64 v[16:17], v[16:17]
	s_waitcnt vmcnt(0) lgkmcnt(0)
	v_mul_f64 v[16:17], s[12:13], v[16:17]
	s_branch .LBB177_132
.LBB177_131:
	v_mov_b32_e32 v16, 0
	v_mov_b32_e32 v17, 0
.LBB177_132:
	s_delay_alu instid0(VALU_DEP_1) | instskip(SKIP_2) | instid1(VALU_DEP_1)
	v_cvt_f32_f64_e32 v16, v[16:17]
	v_max_f32_e32 v17, v115, v115
	v_lshlrev_b64 v[24:25], 3, v[12:13]
	v_add_co_u32 v24, vcc_lo, v20, v24
	s_delay_alu instid0(VALU_DEP_2) | instskip(NEXT) | instid1(VALU_DEP_4)
	v_add_co_ci_u32_e32 v25, vcc_lo, v21, v25, vcc_lo
	v_min_f32_e32 v16, v16, v17
	s_delay_alu instid0(VALU_DEP_1) | instskip(SKIP_3) | instid1(SALU_CYCLE_1)
	v_cvt_f64_f32_e32 v[16:17], v16
	global_store_b64 v[24:25], v[16:17], off
	s_or_b32 exec_lo, exec_lo, s11
	s_and_b32 s11, s7, s8
	s_and_saveexec_b32 s8, s11
	s_cbranch_execz .LBB177_137
.LBB177_133:
	v_cmp_ne_u32_e32 vcc_lo, 1, v18
	s_cbranch_vccnz .LBB177_135
; %bb.134:
	v_lshlrev_b64 v[16:17], 3, v[14:15]
	s_delay_alu instid0(VALU_DEP_1) | instskip(NEXT) | instid1(VALU_DEP_2)
	v_add_co_u32 v16, vcc_lo, v22, v16
	v_add_co_ci_u32_e32 v17, vcc_lo, v23, v17, vcc_lo
	flat_load_b64 v[16:17], v[16:17]
	s_waitcnt vmcnt(0) lgkmcnt(0)
	v_mul_f64 v[16:17], s[12:13], v[16:17]
	s_branch .LBB177_136
.LBB177_135:
	v_mov_b32_e32 v16, 0
	v_mov_b32_e32 v17, 0
.LBB177_136:
	s_delay_alu instid0(VALU_DEP_1) | instskip(SKIP_2) | instid1(VALU_DEP_1)
	v_cvt_f32_f64_e32 v16, v[16:17]
	v_max_f32_e32 v17, v114, v114
	v_lshlrev_b64 v[22:23], 3, v[14:15]
	v_add_co_u32 v20, vcc_lo, v20, v22
	s_delay_alu instid0(VALU_DEP_2) | instskip(NEXT) | instid1(VALU_DEP_4)
	v_add_co_ci_u32_e32 v21, vcc_lo, v21, v23, vcc_lo
	v_min_f32_e32 v16, v16, v17
	s_delay_alu instid0(VALU_DEP_1)
	v_cvt_f64_f32_e32 v[16:17], v16
	global_store_b64 v[20:21], v[16:17], off
.LBB177_137:
	s_or_b32 exec_lo, exec_lo, s8
	v_add_nc_u32_e32 v22, 64, v19
	s_delay_alu instid0(VALU_DEP_1) | instskip(SKIP_2) | instid1(VALU_DEP_3)
	v_mad_i64_i32 v[16:17], null, v22, s18, 0
	v_mad_i64_i32 v[20:21], null, v22, s14, 0
	v_cmp_gt_i32_e64 s8, s17, v22
	v_lshlrev_b64 v[16:17], 3, v[16:17]
	s_delay_alu instid0(VALU_DEP_2) | instskip(NEXT) | instid1(VALU_DEP_3)
	s_and_b32 s15, s0, s8
	v_lshlrev_b64 v[20:21], 3, v[20:21]
	s_delay_alu instid0(VALU_DEP_2) | instskip(NEXT) | instid1(VALU_DEP_3)
	v_add_co_u32 v22, vcc_lo, s20, v16
	v_add_co_ci_u32_e32 v23, vcc_lo, s21, v17, vcc_lo
	s_delay_alu instid0(VALU_DEP_3) | instskip(NEXT) | instid1(VALU_DEP_4)
	v_add_co_u32 v20, vcc_lo, s9, v20
	v_add_co_ci_u32_e32 v21, vcc_lo, s10, v21, vcc_lo
	s_and_saveexec_b32 s11, s15
	s_cbranch_execnz .LBB177_145
; %bb.138:
	s_or_b32 exec_lo, exec_lo, s11
	s_and_b32 s15, s1, s8
	s_delay_alu instid0(SALU_CYCLE_1)
	s_and_saveexec_b32 s11, s15
	s_cbranch_execnz .LBB177_149
.LBB177_139:
	s_or_b32 exec_lo, exec_lo, s11
	s_and_b32 s15, s2, s8
	s_delay_alu instid0(SALU_CYCLE_1)
	s_and_saveexec_b32 s11, s15
	s_cbranch_execnz .LBB177_153
.LBB177_140:
	s_or_b32 exec_lo, exec_lo, s11
	s_and_b32 s15, s3, s8
	s_delay_alu instid0(SALU_CYCLE_1)
	s_and_saveexec_b32 s11, s15
	s_cbranch_execnz .LBB177_157
.LBB177_141:
	s_or_b32 exec_lo, exec_lo, s11
	s_and_b32 s15, s4, s8
	s_delay_alu instid0(SALU_CYCLE_1)
	s_and_saveexec_b32 s11, s15
	s_cbranch_execnz .LBB177_161
.LBB177_142:
	s_or_b32 exec_lo, exec_lo, s11
	s_and_b32 s15, s5, s8
	s_delay_alu instid0(SALU_CYCLE_1)
	s_and_saveexec_b32 s11, s15
	s_cbranch_execnz .LBB177_165
.LBB177_143:
	s_or_b32 exec_lo, exec_lo, s11
	s_and_b32 s15, s6, s8
	s_delay_alu instid0(SALU_CYCLE_1)
	s_and_saveexec_b32 s11, s15
	s_cbranch_execnz .LBB177_169
.LBB177_144:
	s_or_b32 exec_lo, exec_lo, s11
	s_and_b32 s11, s7, s8
	s_delay_alu instid0(SALU_CYCLE_1)
	s_and_saveexec_b32 s8, s11
	s_cbranch_execnz .LBB177_173
	s_branch .LBB177_177
.LBB177_145:
	v_cmp_ne_u32_e32 vcc_lo, 1, v18
	s_cbranch_vccnz .LBB177_147
; %bb.146:
	v_lshlrev_b64 v[16:17], 3, v[0:1]
	s_delay_alu instid0(VALU_DEP_1) | instskip(NEXT) | instid1(VALU_DEP_2)
	v_add_co_u32 v16, vcc_lo, v22, v16
	v_add_co_ci_u32_e32 v17, vcc_lo, v23, v17, vcc_lo
	flat_load_b64 v[16:17], v[16:17]
	s_waitcnt vmcnt(0) lgkmcnt(0)
	v_mul_f64 v[16:17], s[12:13], v[16:17]
	s_branch .LBB177_148
.LBB177_147:
	v_mov_b32_e32 v16, 0
	v_mov_b32_e32 v17, 0
.LBB177_148:
	s_delay_alu instid0(VALU_DEP_1) | instskip(SKIP_2) | instid1(VALU_DEP_1)
	v_cvt_f32_f64_e32 v16, v[16:17]
	v_max_f32_e32 v17, v113, v113
	v_lshlrev_b64 v[24:25], 3, v[0:1]
	v_add_co_u32 v24, vcc_lo, v20, v24
	s_delay_alu instid0(VALU_DEP_2) | instskip(NEXT) | instid1(VALU_DEP_4)
	v_add_co_ci_u32_e32 v25, vcc_lo, v21, v25, vcc_lo
	v_min_f32_e32 v16, v16, v17
	s_delay_alu instid0(VALU_DEP_1) | instskip(SKIP_3) | instid1(SALU_CYCLE_1)
	v_cvt_f64_f32_e32 v[16:17], v16
	global_store_b64 v[24:25], v[16:17], off
	s_or_b32 exec_lo, exec_lo, s11
	s_and_b32 s15, s1, s8
	s_and_saveexec_b32 s11, s15
	s_cbranch_execz .LBB177_139
.LBB177_149:
	v_cmp_ne_u32_e32 vcc_lo, 1, v18
	s_cbranch_vccnz .LBB177_151
; %bb.150:
	v_lshlrev_b64 v[16:17], 3, v[2:3]
	s_delay_alu instid0(VALU_DEP_1) | instskip(NEXT) | instid1(VALU_DEP_2)
	v_add_co_u32 v16, vcc_lo, v22, v16
	v_add_co_ci_u32_e32 v17, vcc_lo, v23, v17, vcc_lo
	flat_load_b64 v[16:17], v[16:17]
	s_waitcnt vmcnt(0) lgkmcnt(0)
	v_mul_f64 v[16:17], s[12:13], v[16:17]
	s_branch .LBB177_152
.LBB177_151:
	v_mov_b32_e32 v16, 0
	v_mov_b32_e32 v17, 0
.LBB177_152:
	s_delay_alu instid0(VALU_DEP_1) | instskip(SKIP_2) | instid1(VALU_DEP_1)
	v_cvt_f32_f64_e32 v16, v[16:17]
	v_max_f32_e32 v17, v112, v112
	v_lshlrev_b64 v[24:25], 3, v[2:3]
	v_add_co_u32 v24, vcc_lo, v20, v24
	s_delay_alu instid0(VALU_DEP_2) | instskip(NEXT) | instid1(VALU_DEP_4)
	v_add_co_ci_u32_e32 v25, vcc_lo, v21, v25, vcc_lo
	v_min_f32_e32 v16, v16, v17
	s_delay_alu instid0(VALU_DEP_1) | instskip(SKIP_3) | instid1(SALU_CYCLE_1)
	v_cvt_f64_f32_e32 v[16:17], v16
	global_store_b64 v[24:25], v[16:17], off
	s_or_b32 exec_lo, exec_lo, s11
	s_and_b32 s15, s2, s8
	s_and_saveexec_b32 s11, s15
	s_cbranch_execz .LBB177_140
.LBB177_153:
	v_cmp_ne_u32_e32 vcc_lo, 1, v18
	s_cbranch_vccnz .LBB177_155
; %bb.154:
	v_lshlrev_b64 v[16:17], 3, v[4:5]
	s_delay_alu instid0(VALU_DEP_1) | instskip(NEXT) | instid1(VALU_DEP_2)
	v_add_co_u32 v16, vcc_lo, v22, v16
	v_add_co_ci_u32_e32 v17, vcc_lo, v23, v17, vcc_lo
	flat_load_b64 v[16:17], v[16:17]
	s_waitcnt vmcnt(0) lgkmcnt(0)
	v_mul_f64 v[16:17], s[12:13], v[16:17]
	s_branch .LBB177_156
.LBB177_155:
	v_mov_b32_e32 v16, 0
	v_mov_b32_e32 v17, 0
.LBB177_156:
	s_delay_alu instid0(VALU_DEP_1) | instskip(SKIP_2) | instid1(VALU_DEP_1)
	v_cvt_f32_f64_e32 v16, v[16:17]
	v_max_f32_e32 v17, v111, v111
	v_lshlrev_b64 v[24:25], 3, v[4:5]
	v_add_co_u32 v24, vcc_lo, v20, v24
	s_delay_alu instid0(VALU_DEP_2) | instskip(NEXT) | instid1(VALU_DEP_4)
	v_add_co_ci_u32_e32 v25, vcc_lo, v21, v25, vcc_lo
	v_min_f32_e32 v16, v16, v17
	s_delay_alu instid0(VALU_DEP_1) | instskip(SKIP_3) | instid1(SALU_CYCLE_1)
	v_cvt_f64_f32_e32 v[16:17], v16
	global_store_b64 v[24:25], v[16:17], off
	s_or_b32 exec_lo, exec_lo, s11
	s_and_b32 s15, s3, s8
	s_and_saveexec_b32 s11, s15
	s_cbranch_execz .LBB177_141
.LBB177_157:
	v_cmp_ne_u32_e32 vcc_lo, 1, v18
	s_cbranch_vccnz .LBB177_159
; %bb.158:
	v_lshlrev_b64 v[16:17], 3, v[6:7]
	s_delay_alu instid0(VALU_DEP_1) | instskip(NEXT) | instid1(VALU_DEP_2)
	v_add_co_u32 v16, vcc_lo, v22, v16
	v_add_co_ci_u32_e32 v17, vcc_lo, v23, v17, vcc_lo
	flat_load_b64 v[16:17], v[16:17]
	s_waitcnt vmcnt(0) lgkmcnt(0)
	v_mul_f64 v[16:17], s[12:13], v[16:17]
	s_branch .LBB177_160
.LBB177_159:
	v_mov_b32_e32 v16, 0
	v_mov_b32_e32 v17, 0
.LBB177_160:
	s_delay_alu instid0(VALU_DEP_1) | instskip(SKIP_2) | instid1(VALU_DEP_1)
	v_cvt_f32_f64_e32 v16, v[16:17]
	v_max_f32_e32 v17, v110, v110
	v_lshlrev_b64 v[24:25], 3, v[6:7]
	v_add_co_u32 v24, vcc_lo, v20, v24
	s_delay_alu instid0(VALU_DEP_2) | instskip(NEXT) | instid1(VALU_DEP_4)
	v_add_co_ci_u32_e32 v25, vcc_lo, v21, v25, vcc_lo
	v_min_f32_e32 v16, v16, v17
	s_delay_alu instid0(VALU_DEP_1) | instskip(SKIP_3) | instid1(SALU_CYCLE_1)
	v_cvt_f64_f32_e32 v[16:17], v16
	global_store_b64 v[24:25], v[16:17], off
	s_or_b32 exec_lo, exec_lo, s11
	s_and_b32 s15, s4, s8
	s_and_saveexec_b32 s11, s15
	s_cbranch_execz .LBB177_142
.LBB177_161:
	v_cmp_ne_u32_e32 vcc_lo, 1, v18
	s_cbranch_vccnz .LBB177_163
; %bb.162:
	v_lshlrev_b64 v[16:17], 3, v[8:9]
	s_delay_alu instid0(VALU_DEP_1) | instskip(NEXT) | instid1(VALU_DEP_2)
	v_add_co_u32 v16, vcc_lo, v22, v16
	v_add_co_ci_u32_e32 v17, vcc_lo, v23, v17, vcc_lo
	flat_load_b64 v[16:17], v[16:17]
	s_waitcnt vmcnt(0) lgkmcnt(0)
	v_mul_f64 v[16:17], s[12:13], v[16:17]
	s_branch .LBB177_164
.LBB177_163:
	v_mov_b32_e32 v16, 0
	v_mov_b32_e32 v17, 0
.LBB177_164:
	s_delay_alu instid0(VALU_DEP_1) | instskip(SKIP_2) | instid1(VALU_DEP_1)
	v_cvt_f32_f64_e32 v16, v[16:17]
	v_max_f32_e32 v17, v109, v109
	v_lshlrev_b64 v[24:25], 3, v[8:9]
	v_add_co_u32 v24, vcc_lo, v20, v24
	s_delay_alu instid0(VALU_DEP_2) | instskip(NEXT) | instid1(VALU_DEP_4)
	v_add_co_ci_u32_e32 v25, vcc_lo, v21, v25, vcc_lo
	v_min_f32_e32 v16, v16, v17
	s_delay_alu instid0(VALU_DEP_1) | instskip(SKIP_3) | instid1(SALU_CYCLE_1)
	v_cvt_f64_f32_e32 v[16:17], v16
	global_store_b64 v[24:25], v[16:17], off
	s_or_b32 exec_lo, exec_lo, s11
	s_and_b32 s15, s5, s8
	s_and_saveexec_b32 s11, s15
	s_cbranch_execz .LBB177_143
.LBB177_165:
	v_cmp_ne_u32_e32 vcc_lo, 1, v18
	s_cbranch_vccnz .LBB177_167
; %bb.166:
	v_lshlrev_b64 v[16:17], 3, v[10:11]
	s_delay_alu instid0(VALU_DEP_1) | instskip(NEXT) | instid1(VALU_DEP_2)
	v_add_co_u32 v16, vcc_lo, v22, v16
	v_add_co_ci_u32_e32 v17, vcc_lo, v23, v17, vcc_lo
	flat_load_b64 v[16:17], v[16:17]
	s_waitcnt vmcnt(0) lgkmcnt(0)
	v_mul_f64 v[16:17], s[12:13], v[16:17]
	s_branch .LBB177_168
.LBB177_167:
	v_mov_b32_e32 v16, 0
	v_mov_b32_e32 v17, 0
.LBB177_168:
	s_delay_alu instid0(VALU_DEP_1) | instskip(SKIP_2) | instid1(VALU_DEP_1)
	v_cvt_f32_f64_e32 v16, v[16:17]
	v_max_f32_e32 v17, v108, v108
	v_lshlrev_b64 v[24:25], 3, v[10:11]
	v_add_co_u32 v24, vcc_lo, v20, v24
	s_delay_alu instid0(VALU_DEP_2) | instskip(NEXT) | instid1(VALU_DEP_4)
	v_add_co_ci_u32_e32 v25, vcc_lo, v21, v25, vcc_lo
	v_min_f32_e32 v16, v16, v17
	s_delay_alu instid0(VALU_DEP_1) | instskip(SKIP_3) | instid1(SALU_CYCLE_1)
	v_cvt_f64_f32_e32 v[16:17], v16
	global_store_b64 v[24:25], v[16:17], off
	s_or_b32 exec_lo, exec_lo, s11
	s_and_b32 s15, s6, s8
	s_and_saveexec_b32 s11, s15
	s_cbranch_execz .LBB177_144
.LBB177_169:
	v_cmp_ne_u32_e32 vcc_lo, 1, v18
	s_cbranch_vccnz .LBB177_171
; %bb.170:
	v_lshlrev_b64 v[16:17], 3, v[12:13]
	s_delay_alu instid0(VALU_DEP_1) | instskip(NEXT) | instid1(VALU_DEP_2)
	v_add_co_u32 v16, vcc_lo, v22, v16
	v_add_co_ci_u32_e32 v17, vcc_lo, v23, v17, vcc_lo
	flat_load_b64 v[16:17], v[16:17]
	s_waitcnt vmcnt(0) lgkmcnt(0)
	v_mul_f64 v[16:17], s[12:13], v[16:17]
	s_branch .LBB177_172
.LBB177_171:
	v_mov_b32_e32 v16, 0
	v_mov_b32_e32 v17, 0
.LBB177_172:
	s_delay_alu instid0(VALU_DEP_1) | instskip(SKIP_2) | instid1(VALU_DEP_1)
	v_cvt_f32_f64_e32 v16, v[16:17]
	v_max_f32_e32 v17, v107, v107
	v_lshlrev_b64 v[24:25], 3, v[12:13]
	v_add_co_u32 v24, vcc_lo, v20, v24
	s_delay_alu instid0(VALU_DEP_2) | instskip(NEXT) | instid1(VALU_DEP_4)
	v_add_co_ci_u32_e32 v25, vcc_lo, v21, v25, vcc_lo
	v_min_f32_e32 v16, v16, v17
	s_delay_alu instid0(VALU_DEP_1) | instskip(SKIP_3) | instid1(SALU_CYCLE_1)
	v_cvt_f64_f32_e32 v[16:17], v16
	global_store_b64 v[24:25], v[16:17], off
	s_or_b32 exec_lo, exec_lo, s11
	s_and_b32 s11, s7, s8
	s_and_saveexec_b32 s8, s11
	s_cbranch_execz .LBB177_177
.LBB177_173:
	v_cmp_ne_u32_e32 vcc_lo, 1, v18
	s_cbranch_vccnz .LBB177_175
; %bb.174:
	v_lshlrev_b64 v[16:17], 3, v[14:15]
	s_delay_alu instid0(VALU_DEP_1) | instskip(NEXT) | instid1(VALU_DEP_2)
	v_add_co_u32 v16, vcc_lo, v22, v16
	v_add_co_ci_u32_e32 v17, vcc_lo, v23, v17, vcc_lo
	flat_load_b64 v[16:17], v[16:17]
	s_waitcnt vmcnt(0) lgkmcnt(0)
	v_mul_f64 v[16:17], s[12:13], v[16:17]
	s_branch .LBB177_176
.LBB177_175:
	v_mov_b32_e32 v16, 0
	v_mov_b32_e32 v17, 0
.LBB177_176:
	s_delay_alu instid0(VALU_DEP_1) | instskip(SKIP_2) | instid1(VALU_DEP_1)
	v_cvt_f32_f64_e32 v16, v[16:17]
	v_max_f32_e32 v17, v106, v106
	v_lshlrev_b64 v[22:23], 3, v[14:15]
	v_add_co_u32 v20, vcc_lo, v20, v22
	s_delay_alu instid0(VALU_DEP_2) | instskip(NEXT) | instid1(VALU_DEP_4)
	v_add_co_ci_u32_e32 v21, vcc_lo, v21, v23, vcc_lo
	v_min_f32_e32 v16, v16, v17
	s_delay_alu instid0(VALU_DEP_1)
	v_cvt_f64_f32_e32 v[16:17], v16
	global_store_b64 v[20:21], v[16:17], off
.LBB177_177:
	s_or_b32 exec_lo, exec_lo, s8
	v_add_nc_u32_e32 v22, 0x60, v19
	s_delay_alu instid0(VALU_DEP_1) | instskip(SKIP_2) | instid1(VALU_DEP_3)
	v_mad_i64_i32 v[16:17], null, v22, s18, 0
	v_mad_i64_i32 v[20:21], null, v22, s14, 0
	v_cmp_gt_i32_e64 s8, s17, v22
	v_lshlrev_b64 v[16:17], 3, v[16:17]
	s_delay_alu instid0(VALU_DEP_2) | instskip(NEXT) | instid1(VALU_DEP_3)
	s_and_b32 s15, s0, s8
	v_lshlrev_b64 v[20:21], 3, v[20:21]
	s_delay_alu instid0(VALU_DEP_2) | instskip(NEXT) | instid1(VALU_DEP_3)
	v_add_co_u32 v22, vcc_lo, s20, v16
	v_add_co_ci_u32_e32 v23, vcc_lo, s21, v17, vcc_lo
	s_delay_alu instid0(VALU_DEP_3) | instskip(NEXT) | instid1(VALU_DEP_4)
	v_add_co_u32 v20, vcc_lo, s9, v20
	v_add_co_ci_u32_e32 v21, vcc_lo, s10, v21, vcc_lo
	s_and_saveexec_b32 s11, s15
	s_cbranch_execnz .LBB177_185
; %bb.178:
	s_or_b32 exec_lo, exec_lo, s11
	s_and_b32 s15, s1, s8
	s_delay_alu instid0(SALU_CYCLE_1)
	s_and_saveexec_b32 s11, s15
	s_cbranch_execnz .LBB177_189
.LBB177_179:
	s_or_b32 exec_lo, exec_lo, s11
	s_and_b32 s15, s2, s8
	s_delay_alu instid0(SALU_CYCLE_1)
	s_and_saveexec_b32 s11, s15
	s_cbranch_execnz .LBB177_193
.LBB177_180:
	s_or_b32 exec_lo, exec_lo, s11
	s_and_b32 s15, s3, s8
	s_delay_alu instid0(SALU_CYCLE_1)
	s_and_saveexec_b32 s11, s15
	s_cbranch_execnz .LBB177_197
.LBB177_181:
	s_or_b32 exec_lo, exec_lo, s11
	s_and_b32 s15, s4, s8
	s_delay_alu instid0(SALU_CYCLE_1)
	s_and_saveexec_b32 s11, s15
	s_cbranch_execnz .LBB177_201
.LBB177_182:
	s_or_b32 exec_lo, exec_lo, s11
	s_and_b32 s15, s5, s8
	s_delay_alu instid0(SALU_CYCLE_1)
	s_and_saveexec_b32 s11, s15
	s_cbranch_execnz .LBB177_205
.LBB177_183:
	s_or_b32 exec_lo, exec_lo, s11
	s_and_b32 s15, s6, s8
	s_delay_alu instid0(SALU_CYCLE_1)
	s_and_saveexec_b32 s11, s15
	s_cbranch_execnz .LBB177_209
.LBB177_184:
	s_or_b32 exec_lo, exec_lo, s11
	s_and_b32 s11, s7, s8
	s_delay_alu instid0(SALU_CYCLE_1)
	s_and_saveexec_b32 s8, s11
	s_cbranch_execnz .LBB177_213
	s_branch .LBB177_217
.LBB177_185:
	v_cmp_ne_u32_e32 vcc_lo, 1, v18
	s_cbranch_vccnz .LBB177_187
; %bb.186:
	v_lshlrev_b64 v[16:17], 3, v[0:1]
	s_delay_alu instid0(VALU_DEP_1) | instskip(NEXT) | instid1(VALU_DEP_2)
	v_add_co_u32 v16, vcc_lo, v22, v16
	v_add_co_ci_u32_e32 v17, vcc_lo, v23, v17, vcc_lo
	flat_load_b64 v[16:17], v[16:17]
	s_waitcnt vmcnt(0) lgkmcnt(0)
	v_mul_f64 v[16:17], s[12:13], v[16:17]
	s_branch .LBB177_188
.LBB177_187:
	v_mov_b32_e32 v16, 0
	v_mov_b32_e32 v17, 0
.LBB177_188:
	s_delay_alu instid0(VALU_DEP_1) | instskip(SKIP_2) | instid1(VALU_DEP_1)
	v_cvt_f32_f64_e32 v16, v[16:17]
	v_max_f32_e32 v17, v105, v105
	v_lshlrev_b64 v[24:25], 3, v[0:1]
	v_add_co_u32 v24, vcc_lo, v20, v24
	s_delay_alu instid0(VALU_DEP_2) | instskip(NEXT) | instid1(VALU_DEP_4)
	v_add_co_ci_u32_e32 v25, vcc_lo, v21, v25, vcc_lo
	v_min_f32_e32 v16, v16, v17
	s_delay_alu instid0(VALU_DEP_1) | instskip(SKIP_3) | instid1(SALU_CYCLE_1)
	v_cvt_f64_f32_e32 v[16:17], v16
	global_store_b64 v[24:25], v[16:17], off
	s_or_b32 exec_lo, exec_lo, s11
	s_and_b32 s15, s1, s8
	s_and_saveexec_b32 s11, s15
	s_cbranch_execz .LBB177_179
.LBB177_189:
	v_cmp_ne_u32_e32 vcc_lo, 1, v18
	s_cbranch_vccnz .LBB177_191
; %bb.190:
	v_lshlrev_b64 v[16:17], 3, v[2:3]
	s_delay_alu instid0(VALU_DEP_1) | instskip(NEXT) | instid1(VALU_DEP_2)
	v_add_co_u32 v16, vcc_lo, v22, v16
	v_add_co_ci_u32_e32 v17, vcc_lo, v23, v17, vcc_lo
	flat_load_b64 v[16:17], v[16:17]
	s_waitcnt vmcnt(0) lgkmcnt(0)
	v_mul_f64 v[16:17], s[12:13], v[16:17]
	s_branch .LBB177_192
.LBB177_191:
	v_mov_b32_e32 v16, 0
	v_mov_b32_e32 v17, 0
.LBB177_192:
	s_delay_alu instid0(VALU_DEP_1) | instskip(SKIP_2) | instid1(VALU_DEP_1)
	v_cvt_f32_f64_e32 v16, v[16:17]
	v_max_f32_e32 v17, v104, v104
	v_lshlrev_b64 v[24:25], 3, v[2:3]
	v_add_co_u32 v24, vcc_lo, v20, v24
	s_delay_alu instid0(VALU_DEP_2) | instskip(NEXT) | instid1(VALU_DEP_4)
	v_add_co_ci_u32_e32 v25, vcc_lo, v21, v25, vcc_lo
	v_min_f32_e32 v16, v16, v17
	s_delay_alu instid0(VALU_DEP_1) | instskip(SKIP_3) | instid1(SALU_CYCLE_1)
	v_cvt_f64_f32_e32 v[16:17], v16
	global_store_b64 v[24:25], v[16:17], off
	s_or_b32 exec_lo, exec_lo, s11
	s_and_b32 s15, s2, s8
	s_and_saveexec_b32 s11, s15
	s_cbranch_execz .LBB177_180
.LBB177_193:
	v_cmp_ne_u32_e32 vcc_lo, 1, v18
	s_cbranch_vccnz .LBB177_195
; %bb.194:
	v_lshlrev_b64 v[16:17], 3, v[4:5]
	s_delay_alu instid0(VALU_DEP_1) | instskip(NEXT) | instid1(VALU_DEP_2)
	v_add_co_u32 v16, vcc_lo, v22, v16
	v_add_co_ci_u32_e32 v17, vcc_lo, v23, v17, vcc_lo
	flat_load_b64 v[16:17], v[16:17]
	s_waitcnt vmcnt(0) lgkmcnt(0)
	v_mul_f64 v[16:17], s[12:13], v[16:17]
	s_branch .LBB177_196
.LBB177_195:
	v_mov_b32_e32 v16, 0
	v_mov_b32_e32 v17, 0
.LBB177_196:
	s_delay_alu instid0(VALU_DEP_1) | instskip(SKIP_2) | instid1(VALU_DEP_1)
	v_cvt_f32_f64_e32 v16, v[16:17]
	v_max_f32_e32 v17, v103, v103
	v_lshlrev_b64 v[24:25], 3, v[4:5]
	v_add_co_u32 v24, vcc_lo, v20, v24
	s_delay_alu instid0(VALU_DEP_2) | instskip(NEXT) | instid1(VALU_DEP_4)
	v_add_co_ci_u32_e32 v25, vcc_lo, v21, v25, vcc_lo
	v_min_f32_e32 v16, v16, v17
	s_delay_alu instid0(VALU_DEP_1) | instskip(SKIP_3) | instid1(SALU_CYCLE_1)
	v_cvt_f64_f32_e32 v[16:17], v16
	global_store_b64 v[24:25], v[16:17], off
	s_or_b32 exec_lo, exec_lo, s11
	s_and_b32 s15, s3, s8
	s_and_saveexec_b32 s11, s15
	s_cbranch_execz .LBB177_181
.LBB177_197:
	v_cmp_ne_u32_e32 vcc_lo, 1, v18
	s_cbranch_vccnz .LBB177_199
; %bb.198:
	v_lshlrev_b64 v[16:17], 3, v[6:7]
	s_delay_alu instid0(VALU_DEP_1) | instskip(NEXT) | instid1(VALU_DEP_2)
	v_add_co_u32 v16, vcc_lo, v22, v16
	v_add_co_ci_u32_e32 v17, vcc_lo, v23, v17, vcc_lo
	flat_load_b64 v[16:17], v[16:17]
	s_waitcnt vmcnt(0) lgkmcnt(0)
	v_mul_f64 v[16:17], s[12:13], v[16:17]
	s_branch .LBB177_200
.LBB177_199:
	v_mov_b32_e32 v16, 0
	v_mov_b32_e32 v17, 0
.LBB177_200:
	s_delay_alu instid0(VALU_DEP_1) | instskip(SKIP_2) | instid1(VALU_DEP_1)
	v_cvt_f32_f64_e32 v16, v[16:17]
	v_max_f32_e32 v17, v102, v102
	v_lshlrev_b64 v[24:25], 3, v[6:7]
	v_add_co_u32 v24, vcc_lo, v20, v24
	s_delay_alu instid0(VALU_DEP_2) | instskip(NEXT) | instid1(VALU_DEP_4)
	v_add_co_ci_u32_e32 v25, vcc_lo, v21, v25, vcc_lo
	v_min_f32_e32 v16, v16, v17
	s_delay_alu instid0(VALU_DEP_1) | instskip(SKIP_3) | instid1(SALU_CYCLE_1)
	v_cvt_f64_f32_e32 v[16:17], v16
	global_store_b64 v[24:25], v[16:17], off
	s_or_b32 exec_lo, exec_lo, s11
	s_and_b32 s15, s4, s8
	s_and_saveexec_b32 s11, s15
	s_cbranch_execz .LBB177_182
.LBB177_201:
	v_cmp_ne_u32_e32 vcc_lo, 1, v18
	s_cbranch_vccnz .LBB177_203
; %bb.202:
	v_lshlrev_b64 v[16:17], 3, v[8:9]
	s_delay_alu instid0(VALU_DEP_1) | instskip(NEXT) | instid1(VALU_DEP_2)
	v_add_co_u32 v16, vcc_lo, v22, v16
	v_add_co_ci_u32_e32 v17, vcc_lo, v23, v17, vcc_lo
	flat_load_b64 v[16:17], v[16:17]
	s_waitcnt vmcnt(0) lgkmcnt(0)
	v_mul_f64 v[16:17], s[12:13], v[16:17]
	s_branch .LBB177_204
.LBB177_203:
	v_mov_b32_e32 v16, 0
	v_mov_b32_e32 v17, 0
.LBB177_204:
	s_delay_alu instid0(VALU_DEP_1) | instskip(SKIP_2) | instid1(VALU_DEP_1)
	v_cvt_f32_f64_e32 v16, v[16:17]
	v_max_f32_e32 v17, v101, v101
	v_lshlrev_b64 v[24:25], 3, v[8:9]
	v_add_co_u32 v24, vcc_lo, v20, v24
	s_delay_alu instid0(VALU_DEP_2) | instskip(NEXT) | instid1(VALU_DEP_4)
	v_add_co_ci_u32_e32 v25, vcc_lo, v21, v25, vcc_lo
	v_min_f32_e32 v16, v16, v17
	s_delay_alu instid0(VALU_DEP_1) | instskip(SKIP_3) | instid1(SALU_CYCLE_1)
	v_cvt_f64_f32_e32 v[16:17], v16
	global_store_b64 v[24:25], v[16:17], off
	s_or_b32 exec_lo, exec_lo, s11
	s_and_b32 s15, s5, s8
	s_and_saveexec_b32 s11, s15
	s_cbranch_execz .LBB177_183
.LBB177_205:
	v_cmp_ne_u32_e32 vcc_lo, 1, v18
	s_cbranch_vccnz .LBB177_207
; %bb.206:
	v_lshlrev_b64 v[16:17], 3, v[10:11]
	s_delay_alu instid0(VALU_DEP_1) | instskip(NEXT) | instid1(VALU_DEP_2)
	v_add_co_u32 v16, vcc_lo, v22, v16
	v_add_co_ci_u32_e32 v17, vcc_lo, v23, v17, vcc_lo
	flat_load_b64 v[16:17], v[16:17]
	s_waitcnt vmcnt(0) lgkmcnt(0)
	v_mul_f64 v[16:17], s[12:13], v[16:17]
	s_branch .LBB177_208
.LBB177_207:
	v_mov_b32_e32 v16, 0
	v_mov_b32_e32 v17, 0
.LBB177_208:
	s_delay_alu instid0(VALU_DEP_1) | instskip(SKIP_2) | instid1(VALU_DEP_1)
	v_cvt_f32_f64_e32 v16, v[16:17]
	v_max_f32_e32 v17, v100, v100
	v_lshlrev_b64 v[24:25], 3, v[10:11]
	v_add_co_u32 v24, vcc_lo, v20, v24
	s_delay_alu instid0(VALU_DEP_2) | instskip(NEXT) | instid1(VALU_DEP_4)
	v_add_co_ci_u32_e32 v25, vcc_lo, v21, v25, vcc_lo
	v_min_f32_e32 v16, v16, v17
	s_delay_alu instid0(VALU_DEP_1) | instskip(SKIP_3) | instid1(SALU_CYCLE_1)
	v_cvt_f64_f32_e32 v[16:17], v16
	global_store_b64 v[24:25], v[16:17], off
	s_or_b32 exec_lo, exec_lo, s11
	s_and_b32 s15, s6, s8
	s_and_saveexec_b32 s11, s15
	s_cbranch_execz .LBB177_184
.LBB177_209:
	v_cmp_ne_u32_e32 vcc_lo, 1, v18
	s_cbranch_vccnz .LBB177_211
; %bb.210:
	v_lshlrev_b64 v[16:17], 3, v[12:13]
	s_delay_alu instid0(VALU_DEP_1) | instskip(NEXT) | instid1(VALU_DEP_2)
	v_add_co_u32 v16, vcc_lo, v22, v16
	v_add_co_ci_u32_e32 v17, vcc_lo, v23, v17, vcc_lo
	flat_load_b64 v[16:17], v[16:17]
	s_waitcnt vmcnt(0) lgkmcnt(0)
	v_mul_f64 v[16:17], s[12:13], v[16:17]
	s_branch .LBB177_212
.LBB177_211:
	v_mov_b32_e32 v16, 0
	v_mov_b32_e32 v17, 0
.LBB177_212:
	s_delay_alu instid0(VALU_DEP_1) | instskip(SKIP_2) | instid1(VALU_DEP_1)
	v_cvt_f32_f64_e32 v16, v[16:17]
	v_max_f32_e32 v17, v99, v99
	v_lshlrev_b64 v[24:25], 3, v[12:13]
	v_add_co_u32 v24, vcc_lo, v20, v24
	s_delay_alu instid0(VALU_DEP_2) | instskip(NEXT) | instid1(VALU_DEP_4)
	v_add_co_ci_u32_e32 v25, vcc_lo, v21, v25, vcc_lo
	v_min_f32_e32 v16, v16, v17
	s_delay_alu instid0(VALU_DEP_1) | instskip(SKIP_3) | instid1(SALU_CYCLE_1)
	v_cvt_f64_f32_e32 v[16:17], v16
	global_store_b64 v[24:25], v[16:17], off
	s_or_b32 exec_lo, exec_lo, s11
	s_and_b32 s11, s7, s8
	s_and_saveexec_b32 s8, s11
	s_cbranch_execz .LBB177_217
.LBB177_213:
	v_cmp_ne_u32_e32 vcc_lo, 1, v18
	s_cbranch_vccnz .LBB177_215
; %bb.214:
	v_lshlrev_b64 v[16:17], 3, v[14:15]
	s_delay_alu instid0(VALU_DEP_1) | instskip(NEXT) | instid1(VALU_DEP_2)
	v_add_co_u32 v16, vcc_lo, v22, v16
	v_add_co_ci_u32_e32 v17, vcc_lo, v23, v17, vcc_lo
	flat_load_b64 v[16:17], v[16:17]
	s_waitcnt vmcnt(0) lgkmcnt(0)
	v_mul_f64 v[16:17], s[12:13], v[16:17]
	s_branch .LBB177_216
.LBB177_215:
	v_mov_b32_e32 v16, 0
	v_mov_b32_e32 v17, 0
.LBB177_216:
	s_delay_alu instid0(VALU_DEP_1) | instskip(SKIP_2) | instid1(VALU_DEP_1)
	v_cvt_f32_f64_e32 v16, v[16:17]
	v_max_f32_e32 v17, v98, v98
	v_lshlrev_b64 v[22:23], 3, v[14:15]
	v_add_co_u32 v20, vcc_lo, v20, v22
	s_delay_alu instid0(VALU_DEP_2) | instskip(NEXT) | instid1(VALU_DEP_4)
	v_add_co_ci_u32_e32 v21, vcc_lo, v21, v23, vcc_lo
	v_min_f32_e32 v16, v16, v17
	s_delay_alu instid0(VALU_DEP_1)
	v_cvt_f64_f32_e32 v[16:17], v16
	global_store_b64 v[20:21], v[16:17], off
.LBB177_217:
	s_or_b32 exec_lo, exec_lo, s8
	v_add_nc_u32_e32 v22, 0x80, v19
	s_delay_alu instid0(VALU_DEP_1) | instskip(SKIP_2) | instid1(VALU_DEP_3)
	v_mad_i64_i32 v[16:17], null, v22, s18, 0
	v_mad_i64_i32 v[20:21], null, v22, s14, 0
	v_cmp_gt_i32_e64 s8, s17, v22
	v_lshlrev_b64 v[16:17], 3, v[16:17]
	s_delay_alu instid0(VALU_DEP_2) | instskip(NEXT) | instid1(VALU_DEP_3)
	s_and_b32 s15, s0, s8
	v_lshlrev_b64 v[20:21], 3, v[20:21]
	s_delay_alu instid0(VALU_DEP_2) | instskip(NEXT) | instid1(VALU_DEP_3)
	v_add_co_u32 v22, vcc_lo, s20, v16
	v_add_co_ci_u32_e32 v23, vcc_lo, s21, v17, vcc_lo
	s_delay_alu instid0(VALU_DEP_3) | instskip(NEXT) | instid1(VALU_DEP_4)
	v_add_co_u32 v20, vcc_lo, s9, v20
	v_add_co_ci_u32_e32 v21, vcc_lo, s10, v21, vcc_lo
	s_and_saveexec_b32 s11, s15
	s_cbranch_execnz .LBB177_225
; %bb.218:
	s_or_b32 exec_lo, exec_lo, s11
	s_and_b32 s15, s1, s8
	s_delay_alu instid0(SALU_CYCLE_1)
	s_and_saveexec_b32 s11, s15
	s_cbranch_execnz .LBB177_229
.LBB177_219:
	s_or_b32 exec_lo, exec_lo, s11
	s_and_b32 s15, s2, s8
	s_delay_alu instid0(SALU_CYCLE_1)
	s_and_saveexec_b32 s11, s15
	s_cbranch_execnz .LBB177_233
.LBB177_220:
	s_or_b32 exec_lo, exec_lo, s11
	s_and_b32 s15, s3, s8
	s_delay_alu instid0(SALU_CYCLE_1)
	s_and_saveexec_b32 s11, s15
	s_cbranch_execnz .LBB177_237
.LBB177_221:
	s_or_b32 exec_lo, exec_lo, s11
	s_and_b32 s15, s4, s8
	s_delay_alu instid0(SALU_CYCLE_1)
	s_and_saveexec_b32 s11, s15
	s_cbranch_execnz .LBB177_241
.LBB177_222:
	s_or_b32 exec_lo, exec_lo, s11
	s_and_b32 s15, s5, s8
	s_delay_alu instid0(SALU_CYCLE_1)
	s_and_saveexec_b32 s11, s15
	s_cbranch_execnz .LBB177_245
.LBB177_223:
	s_or_b32 exec_lo, exec_lo, s11
	s_and_b32 s15, s6, s8
	s_delay_alu instid0(SALU_CYCLE_1)
	s_and_saveexec_b32 s11, s15
	s_cbranch_execnz .LBB177_249
.LBB177_224:
	s_or_b32 exec_lo, exec_lo, s11
	s_and_b32 s11, s7, s8
	s_delay_alu instid0(SALU_CYCLE_1)
	s_and_saveexec_b32 s8, s11
	s_cbranch_execnz .LBB177_253
	s_branch .LBB177_257
.LBB177_225:
	v_cmp_ne_u32_e32 vcc_lo, 1, v18
	s_cbranch_vccnz .LBB177_227
; %bb.226:
	v_lshlrev_b64 v[16:17], 3, v[0:1]
	s_delay_alu instid0(VALU_DEP_1) | instskip(NEXT) | instid1(VALU_DEP_2)
	v_add_co_u32 v16, vcc_lo, v22, v16
	v_add_co_ci_u32_e32 v17, vcc_lo, v23, v17, vcc_lo
	flat_load_b64 v[16:17], v[16:17]
	s_waitcnt vmcnt(0) lgkmcnt(0)
	v_mul_f64 v[16:17], s[12:13], v[16:17]
	s_branch .LBB177_228
.LBB177_227:
	v_mov_b32_e32 v16, 0
	v_mov_b32_e32 v17, 0
.LBB177_228:
	s_delay_alu instid0(VALU_DEP_1) | instskip(SKIP_2) | instid1(VALU_DEP_1)
	v_cvt_f32_f64_e32 v16, v[16:17]
	v_max_f32_e32 v17, v97, v97
	v_lshlrev_b64 v[24:25], 3, v[0:1]
	v_add_co_u32 v24, vcc_lo, v20, v24
	s_delay_alu instid0(VALU_DEP_2) | instskip(NEXT) | instid1(VALU_DEP_4)
	v_add_co_ci_u32_e32 v25, vcc_lo, v21, v25, vcc_lo
	v_min_f32_e32 v16, v16, v17
	s_delay_alu instid0(VALU_DEP_1) | instskip(SKIP_3) | instid1(SALU_CYCLE_1)
	v_cvt_f64_f32_e32 v[16:17], v16
	global_store_b64 v[24:25], v[16:17], off
	s_or_b32 exec_lo, exec_lo, s11
	s_and_b32 s15, s1, s8
	s_and_saveexec_b32 s11, s15
	s_cbranch_execz .LBB177_219
.LBB177_229:
	v_cmp_ne_u32_e32 vcc_lo, 1, v18
	s_cbranch_vccnz .LBB177_231
; %bb.230:
	v_lshlrev_b64 v[16:17], 3, v[2:3]
	s_delay_alu instid0(VALU_DEP_1) | instskip(NEXT) | instid1(VALU_DEP_2)
	v_add_co_u32 v16, vcc_lo, v22, v16
	v_add_co_ci_u32_e32 v17, vcc_lo, v23, v17, vcc_lo
	flat_load_b64 v[16:17], v[16:17]
	s_waitcnt vmcnt(0) lgkmcnt(0)
	v_mul_f64 v[16:17], s[12:13], v[16:17]
	s_branch .LBB177_232
.LBB177_231:
	v_mov_b32_e32 v16, 0
	v_mov_b32_e32 v17, 0
.LBB177_232:
	s_delay_alu instid0(VALU_DEP_1) | instskip(SKIP_2) | instid1(VALU_DEP_1)
	v_cvt_f32_f64_e32 v16, v[16:17]
	v_max_f32_e32 v17, v96, v96
	v_lshlrev_b64 v[24:25], 3, v[2:3]
	v_add_co_u32 v24, vcc_lo, v20, v24
	s_delay_alu instid0(VALU_DEP_2) | instskip(NEXT) | instid1(VALU_DEP_4)
	v_add_co_ci_u32_e32 v25, vcc_lo, v21, v25, vcc_lo
	v_min_f32_e32 v16, v16, v17
	s_delay_alu instid0(VALU_DEP_1) | instskip(SKIP_3) | instid1(SALU_CYCLE_1)
	v_cvt_f64_f32_e32 v[16:17], v16
	global_store_b64 v[24:25], v[16:17], off
	s_or_b32 exec_lo, exec_lo, s11
	s_and_b32 s15, s2, s8
	s_and_saveexec_b32 s11, s15
	s_cbranch_execz .LBB177_220
.LBB177_233:
	v_cmp_ne_u32_e32 vcc_lo, 1, v18
	s_cbranch_vccnz .LBB177_235
; %bb.234:
	v_lshlrev_b64 v[16:17], 3, v[4:5]
	s_delay_alu instid0(VALU_DEP_1) | instskip(NEXT) | instid1(VALU_DEP_2)
	v_add_co_u32 v16, vcc_lo, v22, v16
	v_add_co_ci_u32_e32 v17, vcc_lo, v23, v17, vcc_lo
	flat_load_b64 v[16:17], v[16:17]
	s_waitcnt vmcnt(0) lgkmcnt(0)
	v_mul_f64 v[16:17], s[12:13], v[16:17]
	s_branch .LBB177_236
.LBB177_235:
	v_mov_b32_e32 v16, 0
	v_mov_b32_e32 v17, 0
.LBB177_236:
	s_delay_alu instid0(VALU_DEP_1) | instskip(SKIP_2) | instid1(VALU_DEP_1)
	v_cvt_f32_f64_e32 v16, v[16:17]
	v_max_f32_e32 v17, v95, v95
	v_lshlrev_b64 v[24:25], 3, v[4:5]
	v_add_co_u32 v24, vcc_lo, v20, v24
	s_delay_alu instid0(VALU_DEP_2) | instskip(NEXT) | instid1(VALU_DEP_4)
	v_add_co_ci_u32_e32 v25, vcc_lo, v21, v25, vcc_lo
	v_min_f32_e32 v16, v16, v17
	s_delay_alu instid0(VALU_DEP_1) | instskip(SKIP_3) | instid1(SALU_CYCLE_1)
	v_cvt_f64_f32_e32 v[16:17], v16
	global_store_b64 v[24:25], v[16:17], off
	s_or_b32 exec_lo, exec_lo, s11
	s_and_b32 s15, s3, s8
	s_and_saveexec_b32 s11, s15
	s_cbranch_execz .LBB177_221
.LBB177_237:
	v_cmp_ne_u32_e32 vcc_lo, 1, v18
	s_cbranch_vccnz .LBB177_239
; %bb.238:
	v_lshlrev_b64 v[16:17], 3, v[6:7]
	s_delay_alu instid0(VALU_DEP_1) | instskip(NEXT) | instid1(VALU_DEP_2)
	v_add_co_u32 v16, vcc_lo, v22, v16
	v_add_co_ci_u32_e32 v17, vcc_lo, v23, v17, vcc_lo
	flat_load_b64 v[16:17], v[16:17]
	s_waitcnt vmcnt(0) lgkmcnt(0)
	v_mul_f64 v[16:17], s[12:13], v[16:17]
	s_branch .LBB177_240
.LBB177_239:
	v_mov_b32_e32 v16, 0
	v_mov_b32_e32 v17, 0
.LBB177_240:
	s_delay_alu instid0(VALU_DEP_1) | instskip(SKIP_2) | instid1(VALU_DEP_1)
	v_cvt_f32_f64_e32 v16, v[16:17]
	v_max_f32_e32 v17, v94, v94
	v_lshlrev_b64 v[24:25], 3, v[6:7]
	v_add_co_u32 v24, vcc_lo, v20, v24
	s_delay_alu instid0(VALU_DEP_2) | instskip(NEXT) | instid1(VALU_DEP_4)
	v_add_co_ci_u32_e32 v25, vcc_lo, v21, v25, vcc_lo
	v_min_f32_e32 v16, v16, v17
	s_delay_alu instid0(VALU_DEP_1) | instskip(SKIP_3) | instid1(SALU_CYCLE_1)
	v_cvt_f64_f32_e32 v[16:17], v16
	global_store_b64 v[24:25], v[16:17], off
	s_or_b32 exec_lo, exec_lo, s11
	s_and_b32 s15, s4, s8
	s_and_saveexec_b32 s11, s15
	s_cbranch_execz .LBB177_222
.LBB177_241:
	v_cmp_ne_u32_e32 vcc_lo, 1, v18
	s_cbranch_vccnz .LBB177_243
; %bb.242:
	v_lshlrev_b64 v[16:17], 3, v[8:9]
	s_delay_alu instid0(VALU_DEP_1) | instskip(NEXT) | instid1(VALU_DEP_2)
	v_add_co_u32 v16, vcc_lo, v22, v16
	v_add_co_ci_u32_e32 v17, vcc_lo, v23, v17, vcc_lo
	flat_load_b64 v[16:17], v[16:17]
	s_waitcnt vmcnt(0) lgkmcnt(0)
	v_mul_f64 v[16:17], s[12:13], v[16:17]
	s_branch .LBB177_244
.LBB177_243:
	v_mov_b32_e32 v16, 0
	v_mov_b32_e32 v17, 0
.LBB177_244:
	s_delay_alu instid0(VALU_DEP_1) | instskip(SKIP_2) | instid1(VALU_DEP_1)
	v_cvt_f32_f64_e32 v16, v[16:17]
	v_max_f32_e32 v17, v93, v93
	v_lshlrev_b64 v[24:25], 3, v[8:9]
	v_add_co_u32 v24, vcc_lo, v20, v24
	s_delay_alu instid0(VALU_DEP_2) | instskip(NEXT) | instid1(VALU_DEP_4)
	v_add_co_ci_u32_e32 v25, vcc_lo, v21, v25, vcc_lo
	v_min_f32_e32 v16, v16, v17
	s_delay_alu instid0(VALU_DEP_1) | instskip(SKIP_3) | instid1(SALU_CYCLE_1)
	v_cvt_f64_f32_e32 v[16:17], v16
	global_store_b64 v[24:25], v[16:17], off
	s_or_b32 exec_lo, exec_lo, s11
	s_and_b32 s15, s5, s8
	s_and_saveexec_b32 s11, s15
	s_cbranch_execz .LBB177_223
.LBB177_245:
	v_cmp_ne_u32_e32 vcc_lo, 1, v18
	s_cbranch_vccnz .LBB177_247
; %bb.246:
	v_lshlrev_b64 v[16:17], 3, v[10:11]
	s_delay_alu instid0(VALU_DEP_1) | instskip(NEXT) | instid1(VALU_DEP_2)
	v_add_co_u32 v16, vcc_lo, v22, v16
	v_add_co_ci_u32_e32 v17, vcc_lo, v23, v17, vcc_lo
	flat_load_b64 v[16:17], v[16:17]
	s_waitcnt vmcnt(0) lgkmcnt(0)
	v_mul_f64 v[16:17], s[12:13], v[16:17]
	s_branch .LBB177_248
.LBB177_247:
	v_mov_b32_e32 v16, 0
	v_mov_b32_e32 v17, 0
.LBB177_248:
	s_delay_alu instid0(VALU_DEP_1) | instskip(SKIP_2) | instid1(VALU_DEP_1)
	v_cvt_f32_f64_e32 v16, v[16:17]
	v_max_f32_e32 v17, v92, v92
	v_lshlrev_b64 v[24:25], 3, v[10:11]
	v_add_co_u32 v24, vcc_lo, v20, v24
	s_delay_alu instid0(VALU_DEP_2) | instskip(NEXT) | instid1(VALU_DEP_4)
	v_add_co_ci_u32_e32 v25, vcc_lo, v21, v25, vcc_lo
	v_min_f32_e32 v16, v16, v17
	s_delay_alu instid0(VALU_DEP_1) | instskip(SKIP_3) | instid1(SALU_CYCLE_1)
	v_cvt_f64_f32_e32 v[16:17], v16
	global_store_b64 v[24:25], v[16:17], off
	s_or_b32 exec_lo, exec_lo, s11
	s_and_b32 s15, s6, s8
	s_and_saveexec_b32 s11, s15
	s_cbranch_execz .LBB177_224
.LBB177_249:
	v_cmp_ne_u32_e32 vcc_lo, 1, v18
	s_cbranch_vccnz .LBB177_251
; %bb.250:
	v_lshlrev_b64 v[16:17], 3, v[12:13]
	s_delay_alu instid0(VALU_DEP_1) | instskip(NEXT) | instid1(VALU_DEP_2)
	v_add_co_u32 v16, vcc_lo, v22, v16
	v_add_co_ci_u32_e32 v17, vcc_lo, v23, v17, vcc_lo
	flat_load_b64 v[16:17], v[16:17]
	s_waitcnt vmcnt(0) lgkmcnt(0)
	v_mul_f64 v[16:17], s[12:13], v[16:17]
	s_branch .LBB177_252
.LBB177_251:
	v_mov_b32_e32 v16, 0
	v_mov_b32_e32 v17, 0
.LBB177_252:
	s_delay_alu instid0(VALU_DEP_1) | instskip(SKIP_2) | instid1(VALU_DEP_1)
	v_cvt_f32_f64_e32 v16, v[16:17]
	v_max_f32_e32 v17, v91, v91
	v_lshlrev_b64 v[24:25], 3, v[12:13]
	v_add_co_u32 v24, vcc_lo, v20, v24
	s_delay_alu instid0(VALU_DEP_2) | instskip(NEXT) | instid1(VALU_DEP_4)
	v_add_co_ci_u32_e32 v25, vcc_lo, v21, v25, vcc_lo
	v_min_f32_e32 v16, v16, v17
	s_delay_alu instid0(VALU_DEP_1) | instskip(SKIP_3) | instid1(SALU_CYCLE_1)
	v_cvt_f64_f32_e32 v[16:17], v16
	global_store_b64 v[24:25], v[16:17], off
	s_or_b32 exec_lo, exec_lo, s11
	s_and_b32 s11, s7, s8
	s_and_saveexec_b32 s8, s11
	s_cbranch_execz .LBB177_257
.LBB177_253:
	v_cmp_ne_u32_e32 vcc_lo, 1, v18
	s_cbranch_vccnz .LBB177_255
; %bb.254:
	v_lshlrev_b64 v[16:17], 3, v[14:15]
	s_delay_alu instid0(VALU_DEP_1) | instskip(NEXT) | instid1(VALU_DEP_2)
	v_add_co_u32 v16, vcc_lo, v22, v16
	v_add_co_ci_u32_e32 v17, vcc_lo, v23, v17, vcc_lo
	flat_load_b64 v[16:17], v[16:17]
	s_waitcnt vmcnt(0) lgkmcnt(0)
	v_mul_f64 v[16:17], s[12:13], v[16:17]
	s_branch .LBB177_256
.LBB177_255:
	v_mov_b32_e32 v16, 0
	v_mov_b32_e32 v17, 0
.LBB177_256:
	s_delay_alu instid0(VALU_DEP_1) | instskip(SKIP_2) | instid1(VALU_DEP_1)
	v_cvt_f32_f64_e32 v16, v[16:17]
	v_max_f32_e32 v17, v90, v90
	v_lshlrev_b64 v[22:23], 3, v[14:15]
	v_add_co_u32 v20, vcc_lo, v20, v22
	s_delay_alu instid0(VALU_DEP_2) | instskip(NEXT) | instid1(VALU_DEP_4)
	v_add_co_ci_u32_e32 v21, vcc_lo, v21, v23, vcc_lo
	v_min_f32_e32 v16, v16, v17
	s_delay_alu instid0(VALU_DEP_1)
	v_cvt_f64_f32_e32 v[16:17], v16
	global_store_b64 v[20:21], v[16:17], off
.LBB177_257:
	s_or_b32 exec_lo, exec_lo, s8
	v_add_nc_u32_e32 v22, 0xa0, v19
	s_delay_alu instid0(VALU_DEP_1) | instskip(SKIP_2) | instid1(VALU_DEP_3)
	v_mad_i64_i32 v[16:17], null, v22, s18, 0
	v_mad_i64_i32 v[20:21], null, v22, s14, 0
	v_cmp_gt_i32_e64 s8, s17, v22
	v_lshlrev_b64 v[16:17], 3, v[16:17]
	s_delay_alu instid0(VALU_DEP_2) | instskip(NEXT) | instid1(VALU_DEP_3)
	s_and_b32 s15, s0, s8
	v_lshlrev_b64 v[20:21], 3, v[20:21]
	s_delay_alu instid0(VALU_DEP_2) | instskip(NEXT) | instid1(VALU_DEP_3)
	v_add_co_u32 v22, vcc_lo, s20, v16
	v_add_co_ci_u32_e32 v23, vcc_lo, s21, v17, vcc_lo
	s_delay_alu instid0(VALU_DEP_3) | instskip(NEXT) | instid1(VALU_DEP_4)
	v_add_co_u32 v20, vcc_lo, s9, v20
	v_add_co_ci_u32_e32 v21, vcc_lo, s10, v21, vcc_lo
	s_and_saveexec_b32 s11, s15
	s_cbranch_execnz .LBB177_265
; %bb.258:
	s_or_b32 exec_lo, exec_lo, s11
	s_and_b32 s15, s1, s8
	s_delay_alu instid0(SALU_CYCLE_1)
	s_and_saveexec_b32 s11, s15
	s_cbranch_execnz .LBB177_269
.LBB177_259:
	s_or_b32 exec_lo, exec_lo, s11
	s_and_b32 s15, s2, s8
	s_delay_alu instid0(SALU_CYCLE_1)
	s_and_saveexec_b32 s11, s15
	s_cbranch_execnz .LBB177_273
.LBB177_260:
	s_or_b32 exec_lo, exec_lo, s11
	s_and_b32 s15, s3, s8
	s_delay_alu instid0(SALU_CYCLE_1)
	s_and_saveexec_b32 s11, s15
	s_cbranch_execnz .LBB177_277
.LBB177_261:
	s_or_b32 exec_lo, exec_lo, s11
	s_and_b32 s15, s4, s8
	s_delay_alu instid0(SALU_CYCLE_1)
	s_and_saveexec_b32 s11, s15
	s_cbranch_execnz .LBB177_281
.LBB177_262:
	s_or_b32 exec_lo, exec_lo, s11
	s_and_b32 s15, s5, s8
	s_delay_alu instid0(SALU_CYCLE_1)
	s_and_saveexec_b32 s11, s15
	s_cbranch_execnz .LBB177_285
.LBB177_263:
	s_or_b32 exec_lo, exec_lo, s11
	s_and_b32 s15, s6, s8
	s_delay_alu instid0(SALU_CYCLE_1)
	s_and_saveexec_b32 s11, s15
	s_cbranch_execnz .LBB177_289
.LBB177_264:
	s_or_b32 exec_lo, exec_lo, s11
	s_and_b32 s11, s7, s8
	s_delay_alu instid0(SALU_CYCLE_1)
	s_and_saveexec_b32 s8, s11
	s_cbranch_execnz .LBB177_293
	s_branch .LBB177_297
.LBB177_265:
	v_cmp_ne_u32_e32 vcc_lo, 1, v18
	s_cbranch_vccnz .LBB177_267
; %bb.266:
	v_lshlrev_b64 v[16:17], 3, v[0:1]
	s_delay_alu instid0(VALU_DEP_1) | instskip(NEXT) | instid1(VALU_DEP_2)
	v_add_co_u32 v16, vcc_lo, v22, v16
	v_add_co_ci_u32_e32 v17, vcc_lo, v23, v17, vcc_lo
	flat_load_b64 v[16:17], v[16:17]
	s_waitcnt vmcnt(0) lgkmcnt(0)
	v_mul_f64 v[16:17], s[12:13], v[16:17]
	s_branch .LBB177_268
.LBB177_267:
	v_mov_b32_e32 v16, 0
	v_mov_b32_e32 v17, 0
.LBB177_268:
	s_delay_alu instid0(VALU_DEP_1) | instskip(SKIP_2) | instid1(VALU_DEP_1)
	v_cvt_f32_f64_e32 v16, v[16:17]
	v_max_f32_e32 v17, v89, v89
	v_lshlrev_b64 v[24:25], 3, v[0:1]
	v_add_co_u32 v24, vcc_lo, v20, v24
	s_delay_alu instid0(VALU_DEP_2) | instskip(NEXT) | instid1(VALU_DEP_4)
	v_add_co_ci_u32_e32 v25, vcc_lo, v21, v25, vcc_lo
	v_min_f32_e32 v16, v16, v17
	s_delay_alu instid0(VALU_DEP_1) | instskip(SKIP_3) | instid1(SALU_CYCLE_1)
	v_cvt_f64_f32_e32 v[16:17], v16
	global_store_b64 v[24:25], v[16:17], off
	s_or_b32 exec_lo, exec_lo, s11
	s_and_b32 s15, s1, s8
	s_and_saveexec_b32 s11, s15
	s_cbranch_execz .LBB177_259
.LBB177_269:
	v_cmp_ne_u32_e32 vcc_lo, 1, v18
	s_cbranch_vccnz .LBB177_271
; %bb.270:
	v_lshlrev_b64 v[16:17], 3, v[2:3]
	s_delay_alu instid0(VALU_DEP_1) | instskip(NEXT) | instid1(VALU_DEP_2)
	v_add_co_u32 v16, vcc_lo, v22, v16
	v_add_co_ci_u32_e32 v17, vcc_lo, v23, v17, vcc_lo
	flat_load_b64 v[16:17], v[16:17]
	s_waitcnt vmcnt(0) lgkmcnt(0)
	v_mul_f64 v[16:17], s[12:13], v[16:17]
	s_branch .LBB177_272
.LBB177_271:
	v_mov_b32_e32 v16, 0
	v_mov_b32_e32 v17, 0
.LBB177_272:
	s_delay_alu instid0(VALU_DEP_1) | instskip(SKIP_2) | instid1(VALU_DEP_1)
	v_cvt_f32_f64_e32 v16, v[16:17]
	v_max_f32_e32 v17, v88, v88
	v_lshlrev_b64 v[24:25], 3, v[2:3]
	v_add_co_u32 v24, vcc_lo, v20, v24
	s_delay_alu instid0(VALU_DEP_2) | instskip(NEXT) | instid1(VALU_DEP_4)
	v_add_co_ci_u32_e32 v25, vcc_lo, v21, v25, vcc_lo
	v_min_f32_e32 v16, v16, v17
	s_delay_alu instid0(VALU_DEP_1) | instskip(SKIP_3) | instid1(SALU_CYCLE_1)
	v_cvt_f64_f32_e32 v[16:17], v16
	global_store_b64 v[24:25], v[16:17], off
	s_or_b32 exec_lo, exec_lo, s11
	s_and_b32 s15, s2, s8
	s_and_saveexec_b32 s11, s15
	s_cbranch_execz .LBB177_260
.LBB177_273:
	v_cmp_ne_u32_e32 vcc_lo, 1, v18
	s_cbranch_vccnz .LBB177_275
; %bb.274:
	v_lshlrev_b64 v[16:17], 3, v[4:5]
	s_delay_alu instid0(VALU_DEP_1) | instskip(NEXT) | instid1(VALU_DEP_2)
	v_add_co_u32 v16, vcc_lo, v22, v16
	v_add_co_ci_u32_e32 v17, vcc_lo, v23, v17, vcc_lo
	flat_load_b64 v[16:17], v[16:17]
	s_waitcnt vmcnt(0) lgkmcnt(0)
	v_mul_f64 v[16:17], s[12:13], v[16:17]
	s_branch .LBB177_276
.LBB177_275:
	v_mov_b32_e32 v16, 0
	v_mov_b32_e32 v17, 0
.LBB177_276:
	s_delay_alu instid0(VALU_DEP_1) | instskip(SKIP_2) | instid1(VALU_DEP_1)
	v_cvt_f32_f64_e32 v16, v[16:17]
	v_max_f32_e32 v17, v87, v87
	v_lshlrev_b64 v[24:25], 3, v[4:5]
	v_add_co_u32 v24, vcc_lo, v20, v24
	s_delay_alu instid0(VALU_DEP_2) | instskip(NEXT) | instid1(VALU_DEP_4)
	v_add_co_ci_u32_e32 v25, vcc_lo, v21, v25, vcc_lo
	v_min_f32_e32 v16, v16, v17
	s_delay_alu instid0(VALU_DEP_1) | instskip(SKIP_3) | instid1(SALU_CYCLE_1)
	v_cvt_f64_f32_e32 v[16:17], v16
	global_store_b64 v[24:25], v[16:17], off
	s_or_b32 exec_lo, exec_lo, s11
	s_and_b32 s15, s3, s8
	s_and_saveexec_b32 s11, s15
	s_cbranch_execz .LBB177_261
.LBB177_277:
	v_cmp_ne_u32_e32 vcc_lo, 1, v18
	s_cbranch_vccnz .LBB177_279
; %bb.278:
	v_lshlrev_b64 v[16:17], 3, v[6:7]
	s_delay_alu instid0(VALU_DEP_1) | instskip(NEXT) | instid1(VALU_DEP_2)
	v_add_co_u32 v16, vcc_lo, v22, v16
	v_add_co_ci_u32_e32 v17, vcc_lo, v23, v17, vcc_lo
	flat_load_b64 v[16:17], v[16:17]
	s_waitcnt vmcnt(0) lgkmcnt(0)
	v_mul_f64 v[16:17], s[12:13], v[16:17]
	s_branch .LBB177_280
.LBB177_279:
	v_mov_b32_e32 v16, 0
	v_mov_b32_e32 v17, 0
.LBB177_280:
	s_delay_alu instid0(VALU_DEP_1) | instskip(SKIP_2) | instid1(VALU_DEP_1)
	v_cvt_f32_f64_e32 v16, v[16:17]
	v_max_f32_e32 v17, v86, v86
	v_lshlrev_b64 v[24:25], 3, v[6:7]
	v_add_co_u32 v24, vcc_lo, v20, v24
	s_delay_alu instid0(VALU_DEP_2) | instskip(NEXT) | instid1(VALU_DEP_4)
	v_add_co_ci_u32_e32 v25, vcc_lo, v21, v25, vcc_lo
	v_min_f32_e32 v16, v16, v17
	s_delay_alu instid0(VALU_DEP_1) | instskip(SKIP_3) | instid1(SALU_CYCLE_1)
	v_cvt_f64_f32_e32 v[16:17], v16
	global_store_b64 v[24:25], v[16:17], off
	s_or_b32 exec_lo, exec_lo, s11
	s_and_b32 s15, s4, s8
	s_and_saveexec_b32 s11, s15
	s_cbranch_execz .LBB177_262
.LBB177_281:
	v_cmp_ne_u32_e32 vcc_lo, 1, v18
	s_cbranch_vccnz .LBB177_283
; %bb.282:
	v_lshlrev_b64 v[16:17], 3, v[8:9]
	s_delay_alu instid0(VALU_DEP_1) | instskip(NEXT) | instid1(VALU_DEP_2)
	v_add_co_u32 v16, vcc_lo, v22, v16
	v_add_co_ci_u32_e32 v17, vcc_lo, v23, v17, vcc_lo
	flat_load_b64 v[16:17], v[16:17]
	s_waitcnt vmcnt(0) lgkmcnt(0)
	v_mul_f64 v[16:17], s[12:13], v[16:17]
	s_branch .LBB177_284
.LBB177_283:
	v_mov_b32_e32 v16, 0
	v_mov_b32_e32 v17, 0
.LBB177_284:
	s_delay_alu instid0(VALU_DEP_1) | instskip(SKIP_2) | instid1(VALU_DEP_1)
	v_cvt_f32_f64_e32 v16, v[16:17]
	v_max_f32_e32 v17, v85, v85
	v_lshlrev_b64 v[24:25], 3, v[8:9]
	v_add_co_u32 v24, vcc_lo, v20, v24
	s_delay_alu instid0(VALU_DEP_2) | instskip(NEXT) | instid1(VALU_DEP_4)
	v_add_co_ci_u32_e32 v25, vcc_lo, v21, v25, vcc_lo
	v_min_f32_e32 v16, v16, v17
	s_delay_alu instid0(VALU_DEP_1) | instskip(SKIP_3) | instid1(SALU_CYCLE_1)
	v_cvt_f64_f32_e32 v[16:17], v16
	global_store_b64 v[24:25], v[16:17], off
	s_or_b32 exec_lo, exec_lo, s11
	s_and_b32 s15, s5, s8
	s_and_saveexec_b32 s11, s15
	s_cbranch_execz .LBB177_263
.LBB177_285:
	v_cmp_ne_u32_e32 vcc_lo, 1, v18
	s_cbranch_vccnz .LBB177_287
; %bb.286:
	v_lshlrev_b64 v[16:17], 3, v[10:11]
	s_delay_alu instid0(VALU_DEP_1) | instskip(NEXT) | instid1(VALU_DEP_2)
	v_add_co_u32 v16, vcc_lo, v22, v16
	v_add_co_ci_u32_e32 v17, vcc_lo, v23, v17, vcc_lo
	flat_load_b64 v[16:17], v[16:17]
	s_waitcnt vmcnt(0) lgkmcnt(0)
	v_mul_f64 v[16:17], s[12:13], v[16:17]
	s_branch .LBB177_288
.LBB177_287:
	v_mov_b32_e32 v16, 0
	v_mov_b32_e32 v17, 0
.LBB177_288:
	s_delay_alu instid0(VALU_DEP_1) | instskip(SKIP_2) | instid1(VALU_DEP_1)
	v_cvt_f32_f64_e32 v16, v[16:17]
	v_max_f32_e32 v17, v84, v84
	v_lshlrev_b64 v[24:25], 3, v[10:11]
	v_add_co_u32 v24, vcc_lo, v20, v24
	s_delay_alu instid0(VALU_DEP_2) | instskip(NEXT) | instid1(VALU_DEP_4)
	v_add_co_ci_u32_e32 v25, vcc_lo, v21, v25, vcc_lo
	v_min_f32_e32 v16, v16, v17
	s_delay_alu instid0(VALU_DEP_1) | instskip(SKIP_3) | instid1(SALU_CYCLE_1)
	v_cvt_f64_f32_e32 v[16:17], v16
	global_store_b64 v[24:25], v[16:17], off
	s_or_b32 exec_lo, exec_lo, s11
	s_and_b32 s15, s6, s8
	s_and_saveexec_b32 s11, s15
	s_cbranch_execz .LBB177_264
.LBB177_289:
	v_cmp_ne_u32_e32 vcc_lo, 1, v18
	s_cbranch_vccnz .LBB177_291
; %bb.290:
	v_lshlrev_b64 v[16:17], 3, v[12:13]
	s_delay_alu instid0(VALU_DEP_1) | instskip(NEXT) | instid1(VALU_DEP_2)
	v_add_co_u32 v16, vcc_lo, v22, v16
	v_add_co_ci_u32_e32 v17, vcc_lo, v23, v17, vcc_lo
	flat_load_b64 v[16:17], v[16:17]
	s_waitcnt vmcnt(0) lgkmcnt(0)
	v_mul_f64 v[16:17], s[12:13], v[16:17]
	s_branch .LBB177_292
.LBB177_291:
	v_mov_b32_e32 v16, 0
	v_mov_b32_e32 v17, 0
.LBB177_292:
	s_delay_alu instid0(VALU_DEP_1) | instskip(SKIP_2) | instid1(VALU_DEP_1)
	v_cvt_f32_f64_e32 v16, v[16:17]
	v_max_f32_e32 v17, v83, v83
	v_lshlrev_b64 v[24:25], 3, v[12:13]
	v_add_co_u32 v24, vcc_lo, v20, v24
	s_delay_alu instid0(VALU_DEP_2) | instskip(NEXT) | instid1(VALU_DEP_4)
	v_add_co_ci_u32_e32 v25, vcc_lo, v21, v25, vcc_lo
	v_min_f32_e32 v16, v16, v17
	s_delay_alu instid0(VALU_DEP_1) | instskip(SKIP_3) | instid1(SALU_CYCLE_1)
	v_cvt_f64_f32_e32 v[16:17], v16
	global_store_b64 v[24:25], v[16:17], off
	s_or_b32 exec_lo, exec_lo, s11
	s_and_b32 s11, s7, s8
	s_and_saveexec_b32 s8, s11
	s_cbranch_execz .LBB177_297
.LBB177_293:
	v_cmp_ne_u32_e32 vcc_lo, 1, v18
	s_cbranch_vccnz .LBB177_295
; %bb.294:
	v_lshlrev_b64 v[16:17], 3, v[14:15]
	s_delay_alu instid0(VALU_DEP_1) | instskip(NEXT) | instid1(VALU_DEP_2)
	v_add_co_u32 v16, vcc_lo, v22, v16
	v_add_co_ci_u32_e32 v17, vcc_lo, v23, v17, vcc_lo
	flat_load_b64 v[16:17], v[16:17]
	s_waitcnt vmcnt(0) lgkmcnt(0)
	v_mul_f64 v[16:17], s[12:13], v[16:17]
	s_branch .LBB177_296
.LBB177_295:
	v_mov_b32_e32 v16, 0
	v_mov_b32_e32 v17, 0
.LBB177_296:
	s_delay_alu instid0(VALU_DEP_1) | instskip(SKIP_2) | instid1(VALU_DEP_1)
	v_cvt_f32_f64_e32 v16, v[16:17]
	v_max_f32_e32 v17, v82, v82
	v_lshlrev_b64 v[22:23], 3, v[14:15]
	v_add_co_u32 v20, vcc_lo, v20, v22
	s_delay_alu instid0(VALU_DEP_2) | instskip(NEXT) | instid1(VALU_DEP_4)
	v_add_co_ci_u32_e32 v21, vcc_lo, v21, v23, vcc_lo
	v_min_f32_e32 v16, v16, v17
	s_delay_alu instid0(VALU_DEP_1)
	v_cvt_f64_f32_e32 v[16:17], v16
	global_store_b64 v[20:21], v[16:17], off
.LBB177_297:
	s_or_b32 exec_lo, exec_lo, s8
	v_add_nc_u32_e32 v22, 0xc0, v19
	s_delay_alu instid0(VALU_DEP_1) | instskip(SKIP_2) | instid1(VALU_DEP_3)
	v_mad_i64_i32 v[16:17], null, v22, s18, 0
	v_mad_i64_i32 v[20:21], null, v22, s14, 0
	v_cmp_gt_i32_e64 s8, s17, v22
	v_lshlrev_b64 v[16:17], 3, v[16:17]
	s_delay_alu instid0(VALU_DEP_2) | instskip(NEXT) | instid1(VALU_DEP_3)
	s_and_b32 s15, s0, s8
	v_lshlrev_b64 v[20:21], 3, v[20:21]
	s_delay_alu instid0(VALU_DEP_2) | instskip(NEXT) | instid1(VALU_DEP_3)
	v_add_co_u32 v22, vcc_lo, s20, v16
	v_add_co_ci_u32_e32 v23, vcc_lo, s21, v17, vcc_lo
	s_delay_alu instid0(VALU_DEP_3) | instskip(NEXT) | instid1(VALU_DEP_4)
	v_add_co_u32 v20, vcc_lo, s9, v20
	v_add_co_ci_u32_e32 v21, vcc_lo, s10, v21, vcc_lo
	s_and_saveexec_b32 s11, s15
	s_cbranch_execnz .LBB177_305
; %bb.298:
	s_or_b32 exec_lo, exec_lo, s11
	s_and_b32 s15, s1, s8
	s_delay_alu instid0(SALU_CYCLE_1)
	s_and_saveexec_b32 s11, s15
	s_cbranch_execnz .LBB177_309
.LBB177_299:
	s_or_b32 exec_lo, exec_lo, s11
	s_and_b32 s15, s2, s8
	s_delay_alu instid0(SALU_CYCLE_1)
	s_and_saveexec_b32 s11, s15
	s_cbranch_execnz .LBB177_313
.LBB177_300:
	s_or_b32 exec_lo, exec_lo, s11
	s_and_b32 s15, s3, s8
	s_delay_alu instid0(SALU_CYCLE_1)
	s_and_saveexec_b32 s11, s15
	s_cbranch_execnz .LBB177_317
.LBB177_301:
	s_or_b32 exec_lo, exec_lo, s11
	s_and_b32 s15, s4, s8
	s_delay_alu instid0(SALU_CYCLE_1)
	s_and_saveexec_b32 s11, s15
	s_cbranch_execnz .LBB177_321
.LBB177_302:
	s_or_b32 exec_lo, exec_lo, s11
	s_and_b32 s15, s5, s8
	s_delay_alu instid0(SALU_CYCLE_1)
	s_and_saveexec_b32 s11, s15
	s_cbranch_execnz .LBB177_325
.LBB177_303:
	s_or_b32 exec_lo, exec_lo, s11
	s_and_b32 s15, s6, s8
	s_delay_alu instid0(SALU_CYCLE_1)
	s_and_saveexec_b32 s11, s15
	s_cbranch_execnz .LBB177_329
.LBB177_304:
	s_or_b32 exec_lo, exec_lo, s11
	s_and_b32 s11, s7, s8
	s_delay_alu instid0(SALU_CYCLE_1)
	s_and_saveexec_b32 s8, s11
	s_cbranch_execnz .LBB177_333
	s_branch .LBB177_337
.LBB177_305:
	v_cmp_ne_u32_e32 vcc_lo, 1, v18
	s_cbranch_vccnz .LBB177_307
; %bb.306:
	v_lshlrev_b64 v[16:17], 3, v[0:1]
	s_delay_alu instid0(VALU_DEP_1) | instskip(NEXT) | instid1(VALU_DEP_2)
	v_add_co_u32 v16, vcc_lo, v22, v16
	v_add_co_ci_u32_e32 v17, vcc_lo, v23, v17, vcc_lo
	flat_load_b64 v[16:17], v[16:17]
	s_waitcnt vmcnt(0) lgkmcnt(0)
	v_mul_f64 v[16:17], s[12:13], v[16:17]
	s_branch .LBB177_308
.LBB177_307:
	v_mov_b32_e32 v16, 0
	v_mov_b32_e32 v17, 0
.LBB177_308:
	s_delay_alu instid0(VALU_DEP_1) | instskip(SKIP_2) | instid1(VALU_DEP_1)
	v_cvt_f32_f64_e32 v16, v[16:17]
	v_max_f32_e32 v17, v81, v81
	v_lshlrev_b64 v[24:25], 3, v[0:1]
	v_add_co_u32 v24, vcc_lo, v20, v24
	s_delay_alu instid0(VALU_DEP_2) | instskip(NEXT) | instid1(VALU_DEP_4)
	v_add_co_ci_u32_e32 v25, vcc_lo, v21, v25, vcc_lo
	v_min_f32_e32 v16, v16, v17
	s_delay_alu instid0(VALU_DEP_1) | instskip(SKIP_3) | instid1(SALU_CYCLE_1)
	v_cvt_f64_f32_e32 v[16:17], v16
	global_store_b64 v[24:25], v[16:17], off
	s_or_b32 exec_lo, exec_lo, s11
	s_and_b32 s15, s1, s8
	s_and_saveexec_b32 s11, s15
	s_cbranch_execz .LBB177_299
.LBB177_309:
	v_cmp_ne_u32_e32 vcc_lo, 1, v18
	s_cbranch_vccnz .LBB177_311
; %bb.310:
	v_lshlrev_b64 v[16:17], 3, v[2:3]
	s_delay_alu instid0(VALU_DEP_1) | instskip(NEXT) | instid1(VALU_DEP_2)
	v_add_co_u32 v16, vcc_lo, v22, v16
	v_add_co_ci_u32_e32 v17, vcc_lo, v23, v17, vcc_lo
	flat_load_b64 v[16:17], v[16:17]
	s_waitcnt vmcnt(0) lgkmcnt(0)
	v_mul_f64 v[16:17], s[12:13], v[16:17]
	s_branch .LBB177_312
.LBB177_311:
	v_mov_b32_e32 v16, 0
	v_mov_b32_e32 v17, 0
.LBB177_312:
	s_delay_alu instid0(VALU_DEP_1) | instskip(SKIP_2) | instid1(VALU_DEP_1)
	v_cvt_f32_f64_e32 v16, v[16:17]
	v_max_f32_e32 v17, v80, v80
	v_lshlrev_b64 v[24:25], 3, v[2:3]
	v_add_co_u32 v24, vcc_lo, v20, v24
	s_delay_alu instid0(VALU_DEP_2) | instskip(NEXT) | instid1(VALU_DEP_4)
	v_add_co_ci_u32_e32 v25, vcc_lo, v21, v25, vcc_lo
	v_min_f32_e32 v16, v16, v17
	s_delay_alu instid0(VALU_DEP_1) | instskip(SKIP_3) | instid1(SALU_CYCLE_1)
	v_cvt_f64_f32_e32 v[16:17], v16
	global_store_b64 v[24:25], v[16:17], off
	s_or_b32 exec_lo, exec_lo, s11
	s_and_b32 s15, s2, s8
	s_and_saveexec_b32 s11, s15
	s_cbranch_execz .LBB177_300
.LBB177_313:
	v_cmp_ne_u32_e32 vcc_lo, 1, v18
	s_cbranch_vccnz .LBB177_315
; %bb.314:
	v_lshlrev_b64 v[16:17], 3, v[4:5]
	s_delay_alu instid0(VALU_DEP_1) | instskip(NEXT) | instid1(VALU_DEP_2)
	v_add_co_u32 v16, vcc_lo, v22, v16
	v_add_co_ci_u32_e32 v17, vcc_lo, v23, v17, vcc_lo
	flat_load_b64 v[16:17], v[16:17]
	s_waitcnt vmcnt(0) lgkmcnt(0)
	v_mul_f64 v[16:17], s[12:13], v[16:17]
	s_branch .LBB177_316
.LBB177_315:
	v_mov_b32_e32 v16, 0
	v_mov_b32_e32 v17, 0
.LBB177_316:
	s_delay_alu instid0(VALU_DEP_1) | instskip(SKIP_2) | instid1(VALU_DEP_1)
	v_cvt_f32_f64_e32 v16, v[16:17]
	v_max_f32_e32 v17, v79, v79
	v_lshlrev_b64 v[24:25], 3, v[4:5]
	v_add_co_u32 v24, vcc_lo, v20, v24
	s_delay_alu instid0(VALU_DEP_2) | instskip(NEXT) | instid1(VALU_DEP_4)
	v_add_co_ci_u32_e32 v25, vcc_lo, v21, v25, vcc_lo
	v_min_f32_e32 v16, v16, v17
	s_delay_alu instid0(VALU_DEP_1) | instskip(SKIP_3) | instid1(SALU_CYCLE_1)
	v_cvt_f64_f32_e32 v[16:17], v16
	global_store_b64 v[24:25], v[16:17], off
	s_or_b32 exec_lo, exec_lo, s11
	s_and_b32 s15, s3, s8
	s_and_saveexec_b32 s11, s15
	s_cbranch_execz .LBB177_301
.LBB177_317:
	v_cmp_ne_u32_e32 vcc_lo, 1, v18
	s_cbranch_vccnz .LBB177_319
; %bb.318:
	v_lshlrev_b64 v[16:17], 3, v[6:7]
	s_delay_alu instid0(VALU_DEP_1) | instskip(NEXT) | instid1(VALU_DEP_2)
	v_add_co_u32 v16, vcc_lo, v22, v16
	v_add_co_ci_u32_e32 v17, vcc_lo, v23, v17, vcc_lo
	flat_load_b64 v[16:17], v[16:17]
	s_waitcnt vmcnt(0) lgkmcnt(0)
	v_mul_f64 v[16:17], s[12:13], v[16:17]
	s_branch .LBB177_320
.LBB177_319:
	v_mov_b32_e32 v16, 0
	v_mov_b32_e32 v17, 0
.LBB177_320:
	s_delay_alu instid0(VALU_DEP_1) | instskip(SKIP_2) | instid1(VALU_DEP_1)
	v_cvt_f32_f64_e32 v16, v[16:17]
	v_max_f32_e32 v17, v78, v78
	v_lshlrev_b64 v[24:25], 3, v[6:7]
	v_add_co_u32 v24, vcc_lo, v20, v24
	s_delay_alu instid0(VALU_DEP_2) | instskip(NEXT) | instid1(VALU_DEP_4)
	v_add_co_ci_u32_e32 v25, vcc_lo, v21, v25, vcc_lo
	v_min_f32_e32 v16, v16, v17
	s_delay_alu instid0(VALU_DEP_1) | instskip(SKIP_3) | instid1(SALU_CYCLE_1)
	v_cvt_f64_f32_e32 v[16:17], v16
	global_store_b64 v[24:25], v[16:17], off
	s_or_b32 exec_lo, exec_lo, s11
	s_and_b32 s15, s4, s8
	s_and_saveexec_b32 s11, s15
	s_cbranch_execz .LBB177_302
.LBB177_321:
	v_cmp_ne_u32_e32 vcc_lo, 1, v18
	s_cbranch_vccnz .LBB177_323
; %bb.322:
	v_lshlrev_b64 v[16:17], 3, v[8:9]
	s_delay_alu instid0(VALU_DEP_1) | instskip(NEXT) | instid1(VALU_DEP_2)
	v_add_co_u32 v16, vcc_lo, v22, v16
	v_add_co_ci_u32_e32 v17, vcc_lo, v23, v17, vcc_lo
	flat_load_b64 v[16:17], v[16:17]
	s_waitcnt vmcnt(0) lgkmcnt(0)
	v_mul_f64 v[16:17], s[12:13], v[16:17]
	s_branch .LBB177_324
.LBB177_323:
	v_mov_b32_e32 v16, 0
	v_mov_b32_e32 v17, 0
.LBB177_324:
	s_delay_alu instid0(VALU_DEP_1) | instskip(SKIP_2) | instid1(VALU_DEP_1)
	v_cvt_f32_f64_e32 v16, v[16:17]
	v_max_f32_e32 v17, v77, v77
	v_lshlrev_b64 v[24:25], 3, v[8:9]
	v_add_co_u32 v24, vcc_lo, v20, v24
	s_delay_alu instid0(VALU_DEP_2) | instskip(NEXT) | instid1(VALU_DEP_4)
	v_add_co_ci_u32_e32 v25, vcc_lo, v21, v25, vcc_lo
	v_min_f32_e32 v16, v16, v17
	s_delay_alu instid0(VALU_DEP_1) | instskip(SKIP_3) | instid1(SALU_CYCLE_1)
	v_cvt_f64_f32_e32 v[16:17], v16
	global_store_b64 v[24:25], v[16:17], off
	s_or_b32 exec_lo, exec_lo, s11
	s_and_b32 s15, s5, s8
	s_and_saveexec_b32 s11, s15
	s_cbranch_execz .LBB177_303
.LBB177_325:
	v_cmp_ne_u32_e32 vcc_lo, 1, v18
	s_cbranch_vccnz .LBB177_327
; %bb.326:
	v_lshlrev_b64 v[16:17], 3, v[10:11]
	s_delay_alu instid0(VALU_DEP_1) | instskip(NEXT) | instid1(VALU_DEP_2)
	v_add_co_u32 v16, vcc_lo, v22, v16
	v_add_co_ci_u32_e32 v17, vcc_lo, v23, v17, vcc_lo
	flat_load_b64 v[16:17], v[16:17]
	s_waitcnt vmcnt(0) lgkmcnt(0)
	v_mul_f64 v[16:17], s[12:13], v[16:17]
	s_branch .LBB177_328
.LBB177_327:
	v_mov_b32_e32 v16, 0
	v_mov_b32_e32 v17, 0
.LBB177_328:
	s_delay_alu instid0(VALU_DEP_1) | instskip(SKIP_2) | instid1(VALU_DEP_1)
	v_cvt_f32_f64_e32 v16, v[16:17]
	v_max_f32_e32 v17, v76, v76
	v_lshlrev_b64 v[24:25], 3, v[10:11]
	v_add_co_u32 v24, vcc_lo, v20, v24
	s_delay_alu instid0(VALU_DEP_2) | instskip(NEXT) | instid1(VALU_DEP_4)
	v_add_co_ci_u32_e32 v25, vcc_lo, v21, v25, vcc_lo
	v_min_f32_e32 v16, v16, v17
	s_delay_alu instid0(VALU_DEP_1) | instskip(SKIP_3) | instid1(SALU_CYCLE_1)
	v_cvt_f64_f32_e32 v[16:17], v16
	global_store_b64 v[24:25], v[16:17], off
	s_or_b32 exec_lo, exec_lo, s11
	s_and_b32 s15, s6, s8
	s_and_saveexec_b32 s11, s15
	s_cbranch_execz .LBB177_304
.LBB177_329:
	v_cmp_ne_u32_e32 vcc_lo, 1, v18
	s_cbranch_vccnz .LBB177_331
; %bb.330:
	v_lshlrev_b64 v[16:17], 3, v[12:13]
	s_delay_alu instid0(VALU_DEP_1) | instskip(NEXT) | instid1(VALU_DEP_2)
	v_add_co_u32 v16, vcc_lo, v22, v16
	v_add_co_ci_u32_e32 v17, vcc_lo, v23, v17, vcc_lo
	flat_load_b64 v[16:17], v[16:17]
	s_waitcnt vmcnt(0) lgkmcnt(0)
	v_mul_f64 v[16:17], s[12:13], v[16:17]
	s_branch .LBB177_332
.LBB177_331:
	v_mov_b32_e32 v16, 0
	v_mov_b32_e32 v17, 0
.LBB177_332:
	s_delay_alu instid0(VALU_DEP_1) | instskip(SKIP_2) | instid1(VALU_DEP_1)
	v_cvt_f32_f64_e32 v16, v[16:17]
	v_max_f32_e32 v17, v75, v75
	v_lshlrev_b64 v[24:25], 3, v[12:13]
	v_add_co_u32 v24, vcc_lo, v20, v24
	s_delay_alu instid0(VALU_DEP_2) | instskip(NEXT) | instid1(VALU_DEP_4)
	v_add_co_ci_u32_e32 v25, vcc_lo, v21, v25, vcc_lo
	v_min_f32_e32 v16, v16, v17
	s_delay_alu instid0(VALU_DEP_1) | instskip(SKIP_3) | instid1(SALU_CYCLE_1)
	v_cvt_f64_f32_e32 v[16:17], v16
	global_store_b64 v[24:25], v[16:17], off
	s_or_b32 exec_lo, exec_lo, s11
	s_and_b32 s11, s7, s8
	s_and_saveexec_b32 s8, s11
	s_cbranch_execz .LBB177_337
.LBB177_333:
	v_cmp_ne_u32_e32 vcc_lo, 1, v18
	s_cbranch_vccnz .LBB177_335
; %bb.334:
	v_lshlrev_b64 v[16:17], 3, v[14:15]
	s_delay_alu instid0(VALU_DEP_1) | instskip(NEXT) | instid1(VALU_DEP_2)
	v_add_co_u32 v16, vcc_lo, v22, v16
	v_add_co_ci_u32_e32 v17, vcc_lo, v23, v17, vcc_lo
	flat_load_b64 v[16:17], v[16:17]
	s_waitcnt vmcnt(0) lgkmcnt(0)
	v_mul_f64 v[16:17], s[12:13], v[16:17]
	s_branch .LBB177_336
.LBB177_335:
	v_mov_b32_e32 v16, 0
	v_mov_b32_e32 v17, 0
.LBB177_336:
	s_delay_alu instid0(VALU_DEP_1) | instskip(SKIP_2) | instid1(VALU_DEP_1)
	v_cvt_f32_f64_e32 v16, v[16:17]
	v_max_f32_e32 v17, v74, v74
	v_lshlrev_b64 v[22:23], 3, v[14:15]
	v_add_co_u32 v20, vcc_lo, v20, v22
	s_delay_alu instid0(VALU_DEP_2) | instskip(NEXT) | instid1(VALU_DEP_4)
	v_add_co_ci_u32_e32 v21, vcc_lo, v21, v23, vcc_lo
	v_min_f32_e32 v16, v16, v17
	s_delay_alu instid0(VALU_DEP_1)
	v_cvt_f64_f32_e32 v[16:17], v16
	global_store_b64 v[20:21], v[16:17], off
.LBB177_337:
	s_or_b32 exec_lo, exec_lo, s8
	v_add_nc_u32_e32 v21, 0xe0, v19
	s_delay_alu instid0(VALU_DEP_1) | instskip(SKIP_2) | instid1(VALU_DEP_3)
	v_mad_i64_i32 v[16:17], null, v21, s18, 0
	v_mad_i64_i32 v[19:20], null, v21, s14, 0
	v_cmp_gt_i32_e64 s8, s17, v21
	v_lshlrev_b64 v[16:17], 3, v[16:17]
	s_delay_alu instid0(VALU_DEP_3) | instskip(NEXT) | instid1(VALU_DEP_2)
	v_lshlrev_b64 v[21:22], 3, v[19:20]
	v_add_co_u32 v19, vcc_lo, s20, v16
	s_delay_alu instid0(VALU_DEP_3) | instskip(NEXT) | instid1(VALU_DEP_3)
	v_add_co_ci_u32_e32 v20, vcc_lo, s21, v17, vcc_lo
	v_add_co_u32 v16, vcc_lo, s9, v21
	s_delay_alu instid0(VALU_DEP_4) | instskip(SKIP_1) | instid1(SALU_CYCLE_1)
	v_add_co_ci_u32_e32 v17, vcc_lo, s10, v22, vcc_lo
	s_and_b32 s9, s0, s8
	s_and_saveexec_b32 s0, s9
	s_cbranch_execnz .LBB177_346
; %bb.338:
	s_or_b32 exec_lo, exec_lo, s0
	s_and_b32 s1, s1, s8
	s_delay_alu instid0(SALU_CYCLE_1)
	s_and_saveexec_b32 s0, s1
	s_cbranch_execnz .LBB177_350
.LBB177_339:
	s_or_b32 exec_lo, exec_lo, s0
	s_and_b32 s1, s2, s8
	s_delay_alu instid0(SALU_CYCLE_1)
	s_and_saveexec_b32 s0, s1
	s_cbranch_execnz .LBB177_354
.LBB177_340:
	s_or_b32 exec_lo, exec_lo, s0
	s_and_b32 s1, s3, s8
	s_delay_alu instid0(SALU_CYCLE_1)
	s_and_saveexec_b32 s0, s1
	s_cbranch_execnz .LBB177_358
.LBB177_341:
	s_or_b32 exec_lo, exec_lo, s0
	s_and_b32 s1, s4, s8
	s_delay_alu instid0(SALU_CYCLE_1)
	s_and_saveexec_b32 s0, s1
	s_cbranch_execnz .LBB177_362
.LBB177_342:
	s_or_b32 exec_lo, exec_lo, s0
	s_and_b32 s1, s5, s8
	s_delay_alu instid0(SALU_CYCLE_1)
	s_and_saveexec_b32 s0, s1
	s_cbranch_execnz .LBB177_366
.LBB177_343:
	s_or_b32 exec_lo, exec_lo, s0
	s_and_b32 s1, s6, s8
	s_delay_alu instid0(SALU_CYCLE_1)
	s_and_saveexec_b32 s0, s1
	s_cbranch_execnz .LBB177_370
.LBB177_344:
	s_or_b32 exec_lo, exec_lo, s0
	s_and_b32 s0, s7, s8
	s_delay_alu instid0(SALU_CYCLE_1)
	s_and_saveexec_b32 s1, s0
	s_cbranch_execnz .LBB177_374
.LBB177_345:
	s_nop 0
	s_sendmsg sendmsg(MSG_DEALLOC_VGPRS)
	s_endpgm
.LBB177_346:
	v_cmp_ne_u32_e32 vcc_lo, 1, v18
	v_lshlrev_b64 v[0:1], 3, v[0:1]
	s_cbranch_vccnz .LBB177_348
; %bb.347:
	s_delay_alu instid0(VALU_DEP_1) | instskip(NEXT) | instid1(VALU_DEP_2)
	v_add_co_u32 v21, vcc_lo, v19, v0
	v_add_co_ci_u32_e32 v22, vcc_lo, v20, v1, vcc_lo
	flat_load_b64 v[21:22], v[21:22]
	s_waitcnt vmcnt(0) lgkmcnt(0)
	v_mul_f64 v[21:22], s[12:13], v[21:22]
	s_delay_alu instid0(VALU_DEP_1)
	v_cvt_f32_f64_e32 v21, v[21:22]
	s_branch .LBB177_349
.LBB177_348:
	v_mov_b32_e32 v21, 0
.LBB177_349:
	v_max_f32_e32 v22, v73, v73
	s_delay_alu instid0(VALU_DEP_2) | instskip(NEXT) | instid1(VALU_DEP_4)
	v_max_f32_e32 v21, v21, v21
	v_add_co_u32 v0, vcc_lo, v16, v0
	v_add_co_ci_u32_e32 v1, vcc_lo, v17, v1, vcc_lo
	s_delay_alu instid0(VALU_DEP_3) | instskip(NEXT) | instid1(VALU_DEP_1)
	v_min_f32_e32 v21, v21, v22
	v_cvt_f64_f32_e32 v[21:22], v21
	global_store_b64 v[0:1], v[21:22], off
	s_or_b32 exec_lo, exec_lo, s0
	s_and_b32 s1, s1, s8
	s_delay_alu instid0(SALU_CYCLE_1)
	s_and_saveexec_b32 s0, s1
	s_cbranch_execz .LBB177_339
.LBB177_350:
	v_cmp_ne_u32_e32 vcc_lo, 1, v18
	v_lshlrev_b64 v[0:1], 3, v[2:3]
	s_cbranch_vccnz .LBB177_352
; %bb.351:
	s_delay_alu instid0(VALU_DEP_1) | instskip(NEXT) | instid1(VALU_DEP_2)
	v_add_co_u32 v2, vcc_lo, v19, v0
	v_add_co_ci_u32_e32 v3, vcc_lo, v20, v1, vcc_lo
	flat_load_b64 v[2:3], v[2:3]
	s_waitcnt vmcnt(0) lgkmcnt(0)
	v_mul_f64 v[2:3], s[12:13], v[2:3]
	s_delay_alu instid0(VALU_DEP_1)
	v_cvt_f32_f64_e32 v2, v[2:3]
	s_branch .LBB177_353
.LBB177_352:
	v_mov_b32_e32 v2, 0
.LBB177_353:
	s_delay_alu instid0(VALU_DEP_1) | instskip(NEXT) | instid1(VALU_DEP_3)
	v_dual_max_f32 v3, v72, v72 :: v_dual_max_f32 v2, v2, v2
	v_add_co_u32 v0, vcc_lo, v16, v0
	s_delay_alu instid0(VALU_DEP_4) | instskip(NEXT) | instid1(VALU_DEP_3)
	v_add_co_ci_u32_e32 v1, vcc_lo, v17, v1, vcc_lo
	v_min_f32_e32 v2, v2, v3
	s_delay_alu instid0(VALU_DEP_1) | instskip(SKIP_3) | instid1(SALU_CYCLE_1)
	v_cvt_f64_f32_e32 v[2:3], v2
	global_store_b64 v[0:1], v[2:3], off
	s_or_b32 exec_lo, exec_lo, s0
	s_and_b32 s1, s2, s8
	s_and_saveexec_b32 s0, s1
	s_cbranch_execz .LBB177_340
.LBB177_354:
	v_cmp_ne_u32_e32 vcc_lo, 1, v18
	v_lshlrev_b64 v[0:1], 3, v[4:5]
	s_cbranch_vccnz .LBB177_356
; %bb.355:
	s_delay_alu instid0(VALU_DEP_1) | instskip(NEXT) | instid1(VALU_DEP_2)
	v_add_co_u32 v2, vcc_lo, v19, v0
	v_add_co_ci_u32_e32 v3, vcc_lo, v20, v1, vcc_lo
	flat_load_b64 v[2:3], v[2:3]
	s_waitcnt vmcnt(0) lgkmcnt(0)
	v_mul_f64 v[2:3], s[12:13], v[2:3]
	s_delay_alu instid0(VALU_DEP_1)
	v_cvt_f32_f64_e32 v2, v[2:3]
	s_branch .LBB177_357
.LBB177_356:
	v_mov_b32_e32 v2, 0
.LBB177_357:
	s_delay_alu instid0(VALU_DEP_1) | instskip(NEXT) | instid1(VALU_DEP_3)
	v_dual_max_f32 v3, v71, v71 :: v_dual_max_f32 v2, v2, v2
	v_add_co_u32 v0, vcc_lo, v16, v0
	s_delay_alu instid0(VALU_DEP_4) | instskip(NEXT) | instid1(VALU_DEP_3)
	v_add_co_ci_u32_e32 v1, vcc_lo, v17, v1, vcc_lo
	v_min_f32_e32 v2, v2, v3
	s_delay_alu instid0(VALU_DEP_1) | instskip(SKIP_3) | instid1(SALU_CYCLE_1)
	v_cvt_f64_f32_e32 v[2:3], v2
	global_store_b64 v[0:1], v[2:3], off
	s_or_b32 exec_lo, exec_lo, s0
	s_and_b32 s1, s3, s8
	s_and_saveexec_b32 s0, s1
	s_cbranch_execz .LBB177_341
.LBB177_358:
	v_cmp_ne_u32_e32 vcc_lo, 1, v18
	v_lshlrev_b64 v[0:1], 3, v[6:7]
	s_cbranch_vccnz .LBB177_360
; %bb.359:
	s_delay_alu instid0(VALU_DEP_1) | instskip(NEXT) | instid1(VALU_DEP_2)
	v_add_co_u32 v2, vcc_lo, v19, v0
	v_add_co_ci_u32_e32 v3, vcc_lo, v20, v1, vcc_lo
	flat_load_b64 v[2:3], v[2:3]
	s_waitcnt vmcnt(0) lgkmcnt(0)
	v_mul_f64 v[2:3], s[12:13], v[2:3]
	s_delay_alu instid0(VALU_DEP_1)
	v_cvt_f32_f64_e32 v2, v[2:3]
	s_branch .LBB177_361
.LBB177_360:
	v_mov_b32_e32 v2, 0
.LBB177_361:
	v_max_f32_e32 v3, v70, v70
	s_delay_alu instid0(VALU_DEP_2) | instskip(NEXT) | instid1(VALU_DEP_4)
	v_max_f32_e32 v2, v2, v2
	v_add_co_u32 v0, vcc_lo, v16, v0
	v_add_co_ci_u32_e32 v1, vcc_lo, v17, v1, vcc_lo
	s_delay_alu instid0(VALU_DEP_3) | instskip(NEXT) | instid1(VALU_DEP_1)
	v_min_f32_e32 v2, v2, v3
	v_cvt_f64_f32_e32 v[2:3], v2
	global_store_b64 v[0:1], v[2:3], off
	s_or_b32 exec_lo, exec_lo, s0
	s_and_b32 s1, s4, s8
	s_delay_alu instid0(SALU_CYCLE_1)
	s_and_saveexec_b32 s0, s1
	s_cbranch_execz .LBB177_342
.LBB177_362:
	v_cmp_ne_u32_e32 vcc_lo, 1, v18
	v_lshlrev_b64 v[0:1], 3, v[8:9]
	s_cbranch_vccnz .LBB177_364
; %bb.363:
	s_delay_alu instid0(VALU_DEP_1) | instskip(NEXT) | instid1(VALU_DEP_2)
	v_add_co_u32 v2, vcc_lo, v19, v0
	v_add_co_ci_u32_e32 v3, vcc_lo, v20, v1, vcc_lo
	flat_load_b64 v[2:3], v[2:3]
	s_waitcnt vmcnt(0) lgkmcnt(0)
	v_mul_f64 v[2:3], s[12:13], v[2:3]
	s_delay_alu instid0(VALU_DEP_1)
	v_cvt_f32_f64_e32 v2, v[2:3]
	s_branch .LBB177_365
.LBB177_364:
	v_mov_b32_e32 v2, 0
.LBB177_365:
	s_delay_alu instid0(VALU_DEP_1) | instskip(NEXT) | instid1(VALU_DEP_3)
	v_dual_max_f32 v3, v69, v69 :: v_dual_max_f32 v2, v2, v2
	v_add_co_u32 v0, vcc_lo, v16, v0
	s_delay_alu instid0(VALU_DEP_4) | instskip(NEXT) | instid1(VALU_DEP_3)
	v_add_co_ci_u32_e32 v1, vcc_lo, v17, v1, vcc_lo
	v_min_f32_e32 v2, v2, v3
	s_delay_alu instid0(VALU_DEP_1) | instskip(SKIP_3) | instid1(SALU_CYCLE_1)
	v_cvt_f64_f32_e32 v[2:3], v2
	global_store_b64 v[0:1], v[2:3], off
	s_or_b32 exec_lo, exec_lo, s0
	s_and_b32 s1, s5, s8
	s_and_saveexec_b32 s0, s1
	s_cbranch_execz .LBB177_343
.LBB177_366:
	v_cmp_ne_u32_e32 vcc_lo, 1, v18
	v_lshlrev_b64 v[0:1], 3, v[10:11]
	s_cbranch_vccnz .LBB177_368
; %bb.367:
	s_delay_alu instid0(VALU_DEP_1) | instskip(NEXT) | instid1(VALU_DEP_2)
	v_add_co_u32 v2, vcc_lo, v19, v0
	v_add_co_ci_u32_e32 v3, vcc_lo, v20, v1, vcc_lo
	flat_load_b64 v[2:3], v[2:3]
	s_waitcnt vmcnt(0) lgkmcnt(0)
	v_mul_f64 v[2:3], s[12:13], v[2:3]
	s_delay_alu instid0(VALU_DEP_1)
	v_cvt_f32_f64_e32 v2, v[2:3]
	s_branch .LBB177_369
.LBB177_368:
	v_mov_b32_e32 v2, 0
.LBB177_369:
	s_delay_alu instid0(VALU_DEP_1) | instskip(NEXT) | instid1(VALU_DEP_3)
	v_dual_max_f32 v3, v68, v68 :: v_dual_max_f32 v2, v2, v2
	v_add_co_u32 v0, vcc_lo, v16, v0
	s_delay_alu instid0(VALU_DEP_4) | instskip(NEXT) | instid1(VALU_DEP_3)
	v_add_co_ci_u32_e32 v1, vcc_lo, v17, v1, vcc_lo
	v_min_f32_e32 v2, v2, v3
	s_delay_alu instid0(VALU_DEP_1) | instskip(SKIP_3) | instid1(SALU_CYCLE_1)
	v_cvt_f64_f32_e32 v[2:3], v2
	global_store_b64 v[0:1], v[2:3], off
	s_or_b32 exec_lo, exec_lo, s0
	s_and_b32 s1, s6, s8
	s_and_saveexec_b32 s0, s1
	s_cbranch_execz .LBB177_344
.LBB177_370:
	v_cmp_ne_u32_e32 vcc_lo, 1, v18
	v_lshlrev_b64 v[0:1], 3, v[12:13]
	s_cbranch_vccnz .LBB177_372
; %bb.371:
	s_delay_alu instid0(VALU_DEP_1) | instskip(NEXT) | instid1(VALU_DEP_2)
	v_add_co_u32 v2, vcc_lo, v19, v0
	v_add_co_ci_u32_e32 v3, vcc_lo, v20, v1, vcc_lo
	flat_load_b64 v[2:3], v[2:3]
	s_waitcnt vmcnt(0) lgkmcnt(0)
	v_mul_f64 v[2:3], s[12:13], v[2:3]
	s_delay_alu instid0(VALU_DEP_1)
	v_cvt_f32_f64_e32 v2, v[2:3]
	s_branch .LBB177_373
.LBB177_372:
	v_mov_b32_e32 v2, 0
.LBB177_373:
	s_delay_alu instid0(VALU_DEP_1) | instskip(NEXT) | instid1(VALU_DEP_3)
	v_dual_max_f32 v3, v67, v67 :: v_dual_max_f32 v2, v2, v2
	v_add_co_u32 v0, vcc_lo, v16, v0
	s_delay_alu instid0(VALU_DEP_4) | instskip(NEXT) | instid1(VALU_DEP_3)
	v_add_co_ci_u32_e32 v1, vcc_lo, v17, v1, vcc_lo
	v_min_f32_e32 v2, v2, v3
	s_delay_alu instid0(VALU_DEP_1) | instskip(SKIP_3) | instid1(SALU_CYCLE_1)
	v_cvt_f64_f32_e32 v[2:3], v2
	global_store_b64 v[0:1], v[2:3], off
	s_or_b32 exec_lo, exec_lo, s0
	s_and_b32 s0, s7, s8
	s_and_saveexec_b32 s1, s0
	s_cbranch_execz .LBB177_345
.LBB177_374:
	v_cmp_ne_u32_e32 vcc_lo, 1, v18
	v_lshlrev_b64 v[0:1], 3, v[14:15]
	s_cbranch_vccnz .LBB177_376
; %bb.375:
	s_delay_alu instid0(VALU_DEP_1) | instskip(NEXT) | instid1(VALU_DEP_2)
	v_add_co_u32 v2, vcc_lo, v19, v0
	v_add_co_ci_u32_e32 v3, vcc_lo, v20, v1, vcc_lo
	flat_load_b64 v[2:3], v[2:3]
	s_waitcnt vmcnt(0) lgkmcnt(0)
	v_mul_f64 v[2:3], s[12:13], v[2:3]
	s_delay_alu instid0(VALU_DEP_1)
	v_cvt_f32_f64_e32 v2, v[2:3]
	s_branch .LBB177_377
.LBB177_376:
	v_mov_b32_e32 v2, 0
.LBB177_377:
	v_max_f32_e32 v3, v66, v66
	s_delay_alu instid0(VALU_DEP_2) | instskip(NEXT) | instid1(VALU_DEP_4)
	v_max_f32_e32 v2, v2, v2
	v_add_co_u32 v0, vcc_lo, v16, v0
	v_add_co_ci_u32_e32 v1, vcc_lo, v17, v1, vcc_lo
	s_delay_alu instid0(VALU_DEP_3) | instskip(NEXT) | instid1(VALU_DEP_1)
	v_min_f32_e32 v2, v2, v3
	v_cvt_f64_f32_e32 v[2:3], v2
	global_store_b64 v[0:1], v[2:3], off
	s_nop 0
	s_sendmsg sendmsg(MSG_DEALLOC_VGPRS)
	s_endpgm
	.section	.rodata,"a",@progbits
	.p2align	6, 0x0
	.amdhsa_kernel _ZN12_GLOBAL__N_120geam_min_plus_kernelId15HIP_vector_typeIdLj2EEdLi8ELi32ELi64ELi256ELi4ELi4ELi64ELi64ELi4ELc84ELc84ELb0ELb1ELb1EPKdS3_dEEviiiT16_PT17_ilS7_ilS5_S7_ilPT18_ili26rocblas_geam_ex_operation_
		.amdhsa_group_segment_fixed_size 20480
		.amdhsa_private_segment_fixed_size 0
		.amdhsa_kernarg_size 136
		.amdhsa_user_sgpr_count 14
		.amdhsa_user_sgpr_dispatch_ptr 0
		.amdhsa_user_sgpr_queue_ptr 0
		.amdhsa_user_sgpr_kernarg_segment_ptr 1
		.amdhsa_user_sgpr_dispatch_id 0
		.amdhsa_user_sgpr_private_segment_size 0
		.amdhsa_wavefront_size32 1
		.amdhsa_uses_dynamic_stack 0
		.amdhsa_enable_private_segment 0
		.amdhsa_system_sgpr_workgroup_id_x 1
		.amdhsa_system_sgpr_workgroup_id_y 0
		.amdhsa_system_sgpr_workgroup_id_z 1
		.amdhsa_system_sgpr_workgroup_info 0
		.amdhsa_system_vgpr_workitem_id 1
		.amdhsa_next_free_vgpr 158
		.amdhsa_next_free_sgpr 34
		.amdhsa_reserve_vcc 1
		.amdhsa_float_round_mode_32 0
		.amdhsa_float_round_mode_16_64 0
		.amdhsa_float_denorm_mode_32 3
		.amdhsa_float_denorm_mode_16_64 3
		.amdhsa_dx10_clamp 1
		.amdhsa_ieee_mode 1
		.amdhsa_fp16_overflow 0
		.amdhsa_workgroup_processor_mode 1
		.amdhsa_memory_ordered 1
		.amdhsa_forward_progress 0
		.amdhsa_shared_vgpr_count 0
		.amdhsa_exception_fp_ieee_invalid_op 0
		.amdhsa_exception_fp_denorm_src 0
		.amdhsa_exception_fp_ieee_div_zero 0
		.amdhsa_exception_fp_ieee_overflow 0
		.amdhsa_exception_fp_ieee_underflow 0
		.amdhsa_exception_fp_ieee_inexact 0
		.amdhsa_exception_int_div_zero 0
	.end_amdhsa_kernel
	.section	.text._ZN12_GLOBAL__N_120geam_min_plus_kernelId15HIP_vector_typeIdLj2EEdLi8ELi32ELi64ELi256ELi4ELi4ELi64ELi64ELi4ELc84ELc84ELb0ELb1ELb1EPKdS3_dEEviiiT16_PT17_ilS7_ilS5_S7_ilPT18_ili26rocblas_geam_ex_operation_,"axG",@progbits,_ZN12_GLOBAL__N_120geam_min_plus_kernelId15HIP_vector_typeIdLj2EEdLi8ELi32ELi64ELi256ELi4ELi4ELi64ELi64ELi4ELc84ELc84ELb0ELb1ELb1EPKdS3_dEEviiiT16_PT17_ilS7_ilS5_S7_ilPT18_ili26rocblas_geam_ex_operation_,comdat
.Lfunc_end177:
	.size	_ZN12_GLOBAL__N_120geam_min_plus_kernelId15HIP_vector_typeIdLj2EEdLi8ELi32ELi64ELi256ELi4ELi4ELi64ELi64ELi4ELc84ELc84ELb0ELb1ELb1EPKdS3_dEEviiiT16_PT17_ilS7_ilS5_S7_ilPT18_ili26rocblas_geam_ex_operation_, .Lfunc_end177-_ZN12_GLOBAL__N_120geam_min_plus_kernelId15HIP_vector_typeIdLj2EEdLi8ELi32ELi64ELi256ELi4ELi4ELi64ELi64ELi4ELc84ELc84ELb0ELb1ELb1EPKdS3_dEEviiiT16_PT17_ilS7_ilS5_S7_ilPT18_ili26rocblas_geam_ex_operation_
                                        ; -- End function
	.section	.AMDGPU.csdata,"",@progbits
; Kernel info:
; codeLenInByte = 24408
; NumSgprs: 36
; NumVgprs: 158
; ScratchSize: 0
; MemoryBound: 0
; FloatMode: 240
; IeeeMode: 1
; LDSByteSize: 20480 bytes/workgroup (compile time only)
; SGPRBlocks: 4
; VGPRBlocks: 19
; NumSGPRsForWavesPerEU: 36
; NumVGPRsForWavesPerEU: 158
; Occupancy: 9
; WaveLimiterHint : 0
; COMPUTE_PGM_RSRC2:SCRATCH_EN: 0
; COMPUTE_PGM_RSRC2:USER_SGPR: 14
; COMPUTE_PGM_RSRC2:TRAP_HANDLER: 0
; COMPUTE_PGM_RSRC2:TGID_X_EN: 1
; COMPUTE_PGM_RSRC2:TGID_Y_EN: 0
; COMPUTE_PGM_RSRC2:TGID_Z_EN: 1
; COMPUTE_PGM_RSRC2:TIDIG_COMP_CNT: 1
	.section	.text._ZN12_GLOBAL__N_120geam_min_plus_kernelId15HIP_vector_typeIdLj2EEdLi8ELi32ELi64ELi256ELi4ELi4ELi64ELi64ELi4ELc84ELc84ELb1ELb1ELb1EdKddEEviiiT16_PT17_ilS6_ilS4_S6_ilPT18_ili26rocblas_geam_ex_operation_,"axG",@progbits,_ZN12_GLOBAL__N_120geam_min_plus_kernelId15HIP_vector_typeIdLj2EEdLi8ELi32ELi64ELi256ELi4ELi4ELi64ELi64ELi4ELc84ELc84ELb1ELb1ELb1EdKddEEviiiT16_PT17_ilS6_ilS4_S6_ilPT18_ili26rocblas_geam_ex_operation_,comdat
	.globl	_ZN12_GLOBAL__N_120geam_min_plus_kernelId15HIP_vector_typeIdLj2EEdLi8ELi32ELi64ELi256ELi4ELi4ELi64ELi64ELi4ELc84ELc84ELb1ELb1ELb1EdKddEEviiiT16_PT17_ilS6_ilS4_S6_ilPT18_ili26rocblas_geam_ex_operation_ ; -- Begin function _ZN12_GLOBAL__N_120geam_min_plus_kernelId15HIP_vector_typeIdLj2EEdLi8ELi32ELi64ELi256ELi4ELi4ELi64ELi64ELi4ELc84ELc84ELb1ELb1ELb1EdKddEEviiiT16_PT17_ilS6_ilS4_S6_ilPT18_ili26rocblas_geam_ex_operation_
	.p2align	8
	.type	_ZN12_GLOBAL__N_120geam_min_plus_kernelId15HIP_vector_typeIdLj2EEdLi8ELi32ELi64ELi256ELi4ELi4ELi64ELi64ELi4ELc84ELc84ELb1ELb1ELb1EdKddEEviiiT16_PT17_ilS6_ilS4_S6_ilPT18_ili26rocblas_geam_ex_operation_,@function
_ZN12_GLOBAL__N_120geam_min_plus_kernelId15HIP_vector_typeIdLj2EEdLi8ELi32ELi64ELi256ELi4ELi4ELi64ELi64ELi4ELc84ELc84ELb1ELb1ELb1EdKddEEviiiT16_PT17_ilS6_ilS4_S6_ilPT18_ili26rocblas_geam_ex_operation_: ; @_ZN12_GLOBAL__N_120geam_min_plus_kernelId15HIP_vector_typeIdLj2EEdLi8ELi32ELi64ELi256ELi4ELi4ELi64ELi64ELi4ELc84ELc84ELb1ELb1ELb1EdKddEEviiiT16_PT17_ilS6_ilS4_S6_ilPT18_ili26rocblas_geam_ex_operation_
; %bb.0:
	s_clause 0x1
	s_load_b128 s[8:11], s[0:1], 0x10
	s_load_b128 s[4:7], s[0:1], 0x28
	s_mov_b64 s[26:27], 0
	s_waitcnt lgkmcnt(0)
	v_cmp_eq_f64_e64 s12, s[8:9], 0
	s_delay_alu instid0(VALU_DEP_1)
	s_and_b32 vcc_lo, exec_lo, s12
	s_cbranch_vccnz .LBB178_2
; %bb.1:
	s_mul_i32 s2, s15, s5
	s_mul_hi_u32 s3, s15, s4
	s_delay_alu instid0(SALU_CYCLE_1) | instskip(SKIP_1) | instid1(SALU_CYCLE_1)
	s_add_i32 s3, s3, s2
	s_mul_i32 s2, s15, s4
	s_lshl_b64 s[2:3], s[2:3], 3
	s_delay_alu instid0(SALU_CYCLE_1)
	s_add_u32 s26, s10, s2
	s_addc_u32 s27, s11, s3
.LBB178_2:
	s_clause 0x1
	s_load_b128 s[8:11], s[0:1], 0x40
	s_load_b64 s[2:3], s[0:1], 0x50
	s_and_not1_b32 vcc_lo, exec_lo, s12
	s_cbranch_vccnz .LBB178_4
; %bb.3:
	s_mov_b32 s28, 0
	s_mov_b64 s[24:25], 0
	s_cbranch_execz .LBB178_5
	s_branch .LBB178_6
.LBB178_4:
	s_mov_b32 s28, -1
                                        ; implicit-def: $sgpr24_sgpr25
.LBB178_5:
	s_waitcnt lgkmcnt(0)
	s_mul_i32 s4, s15, s9
	s_mul_hi_u32 s5, s15, s8
	s_mov_b32 s28, 0
	s_add_i32 s5, s5, s4
	s_mul_i32 s4, s15, s8
	s_delay_alu instid0(SALU_CYCLE_1) | instskip(NEXT) | instid1(SALU_CYCLE_1)
	s_lshl_b64 s[4:5], s[4:5], 3
	s_add_u32 s24, s6, s4
	s_addc_u32 s25, s7, s5
.LBB178_6:
	s_waitcnt lgkmcnt(0)
	v_cmp_eq_f64_e64 s4, s[10:11], 0
	v_cmp_neq_f64_e64 s29, s[10:11], 0
	s_load_b128 s[20:23], s[0:1], 0x60
	s_mov_b64 s[12:13], 0
	s_delay_alu instid0(VALU_DEP_2)
	s_and_b32 vcc_lo, exec_lo, s4
	s_cbranch_vccnz .LBB178_8
; %bb.7:
	s_waitcnt lgkmcnt(0)
	s_mul_i32 s4, s15, s21
	s_mul_hi_u32 s5, s15, s20
	s_mul_i32 s6, s28, s20
	s_add_i32 s4, s5, s4
	s_delay_alu instid0(SALU_CYCLE_1) | instskip(SKIP_1) | instid1(SALU_CYCLE_1)
	s_add_i32 s5, s4, s6
	s_mul_i32 s4, s15, s20
	s_lshl_b64 s[4:5], s[4:5], 3
	s_delay_alu instid0(SALU_CYCLE_1)
	s_add_u32 s12, s2, s4
	s_addc_u32 s13, s3, s5
.LBB178_8:
	s_clause 0x1
	s_load_b128 s[16:19], s[0:1], 0x0
	s_load_b32 s31, s[0:1], 0x20
	v_and_b32_e32 v122, 0x3ff, v0
	v_bfe_u32 v123, v0, 10, 10
	s_delay_alu instid0(VALU_DEP_1) | instskip(NEXT) | instid1(VALU_DEP_1)
	v_lshl_add_u32 v2, v123, 3, v122
	v_lshrrev_b32_e32 v10, 2, v2
	s_waitcnt lgkmcnt(0)
	s_add_i32 s2, s16, -1
	s_delay_alu instid0(SALU_CYCLE_1) | instskip(NEXT) | instid1(SALU_CYCLE_1)
	s_ashr_i32 s3, s2, 31
	s_lshr_b32 s3, s3, 26
	s_delay_alu instid0(SALU_CYCLE_1) | instskip(NEXT) | instid1(SALU_CYCLE_1)
	s_add_i32 s2, s2, s3
	s_ashr_i32 s2, s2, 6
	s_delay_alu instid0(SALU_CYCLE_1) | instskip(SKIP_2) | instid1(VALU_DEP_1)
	s_add_i32 s4, s2, 1
	s_not_b32 s2, s2
	v_cvt_f32_u32_e32 v1, s4
	v_rcp_iflag_f32_e32 v1, v1
	s_waitcnt_depctr 0xfff
	v_mul_f32_e32 v1, 0x4f7ffffe, v1
	s_delay_alu instid0(VALU_DEP_1) | instskip(NEXT) | instid1(VALU_DEP_1)
	v_cvt_u32_f32_e32 v1, v1
	v_readfirstlane_b32 s3, v1
	s_delay_alu instid0(VALU_DEP_1) | instskip(NEXT) | instid1(SALU_CYCLE_1)
	s_mul_i32 s2, s2, s3
	s_mul_hi_u32 s2, s3, s2
	s_delay_alu instid0(SALU_CYCLE_1) | instskip(NEXT) | instid1(SALU_CYCLE_1)
	s_add_i32 s3, s3, s2
	s_mul_hi_u32 s2, s14, s3
	s_delay_alu instid0(SALU_CYCLE_1) | instskip(SKIP_2) | instid1(SALU_CYCLE_1)
	s_mul_i32 s3, s2, s4
	s_add_i32 s5, s2, 1
	s_sub_i32 s3, s14, s3
	s_sub_i32 s6, s3, s4
	s_cmp_ge_u32 s3, s4
	s_cselect_b32 s2, s5, s2
	s_cselect_b32 s3, s6, s3
	s_add_i32 s5, s2, 1
	s_cmp_ge_u32 s3, s4
	s_cselect_b32 s3, s5, s2
	s_delay_alu instid0(SALU_CYCLE_1)
	s_mul_i32 s2, s3, s4
	s_mov_b32 s4, -1
	s_sub_i32 s2, s14, s2
	s_mov_b32 s5, 0x7fefffff
	s_lshl_b32 s14, s2, 6
	v_mov_b32_e32 v0, s4
	v_dual_mov_b32 v1, s5 :: v_dual_add_nc_u32 v64, s14, v10
	v_and_b32_e32 v132, 3, v122
	s_delay_alu instid0(VALU_DEP_2) | instskip(NEXT) | instid1(VALU_DEP_2)
	v_cmp_le_i32_e32 vcc_lo, s16, v64
	v_lshlrev_b32_e32 v11, 3, v132
	v_cmp_gt_i32_e64 s2, s18, v132
	s_xor_b32 s20, vcc_lo, -1
	s_delay_alu instid0(VALU_DEP_1) | instid1(SALU_CYCLE_1)
	s_and_b32 s6, s2, s20
	s_delay_alu instid0(SALU_CYCLE_1)
	s_and_saveexec_b32 s2, s6
	s_cbranch_execz .LBB178_10
; %bb.9:
	v_mad_i64_i32 v[0:1], null, v64, s31, 0
	s_delay_alu instid0(VALU_DEP_1) | instskip(NEXT) | instid1(VALU_DEP_1)
	v_lshlrev_b64 v[0:1], 3, v[0:1]
	v_add_co_u32 v0, vcc_lo, s26, v0
	s_delay_alu instid0(VALU_DEP_2) | instskip(NEXT) | instid1(VALU_DEP_2)
	v_add_co_ci_u32_e32 v1, vcc_lo, s27, v1, vcc_lo
	v_add_co_u32 v0, vcc_lo, v0, v11
	s_delay_alu instid0(VALU_DEP_2)
	v_add_co_ci_u32_e32 v1, vcc_lo, 0, v1, vcc_lo
	flat_load_b64 v[0:1], v[0:1]
.LBB178_10:
	s_or_b32 exec_lo, exec_lo, s2
	s_load_b32 s21, s[0:1], 0x38
	v_lshrrev_b32_e32 v133, 6, v2
	v_and_b32_e32 v65, 63, v2
	s_lshl_b32 s19, s3, 8
	s_delay_alu instid0(VALU_DEP_2) | instskip(SKIP_2) | instid1(VALU_DEP_1)
	v_cmp_le_i32_e32 vcc_lo, s18, v133
	s_waitcnt lgkmcnt(0)
	v_mad_i64_i32 v[3:4], null, s21, v133, 0
	v_lshlrev_b64 v[4:5], 3, v[3:4]
	v_mov_b32_e32 v2, s4
	v_or_b32_e32 v52, s19, v65
	v_mov_b32_e32 v3, s5
	s_delay_alu instid0(VALU_DEP_4) | instskip(NEXT) | instid1(VALU_DEP_3)
	v_add_co_u32 v12, s3, s24, v4
	v_cmp_le_i32_e64 s2, s17, v52
	v_add_co_ci_u32_e64 v13, s3, s25, v5, s3
	v_ashrrev_i32_e32 v53, 31, v52
	s_delay_alu instid0(VALU_DEP_3) | instskip(NEXT) | instid1(SALU_CYCLE_1)
	s_or_b32 s3, s2, vcc_lo
	s_xor_b32 s3, s3, -1
	s_delay_alu instid0(SALU_CYCLE_1)
	s_and_saveexec_b32 s4, s3
	s_cbranch_execz .LBB178_12
; %bb.11:
	v_lshlrev_b64 v[2:3], 3, v[52:53]
	s_delay_alu instid0(VALU_DEP_1) | instskip(NEXT) | instid1(VALU_DEP_1)
	v_add_co_u32 v2, s3, v12, v2
	v_add_co_ci_u32_e64 v3, s3, v13, v3, s3
	flat_load_b64 v[2:3], v[2:3]
.LBB178_12:
	s_or_b32 exec_lo, exec_lo, s4
	v_or_b32_e32 v4, 64, v52
	s_mov_b32 s6, -1
	s_mov_b32 s7, 0x7fefffff
	s_delay_alu instid0(VALU_DEP_1) | instskip(SKIP_1) | instid1(VALU_DEP_2)
	v_cmp_le_i32_e64 s3, s17, v4
	v_dual_mov_b32 v4, s6 :: v_dual_mov_b32 v5, s7
	s_or_b32 s4, s3, vcc_lo
	s_delay_alu instid0(SALU_CYCLE_1) | instskip(NEXT) | instid1(SALU_CYCLE_1)
	s_xor_b32 s4, s4, -1
	s_and_saveexec_b32 s5, s4
	s_cbranch_execz .LBB178_14
; %bb.13:
	v_lshlrev_b64 v[4:5], 3, v[52:53]
	s_delay_alu instid0(VALU_DEP_1) | instskip(NEXT) | instid1(VALU_DEP_1)
	v_add_co_u32 v4, s4, v12, v4
	v_add_co_ci_u32_e64 v5, s4, v13, v5, s4
	flat_load_b64 v[4:5], v[4:5] offset:512
.LBB178_14:
	s_or_b32 exec_lo, exec_lo, s5
	v_or_b32_e32 v6, 0x80, v52
	s_ashr_i32 s30, s21, 31
	s_delay_alu instid0(VALU_DEP_1) | instskip(SKIP_1) | instid1(VALU_DEP_2)
	v_cmp_le_i32_e64 s4, s17, v6
	v_dual_mov_b32 v6, s6 :: v_dual_mov_b32 v7, s7
	s_or_b32 s5, s4, vcc_lo
	s_delay_alu instid0(SALU_CYCLE_1) | instskip(NEXT) | instid1(SALU_CYCLE_1)
	s_xor_b32 s5, s5, -1
	s_and_saveexec_b32 s6, s5
	s_cbranch_execz .LBB178_16
; %bb.15:
	v_lshlrev_b64 v[6:7], 3, v[52:53]
	s_delay_alu instid0(VALU_DEP_1) | instskip(NEXT) | instid1(VALU_DEP_1)
	v_add_co_u32 v6, s5, v12, v6
	v_add_co_ci_u32_e64 v7, s5, v13, v7, s5
	flat_load_b64 v[6:7], v[6:7] offset:1024
.LBB178_16:
	s_or_b32 exec_lo, exec_lo, s6
	v_or_b32_e32 v8, 0xc0, v52
	s_mov_b32 s6, -1
	s_mov_b32 s7, 0x7fefffff
	s_delay_alu instid0(VALU_DEP_1) | instskip(SKIP_1) | instid1(VALU_DEP_2)
	v_cmp_le_i32_e64 s5, s17, v8
	v_dual_mov_b32 v9, s7 :: v_dual_mov_b32 v8, s6
	s_or_b32 s8, s5, vcc_lo
	s_delay_alu instid0(SALU_CYCLE_1) | instskip(NEXT) | instid1(SALU_CYCLE_1)
	s_xor_b32 s9, s8, -1
	s_and_saveexec_b32 s8, s9
	s_cbranch_execz .LBB178_18
; %bb.17:
	v_lshlrev_b64 v[8:9], 3, v[52:53]
	s_delay_alu instid0(VALU_DEP_1) | instskip(NEXT) | instid1(VALU_DEP_2)
	v_add_co_u32 v8, vcc_lo, v12, v8
	v_add_co_ci_u32_e32 v9, vcc_lo, v13, v9, vcc_lo
	flat_load_b64 v[8:9], v[8:9] offset:1536
.LBB178_18:
	s_or_b32 exec_lo, exec_lo, s8
	v_or_b32_e32 v12, 4, v132
	v_dual_mov_b32 v55, s7 :: v_dual_mov_b32 v54, s6
	s_delay_alu instid0(VALU_DEP_2) | instskip(SKIP_1) | instid1(SALU_CYCLE_1)
	v_cmp_gt_i32_e32 vcc_lo, s18, v12
	s_and_b32 s7, vcc_lo, s20
	s_and_saveexec_b32 s6, s7
	s_cbranch_execz .LBB178_20
; %bb.19:
	v_mad_i64_i32 v[12:13], null, v64, s31, 0
	s_delay_alu instid0(VALU_DEP_1) | instskip(NEXT) | instid1(VALU_DEP_1)
	v_lshlrev_b64 v[12:13], 3, v[12:13]
	v_add_co_u32 v12, vcc_lo, s26, v12
	s_delay_alu instid0(VALU_DEP_2) | instskip(NEXT) | instid1(VALU_DEP_2)
	v_add_co_ci_u32_e32 v13, vcc_lo, s27, v13, vcc_lo
	v_add_co_u32 v12, vcc_lo, v12, v11
	s_delay_alu instid0(VALU_DEP_2)
	v_add_co_ci_u32_e32 v13, vcc_lo, 0, v13, vcc_lo
	flat_load_b64 v[54:55], v[12:13] offset:32
.LBB178_20:
	s_or_b32 exec_lo, exec_lo, s6
	s_mov_b32 s8, -1
	s_mov_b32 s9, 0x7fefffff
	s_delay_alu instid0(SALU_CYCLE_1) | instskip(SKIP_1) | instid1(VALU_DEP_2)
	v_dual_mov_b32 v57, s9 :: v_dual_add_nc_u32 v14, 4, v133
	v_mov_b32_e32 v56, s8
	v_mad_i64_i32 v[12:13], null, s21, v14, 0
	v_cmp_le_i32_e32 vcc_lo, s18, v14
	s_delay_alu instid0(VALU_DEP_2) | instskip(NEXT) | instid1(VALU_DEP_1)
	v_lshlrev_b64 v[12:13], 3, v[12:13]
	v_add_co_u32 v12, s6, s24, v12
	s_delay_alu instid0(VALU_DEP_1) | instskip(SKIP_1) | instid1(SALU_CYCLE_1)
	v_add_co_ci_u32_e64 v13, s6, s25, v13, s6
	s_or_b32 s6, s2, vcc_lo
	s_xor_b32 s6, s6, -1
	s_delay_alu instid0(SALU_CYCLE_1)
	s_and_saveexec_b32 s7, s6
	s_cbranch_execz .LBB178_22
; %bb.21:
	v_lshlrev_b64 v[14:15], 3, v[52:53]
	s_delay_alu instid0(VALU_DEP_1) | instskip(NEXT) | instid1(VALU_DEP_1)
	v_add_co_u32 v14, s6, v12, v14
	v_add_co_ci_u32_e64 v15, s6, v13, v15, s6
	flat_load_b64 v[56:57], v[14:15]
.LBB178_22:
	s_or_b32 exec_lo, exec_lo, s7
	v_dual_mov_b32 v59, s9 :: v_dual_mov_b32 v58, s8
	s_or_b32 s6, s3, vcc_lo
	s_delay_alu instid0(SALU_CYCLE_1) | instskip(NEXT) | instid1(SALU_CYCLE_1)
	s_xor_b32 s6, s6, -1
	s_and_saveexec_b32 s7, s6
	s_cbranch_execz .LBB178_24
; %bb.23:
	v_lshlrev_b64 v[14:15], 3, v[52:53]
	s_delay_alu instid0(VALU_DEP_1) | instskip(NEXT) | instid1(VALU_DEP_1)
	v_add_co_u32 v14, s6, v12, v14
	v_add_co_ci_u32_e64 v15, s6, v13, v15, s6
	flat_load_b64 v[58:59], v[14:15] offset:512
.LBB178_24:
	s_or_b32 exec_lo, exec_lo, s7
	v_dual_mov_b32 v61, s9 :: v_dual_mov_b32 v60, s8
	s_or_b32 s6, s4, vcc_lo
	s_delay_alu instid0(SALU_CYCLE_1) | instskip(NEXT) | instid1(SALU_CYCLE_1)
	s_xor_b32 s6, s6, -1
	s_and_saveexec_b32 s7, s6
	s_cbranch_execz .LBB178_26
; %bb.25:
	v_lshlrev_b64 v[14:15], 3, v[52:53]
	s_delay_alu instid0(VALU_DEP_1) | instskip(NEXT) | instid1(VALU_DEP_1)
	v_add_co_u32 v14, s6, v12, v14
	v_add_co_ci_u32_e64 v15, s6, v13, v15, s6
	flat_load_b64 v[60:61], v[14:15] offset:1024
.LBB178_26:
	s_or_b32 exec_lo, exec_lo, s7
	v_dual_mov_b32 v63, s9 :: v_dual_mov_b32 v62, s8
	s_or_b32 s6, s5, vcc_lo
	s_delay_alu instid0(SALU_CYCLE_1) | instskip(NEXT) | instid1(SALU_CYCLE_1)
	s_xor_b32 s7, s6, -1
	s_and_saveexec_b32 s6, s7
	s_cbranch_execz .LBB178_28
; %bb.27:
	v_lshlrev_b64 v[14:15], 3, v[52:53]
	s_delay_alu instid0(VALU_DEP_1) | instskip(NEXT) | instid1(VALU_DEP_2)
	v_add_co_u32 v12, vcc_lo, v12, v14
	v_add_co_ci_u32_e32 v13, vcc_lo, v13, v15, vcc_lo
	flat_load_b64 v[62:63], v[12:13] offset:1536
.LBB178_28:
	s_or_b32 exec_lo, exec_lo, s6
	v_dual_mov_b32 v67, 0x7f800000 :: v_dual_lshlrev_b32 v12, 3, v133
	v_lshl_or_b32 v136, v10, 5, v11
	v_dual_mov_b32 v66, 0x7f800000 :: v_dual_mov_b32 v69, 0x7f800000
	s_delay_alu instid0(VALU_DEP_3) | instskip(SKIP_1) | instid1(VALU_DEP_4)
	v_lshl_add_u32 v134, v65, 5, v12
	v_dual_mov_b32 v68, 0x7f800000 :: v_dual_mov_b32 v71, 0x7f800000
	v_add_nc_u32_e32 v135, 0x4000, v136
	v_dual_mov_b32 v70, 0x7f800000 :: v_dual_mov_b32 v73, 0x7f800000
	v_dual_mov_b32 v72, 0x7f800000 :: v_dual_mov_b32 v75, 0x7f800000
	;; [unrolled: 1-line block ×29, first 2 shown]
	v_mov_b32_e32 v130, 0x7f800000
	s_mov_b32 s7, 0
	s_mov_b32 s6, -1
	s_waitcnt vmcnt(0)
	ds_store_b64 v136, v[0:1] offset:16384
	s_waitcnt lgkmcnt(1)
	ds_store_2addr_stride64_b64 v134, v[2:3], v[4:5] offset1:4
	ds_store_2addr_stride64_b64 v134, v[6:7], v[8:9] offset0:8 offset1:12
	s_waitcnt lgkmcnt(0)
	s_barrier
	buffer_gl0_inv
.LBB178_29:                             ; =>This Inner Loop Header: Depth=1
	s_lshl_b32 s7, s7, 3
	s_and_not1_b32 vcc_lo, exec_lo, s6
	v_lshl_add_u32 v0, v122, 5, s7
	v_lshl_add_u32 v16, v123, 5, s7
	s_mov_b32 s7, 2
	s_mov_b32 s6, 0
	ds_load_b128 v[32:35], v0 offset:16384
	ds_load_b128 v[28:31], v0 offset:16640
	;; [unrolled: 1-line block ×8, first 2 shown]
	ds_load_b128 v[137:140], v16
	ds_load_b128 v[141:144], v16 offset:1024
	ds_load_b128 v[145:148], v16 offset:2048
	;; [unrolled: 1-line block ×7, first 2 shown]
	s_waitcnt lgkmcnt(7)
	v_add_f64 v[149:150], v[34:35], v[139:140]
	v_add_f64 v[151:152], v[32:33], v[137:138]
	s_delay_alu instid0(VALU_DEP_2) | instskip(NEXT) | instid1(VALU_DEP_2)
	v_cvt_f32_f64_e32 v149, v[149:150]
	v_cvt_f32_f64_e32 v151, v[151:152]
	s_delay_alu instid0(VALU_DEP_1) | instskip(SKIP_2) | instid1(VALU_DEP_2)
	v_min3_f32 v131, v151, v149, v131
	v_add_f64 v[149:150], v[30:31], v[139:140]
	v_add_f64 v[151:152], v[28:29], v[137:138]
	v_cvt_f32_f64_e32 v149, v[149:150]
	s_delay_alu instid0(VALU_DEP_2) | instskip(NEXT) | instid1(VALU_DEP_1)
	v_cvt_f32_f64_e32 v151, v[151:152]
	v_min3_f32 v130, v151, v149, v130
	v_add_f64 v[149:150], v[26:27], v[139:140]
	v_add_f64 v[151:152], v[24:25], v[137:138]
	s_delay_alu instid0(VALU_DEP_2) | instskip(NEXT) | instid1(VALU_DEP_2)
	v_cvt_f32_f64_e32 v149, v[149:150]
	v_cvt_f32_f64_e32 v151, v[151:152]
	s_delay_alu instid0(VALU_DEP_1) | instskip(SKIP_2) | instid1(VALU_DEP_2)
	v_min3_f32 v129, v151, v149, v129
	v_add_f64 v[149:150], v[22:23], v[139:140]
	v_add_f64 v[151:152], v[20:21], v[137:138]
	v_cvt_f32_f64_e32 v149, v[149:150]
	s_delay_alu instid0(VALU_DEP_2) | instskip(NEXT) | instid1(VALU_DEP_1)
	v_cvt_f32_f64_e32 v151, v[151:152]
	v_min3_f32 v128, v151, v149, v128
	;; [unrolled: 13-line block ×3, first 2 shown]
	v_add_f64 v[149:150], v[6:7], v[139:140]
	v_add_f64 v[151:152], v[4:5], v[137:138]
	;; [unrolled: 1-line block ×4, first 2 shown]
	s_delay_alu instid0(VALU_DEP_4) | instskip(NEXT) | instid1(VALU_DEP_4)
	v_cvt_f32_f64_e32 v149, v[149:150]
	v_cvt_f32_f64_e32 v151, v[151:152]
	s_delay_alu instid0(VALU_DEP_3) | instskip(SKIP_3) | instid1(VALU_DEP_4)
	v_cvt_f32_f64_e32 v137, v[137:138]
	v_cvt_f32_f64_e32 v138, v[139:140]
	s_waitcnt lgkmcnt(6)
	v_add_f64 v[139:140], v[32:33], v[141:142]
	v_min3_f32 v125, v151, v149, v125
	s_delay_alu instid0(VALU_DEP_3) | instskip(SKIP_1) | instid1(VALU_DEP_4)
	v_min3_f32 v124, v137, v138, v124
	v_add_f64 v[137:138], v[34:35], v[143:144]
	v_cvt_f32_f64_e32 v139, v[139:140]
	s_delay_alu instid0(VALU_DEP_2) | instskip(NEXT) | instid1(VALU_DEP_1)
	v_cvt_f32_f64_e32 v137, v[137:138]
	v_min3_f32 v121, v139, v137, v121
	v_add_f64 v[137:138], v[30:31], v[143:144]
	v_add_f64 v[139:140], v[28:29], v[141:142]
	s_delay_alu instid0(VALU_DEP_2) | instskip(NEXT) | instid1(VALU_DEP_2)
	v_cvt_f32_f64_e32 v137, v[137:138]
	v_cvt_f32_f64_e32 v139, v[139:140]
	s_delay_alu instid0(VALU_DEP_1) | instskip(SKIP_2) | instid1(VALU_DEP_2)
	v_min3_f32 v120, v139, v137, v120
	v_add_f64 v[137:138], v[26:27], v[143:144]
	v_add_f64 v[139:140], v[24:25], v[141:142]
	v_cvt_f32_f64_e32 v137, v[137:138]
	s_delay_alu instid0(VALU_DEP_2) | instskip(NEXT) | instid1(VALU_DEP_1)
	v_cvt_f32_f64_e32 v139, v[139:140]
	v_min3_f32 v119, v139, v137, v119
	v_add_f64 v[137:138], v[22:23], v[143:144]
	v_add_f64 v[139:140], v[20:21], v[141:142]
	s_delay_alu instid0(VALU_DEP_2) | instskip(NEXT) | instid1(VALU_DEP_2)
	v_cvt_f32_f64_e32 v137, v[137:138]
	v_cvt_f32_f64_e32 v139, v[139:140]
	s_delay_alu instid0(VALU_DEP_1) | instskip(SKIP_2) | instid1(VALU_DEP_2)
	v_min3_f32 v118, v139, v137, v118
	v_add_f64 v[137:138], v[14:15], v[143:144]
	v_add_f64 v[139:140], v[12:13], v[141:142]
	v_cvt_f32_f64_e32 v137, v[137:138]
	s_delay_alu instid0(VALU_DEP_2) | instskip(NEXT) | instid1(VALU_DEP_1)
	v_cvt_f32_f64_e32 v139, v[139:140]
	v_min3_f32 v117, v139, v137, v117
	v_add_f64 v[137:138], v[10:11], v[143:144]
	v_add_f64 v[139:140], v[8:9], v[141:142]
	s_delay_alu instid0(VALU_DEP_2) | instskip(NEXT) | instid1(VALU_DEP_2)
	v_cvt_f32_f64_e32 v137, v[137:138]
	v_cvt_f32_f64_e32 v139, v[139:140]
	s_delay_alu instid0(VALU_DEP_1) | instskip(SKIP_2) | instid1(VALU_DEP_2)
	v_min3_f32 v116, v139, v137, v116
	v_add_f64 v[137:138], v[6:7], v[143:144]
	v_add_f64 v[139:140], v[4:5], v[141:142]
	v_cvt_f32_f64_e32 v137, v[137:138]
	s_delay_alu instid0(VALU_DEP_2) | instskip(NEXT) | instid1(VALU_DEP_1)
	v_cvt_f32_f64_e32 v139, v[139:140]
	v_min3_f32 v115, v139, v137, v115
	v_add_f64 v[137:138], v[2:3], v[143:144]
	v_add_f64 v[139:140], v[0:1], v[141:142]
	s_delay_alu instid0(VALU_DEP_2) | instskip(NEXT) | instid1(VALU_DEP_2)
	v_cvt_f32_f64_e32 v137, v[137:138]
	v_cvt_f32_f64_e32 v139, v[139:140]
	s_delay_alu instid0(VALU_DEP_1) | instskip(SKIP_3) | instid1(VALU_DEP_2)
	v_min3_f32 v114, v139, v137, v114
	s_waitcnt lgkmcnt(5)
	v_add_f64 v[137:138], v[34:35], v[147:148]
	v_add_f64 v[139:140], v[32:33], v[145:146]
	v_cvt_f32_f64_e32 v137, v[137:138]
	s_delay_alu instid0(VALU_DEP_2) | instskip(NEXT) | instid1(VALU_DEP_1)
	v_cvt_f32_f64_e32 v139, v[139:140]
	v_min3_f32 v113, v139, v137, v113
	v_add_f64 v[137:138], v[30:31], v[147:148]
	v_add_f64 v[139:140], v[28:29], v[145:146]
	s_delay_alu instid0(VALU_DEP_2) | instskip(NEXT) | instid1(VALU_DEP_2)
	v_cvt_f32_f64_e32 v137, v[137:138]
	v_cvt_f32_f64_e32 v139, v[139:140]
	s_delay_alu instid0(VALU_DEP_1) | instskip(SKIP_2) | instid1(VALU_DEP_2)
	v_min3_f32 v112, v139, v137, v112
	v_add_f64 v[137:138], v[26:27], v[147:148]
	v_add_f64 v[139:140], v[24:25], v[145:146]
	v_cvt_f32_f64_e32 v137, v[137:138]
	s_delay_alu instid0(VALU_DEP_2) | instskip(NEXT) | instid1(VALU_DEP_1)
	v_cvt_f32_f64_e32 v139, v[139:140]
	v_min3_f32 v111, v139, v137, v111
	v_add_f64 v[137:138], v[22:23], v[147:148]
	v_add_f64 v[139:140], v[20:21], v[145:146]
	s_delay_alu instid0(VALU_DEP_2) | instskip(NEXT) | instid1(VALU_DEP_2)
	v_cvt_f32_f64_e32 v137, v[137:138]
	v_cvt_f32_f64_e32 v139, v[139:140]
	s_delay_alu instid0(VALU_DEP_1) | instskip(SKIP_2) | instid1(VALU_DEP_2)
	v_min3_f32 v110, v139, v137, v110
	;; [unrolled: 13-line block ×3, first 2 shown]
	v_add_f64 v[137:138], v[6:7], v[147:148]
	v_add_f64 v[139:140], v[4:5], v[145:146]
	v_cvt_f32_f64_e32 v137, v[137:138]
	s_delay_alu instid0(VALU_DEP_2) | instskip(NEXT) | instid1(VALU_DEP_1)
	v_cvt_f32_f64_e32 v139, v[139:140]
	v_min3_f32 v107, v139, v137, v107
	v_add_f64 v[137:138], v[2:3], v[147:148]
	v_add_f64 v[139:140], v[0:1], v[145:146]
	s_delay_alu instid0(VALU_DEP_2) | instskip(NEXT) | instid1(VALU_DEP_2)
	v_cvt_f32_f64_e32 v137, v[137:138]
	v_cvt_f32_f64_e32 v139, v[139:140]
	s_delay_alu instid0(VALU_DEP_1) | instskip(SKIP_3) | instid1(VALU_DEP_2)
	v_min3_f32 v106, v139, v137, v106
	s_waitcnt lgkmcnt(4)
	v_add_f64 v[137:138], v[34:35], v[50:51]
	v_add_f64 v[139:140], v[32:33], v[48:49]
	v_cvt_f32_f64_e32 v137, v[137:138]
	s_delay_alu instid0(VALU_DEP_2) | instskip(NEXT) | instid1(VALU_DEP_1)
	v_cvt_f32_f64_e32 v139, v[139:140]
	v_min3_f32 v105, v139, v137, v105
	v_add_f64 v[137:138], v[30:31], v[50:51]
	v_add_f64 v[139:140], v[28:29], v[48:49]
	s_delay_alu instid0(VALU_DEP_2) | instskip(NEXT) | instid1(VALU_DEP_2)
	v_cvt_f32_f64_e32 v137, v[137:138]
	v_cvt_f32_f64_e32 v139, v[139:140]
	s_delay_alu instid0(VALU_DEP_1) | instskip(SKIP_2) | instid1(VALU_DEP_2)
	v_min3_f32 v104, v139, v137, v104
	v_add_f64 v[137:138], v[26:27], v[50:51]
	v_add_f64 v[139:140], v[24:25], v[48:49]
	v_cvt_f32_f64_e32 v137, v[137:138]
	s_delay_alu instid0(VALU_DEP_2) | instskip(NEXT) | instid1(VALU_DEP_1)
	v_cvt_f32_f64_e32 v139, v[139:140]
	v_min3_f32 v103, v139, v137, v103
	v_add_f64 v[137:138], v[22:23], v[50:51]
	v_add_f64 v[139:140], v[20:21], v[48:49]
	s_delay_alu instid0(VALU_DEP_2) | instskip(NEXT) | instid1(VALU_DEP_2)
	v_cvt_f32_f64_e32 v137, v[137:138]
	v_cvt_f32_f64_e32 v139, v[139:140]
	s_delay_alu instid0(VALU_DEP_1) | instskip(SKIP_2) | instid1(VALU_DEP_2)
	v_min3_f32 v102, v139, v137, v102
	v_add_f64 v[137:138], v[14:15], v[50:51]
	v_add_f64 v[139:140], v[12:13], v[48:49]
	v_cvt_f32_f64_e32 v137, v[137:138]
	s_delay_alu instid0(VALU_DEP_2) | instskip(NEXT) | instid1(VALU_DEP_1)
	v_cvt_f32_f64_e32 v139, v[139:140]
	v_min3_f32 v101, v139, v137, v101
	v_add_f64 v[137:138], v[10:11], v[50:51]
	v_add_f64 v[139:140], v[8:9], v[48:49]
	s_delay_alu instid0(VALU_DEP_2) | instskip(NEXT) | instid1(VALU_DEP_2)
	v_cvt_f32_f64_e32 v137, v[137:138]
	v_cvt_f32_f64_e32 v139, v[139:140]
	s_delay_alu instid0(VALU_DEP_1) | instskip(SKIP_4) | instid1(VALU_DEP_4)
	v_min3_f32 v100, v139, v137, v100
	v_add_f64 v[137:138], v[6:7], v[50:51]
	v_add_f64 v[139:140], v[4:5], v[48:49]
	;; [unrolled: 1-line block ×4, first 2 shown]
	v_cvt_f32_f64_e32 v137, v[137:138]
	s_delay_alu instid0(VALU_DEP_4) | instskip(NEXT) | instid1(VALU_DEP_3)
	v_cvt_f32_f64_e32 v139, v[139:140]
	v_cvt_f32_f64_e32 v48, v[48:49]
	;; [unrolled: 1-line block ×3, first 2 shown]
	s_waitcnt lgkmcnt(3)
	v_add_f64 v[50:51], v[32:33], v[44:45]
	s_delay_alu instid0(VALU_DEP_4) | instskip(NEXT) | instid1(VALU_DEP_3)
	v_min3_f32 v99, v139, v137, v99
	v_min3_f32 v98, v48, v49, v98
	v_add_f64 v[48:49], v[34:35], v[46:47]
	s_delay_alu instid0(VALU_DEP_4) | instskip(NEXT) | instid1(VALU_DEP_2)
	v_cvt_f32_f64_e32 v50, v[50:51]
	v_cvt_f32_f64_e32 v48, v[48:49]
	s_delay_alu instid0(VALU_DEP_1) | instskip(SKIP_2) | instid1(VALU_DEP_2)
	v_min3_f32 v97, v50, v48, v97
	v_add_f64 v[48:49], v[30:31], v[46:47]
	v_add_f64 v[50:51], v[28:29], v[44:45]
	v_cvt_f32_f64_e32 v48, v[48:49]
	s_delay_alu instid0(VALU_DEP_2) | instskip(NEXT) | instid1(VALU_DEP_1)
	v_cvt_f32_f64_e32 v50, v[50:51]
	v_min3_f32 v96, v50, v48, v96
	v_add_f64 v[48:49], v[26:27], v[46:47]
	v_add_f64 v[50:51], v[24:25], v[44:45]
	s_delay_alu instid0(VALU_DEP_2) | instskip(NEXT) | instid1(VALU_DEP_2)
	v_cvt_f32_f64_e32 v48, v[48:49]
	v_cvt_f32_f64_e32 v50, v[50:51]
	s_delay_alu instid0(VALU_DEP_1) | instskip(SKIP_2) | instid1(VALU_DEP_2)
	v_min3_f32 v95, v50, v48, v95
	v_add_f64 v[48:49], v[22:23], v[46:47]
	v_add_f64 v[50:51], v[20:21], v[44:45]
	v_cvt_f32_f64_e32 v48, v[48:49]
	s_delay_alu instid0(VALU_DEP_2) | instskip(NEXT) | instid1(VALU_DEP_1)
	v_cvt_f32_f64_e32 v50, v[50:51]
	v_min3_f32 v94, v50, v48, v94
	v_add_f64 v[48:49], v[14:15], v[46:47]
	v_add_f64 v[50:51], v[12:13], v[44:45]
	s_delay_alu instid0(VALU_DEP_2) | instskip(NEXT) | instid1(VALU_DEP_2)
	v_cvt_f32_f64_e32 v48, v[48:49]
	v_cvt_f32_f64_e32 v50, v[50:51]
	s_delay_alu instid0(VALU_DEP_1) | instskip(SKIP_2) | instid1(VALU_DEP_2)
	v_min3_f32 v93, v50, v48, v93
	v_add_f64 v[48:49], v[10:11], v[46:47]
	v_add_f64 v[50:51], v[8:9], v[44:45]
	v_cvt_f32_f64_e32 v48, v[48:49]
	s_delay_alu instid0(VALU_DEP_2) | instskip(NEXT) | instid1(VALU_DEP_1)
	v_cvt_f32_f64_e32 v50, v[50:51]
	v_min3_f32 v92, v50, v48, v92
	v_add_f64 v[48:49], v[6:7], v[46:47]
	v_add_f64 v[50:51], v[4:5], v[44:45]
	;; [unrolled: 1-line block ×4, first 2 shown]
	s_delay_alu instid0(VALU_DEP_4) | instskip(NEXT) | instid1(VALU_DEP_4)
	v_cvt_f32_f64_e32 v48, v[48:49]
	v_cvt_f32_f64_e32 v50, v[50:51]
	s_delay_alu instid0(VALU_DEP_3) | instskip(SKIP_3) | instid1(VALU_DEP_4)
	v_cvt_f32_f64_e32 v44, v[44:45]
	v_cvt_f32_f64_e32 v45, v[46:47]
	s_waitcnt lgkmcnt(2)
	v_add_f64 v[46:47], v[32:33], v[40:41]
	v_min3_f32 v91, v50, v48, v91
	s_delay_alu instid0(VALU_DEP_3) | instskip(SKIP_1) | instid1(VALU_DEP_4)
	v_min3_f32 v90, v44, v45, v90
	v_add_f64 v[44:45], v[34:35], v[42:43]
	v_cvt_f32_f64_e32 v46, v[46:47]
	s_delay_alu instid0(VALU_DEP_2) | instskip(NEXT) | instid1(VALU_DEP_1)
	v_cvt_f32_f64_e32 v44, v[44:45]
	v_min3_f32 v89, v46, v44, v89
	v_add_f64 v[44:45], v[30:31], v[42:43]
	v_add_f64 v[46:47], v[28:29], v[40:41]
	s_delay_alu instid0(VALU_DEP_2) | instskip(NEXT) | instid1(VALU_DEP_2)
	v_cvt_f32_f64_e32 v44, v[44:45]
	v_cvt_f32_f64_e32 v46, v[46:47]
	s_delay_alu instid0(VALU_DEP_1) | instskip(SKIP_2) | instid1(VALU_DEP_2)
	v_min3_f32 v88, v46, v44, v88
	v_add_f64 v[44:45], v[26:27], v[42:43]
	v_add_f64 v[46:47], v[24:25], v[40:41]
	v_cvt_f32_f64_e32 v44, v[44:45]
	s_delay_alu instid0(VALU_DEP_2) | instskip(NEXT) | instid1(VALU_DEP_1)
	v_cvt_f32_f64_e32 v46, v[46:47]
	v_min3_f32 v87, v46, v44, v87
	v_add_f64 v[44:45], v[22:23], v[42:43]
	v_add_f64 v[46:47], v[20:21], v[40:41]
	s_delay_alu instid0(VALU_DEP_2) | instskip(NEXT) | instid1(VALU_DEP_2)
	v_cvt_f32_f64_e32 v44, v[44:45]
	v_cvt_f32_f64_e32 v46, v[46:47]
	s_delay_alu instid0(VALU_DEP_1) | instskip(SKIP_2) | instid1(VALU_DEP_2)
	v_min3_f32 v86, v46, v44, v86
	v_add_f64 v[44:45], v[14:15], v[42:43]
	v_add_f64 v[46:47], v[12:13], v[40:41]
	v_cvt_f32_f64_e32 v44, v[44:45]
	s_delay_alu instid0(VALU_DEP_2) | instskip(NEXT) | instid1(VALU_DEP_1)
	v_cvt_f32_f64_e32 v46, v[46:47]
	v_min3_f32 v85, v46, v44, v85
	v_add_f64 v[44:45], v[10:11], v[42:43]
	v_add_f64 v[46:47], v[8:9], v[40:41]
	s_delay_alu instid0(VALU_DEP_2) | instskip(NEXT) | instid1(VALU_DEP_2)
	v_cvt_f32_f64_e32 v44, v[44:45]
	v_cvt_f32_f64_e32 v46, v[46:47]
	s_delay_alu instid0(VALU_DEP_1) | instskip(SKIP_4) | instid1(VALU_DEP_4)
	v_min3_f32 v84, v46, v44, v84
	v_add_f64 v[44:45], v[6:7], v[42:43]
	v_add_f64 v[46:47], v[4:5], v[40:41]
	;; [unrolled: 1-line block ×4, first 2 shown]
	v_cvt_f32_f64_e32 v44, v[44:45]
	s_delay_alu instid0(VALU_DEP_4) | instskip(NEXT) | instid1(VALU_DEP_3)
	v_cvt_f32_f64_e32 v46, v[46:47]
	v_cvt_f32_f64_e32 v40, v[40:41]
	;; [unrolled: 1-line block ×3, first 2 shown]
	s_waitcnt lgkmcnt(1)
	v_add_f64 v[42:43], v[32:33], v[36:37]
	s_waitcnt lgkmcnt(0)
	v_add_f64 v[32:33], v[32:33], v[16:17]
	v_min3_f32 v83, v46, v44, v83
	s_delay_alu instid0(VALU_DEP_4) | instskip(SKIP_4) | instid1(VALU_DEP_4)
	v_min3_f32 v82, v40, v41, v82
	v_add_f64 v[40:41], v[34:35], v[38:39]
	v_cvt_f32_f64_e32 v42, v[42:43]
	v_add_f64 v[34:35], v[34:35], v[18:19]
	v_cvt_f32_f64_e32 v32, v[32:33]
	v_cvt_f32_f64_e32 v40, v[40:41]
	s_delay_alu instid0(VALU_DEP_3) | instskip(NEXT) | instid1(VALU_DEP_2)
	v_cvt_f32_f64_e32 v33, v[34:35]
	v_min3_f32 v81, v42, v40, v81
	v_add_f64 v[40:41], v[30:31], v[38:39]
	v_add_f64 v[42:43], v[28:29], v[36:37]
	v_add_f64 v[30:31], v[30:31], v[18:19]
	v_add_f64 v[28:29], v[28:29], v[16:17]
	v_min3_f32 v73, v32, v33, v73
	v_cvt_f32_f64_e32 v40, v[40:41]
	v_cvt_f32_f64_e32 v42, v[42:43]
	s_delay_alu instid0(VALU_DEP_4) | instskip(SKIP_1) | instid1(VALU_DEP_3)
	v_cvt_f32_f64_e32 v28, v[28:29]
	v_cvt_f32_f64_e32 v29, v[30:31]
	v_min3_f32 v80, v42, v40, v80
	v_add_f64 v[40:41], v[26:27], v[38:39]
	v_add_f64 v[42:43], v[24:25], v[36:37]
	v_add_f64 v[26:27], v[26:27], v[18:19]
	v_add_f64 v[24:25], v[24:25], v[16:17]
	v_min3_f32 v72, v28, v29, v72
	v_cvt_f32_f64_e32 v40, v[40:41]
	v_cvt_f32_f64_e32 v42, v[42:43]
	s_delay_alu instid0(VALU_DEP_4) | instskip(SKIP_1) | instid1(VALU_DEP_3)
	v_cvt_f32_f64_e32 v24, v[24:25]
	v_cvt_f32_f64_e32 v25, v[26:27]
	v_min3_f32 v79, v42, v40, v79
	v_add_f64 v[40:41], v[22:23], v[38:39]
	v_add_f64 v[42:43], v[20:21], v[36:37]
	v_add_f64 v[22:23], v[22:23], v[18:19]
	v_add_f64 v[20:21], v[20:21], v[16:17]
	v_min3_f32 v71, v24, v25, v71
	v_cvt_f32_f64_e32 v40, v[40:41]
	v_cvt_f32_f64_e32 v42, v[42:43]
	s_delay_alu instid0(VALU_DEP_4) | instskip(SKIP_1) | instid1(VALU_DEP_3)
	v_cvt_f32_f64_e32 v20, v[20:21]
	v_cvt_f32_f64_e32 v21, v[22:23]
	v_min3_f32 v78, v42, v40, v78
	v_add_f64 v[40:41], v[14:15], v[38:39]
	v_add_f64 v[42:43], v[12:13], v[36:37]
	v_add_f64 v[14:15], v[14:15], v[18:19]
	v_add_f64 v[12:13], v[12:13], v[16:17]
	v_min3_f32 v70, v20, v21, v70
	v_cvt_f32_f64_e32 v40, v[40:41]
	v_cvt_f32_f64_e32 v42, v[42:43]
	s_delay_alu instid0(VALU_DEP_4) | instskip(SKIP_1) | instid1(VALU_DEP_3)
	v_cvt_f32_f64_e32 v12, v[12:13]
	v_cvt_f32_f64_e32 v13, v[14:15]
	v_min3_f32 v77, v42, v40, v77
	v_add_f64 v[40:41], v[10:11], v[38:39]
	v_add_f64 v[42:43], v[8:9], v[36:37]
	v_add_f64 v[10:11], v[10:11], v[18:19]
	v_add_f64 v[8:9], v[8:9], v[16:17]
	v_min3_f32 v69, v12, v13, v69
	v_cvt_f32_f64_e32 v40, v[40:41]
	v_cvt_f32_f64_e32 v42, v[42:43]
	s_delay_alu instid0(VALU_DEP_4) | instskip(SKIP_1) | instid1(VALU_DEP_3)
	v_cvt_f32_f64_e32 v8, v[8:9]
	v_cvt_f32_f64_e32 v9, v[10:11]
	v_min3_f32 v76, v42, v40, v76
	v_add_f64 v[40:41], v[6:7], v[38:39]
	v_add_f64 v[42:43], v[4:5], v[36:37]
	;; [unrolled: 1-line block ×8, first 2 shown]
	v_min3_f32 v68, v8, v9, v68
	v_cvt_f32_f64_e32 v40, v[40:41]
	v_cvt_f32_f64_e32 v42, v[42:43]
	;; [unrolled: 1-line block ×8, first 2 shown]
	v_min3_f32 v75, v42, v40, v75
	v_min3_f32 v74, v36, v37, v74
	;; [unrolled: 1-line block ×3, first 2 shown]
	s_delay_alu instid0(VALU_DEP_4)
	v_min3_f32 v66, v0, v1, v66
	s_cbranch_vccz .LBB178_29
; %bb.30:
	v_lshlrev_b32_e32 v0, 5, v65
	s_mov_b32 s7, 8
	s_cmp_gt_i32 s18, 8
	ds_store_b64 v136, v[54:55] offset:18432
	v_lshl_add_u32 v0, v133, 3, v0
	ds_store_2addr_stride64_b64 v0, v[56:57], v[58:59] offset0:16 offset1:20
	ds_store_2addr_stride64_b64 v0, v[60:61], v[62:63] offset0:24 offset1:28
	s_waitcnt lgkmcnt(0)
	s_barrier
	buffer_gl0_inv
	s_cbranch_scc0 .LBB178_57
; %bb.31:
	v_mad_i64_i32 v[1:2], null, v64, s31, 0
	v_lshlrev_b64 v[52:53], 3, v[52:53]
	v_dual_mov_b32 v55, 0 :: v_dual_add_nc_u32 v136, 0x4800, v136
	v_or_b32_e32 v137, 0x2000, v0
	s_mov_b32 s8, -1
	s_mov_b32 s9, 0x7fefffff
	s_delay_alu instid0(VALU_DEP_4) | instskip(NEXT) | instid1(VALU_DEP_1)
	v_lshlrev_b64 v[1:2], 3, v[1:2]
	v_add_co_u32 v138, vcc_lo, s26, v1
	s_delay_alu instid0(VALU_DEP_2) | instskip(SKIP_1) | instid1(VALU_DEP_2)
	v_add_co_ci_u32_e32 v139, vcc_lo, s27, v2, vcc_lo
	s_add_i32 s26, s18, -8
	v_add_co_u32 v140, vcc_lo, v138, 32
	s_delay_alu instid0(VALU_DEP_2)
	v_add_co_ci_u32_e32 v141, vcc_lo, 0, v139, vcc_lo
	s_mov_b32 s27, 0
.LBB178_32:                             ; =>This Loop Header: Depth=1
                                        ;     Child Loop BB178_43 Depth 2
                                        ;     Child Loop BB178_55 Depth 2
	v_or_b32_e32 v54, s7, v132
	v_dual_mov_b32 v57, s9 :: v_dual_mov_b32 v56, s8
	s_delay_alu instid0(VALU_DEP_2) | instskip(SKIP_1) | instid1(SALU_CYCLE_1)
	v_cmp_gt_i32_e32 vcc_lo, s18, v54
	s_and_b32 s31, vcc_lo, s20
	s_and_saveexec_b32 s6, s31
	s_cbranch_execz .LBB178_34
; %bb.33:                               ;   in Loop: Header=BB178_32 Depth=1
	v_lshlrev_b64 v[0:1], 3, v[54:55]
	s_delay_alu instid0(VALU_DEP_1) | instskip(NEXT) | instid1(VALU_DEP_2)
	v_add_co_u32 v0, vcc_lo, v138, v0
	v_add_co_ci_u32_e32 v1, vcc_lo, v139, v1, vcc_lo
	flat_load_b64 v[56:57], v[0:1]
.LBB178_34:                             ;   in Loop: Header=BB178_32 Depth=1
	s_or_b32 exec_lo, exec_lo, s6
	v_dual_mov_b32 v59, s9 :: v_dual_add_nc_u32 v4, s7, v133
	v_mov_b32_e32 v58, s8
	s_delay_alu instid0(VALU_DEP_2) | instskip(NEXT) | instid1(VALU_DEP_1)
	v_mad_u64_u32 v[0:1], null, v4, s21, 0
	v_mad_u64_u32 v[2:3], null, v4, s30, v[1:2]
	s_delay_alu instid0(VALU_DEP_1) | instskip(SKIP_1) | instid1(VALU_DEP_2)
	v_mov_b32_e32 v1, v2
	v_cmp_le_i32_e32 vcc_lo, s18, v4
	v_lshlrev_b64 v[0:1], 3, v[0:1]
	s_delay_alu instid0(VALU_DEP_1) | instskip(NEXT) | instid1(VALU_DEP_1)
	v_add_co_u32 v0, s6, s24, v0
	v_add_co_ci_u32_e64 v1, s6, s25, v1, s6
	s_or_b32 s6, s2, vcc_lo
	s_delay_alu instid0(SALU_CYCLE_1) | instskip(NEXT) | instid1(SALU_CYCLE_1)
	s_xor_b32 s6, s6, -1
	s_and_saveexec_b32 s31, s6
	s_cbranch_execz .LBB178_36
; %bb.35:                               ;   in Loop: Header=BB178_32 Depth=1
	v_add_co_u32 v2, s6, v0, v52
	s_delay_alu instid0(VALU_DEP_1)
	v_add_co_ci_u32_e64 v3, s6, v1, v53, s6
	flat_load_b64 v[58:59], v[2:3]
.LBB178_36:                             ;   in Loop: Header=BB178_32 Depth=1
	s_or_b32 exec_lo, exec_lo, s31
	v_dual_mov_b32 v61, s9 :: v_dual_mov_b32 v60, s8
	s_or_b32 s6, s3, vcc_lo
	s_delay_alu instid0(SALU_CYCLE_1) | instskip(NEXT) | instid1(SALU_CYCLE_1)
	s_xor_b32 s6, s6, -1
	s_and_saveexec_b32 s31, s6
	s_cbranch_execz .LBB178_38
; %bb.37:                               ;   in Loop: Header=BB178_32 Depth=1
	v_add_co_u32 v2, s6, v0, v52
	s_delay_alu instid0(VALU_DEP_1)
	v_add_co_ci_u32_e64 v3, s6, v1, v53, s6
	flat_load_b64 v[60:61], v[2:3] offset:512
.LBB178_38:                             ;   in Loop: Header=BB178_32 Depth=1
	s_or_b32 exec_lo, exec_lo, s31
	v_dual_mov_b32 v63, s9 :: v_dual_mov_b32 v62, s8
	s_or_b32 s6, s4, vcc_lo
	s_delay_alu instid0(SALU_CYCLE_1) | instskip(NEXT) | instid1(SALU_CYCLE_1)
	s_xor_b32 s6, s6, -1
	s_and_saveexec_b32 s31, s6
	s_cbranch_execz .LBB178_40
; %bb.39:                               ;   in Loop: Header=BB178_32 Depth=1
	v_add_co_u32 v2, s6, v0, v52
	s_delay_alu instid0(VALU_DEP_1)
	v_add_co_ci_u32_e64 v3, s6, v1, v53, s6
	flat_load_b64 v[62:63], v[2:3] offset:1024
.LBB178_40:                             ;   in Loop: Header=BB178_32 Depth=1
	s_or_b32 exec_lo, exec_lo, s31
	v_dual_mov_b32 v65, s9 :: v_dual_mov_b32 v64, s8
	s_or_b32 s6, s5, vcc_lo
	s_delay_alu instid0(SALU_CYCLE_1) | instskip(NEXT) | instid1(SALU_CYCLE_1)
	s_xor_b32 s31, s6, -1
	s_and_saveexec_b32 s6, s31
	s_cbranch_execz .LBB178_42
; %bb.41:                               ;   in Loop: Header=BB178_32 Depth=1
	v_add_co_u32 v0, vcc_lo, v0, v52
	v_add_co_ci_u32_e32 v1, vcc_lo, v1, v53, vcc_lo
	flat_load_b64 v[64:65], v[0:1] offset:1536
.LBB178_42:                             ;   in Loop: Header=BB178_32 Depth=1
	s_or_b32 exec_lo, exec_lo, s6
	s_mov_b32 s31, 0
	s_mov_b32 s6, -1
.LBB178_43:                             ;   Parent Loop BB178_32 Depth=1
                                        ; =>  This Inner Loop Header: Depth=2
	s_lshl_b32 s31, s31, 3
	s_and_not1_b32 vcc_lo, exec_lo, s6
	v_lshl_add_u32 v0, v122, 5, s31
	v_lshl_add_u32 v16, v123, 5, s31
	s_mov_b32 s31, 2
	s_mov_b32 s6, 0
	ds_load_b128 v[32:35], v0 offset:18432
	ds_load_b128 v[28:31], v0 offset:18688
	;; [unrolled: 1-line block ×16, first 2 shown]
	s_waitcnt lgkmcnt(7)
	v_add_f64 v[154:155], v[34:35], v[144:145]
	v_add_f64 v[156:157], v[32:33], v[142:143]
	s_delay_alu instid0(VALU_DEP_2) | instskip(NEXT) | instid1(VALU_DEP_2)
	v_cvt_f32_f64_e32 v154, v[154:155]
	v_cvt_f32_f64_e32 v156, v[156:157]
	s_delay_alu instid0(VALU_DEP_1) | instskip(SKIP_2) | instid1(VALU_DEP_2)
	v_min3_f32 v131, v156, v154, v131
	v_add_f64 v[154:155], v[30:31], v[144:145]
	v_add_f64 v[156:157], v[28:29], v[142:143]
	v_cvt_f32_f64_e32 v154, v[154:155]
	s_delay_alu instid0(VALU_DEP_2) | instskip(NEXT) | instid1(VALU_DEP_1)
	v_cvt_f32_f64_e32 v156, v[156:157]
	v_min3_f32 v130, v156, v154, v130
	v_add_f64 v[154:155], v[26:27], v[144:145]
	v_add_f64 v[156:157], v[24:25], v[142:143]
	s_delay_alu instid0(VALU_DEP_2) | instskip(NEXT) | instid1(VALU_DEP_2)
	v_cvt_f32_f64_e32 v154, v[154:155]
	v_cvt_f32_f64_e32 v156, v[156:157]
	s_delay_alu instid0(VALU_DEP_1) | instskip(SKIP_2) | instid1(VALU_DEP_2)
	v_min3_f32 v129, v156, v154, v129
	v_add_f64 v[154:155], v[22:23], v[144:145]
	v_add_f64 v[156:157], v[20:21], v[142:143]
	v_cvt_f32_f64_e32 v154, v[154:155]
	s_delay_alu instid0(VALU_DEP_2) | instskip(NEXT) | instid1(VALU_DEP_1)
	v_cvt_f32_f64_e32 v156, v[156:157]
	v_min3_f32 v128, v156, v154, v128
	;; [unrolled: 13-line block ×3, first 2 shown]
	v_add_f64 v[154:155], v[6:7], v[144:145]
	v_add_f64 v[156:157], v[4:5], v[142:143]
	;; [unrolled: 1-line block ×4, first 2 shown]
	s_delay_alu instid0(VALU_DEP_4) | instskip(NEXT) | instid1(VALU_DEP_4)
	v_cvt_f32_f64_e32 v154, v[154:155]
	v_cvt_f32_f64_e32 v156, v[156:157]
	s_delay_alu instid0(VALU_DEP_3) | instskip(SKIP_3) | instid1(VALU_DEP_4)
	v_cvt_f32_f64_e32 v142, v[142:143]
	v_cvt_f32_f64_e32 v143, v[144:145]
	s_waitcnt lgkmcnt(6)
	v_add_f64 v[144:145], v[32:33], v[146:147]
	v_min3_f32 v125, v156, v154, v125
	s_delay_alu instid0(VALU_DEP_3) | instskip(SKIP_1) | instid1(VALU_DEP_4)
	v_min3_f32 v124, v142, v143, v124
	v_add_f64 v[142:143], v[34:35], v[148:149]
	v_cvt_f32_f64_e32 v144, v[144:145]
	s_delay_alu instid0(VALU_DEP_2) | instskip(NEXT) | instid1(VALU_DEP_1)
	v_cvt_f32_f64_e32 v142, v[142:143]
	v_min3_f32 v121, v144, v142, v121
	v_add_f64 v[142:143], v[30:31], v[148:149]
	v_add_f64 v[144:145], v[28:29], v[146:147]
	s_delay_alu instid0(VALU_DEP_2) | instskip(NEXT) | instid1(VALU_DEP_2)
	v_cvt_f32_f64_e32 v142, v[142:143]
	v_cvt_f32_f64_e32 v144, v[144:145]
	s_delay_alu instid0(VALU_DEP_1) | instskip(SKIP_2) | instid1(VALU_DEP_2)
	v_min3_f32 v120, v144, v142, v120
	v_add_f64 v[142:143], v[26:27], v[148:149]
	v_add_f64 v[144:145], v[24:25], v[146:147]
	v_cvt_f32_f64_e32 v142, v[142:143]
	s_delay_alu instid0(VALU_DEP_2) | instskip(NEXT) | instid1(VALU_DEP_1)
	v_cvt_f32_f64_e32 v144, v[144:145]
	v_min3_f32 v119, v144, v142, v119
	v_add_f64 v[142:143], v[22:23], v[148:149]
	v_add_f64 v[144:145], v[20:21], v[146:147]
	s_delay_alu instid0(VALU_DEP_2) | instskip(NEXT) | instid1(VALU_DEP_2)
	v_cvt_f32_f64_e32 v142, v[142:143]
	v_cvt_f32_f64_e32 v144, v[144:145]
	s_delay_alu instid0(VALU_DEP_1) | instskip(SKIP_2) | instid1(VALU_DEP_2)
	v_min3_f32 v118, v144, v142, v118
	v_add_f64 v[142:143], v[14:15], v[148:149]
	;; [unrolled: 13-line block ×3, first 2 shown]
	v_add_f64 v[144:145], v[4:5], v[146:147]
	v_cvt_f32_f64_e32 v142, v[142:143]
	s_delay_alu instid0(VALU_DEP_2) | instskip(NEXT) | instid1(VALU_DEP_1)
	v_cvt_f32_f64_e32 v144, v[144:145]
	v_min3_f32 v115, v144, v142, v115
	v_add_f64 v[142:143], v[2:3], v[148:149]
	v_add_f64 v[144:145], v[0:1], v[146:147]
	s_delay_alu instid0(VALU_DEP_2) | instskip(NEXT) | instid1(VALU_DEP_2)
	v_cvt_f32_f64_e32 v142, v[142:143]
	v_cvt_f32_f64_e32 v144, v[144:145]
	s_delay_alu instid0(VALU_DEP_1) | instskip(SKIP_3) | instid1(VALU_DEP_2)
	v_min3_f32 v114, v144, v142, v114
	s_waitcnt lgkmcnt(5)
	v_add_f64 v[142:143], v[34:35], v[152:153]
	v_add_f64 v[144:145], v[32:33], v[150:151]
	v_cvt_f32_f64_e32 v142, v[142:143]
	s_delay_alu instid0(VALU_DEP_2) | instskip(NEXT) | instid1(VALU_DEP_1)
	v_cvt_f32_f64_e32 v144, v[144:145]
	v_min3_f32 v113, v144, v142, v113
	v_add_f64 v[142:143], v[30:31], v[152:153]
	v_add_f64 v[144:145], v[28:29], v[150:151]
	s_delay_alu instid0(VALU_DEP_2) | instskip(NEXT) | instid1(VALU_DEP_2)
	v_cvt_f32_f64_e32 v142, v[142:143]
	v_cvt_f32_f64_e32 v144, v[144:145]
	s_delay_alu instid0(VALU_DEP_1) | instskip(SKIP_2) | instid1(VALU_DEP_2)
	v_min3_f32 v112, v144, v142, v112
	v_add_f64 v[142:143], v[26:27], v[152:153]
	v_add_f64 v[144:145], v[24:25], v[150:151]
	v_cvt_f32_f64_e32 v142, v[142:143]
	s_delay_alu instid0(VALU_DEP_2) | instskip(NEXT) | instid1(VALU_DEP_1)
	v_cvt_f32_f64_e32 v144, v[144:145]
	v_min3_f32 v111, v144, v142, v111
	v_add_f64 v[142:143], v[22:23], v[152:153]
	v_add_f64 v[144:145], v[20:21], v[150:151]
	s_delay_alu instid0(VALU_DEP_2) | instskip(NEXT) | instid1(VALU_DEP_2)
	v_cvt_f32_f64_e32 v142, v[142:143]
	v_cvt_f32_f64_e32 v144, v[144:145]
	s_delay_alu instid0(VALU_DEP_1) | instskip(SKIP_2) | instid1(VALU_DEP_2)
	v_min3_f32 v110, v144, v142, v110
	;; [unrolled: 13-line block ×3, first 2 shown]
	v_add_f64 v[142:143], v[6:7], v[152:153]
	v_add_f64 v[144:145], v[4:5], v[150:151]
	v_cvt_f32_f64_e32 v142, v[142:143]
	s_delay_alu instid0(VALU_DEP_2) | instskip(NEXT) | instid1(VALU_DEP_1)
	v_cvt_f32_f64_e32 v144, v[144:145]
	v_min3_f32 v107, v144, v142, v107
	v_add_f64 v[142:143], v[2:3], v[152:153]
	v_add_f64 v[144:145], v[0:1], v[150:151]
	s_delay_alu instid0(VALU_DEP_2) | instskip(NEXT) | instid1(VALU_DEP_2)
	v_cvt_f32_f64_e32 v142, v[142:143]
	v_cvt_f32_f64_e32 v144, v[144:145]
	s_delay_alu instid0(VALU_DEP_1) | instskip(SKIP_3) | instid1(VALU_DEP_2)
	v_min3_f32 v106, v144, v142, v106
	s_waitcnt lgkmcnt(4)
	v_add_f64 v[142:143], v[34:35], v[50:51]
	v_add_f64 v[144:145], v[32:33], v[48:49]
	v_cvt_f32_f64_e32 v142, v[142:143]
	s_delay_alu instid0(VALU_DEP_2) | instskip(NEXT) | instid1(VALU_DEP_1)
	v_cvt_f32_f64_e32 v144, v[144:145]
	v_min3_f32 v105, v144, v142, v105
	v_add_f64 v[142:143], v[30:31], v[50:51]
	v_add_f64 v[144:145], v[28:29], v[48:49]
	s_delay_alu instid0(VALU_DEP_2) | instskip(NEXT) | instid1(VALU_DEP_2)
	v_cvt_f32_f64_e32 v142, v[142:143]
	v_cvt_f32_f64_e32 v144, v[144:145]
	s_delay_alu instid0(VALU_DEP_1) | instskip(SKIP_2) | instid1(VALU_DEP_2)
	v_min3_f32 v104, v144, v142, v104
	v_add_f64 v[142:143], v[26:27], v[50:51]
	v_add_f64 v[144:145], v[24:25], v[48:49]
	v_cvt_f32_f64_e32 v142, v[142:143]
	s_delay_alu instid0(VALU_DEP_2) | instskip(NEXT) | instid1(VALU_DEP_1)
	v_cvt_f32_f64_e32 v144, v[144:145]
	v_min3_f32 v103, v144, v142, v103
	v_add_f64 v[142:143], v[22:23], v[50:51]
	v_add_f64 v[144:145], v[20:21], v[48:49]
	s_delay_alu instid0(VALU_DEP_2) | instskip(NEXT) | instid1(VALU_DEP_2)
	v_cvt_f32_f64_e32 v142, v[142:143]
	v_cvt_f32_f64_e32 v144, v[144:145]
	s_delay_alu instid0(VALU_DEP_1) | instskip(SKIP_2) | instid1(VALU_DEP_2)
	v_min3_f32 v102, v144, v142, v102
	v_add_f64 v[142:143], v[14:15], v[50:51]
	v_add_f64 v[144:145], v[12:13], v[48:49]
	v_cvt_f32_f64_e32 v142, v[142:143]
	s_delay_alu instid0(VALU_DEP_2) | instskip(NEXT) | instid1(VALU_DEP_1)
	v_cvt_f32_f64_e32 v144, v[144:145]
	v_min3_f32 v101, v144, v142, v101
	v_add_f64 v[142:143], v[10:11], v[50:51]
	v_add_f64 v[144:145], v[8:9], v[48:49]
	s_delay_alu instid0(VALU_DEP_2) | instskip(NEXT) | instid1(VALU_DEP_2)
	v_cvt_f32_f64_e32 v142, v[142:143]
	v_cvt_f32_f64_e32 v144, v[144:145]
	s_delay_alu instid0(VALU_DEP_1) | instskip(SKIP_4) | instid1(VALU_DEP_4)
	v_min3_f32 v100, v144, v142, v100
	v_add_f64 v[142:143], v[6:7], v[50:51]
	v_add_f64 v[144:145], v[4:5], v[48:49]
	;; [unrolled: 1-line block ×4, first 2 shown]
	v_cvt_f32_f64_e32 v142, v[142:143]
	s_delay_alu instid0(VALU_DEP_4) | instskip(NEXT) | instid1(VALU_DEP_3)
	v_cvt_f32_f64_e32 v144, v[144:145]
	v_cvt_f32_f64_e32 v48, v[48:49]
	;; [unrolled: 1-line block ×3, first 2 shown]
	s_waitcnt lgkmcnt(3)
	v_add_f64 v[50:51], v[32:33], v[44:45]
	s_delay_alu instid0(VALU_DEP_4) | instskip(NEXT) | instid1(VALU_DEP_3)
	v_min3_f32 v99, v144, v142, v99
	v_min3_f32 v98, v48, v49, v98
	v_add_f64 v[48:49], v[34:35], v[46:47]
	s_delay_alu instid0(VALU_DEP_4) | instskip(NEXT) | instid1(VALU_DEP_2)
	v_cvt_f32_f64_e32 v50, v[50:51]
	v_cvt_f32_f64_e32 v48, v[48:49]
	s_delay_alu instid0(VALU_DEP_1) | instskip(SKIP_2) | instid1(VALU_DEP_2)
	v_min3_f32 v97, v50, v48, v97
	v_add_f64 v[48:49], v[30:31], v[46:47]
	v_add_f64 v[50:51], v[28:29], v[44:45]
	v_cvt_f32_f64_e32 v48, v[48:49]
	s_delay_alu instid0(VALU_DEP_2) | instskip(NEXT) | instid1(VALU_DEP_1)
	v_cvt_f32_f64_e32 v50, v[50:51]
	v_min3_f32 v96, v50, v48, v96
	v_add_f64 v[48:49], v[26:27], v[46:47]
	v_add_f64 v[50:51], v[24:25], v[44:45]
	s_delay_alu instid0(VALU_DEP_2) | instskip(NEXT) | instid1(VALU_DEP_2)
	v_cvt_f32_f64_e32 v48, v[48:49]
	v_cvt_f32_f64_e32 v50, v[50:51]
	s_delay_alu instid0(VALU_DEP_1) | instskip(SKIP_2) | instid1(VALU_DEP_2)
	v_min3_f32 v95, v50, v48, v95
	v_add_f64 v[48:49], v[22:23], v[46:47]
	v_add_f64 v[50:51], v[20:21], v[44:45]
	v_cvt_f32_f64_e32 v48, v[48:49]
	s_delay_alu instid0(VALU_DEP_2) | instskip(NEXT) | instid1(VALU_DEP_1)
	v_cvt_f32_f64_e32 v50, v[50:51]
	v_min3_f32 v94, v50, v48, v94
	v_add_f64 v[48:49], v[14:15], v[46:47]
	v_add_f64 v[50:51], v[12:13], v[44:45]
	s_delay_alu instid0(VALU_DEP_2) | instskip(NEXT) | instid1(VALU_DEP_2)
	v_cvt_f32_f64_e32 v48, v[48:49]
	v_cvt_f32_f64_e32 v50, v[50:51]
	s_delay_alu instid0(VALU_DEP_1) | instskip(SKIP_2) | instid1(VALU_DEP_2)
	v_min3_f32 v93, v50, v48, v93
	v_add_f64 v[48:49], v[10:11], v[46:47]
	v_add_f64 v[50:51], v[8:9], v[44:45]
	v_cvt_f32_f64_e32 v48, v[48:49]
	s_delay_alu instid0(VALU_DEP_2) | instskip(NEXT) | instid1(VALU_DEP_1)
	v_cvt_f32_f64_e32 v50, v[50:51]
	v_min3_f32 v92, v50, v48, v92
	v_add_f64 v[48:49], v[6:7], v[46:47]
	v_add_f64 v[50:51], v[4:5], v[44:45]
	v_add_f64 v[46:47], v[2:3], v[46:47]
	v_add_f64 v[44:45], v[0:1], v[44:45]
	s_delay_alu instid0(VALU_DEP_4) | instskip(NEXT) | instid1(VALU_DEP_4)
	v_cvt_f32_f64_e32 v48, v[48:49]
	v_cvt_f32_f64_e32 v50, v[50:51]
	s_delay_alu instid0(VALU_DEP_3) | instskip(SKIP_3) | instid1(VALU_DEP_4)
	v_cvt_f32_f64_e32 v44, v[44:45]
	v_cvt_f32_f64_e32 v45, v[46:47]
	s_waitcnt lgkmcnt(2)
	v_add_f64 v[46:47], v[32:33], v[40:41]
	v_min3_f32 v91, v50, v48, v91
	s_delay_alu instid0(VALU_DEP_3) | instskip(SKIP_1) | instid1(VALU_DEP_4)
	v_min3_f32 v90, v44, v45, v90
	v_add_f64 v[44:45], v[34:35], v[42:43]
	v_cvt_f32_f64_e32 v46, v[46:47]
	s_delay_alu instid0(VALU_DEP_2) | instskip(NEXT) | instid1(VALU_DEP_1)
	v_cvt_f32_f64_e32 v44, v[44:45]
	v_min3_f32 v89, v46, v44, v89
	v_add_f64 v[44:45], v[30:31], v[42:43]
	v_add_f64 v[46:47], v[28:29], v[40:41]
	s_delay_alu instid0(VALU_DEP_2) | instskip(NEXT) | instid1(VALU_DEP_2)
	v_cvt_f32_f64_e32 v44, v[44:45]
	v_cvt_f32_f64_e32 v46, v[46:47]
	s_delay_alu instid0(VALU_DEP_1) | instskip(SKIP_2) | instid1(VALU_DEP_2)
	v_min3_f32 v88, v46, v44, v88
	v_add_f64 v[44:45], v[26:27], v[42:43]
	v_add_f64 v[46:47], v[24:25], v[40:41]
	v_cvt_f32_f64_e32 v44, v[44:45]
	s_delay_alu instid0(VALU_DEP_2) | instskip(NEXT) | instid1(VALU_DEP_1)
	v_cvt_f32_f64_e32 v46, v[46:47]
	v_min3_f32 v87, v46, v44, v87
	v_add_f64 v[44:45], v[22:23], v[42:43]
	v_add_f64 v[46:47], v[20:21], v[40:41]
	s_delay_alu instid0(VALU_DEP_2) | instskip(NEXT) | instid1(VALU_DEP_2)
	v_cvt_f32_f64_e32 v44, v[44:45]
	v_cvt_f32_f64_e32 v46, v[46:47]
	s_delay_alu instid0(VALU_DEP_1) | instskip(SKIP_2) | instid1(VALU_DEP_2)
	v_min3_f32 v86, v46, v44, v86
	v_add_f64 v[44:45], v[14:15], v[42:43]
	v_add_f64 v[46:47], v[12:13], v[40:41]
	v_cvt_f32_f64_e32 v44, v[44:45]
	s_delay_alu instid0(VALU_DEP_2) | instskip(NEXT) | instid1(VALU_DEP_1)
	v_cvt_f32_f64_e32 v46, v[46:47]
	v_min3_f32 v85, v46, v44, v85
	v_add_f64 v[44:45], v[10:11], v[42:43]
	v_add_f64 v[46:47], v[8:9], v[40:41]
	s_delay_alu instid0(VALU_DEP_2) | instskip(NEXT) | instid1(VALU_DEP_2)
	v_cvt_f32_f64_e32 v44, v[44:45]
	v_cvt_f32_f64_e32 v46, v[46:47]
	s_delay_alu instid0(VALU_DEP_1) | instskip(SKIP_4) | instid1(VALU_DEP_4)
	v_min3_f32 v84, v46, v44, v84
	v_add_f64 v[44:45], v[6:7], v[42:43]
	v_add_f64 v[46:47], v[4:5], v[40:41]
	v_add_f64 v[42:43], v[2:3], v[42:43]
	v_add_f64 v[40:41], v[0:1], v[40:41]
	v_cvt_f32_f64_e32 v44, v[44:45]
	s_delay_alu instid0(VALU_DEP_4) | instskip(NEXT) | instid1(VALU_DEP_3)
	v_cvt_f32_f64_e32 v46, v[46:47]
	v_cvt_f32_f64_e32 v40, v[40:41]
	;; [unrolled: 1-line block ×3, first 2 shown]
	s_waitcnt lgkmcnt(1)
	v_add_f64 v[42:43], v[32:33], v[36:37]
	s_waitcnt lgkmcnt(0)
	v_add_f64 v[32:33], v[32:33], v[16:17]
	v_min3_f32 v83, v46, v44, v83
	s_delay_alu instid0(VALU_DEP_4) | instskip(SKIP_4) | instid1(VALU_DEP_4)
	v_min3_f32 v82, v40, v41, v82
	v_add_f64 v[40:41], v[34:35], v[38:39]
	v_cvt_f32_f64_e32 v42, v[42:43]
	v_add_f64 v[34:35], v[34:35], v[18:19]
	v_cvt_f32_f64_e32 v32, v[32:33]
	v_cvt_f32_f64_e32 v40, v[40:41]
	s_delay_alu instid0(VALU_DEP_3) | instskip(NEXT) | instid1(VALU_DEP_2)
	v_cvt_f32_f64_e32 v33, v[34:35]
	v_min3_f32 v81, v42, v40, v81
	v_add_f64 v[40:41], v[30:31], v[38:39]
	v_add_f64 v[42:43], v[28:29], v[36:37]
	v_add_f64 v[30:31], v[30:31], v[18:19]
	v_add_f64 v[28:29], v[28:29], v[16:17]
	v_min3_f32 v73, v32, v33, v73
	v_cvt_f32_f64_e32 v40, v[40:41]
	v_cvt_f32_f64_e32 v42, v[42:43]
	s_delay_alu instid0(VALU_DEP_4) | instskip(SKIP_1) | instid1(VALU_DEP_3)
	v_cvt_f32_f64_e32 v28, v[28:29]
	v_cvt_f32_f64_e32 v29, v[30:31]
	v_min3_f32 v80, v42, v40, v80
	v_add_f64 v[40:41], v[26:27], v[38:39]
	v_add_f64 v[42:43], v[24:25], v[36:37]
	v_add_f64 v[26:27], v[26:27], v[18:19]
	v_add_f64 v[24:25], v[24:25], v[16:17]
	v_min3_f32 v72, v28, v29, v72
	v_cvt_f32_f64_e32 v40, v[40:41]
	v_cvt_f32_f64_e32 v42, v[42:43]
	s_delay_alu instid0(VALU_DEP_4) | instskip(SKIP_1) | instid1(VALU_DEP_3)
	v_cvt_f32_f64_e32 v24, v[24:25]
	;; [unrolled: 11-line block ×5, first 2 shown]
	v_cvt_f32_f64_e32 v9, v[10:11]
	v_min3_f32 v76, v42, v40, v76
	v_add_f64 v[40:41], v[6:7], v[38:39]
	v_add_f64 v[42:43], v[4:5], v[36:37]
	;; [unrolled: 1-line block ×8, first 2 shown]
	v_min3_f32 v68, v8, v9, v68
	v_cvt_f32_f64_e32 v40, v[40:41]
	v_cvt_f32_f64_e32 v42, v[42:43]
	;; [unrolled: 1-line block ×8, first 2 shown]
	v_min3_f32 v75, v42, v40, v75
	v_min3_f32 v74, v36, v37, v74
	;; [unrolled: 1-line block ×3, first 2 shown]
	s_delay_alu instid0(VALU_DEP_4)
	v_min3_f32 v66, v0, v1, v66
	s_cbranch_vccz .LBB178_43
; %bb.44:                               ;   in Loop: Header=BB178_32 Depth=1
	v_or_b32_e32 v0, 4, v54
	s_waitcnt vmcnt(0)
	ds_store_b64 v135, v[56:57]
	ds_store_2addr_stride64_b64 v134, v[58:59], v[60:61] offset1:4
	v_dual_mov_b32 v57, s9 :: v_dual_mov_b32 v56, s8
	ds_store_2addr_stride64_b64 v134, v[62:63], v[64:65] offset0:8 offset1:12
	v_cmp_gt_i32_e32 vcc_lo, s18, v0
	s_waitcnt lgkmcnt(0)
	s_barrier
	buffer_gl0_inv
	s_and_b32 s31, vcc_lo, s20
	s_delay_alu instid0(SALU_CYCLE_1)
	s_and_saveexec_b32 s6, s31
	s_cbranch_execz .LBB178_46
; %bb.45:                               ;   in Loop: Header=BB178_32 Depth=1
	v_lshlrev_b64 v[0:1], 3, v[54:55]
	s_delay_alu instid0(VALU_DEP_1) | instskip(NEXT) | instid1(VALU_DEP_2)
	v_add_co_u32 v0, vcc_lo, v140, v0
	v_add_co_ci_u32_e32 v1, vcc_lo, v141, v1, vcc_lo
	flat_load_b64 v[56:57], v[0:1]
.LBB178_46:                             ;   in Loop: Header=BB178_32 Depth=1
	s_or_b32 exec_lo, exec_lo, s6
	v_add3_u32 v4, v133, s7, 4
	v_dual_mov_b32 v59, s9 :: v_dual_mov_b32 v58, s8
	s_delay_alu instid0(VALU_DEP_2) | instskip(SKIP_1) | instid1(VALU_DEP_2)
	v_mad_u64_u32 v[0:1], null, v4, s21, 0
	v_cmp_le_i32_e32 vcc_lo, s18, v4
	v_mad_u64_u32 v[2:3], null, v4, s30, v[1:2]
	s_delay_alu instid0(VALU_DEP_1) | instskip(NEXT) | instid1(VALU_DEP_1)
	v_mov_b32_e32 v1, v2
	v_lshlrev_b64 v[0:1], 3, v[0:1]
	s_delay_alu instid0(VALU_DEP_1) | instskip(NEXT) | instid1(VALU_DEP_1)
	v_add_co_u32 v0, s6, s24, v0
	v_add_co_ci_u32_e64 v1, s6, s25, v1, s6
	s_or_b32 s6, s2, vcc_lo
	s_delay_alu instid0(SALU_CYCLE_1) | instskip(NEXT) | instid1(SALU_CYCLE_1)
	s_xor_b32 s6, s6, -1
	s_and_saveexec_b32 s31, s6
	s_cbranch_execz .LBB178_48
; %bb.47:                               ;   in Loop: Header=BB178_32 Depth=1
	v_add_co_u32 v2, s6, v0, v52
	s_delay_alu instid0(VALU_DEP_1)
	v_add_co_ci_u32_e64 v3, s6, v1, v53, s6
	flat_load_b64 v[58:59], v[2:3]
.LBB178_48:                             ;   in Loop: Header=BB178_32 Depth=1
	s_or_b32 exec_lo, exec_lo, s31
	v_dual_mov_b32 v61, s9 :: v_dual_mov_b32 v60, s8
	s_or_b32 s6, s3, vcc_lo
	s_delay_alu instid0(SALU_CYCLE_1) | instskip(NEXT) | instid1(SALU_CYCLE_1)
	s_xor_b32 s6, s6, -1
	s_and_saveexec_b32 s31, s6
	s_cbranch_execz .LBB178_50
; %bb.49:                               ;   in Loop: Header=BB178_32 Depth=1
	v_add_co_u32 v2, s6, v0, v52
	s_delay_alu instid0(VALU_DEP_1)
	v_add_co_ci_u32_e64 v3, s6, v1, v53, s6
	flat_load_b64 v[60:61], v[2:3] offset:512
.LBB178_50:                             ;   in Loop: Header=BB178_32 Depth=1
	s_or_b32 exec_lo, exec_lo, s31
	v_dual_mov_b32 v63, s9 :: v_dual_mov_b32 v62, s8
	s_or_b32 s6, s4, vcc_lo
	s_delay_alu instid0(SALU_CYCLE_1) | instskip(NEXT) | instid1(SALU_CYCLE_1)
	s_xor_b32 s6, s6, -1
	s_and_saveexec_b32 s31, s6
	s_cbranch_execz .LBB178_52
; %bb.51:                               ;   in Loop: Header=BB178_32 Depth=1
	v_add_co_u32 v2, s6, v0, v52
	s_delay_alu instid0(VALU_DEP_1)
	v_add_co_ci_u32_e64 v3, s6, v1, v53, s6
	flat_load_b64 v[62:63], v[2:3] offset:1024
.LBB178_52:                             ;   in Loop: Header=BB178_32 Depth=1
	s_or_b32 exec_lo, exec_lo, s31
	v_dual_mov_b32 v65, s9 :: v_dual_mov_b32 v64, s8
	s_or_b32 s6, s5, vcc_lo
	s_delay_alu instid0(SALU_CYCLE_1) | instskip(NEXT) | instid1(SALU_CYCLE_1)
	s_xor_b32 s31, s6, -1
	s_and_saveexec_b32 s6, s31
	s_cbranch_execz .LBB178_54
; %bb.53:                               ;   in Loop: Header=BB178_32 Depth=1
	v_add_co_u32 v0, vcc_lo, v0, v52
	v_add_co_ci_u32_e32 v1, vcc_lo, v1, v53, vcc_lo
	flat_load_b64 v[64:65], v[0:1] offset:1536
.LBB178_54:                             ;   in Loop: Header=BB178_32 Depth=1
	s_or_b32 exec_lo, exec_lo, s6
	s_mov_b32 s31, 0
	s_mov_b32 s6, -1
.LBB178_55:                             ;   Parent Loop BB178_32 Depth=1
                                        ; =>  This Inner Loop Header: Depth=2
	s_lshl_b32 s31, s31, 3
	s_and_not1_b32 vcc_lo, exec_lo, s6
	v_lshl_add_u32 v0, v122, 5, s31
	v_lshl_add_u32 v16, v123, 5, s31
	s_mov_b32 s31, 2
	s_mov_b32 s6, 0
	ds_load_b128 v[32:35], v0 offset:16384
	ds_load_b128 v[28:31], v0 offset:16640
	;; [unrolled: 1-line block ×8, first 2 shown]
	ds_load_b128 v[142:145], v16
	ds_load_b128 v[146:149], v16 offset:1024
	ds_load_b128 v[150:153], v16 offset:2048
	;; [unrolled: 1-line block ×7, first 2 shown]
	s_waitcnt lgkmcnt(7)
	v_add_f64 v[154:155], v[34:35], v[144:145]
	v_add_f64 v[156:157], v[32:33], v[142:143]
	s_delay_alu instid0(VALU_DEP_2) | instskip(NEXT) | instid1(VALU_DEP_2)
	v_cvt_f32_f64_e32 v154, v[154:155]
	v_cvt_f32_f64_e32 v54, v[156:157]
	v_add_f64 v[156:157], v[28:29], v[142:143]
	s_delay_alu instid0(VALU_DEP_2) | instskip(SKIP_1) | instid1(VALU_DEP_3)
	v_min3_f32 v131, v54, v154, v131
	v_add_f64 v[154:155], v[30:31], v[144:145]
	v_cvt_f32_f64_e32 v54, v[156:157]
	v_add_f64 v[156:157], v[24:25], v[142:143]
	s_delay_alu instid0(VALU_DEP_3) | instskip(NEXT) | instid1(VALU_DEP_1)
	v_cvt_f32_f64_e32 v154, v[154:155]
	v_min3_f32 v130, v54, v154, v130
	v_add_f64 v[154:155], v[26:27], v[144:145]
	s_delay_alu instid0(VALU_DEP_4) | instskip(SKIP_1) | instid1(VALU_DEP_3)
	v_cvt_f32_f64_e32 v54, v[156:157]
	v_add_f64 v[156:157], v[20:21], v[142:143]
	v_cvt_f32_f64_e32 v154, v[154:155]
	s_delay_alu instid0(VALU_DEP_1) | instskip(SKIP_1) | instid1(VALU_DEP_4)
	v_min3_f32 v129, v54, v154, v129
	v_add_f64 v[154:155], v[22:23], v[144:145]
	v_cvt_f32_f64_e32 v54, v[156:157]
	v_add_f64 v[156:157], v[12:13], v[142:143]
	s_delay_alu instid0(VALU_DEP_3) | instskip(NEXT) | instid1(VALU_DEP_1)
	v_cvt_f32_f64_e32 v154, v[154:155]
	v_min3_f32 v128, v54, v154, v128
	v_add_f64 v[154:155], v[14:15], v[144:145]
	s_delay_alu instid0(VALU_DEP_4) | instskip(SKIP_1) | instid1(VALU_DEP_3)
	v_cvt_f32_f64_e32 v54, v[156:157]
	v_add_f64 v[156:157], v[8:9], v[142:143]
	v_cvt_f32_f64_e32 v154, v[154:155]
	s_delay_alu instid0(VALU_DEP_1) | instskip(SKIP_1) | instid1(VALU_DEP_4)
	v_min3_f32 v127, v54, v154, v127
	v_add_f64 v[154:155], v[10:11], v[144:145]
	v_cvt_f32_f64_e32 v54, v[156:157]
	v_add_f64 v[156:157], v[4:5], v[142:143]
	v_add_f64 v[142:143], v[0:1], v[142:143]
	s_delay_alu instid0(VALU_DEP_4) | instskip(NEXT) | instid1(VALU_DEP_1)
	v_cvt_f32_f64_e32 v154, v[154:155]
	v_min3_f32 v126, v54, v154, v126
	v_add_f64 v[154:155], v[6:7], v[144:145]
	v_cvt_f32_f64_e32 v54, v[156:157]
	v_add_f64 v[144:145], v[2:3], v[144:145]
	s_delay_alu instid0(VALU_DEP_3) | instskip(NEXT) | instid1(VALU_DEP_1)
	v_cvt_f32_f64_e32 v154, v[154:155]
	v_min3_f32 v125, v54, v154, v125
	v_cvt_f32_f64_e32 v54, v[142:143]
	s_delay_alu instid0(VALU_DEP_4) | instskip(SKIP_2) | instid1(VALU_DEP_2)
	v_cvt_f32_f64_e32 v142, v[144:145]
	s_waitcnt lgkmcnt(6)
	v_add_f64 v[144:145], v[32:33], v[146:147]
	v_min3_f32 v124, v54, v142, v124
	v_add_f64 v[142:143], v[34:35], v[148:149]
	s_delay_alu instid0(VALU_DEP_3) | instskip(SKIP_1) | instid1(VALU_DEP_3)
	v_cvt_f32_f64_e32 v54, v[144:145]
	v_add_f64 v[144:145], v[28:29], v[146:147]
	v_cvt_f32_f64_e32 v142, v[142:143]
	s_delay_alu instid0(VALU_DEP_1) | instskip(SKIP_1) | instid1(VALU_DEP_4)
	v_min3_f32 v121, v54, v142, v121
	v_add_f64 v[142:143], v[30:31], v[148:149]
	v_cvt_f32_f64_e32 v54, v[144:145]
	v_add_f64 v[144:145], v[24:25], v[146:147]
	s_delay_alu instid0(VALU_DEP_3) | instskip(NEXT) | instid1(VALU_DEP_1)
	v_cvt_f32_f64_e32 v142, v[142:143]
	v_min3_f32 v120, v54, v142, v120
	v_add_f64 v[142:143], v[26:27], v[148:149]
	s_delay_alu instid0(VALU_DEP_4) | instskip(SKIP_1) | instid1(VALU_DEP_3)
	v_cvt_f32_f64_e32 v54, v[144:145]
	v_add_f64 v[144:145], v[20:21], v[146:147]
	v_cvt_f32_f64_e32 v142, v[142:143]
	s_delay_alu instid0(VALU_DEP_1) | instskip(SKIP_1) | instid1(VALU_DEP_4)
	v_min3_f32 v119, v54, v142, v119
	v_add_f64 v[142:143], v[22:23], v[148:149]
	v_cvt_f32_f64_e32 v54, v[144:145]
	v_add_f64 v[144:145], v[12:13], v[146:147]
	s_delay_alu instid0(VALU_DEP_3) | instskip(NEXT) | instid1(VALU_DEP_1)
	v_cvt_f32_f64_e32 v142, v[142:143]
	v_min3_f32 v118, v54, v142, v118
	v_add_f64 v[142:143], v[14:15], v[148:149]
	s_delay_alu instid0(VALU_DEP_4) | instskip(SKIP_1) | instid1(VALU_DEP_3)
	;; [unrolled: 13-line block ×3, first 2 shown]
	v_cvt_f32_f64_e32 v54, v[144:145]
	v_add_f64 v[144:145], v[0:1], v[146:147]
	v_cvt_f32_f64_e32 v142, v[142:143]
	s_delay_alu instid0(VALU_DEP_1) | instskip(SKIP_1) | instid1(VALU_DEP_4)
	v_min3_f32 v115, v54, v142, v115
	v_add_f64 v[142:143], v[2:3], v[148:149]
	v_cvt_f32_f64_e32 v54, v[144:145]
	s_waitcnt lgkmcnt(5)
	v_add_f64 v[144:145], v[32:33], v[150:151]
	s_delay_alu instid0(VALU_DEP_3) | instskip(NEXT) | instid1(VALU_DEP_1)
	v_cvt_f32_f64_e32 v142, v[142:143]
	v_min3_f32 v114, v54, v142, v114
	v_add_f64 v[142:143], v[34:35], v[152:153]
	s_delay_alu instid0(VALU_DEP_4) | instskip(SKIP_1) | instid1(VALU_DEP_3)
	v_cvt_f32_f64_e32 v54, v[144:145]
	v_add_f64 v[144:145], v[28:29], v[150:151]
	v_cvt_f32_f64_e32 v142, v[142:143]
	s_delay_alu instid0(VALU_DEP_1) | instskip(SKIP_1) | instid1(VALU_DEP_4)
	v_min3_f32 v113, v54, v142, v113
	v_add_f64 v[142:143], v[30:31], v[152:153]
	v_cvt_f32_f64_e32 v54, v[144:145]
	v_add_f64 v[144:145], v[24:25], v[150:151]
	s_delay_alu instid0(VALU_DEP_3) | instskip(NEXT) | instid1(VALU_DEP_1)
	v_cvt_f32_f64_e32 v142, v[142:143]
	v_min3_f32 v112, v54, v142, v112
	v_add_f64 v[142:143], v[26:27], v[152:153]
	s_delay_alu instid0(VALU_DEP_4) | instskip(SKIP_1) | instid1(VALU_DEP_3)
	v_cvt_f32_f64_e32 v54, v[144:145]
	v_add_f64 v[144:145], v[20:21], v[150:151]
	v_cvt_f32_f64_e32 v142, v[142:143]
	s_delay_alu instid0(VALU_DEP_1) | instskip(SKIP_1) | instid1(VALU_DEP_4)
	v_min3_f32 v111, v54, v142, v111
	v_add_f64 v[142:143], v[22:23], v[152:153]
	v_cvt_f32_f64_e32 v54, v[144:145]
	;; [unrolled: 13-line block ×4, first 2 shown]
	s_waitcnt lgkmcnt(4)
	v_add_f64 v[144:145], v[32:33], v[48:49]
	s_delay_alu instid0(VALU_DEP_3) | instskip(NEXT) | instid1(VALU_DEP_1)
	v_cvt_f32_f64_e32 v142, v[142:143]
	v_min3_f32 v106, v54, v142, v106
	v_add_f64 v[142:143], v[34:35], v[50:51]
	s_delay_alu instid0(VALU_DEP_4) | instskip(SKIP_1) | instid1(VALU_DEP_3)
	v_cvt_f32_f64_e32 v54, v[144:145]
	v_add_f64 v[144:145], v[28:29], v[48:49]
	v_cvt_f32_f64_e32 v142, v[142:143]
	s_delay_alu instid0(VALU_DEP_1) | instskip(SKIP_1) | instid1(VALU_DEP_4)
	v_min3_f32 v105, v54, v142, v105
	v_add_f64 v[142:143], v[30:31], v[50:51]
	v_cvt_f32_f64_e32 v54, v[144:145]
	v_add_f64 v[144:145], v[24:25], v[48:49]
	s_delay_alu instid0(VALU_DEP_3) | instskip(NEXT) | instid1(VALU_DEP_1)
	v_cvt_f32_f64_e32 v142, v[142:143]
	v_min3_f32 v104, v54, v142, v104
	v_add_f64 v[142:143], v[26:27], v[50:51]
	s_delay_alu instid0(VALU_DEP_4) | instskip(SKIP_1) | instid1(VALU_DEP_3)
	v_cvt_f32_f64_e32 v54, v[144:145]
	v_add_f64 v[144:145], v[20:21], v[48:49]
	v_cvt_f32_f64_e32 v142, v[142:143]
	s_delay_alu instid0(VALU_DEP_1) | instskip(SKIP_1) | instid1(VALU_DEP_4)
	v_min3_f32 v103, v54, v142, v103
	v_add_f64 v[142:143], v[22:23], v[50:51]
	v_cvt_f32_f64_e32 v54, v[144:145]
	;; [unrolled: 13-line block ×3, first 2 shown]
	v_add_f64 v[144:145], v[4:5], v[48:49]
	v_add_f64 v[48:49], v[0:1], v[48:49]
	s_delay_alu instid0(VALU_DEP_4) | instskip(NEXT) | instid1(VALU_DEP_2)
	v_cvt_f32_f64_e32 v142, v[142:143]
	v_cvt_f32_f64_e32 v48, v[48:49]
	s_delay_alu instid0(VALU_DEP_2) | instskip(SKIP_3) | instid1(VALU_DEP_3)
	v_min3_f32 v100, v54, v142, v100
	v_add_f64 v[142:143], v[6:7], v[50:51]
	v_add_f64 v[50:51], v[2:3], v[50:51]
	v_cvt_f32_f64_e32 v54, v[144:145]
	v_cvt_f32_f64_e32 v142, v[142:143]
	s_delay_alu instid0(VALU_DEP_3) | instskip(SKIP_2) | instid1(VALU_DEP_3)
	v_cvt_f32_f64_e32 v49, v[50:51]
	s_waitcnt lgkmcnt(3)
	v_add_f64 v[50:51], v[32:33], v[44:45]
	v_min3_f32 v99, v54, v142, v99
	s_delay_alu instid0(VALU_DEP_3) | instskip(SKIP_1) | instid1(VALU_DEP_4)
	v_min3_f32 v98, v48, v49, v98
	v_add_f64 v[48:49], v[34:35], v[46:47]
	v_cvt_f32_f64_e32 v50, v[50:51]
	s_delay_alu instid0(VALU_DEP_2) | instskip(NEXT) | instid1(VALU_DEP_1)
	v_cvt_f32_f64_e32 v48, v[48:49]
	v_min3_f32 v97, v50, v48, v97
	v_add_f64 v[48:49], v[30:31], v[46:47]
	v_add_f64 v[50:51], v[28:29], v[44:45]
	s_delay_alu instid0(VALU_DEP_2) | instskip(NEXT) | instid1(VALU_DEP_2)
	v_cvt_f32_f64_e32 v48, v[48:49]
	v_cvt_f32_f64_e32 v50, v[50:51]
	s_delay_alu instid0(VALU_DEP_1) | instskip(SKIP_2) | instid1(VALU_DEP_2)
	v_min3_f32 v96, v50, v48, v96
	v_add_f64 v[48:49], v[26:27], v[46:47]
	v_add_f64 v[50:51], v[24:25], v[44:45]
	v_cvt_f32_f64_e32 v48, v[48:49]
	s_delay_alu instid0(VALU_DEP_2) | instskip(NEXT) | instid1(VALU_DEP_1)
	v_cvt_f32_f64_e32 v50, v[50:51]
	v_min3_f32 v95, v50, v48, v95
	v_add_f64 v[48:49], v[22:23], v[46:47]
	v_add_f64 v[50:51], v[20:21], v[44:45]
	s_delay_alu instid0(VALU_DEP_2) | instskip(NEXT) | instid1(VALU_DEP_2)
	v_cvt_f32_f64_e32 v48, v[48:49]
	v_cvt_f32_f64_e32 v50, v[50:51]
	s_delay_alu instid0(VALU_DEP_1) | instskip(SKIP_2) | instid1(VALU_DEP_2)
	v_min3_f32 v94, v50, v48, v94
	v_add_f64 v[48:49], v[14:15], v[46:47]
	v_add_f64 v[50:51], v[12:13], v[44:45]
	v_cvt_f32_f64_e32 v48, v[48:49]
	s_delay_alu instid0(VALU_DEP_2) | instskip(NEXT) | instid1(VALU_DEP_1)
	v_cvt_f32_f64_e32 v50, v[50:51]
	v_min3_f32 v93, v50, v48, v93
	v_add_f64 v[48:49], v[10:11], v[46:47]
	v_add_f64 v[50:51], v[8:9], v[44:45]
	s_delay_alu instid0(VALU_DEP_2) | instskip(NEXT) | instid1(VALU_DEP_2)
	v_cvt_f32_f64_e32 v48, v[48:49]
	v_cvt_f32_f64_e32 v50, v[50:51]
	s_delay_alu instid0(VALU_DEP_1) | instskip(SKIP_4) | instid1(VALU_DEP_4)
	v_min3_f32 v92, v50, v48, v92
	v_add_f64 v[48:49], v[6:7], v[46:47]
	v_add_f64 v[50:51], v[4:5], v[44:45]
	;; [unrolled: 1-line block ×4, first 2 shown]
	v_cvt_f32_f64_e32 v48, v[48:49]
	s_delay_alu instid0(VALU_DEP_4) | instskip(NEXT) | instid1(VALU_DEP_3)
	v_cvt_f32_f64_e32 v50, v[50:51]
	v_cvt_f32_f64_e32 v44, v[44:45]
	;; [unrolled: 1-line block ×3, first 2 shown]
	s_waitcnt lgkmcnt(2)
	v_add_f64 v[46:47], v[32:33], v[40:41]
	s_delay_alu instid0(VALU_DEP_4) | instskip(NEXT) | instid1(VALU_DEP_3)
	v_min3_f32 v91, v50, v48, v91
	v_min3_f32 v90, v44, v45, v90
	v_add_f64 v[44:45], v[34:35], v[42:43]
	s_delay_alu instid0(VALU_DEP_4) | instskip(NEXT) | instid1(VALU_DEP_2)
	v_cvt_f32_f64_e32 v46, v[46:47]
	v_cvt_f32_f64_e32 v44, v[44:45]
	s_delay_alu instid0(VALU_DEP_1) | instskip(SKIP_2) | instid1(VALU_DEP_2)
	v_min3_f32 v89, v46, v44, v89
	v_add_f64 v[44:45], v[30:31], v[42:43]
	v_add_f64 v[46:47], v[28:29], v[40:41]
	v_cvt_f32_f64_e32 v44, v[44:45]
	s_delay_alu instid0(VALU_DEP_2) | instskip(NEXT) | instid1(VALU_DEP_1)
	v_cvt_f32_f64_e32 v46, v[46:47]
	v_min3_f32 v88, v46, v44, v88
	v_add_f64 v[44:45], v[26:27], v[42:43]
	v_add_f64 v[46:47], v[24:25], v[40:41]
	s_delay_alu instid0(VALU_DEP_2) | instskip(NEXT) | instid1(VALU_DEP_2)
	v_cvt_f32_f64_e32 v44, v[44:45]
	v_cvt_f32_f64_e32 v46, v[46:47]
	s_delay_alu instid0(VALU_DEP_1) | instskip(SKIP_2) | instid1(VALU_DEP_2)
	v_min3_f32 v87, v46, v44, v87
	v_add_f64 v[44:45], v[22:23], v[42:43]
	v_add_f64 v[46:47], v[20:21], v[40:41]
	v_cvt_f32_f64_e32 v44, v[44:45]
	s_delay_alu instid0(VALU_DEP_2) | instskip(NEXT) | instid1(VALU_DEP_1)
	v_cvt_f32_f64_e32 v46, v[46:47]
	v_min3_f32 v86, v46, v44, v86
	v_add_f64 v[44:45], v[14:15], v[42:43]
	v_add_f64 v[46:47], v[12:13], v[40:41]
	s_delay_alu instid0(VALU_DEP_2) | instskip(NEXT) | instid1(VALU_DEP_2)
	v_cvt_f32_f64_e32 v44, v[44:45]
	v_cvt_f32_f64_e32 v46, v[46:47]
	s_delay_alu instid0(VALU_DEP_1) | instskip(SKIP_2) | instid1(VALU_DEP_2)
	v_min3_f32 v85, v46, v44, v85
	v_add_f64 v[44:45], v[10:11], v[42:43]
	v_add_f64 v[46:47], v[8:9], v[40:41]
	v_cvt_f32_f64_e32 v44, v[44:45]
	s_delay_alu instid0(VALU_DEP_2) | instskip(NEXT) | instid1(VALU_DEP_1)
	v_cvt_f32_f64_e32 v46, v[46:47]
	v_min3_f32 v84, v46, v44, v84
	v_add_f64 v[44:45], v[6:7], v[42:43]
	v_add_f64 v[46:47], v[4:5], v[40:41]
	;; [unrolled: 1-line block ×4, first 2 shown]
	s_delay_alu instid0(VALU_DEP_4) | instskip(NEXT) | instid1(VALU_DEP_4)
	v_cvt_f32_f64_e32 v44, v[44:45]
	v_cvt_f32_f64_e32 v46, v[46:47]
	s_delay_alu instid0(VALU_DEP_3)
	v_cvt_f32_f64_e32 v40, v[40:41]
	v_cvt_f32_f64_e32 v41, v[42:43]
	s_waitcnt lgkmcnt(1)
	v_add_f64 v[42:43], v[32:33], v[36:37]
	s_waitcnt lgkmcnt(0)
	v_add_f64 v[32:33], v[32:33], v[16:17]
	v_min3_f32 v83, v46, v44, v83
	s_delay_alu instid0(VALU_DEP_4) | instskip(SKIP_4) | instid1(VALU_DEP_4)
	v_min3_f32 v82, v40, v41, v82
	v_add_f64 v[40:41], v[34:35], v[38:39]
	v_cvt_f32_f64_e32 v42, v[42:43]
	v_add_f64 v[34:35], v[34:35], v[18:19]
	v_cvt_f32_f64_e32 v32, v[32:33]
	v_cvt_f32_f64_e32 v40, v[40:41]
	s_delay_alu instid0(VALU_DEP_3) | instskip(NEXT) | instid1(VALU_DEP_2)
	v_cvt_f32_f64_e32 v33, v[34:35]
	v_min3_f32 v81, v42, v40, v81
	v_add_f64 v[40:41], v[30:31], v[38:39]
	v_add_f64 v[42:43], v[28:29], v[36:37]
	v_add_f64 v[30:31], v[30:31], v[18:19]
	v_add_f64 v[28:29], v[28:29], v[16:17]
	v_min3_f32 v73, v32, v33, v73
	v_cvt_f32_f64_e32 v40, v[40:41]
	v_cvt_f32_f64_e32 v42, v[42:43]
	s_delay_alu instid0(VALU_DEP_4) | instskip(SKIP_1) | instid1(VALU_DEP_3)
	v_cvt_f32_f64_e32 v28, v[28:29]
	v_cvt_f32_f64_e32 v29, v[30:31]
	v_min3_f32 v80, v42, v40, v80
	v_add_f64 v[40:41], v[26:27], v[38:39]
	v_add_f64 v[42:43], v[24:25], v[36:37]
	v_add_f64 v[26:27], v[26:27], v[18:19]
	v_add_f64 v[24:25], v[24:25], v[16:17]
	v_min3_f32 v72, v28, v29, v72
	v_cvt_f32_f64_e32 v40, v[40:41]
	v_cvt_f32_f64_e32 v42, v[42:43]
	s_delay_alu instid0(VALU_DEP_4) | instskip(SKIP_1) | instid1(VALU_DEP_3)
	v_cvt_f32_f64_e32 v24, v[24:25]
	;; [unrolled: 11-line block ×5, first 2 shown]
	v_cvt_f32_f64_e32 v9, v[10:11]
	v_min3_f32 v76, v42, v40, v76
	v_add_f64 v[40:41], v[6:7], v[38:39]
	v_add_f64 v[42:43], v[4:5], v[36:37]
	;; [unrolled: 1-line block ×8, first 2 shown]
	v_min3_f32 v68, v8, v9, v68
	v_cvt_f32_f64_e32 v40, v[40:41]
	v_cvt_f32_f64_e32 v42, v[42:43]
	;; [unrolled: 1-line block ×8, first 2 shown]
	v_min3_f32 v75, v42, v40, v75
	v_min3_f32 v74, v36, v37, v74
	;; [unrolled: 1-line block ×3, first 2 shown]
	s_delay_alu instid0(VALU_DEP_4)
	v_min3_f32 v66, v0, v1, v66
	s_cbranch_vccz .LBB178_55
; %bb.56:                               ;   in Loop: Header=BB178_32 Depth=1
	s_add_i32 s27, s27, 8
	s_add_i32 s7, s7, 8
	s_cmp_ge_i32 s27, s26
	s_waitcnt vmcnt(0)
	ds_store_b64 v136, v[56:57]
	ds_store_2addr_stride64_b64 v137, v[58:59], v[60:61] offset1:4
	ds_store_2addr_stride64_b64 v137, v[62:63], v[64:65] offset0:8 offset1:12
	s_waitcnt lgkmcnt(0)
	s_barrier
	buffer_gl0_inv
	s_cbranch_scc0 .LBB178_32
.LBB178_57:
	s_mov_b32 s3, 0
	s_mov_b32 s2, -1
.LBB178_58:                             ; =>This Inner Loop Header: Depth=1
	s_lshl_b32 s3, s3, 3
	s_and_not1_b32 vcc_lo, exec_lo, s2
	v_lshl_add_u32 v0, v122, 5, s3
	v_lshl_add_u32 v16, v123, 5, s3
	s_mov_b32 s3, 2
	s_mov_b32 s2, 0
	ds_load_b128 v[32:35], v0 offset:18432
	ds_load_b128 v[28:31], v0 offset:18688
	;; [unrolled: 1-line block ×16, first 2 shown]
	s_waitcnt lgkmcnt(7)
	v_add_f64 v[64:65], v[34:35], v[54:55]
	v_add_f64 v[132:133], v[32:33], v[52:53]
	s_delay_alu instid0(VALU_DEP_2) | instskip(NEXT) | instid1(VALU_DEP_2)
	v_cvt_f32_f64_e32 v64, v[64:65]
	v_cvt_f32_f64_e32 v132, v[132:133]
	s_delay_alu instid0(VALU_DEP_1) | instskip(SKIP_2) | instid1(VALU_DEP_2)
	v_min3_f32 v131, v132, v64, v131
	v_add_f64 v[64:65], v[30:31], v[54:55]
	v_add_f64 v[132:133], v[28:29], v[52:53]
	v_cvt_f32_f64_e32 v64, v[64:65]
	s_delay_alu instid0(VALU_DEP_2) | instskip(NEXT) | instid1(VALU_DEP_1)
	v_cvt_f32_f64_e32 v132, v[132:133]
	v_min3_f32 v130, v132, v64, v130
	v_add_f64 v[64:65], v[26:27], v[54:55]
	v_add_f64 v[132:133], v[24:25], v[52:53]
	s_delay_alu instid0(VALU_DEP_2) | instskip(NEXT) | instid1(VALU_DEP_2)
	v_cvt_f32_f64_e32 v64, v[64:65]
	v_cvt_f32_f64_e32 v132, v[132:133]
	s_delay_alu instid0(VALU_DEP_1) | instskip(SKIP_2) | instid1(VALU_DEP_2)
	v_min3_f32 v129, v132, v64, v129
	v_add_f64 v[64:65], v[22:23], v[54:55]
	v_add_f64 v[132:133], v[20:21], v[52:53]
	v_cvt_f32_f64_e32 v64, v[64:65]
	s_delay_alu instid0(VALU_DEP_2) | instskip(NEXT) | instid1(VALU_DEP_1)
	v_cvt_f32_f64_e32 v132, v[132:133]
	v_min3_f32 v128, v132, v64, v128
	;; [unrolled: 13-line block ×3, first 2 shown]
	v_add_f64 v[64:65], v[6:7], v[54:55]
	v_add_f64 v[132:133], v[4:5], v[52:53]
	;; [unrolled: 1-line block ×4, first 2 shown]
	s_delay_alu instid0(VALU_DEP_4) | instskip(NEXT) | instid1(VALU_DEP_4)
	v_cvt_f32_f64_e32 v64, v[64:65]
	v_cvt_f32_f64_e32 v132, v[132:133]
	s_delay_alu instid0(VALU_DEP_3) | instskip(SKIP_3) | instid1(VALU_DEP_4)
	v_cvt_f32_f64_e32 v52, v[52:53]
	v_cvt_f32_f64_e32 v53, v[54:55]
	s_waitcnt lgkmcnt(6)
	v_add_f64 v[54:55], v[32:33], v[56:57]
	v_min3_f32 v125, v132, v64, v125
	s_delay_alu instid0(VALU_DEP_3) | instskip(SKIP_1) | instid1(VALU_DEP_4)
	v_min3_f32 v124, v52, v53, v124
	v_add_f64 v[52:53], v[34:35], v[58:59]
	v_cvt_f32_f64_e32 v54, v[54:55]
	s_delay_alu instid0(VALU_DEP_2) | instskip(NEXT) | instid1(VALU_DEP_1)
	v_cvt_f32_f64_e32 v52, v[52:53]
	v_min3_f32 v121, v54, v52, v121
	v_add_f64 v[52:53], v[30:31], v[58:59]
	v_add_f64 v[54:55], v[28:29], v[56:57]
	s_delay_alu instid0(VALU_DEP_2) | instskip(NEXT) | instid1(VALU_DEP_2)
	v_cvt_f32_f64_e32 v52, v[52:53]
	v_cvt_f32_f64_e32 v54, v[54:55]
	s_delay_alu instid0(VALU_DEP_1) | instskip(SKIP_2) | instid1(VALU_DEP_2)
	v_min3_f32 v120, v54, v52, v120
	v_add_f64 v[52:53], v[26:27], v[58:59]
	v_add_f64 v[54:55], v[24:25], v[56:57]
	v_cvt_f32_f64_e32 v52, v[52:53]
	s_delay_alu instid0(VALU_DEP_2) | instskip(NEXT) | instid1(VALU_DEP_1)
	v_cvt_f32_f64_e32 v54, v[54:55]
	v_min3_f32 v119, v54, v52, v119
	v_add_f64 v[52:53], v[22:23], v[58:59]
	v_add_f64 v[54:55], v[20:21], v[56:57]
	s_delay_alu instid0(VALU_DEP_2) | instskip(NEXT) | instid1(VALU_DEP_2)
	v_cvt_f32_f64_e32 v52, v[52:53]
	v_cvt_f32_f64_e32 v54, v[54:55]
	s_delay_alu instid0(VALU_DEP_1) | instskip(SKIP_2) | instid1(VALU_DEP_2)
	v_min3_f32 v118, v54, v52, v118
	v_add_f64 v[52:53], v[14:15], v[58:59]
	;; [unrolled: 13-line block ×3, first 2 shown]
	v_add_f64 v[54:55], v[4:5], v[56:57]
	v_cvt_f32_f64_e32 v52, v[52:53]
	s_delay_alu instid0(VALU_DEP_2) | instskip(NEXT) | instid1(VALU_DEP_1)
	v_cvt_f32_f64_e32 v54, v[54:55]
	v_min3_f32 v115, v54, v52, v115
	v_add_f64 v[52:53], v[2:3], v[58:59]
	v_add_f64 v[54:55], v[0:1], v[56:57]
	s_delay_alu instid0(VALU_DEP_2) | instskip(NEXT) | instid1(VALU_DEP_2)
	v_cvt_f32_f64_e32 v52, v[52:53]
	v_cvt_f32_f64_e32 v54, v[54:55]
	s_delay_alu instid0(VALU_DEP_1) | instskip(SKIP_3) | instid1(VALU_DEP_2)
	v_min3_f32 v114, v54, v52, v114
	s_waitcnt lgkmcnt(5)
	v_add_f64 v[52:53], v[34:35], v[62:63]
	v_add_f64 v[54:55], v[32:33], v[60:61]
	v_cvt_f32_f64_e32 v52, v[52:53]
	s_delay_alu instid0(VALU_DEP_2) | instskip(NEXT) | instid1(VALU_DEP_1)
	v_cvt_f32_f64_e32 v54, v[54:55]
	v_min3_f32 v113, v54, v52, v113
	v_add_f64 v[52:53], v[30:31], v[62:63]
	v_add_f64 v[54:55], v[28:29], v[60:61]
	s_delay_alu instid0(VALU_DEP_2) | instskip(NEXT) | instid1(VALU_DEP_2)
	v_cvt_f32_f64_e32 v52, v[52:53]
	v_cvt_f32_f64_e32 v54, v[54:55]
	s_delay_alu instid0(VALU_DEP_1) | instskip(SKIP_2) | instid1(VALU_DEP_2)
	v_min3_f32 v112, v54, v52, v112
	v_add_f64 v[52:53], v[26:27], v[62:63]
	v_add_f64 v[54:55], v[24:25], v[60:61]
	v_cvt_f32_f64_e32 v52, v[52:53]
	s_delay_alu instid0(VALU_DEP_2) | instskip(NEXT) | instid1(VALU_DEP_1)
	v_cvt_f32_f64_e32 v54, v[54:55]
	v_min3_f32 v111, v54, v52, v111
	v_add_f64 v[52:53], v[22:23], v[62:63]
	v_add_f64 v[54:55], v[20:21], v[60:61]
	s_delay_alu instid0(VALU_DEP_2) | instskip(NEXT) | instid1(VALU_DEP_2)
	v_cvt_f32_f64_e32 v52, v[52:53]
	v_cvt_f32_f64_e32 v54, v[54:55]
	s_delay_alu instid0(VALU_DEP_1) | instskip(SKIP_2) | instid1(VALU_DEP_2)
	v_min3_f32 v110, v54, v52, v110
	;; [unrolled: 13-line block ×3, first 2 shown]
	v_add_f64 v[52:53], v[6:7], v[62:63]
	v_add_f64 v[54:55], v[4:5], v[60:61]
	v_cvt_f32_f64_e32 v52, v[52:53]
	s_delay_alu instid0(VALU_DEP_2) | instskip(NEXT) | instid1(VALU_DEP_1)
	v_cvt_f32_f64_e32 v54, v[54:55]
	v_min3_f32 v107, v54, v52, v107
	v_add_f64 v[52:53], v[2:3], v[62:63]
	v_add_f64 v[54:55], v[0:1], v[60:61]
	s_delay_alu instid0(VALU_DEP_2) | instskip(NEXT) | instid1(VALU_DEP_2)
	v_cvt_f32_f64_e32 v52, v[52:53]
	v_cvt_f32_f64_e32 v54, v[54:55]
	s_delay_alu instid0(VALU_DEP_1) | instskip(SKIP_3) | instid1(VALU_DEP_2)
	v_min3_f32 v106, v54, v52, v106
	s_waitcnt lgkmcnt(4)
	v_add_f64 v[52:53], v[34:35], v[50:51]
	v_add_f64 v[54:55], v[32:33], v[48:49]
	v_cvt_f32_f64_e32 v52, v[52:53]
	s_delay_alu instid0(VALU_DEP_2) | instskip(NEXT) | instid1(VALU_DEP_1)
	v_cvt_f32_f64_e32 v54, v[54:55]
	v_min3_f32 v105, v54, v52, v105
	v_add_f64 v[52:53], v[30:31], v[50:51]
	v_add_f64 v[54:55], v[28:29], v[48:49]
	s_delay_alu instid0(VALU_DEP_2) | instskip(NEXT) | instid1(VALU_DEP_2)
	v_cvt_f32_f64_e32 v52, v[52:53]
	v_cvt_f32_f64_e32 v54, v[54:55]
	s_delay_alu instid0(VALU_DEP_1) | instskip(SKIP_2) | instid1(VALU_DEP_2)
	v_min3_f32 v104, v54, v52, v104
	v_add_f64 v[52:53], v[26:27], v[50:51]
	v_add_f64 v[54:55], v[24:25], v[48:49]
	v_cvt_f32_f64_e32 v52, v[52:53]
	s_delay_alu instid0(VALU_DEP_2) | instskip(NEXT) | instid1(VALU_DEP_1)
	v_cvt_f32_f64_e32 v54, v[54:55]
	v_min3_f32 v103, v54, v52, v103
	v_add_f64 v[52:53], v[22:23], v[50:51]
	v_add_f64 v[54:55], v[20:21], v[48:49]
	s_delay_alu instid0(VALU_DEP_2) | instskip(NEXT) | instid1(VALU_DEP_2)
	v_cvt_f32_f64_e32 v52, v[52:53]
	v_cvt_f32_f64_e32 v54, v[54:55]
	s_delay_alu instid0(VALU_DEP_1) | instskip(SKIP_2) | instid1(VALU_DEP_2)
	v_min3_f32 v102, v54, v52, v102
	v_add_f64 v[52:53], v[14:15], v[50:51]
	v_add_f64 v[54:55], v[12:13], v[48:49]
	v_cvt_f32_f64_e32 v52, v[52:53]
	s_delay_alu instid0(VALU_DEP_2) | instskip(NEXT) | instid1(VALU_DEP_1)
	v_cvt_f32_f64_e32 v54, v[54:55]
	v_min3_f32 v101, v54, v52, v101
	v_add_f64 v[52:53], v[10:11], v[50:51]
	v_add_f64 v[54:55], v[8:9], v[48:49]
	s_delay_alu instid0(VALU_DEP_2) | instskip(NEXT) | instid1(VALU_DEP_2)
	v_cvt_f32_f64_e32 v52, v[52:53]
	v_cvt_f32_f64_e32 v54, v[54:55]
	s_delay_alu instid0(VALU_DEP_1) | instskip(SKIP_4) | instid1(VALU_DEP_4)
	v_min3_f32 v100, v54, v52, v100
	v_add_f64 v[52:53], v[6:7], v[50:51]
	v_add_f64 v[54:55], v[4:5], v[48:49]
	;; [unrolled: 1-line block ×4, first 2 shown]
	v_cvt_f32_f64_e32 v52, v[52:53]
	s_delay_alu instid0(VALU_DEP_4) | instskip(NEXT) | instid1(VALU_DEP_3)
	v_cvt_f32_f64_e32 v54, v[54:55]
	v_cvt_f32_f64_e32 v48, v[48:49]
	;; [unrolled: 1-line block ×3, first 2 shown]
	s_waitcnt lgkmcnt(3)
	v_add_f64 v[50:51], v[32:33], v[44:45]
	s_delay_alu instid0(VALU_DEP_4) | instskip(NEXT) | instid1(VALU_DEP_3)
	v_min3_f32 v99, v54, v52, v99
	v_min3_f32 v98, v48, v49, v98
	v_add_f64 v[48:49], v[34:35], v[46:47]
	s_delay_alu instid0(VALU_DEP_4) | instskip(NEXT) | instid1(VALU_DEP_2)
	v_cvt_f32_f64_e32 v50, v[50:51]
	v_cvt_f32_f64_e32 v48, v[48:49]
	s_delay_alu instid0(VALU_DEP_1) | instskip(SKIP_2) | instid1(VALU_DEP_2)
	v_min3_f32 v97, v50, v48, v97
	v_add_f64 v[48:49], v[30:31], v[46:47]
	v_add_f64 v[50:51], v[28:29], v[44:45]
	v_cvt_f32_f64_e32 v48, v[48:49]
	s_delay_alu instid0(VALU_DEP_2) | instskip(NEXT) | instid1(VALU_DEP_1)
	v_cvt_f32_f64_e32 v50, v[50:51]
	v_min3_f32 v96, v50, v48, v96
	v_add_f64 v[48:49], v[26:27], v[46:47]
	v_add_f64 v[50:51], v[24:25], v[44:45]
	s_delay_alu instid0(VALU_DEP_2) | instskip(NEXT) | instid1(VALU_DEP_2)
	v_cvt_f32_f64_e32 v48, v[48:49]
	v_cvt_f32_f64_e32 v50, v[50:51]
	s_delay_alu instid0(VALU_DEP_1) | instskip(SKIP_2) | instid1(VALU_DEP_2)
	v_min3_f32 v95, v50, v48, v95
	v_add_f64 v[48:49], v[22:23], v[46:47]
	v_add_f64 v[50:51], v[20:21], v[44:45]
	v_cvt_f32_f64_e32 v48, v[48:49]
	s_delay_alu instid0(VALU_DEP_2) | instskip(NEXT) | instid1(VALU_DEP_1)
	v_cvt_f32_f64_e32 v50, v[50:51]
	v_min3_f32 v94, v50, v48, v94
	v_add_f64 v[48:49], v[14:15], v[46:47]
	v_add_f64 v[50:51], v[12:13], v[44:45]
	s_delay_alu instid0(VALU_DEP_2) | instskip(NEXT) | instid1(VALU_DEP_2)
	v_cvt_f32_f64_e32 v48, v[48:49]
	v_cvt_f32_f64_e32 v50, v[50:51]
	s_delay_alu instid0(VALU_DEP_1) | instskip(SKIP_2) | instid1(VALU_DEP_2)
	v_min3_f32 v93, v50, v48, v93
	v_add_f64 v[48:49], v[10:11], v[46:47]
	v_add_f64 v[50:51], v[8:9], v[44:45]
	v_cvt_f32_f64_e32 v48, v[48:49]
	s_delay_alu instid0(VALU_DEP_2) | instskip(NEXT) | instid1(VALU_DEP_1)
	v_cvt_f32_f64_e32 v50, v[50:51]
	v_min3_f32 v92, v50, v48, v92
	v_add_f64 v[48:49], v[6:7], v[46:47]
	v_add_f64 v[50:51], v[4:5], v[44:45]
	;; [unrolled: 1-line block ×4, first 2 shown]
	s_delay_alu instid0(VALU_DEP_4) | instskip(NEXT) | instid1(VALU_DEP_4)
	v_cvt_f32_f64_e32 v48, v[48:49]
	v_cvt_f32_f64_e32 v50, v[50:51]
	s_delay_alu instid0(VALU_DEP_3) | instskip(SKIP_3) | instid1(VALU_DEP_4)
	v_cvt_f32_f64_e32 v44, v[44:45]
	v_cvt_f32_f64_e32 v45, v[46:47]
	s_waitcnt lgkmcnt(2)
	v_add_f64 v[46:47], v[32:33], v[40:41]
	v_min3_f32 v91, v50, v48, v91
	s_delay_alu instid0(VALU_DEP_3) | instskip(SKIP_1) | instid1(VALU_DEP_4)
	v_min3_f32 v90, v44, v45, v90
	v_add_f64 v[44:45], v[34:35], v[42:43]
	v_cvt_f32_f64_e32 v46, v[46:47]
	s_delay_alu instid0(VALU_DEP_2) | instskip(NEXT) | instid1(VALU_DEP_1)
	v_cvt_f32_f64_e32 v44, v[44:45]
	v_min3_f32 v89, v46, v44, v89
	v_add_f64 v[44:45], v[30:31], v[42:43]
	v_add_f64 v[46:47], v[28:29], v[40:41]
	s_delay_alu instid0(VALU_DEP_2) | instskip(NEXT) | instid1(VALU_DEP_2)
	v_cvt_f32_f64_e32 v44, v[44:45]
	v_cvt_f32_f64_e32 v46, v[46:47]
	s_delay_alu instid0(VALU_DEP_1) | instskip(SKIP_2) | instid1(VALU_DEP_2)
	v_min3_f32 v88, v46, v44, v88
	v_add_f64 v[44:45], v[26:27], v[42:43]
	v_add_f64 v[46:47], v[24:25], v[40:41]
	v_cvt_f32_f64_e32 v44, v[44:45]
	s_delay_alu instid0(VALU_DEP_2) | instskip(NEXT) | instid1(VALU_DEP_1)
	v_cvt_f32_f64_e32 v46, v[46:47]
	v_min3_f32 v87, v46, v44, v87
	v_add_f64 v[44:45], v[22:23], v[42:43]
	v_add_f64 v[46:47], v[20:21], v[40:41]
	s_delay_alu instid0(VALU_DEP_2) | instskip(NEXT) | instid1(VALU_DEP_2)
	v_cvt_f32_f64_e32 v44, v[44:45]
	v_cvt_f32_f64_e32 v46, v[46:47]
	s_delay_alu instid0(VALU_DEP_1) | instskip(SKIP_2) | instid1(VALU_DEP_2)
	v_min3_f32 v86, v46, v44, v86
	v_add_f64 v[44:45], v[14:15], v[42:43]
	v_add_f64 v[46:47], v[12:13], v[40:41]
	v_cvt_f32_f64_e32 v44, v[44:45]
	s_delay_alu instid0(VALU_DEP_2) | instskip(NEXT) | instid1(VALU_DEP_1)
	v_cvt_f32_f64_e32 v46, v[46:47]
	v_min3_f32 v85, v46, v44, v85
	v_add_f64 v[44:45], v[10:11], v[42:43]
	v_add_f64 v[46:47], v[8:9], v[40:41]
	s_delay_alu instid0(VALU_DEP_2) | instskip(NEXT) | instid1(VALU_DEP_2)
	v_cvt_f32_f64_e32 v44, v[44:45]
	v_cvt_f32_f64_e32 v46, v[46:47]
	s_delay_alu instid0(VALU_DEP_1) | instskip(SKIP_4) | instid1(VALU_DEP_4)
	v_min3_f32 v84, v46, v44, v84
	v_add_f64 v[44:45], v[6:7], v[42:43]
	v_add_f64 v[46:47], v[4:5], v[40:41]
	v_add_f64 v[42:43], v[2:3], v[42:43]
	v_add_f64 v[40:41], v[0:1], v[40:41]
	v_cvt_f32_f64_e32 v44, v[44:45]
	s_delay_alu instid0(VALU_DEP_4) | instskip(NEXT) | instid1(VALU_DEP_3)
	v_cvt_f32_f64_e32 v46, v[46:47]
	v_cvt_f32_f64_e32 v40, v[40:41]
	;; [unrolled: 1-line block ×3, first 2 shown]
	s_waitcnt lgkmcnt(1)
	v_add_f64 v[42:43], v[32:33], v[36:37]
	s_waitcnt lgkmcnt(0)
	v_add_f64 v[32:33], v[32:33], v[16:17]
	v_min3_f32 v83, v46, v44, v83
	s_delay_alu instid0(VALU_DEP_4) | instskip(SKIP_4) | instid1(VALU_DEP_4)
	v_min3_f32 v82, v40, v41, v82
	v_add_f64 v[40:41], v[34:35], v[38:39]
	v_cvt_f32_f64_e32 v42, v[42:43]
	v_add_f64 v[34:35], v[34:35], v[18:19]
	v_cvt_f32_f64_e32 v32, v[32:33]
	v_cvt_f32_f64_e32 v40, v[40:41]
	s_delay_alu instid0(VALU_DEP_3) | instskip(NEXT) | instid1(VALU_DEP_2)
	v_cvt_f32_f64_e32 v33, v[34:35]
	v_min3_f32 v81, v42, v40, v81
	v_add_f64 v[40:41], v[30:31], v[38:39]
	v_add_f64 v[42:43], v[28:29], v[36:37]
	v_add_f64 v[30:31], v[30:31], v[18:19]
	v_add_f64 v[28:29], v[28:29], v[16:17]
	v_min3_f32 v73, v32, v33, v73
	v_cvt_f32_f64_e32 v40, v[40:41]
	v_cvt_f32_f64_e32 v42, v[42:43]
	s_delay_alu instid0(VALU_DEP_4) | instskip(SKIP_1) | instid1(VALU_DEP_3)
	v_cvt_f32_f64_e32 v28, v[28:29]
	v_cvt_f32_f64_e32 v29, v[30:31]
	v_min3_f32 v80, v42, v40, v80
	v_add_f64 v[40:41], v[26:27], v[38:39]
	v_add_f64 v[42:43], v[24:25], v[36:37]
	v_add_f64 v[26:27], v[26:27], v[18:19]
	v_add_f64 v[24:25], v[24:25], v[16:17]
	v_min3_f32 v72, v28, v29, v72
	v_cvt_f32_f64_e32 v40, v[40:41]
	v_cvt_f32_f64_e32 v42, v[42:43]
	s_delay_alu instid0(VALU_DEP_4) | instskip(SKIP_1) | instid1(VALU_DEP_3)
	v_cvt_f32_f64_e32 v24, v[24:25]
	;; [unrolled: 11-line block ×5, first 2 shown]
	v_cvt_f32_f64_e32 v9, v[10:11]
	v_min3_f32 v76, v42, v40, v76
	v_add_f64 v[40:41], v[6:7], v[38:39]
	v_add_f64 v[42:43], v[4:5], v[36:37]
	;; [unrolled: 1-line block ×8, first 2 shown]
	v_min3_f32 v68, v8, v9, v68
	v_cvt_f32_f64_e32 v40, v[40:41]
	v_cvt_f32_f64_e32 v42, v[42:43]
	;; [unrolled: 1-line block ×8, first 2 shown]
	v_min3_f32 v75, v42, v40, v75
	v_min3_f32 v74, v36, v37, v74
	;; [unrolled: 1-line block ×3, first 2 shown]
	s_delay_alu instid0(VALU_DEP_4)
	v_min3_f32 v66, v0, v1, v66
	s_cbranch_vccz .LBB178_58
; %bb.59:
	s_clause 0x2
	s_load_b64 s[2:3], s[0:1], 0x78
	s_load_b32 s18, s[0:1], 0x58
	s_load_b32 s9, s[0:1], 0x70
	v_add_nc_u32_e32 v19, s19, v123
	v_add_nc_u32_e32 v0, s14, v122
	v_cndmask_b32_e64 v18, 0, 1, s29
	s_delay_alu instid0(VALU_DEP_3) | instskip(NEXT) | instid1(VALU_DEP_3)
	v_cmp_gt_i32_e64 s8, s17, v19
	v_cmp_gt_i32_e64 s0, s16, v0
	v_ashrrev_i32_e32 v1, 31, v0
	s_waitcnt lgkmcnt(0)
	s_mul_i32 s1, s15, s3
	v_mad_i64_i32 v[2:3], null, v19, s18, 0
	v_mad_i64_i32 v[4:5], null, v19, s9, 0
	s_mul_hi_u32 s3, s15, s2
	s_mul_i32 s4, s28, s2
	s_add_i32 s1, s3, s1
	s_mul_i32 s2, s15, s2
	s_delay_alu instid0(VALU_DEP_2) | instskip(SKIP_1) | instid1(VALU_DEP_2)
	v_lshlrev_b64 v[2:3], 3, v[2:3]
	s_add_i32 s3, s1, s4
	v_lshlrev_b64 v[4:5], 3, v[4:5]
	s_lshl_b64 s[2:3], s[2:3], 3
	s_delay_alu instid0(SALU_CYCLE_1) | instskip(NEXT) | instid1(VALU_DEP_2)
	s_add_u32 s14, s22, s2
	v_add_co_u32 v16, vcc_lo, s12, v2
	v_add_co_ci_u32_e32 v17, vcc_lo, s13, v3, vcc_lo
	s_addc_u32 s15, s23, s3
	v_add_co_u32 v20, vcc_lo, s14, v4
	v_add_co_ci_u32_e32 v21, vcc_lo, s15, v5, vcc_lo
	s_and_b32 s2, s0, s8
	s_delay_alu instid0(SALU_CYCLE_1)
	s_and_saveexec_b32 s1, s2
	s_cbranch_execz .LBB178_64
; %bb.60:
	s_and_not1_b32 vcc_lo, exec_lo, s29
	s_cbranch_vccnz .LBB178_62
; %bb.61:
	v_lshlrev_b64 v[2:3], 3, v[0:1]
	s_delay_alu instid0(VALU_DEP_1) | instskip(NEXT) | instid1(VALU_DEP_2)
	v_add_co_u32 v2, vcc_lo, v16, v2
	v_add_co_ci_u32_e32 v3, vcc_lo, v17, v3, vcc_lo
	flat_load_b64 v[2:3], v[2:3]
	s_waitcnt vmcnt(0) lgkmcnt(0)
	v_mul_f64 v[2:3], v[2:3], s[10:11]
	s_branch .LBB178_63
.LBB178_62:
	v_mov_b32_e32 v2, 0
	v_mov_b32_e32 v3, 0
.LBB178_63:
	s_delay_alu instid0(VALU_DEP_1) | instskip(SKIP_2) | instid1(VALU_DEP_1)
	v_cvt_f32_f64_e32 v2, v[2:3]
	v_max_f32_e32 v3, v131, v131
	v_lshlrev_b64 v[4:5], 3, v[0:1]
	v_add_co_u32 v4, vcc_lo, v20, v4
	s_delay_alu instid0(VALU_DEP_2) | instskip(NEXT) | instid1(VALU_DEP_4)
	v_add_co_ci_u32_e32 v5, vcc_lo, v21, v5, vcc_lo
	v_min_f32_e32 v2, v2, v3
	s_delay_alu instid0(VALU_DEP_1)
	v_cvt_f64_f32_e32 v[2:3], v2
	global_store_b64 v[4:5], v[2:3], off
.LBB178_64:
	s_or_b32 exec_lo, exec_lo, s1
	v_add_nc_u32_e32 v2, 8, v0
	s_delay_alu instid0(VALU_DEP_1) | instskip(SKIP_1) | instid1(VALU_DEP_2)
	v_cmp_gt_i32_e64 s1, s16, v2
	v_ashrrev_i32_e32 v3, 31, v2
	s_and_b32 s3, s1, s8
	s_delay_alu instid0(SALU_CYCLE_1)
	s_and_saveexec_b32 s2, s3
	s_cbranch_execz .LBB178_69
; %bb.65:
	v_cmp_ne_u32_e32 vcc_lo, 1, v18
	s_cbranch_vccnz .LBB178_67
; %bb.66:
	v_lshlrev_b64 v[4:5], 3, v[2:3]
	s_delay_alu instid0(VALU_DEP_1) | instskip(NEXT) | instid1(VALU_DEP_2)
	v_add_co_u32 v4, vcc_lo, v16, v4
	v_add_co_ci_u32_e32 v5, vcc_lo, v17, v5, vcc_lo
	flat_load_b64 v[4:5], v[4:5]
	s_waitcnt vmcnt(0) lgkmcnt(0)
	v_mul_f64 v[4:5], v[4:5], s[10:11]
	s_branch .LBB178_68
.LBB178_67:
	v_mov_b32_e32 v4, 0
	v_mov_b32_e32 v5, 0
.LBB178_68:
	s_delay_alu instid0(VALU_DEP_1) | instskip(SKIP_2) | instid1(VALU_DEP_1)
	v_cvt_f32_f64_e32 v4, v[4:5]
	v_max_f32_e32 v5, v130, v130
	v_lshlrev_b64 v[6:7], 3, v[2:3]
	v_add_co_u32 v6, vcc_lo, v20, v6
	s_delay_alu instid0(VALU_DEP_2) | instskip(NEXT) | instid1(VALU_DEP_4)
	v_add_co_ci_u32_e32 v7, vcc_lo, v21, v7, vcc_lo
	v_min_f32_e32 v4, v4, v5
	s_delay_alu instid0(VALU_DEP_1)
	v_cvt_f64_f32_e32 v[4:5], v4
	global_store_b64 v[6:7], v[4:5], off
.LBB178_69:
	s_or_b32 exec_lo, exec_lo, s2
	v_add_nc_u32_e32 v4, 16, v0
	s_delay_alu instid0(VALU_DEP_1) | instskip(SKIP_1) | instid1(VALU_DEP_2)
	v_cmp_gt_i32_e64 s2, s16, v4
	v_ashrrev_i32_e32 v5, 31, v4
	s_and_b32 s4, s2, s8
	s_delay_alu instid0(SALU_CYCLE_1)
	s_and_saveexec_b32 s3, s4
	s_cbranch_execz .LBB178_74
; %bb.70:
	v_cmp_ne_u32_e32 vcc_lo, 1, v18
	s_cbranch_vccnz .LBB178_72
; %bb.71:
	v_lshlrev_b64 v[6:7], 3, v[4:5]
	s_delay_alu instid0(VALU_DEP_1) | instskip(NEXT) | instid1(VALU_DEP_2)
	v_add_co_u32 v6, vcc_lo, v16, v6
	v_add_co_ci_u32_e32 v7, vcc_lo, v17, v7, vcc_lo
	flat_load_b64 v[6:7], v[6:7]
	s_waitcnt vmcnt(0) lgkmcnt(0)
	v_mul_f64 v[6:7], v[6:7], s[10:11]
	s_branch .LBB178_73
.LBB178_72:
	v_mov_b32_e32 v6, 0
	v_mov_b32_e32 v7, 0
.LBB178_73:
	s_delay_alu instid0(VALU_DEP_1) | instskip(SKIP_2) | instid1(VALU_DEP_1)
	v_cvt_f32_f64_e32 v6, v[6:7]
	v_max_f32_e32 v7, v129, v129
	v_lshlrev_b64 v[8:9], 3, v[4:5]
	v_add_co_u32 v8, vcc_lo, v20, v8
	s_delay_alu instid0(VALU_DEP_2) | instskip(NEXT) | instid1(VALU_DEP_4)
	v_add_co_ci_u32_e32 v9, vcc_lo, v21, v9, vcc_lo
	v_min_f32_e32 v6, v6, v7
	s_delay_alu instid0(VALU_DEP_1)
	v_cvt_f64_f32_e32 v[6:7], v6
	global_store_b64 v[8:9], v[6:7], off
.LBB178_74:
	;; [unrolled: 37-line block ×7, first 2 shown]
	s_or_b32 exec_lo, exec_lo, s8
	v_add_nc_u32_e32 v22, 32, v19
	s_delay_alu instid0(VALU_DEP_1) | instskip(SKIP_2) | instid1(VALU_DEP_3)
	v_mad_i64_i32 v[16:17], null, v22, s18, 0
	v_mad_i64_i32 v[20:21], null, v22, s9, 0
	v_cmp_gt_i32_e64 s8, s17, v22
	v_lshlrev_b64 v[16:17], 3, v[16:17]
	s_delay_alu instid0(VALU_DEP_2) | instskip(NEXT) | instid1(VALU_DEP_3)
	s_and_b32 s19, s0, s8
	v_lshlrev_b64 v[20:21], 3, v[20:21]
	s_delay_alu instid0(VALU_DEP_2) | instskip(NEXT) | instid1(VALU_DEP_3)
	v_add_co_u32 v22, vcc_lo, s12, v16
	v_add_co_ci_u32_e32 v23, vcc_lo, s13, v17, vcc_lo
	s_delay_alu instid0(VALU_DEP_3) | instskip(NEXT) | instid1(VALU_DEP_4)
	v_add_co_u32 v20, vcc_lo, s14, v20
	v_add_co_ci_u32_e32 v21, vcc_lo, s15, v21, vcc_lo
	s_and_saveexec_b32 s16, s19
	s_cbranch_execnz .LBB178_107
; %bb.100:
	s_or_b32 exec_lo, exec_lo, s16
	s_and_b32 s19, s1, s8
	s_delay_alu instid0(SALU_CYCLE_1)
	s_and_saveexec_b32 s16, s19
	s_cbranch_execnz .LBB178_111
.LBB178_101:
	s_or_b32 exec_lo, exec_lo, s16
	s_and_b32 s19, s2, s8
	s_delay_alu instid0(SALU_CYCLE_1)
	s_and_saveexec_b32 s16, s19
	s_cbranch_execnz .LBB178_115
.LBB178_102:
	s_or_b32 exec_lo, exec_lo, s16
	s_and_b32 s19, s3, s8
	s_delay_alu instid0(SALU_CYCLE_1)
	s_and_saveexec_b32 s16, s19
	s_cbranch_execnz .LBB178_119
.LBB178_103:
	s_or_b32 exec_lo, exec_lo, s16
	s_and_b32 s19, s4, s8
	s_delay_alu instid0(SALU_CYCLE_1)
	s_and_saveexec_b32 s16, s19
	s_cbranch_execnz .LBB178_123
.LBB178_104:
	s_or_b32 exec_lo, exec_lo, s16
	s_and_b32 s19, s5, s8
	s_delay_alu instid0(SALU_CYCLE_1)
	s_and_saveexec_b32 s16, s19
	s_cbranch_execnz .LBB178_127
.LBB178_105:
	s_or_b32 exec_lo, exec_lo, s16
	s_and_b32 s19, s6, s8
	s_delay_alu instid0(SALU_CYCLE_1)
	s_and_saveexec_b32 s16, s19
	s_cbranch_execnz .LBB178_131
.LBB178_106:
	s_or_b32 exec_lo, exec_lo, s16
	s_and_b32 s16, s7, s8
	s_delay_alu instid0(SALU_CYCLE_1)
	s_and_saveexec_b32 s8, s16
	s_cbranch_execnz .LBB178_135
	s_branch .LBB178_139
.LBB178_107:
	v_cmp_ne_u32_e32 vcc_lo, 1, v18
	s_cbranch_vccnz .LBB178_109
; %bb.108:
	v_lshlrev_b64 v[16:17], 3, v[0:1]
	s_delay_alu instid0(VALU_DEP_1) | instskip(NEXT) | instid1(VALU_DEP_2)
	v_add_co_u32 v16, vcc_lo, v22, v16
	v_add_co_ci_u32_e32 v17, vcc_lo, v23, v17, vcc_lo
	flat_load_b64 v[16:17], v[16:17]
	s_waitcnt vmcnt(0) lgkmcnt(0)
	v_mul_f64 v[16:17], v[16:17], s[10:11]
	s_branch .LBB178_110
.LBB178_109:
	v_mov_b32_e32 v16, 0
	v_mov_b32_e32 v17, 0
.LBB178_110:
	s_delay_alu instid0(VALU_DEP_1) | instskip(SKIP_2) | instid1(VALU_DEP_1)
	v_cvt_f32_f64_e32 v16, v[16:17]
	v_max_f32_e32 v17, v121, v121
	v_lshlrev_b64 v[24:25], 3, v[0:1]
	v_add_co_u32 v24, vcc_lo, v20, v24
	s_delay_alu instid0(VALU_DEP_2) | instskip(NEXT) | instid1(VALU_DEP_4)
	v_add_co_ci_u32_e32 v25, vcc_lo, v21, v25, vcc_lo
	v_min_f32_e32 v16, v16, v17
	s_delay_alu instid0(VALU_DEP_1) | instskip(SKIP_3) | instid1(SALU_CYCLE_1)
	v_cvt_f64_f32_e32 v[16:17], v16
	global_store_b64 v[24:25], v[16:17], off
	s_or_b32 exec_lo, exec_lo, s16
	s_and_b32 s19, s1, s8
	s_and_saveexec_b32 s16, s19
	s_cbranch_execz .LBB178_101
.LBB178_111:
	v_cmp_ne_u32_e32 vcc_lo, 1, v18
	s_cbranch_vccnz .LBB178_113
; %bb.112:
	v_lshlrev_b64 v[16:17], 3, v[2:3]
	s_delay_alu instid0(VALU_DEP_1) | instskip(NEXT) | instid1(VALU_DEP_2)
	v_add_co_u32 v16, vcc_lo, v22, v16
	v_add_co_ci_u32_e32 v17, vcc_lo, v23, v17, vcc_lo
	flat_load_b64 v[16:17], v[16:17]
	s_waitcnt vmcnt(0) lgkmcnt(0)
	v_mul_f64 v[16:17], v[16:17], s[10:11]
	s_branch .LBB178_114
.LBB178_113:
	v_mov_b32_e32 v16, 0
	v_mov_b32_e32 v17, 0
.LBB178_114:
	s_delay_alu instid0(VALU_DEP_1) | instskip(SKIP_2) | instid1(VALU_DEP_1)
	v_cvt_f32_f64_e32 v16, v[16:17]
	v_max_f32_e32 v17, v120, v120
	v_lshlrev_b64 v[24:25], 3, v[2:3]
	v_add_co_u32 v24, vcc_lo, v20, v24
	s_delay_alu instid0(VALU_DEP_2) | instskip(NEXT) | instid1(VALU_DEP_4)
	v_add_co_ci_u32_e32 v25, vcc_lo, v21, v25, vcc_lo
	v_min_f32_e32 v16, v16, v17
	s_delay_alu instid0(VALU_DEP_1) | instskip(SKIP_3) | instid1(SALU_CYCLE_1)
	v_cvt_f64_f32_e32 v[16:17], v16
	global_store_b64 v[24:25], v[16:17], off
	s_or_b32 exec_lo, exec_lo, s16
	s_and_b32 s19, s2, s8
	s_and_saveexec_b32 s16, s19
	s_cbranch_execz .LBB178_102
.LBB178_115:
	v_cmp_ne_u32_e32 vcc_lo, 1, v18
	s_cbranch_vccnz .LBB178_117
; %bb.116:
	v_lshlrev_b64 v[16:17], 3, v[4:5]
	s_delay_alu instid0(VALU_DEP_1) | instskip(NEXT) | instid1(VALU_DEP_2)
	v_add_co_u32 v16, vcc_lo, v22, v16
	v_add_co_ci_u32_e32 v17, vcc_lo, v23, v17, vcc_lo
	flat_load_b64 v[16:17], v[16:17]
	s_waitcnt vmcnt(0) lgkmcnt(0)
	v_mul_f64 v[16:17], v[16:17], s[10:11]
	s_branch .LBB178_118
.LBB178_117:
	v_mov_b32_e32 v16, 0
	v_mov_b32_e32 v17, 0
.LBB178_118:
	s_delay_alu instid0(VALU_DEP_1) | instskip(SKIP_2) | instid1(VALU_DEP_1)
	v_cvt_f32_f64_e32 v16, v[16:17]
	v_max_f32_e32 v17, v119, v119
	v_lshlrev_b64 v[24:25], 3, v[4:5]
	v_add_co_u32 v24, vcc_lo, v20, v24
	s_delay_alu instid0(VALU_DEP_2) | instskip(NEXT) | instid1(VALU_DEP_4)
	v_add_co_ci_u32_e32 v25, vcc_lo, v21, v25, vcc_lo
	v_min_f32_e32 v16, v16, v17
	s_delay_alu instid0(VALU_DEP_1) | instskip(SKIP_3) | instid1(SALU_CYCLE_1)
	v_cvt_f64_f32_e32 v[16:17], v16
	global_store_b64 v[24:25], v[16:17], off
	s_or_b32 exec_lo, exec_lo, s16
	s_and_b32 s19, s3, s8
	s_and_saveexec_b32 s16, s19
	s_cbranch_execz .LBB178_103
.LBB178_119:
	v_cmp_ne_u32_e32 vcc_lo, 1, v18
	s_cbranch_vccnz .LBB178_121
; %bb.120:
	v_lshlrev_b64 v[16:17], 3, v[6:7]
	s_delay_alu instid0(VALU_DEP_1) | instskip(NEXT) | instid1(VALU_DEP_2)
	v_add_co_u32 v16, vcc_lo, v22, v16
	v_add_co_ci_u32_e32 v17, vcc_lo, v23, v17, vcc_lo
	flat_load_b64 v[16:17], v[16:17]
	s_waitcnt vmcnt(0) lgkmcnt(0)
	v_mul_f64 v[16:17], v[16:17], s[10:11]
	s_branch .LBB178_122
.LBB178_121:
	v_mov_b32_e32 v16, 0
	v_mov_b32_e32 v17, 0
.LBB178_122:
	s_delay_alu instid0(VALU_DEP_1) | instskip(SKIP_2) | instid1(VALU_DEP_1)
	v_cvt_f32_f64_e32 v16, v[16:17]
	v_max_f32_e32 v17, v118, v118
	v_lshlrev_b64 v[24:25], 3, v[6:7]
	v_add_co_u32 v24, vcc_lo, v20, v24
	s_delay_alu instid0(VALU_DEP_2) | instskip(NEXT) | instid1(VALU_DEP_4)
	v_add_co_ci_u32_e32 v25, vcc_lo, v21, v25, vcc_lo
	v_min_f32_e32 v16, v16, v17
	s_delay_alu instid0(VALU_DEP_1) | instskip(SKIP_3) | instid1(SALU_CYCLE_1)
	v_cvt_f64_f32_e32 v[16:17], v16
	global_store_b64 v[24:25], v[16:17], off
	s_or_b32 exec_lo, exec_lo, s16
	s_and_b32 s19, s4, s8
	s_and_saveexec_b32 s16, s19
	s_cbranch_execz .LBB178_104
.LBB178_123:
	v_cmp_ne_u32_e32 vcc_lo, 1, v18
	s_cbranch_vccnz .LBB178_125
; %bb.124:
	v_lshlrev_b64 v[16:17], 3, v[8:9]
	s_delay_alu instid0(VALU_DEP_1) | instskip(NEXT) | instid1(VALU_DEP_2)
	v_add_co_u32 v16, vcc_lo, v22, v16
	v_add_co_ci_u32_e32 v17, vcc_lo, v23, v17, vcc_lo
	flat_load_b64 v[16:17], v[16:17]
	s_waitcnt vmcnt(0) lgkmcnt(0)
	v_mul_f64 v[16:17], v[16:17], s[10:11]
	s_branch .LBB178_126
.LBB178_125:
	v_mov_b32_e32 v16, 0
	v_mov_b32_e32 v17, 0
.LBB178_126:
	s_delay_alu instid0(VALU_DEP_1) | instskip(SKIP_2) | instid1(VALU_DEP_1)
	v_cvt_f32_f64_e32 v16, v[16:17]
	v_max_f32_e32 v17, v117, v117
	v_lshlrev_b64 v[24:25], 3, v[8:9]
	v_add_co_u32 v24, vcc_lo, v20, v24
	s_delay_alu instid0(VALU_DEP_2) | instskip(NEXT) | instid1(VALU_DEP_4)
	v_add_co_ci_u32_e32 v25, vcc_lo, v21, v25, vcc_lo
	v_min_f32_e32 v16, v16, v17
	s_delay_alu instid0(VALU_DEP_1) | instskip(SKIP_3) | instid1(SALU_CYCLE_1)
	v_cvt_f64_f32_e32 v[16:17], v16
	global_store_b64 v[24:25], v[16:17], off
	s_or_b32 exec_lo, exec_lo, s16
	s_and_b32 s19, s5, s8
	s_and_saveexec_b32 s16, s19
	s_cbranch_execz .LBB178_105
.LBB178_127:
	v_cmp_ne_u32_e32 vcc_lo, 1, v18
	s_cbranch_vccnz .LBB178_129
; %bb.128:
	v_lshlrev_b64 v[16:17], 3, v[10:11]
	s_delay_alu instid0(VALU_DEP_1) | instskip(NEXT) | instid1(VALU_DEP_2)
	v_add_co_u32 v16, vcc_lo, v22, v16
	v_add_co_ci_u32_e32 v17, vcc_lo, v23, v17, vcc_lo
	flat_load_b64 v[16:17], v[16:17]
	s_waitcnt vmcnt(0) lgkmcnt(0)
	v_mul_f64 v[16:17], v[16:17], s[10:11]
	s_branch .LBB178_130
.LBB178_129:
	v_mov_b32_e32 v16, 0
	v_mov_b32_e32 v17, 0
.LBB178_130:
	s_delay_alu instid0(VALU_DEP_1) | instskip(SKIP_2) | instid1(VALU_DEP_1)
	v_cvt_f32_f64_e32 v16, v[16:17]
	v_max_f32_e32 v17, v116, v116
	v_lshlrev_b64 v[24:25], 3, v[10:11]
	v_add_co_u32 v24, vcc_lo, v20, v24
	s_delay_alu instid0(VALU_DEP_2) | instskip(NEXT) | instid1(VALU_DEP_4)
	v_add_co_ci_u32_e32 v25, vcc_lo, v21, v25, vcc_lo
	v_min_f32_e32 v16, v16, v17
	s_delay_alu instid0(VALU_DEP_1) | instskip(SKIP_3) | instid1(SALU_CYCLE_1)
	v_cvt_f64_f32_e32 v[16:17], v16
	global_store_b64 v[24:25], v[16:17], off
	s_or_b32 exec_lo, exec_lo, s16
	s_and_b32 s19, s6, s8
	s_and_saveexec_b32 s16, s19
	s_cbranch_execz .LBB178_106
.LBB178_131:
	v_cmp_ne_u32_e32 vcc_lo, 1, v18
	s_cbranch_vccnz .LBB178_133
; %bb.132:
	v_lshlrev_b64 v[16:17], 3, v[12:13]
	s_delay_alu instid0(VALU_DEP_1) | instskip(NEXT) | instid1(VALU_DEP_2)
	v_add_co_u32 v16, vcc_lo, v22, v16
	v_add_co_ci_u32_e32 v17, vcc_lo, v23, v17, vcc_lo
	flat_load_b64 v[16:17], v[16:17]
	s_waitcnt vmcnt(0) lgkmcnt(0)
	v_mul_f64 v[16:17], v[16:17], s[10:11]
	s_branch .LBB178_134
.LBB178_133:
	v_mov_b32_e32 v16, 0
	v_mov_b32_e32 v17, 0
.LBB178_134:
	s_delay_alu instid0(VALU_DEP_1) | instskip(SKIP_2) | instid1(VALU_DEP_1)
	v_cvt_f32_f64_e32 v16, v[16:17]
	v_max_f32_e32 v17, v115, v115
	v_lshlrev_b64 v[24:25], 3, v[12:13]
	v_add_co_u32 v24, vcc_lo, v20, v24
	s_delay_alu instid0(VALU_DEP_2) | instskip(NEXT) | instid1(VALU_DEP_4)
	v_add_co_ci_u32_e32 v25, vcc_lo, v21, v25, vcc_lo
	v_min_f32_e32 v16, v16, v17
	s_delay_alu instid0(VALU_DEP_1) | instskip(SKIP_3) | instid1(SALU_CYCLE_1)
	v_cvt_f64_f32_e32 v[16:17], v16
	global_store_b64 v[24:25], v[16:17], off
	s_or_b32 exec_lo, exec_lo, s16
	s_and_b32 s16, s7, s8
	s_and_saveexec_b32 s8, s16
	s_cbranch_execz .LBB178_139
.LBB178_135:
	v_cmp_ne_u32_e32 vcc_lo, 1, v18
	s_cbranch_vccnz .LBB178_137
; %bb.136:
	v_lshlrev_b64 v[16:17], 3, v[14:15]
	s_delay_alu instid0(VALU_DEP_1) | instskip(NEXT) | instid1(VALU_DEP_2)
	v_add_co_u32 v16, vcc_lo, v22, v16
	v_add_co_ci_u32_e32 v17, vcc_lo, v23, v17, vcc_lo
	flat_load_b64 v[16:17], v[16:17]
	s_waitcnt vmcnt(0) lgkmcnt(0)
	v_mul_f64 v[16:17], v[16:17], s[10:11]
	s_branch .LBB178_138
.LBB178_137:
	v_mov_b32_e32 v16, 0
	v_mov_b32_e32 v17, 0
.LBB178_138:
	s_delay_alu instid0(VALU_DEP_1) | instskip(SKIP_2) | instid1(VALU_DEP_1)
	v_cvt_f32_f64_e32 v16, v[16:17]
	v_max_f32_e32 v17, v114, v114
	v_lshlrev_b64 v[22:23], 3, v[14:15]
	v_add_co_u32 v20, vcc_lo, v20, v22
	s_delay_alu instid0(VALU_DEP_2) | instskip(NEXT) | instid1(VALU_DEP_4)
	v_add_co_ci_u32_e32 v21, vcc_lo, v21, v23, vcc_lo
	v_min_f32_e32 v16, v16, v17
	s_delay_alu instid0(VALU_DEP_1)
	v_cvt_f64_f32_e32 v[16:17], v16
	global_store_b64 v[20:21], v[16:17], off
.LBB178_139:
	s_or_b32 exec_lo, exec_lo, s8
	v_add_nc_u32_e32 v22, 64, v19
	s_delay_alu instid0(VALU_DEP_1) | instskip(SKIP_2) | instid1(VALU_DEP_3)
	v_mad_i64_i32 v[16:17], null, v22, s18, 0
	v_mad_i64_i32 v[20:21], null, v22, s9, 0
	v_cmp_gt_i32_e64 s8, s17, v22
	v_lshlrev_b64 v[16:17], 3, v[16:17]
	s_delay_alu instid0(VALU_DEP_2) | instskip(NEXT) | instid1(VALU_DEP_3)
	s_and_b32 s19, s0, s8
	v_lshlrev_b64 v[20:21], 3, v[20:21]
	s_delay_alu instid0(VALU_DEP_2) | instskip(NEXT) | instid1(VALU_DEP_3)
	v_add_co_u32 v22, vcc_lo, s12, v16
	v_add_co_ci_u32_e32 v23, vcc_lo, s13, v17, vcc_lo
	s_delay_alu instid0(VALU_DEP_3) | instskip(NEXT) | instid1(VALU_DEP_4)
	v_add_co_u32 v20, vcc_lo, s14, v20
	v_add_co_ci_u32_e32 v21, vcc_lo, s15, v21, vcc_lo
	s_and_saveexec_b32 s16, s19
	s_cbranch_execnz .LBB178_147
; %bb.140:
	s_or_b32 exec_lo, exec_lo, s16
	s_and_b32 s19, s1, s8
	s_delay_alu instid0(SALU_CYCLE_1)
	s_and_saveexec_b32 s16, s19
	s_cbranch_execnz .LBB178_151
.LBB178_141:
	s_or_b32 exec_lo, exec_lo, s16
	s_and_b32 s19, s2, s8
	s_delay_alu instid0(SALU_CYCLE_1)
	s_and_saveexec_b32 s16, s19
	s_cbranch_execnz .LBB178_155
.LBB178_142:
	s_or_b32 exec_lo, exec_lo, s16
	s_and_b32 s19, s3, s8
	s_delay_alu instid0(SALU_CYCLE_1)
	s_and_saveexec_b32 s16, s19
	s_cbranch_execnz .LBB178_159
.LBB178_143:
	s_or_b32 exec_lo, exec_lo, s16
	s_and_b32 s19, s4, s8
	s_delay_alu instid0(SALU_CYCLE_1)
	s_and_saveexec_b32 s16, s19
	s_cbranch_execnz .LBB178_163
.LBB178_144:
	s_or_b32 exec_lo, exec_lo, s16
	s_and_b32 s19, s5, s8
	s_delay_alu instid0(SALU_CYCLE_1)
	s_and_saveexec_b32 s16, s19
	s_cbranch_execnz .LBB178_167
.LBB178_145:
	s_or_b32 exec_lo, exec_lo, s16
	s_and_b32 s19, s6, s8
	s_delay_alu instid0(SALU_CYCLE_1)
	s_and_saveexec_b32 s16, s19
	s_cbranch_execnz .LBB178_171
.LBB178_146:
	s_or_b32 exec_lo, exec_lo, s16
	s_and_b32 s16, s7, s8
	s_delay_alu instid0(SALU_CYCLE_1)
	s_and_saveexec_b32 s8, s16
	s_cbranch_execnz .LBB178_175
	s_branch .LBB178_179
.LBB178_147:
	v_cmp_ne_u32_e32 vcc_lo, 1, v18
	s_cbranch_vccnz .LBB178_149
; %bb.148:
	v_lshlrev_b64 v[16:17], 3, v[0:1]
	s_delay_alu instid0(VALU_DEP_1) | instskip(NEXT) | instid1(VALU_DEP_2)
	v_add_co_u32 v16, vcc_lo, v22, v16
	v_add_co_ci_u32_e32 v17, vcc_lo, v23, v17, vcc_lo
	flat_load_b64 v[16:17], v[16:17]
	s_waitcnt vmcnt(0) lgkmcnt(0)
	v_mul_f64 v[16:17], v[16:17], s[10:11]
	s_branch .LBB178_150
.LBB178_149:
	v_mov_b32_e32 v16, 0
	v_mov_b32_e32 v17, 0
.LBB178_150:
	s_delay_alu instid0(VALU_DEP_1) | instskip(SKIP_2) | instid1(VALU_DEP_1)
	v_cvt_f32_f64_e32 v16, v[16:17]
	v_max_f32_e32 v17, v113, v113
	v_lshlrev_b64 v[24:25], 3, v[0:1]
	v_add_co_u32 v24, vcc_lo, v20, v24
	s_delay_alu instid0(VALU_DEP_2) | instskip(NEXT) | instid1(VALU_DEP_4)
	v_add_co_ci_u32_e32 v25, vcc_lo, v21, v25, vcc_lo
	v_min_f32_e32 v16, v16, v17
	s_delay_alu instid0(VALU_DEP_1) | instskip(SKIP_3) | instid1(SALU_CYCLE_1)
	v_cvt_f64_f32_e32 v[16:17], v16
	global_store_b64 v[24:25], v[16:17], off
	s_or_b32 exec_lo, exec_lo, s16
	s_and_b32 s19, s1, s8
	s_and_saveexec_b32 s16, s19
	s_cbranch_execz .LBB178_141
.LBB178_151:
	v_cmp_ne_u32_e32 vcc_lo, 1, v18
	s_cbranch_vccnz .LBB178_153
; %bb.152:
	v_lshlrev_b64 v[16:17], 3, v[2:3]
	s_delay_alu instid0(VALU_DEP_1) | instskip(NEXT) | instid1(VALU_DEP_2)
	v_add_co_u32 v16, vcc_lo, v22, v16
	v_add_co_ci_u32_e32 v17, vcc_lo, v23, v17, vcc_lo
	flat_load_b64 v[16:17], v[16:17]
	s_waitcnt vmcnt(0) lgkmcnt(0)
	v_mul_f64 v[16:17], v[16:17], s[10:11]
	s_branch .LBB178_154
.LBB178_153:
	v_mov_b32_e32 v16, 0
	v_mov_b32_e32 v17, 0
.LBB178_154:
	s_delay_alu instid0(VALU_DEP_1) | instskip(SKIP_2) | instid1(VALU_DEP_1)
	v_cvt_f32_f64_e32 v16, v[16:17]
	v_max_f32_e32 v17, v112, v112
	v_lshlrev_b64 v[24:25], 3, v[2:3]
	v_add_co_u32 v24, vcc_lo, v20, v24
	s_delay_alu instid0(VALU_DEP_2) | instskip(NEXT) | instid1(VALU_DEP_4)
	v_add_co_ci_u32_e32 v25, vcc_lo, v21, v25, vcc_lo
	v_min_f32_e32 v16, v16, v17
	s_delay_alu instid0(VALU_DEP_1) | instskip(SKIP_3) | instid1(SALU_CYCLE_1)
	v_cvt_f64_f32_e32 v[16:17], v16
	global_store_b64 v[24:25], v[16:17], off
	s_or_b32 exec_lo, exec_lo, s16
	s_and_b32 s19, s2, s8
	s_and_saveexec_b32 s16, s19
	s_cbranch_execz .LBB178_142
.LBB178_155:
	v_cmp_ne_u32_e32 vcc_lo, 1, v18
	s_cbranch_vccnz .LBB178_157
; %bb.156:
	v_lshlrev_b64 v[16:17], 3, v[4:5]
	s_delay_alu instid0(VALU_DEP_1) | instskip(NEXT) | instid1(VALU_DEP_2)
	v_add_co_u32 v16, vcc_lo, v22, v16
	v_add_co_ci_u32_e32 v17, vcc_lo, v23, v17, vcc_lo
	flat_load_b64 v[16:17], v[16:17]
	s_waitcnt vmcnt(0) lgkmcnt(0)
	v_mul_f64 v[16:17], v[16:17], s[10:11]
	s_branch .LBB178_158
.LBB178_157:
	v_mov_b32_e32 v16, 0
	v_mov_b32_e32 v17, 0
.LBB178_158:
	s_delay_alu instid0(VALU_DEP_1) | instskip(SKIP_2) | instid1(VALU_DEP_1)
	v_cvt_f32_f64_e32 v16, v[16:17]
	v_max_f32_e32 v17, v111, v111
	v_lshlrev_b64 v[24:25], 3, v[4:5]
	v_add_co_u32 v24, vcc_lo, v20, v24
	s_delay_alu instid0(VALU_DEP_2) | instskip(NEXT) | instid1(VALU_DEP_4)
	v_add_co_ci_u32_e32 v25, vcc_lo, v21, v25, vcc_lo
	v_min_f32_e32 v16, v16, v17
	s_delay_alu instid0(VALU_DEP_1) | instskip(SKIP_3) | instid1(SALU_CYCLE_1)
	v_cvt_f64_f32_e32 v[16:17], v16
	global_store_b64 v[24:25], v[16:17], off
	s_or_b32 exec_lo, exec_lo, s16
	s_and_b32 s19, s3, s8
	s_and_saveexec_b32 s16, s19
	s_cbranch_execz .LBB178_143
.LBB178_159:
	v_cmp_ne_u32_e32 vcc_lo, 1, v18
	s_cbranch_vccnz .LBB178_161
; %bb.160:
	v_lshlrev_b64 v[16:17], 3, v[6:7]
	s_delay_alu instid0(VALU_DEP_1) | instskip(NEXT) | instid1(VALU_DEP_2)
	v_add_co_u32 v16, vcc_lo, v22, v16
	v_add_co_ci_u32_e32 v17, vcc_lo, v23, v17, vcc_lo
	flat_load_b64 v[16:17], v[16:17]
	s_waitcnt vmcnt(0) lgkmcnt(0)
	v_mul_f64 v[16:17], v[16:17], s[10:11]
	s_branch .LBB178_162
.LBB178_161:
	v_mov_b32_e32 v16, 0
	v_mov_b32_e32 v17, 0
.LBB178_162:
	s_delay_alu instid0(VALU_DEP_1) | instskip(SKIP_2) | instid1(VALU_DEP_1)
	v_cvt_f32_f64_e32 v16, v[16:17]
	v_max_f32_e32 v17, v110, v110
	v_lshlrev_b64 v[24:25], 3, v[6:7]
	v_add_co_u32 v24, vcc_lo, v20, v24
	s_delay_alu instid0(VALU_DEP_2) | instskip(NEXT) | instid1(VALU_DEP_4)
	v_add_co_ci_u32_e32 v25, vcc_lo, v21, v25, vcc_lo
	v_min_f32_e32 v16, v16, v17
	s_delay_alu instid0(VALU_DEP_1) | instskip(SKIP_3) | instid1(SALU_CYCLE_1)
	v_cvt_f64_f32_e32 v[16:17], v16
	global_store_b64 v[24:25], v[16:17], off
	s_or_b32 exec_lo, exec_lo, s16
	s_and_b32 s19, s4, s8
	s_and_saveexec_b32 s16, s19
	s_cbranch_execz .LBB178_144
.LBB178_163:
	v_cmp_ne_u32_e32 vcc_lo, 1, v18
	s_cbranch_vccnz .LBB178_165
; %bb.164:
	v_lshlrev_b64 v[16:17], 3, v[8:9]
	s_delay_alu instid0(VALU_DEP_1) | instskip(NEXT) | instid1(VALU_DEP_2)
	v_add_co_u32 v16, vcc_lo, v22, v16
	v_add_co_ci_u32_e32 v17, vcc_lo, v23, v17, vcc_lo
	flat_load_b64 v[16:17], v[16:17]
	s_waitcnt vmcnt(0) lgkmcnt(0)
	v_mul_f64 v[16:17], v[16:17], s[10:11]
	s_branch .LBB178_166
.LBB178_165:
	v_mov_b32_e32 v16, 0
	v_mov_b32_e32 v17, 0
.LBB178_166:
	s_delay_alu instid0(VALU_DEP_1) | instskip(SKIP_2) | instid1(VALU_DEP_1)
	v_cvt_f32_f64_e32 v16, v[16:17]
	v_max_f32_e32 v17, v109, v109
	v_lshlrev_b64 v[24:25], 3, v[8:9]
	v_add_co_u32 v24, vcc_lo, v20, v24
	s_delay_alu instid0(VALU_DEP_2) | instskip(NEXT) | instid1(VALU_DEP_4)
	v_add_co_ci_u32_e32 v25, vcc_lo, v21, v25, vcc_lo
	v_min_f32_e32 v16, v16, v17
	s_delay_alu instid0(VALU_DEP_1) | instskip(SKIP_3) | instid1(SALU_CYCLE_1)
	v_cvt_f64_f32_e32 v[16:17], v16
	global_store_b64 v[24:25], v[16:17], off
	s_or_b32 exec_lo, exec_lo, s16
	s_and_b32 s19, s5, s8
	s_and_saveexec_b32 s16, s19
	s_cbranch_execz .LBB178_145
.LBB178_167:
	v_cmp_ne_u32_e32 vcc_lo, 1, v18
	s_cbranch_vccnz .LBB178_169
; %bb.168:
	v_lshlrev_b64 v[16:17], 3, v[10:11]
	s_delay_alu instid0(VALU_DEP_1) | instskip(NEXT) | instid1(VALU_DEP_2)
	v_add_co_u32 v16, vcc_lo, v22, v16
	v_add_co_ci_u32_e32 v17, vcc_lo, v23, v17, vcc_lo
	flat_load_b64 v[16:17], v[16:17]
	s_waitcnt vmcnt(0) lgkmcnt(0)
	v_mul_f64 v[16:17], v[16:17], s[10:11]
	s_branch .LBB178_170
.LBB178_169:
	v_mov_b32_e32 v16, 0
	v_mov_b32_e32 v17, 0
.LBB178_170:
	s_delay_alu instid0(VALU_DEP_1) | instskip(SKIP_2) | instid1(VALU_DEP_1)
	v_cvt_f32_f64_e32 v16, v[16:17]
	v_max_f32_e32 v17, v108, v108
	v_lshlrev_b64 v[24:25], 3, v[10:11]
	v_add_co_u32 v24, vcc_lo, v20, v24
	s_delay_alu instid0(VALU_DEP_2) | instskip(NEXT) | instid1(VALU_DEP_4)
	v_add_co_ci_u32_e32 v25, vcc_lo, v21, v25, vcc_lo
	v_min_f32_e32 v16, v16, v17
	s_delay_alu instid0(VALU_DEP_1) | instskip(SKIP_3) | instid1(SALU_CYCLE_1)
	v_cvt_f64_f32_e32 v[16:17], v16
	global_store_b64 v[24:25], v[16:17], off
	s_or_b32 exec_lo, exec_lo, s16
	s_and_b32 s19, s6, s8
	s_and_saveexec_b32 s16, s19
	s_cbranch_execz .LBB178_146
.LBB178_171:
	v_cmp_ne_u32_e32 vcc_lo, 1, v18
	s_cbranch_vccnz .LBB178_173
; %bb.172:
	v_lshlrev_b64 v[16:17], 3, v[12:13]
	s_delay_alu instid0(VALU_DEP_1) | instskip(NEXT) | instid1(VALU_DEP_2)
	v_add_co_u32 v16, vcc_lo, v22, v16
	v_add_co_ci_u32_e32 v17, vcc_lo, v23, v17, vcc_lo
	flat_load_b64 v[16:17], v[16:17]
	s_waitcnt vmcnt(0) lgkmcnt(0)
	v_mul_f64 v[16:17], v[16:17], s[10:11]
	s_branch .LBB178_174
.LBB178_173:
	v_mov_b32_e32 v16, 0
	v_mov_b32_e32 v17, 0
.LBB178_174:
	s_delay_alu instid0(VALU_DEP_1) | instskip(SKIP_2) | instid1(VALU_DEP_1)
	v_cvt_f32_f64_e32 v16, v[16:17]
	v_max_f32_e32 v17, v107, v107
	v_lshlrev_b64 v[24:25], 3, v[12:13]
	v_add_co_u32 v24, vcc_lo, v20, v24
	s_delay_alu instid0(VALU_DEP_2) | instskip(NEXT) | instid1(VALU_DEP_4)
	v_add_co_ci_u32_e32 v25, vcc_lo, v21, v25, vcc_lo
	v_min_f32_e32 v16, v16, v17
	s_delay_alu instid0(VALU_DEP_1) | instskip(SKIP_3) | instid1(SALU_CYCLE_1)
	v_cvt_f64_f32_e32 v[16:17], v16
	global_store_b64 v[24:25], v[16:17], off
	s_or_b32 exec_lo, exec_lo, s16
	s_and_b32 s16, s7, s8
	s_and_saveexec_b32 s8, s16
	s_cbranch_execz .LBB178_179
.LBB178_175:
	v_cmp_ne_u32_e32 vcc_lo, 1, v18
	s_cbranch_vccnz .LBB178_177
; %bb.176:
	v_lshlrev_b64 v[16:17], 3, v[14:15]
	s_delay_alu instid0(VALU_DEP_1) | instskip(NEXT) | instid1(VALU_DEP_2)
	v_add_co_u32 v16, vcc_lo, v22, v16
	v_add_co_ci_u32_e32 v17, vcc_lo, v23, v17, vcc_lo
	flat_load_b64 v[16:17], v[16:17]
	s_waitcnt vmcnt(0) lgkmcnt(0)
	v_mul_f64 v[16:17], v[16:17], s[10:11]
	s_branch .LBB178_178
.LBB178_177:
	v_mov_b32_e32 v16, 0
	v_mov_b32_e32 v17, 0
.LBB178_178:
	s_delay_alu instid0(VALU_DEP_1) | instskip(SKIP_2) | instid1(VALU_DEP_1)
	v_cvt_f32_f64_e32 v16, v[16:17]
	v_max_f32_e32 v17, v106, v106
	v_lshlrev_b64 v[22:23], 3, v[14:15]
	v_add_co_u32 v20, vcc_lo, v20, v22
	s_delay_alu instid0(VALU_DEP_2) | instskip(NEXT) | instid1(VALU_DEP_4)
	v_add_co_ci_u32_e32 v21, vcc_lo, v21, v23, vcc_lo
	v_min_f32_e32 v16, v16, v17
	s_delay_alu instid0(VALU_DEP_1)
	v_cvt_f64_f32_e32 v[16:17], v16
	global_store_b64 v[20:21], v[16:17], off
.LBB178_179:
	s_or_b32 exec_lo, exec_lo, s8
	v_add_nc_u32_e32 v22, 0x60, v19
	s_delay_alu instid0(VALU_DEP_1) | instskip(SKIP_2) | instid1(VALU_DEP_3)
	v_mad_i64_i32 v[16:17], null, v22, s18, 0
	v_mad_i64_i32 v[20:21], null, v22, s9, 0
	v_cmp_gt_i32_e64 s8, s17, v22
	v_lshlrev_b64 v[16:17], 3, v[16:17]
	s_delay_alu instid0(VALU_DEP_2) | instskip(NEXT) | instid1(VALU_DEP_3)
	s_and_b32 s19, s0, s8
	v_lshlrev_b64 v[20:21], 3, v[20:21]
	s_delay_alu instid0(VALU_DEP_2) | instskip(NEXT) | instid1(VALU_DEP_3)
	v_add_co_u32 v22, vcc_lo, s12, v16
	v_add_co_ci_u32_e32 v23, vcc_lo, s13, v17, vcc_lo
	s_delay_alu instid0(VALU_DEP_3) | instskip(NEXT) | instid1(VALU_DEP_4)
	v_add_co_u32 v20, vcc_lo, s14, v20
	v_add_co_ci_u32_e32 v21, vcc_lo, s15, v21, vcc_lo
	s_and_saveexec_b32 s16, s19
	s_cbranch_execnz .LBB178_187
; %bb.180:
	s_or_b32 exec_lo, exec_lo, s16
	s_and_b32 s19, s1, s8
	s_delay_alu instid0(SALU_CYCLE_1)
	s_and_saveexec_b32 s16, s19
	s_cbranch_execnz .LBB178_191
.LBB178_181:
	s_or_b32 exec_lo, exec_lo, s16
	s_and_b32 s19, s2, s8
	s_delay_alu instid0(SALU_CYCLE_1)
	s_and_saveexec_b32 s16, s19
	s_cbranch_execnz .LBB178_195
.LBB178_182:
	s_or_b32 exec_lo, exec_lo, s16
	s_and_b32 s19, s3, s8
	s_delay_alu instid0(SALU_CYCLE_1)
	s_and_saveexec_b32 s16, s19
	s_cbranch_execnz .LBB178_199
.LBB178_183:
	s_or_b32 exec_lo, exec_lo, s16
	s_and_b32 s19, s4, s8
	s_delay_alu instid0(SALU_CYCLE_1)
	s_and_saveexec_b32 s16, s19
	s_cbranch_execnz .LBB178_203
.LBB178_184:
	s_or_b32 exec_lo, exec_lo, s16
	s_and_b32 s19, s5, s8
	s_delay_alu instid0(SALU_CYCLE_1)
	s_and_saveexec_b32 s16, s19
	s_cbranch_execnz .LBB178_207
.LBB178_185:
	s_or_b32 exec_lo, exec_lo, s16
	s_and_b32 s19, s6, s8
	s_delay_alu instid0(SALU_CYCLE_1)
	s_and_saveexec_b32 s16, s19
	s_cbranch_execnz .LBB178_211
.LBB178_186:
	s_or_b32 exec_lo, exec_lo, s16
	s_and_b32 s16, s7, s8
	s_delay_alu instid0(SALU_CYCLE_1)
	s_and_saveexec_b32 s8, s16
	s_cbranch_execnz .LBB178_215
	s_branch .LBB178_219
.LBB178_187:
	v_cmp_ne_u32_e32 vcc_lo, 1, v18
	s_cbranch_vccnz .LBB178_189
; %bb.188:
	v_lshlrev_b64 v[16:17], 3, v[0:1]
	s_delay_alu instid0(VALU_DEP_1) | instskip(NEXT) | instid1(VALU_DEP_2)
	v_add_co_u32 v16, vcc_lo, v22, v16
	v_add_co_ci_u32_e32 v17, vcc_lo, v23, v17, vcc_lo
	flat_load_b64 v[16:17], v[16:17]
	s_waitcnt vmcnt(0) lgkmcnt(0)
	v_mul_f64 v[16:17], v[16:17], s[10:11]
	s_branch .LBB178_190
.LBB178_189:
	v_mov_b32_e32 v16, 0
	v_mov_b32_e32 v17, 0
.LBB178_190:
	s_delay_alu instid0(VALU_DEP_1) | instskip(SKIP_2) | instid1(VALU_DEP_1)
	v_cvt_f32_f64_e32 v16, v[16:17]
	v_max_f32_e32 v17, v105, v105
	v_lshlrev_b64 v[24:25], 3, v[0:1]
	v_add_co_u32 v24, vcc_lo, v20, v24
	s_delay_alu instid0(VALU_DEP_2) | instskip(NEXT) | instid1(VALU_DEP_4)
	v_add_co_ci_u32_e32 v25, vcc_lo, v21, v25, vcc_lo
	v_min_f32_e32 v16, v16, v17
	s_delay_alu instid0(VALU_DEP_1) | instskip(SKIP_3) | instid1(SALU_CYCLE_1)
	v_cvt_f64_f32_e32 v[16:17], v16
	global_store_b64 v[24:25], v[16:17], off
	s_or_b32 exec_lo, exec_lo, s16
	s_and_b32 s19, s1, s8
	s_and_saveexec_b32 s16, s19
	s_cbranch_execz .LBB178_181
.LBB178_191:
	v_cmp_ne_u32_e32 vcc_lo, 1, v18
	s_cbranch_vccnz .LBB178_193
; %bb.192:
	v_lshlrev_b64 v[16:17], 3, v[2:3]
	s_delay_alu instid0(VALU_DEP_1) | instskip(NEXT) | instid1(VALU_DEP_2)
	v_add_co_u32 v16, vcc_lo, v22, v16
	v_add_co_ci_u32_e32 v17, vcc_lo, v23, v17, vcc_lo
	flat_load_b64 v[16:17], v[16:17]
	s_waitcnt vmcnt(0) lgkmcnt(0)
	v_mul_f64 v[16:17], v[16:17], s[10:11]
	s_branch .LBB178_194
.LBB178_193:
	v_mov_b32_e32 v16, 0
	v_mov_b32_e32 v17, 0
.LBB178_194:
	s_delay_alu instid0(VALU_DEP_1) | instskip(SKIP_2) | instid1(VALU_DEP_1)
	v_cvt_f32_f64_e32 v16, v[16:17]
	v_max_f32_e32 v17, v104, v104
	v_lshlrev_b64 v[24:25], 3, v[2:3]
	v_add_co_u32 v24, vcc_lo, v20, v24
	s_delay_alu instid0(VALU_DEP_2) | instskip(NEXT) | instid1(VALU_DEP_4)
	v_add_co_ci_u32_e32 v25, vcc_lo, v21, v25, vcc_lo
	v_min_f32_e32 v16, v16, v17
	s_delay_alu instid0(VALU_DEP_1) | instskip(SKIP_3) | instid1(SALU_CYCLE_1)
	v_cvt_f64_f32_e32 v[16:17], v16
	global_store_b64 v[24:25], v[16:17], off
	s_or_b32 exec_lo, exec_lo, s16
	s_and_b32 s19, s2, s8
	s_and_saveexec_b32 s16, s19
	s_cbranch_execz .LBB178_182
.LBB178_195:
	v_cmp_ne_u32_e32 vcc_lo, 1, v18
	s_cbranch_vccnz .LBB178_197
; %bb.196:
	v_lshlrev_b64 v[16:17], 3, v[4:5]
	s_delay_alu instid0(VALU_DEP_1) | instskip(NEXT) | instid1(VALU_DEP_2)
	v_add_co_u32 v16, vcc_lo, v22, v16
	v_add_co_ci_u32_e32 v17, vcc_lo, v23, v17, vcc_lo
	flat_load_b64 v[16:17], v[16:17]
	s_waitcnt vmcnt(0) lgkmcnt(0)
	v_mul_f64 v[16:17], v[16:17], s[10:11]
	s_branch .LBB178_198
.LBB178_197:
	v_mov_b32_e32 v16, 0
	v_mov_b32_e32 v17, 0
.LBB178_198:
	s_delay_alu instid0(VALU_DEP_1) | instskip(SKIP_2) | instid1(VALU_DEP_1)
	v_cvt_f32_f64_e32 v16, v[16:17]
	v_max_f32_e32 v17, v103, v103
	v_lshlrev_b64 v[24:25], 3, v[4:5]
	v_add_co_u32 v24, vcc_lo, v20, v24
	s_delay_alu instid0(VALU_DEP_2) | instskip(NEXT) | instid1(VALU_DEP_4)
	v_add_co_ci_u32_e32 v25, vcc_lo, v21, v25, vcc_lo
	v_min_f32_e32 v16, v16, v17
	s_delay_alu instid0(VALU_DEP_1) | instskip(SKIP_3) | instid1(SALU_CYCLE_1)
	v_cvt_f64_f32_e32 v[16:17], v16
	global_store_b64 v[24:25], v[16:17], off
	s_or_b32 exec_lo, exec_lo, s16
	s_and_b32 s19, s3, s8
	s_and_saveexec_b32 s16, s19
	s_cbranch_execz .LBB178_183
.LBB178_199:
	v_cmp_ne_u32_e32 vcc_lo, 1, v18
	s_cbranch_vccnz .LBB178_201
; %bb.200:
	v_lshlrev_b64 v[16:17], 3, v[6:7]
	s_delay_alu instid0(VALU_DEP_1) | instskip(NEXT) | instid1(VALU_DEP_2)
	v_add_co_u32 v16, vcc_lo, v22, v16
	v_add_co_ci_u32_e32 v17, vcc_lo, v23, v17, vcc_lo
	flat_load_b64 v[16:17], v[16:17]
	s_waitcnt vmcnt(0) lgkmcnt(0)
	v_mul_f64 v[16:17], v[16:17], s[10:11]
	s_branch .LBB178_202
.LBB178_201:
	v_mov_b32_e32 v16, 0
	v_mov_b32_e32 v17, 0
.LBB178_202:
	s_delay_alu instid0(VALU_DEP_1) | instskip(SKIP_2) | instid1(VALU_DEP_1)
	v_cvt_f32_f64_e32 v16, v[16:17]
	v_max_f32_e32 v17, v102, v102
	v_lshlrev_b64 v[24:25], 3, v[6:7]
	v_add_co_u32 v24, vcc_lo, v20, v24
	s_delay_alu instid0(VALU_DEP_2) | instskip(NEXT) | instid1(VALU_DEP_4)
	v_add_co_ci_u32_e32 v25, vcc_lo, v21, v25, vcc_lo
	v_min_f32_e32 v16, v16, v17
	s_delay_alu instid0(VALU_DEP_1) | instskip(SKIP_3) | instid1(SALU_CYCLE_1)
	v_cvt_f64_f32_e32 v[16:17], v16
	global_store_b64 v[24:25], v[16:17], off
	s_or_b32 exec_lo, exec_lo, s16
	s_and_b32 s19, s4, s8
	s_and_saveexec_b32 s16, s19
	s_cbranch_execz .LBB178_184
.LBB178_203:
	v_cmp_ne_u32_e32 vcc_lo, 1, v18
	s_cbranch_vccnz .LBB178_205
; %bb.204:
	v_lshlrev_b64 v[16:17], 3, v[8:9]
	s_delay_alu instid0(VALU_DEP_1) | instskip(NEXT) | instid1(VALU_DEP_2)
	v_add_co_u32 v16, vcc_lo, v22, v16
	v_add_co_ci_u32_e32 v17, vcc_lo, v23, v17, vcc_lo
	flat_load_b64 v[16:17], v[16:17]
	s_waitcnt vmcnt(0) lgkmcnt(0)
	v_mul_f64 v[16:17], v[16:17], s[10:11]
	s_branch .LBB178_206
.LBB178_205:
	v_mov_b32_e32 v16, 0
	v_mov_b32_e32 v17, 0
.LBB178_206:
	s_delay_alu instid0(VALU_DEP_1) | instskip(SKIP_2) | instid1(VALU_DEP_1)
	v_cvt_f32_f64_e32 v16, v[16:17]
	v_max_f32_e32 v17, v101, v101
	v_lshlrev_b64 v[24:25], 3, v[8:9]
	v_add_co_u32 v24, vcc_lo, v20, v24
	s_delay_alu instid0(VALU_DEP_2) | instskip(NEXT) | instid1(VALU_DEP_4)
	v_add_co_ci_u32_e32 v25, vcc_lo, v21, v25, vcc_lo
	v_min_f32_e32 v16, v16, v17
	s_delay_alu instid0(VALU_DEP_1) | instskip(SKIP_3) | instid1(SALU_CYCLE_1)
	v_cvt_f64_f32_e32 v[16:17], v16
	global_store_b64 v[24:25], v[16:17], off
	s_or_b32 exec_lo, exec_lo, s16
	s_and_b32 s19, s5, s8
	s_and_saveexec_b32 s16, s19
	s_cbranch_execz .LBB178_185
.LBB178_207:
	v_cmp_ne_u32_e32 vcc_lo, 1, v18
	s_cbranch_vccnz .LBB178_209
; %bb.208:
	v_lshlrev_b64 v[16:17], 3, v[10:11]
	s_delay_alu instid0(VALU_DEP_1) | instskip(NEXT) | instid1(VALU_DEP_2)
	v_add_co_u32 v16, vcc_lo, v22, v16
	v_add_co_ci_u32_e32 v17, vcc_lo, v23, v17, vcc_lo
	flat_load_b64 v[16:17], v[16:17]
	s_waitcnt vmcnt(0) lgkmcnt(0)
	v_mul_f64 v[16:17], v[16:17], s[10:11]
	s_branch .LBB178_210
.LBB178_209:
	v_mov_b32_e32 v16, 0
	v_mov_b32_e32 v17, 0
.LBB178_210:
	s_delay_alu instid0(VALU_DEP_1) | instskip(SKIP_2) | instid1(VALU_DEP_1)
	v_cvt_f32_f64_e32 v16, v[16:17]
	v_max_f32_e32 v17, v100, v100
	v_lshlrev_b64 v[24:25], 3, v[10:11]
	v_add_co_u32 v24, vcc_lo, v20, v24
	s_delay_alu instid0(VALU_DEP_2) | instskip(NEXT) | instid1(VALU_DEP_4)
	v_add_co_ci_u32_e32 v25, vcc_lo, v21, v25, vcc_lo
	v_min_f32_e32 v16, v16, v17
	s_delay_alu instid0(VALU_DEP_1) | instskip(SKIP_3) | instid1(SALU_CYCLE_1)
	v_cvt_f64_f32_e32 v[16:17], v16
	global_store_b64 v[24:25], v[16:17], off
	s_or_b32 exec_lo, exec_lo, s16
	s_and_b32 s19, s6, s8
	s_and_saveexec_b32 s16, s19
	s_cbranch_execz .LBB178_186
.LBB178_211:
	v_cmp_ne_u32_e32 vcc_lo, 1, v18
	s_cbranch_vccnz .LBB178_213
; %bb.212:
	v_lshlrev_b64 v[16:17], 3, v[12:13]
	s_delay_alu instid0(VALU_DEP_1) | instskip(NEXT) | instid1(VALU_DEP_2)
	v_add_co_u32 v16, vcc_lo, v22, v16
	v_add_co_ci_u32_e32 v17, vcc_lo, v23, v17, vcc_lo
	flat_load_b64 v[16:17], v[16:17]
	s_waitcnt vmcnt(0) lgkmcnt(0)
	v_mul_f64 v[16:17], v[16:17], s[10:11]
	s_branch .LBB178_214
.LBB178_213:
	v_mov_b32_e32 v16, 0
	v_mov_b32_e32 v17, 0
.LBB178_214:
	s_delay_alu instid0(VALU_DEP_1) | instskip(SKIP_2) | instid1(VALU_DEP_1)
	v_cvt_f32_f64_e32 v16, v[16:17]
	v_max_f32_e32 v17, v99, v99
	v_lshlrev_b64 v[24:25], 3, v[12:13]
	v_add_co_u32 v24, vcc_lo, v20, v24
	s_delay_alu instid0(VALU_DEP_2) | instskip(NEXT) | instid1(VALU_DEP_4)
	v_add_co_ci_u32_e32 v25, vcc_lo, v21, v25, vcc_lo
	v_min_f32_e32 v16, v16, v17
	s_delay_alu instid0(VALU_DEP_1) | instskip(SKIP_3) | instid1(SALU_CYCLE_1)
	v_cvt_f64_f32_e32 v[16:17], v16
	global_store_b64 v[24:25], v[16:17], off
	s_or_b32 exec_lo, exec_lo, s16
	s_and_b32 s16, s7, s8
	s_and_saveexec_b32 s8, s16
	s_cbranch_execz .LBB178_219
.LBB178_215:
	v_cmp_ne_u32_e32 vcc_lo, 1, v18
	s_cbranch_vccnz .LBB178_217
; %bb.216:
	v_lshlrev_b64 v[16:17], 3, v[14:15]
	s_delay_alu instid0(VALU_DEP_1) | instskip(NEXT) | instid1(VALU_DEP_2)
	v_add_co_u32 v16, vcc_lo, v22, v16
	v_add_co_ci_u32_e32 v17, vcc_lo, v23, v17, vcc_lo
	flat_load_b64 v[16:17], v[16:17]
	s_waitcnt vmcnt(0) lgkmcnt(0)
	v_mul_f64 v[16:17], v[16:17], s[10:11]
	s_branch .LBB178_218
.LBB178_217:
	v_mov_b32_e32 v16, 0
	v_mov_b32_e32 v17, 0
.LBB178_218:
	s_delay_alu instid0(VALU_DEP_1) | instskip(SKIP_2) | instid1(VALU_DEP_1)
	v_cvt_f32_f64_e32 v16, v[16:17]
	v_max_f32_e32 v17, v98, v98
	v_lshlrev_b64 v[22:23], 3, v[14:15]
	v_add_co_u32 v20, vcc_lo, v20, v22
	s_delay_alu instid0(VALU_DEP_2) | instskip(NEXT) | instid1(VALU_DEP_4)
	v_add_co_ci_u32_e32 v21, vcc_lo, v21, v23, vcc_lo
	v_min_f32_e32 v16, v16, v17
	s_delay_alu instid0(VALU_DEP_1)
	v_cvt_f64_f32_e32 v[16:17], v16
	global_store_b64 v[20:21], v[16:17], off
.LBB178_219:
	s_or_b32 exec_lo, exec_lo, s8
	v_add_nc_u32_e32 v22, 0x80, v19
	s_delay_alu instid0(VALU_DEP_1) | instskip(SKIP_2) | instid1(VALU_DEP_3)
	v_mad_i64_i32 v[16:17], null, v22, s18, 0
	v_mad_i64_i32 v[20:21], null, v22, s9, 0
	v_cmp_gt_i32_e64 s8, s17, v22
	v_lshlrev_b64 v[16:17], 3, v[16:17]
	s_delay_alu instid0(VALU_DEP_2) | instskip(NEXT) | instid1(VALU_DEP_3)
	s_and_b32 s19, s0, s8
	v_lshlrev_b64 v[20:21], 3, v[20:21]
	s_delay_alu instid0(VALU_DEP_2) | instskip(NEXT) | instid1(VALU_DEP_3)
	v_add_co_u32 v22, vcc_lo, s12, v16
	v_add_co_ci_u32_e32 v23, vcc_lo, s13, v17, vcc_lo
	s_delay_alu instid0(VALU_DEP_3) | instskip(NEXT) | instid1(VALU_DEP_4)
	v_add_co_u32 v20, vcc_lo, s14, v20
	v_add_co_ci_u32_e32 v21, vcc_lo, s15, v21, vcc_lo
	s_and_saveexec_b32 s16, s19
	s_cbranch_execnz .LBB178_227
; %bb.220:
	s_or_b32 exec_lo, exec_lo, s16
	s_and_b32 s19, s1, s8
	s_delay_alu instid0(SALU_CYCLE_1)
	s_and_saveexec_b32 s16, s19
	s_cbranch_execnz .LBB178_231
.LBB178_221:
	s_or_b32 exec_lo, exec_lo, s16
	s_and_b32 s19, s2, s8
	s_delay_alu instid0(SALU_CYCLE_1)
	s_and_saveexec_b32 s16, s19
	s_cbranch_execnz .LBB178_235
.LBB178_222:
	s_or_b32 exec_lo, exec_lo, s16
	s_and_b32 s19, s3, s8
	s_delay_alu instid0(SALU_CYCLE_1)
	s_and_saveexec_b32 s16, s19
	s_cbranch_execnz .LBB178_239
.LBB178_223:
	s_or_b32 exec_lo, exec_lo, s16
	s_and_b32 s19, s4, s8
	s_delay_alu instid0(SALU_CYCLE_1)
	s_and_saveexec_b32 s16, s19
	s_cbranch_execnz .LBB178_243
.LBB178_224:
	s_or_b32 exec_lo, exec_lo, s16
	s_and_b32 s19, s5, s8
	s_delay_alu instid0(SALU_CYCLE_1)
	s_and_saveexec_b32 s16, s19
	s_cbranch_execnz .LBB178_247
.LBB178_225:
	s_or_b32 exec_lo, exec_lo, s16
	s_and_b32 s19, s6, s8
	s_delay_alu instid0(SALU_CYCLE_1)
	s_and_saveexec_b32 s16, s19
	s_cbranch_execnz .LBB178_251
.LBB178_226:
	s_or_b32 exec_lo, exec_lo, s16
	s_and_b32 s16, s7, s8
	s_delay_alu instid0(SALU_CYCLE_1)
	s_and_saveexec_b32 s8, s16
	s_cbranch_execnz .LBB178_255
	s_branch .LBB178_259
.LBB178_227:
	v_cmp_ne_u32_e32 vcc_lo, 1, v18
	s_cbranch_vccnz .LBB178_229
; %bb.228:
	v_lshlrev_b64 v[16:17], 3, v[0:1]
	s_delay_alu instid0(VALU_DEP_1) | instskip(NEXT) | instid1(VALU_DEP_2)
	v_add_co_u32 v16, vcc_lo, v22, v16
	v_add_co_ci_u32_e32 v17, vcc_lo, v23, v17, vcc_lo
	flat_load_b64 v[16:17], v[16:17]
	s_waitcnt vmcnt(0) lgkmcnt(0)
	v_mul_f64 v[16:17], v[16:17], s[10:11]
	s_branch .LBB178_230
.LBB178_229:
	v_mov_b32_e32 v16, 0
	v_mov_b32_e32 v17, 0
.LBB178_230:
	s_delay_alu instid0(VALU_DEP_1) | instskip(SKIP_2) | instid1(VALU_DEP_1)
	v_cvt_f32_f64_e32 v16, v[16:17]
	v_max_f32_e32 v17, v97, v97
	v_lshlrev_b64 v[24:25], 3, v[0:1]
	v_add_co_u32 v24, vcc_lo, v20, v24
	s_delay_alu instid0(VALU_DEP_2) | instskip(NEXT) | instid1(VALU_DEP_4)
	v_add_co_ci_u32_e32 v25, vcc_lo, v21, v25, vcc_lo
	v_min_f32_e32 v16, v16, v17
	s_delay_alu instid0(VALU_DEP_1) | instskip(SKIP_3) | instid1(SALU_CYCLE_1)
	v_cvt_f64_f32_e32 v[16:17], v16
	global_store_b64 v[24:25], v[16:17], off
	s_or_b32 exec_lo, exec_lo, s16
	s_and_b32 s19, s1, s8
	s_and_saveexec_b32 s16, s19
	s_cbranch_execz .LBB178_221
.LBB178_231:
	v_cmp_ne_u32_e32 vcc_lo, 1, v18
	s_cbranch_vccnz .LBB178_233
; %bb.232:
	v_lshlrev_b64 v[16:17], 3, v[2:3]
	s_delay_alu instid0(VALU_DEP_1) | instskip(NEXT) | instid1(VALU_DEP_2)
	v_add_co_u32 v16, vcc_lo, v22, v16
	v_add_co_ci_u32_e32 v17, vcc_lo, v23, v17, vcc_lo
	flat_load_b64 v[16:17], v[16:17]
	s_waitcnt vmcnt(0) lgkmcnt(0)
	v_mul_f64 v[16:17], v[16:17], s[10:11]
	s_branch .LBB178_234
.LBB178_233:
	v_mov_b32_e32 v16, 0
	v_mov_b32_e32 v17, 0
.LBB178_234:
	s_delay_alu instid0(VALU_DEP_1) | instskip(SKIP_2) | instid1(VALU_DEP_1)
	v_cvt_f32_f64_e32 v16, v[16:17]
	v_max_f32_e32 v17, v96, v96
	v_lshlrev_b64 v[24:25], 3, v[2:3]
	v_add_co_u32 v24, vcc_lo, v20, v24
	s_delay_alu instid0(VALU_DEP_2) | instskip(NEXT) | instid1(VALU_DEP_4)
	v_add_co_ci_u32_e32 v25, vcc_lo, v21, v25, vcc_lo
	v_min_f32_e32 v16, v16, v17
	s_delay_alu instid0(VALU_DEP_1) | instskip(SKIP_3) | instid1(SALU_CYCLE_1)
	v_cvt_f64_f32_e32 v[16:17], v16
	global_store_b64 v[24:25], v[16:17], off
	s_or_b32 exec_lo, exec_lo, s16
	s_and_b32 s19, s2, s8
	s_and_saveexec_b32 s16, s19
	s_cbranch_execz .LBB178_222
.LBB178_235:
	v_cmp_ne_u32_e32 vcc_lo, 1, v18
	s_cbranch_vccnz .LBB178_237
; %bb.236:
	v_lshlrev_b64 v[16:17], 3, v[4:5]
	s_delay_alu instid0(VALU_DEP_1) | instskip(NEXT) | instid1(VALU_DEP_2)
	v_add_co_u32 v16, vcc_lo, v22, v16
	v_add_co_ci_u32_e32 v17, vcc_lo, v23, v17, vcc_lo
	flat_load_b64 v[16:17], v[16:17]
	s_waitcnt vmcnt(0) lgkmcnt(0)
	v_mul_f64 v[16:17], v[16:17], s[10:11]
	s_branch .LBB178_238
.LBB178_237:
	v_mov_b32_e32 v16, 0
	v_mov_b32_e32 v17, 0
.LBB178_238:
	s_delay_alu instid0(VALU_DEP_1) | instskip(SKIP_2) | instid1(VALU_DEP_1)
	v_cvt_f32_f64_e32 v16, v[16:17]
	v_max_f32_e32 v17, v95, v95
	v_lshlrev_b64 v[24:25], 3, v[4:5]
	v_add_co_u32 v24, vcc_lo, v20, v24
	s_delay_alu instid0(VALU_DEP_2) | instskip(NEXT) | instid1(VALU_DEP_4)
	v_add_co_ci_u32_e32 v25, vcc_lo, v21, v25, vcc_lo
	v_min_f32_e32 v16, v16, v17
	s_delay_alu instid0(VALU_DEP_1) | instskip(SKIP_3) | instid1(SALU_CYCLE_1)
	v_cvt_f64_f32_e32 v[16:17], v16
	global_store_b64 v[24:25], v[16:17], off
	s_or_b32 exec_lo, exec_lo, s16
	s_and_b32 s19, s3, s8
	s_and_saveexec_b32 s16, s19
	s_cbranch_execz .LBB178_223
.LBB178_239:
	v_cmp_ne_u32_e32 vcc_lo, 1, v18
	s_cbranch_vccnz .LBB178_241
; %bb.240:
	v_lshlrev_b64 v[16:17], 3, v[6:7]
	s_delay_alu instid0(VALU_DEP_1) | instskip(NEXT) | instid1(VALU_DEP_2)
	v_add_co_u32 v16, vcc_lo, v22, v16
	v_add_co_ci_u32_e32 v17, vcc_lo, v23, v17, vcc_lo
	flat_load_b64 v[16:17], v[16:17]
	s_waitcnt vmcnt(0) lgkmcnt(0)
	v_mul_f64 v[16:17], v[16:17], s[10:11]
	s_branch .LBB178_242
.LBB178_241:
	v_mov_b32_e32 v16, 0
	v_mov_b32_e32 v17, 0
.LBB178_242:
	s_delay_alu instid0(VALU_DEP_1) | instskip(SKIP_2) | instid1(VALU_DEP_1)
	v_cvt_f32_f64_e32 v16, v[16:17]
	v_max_f32_e32 v17, v94, v94
	v_lshlrev_b64 v[24:25], 3, v[6:7]
	v_add_co_u32 v24, vcc_lo, v20, v24
	s_delay_alu instid0(VALU_DEP_2) | instskip(NEXT) | instid1(VALU_DEP_4)
	v_add_co_ci_u32_e32 v25, vcc_lo, v21, v25, vcc_lo
	v_min_f32_e32 v16, v16, v17
	s_delay_alu instid0(VALU_DEP_1) | instskip(SKIP_3) | instid1(SALU_CYCLE_1)
	v_cvt_f64_f32_e32 v[16:17], v16
	global_store_b64 v[24:25], v[16:17], off
	s_or_b32 exec_lo, exec_lo, s16
	s_and_b32 s19, s4, s8
	s_and_saveexec_b32 s16, s19
	s_cbranch_execz .LBB178_224
.LBB178_243:
	v_cmp_ne_u32_e32 vcc_lo, 1, v18
	s_cbranch_vccnz .LBB178_245
; %bb.244:
	v_lshlrev_b64 v[16:17], 3, v[8:9]
	s_delay_alu instid0(VALU_DEP_1) | instskip(NEXT) | instid1(VALU_DEP_2)
	v_add_co_u32 v16, vcc_lo, v22, v16
	v_add_co_ci_u32_e32 v17, vcc_lo, v23, v17, vcc_lo
	flat_load_b64 v[16:17], v[16:17]
	s_waitcnt vmcnt(0) lgkmcnt(0)
	v_mul_f64 v[16:17], v[16:17], s[10:11]
	s_branch .LBB178_246
.LBB178_245:
	v_mov_b32_e32 v16, 0
	v_mov_b32_e32 v17, 0
.LBB178_246:
	s_delay_alu instid0(VALU_DEP_1) | instskip(SKIP_2) | instid1(VALU_DEP_1)
	v_cvt_f32_f64_e32 v16, v[16:17]
	v_max_f32_e32 v17, v93, v93
	v_lshlrev_b64 v[24:25], 3, v[8:9]
	v_add_co_u32 v24, vcc_lo, v20, v24
	s_delay_alu instid0(VALU_DEP_2) | instskip(NEXT) | instid1(VALU_DEP_4)
	v_add_co_ci_u32_e32 v25, vcc_lo, v21, v25, vcc_lo
	v_min_f32_e32 v16, v16, v17
	s_delay_alu instid0(VALU_DEP_1) | instskip(SKIP_3) | instid1(SALU_CYCLE_1)
	v_cvt_f64_f32_e32 v[16:17], v16
	global_store_b64 v[24:25], v[16:17], off
	s_or_b32 exec_lo, exec_lo, s16
	s_and_b32 s19, s5, s8
	s_and_saveexec_b32 s16, s19
	s_cbranch_execz .LBB178_225
.LBB178_247:
	v_cmp_ne_u32_e32 vcc_lo, 1, v18
	s_cbranch_vccnz .LBB178_249
; %bb.248:
	v_lshlrev_b64 v[16:17], 3, v[10:11]
	s_delay_alu instid0(VALU_DEP_1) | instskip(NEXT) | instid1(VALU_DEP_2)
	v_add_co_u32 v16, vcc_lo, v22, v16
	v_add_co_ci_u32_e32 v17, vcc_lo, v23, v17, vcc_lo
	flat_load_b64 v[16:17], v[16:17]
	s_waitcnt vmcnt(0) lgkmcnt(0)
	v_mul_f64 v[16:17], v[16:17], s[10:11]
	s_branch .LBB178_250
.LBB178_249:
	v_mov_b32_e32 v16, 0
	v_mov_b32_e32 v17, 0
.LBB178_250:
	s_delay_alu instid0(VALU_DEP_1) | instskip(SKIP_2) | instid1(VALU_DEP_1)
	v_cvt_f32_f64_e32 v16, v[16:17]
	v_max_f32_e32 v17, v92, v92
	v_lshlrev_b64 v[24:25], 3, v[10:11]
	v_add_co_u32 v24, vcc_lo, v20, v24
	s_delay_alu instid0(VALU_DEP_2) | instskip(NEXT) | instid1(VALU_DEP_4)
	v_add_co_ci_u32_e32 v25, vcc_lo, v21, v25, vcc_lo
	v_min_f32_e32 v16, v16, v17
	s_delay_alu instid0(VALU_DEP_1) | instskip(SKIP_3) | instid1(SALU_CYCLE_1)
	v_cvt_f64_f32_e32 v[16:17], v16
	global_store_b64 v[24:25], v[16:17], off
	s_or_b32 exec_lo, exec_lo, s16
	s_and_b32 s19, s6, s8
	s_and_saveexec_b32 s16, s19
	s_cbranch_execz .LBB178_226
.LBB178_251:
	v_cmp_ne_u32_e32 vcc_lo, 1, v18
	s_cbranch_vccnz .LBB178_253
; %bb.252:
	v_lshlrev_b64 v[16:17], 3, v[12:13]
	s_delay_alu instid0(VALU_DEP_1) | instskip(NEXT) | instid1(VALU_DEP_2)
	v_add_co_u32 v16, vcc_lo, v22, v16
	v_add_co_ci_u32_e32 v17, vcc_lo, v23, v17, vcc_lo
	flat_load_b64 v[16:17], v[16:17]
	s_waitcnt vmcnt(0) lgkmcnt(0)
	v_mul_f64 v[16:17], v[16:17], s[10:11]
	s_branch .LBB178_254
.LBB178_253:
	v_mov_b32_e32 v16, 0
	v_mov_b32_e32 v17, 0
.LBB178_254:
	s_delay_alu instid0(VALU_DEP_1) | instskip(SKIP_2) | instid1(VALU_DEP_1)
	v_cvt_f32_f64_e32 v16, v[16:17]
	v_max_f32_e32 v17, v91, v91
	v_lshlrev_b64 v[24:25], 3, v[12:13]
	v_add_co_u32 v24, vcc_lo, v20, v24
	s_delay_alu instid0(VALU_DEP_2) | instskip(NEXT) | instid1(VALU_DEP_4)
	v_add_co_ci_u32_e32 v25, vcc_lo, v21, v25, vcc_lo
	v_min_f32_e32 v16, v16, v17
	s_delay_alu instid0(VALU_DEP_1) | instskip(SKIP_3) | instid1(SALU_CYCLE_1)
	v_cvt_f64_f32_e32 v[16:17], v16
	global_store_b64 v[24:25], v[16:17], off
	s_or_b32 exec_lo, exec_lo, s16
	s_and_b32 s16, s7, s8
	s_and_saveexec_b32 s8, s16
	s_cbranch_execz .LBB178_259
.LBB178_255:
	v_cmp_ne_u32_e32 vcc_lo, 1, v18
	s_cbranch_vccnz .LBB178_257
; %bb.256:
	v_lshlrev_b64 v[16:17], 3, v[14:15]
	s_delay_alu instid0(VALU_DEP_1) | instskip(NEXT) | instid1(VALU_DEP_2)
	v_add_co_u32 v16, vcc_lo, v22, v16
	v_add_co_ci_u32_e32 v17, vcc_lo, v23, v17, vcc_lo
	flat_load_b64 v[16:17], v[16:17]
	s_waitcnt vmcnt(0) lgkmcnt(0)
	v_mul_f64 v[16:17], v[16:17], s[10:11]
	s_branch .LBB178_258
.LBB178_257:
	v_mov_b32_e32 v16, 0
	v_mov_b32_e32 v17, 0
.LBB178_258:
	s_delay_alu instid0(VALU_DEP_1) | instskip(SKIP_2) | instid1(VALU_DEP_1)
	v_cvt_f32_f64_e32 v16, v[16:17]
	v_max_f32_e32 v17, v90, v90
	v_lshlrev_b64 v[22:23], 3, v[14:15]
	v_add_co_u32 v20, vcc_lo, v20, v22
	s_delay_alu instid0(VALU_DEP_2) | instskip(NEXT) | instid1(VALU_DEP_4)
	v_add_co_ci_u32_e32 v21, vcc_lo, v21, v23, vcc_lo
	v_min_f32_e32 v16, v16, v17
	s_delay_alu instid0(VALU_DEP_1)
	v_cvt_f64_f32_e32 v[16:17], v16
	global_store_b64 v[20:21], v[16:17], off
.LBB178_259:
	s_or_b32 exec_lo, exec_lo, s8
	v_add_nc_u32_e32 v22, 0xa0, v19
	s_delay_alu instid0(VALU_DEP_1) | instskip(SKIP_2) | instid1(VALU_DEP_3)
	v_mad_i64_i32 v[16:17], null, v22, s18, 0
	v_mad_i64_i32 v[20:21], null, v22, s9, 0
	v_cmp_gt_i32_e64 s8, s17, v22
	v_lshlrev_b64 v[16:17], 3, v[16:17]
	s_delay_alu instid0(VALU_DEP_2) | instskip(NEXT) | instid1(VALU_DEP_3)
	s_and_b32 s19, s0, s8
	v_lshlrev_b64 v[20:21], 3, v[20:21]
	s_delay_alu instid0(VALU_DEP_2) | instskip(NEXT) | instid1(VALU_DEP_3)
	v_add_co_u32 v22, vcc_lo, s12, v16
	v_add_co_ci_u32_e32 v23, vcc_lo, s13, v17, vcc_lo
	s_delay_alu instid0(VALU_DEP_3) | instskip(NEXT) | instid1(VALU_DEP_4)
	v_add_co_u32 v20, vcc_lo, s14, v20
	v_add_co_ci_u32_e32 v21, vcc_lo, s15, v21, vcc_lo
	s_and_saveexec_b32 s16, s19
	s_cbranch_execnz .LBB178_267
; %bb.260:
	s_or_b32 exec_lo, exec_lo, s16
	s_and_b32 s19, s1, s8
	s_delay_alu instid0(SALU_CYCLE_1)
	s_and_saveexec_b32 s16, s19
	s_cbranch_execnz .LBB178_271
.LBB178_261:
	s_or_b32 exec_lo, exec_lo, s16
	s_and_b32 s19, s2, s8
	s_delay_alu instid0(SALU_CYCLE_1)
	s_and_saveexec_b32 s16, s19
	s_cbranch_execnz .LBB178_275
.LBB178_262:
	s_or_b32 exec_lo, exec_lo, s16
	s_and_b32 s19, s3, s8
	s_delay_alu instid0(SALU_CYCLE_1)
	s_and_saveexec_b32 s16, s19
	s_cbranch_execnz .LBB178_279
.LBB178_263:
	s_or_b32 exec_lo, exec_lo, s16
	s_and_b32 s19, s4, s8
	s_delay_alu instid0(SALU_CYCLE_1)
	s_and_saveexec_b32 s16, s19
	s_cbranch_execnz .LBB178_283
.LBB178_264:
	s_or_b32 exec_lo, exec_lo, s16
	s_and_b32 s19, s5, s8
	s_delay_alu instid0(SALU_CYCLE_1)
	s_and_saveexec_b32 s16, s19
	s_cbranch_execnz .LBB178_287
.LBB178_265:
	s_or_b32 exec_lo, exec_lo, s16
	s_and_b32 s19, s6, s8
	s_delay_alu instid0(SALU_CYCLE_1)
	s_and_saveexec_b32 s16, s19
	s_cbranch_execnz .LBB178_291
.LBB178_266:
	s_or_b32 exec_lo, exec_lo, s16
	s_and_b32 s16, s7, s8
	s_delay_alu instid0(SALU_CYCLE_1)
	s_and_saveexec_b32 s8, s16
	s_cbranch_execnz .LBB178_295
	s_branch .LBB178_299
.LBB178_267:
	v_cmp_ne_u32_e32 vcc_lo, 1, v18
	s_cbranch_vccnz .LBB178_269
; %bb.268:
	v_lshlrev_b64 v[16:17], 3, v[0:1]
	s_delay_alu instid0(VALU_DEP_1) | instskip(NEXT) | instid1(VALU_DEP_2)
	v_add_co_u32 v16, vcc_lo, v22, v16
	v_add_co_ci_u32_e32 v17, vcc_lo, v23, v17, vcc_lo
	flat_load_b64 v[16:17], v[16:17]
	s_waitcnt vmcnt(0) lgkmcnt(0)
	v_mul_f64 v[16:17], v[16:17], s[10:11]
	s_branch .LBB178_270
.LBB178_269:
	v_mov_b32_e32 v16, 0
	v_mov_b32_e32 v17, 0
.LBB178_270:
	s_delay_alu instid0(VALU_DEP_1) | instskip(SKIP_2) | instid1(VALU_DEP_1)
	v_cvt_f32_f64_e32 v16, v[16:17]
	v_max_f32_e32 v17, v89, v89
	v_lshlrev_b64 v[24:25], 3, v[0:1]
	v_add_co_u32 v24, vcc_lo, v20, v24
	s_delay_alu instid0(VALU_DEP_2) | instskip(NEXT) | instid1(VALU_DEP_4)
	v_add_co_ci_u32_e32 v25, vcc_lo, v21, v25, vcc_lo
	v_min_f32_e32 v16, v16, v17
	s_delay_alu instid0(VALU_DEP_1) | instskip(SKIP_3) | instid1(SALU_CYCLE_1)
	v_cvt_f64_f32_e32 v[16:17], v16
	global_store_b64 v[24:25], v[16:17], off
	s_or_b32 exec_lo, exec_lo, s16
	s_and_b32 s19, s1, s8
	s_and_saveexec_b32 s16, s19
	s_cbranch_execz .LBB178_261
.LBB178_271:
	v_cmp_ne_u32_e32 vcc_lo, 1, v18
	s_cbranch_vccnz .LBB178_273
; %bb.272:
	v_lshlrev_b64 v[16:17], 3, v[2:3]
	s_delay_alu instid0(VALU_DEP_1) | instskip(NEXT) | instid1(VALU_DEP_2)
	v_add_co_u32 v16, vcc_lo, v22, v16
	v_add_co_ci_u32_e32 v17, vcc_lo, v23, v17, vcc_lo
	flat_load_b64 v[16:17], v[16:17]
	s_waitcnt vmcnt(0) lgkmcnt(0)
	v_mul_f64 v[16:17], v[16:17], s[10:11]
	s_branch .LBB178_274
.LBB178_273:
	v_mov_b32_e32 v16, 0
	v_mov_b32_e32 v17, 0
.LBB178_274:
	s_delay_alu instid0(VALU_DEP_1) | instskip(SKIP_2) | instid1(VALU_DEP_1)
	v_cvt_f32_f64_e32 v16, v[16:17]
	v_max_f32_e32 v17, v88, v88
	v_lshlrev_b64 v[24:25], 3, v[2:3]
	v_add_co_u32 v24, vcc_lo, v20, v24
	s_delay_alu instid0(VALU_DEP_2) | instskip(NEXT) | instid1(VALU_DEP_4)
	v_add_co_ci_u32_e32 v25, vcc_lo, v21, v25, vcc_lo
	v_min_f32_e32 v16, v16, v17
	s_delay_alu instid0(VALU_DEP_1) | instskip(SKIP_3) | instid1(SALU_CYCLE_1)
	v_cvt_f64_f32_e32 v[16:17], v16
	global_store_b64 v[24:25], v[16:17], off
	s_or_b32 exec_lo, exec_lo, s16
	s_and_b32 s19, s2, s8
	s_and_saveexec_b32 s16, s19
	s_cbranch_execz .LBB178_262
.LBB178_275:
	v_cmp_ne_u32_e32 vcc_lo, 1, v18
	s_cbranch_vccnz .LBB178_277
; %bb.276:
	v_lshlrev_b64 v[16:17], 3, v[4:5]
	s_delay_alu instid0(VALU_DEP_1) | instskip(NEXT) | instid1(VALU_DEP_2)
	v_add_co_u32 v16, vcc_lo, v22, v16
	v_add_co_ci_u32_e32 v17, vcc_lo, v23, v17, vcc_lo
	flat_load_b64 v[16:17], v[16:17]
	s_waitcnt vmcnt(0) lgkmcnt(0)
	v_mul_f64 v[16:17], v[16:17], s[10:11]
	s_branch .LBB178_278
.LBB178_277:
	v_mov_b32_e32 v16, 0
	v_mov_b32_e32 v17, 0
.LBB178_278:
	s_delay_alu instid0(VALU_DEP_1) | instskip(SKIP_2) | instid1(VALU_DEP_1)
	v_cvt_f32_f64_e32 v16, v[16:17]
	v_max_f32_e32 v17, v87, v87
	v_lshlrev_b64 v[24:25], 3, v[4:5]
	v_add_co_u32 v24, vcc_lo, v20, v24
	s_delay_alu instid0(VALU_DEP_2) | instskip(NEXT) | instid1(VALU_DEP_4)
	v_add_co_ci_u32_e32 v25, vcc_lo, v21, v25, vcc_lo
	v_min_f32_e32 v16, v16, v17
	s_delay_alu instid0(VALU_DEP_1) | instskip(SKIP_3) | instid1(SALU_CYCLE_1)
	v_cvt_f64_f32_e32 v[16:17], v16
	global_store_b64 v[24:25], v[16:17], off
	s_or_b32 exec_lo, exec_lo, s16
	s_and_b32 s19, s3, s8
	s_and_saveexec_b32 s16, s19
	s_cbranch_execz .LBB178_263
.LBB178_279:
	v_cmp_ne_u32_e32 vcc_lo, 1, v18
	s_cbranch_vccnz .LBB178_281
; %bb.280:
	v_lshlrev_b64 v[16:17], 3, v[6:7]
	s_delay_alu instid0(VALU_DEP_1) | instskip(NEXT) | instid1(VALU_DEP_2)
	v_add_co_u32 v16, vcc_lo, v22, v16
	v_add_co_ci_u32_e32 v17, vcc_lo, v23, v17, vcc_lo
	flat_load_b64 v[16:17], v[16:17]
	s_waitcnt vmcnt(0) lgkmcnt(0)
	v_mul_f64 v[16:17], v[16:17], s[10:11]
	s_branch .LBB178_282
.LBB178_281:
	v_mov_b32_e32 v16, 0
	v_mov_b32_e32 v17, 0
.LBB178_282:
	s_delay_alu instid0(VALU_DEP_1) | instskip(SKIP_2) | instid1(VALU_DEP_1)
	v_cvt_f32_f64_e32 v16, v[16:17]
	v_max_f32_e32 v17, v86, v86
	v_lshlrev_b64 v[24:25], 3, v[6:7]
	v_add_co_u32 v24, vcc_lo, v20, v24
	s_delay_alu instid0(VALU_DEP_2) | instskip(NEXT) | instid1(VALU_DEP_4)
	v_add_co_ci_u32_e32 v25, vcc_lo, v21, v25, vcc_lo
	v_min_f32_e32 v16, v16, v17
	s_delay_alu instid0(VALU_DEP_1) | instskip(SKIP_3) | instid1(SALU_CYCLE_1)
	v_cvt_f64_f32_e32 v[16:17], v16
	global_store_b64 v[24:25], v[16:17], off
	s_or_b32 exec_lo, exec_lo, s16
	s_and_b32 s19, s4, s8
	s_and_saveexec_b32 s16, s19
	s_cbranch_execz .LBB178_264
.LBB178_283:
	v_cmp_ne_u32_e32 vcc_lo, 1, v18
	s_cbranch_vccnz .LBB178_285
; %bb.284:
	v_lshlrev_b64 v[16:17], 3, v[8:9]
	s_delay_alu instid0(VALU_DEP_1) | instskip(NEXT) | instid1(VALU_DEP_2)
	v_add_co_u32 v16, vcc_lo, v22, v16
	v_add_co_ci_u32_e32 v17, vcc_lo, v23, v17, vcc_lo
	flat_load_b64 v[16:17], v[16:17]
	s_waitcnt vmcnt(0) lgkmcnt(0)
	v_mul_f64 v[16:17], v[16:17], s[10:11]
	s_branch .LBB178_286
.LBB178_285:
	v_mov_b32_e32 v16, 0
	v_mov_b32_e32 v17, 0
.LBB178_286:
	s_delay_alu instid0(VALU_DEP_1) | instskip(SKIP_2) | instid1(VALU_DEP_1)
	v_cvt_f32_f64_e32 v16, v[16:17]
	v_max_f32_e32 v17, v85, v85
	v_lshlrev_b64 v[24:25], 3, v[8:9]
	v_add_co_u32 v24, vcc_lo, v20, v24
	s_delay_alu instid0(VALU_DEP_2) | instskip(NEXT) | instid1(VALU_DEP_4)
	v_add_co_ci_u32_e32 v25, vcc_lo, v21, v25, vcc_lo
	v_min_f32_e32 v16, v16, v17
	s_delay_alu instid0(VALU_DEP_1) | instskip(SKIP_3) | instid1(SALU_CYCLE_1)
	v_cvt_f64_f32_e32 v[16:17], v16
	global_store_b64 v[24:25], v[16:17], off
	s_or_b32 exec_lo, exec_lo, s16
	s_and_b32 s19, s5, s8
	s_and_saveexec_b32 s16, s19
	s_cbranch_execz .LBB178_265
.LBB178_287:
	v_cmp_ne_u32_e32 vcc_lo, 1, v18
	s_cbranch_vccnz .LBB178_289
; %bb.288:
	v_lshlrev_b64 v[16:17], 3, v[10:11]
	s_delay_alu instid0(VALU_DEP_1) | instskip(NEXT) | instid1(VALU_DEP_2)
	v_add_co_u32 v16, vcc_lo, v22, v16
	v_add_co_ci_u32_e32 v17, vcc_lo, v23, v17, vcc_lo
	flat_load_b64 v[16:17], v[16:17]
	s_waitcnt vmcnt(0) lgkmcnt(0)
	v_mul_f64 v[16:17], v[16:17], s[10:11]
	s_branch .LBB178_290
.LBB178_289:
	v_mov_b32_e32 v16, 0
	v_mov_b32_e32 v17, 0
.LBB178_290:
	s_delay_alu instid0(VALU_DEP_1) | instskip(SKIP_2) | instid1(VALU_DEP_1)
	v_cvt_f32_f64_e32 v16, v[16:17]
	v_max_f32_e32 v17, v84, v84
	v_lshlrev_b64 v[24:25], 3, v[10:11]
	v_add_co_u32 v24, vcc_lo, v20, v24
	s_delay_alu instid0(VALU_DEP_2) | instskip(NEXT) | instid1(VALU_DEP_4)
	v_add_co_ci_u32_e32 v25, vcc_lo, v21, v25, vcc_lo
	v_min_f32_e32 v16, v16, v17
	s_delay_alu instid0(VALU_DEP_1) | instskip(SKIP_3) | instid1(SALU_CYCLE_1)
	v_cvt_f64_f32_e32 v[16:17], v16
	global_store_b64 v[24:25], v[16:17], off
	s_or_b32 exec_lo, exec_lo, s16
	s_and_b32 s19, s6, s8
	s_and_saveexec_b32 s16, s19
	s_cbranch_execz .LBB178_266
.LBB178_291:
	v_cmp_ne_u32_e32 vcc_lo, 1, v18
	s_cbranch_vccnz .LBB178_293
; %bb.292:
	v_lshlrev_b64 v[16:17], 3, v[12:13]
	s_delay_alu instid0(VALU_DEP_1) | instskip(NEXT) | instid1(VALU_DEP_2)
	v_add_co_u32 v16, vcc_lo, v22, v16
	v_add_co_ci_u32_e32 v17, vcc_lo, v23, v17, vcc_lo
	flat_load_b64 v[16:17], v[16:17]
	s_waitcnt vmcnt(0) lgkmcnt(0)
	v_mul_f64 v[16:17], v[16:17], s[10:11]
	s_branch .LBB178_294
.LBB178_293:
	v_mov_b32_e32 v16, 0
	v_mov_b32_e32 v17, 0
.LBB178_294:
	s_delay_alu instid0(VALU_DEP_1) | instskip(SKIP_2) | instid1(VALU_DEP_1)
	v_cvt_f32_f64_e32 v16, v[16:17]
	v_max_f32_e32 v17, v83, v83
	v_lshlrev_b64 v[24:25], 3, v[12:13]
	v_add_co_u32 v24, vcc_lo, v20, v24
	s_delay_alu instid0(VALU_DEP_2) | instskip(NEXT) | instid1(VALU_DEP_4)
	v_add_co_ci_u32_e32 v25, vcc_lo, v21, v25, vcc_lo
	v_min_f32_e32 v16, v16, v17
	s_delay_alu instid0(VALU_DEP_1) | instskip(SKIP_3) | instid1(SALU_CYCLE_1)
	v_cvt_f64_f32_e32 v[16:17], v16
	global_store_b64 v[24:25], v[16:17], off
	s_or_b32 exec_lo, exec_lo, s16
	s_and_b32 s16, s7, s8
	s_and_saveexec_b32 s8, s16
	s_cbranch_execz .LBB178_299
.LBB178_295:
	v_cmp_ne_u32_e32 vcc_lo, 1, v18
	s_cbranch_vccnz .LBB178_297
; %bb.296:
	v_lshlrev_b64 v[16:17], 3, v[14:15]
	s_delay_alu instid0(VALU_DEP_1) | instskip(NEXT) | instid1(VALU_DEP_2)
	v_add_co_u32 v16, vcc_lo, v22, v16
	v_add_co_ci_u32_e32 v17, vcc_lo, v23, v17, vcc_lo
	flat_load_b64 v[16:17], v[16:17]
	s_waitcnt vmcnt(0) lgkmcnt(0)
	v_mul_f64 v[16:17], v[16:17], s[10:11]
	s_branch .LBB178_298
.LBB178_297:
	v_mov_b32_e32 v16, 0
	v_mov_b32_e32 v17, 0
.LBB178_298:
	s_delay_alu instid0(VALU_DEP_1) | instskip(SKIP_2) | instid1(VALU_DEP_1)
	v_cvt_f32_f64_e32 v16, v[16:17]
	v_max_f32_e32 v17, v82, v82
	v_lshlrev_b64 v[22:23], 3, v[14:15]
	v_add_co_u32 v20, vcc_lo, v20, v22
	s_delay_alu instid0(VALU_DEP_2) | instskip(NEXT) | instid1(VALU_DEP_4)
	v_add_co_ci_u32_e32 v21, vcc_lo, v21, v23, vcc_lo
	v_min_f32_e32 v16, v16, v17
	s_delay_alu instid0(VALU_DEP_1)
	v_cvt_f64_f32_e32 v[16:17], v16
	global_store_b64 v[20:21], v[16:17], off
.LBB178_299:
	s_or_b32 exec_lo, exec_lo, s8
	v_add_nc_u32_e32 v22, 0xc0, v19
	s_delay_alu instid0(VALU_DEP_1) | instskip(SKIP_2) | instid1(VALU_DEP_3)
	v_mad_i64_i32 v[16:17], null, v22, s18, 0
	v_mad_i64_i32 v[20:21], null, v22, s9, 0
	v_cmp_gt_i32_e64 s8, s17, v22
	v_lshlrev_b64 v[16:17], 3, v[16:17]
	s_delay_alu instid0(VALU_DEP_2) | instskip(NEXT) | instid1(VALU_DEP_3)
	s_and_b32 s19, s0, s8
	v_lshlrev_b64 v[20:21], 3, v[20:21]
	s_delay_alu instid0(VALU_DEP_2) | instskip(NEXT) | instid1(VALU_DEP_3)
	v_add_co_u32 v22, vcc_lo, s12, v16
	v_add_co_ci_u32_e32 v23, vcc_lo, s13, v17, vcc_lo
	s_delay_alu instid0(VALU_DEP_3) | instskip(NEXT) | instid1(VALU_DEP_4)
	v_add_co_u32 v20, vcc_lo, s14, v20
	v_add_co_ci_u32_e32 v21, vcc_lo, s15, v21, vcc_lo
	s_and_saveexec_b32 s16, s19
	s_cbranch_execnz .LBB178_307
; %bb.300:
	s_or_b32 exec_lo, exec_lo, s16
	s_and_b32 s19, s1, s8
	s_delay_alu instid0(SALU_CYCLE_1)
	s_and_saveexec_b32 s16, s19
	s_cbranch_execnz .LBB178_311
.LBB178_301:
	s_or_b32 exec_lo, exec_lo, s16
	s_and_b32 s19, s2, s8
	s_delay_alu instid0(SALU_CYCLE_1)
	s_and_saveexec_b32 s16, s19
	s_cbranch_execnz .LBB178_315
.LBB178_302:
	s_or_b32 exec_lo, exec_lo, s16
	s_and_b32 s19, s3, s8
	s_delay_alu instid0(SALU_CYCLE_1)
	s_and_saveexec_b32 s16, s19
	s_cbranch_execnz .LBB178_319
.LBB178_303:
	s_or_b32 exec_lo, exec_lo, s16
	s_and_b32 s19, s4, s8
	s_delay_alu instid0(SALU_CYCLE_1)
	s_and_saveexec_b32 s16, s19
	s_cbranch_execnz .LBB178_323
.LBB178_304:
	s_or_b32 exec_lo, exec_lo, s16
	s_and_b32 s19, s5, s8
	s_delay_alu instid0(SALU_CYCLE_1)
	s_and_saveexec_b32 s16, s19
	s_cbranch_execnz .LBB178_327
.LBB178_305:
	s_or_b32 exec_lo, exec_lo, s16
	s_and_b32 s19, s6, s8
	s_delay_alu instid0(SALU_CYCLE_1)
	s_and_saveexec_b32 s16, s19
	s_cbranch_execnz .LBB178_331
.LBB178_306:
	s_or_b32 exec_lo, exec_lo, s16
	s_and_b32 s16, s7, s8
	s_delay_alu instid0(SALU_CYCLE_1)
	s_and_saveexec_b32 s8, s16
	s_cbranch_execnz .LBB178_335
	s_branch .LBB178_339
.LBB178_307:
	v_cmp_ne_u32_e32 vcc_lo, 1, v18
	s_cbranch_vccnz .LBB178_309
; %bb.308:
	v_lshlrev_b64 v[16:17], 3, v[0:1]
	s_delay_alu instid0(VALU_DEP_1) | instskip(NEXT) | instid1(VALU_DEP_2)
	v_add_co_u32 v16, vcc_lo, v22, v16
	v_add_co_ci_u32_e32 v17, vcc_lo, v23, v17, vcc_lo
	flat_load_b64 v[16:17], v[16:17]
	s_waitcnt vmcnt(0) lgkmcnt(0)
	v_mul_f64 v[16:17], v[16:17], s[10:11]
	s_branch .LBB178_310
.LBB178_309:
	v_mov_b32_e32 v16, 0
	v_mov_b32_e32 v17, 0
.LBB178_310:
	s_delay_alu instid0(VALU_DEP_1) | instskip(SKIP_2) | instid1(VALU_DEP_1)
	v_cvt_f32_f64_e32 v16, v[16:17]
	v_max_f32_e32 v17, v81, v81
	v_lshlrev_b64 v[24:25], 3, v[0:1]
	v_add_co_u32 v24, vcc_lo, v20, v24
	s_delay_alu instid0(VALU_DEP_2) | instskip(NEXT) | instid1(VALU_DEP_4)
	v_add_co_ci_u32_e32 v25, vcc_lo, v21, v25, vcc_lo
	v_min_f32_e32 v16, v16, v17
	s_delay_alu instid0(VALU_DEP_1) | instskip(SKIP_3) | instid1(SALU_CYCLE_1)
	v_cvt_f64_f32_e32 v[16:17], v16
	global_store_b64 v[24:25], v[16:17], off
	s_or_b32 exec_lo, exec_lo, s16
	s_and_b32 s19, s1, s8
	s_and_saveexec_b32 s16, s19
	s_cbranch_execz .LBB178_301
.LBB178_311:
	v_cmp_ne_u32_e32 vcc_lo, 1, v18
	s_cbranch_vccnz .LBB178_313
; %bb.312:
	v_lshlrev_b64 v[16:17], 3, v[2:3]
	s_delay_alu instid0(VALU_DEP_1) | instskip(NEXT) | instid1(VALU_DEP_2)
	v_add_co_u32 v16, vcc_lo, v22, v16
	v_add_co_ci_u32_e32 v17, vcc_lo, v23, v17, vcc_lo
	flat_load_b64 v[16:17], v[16:17]
	s_waitcnt vmcnt(0) lgkmcnt(0)
	v_mul_f64 v[16:17], v[16:17], s[10:11]
	s_branch .LBB178_314
.LBB178_313:
	v_mov_b32_e32 v16, 0
	v_mov_b32_e32 v17, 0
.LBB178_314:
	s_delay_alu instid0(VALU_DEP_1) | instskip(SKIP_2) | instid1(VALU_DEP_1)
	v_cvt_f32_f64_e32 v16, v[16:17]
	v_max_f32_e32 v17, v80, v80
	v_lshlrev_b64 v[24:25], 3, v[2:3]
	v_add_co_u32 v24, vcc_lo, v20, v24
	s_delay_alu instid0(VALU_DEP_2) | instskip(NEXT) | instid1(VALU_DEP_4)
	v_add_co_ci_u32_e32 v25, vcc_lo, v21, v25, vcc_lo
	v_min_f32_e32 v16, v16, v17
	s_delay_alu instid0(VALU_DEP_1) | instskip(SKIP_3) | instid1(SALU_CYCLE_1)
	v_cvt_f64_f32_e32 v[16:17], v16
	global_store_b64 v[24:25], v[16:17], off
	s_or_b32 exec_lo, exec_lo, s16
	s_and_b32 s19, s2, s8
	s_and_saveexec_b32 s16, s19
	s_cbranch_execz .LBB178_302
.LBB178_315:
	v_cmp_ne_u32_e32 vcc_lo, 1, v18
	s_cbranch_vccnz .LBB178_317
; %bb.316:
	v_lshlrev_b64 v[16:17], 3, v[4:5]
	s_delay_alu instid0(VALU_DEP_1) | instskip(NEXT) | instid1(VALU_DEP_2)
	v_add_co_u32 v16, vcc_lo, v22, v16
	v_add_co_ci_u32_e32 v17, vcc_lo, v23, v17, vcc_lo
	flat_load_b64 v[16:17], v[16:17]
	s_waitcnt vmcnt(0) lgkmcnt(0)
	v_mul_f64 v[16:17], v[16:17], s[10:11]
	s_branch .LBB178_318
.LBB178_317:
	v_mov_b32_e32 v16, 0
	v_mov_b32_e32 v17, 0
.LBB178_318:
	s_delay_alu instid0(VALU_DEP_1) | instskip(SKIP_2) | instid1(VALU_DEP_1)
	v_cvt_f32_f64_e32 v16, v[16:17]
	v_max_f32_e32 v17, v79, v79
	v_lshlrev_b64 v[24:25], 3, v[4:5]
	v_add_co_u32 v24, vcc_lo, v20, v24
	s_delay_alu instid0(VALU_DEP_2) | instskip(NEXT) | instid1(VALU_DEP_4)
	v_add_co_ci_u32_e32 v25, vcc_lo, v21, v25, vcc_lo
	v_min_f32_e32 v16, v16, v17
	s_delay_alu instid0(VALU_DEP_1) | instskip(SKIP_3) | instid1(SALU_CYCLE_1)
	v_cvt_f64_f32_e32 v[16:17], v16
	global_store_b64 v[24:25], v[16:17], off
	s_or_b32 exec_lo, exec_lo, s16
	s_and_b32 s19, s3, s8
	s_and_saveexec_b32 s16, s19
	s_cbranch_execz .LBB178_303
.LBB178_319:
	v_cmp_ne_u32_e32 vcc_lo, 1, v18
	s_cbranch_vccnz .LBB178_321
; %bb.320:
	v_lshlrev_b64 v[16:17], 3, v[6:7]
	s_delay_alu instid0(VALU_DEP_1) | instskip(NEXT) | instid1(VALU_DEP_2)
	v_add_co_u32 v16, vcc_lo, v22, v16
	v_add_co_ci_u32_e32 v17, vcc_lo, v23, v17, vcc_lo
	flat_load_b64 v[16:17], v[16:17]
	s_waitcnt vmcnt(0) lgkmcnt(0)
	v_mul_f64 v[16:17], v[16:17], s[10:11]
	s_branch .LBB178_322
.LBB178_321:
	v_mov_b32_e32 v16, 0
	v_mov_b32_e32 v17, 0
.LBB178_322:
	s_delay_alu instid0(VALU_DEP_1) | instskip(SKIP_2) | instid1(VALU_DEP_1)
	v_cvt_f32_f64_e32 v16, v[16:17]
	v_max_f32_e32 v17, v78, v78
	v_lshlrev_b64 v[24:25], 3, v[6:7]
	v_add_co_u32 v24, vcc_lo, v20, v24
	s_delay_alu instid0(VALU_DEP_2) | instskip(NEXT) | instid1(VALU_DEP_4)
	v_add_co_ci_u32_e32 v25, vcc_lo, v21, v25, vcc_lo
	v_min_f32_e32 v16, v16, v17
	s_delay_alu instid0(VALU_DEP_1) | instskip(SKIP_3) | instid1(SALU_CYCLE_1)
	v_cvt_f64_f32_e32 v[16:17], v16
	global_store_b64 v[24:25], v[16:17], off
	s_or_b32 exec_lo, exec_lo, s16
	s_and_b32 s19, s4, s8
	s_and_saveexec_b32 s16, s19
	s_cbranch_execz .LBB178_304
.LBB178_323:
	v_cmp_ne_u32_e32 vcc_lo, 1, v18
	s_cbranch_vccnz .LBB178_325
; %bb.324:
	v_lshlrev_b64 v[16:17], 3, v[8:9]
	s_delay_alu instid0(VALU_DEP_1) | instskip(NEXT) | instid1(VALU_DEP_2)
	v_add_co_u32 v16, vcc_lo, v22, v16
	v_add_co_ci_u32_e32 v17, vcc_lo, v23, v17, vcc_lo
	flat_load_b64 v[16:17], v[16:17]
	s_waitcnt vmcnt(0) lgkmcnt(0)
	v_mul_f64 v[16:17], v[16:17], s[10:11]
	s_branch .LBB178_326
.LBB178_325:
	v_mov_b32_e32 v16, 0
	v_mov_b32_e32 v17, 0
.LBB178_326:
	s_delay_alu instid0(VALU_DEP_1) | instskip(SKIP_2) | instid1(VALU_DEP_1)
	v_cvt_f32_f64_e32 v16, v[16:17]
	v_max_f32_e32 v17, v77, v77
	v_lshlrev_b64 v[24:25], 3, v[8:9]
	v_add_co_u32 v24, vcc_lo, v20, v24
	s_delay_alu instid0(VALU_DEP_2) | instskip(NEXT) | instid1(VALU_DEP_4)
	v_add_co_ci_u32_e32 v25, vcc_lo, v21, v25, vcc_lo
	v_min_f32_e32 v16, v16, v17
	s_delay_alu instid0(VALU_DEP_1) | instskip(SKIP_3) | instid1(SALU_CYCLE_1)
	v_cvt_f64_f32_e32 v[16:17], v16
	global_store_b64 v[24:25], v[16:17], off
	s_or_b32 exec_lo, exec_lo, s16
	s_and_b32 s19, s5, s8
	s_and_saveexec_b32 s16, s19
	s_cbranch_execz .LBB178_305
.LBB178_327:
	v_cmp_ne_u32_e32 vcc_lo, 1, v18
	s_cbranch_vccnz .LBB178_329
; %bb.328:
	v_lshlrev_b64 v[16:17], 3, v[10:11]
	s_delay_alu instid0(VALU_DEP_1) | instskip(NEXT) | instid1(VALU_DEP_2)
	v_add_co_u32 v16, vcc_lo, v22, v16
	v_add_co_ci_u32_e32 v17, vcc_lo, v23, v17, vcc_lo
	flat_load_b64 v[16:17], v[16:17]
	s_waitcnt vmcnt(0) lgkmcnt(0)
	v_mul_f64 v[16:17], v[16:17], s[10:11]
	s_branch .LBB178_330
.LBB178_329:
	v_mov_b32_e32 v16, 0
	v_mov_b32_e32 v17, 0
.LBB178_330:
	s_delay_alu instid0(VALU_DEP_1) | instskip(SKIP_2) | instid1(VALU_DEP_1)
	v_cvt_f32_f64_e32 v16, v[16:17]
	v_max_f32_e32 v17, v76, v76
	v_lshlrev_b64 v[24:25], 3, v[10:11]
	v_add_co_u32 v24, vcc_lo, v20, v24
	s_delay_alu instid0(VALU_DEP_2) | instskip(NEXT) | instid1(VALU_DEP_4)
	v_add_co_ci_u32_e32 v25, vcc_lo, v21, v25, vcc_lo
	v_min_f32_e32 v16, v16, v17
	s_delay_alu instid0(VALU_DEP_1) | instskip(SKIP_3) | instid1(SALU_CYCLE_1)
	v_cvt_f64_f32_e32 v[16:17], v16
	global_store_b64 v[24:25], v[16:17], off
	s_or_b32 exec_lo, exec_lo, s16
	s_and_b32 s19, s6, s8
	s_and_saveexec_b32 s16, s19
	s_cbranch_execz .LBB178_306
.LBB178_331:
	v_cmp_ne_u32_e32 vcc_lo, 1, v18
	s_cbranch_vccnz .LBB178_333
; %bb.332:
	v_lshlrev_b64 v[16:17], 3, v[12:13]
	s_delay_alu instid0(VALU_DEP_1) | instskip(NEXT) | instid1(VALU_DEP_2)
	v_add_co_u32 v16, vcc_lo, v22, v16
	v_add_co_ci_u32_e32 v17, vcc_lo, v23, v17, vcc_lo
	flat_load_b64 v[16:17], v[16:17]
	s_waitcnt vmcnt(0) lgkmcnt(0)
	v_mul_f64 v[16:17], v[16:17], s[10:11]
	s_branch .LBB178_334
.LBB178_333:
	v_mov_b32_e32 v16, 0
	v_mov_b32_e32 v17, 0
.LBB178_334:
	s_delay_alu instid0(VALU_DEP_1) | instskip(SKIP_2) | instid1(VALU_DEP_1)
	v_cvt_f32_f64_e32 v16, v[16:17]
	v_max_f32_e32 v17, v75, v75
	v_lshlrev_b64 v[24:25], 3, v[12:13]
	v_add_co_u32 v24, vcc_lo, v20, v24
	s_delay_alu instid0(VALU_DEP_2) | instskip(NEXT) | instid1(VALU_DEP_4)
	v_add_co_ci_u32_e32 v25, vcc_lo, v21, v25, vcc_lo
	v_min_f32_e32 v16, v16, v17
	s_delay_alu instid0(VALU_DEP_1) | instskip(SKIP_3) | instid1(SALU_CYCLE_1)
	v_cvt_f64_f32_e32 v[16:17], v16
	global_store_b64 v[24:25], v[16:17], off
	s_or_b32 exec_lo, exec_lo, s16
	s_and_b32 s16, s7, s8
	s_and_saveexec_b32 s8, s16
	s_cbranch_execz .LBB178_339
.LBB178_335:
	v_cmp_ne_u32_e32 vcc_lo, 1, v18
	s_cbranch_vccnz .LBB178_337
; %bb.336:
	v_lshlrev_b64 v[16:17], 3, v[14:15]
	s_delay_alu instid0(VALU_DEP_1) | instskip(NEXT) | instid1(VALU_DEP_2)
	v_add_co_u32 v16, vcc_lo, v22, v16
	v_add_co_ci_u32_e32 v17, vcc_lo, v23, v17, vcc_lo
	flat_load_b64 v[16:17], v[16:17]
	s_waitcnt vmcnt(0) lgkmcnt(0)
	v_mul_f64 v[16:17], v[16:17], s[10:11]
	s_branch .LBB178_338
.LBB178_337:
	v_mov_b32_e32 v16, 0
	v_mov_b32_e32 v17, 0
.LBB178_338:
	s_delay_alu instid0(VALU_DEP_1) | instskip(SKIP_2) | instid1(VALU_DEP_1)
	v_cvt_f32_f64_e32 v16, v[16:17]
	v_max_f32_e32 v17, v74, v74
	v_lshlrev_b64 v[22:23], 3, v[14:15]
	v_add_co_u32 v20, vcc_lo, v20, v22
	s_delay_alu instid0(VALU_DEP_2) | instskip(NEXT) | instid1(VALU_DEP_4)
	v_add_co_ci_u32_e32 v21, vcc_lo, v21, v23, vcc_lo
	v_min_f32_e32 v16, v16, v17
	s_delay_alu instid0(VALU_DEP_1)
	v_cvt_f64_f32_e32 v[16:17], v16
	global_store_b64 v[20:21], v[16:17], off
.LBB178_339:
	s_or_b32 exec_lo, exec_lo, s8
	v_add_nc_u32_e32 v21, 0xe0, v19
	s_delay_alu instid0(VALU_DEP_1) | instskip(SKIP_2) | instid1(VALU_DEP_3)
	v_mad_i64_i32 v[16:17], null, v21, s18, 0
	v_mad_i64_i32 v[19:20], null, v21, s9, 0
	v_cmp_gt_i32_e64 s8, s17, v21
	v_lshlrev_b64 v[16:17], 3, v[16:17]
	s_delay_alu instid0(VALU_DEP_2) | instskip(NEXT) | instid1(VALU_DEP_3)
	s_and_b32 s9, s0, s8
	v_lshlrev_b64 v[21:22], 3, v[19:20]
	s_delay_alu instid0(VALU_DEP_2) | instskip(NEXT) | instid1(VALU_DEP_3)
	v_add_co_u32 v19, vcc_lo, s12, v16
	v_add_co_ci_u32_e32 v20, vcc_lo, s13, v17, vcc_lo
	s_delay_alu instid0(VALU_DEP_3) | instskip(NEXT) | instid1(VALU_DEP_4)
	v_add_co_u32 v16, vcc_lo, s14, v21
	v_add_co_ci_u32_e32 v17, vcc_lo, s15, v22, vcc_lo
	s_and_saveexec_b32 s0, s9
	s_cbranch_execnz .LBB178_348
; %bb.340:
	s_or_b32 exec_lo, exec_lo, s0
	s_and_b32 s1, s1, s8
	s_delay_alu instid0(SALU_CYCLE_1)
	s_and_saveexec_b32 s0, s1
	s_cbranch_execnz .LBB178_352
.LBB178_341:
	s_or_b32 exec_lo, exec_lo, s0
	s_and_b32 s1, s2, s8
	s_delay_alu instid0(SALU_CYCLE_1)
	s_and_saveexec_b32 s0, s1
	s_cbranch_execnz .LBB178_356
.LBB178_342:
	s_or_b32 exec_lo, exec_lo, s0
	s_and_b32 s1, s3, s8
	s_delay_alu instid0(SALU_CYCLE_1)
	s_and_saveexec_b32 s0, s1
	s_cbranch_execnz .LBB178_360
.LBB178_343:
	s_or_b32 exec_lo, exec_lo, s0
	s_and_b32 s1, s4, s8
	s_delay_alu instid0(SALU_CYCLE_1)
	s_and_saveexec_b32 s0, s1
	s_cbranch_execnz .LBB178_364
.LBB178_344:
	s_or_b32 exec_lo, exec_lo, s0
	s_and_b32 s1, s5, s8
	s_delay_alu instid0(SALU_CYCLE_1)
	s_and_saveexec_b32 s0, s1
	s_cbranch_execnz .LBB178_368
.LBB178_345:
	s_or_b32 exec_lo, exec_lo, s0
	s_and_b32 s1, s6, s8
	s_delay_alu instid0(SALU_CYCLE_1)
	s_and_saveexec_b32 s0, s1
	s_cbranch_execnz .LBB178_372
.LBB178_346:
	s_or_b32 exec_lo, exec_lo, s0
	s_and_b32 s0, s7, s8
	s_delay_alu instid0(SALU_CYCLE_1)
	s_and_saveexec_b32 s1, s0
	s_cbranch_execnz .LBB178_376
.LBB178_347:
	s_nop 0
	s_sendmsg sendmsg(MSG_DEALLOC_VGPRS)
	s_endpgm
.LBB178_348:
	v_cmp_ne_u32_e32 vcc_lo, 1, v18
	v_lshlrev_b64 v[0:1], 3, v[0:1]
	s_cbranch_vccnz .LBB178_350
; %bb.349:
	s_delay_alu instid0(VALU_DEP_1) | instskip(NEXT) | instid1(VALU_DEP_2)
	v_add_co_u32 v21, vcc_lo, v19, v0
	v_add_co_ci_u32_e32 v22, vcc_lo, v20, v1, vcc_lo
	flat_load_b64 v[21:22], v[21:22]
	s_waitcnt vmcnt(0) lgkmcnt(0)
	v_mul_f64 v[21:22], v[21:22], s[10:11]
	s_delay_alu instid0(VALU_DEP_1)
	v_cvt_f32_f64_e32 v21, v[21:22]
	s_branch .LBB178_351
.LBB178_350:
	v_mov_b32_e32 v21, 0
.LBB178_351:
	v_max_f32_e32 v22, v73, v73
	s_delay_alu instid0(VALU_DEP_2) | instskip(NEXT) | instid1(VALU_DEP_4)
	v_max_f32_e32 v21, v21, v21
	v_add_co_u32 v0, vcc_lo, v16, v0
	v_add_co_ci_u32_e32 v1, vcc_lo, v17, v1, vcc_lo
	s_delay_alu instid0(VALU_DEP_3) | instskip(NEXT) | instid1(VALU_DEP_1)
	v_min_f32_e32 v21, v21, v22
	v_cvt_f64_f32_e32 v[21:22], v21
	global_store_b64 v[0:1], v[21:22], off
	s_or_b32 exec_lo, exec_lo, s0
	s_and_b32 s1, s1, s8
	s_delay_alu instid0(SALU_CYCLE_1)
	s_and_saveexec_b32 s0, s1
	s_cbranch_execz .LBB178_341
.LBB178_352:
	v_cmp_ne_u32_e32 vcc_lo, 1, v18
	v_lshlrev_b64 v[0:1], 3, v[2:3]
	s_cbranch_vccnz .LBB178_354
; %bb.353:
	s_delay_alu instid0(VALU_DEP_1) | instskip(NEXT) | instid1(VALU_DEP_2)
	v_add_co_u32 v2, vcc_lo, v19, v0
	v_add_co_ci_u32_e32 v3, vcc_lo, v20, v1, vcc_lo
	flat_load_b64 v[2:3], v[2:3]
	s_waitcnt vmcnt(0) lgkmcnt(0)
	v_mul_f64 v[2:3], v[2:3], s[10:11]
	s_delay_alu instid0(VALU_DEP_1)
	v_cvt_f32_f64_e32 v2, v[2:3]
	s_branch .LBB178_355
.LBB178_354:
	v_mov_b32_e32 v2, 0
.LBB178_355:
	s_delay_alu instid0(VALU_DEP_1) | instskip(NEXT) | instid1(VALU_DEP_3)
	v_dual_max_f32 v3, v72, v72 :: v_dual_max_f32 v2, v2, v2
	v_add_co_u32 v0, vcc_lo, v16, v0
	s_delay_alu instid0(VALU_DEP_4) | instskip(NEXT) | instid1(VALU_DEP_3)
	v_add_co_ci_u32_e32 v1, vcc_lo, v17, v1, vcc_lo
	v_min_f32_e32 v2, v2, v3
	s_delay_alu instid0(VALU_DEP_1) | instskip(SKIP_3) | instid1(SALU_CYCLE_1)
	v_cvt_f64_f32_e32 v[2:3], v2
	global_store_b64 v[0:1], v[2:3], off
	s_or_b32 exec_lo, exec_lo, s0
	s_and_b32 s1, s2, s8
	s_and_saveexec_b32 s0, s1
	s_cbranch_execz .LBB178_342
.LBB178_356:
	v_cmp_ne_u32_e32 vcc_lo, 1, v18
	v_lshlrev_b64 v[0:1], 3, v[4:5]
	s_cbranch_vccnz .LBB178_358
; %bb.357:
	s_delay_alu instid0(VALU_DEP_1) | instskip(NEXT) | instid1(VALU_DEP_2)
	v_add_co_u32 v2, vcc_lo, v19, v0
	v_add_co_ci_u32_e32 v3, vcc_lo, v20, v1, vcc_lo
	flat_load_b64 v[2:3], v[2:3]
	s_waitcnt vmcnt(0) lgkmcnt(0)
	v_mul_f64 v[2:3], v[2:3], s[10:11]
	s_delay_alu instid0(VALU_DEP_1)
	v_cvt_f32_f64_e32 v2, v[2:3]
	s_branch .LBB178_359
.LBB178_358:
	v_mov_b32_e32 v2, 0
.LBB178_359:
	s_delay_alu instid0(VALU_DEP_1) | instskip(NEXT) | instid1(VALU_DEP_3)
	v_dual_max_f32 v3, v71, v71 :: v_dual_max_f32 v2, v2, v2
	v_add_co_u32 v0, vcc_lo, v16, v0
	s_delay_alu instid0(VALU_DEP_4) | instskip(NEXT) | instid1(VALU_DEP_3)
	v_add_co_ci_u32_e32 v1, vcc_lo, v17, v1, vcc_lo
	v_min_f32_e32 v2, v2, v3
	s_delay_alu instid0(VALU_DEP_1) | instskip(SKIP_3) | instid1(SALU_CYCLE_1)
	v_cvt_f64_f32_e32 v[2:3], v2
	global_store_b64 v[0:1], v[2:3], off
	s_or_b32 exec_lo, exec_lo, s0
	s_and_b32 s1, s3, s8
	s_and_saveexec_b32 s0, s1
	s_cbranch_execz .LBB178_343
.LBB178_360:
	v_cmp_ne_u32_e32 vcc_lo, 1, v18
	v_lshlrev_b64 v[0:1], 3, v[6:7]
	s_cbranch_vccnz .LBB178_362
; %bb.361:
	s_delay_alu instid0(VALU_DEP_1) | instskip(NEXT) | instid1(VALU_DEP_2)
	v_add_co_u32 v2, vcc_lo, v19, v0
	v_add_co_ci_u32_e32 v3, vcc_lo, v20, v1, vcc_lo
	flat_load_b64 v[2:3], v[2:3]
	s_waitcnt vmcnt(0) lgkmcnt(0)
	v_mul_f64 v[2:3], v[2:3], s[10:11]
	s_delay_alu instid0(VALU_DEP_1)
	v_cvt_f32_f64_e32 v2, v[2:3]
	s_branch .LBB178_363
.LBB178_362:
	v_mov_b32_e32 v2, 0
.LBB178_363:
	v_max_f32_e32 v3, v70, v70
	s_delay_alu instid0(VALU_DEP_2) | instskip(NEXT) | instid1(VALU_DEP_4)
	v_max_f32_e32 v2, v2, v2
	v_add_co_u32 v0, vcc_lo, v16, v0
	v_add_co_ci_u32_e32 v1, vcc_lo, v17, v1, vcc_lo
	s_delay_alu instid0(VALU_DEP_3) | instskip(NEXT) | instid1(VALU_DEP_1)
	v_min_f32_e32 v2, v2, v3
	v_cvt_f64_f32_e32 v[2:3], v2
	global_store_b64 v[0:1], v[2:3], off
	s_or_b32 exec_lo, exec_lo, s0
	s_and_b32 s1, s4, s8
	s_delay_alu instid0(SALU_CYCLE_1)
	s_and_saveexec_b32 s0, s1
	s_cbranch_execz .LBB178_344
.LBB178_364:
	v_cmp_ne_u32_e32 vcc_lo, 1, v18
	v_lshlrev_b64 v[0:1], 3, v[8:9]
	s_cbranch_vccnz .LBB178_366
; %bb.365:
	s_delay_alu instid0(VALU_DEP_1) | instskip(NEXT) | instid1(VALU_DEP_2)
	v_add_co_u32 v2, vcc_lo, v19, v0
	v_add_co_ci_u32_e32 v3, vcc_lo, v20, v1, vcc_lo
	flat_load_b64 v[2:3], v[2:3]
	s_waitcnt vmcnt(0) lgkmcnt(0)
	v_mul_f64 v[2:3], v[2:3], s[10:11]
	s_delay_alu instid0(VALU_DEP_1)
	v_cvt_f32_f64_e32 v2, v[2:3]
	s_branch .LBB178_367
.LBB178_366:
	v_mov_b32_e32 v2, 0
.LBB178_367:
	s_delay_alu instid0(VALU_DEP_1) | instskip(NEXT) | instid1(VALU_DEP_3)
	v_dual_max_f32 v3, v69, v69 :: v_dual_max_f32 v2, v2, v2
	v_add_co_u32 v0, vcc_lo, v16, v0
	s_delay_alu instid0(VALU_DEP_4) | instskip(NEXT) | instid1(VALU_DEP_3)
	v_add_co_ci_u32_e32 v1, vcc_lo, v17, v1, vcc_lo
	v_min_f32_e32 v2, v2, v3
	s_delay_alu instid0(VALU_DEP_1) | instskip(SKIP_3) | instid1(SALU_CYCLE_1)
	v_cvt_f64_f32_e32 v[2:3], v2
	global_store_b64 v[0:1], v[2:3], off
	s_or_b32 exec_lo, exec_lo, s0
	s_and_b32 s1, s5, s8
	s_and_saveexec_b32 s0, s1
	s_cbranch_execz .LBB178_345
.LBB178_368:
	v_cmp_ne_u32_e32 vcc_lo, 1, v18
	v_lshlrev_b64 v[0:1], 3, v[10:11]
	s_cbranch_vccnz .LBB178_370
; %bb.369:
	s_delay_alu instid0(VALU_DEP_1) | instskip(NEXT) | instid1(VALU_DEP_2)
	v_add_co_u32 v2, vcc_lo, v19, v0
	v_add_co_ci_u32_e32 v3, vcc_lo, v20, v1, vcc_lo
	flat_load_b64 v[2:3], v[2:3]
	s_waitcnt vmcnt(0) lgkmcnt(0)
	v_mul_f64 v[2:3], v[2:3], s[10:11]
	s_delay_alu instid0(VALU_DEP_1)
	v_cvt_f32_f64_e32 v2, v[2:3]
	s_branch .LBB178_371
.LBB178_370:
	v_mov_b32_e32 v2, 0
.LBB178_371:
	s_delay_alu instid0(VALU_DEP_1) | instskip(NEXT) | instid1(VALU_DEP_3)
	v_dual_max_f32 v3, v68, v68 :: v_dual_max_f32 v2, v2, v2
	v_add_co_u32 v0, vcc_lo, v16, v0
	s_delay_alu instid0(VALU_DEP_4) | instskip(NEXT) | instid1(VALU_DEP_3)
	v_add_co_ci_u32_e32 v1, vcc_lo, v17, v1, vcc_lo
	v_min_f32_e32 v2, v2, v3
	s_delay_alu instid0(VALU_DEP_1) | instskip(SKIP_3) | instid1(SALU_CYCLE_1)
	v_cvt_f64_f32_e32 v[2:3], v2
	global_store_b64 v[0:1], v[2:3], off
	s_or_b32 exec_lo, exec_lo, s0
	s_and_b32 s1, s6, s8
	s_and_saveexec_b32 s0, s1
	s_cbranch_execz .LBB178_346
.LBB178_372:
	v_cmp_ne_u32_e32 vcc_lo, 1, v18
	v_lshlrev_b64 v[0:1], 3, v[12:13]
	s_cbranch_vccnz .LBB178_374
; %bb.373:
	s_delay_alu instid0(VALU_DEP_1) | instskip(NEXT) | instid1(VALU_DEP_2)
	v_add_co_u32 v2, vcc_lo, v19, v0
	v_add_co_ci_u32_e32 v3, vcc_lo, v20, v1, vcc_lo
	flat_load_b64 v[2:3], v[2:3]
	s_waitcnt vmcnt(0) lgkmcnt(0)
	v_mul_f64 v[2:3], v[2:3], s[10:11]
	s_delay_alu instid0(VALU_DEP_1)
	v_cvt_f32_f64_e32 v2, v[2:3]
	s_branch .LBB178_375
.LBB178_374:
	v_mov_b32_e32 v2, 0
.LBB178_375:
	s_delay_alu instid0(VALU_DEP_1) | instskip(NEXT) | instid1(VALU_DEP_3)
	v_dual_max_f32 v3, v67, v67 :: v_dual_max_f32 v2, v2, v2
	v_add_co_u32 v0, vcc_lo, v16, v0
	s_delay_alu instid0(VALU_DEP_4) | instskip(NEXT) | instid1(VALU_DEP_3)
	v_add_co_ci_u32_e32 v1, vcc_lo, v17, v1, vcc_lo
	v_min_f32_e32 v2, v2, v3
	s_delay_alu instid0(VALU_DEP_1) | instskip(SKIP_3) | instid1(SALU_CYCLE_1)
	v_cvt_f64_f32_e32 v[2:3], v2
	global_store_b64 v[0:1], v[2:3], off
	s_or_b32 exec_lo, exec_lo, s0
	s_and_b32 s0, s7, s8
	s_and_saveexec_b32 s1, s0
	s_cbranch_execz .LBB178_347
.LBB178_376:
	v_cmp_ne_u32_e32 vcc_lo, 1, v18
	v_lshlrev_b64 v[0:1], 3, v[14:15]
	s_cbranch_vccnz .LBB178_378
; %bb.377:
	s_delay_alu instid0(VALU_DEP_1) | instskip(NEXT) | instid1(VALU_DEP_2)
	v_add_co_u32 v2, vcc_lo, v19, v0
	v_add_co_ci_u32_e32 v3, vcc_lo, v20, v1, vcc_lo
	flat_load_b64 v[2:3], v[2:3]
	s_waitcnt vmcnt(0) lgkmcnt(0)
	v_mul_f64 v[2:3], v[2:3], s[10:11]
	s_delay_alu instid0(VALU_DEP_1)
	v_cvt_f32_f64_e32 v2, v[2:3]
	s_branch .LBB178_379
.LBB178_378:
	v_mov_b32_e32 v2, 0
.LBB178_379:
	v_max_f32_e32 v3, v66, v66
	s_delay_alu instid0(VALU_DEP_2) | instskip(NEXT) | instid1(VALU_DEP_4)
	v_max_f32_e32 v2, v2, v2
	v_add_co_u32 v0, vcc_lo, v16, v0
	v_add_co_ci_u32_e32 v1, vcc_lo, v17, v1, vcc_lo
	s_delay_alu instid0(VALU_DEP_3) | instskip(NEXT) | instid1(VALU_DEP_1)
	v_min_f32_e32 v2, v2, v3
	v_cvt_f64_f32_e32 v[2:3], v2
	global_store_b64 v[0:1], v[2:3], off
	s_nop 0
	s_sendmsg sendmsg(MSG_DEALLOC_VGPRS)
	s_endpgm
	.section	.rodata,"a",@progbits
	.p2align	6, 0x0
	.amdhsa_kernel _ZN12_GLOBAL__N_120geam_min_plus_kernelId15HIP_vector_typeIdLj2EEdLi8ELi32ELi64ELi256ELi4ELi4ELi64ELi64ELi4ELc84ELc84ELb1ELb1ELb1EdKddEEviiiT16_PT17_ilS6_ilS4_S6_ilPT18_ili26rocblas_geam_ex_operation_
		.amdhsa_group_segment_fixed_size 20480
		.amdhsa_private_segment_fixed_size 0
		.amdhsa_kernarg_size 136
		.amdhsa_user_sgpr_count 14
		.amdhsa_user_sgpr_dispatch_ptr 0
		.amdhsa_user_sgpr_queue_ptr 0
		.amdhsa_user_sgpr_kernarg_segment_ptr 1
		.amdhsa_user_sgpr_dispatch_id 0
		.amdhsa_user_sgpr_private_segment_size 0
		.amdhsa_wavefront_size32 1
		.amdhsa_uses_dynamic_stack 0
		.amdhsa_enable_private_segment 0
		.amdhsa_system_sgpr_workgroup_id_x 1
		.amdhsa_system_sgpr_workgroup_id_y 0
		.amdhsa_system_sgpr_workgroup_id_z 1
		.amdhsa_system_sgpr_workgroup_info 0
		.amdhsa_system_vgpr_workitem_id 1
		.amdhsa_next_free_vgpr 158
		.amdhsa_next_free_sgpr 32
		.amdhsa_reserve_vcc 1
		.amdhsa_float_round_mode_32 0
		.amdhsa_float_round_mode_16_64 0
		.amdhsa_float_denorm_mode_32 3
		.amdhsa_float_denorm_mode_16_64 3
		.amdhsa_dx10_clamp 1
		.amdhsa_ieee_mode 1
		.amdhsa_fp16_overflow 0
		.amdhsa_workgroup_processor_mode 1
		.amdhsa_memory_ordered 1
		.amdhsa_forward_progress 0
		.amdhsa_shared_vgpr_count 0
		.amdhsa_exception_fp_ieee_invalid_op 0
		.amdhsa_exception_fp_denorm_src 0
		.amdhsa_exception_fp_ieee_div_zero 0
		.amdhsa_exception_fp_ieee_overflow 0
		.amdhsa_exception_fp_ieee_underflow 0
		.amdhsa_exception_fp_ieee_inexact 0
		.amdhsa_exception_int_div_zero 0
	.end_amdhsa_kernel
	.section	.text._ZN12_GLOBAL__N_120geam_min_plus_kernelId15HIP_vector_typeIdLj2EEdLi8ELi32ELi64ELi256ELi4ELi4ELi64ELi64ELi4ELc84ELc84ELb1ELb1ELb1EdKddEEviiiT16_PT17_ilS6_ilS4_S6_ilPT18_ili26rocblas_geam_ex_operation_,"axG",@progbits,_ZN12_GLOBAL__N_120geam_min_plus_kernelId15HIP_vector_typeIdLj2EEdLi8ELi32ELi64ELi256ELi4ELi4ELi64ELi64ELi4ELc84ELc84ELb1ELb1ELb1EdKddEEviiiT16_PT17_ilS6_ilS4_S6_ilPT18_ili26rocblas_geam_ex_operation_,comdat
.Lfunc_end178:
	.size	_ZN12_GLOBAL__N_120geam_min_plus_kernelId15HIP_vector_typeIdLj2EEdLi8ELi32ELi64ELi256ELi4ELi4ELi64ELi64ELi4ELc84ELc84ELb1ELb1ELb1EdKddEEviiiT16_PT17_ilS6_ilS4_S6_ilPT18_ili26rocblas_geam_ex_operation_, .Lfunc_end178-_ZN12_GLOBAL__N_120geam_min_plus_kernelId15HIP_vector_typeIdLj2EEdLi8ELi32ELi64ELi256ELi4ELi4ELi64ELi64ELi4ELc84ELc84ELb1ELb1ELb1EdKddEEviiiT16_PT17_ilS6_ilS4_S6_ilPT18_ili26rocblas_geam_ex_operation_
                                        ; -- End function
	.section	.AMDGPU.csdata,"",@progbits
; Kernel info:
; codeLenInByte = 23832
; NumSgprs: 34
; NumVgprs: 158
; ScratchSize: 0
; MemoryBound: 0
; FloatMode: 240
; IeeeMode: 1
; LDSByteSize: 20480 bytes/workgroup (compile time only)
; SGPRBlocks: 4
; VGPRBlocks: 19
; NumSGPRsForWavesPerEU: 34
; NumVGPRsForWavesPerEU: 158
; Occupancy: 9
; WaveLimiterHint : 0
; COMPUTE_PGM_RSRC2:SCRATCH_EN: 0
; COMPUTE_PGM_RSRC2:USER_SGPR: 14
; COMPUTE_PGM_RSRC2:TRAP_HANDLER: 0
; COMPUTE_PGM_RSRC2:TGID_X_EN: 1
; COMPUTE_PGM_RSRC2:TGID_Y_EN: 0
; COMPUTE_PGM_RSRC2:TGID_Z_EN: 1
; COMPUTE_PGM_RSRC2:TIDIG_COMP_CNT: 1
	.section	.text._ZN12_GLOBAL__N_120geam_min_plus_kernelId15HIP_vector_typeIdLj2EEdLi8ELi32ELi64ELi256ELi4ELi4ELi64ELi64ELi4ELc84ELc84ELb0ELb1ELb1EdKddEEviiiT16_PT17_ilS6_ilS4_S6_ilPT18_ili26rocblas_geam_ex_operation_,"axG",@progbits,_ZN12_GLOBAL__N_120geam_min_plus_kernelId15HIP_vector_typeIdLj2EEdLi8ELi32ELi64ELi256ELi4ELi4ELi64ELi64ELi4ELc84ELc84ELb0ELb1ELb1EdKddEEviiiT16_PT17_ilS6_ilS4_S6_ilPT18_ili26rocblas_geam_ex_operation_,comdat
	.globl	_ZN12_GLOBAL__N_120geam_min_plus_kernelId15HIP_vector_typeIdLj2EEdLi8ELi32ELi64ELi256ELi4ELi4ELi64ELi64ELi4ELc84ELc84ELb0ELb1ELb1EdKddEEviiiT16_PT17_ilS6_ilS4_S6_ilPT18_ili26rocblas_geam_ex_operation_ ; -- Begin function _ZN12_GLOBAL__N_120geam_min_plus_kernelId15HIP_vector_typeIdLj2EEdLi8ELi32ELi64ELi256ELi4ELi4ELi64ELi64ELi4ELc84ELc84ELb0ELb1ELb1EdKddEEviiiT16_PT17_ilS6_ilS4_S6_ilPT18_ili26rocblas_geam_ex_operation_
	.p2align	8
	.type	_ZN12_GLOBAL__N_120geam_min_plus_kernelId15HIP_vector_typeIdLj2EEdLi8ELi32ELi64ELi256ELi4ELi4ELi64ELi64ELi4ELc84ELc84ELb0ELb1ELb1EdKddEEviiiT16_PT17_ilS6_ilS4_S6_ilPT18_ili26rocblas_geam_ex_operation_,@function
_ZN12_GLOBAL__N_120geam_min_plus_kernelId15HIP_vector_typeIdLj2EEdLi8ELi32ELi64ELi256ELi4ELi4ELi64ELi64ELi4ELc84ELc84ELb0ELb1ELb1EdKddEEviiiT16_PT17_ilS6_ilS4_S6_ilPT18_ili26rocblas_geam_ex_operation_: ; @_ZN12_GLOBAL__N_120geam_min_plus_kernelId15HIP_vector_typeIdLj2EEdLi8ELi32ELi64ELi256ELi4ELi4ELi64ELi64ELi4ELc84ELc84ELb0ELb1ELb1EdKddEEviiiT16_PT17_ilS6_ilS4_S6_ilPT18_ili26rocblas_geam_ex_operation_
; %bb.0:
	s_clause 0x1
	s_load_b128 s[24:27], s[0:1], 0x10
	s_load_b128 s[4:7], s[0:1], 0x28
	s_mov_b64 s[28:29], 0
	s_waitcnt lgkmcnt(0)
	v_cmp_eq_f64_e64 s30, s[24:25], 0
	v_cmp_neq_f64_e64 s12, s[24:25], 0
	s_delay_alu instid0(VALU_DEP_2)
	s_and_b32 vcc_lo, exec_lo, s30
	s_cbranch_vccnz .LBB179_2
; %bb.1:
	s_mul_i32 s2, s15, s5
	s_mul_hi_u32 s3, s15, s4
	s_delay_alu instid0(SALU_CYCLE_1) | instskip(SKIP_1) | instid1(SALU_CYCLE_1)
	s_add_i32 s3, s3, s2
	s_mul_i32 s2, s15, s4
	s_lshl_b64 s[2:3], s[2:3], 3
	s_delay_alu instid0(SALU_CYCLE_1)
	s_add_u32 s28, s26, s2
	s_addc_u32 s29, s27, s3
.LBB179_2:
	s_clause 0x1
	s_load_b128 s[8:11], s[0:1], 0x40
	s_load_b64 s[2:3], s[0:1], 0x50
	s_delay_alu instid0(VALU_DEP_1)
	s_and_b32 vcc_lo, exec_lo, s12
	s_cbranch_vccz .LBB179_4
; %bb.3:
	s_waitcnt lgkmcnt(0)
	s_mul_i32 s4, s15, s9
	s_mul_hi_u32 s5, s15, s8
	s_mov_b32 s26, 0
	s_add_i32 s5, s5, s4
	s_mul_i32 s4, s15, s8
	s_delay_alu instid0(SALU_CYCLE_1) | instskip(NEXT) | instid1(SALU_CYCLE_1)
	s_lshl_b64 s[4:5], s[4:5], 3
	s_add_u32 s8, s6, s4
	s_addc_u32 s9, s7, s5
	s_cbranch_execz .LBB179_5
	s_branch .LBB179_6
.LBB179_4:
	s_mov_b32 s26, -1
                                        ; implicit-def: $sgpr8_sgpr9
.LBB179_5:
	s_mov_b32 s26, 0
	s_waitcnt lgkmcnt(0)
	s_mov_b64 s[8:9], 0
.LBB179_6:
	s_waitcnt lgkmcnt(0)
	v_cmp_eq_f64_e64 s4, s[10:11], 0
	v_cmp_neq_f64_e64 s27, s[10:11], 0
	s_load_b128 s[20:23], s[0:1], 0x60
	s_mov_b64 s[12:13], 0
	s_delay_alu instid0(VALU_DEP_2)
	s_and_b32 vcc_lo, exec_lo, s4
	s_cbranch_vccnz .LBB179_8
; %bb.7:
	s_waitcnt lgkmcnt(0)
	s_mul_i32 s4, s15, s21
	s_mul_hi_u32 s5, s15, s20
	s_mul_i32 s6, s26, s20
	s_add_i32 s4, s5, s4
	s_delay_alu instid0(SALU_CYCLE_1) | instskip(SKIP_1) | instid1(SALU_CYCLE_1)
	s_add_i32 s5, s4, s6
	s_mul_i32 s4, s15, s20
	s_lshl_b64 s[4:5], s[4:5], 3
	s_delay_alu instid0(SALU_CYCLE_1)
	s_add_u32 s12, s2, s4
	s_addc_u32 s13, s3, s5
.LBB179_8:
	s_clause 0x1
	s_load_b128 s[16:19], s[0:1], 0x0
	s_load_b32 s33, s[0:1], 0x20
	v_and_b32_e32 v121, 0x3ff, v0
	v_bfe_u32 v122, v0, 10, 10
	s_delay_alu instid0(VALU_DEP_2) | instskip(NEXT) | instid1(VALU_DEP_2)
	v_and_b32_e32 v132, 3, v121
	v_lshl_add_u32 v2, v122, 3, v121
	s_delay_alu instid0(VALU_DEP_2) | instskip(NEXT) | instid1(VALU_DEP_2)
	v_lshlrev_b32_e32 v11, 3, v132
	v_lshrrev_b32_e32 v10, 2, v2
	s_waitcnt lgkmcnt(0)
	s_add_i32 s4, s16, -1
	v_cmp_le_i32_e32 vcc_lo, s18, v132
	s_ashr_i32 s2, s4, 31
	s_delay_alu instid0(SALU_CYCLE_1) | instskip(NEXT) | instid1(SALU_CYCLE_1)
	s_lshr_b32 s2, s2, 26
	s_add_i32 s2, s4, s2
	s_delay_alu instid0(SALU_CYCLE_1) | instskip(NEXT) | instid1(SALU_CYCLE_1)
	s_ashr_i32 s2, s2, 6
	s_add_i32 s5, s2, 1
	s_not_b32 s2, s2
	v_cvt_f32_u32_e32 v1, s5
	s_delay_alu instid0(VALU_DEP_1) | instskip(SKIP_2) | instid1(VALU_DEP_1)
	v_rcp_iflag_f32_e32 v1, v1
	s_waitcnt_depctr 0xfff
	v_mul_f32_e32 v1, 0x4f7ffffe, v1
	v_cvt_u32_f32_e32 v1, v1
	s_delay_alu instid0(VALU_DEP_1) | instskip(NEXT) | instid1(VALU_DEP_1)
	v_readfirstlane_b32 s3, v1
	s_mul_i32 s2, s2, s3
	s_delay_alu instid0(SALU_CYCLE_1) | instskip(NEXT) | instid1(SALU_CYCLE_1)
	s_mul_hi_u32 s2, s3, s2
	s_add_i32 s3, s3, s2
	s_delay_alu instid0(SALU_CYCLE_1) | instskip(NEXT) | instid1(SALU_CYCLE_1)
	s_mul_hi_u32 s2, s14, s3
	s_mul_i32 s3, s2, s5
	s_add_i32 s6, s2, 1
	s_sub_i32 s3, s14, s3
	s_delay_alu instid0(SALU_CYCLE_1)
	s_sub_i32 s7, s3, s5
	s_cmp_ge_u32 s3, s5
	s_cselect_b32 s2, s6, s2
	s_cselect_b32 s3, s7, s3
	s_add_i32 s6, s2, 1
	s_cmp_ge_u32 s3, s5
	s_cselect_b32 s3, s6, s2
	s_delay_alu instid0(SALU_CYCLE_1) | instskip(NEXT) | instid1(SALU_CYCLE_1)
	s_mul_i32 s2, s3, s5
	s_sub_i32 s2, s14, s2
	s_delay_alu instid0(SALU_CYCLE_1) | instskip(NEXT) | instid1(SALU_CYCLE_1)
	s_lshl_b32 s14, s2, 6
	v_add_nc_u32_e32 v0, s14, v10
	s_delay_alu instid0(VALU_DEP_1) | instskip(SKIP_1) | instid1(VALU_DEP_2)
	v_cmp_le_i32_e64 s2, s16, v0
	v_min_i32_e32 v64, s4, v0
	s_or_b32 s4, vcc_lo, s2
	s_delay_alu instid0(SALU_CYCLE_1) | instskip(SKIP_2) | instid1(SALU_CYCLE_1)
	v_cndmask_b32_e64 v1, 0, 0x7fefffff, s4
	v_cndmask_b32_e64 v0, 0, -1, s4
	s_or_b32 s4, s30, s4
	s_xor_b32 s5, s4, -1
	s_delay_alu instid0(SALU_CYCLE_1)
	s_and_saveexec_b32 s4, s5
	s_cbranch_execz .LBB179_10
; %bb.9:
	v_mad_i64_i32 v[0:1], null, v64, s33, 0
	s_delay_alu instid0(VALU_DEP_1) | instskip(NEXT) | instid1(VALU_DEP_1)
	v_lshlrev_b64 v[0:1], 3, v[0:1]
	v_add_co_u32 v0, vcc_lo, s28, v0
	s_delay_alu instid0(VALU_DEP_2) | instskip(NEXT) | instid1(VALU_DEP_2)
	v_add_co_ci_u32_e32 v1, vcc_lo, s29, v1, vcc_lo
	v_add_co_u32 v0, vcc_lo, v0, v11
	s_delay_alu instid0(VALU_DEP_2)
	v_add_co_ci_u32_e32 v1, vcc_lo, 0, v1, vcc_lo
	flat_load_b64 v[0:1], v[0:1]
	s_waitcnt vmcnt(0) lgkmcnt(0)
	v_mul_f64 v[0:1], v[0:1], s[24:25]
.LBB179_10:
	s_or_b32 exec_lo, exec_lo, s4
	s_load_b32 s20, s[0:1], 0x38
	v_lshrrev_b32_e32 v133, 6, v2
	s_add_i32 s21, s18, -1
	v_and_b32_e32 v65, 63, v2
	s_lshl_b32 s19, s3, 8
	s_delay_alu instid0(VALU_DEP_2) | instskip(SKIP_1) | instid1(VALU_DEP_3)
	v_min_i32_e32 v4, s21, v133
	v_cmp_le_i32_e32 vcc_lo, s18, v133
	v_or_b32_e32 v52, s19, v65
	s_delay_alu instid0(VALU_DEP_1) | instskip(SKIP_1) | instid1(VALU_DEP_2)
	v_cmp_le_i32_e64 s3, s17, v52
	v_ashrrev_i32_e32 v53, 31, v52
	s_or_b32 s5, s3, vcc_lo
	s_waitcnt lgkmcnt(0)
	v_mad_i64_i32 v[2:3], null, s20, v4, 0
	s_delay_alu instid0(VALU_DEP_1) | instskip(SKIP_2) | instid1(VALU_DEP_3)
	v_lshlrev_b64 v[4:5], 3, v[2:3]
	v_cndmask_b32_e64 v3, 0, 0x7fefffff, s5
	v_cndmask_b32_e64 v2, 0, -1, s5
	v_add_co_u32 v12, s4, s8, v4
	s_delay_alu instid0(VALU_DEP_1) | instskip(SKIP_1) | instid1(SALU_CYCLE_1)
	v_add_co_ci_u32_e64 v13, s4, s9, v5, s4
	s_or_b32 s4, s30, s5
	s_xor_b32 s4, s4, -1
	s_delay_alu instid0(SALU_CYCLE_1)
	s_and_saveexec_b32 s5, s4
	s_cbranch_execz .LBB179_12
; %bb.11:
	v_lshlrev_b64 v[2:3], 3, v[52:53]
	s_delay_alu instid0(VALU_DEP_1) | instskip(NEXT) | instid1(VALU_DEP_1)
	v_add_co_u32 v2, s4, v12, v2
	v_add_co_ci_u32_e64 v3, s4, v13, v3, s4
	flat_load_b64 v[2:3], v[2:3]
	s_waitcnt vmcnt(0) lgkmcnt(0)
	v_mul_f64 v[2:3], v[2:3], s[24:25]
.LBB179_12:
	s_or_b32 exec_lo, exec_lo, s5
	v_or_b32_e32 v4, 64, v52
	s_delay_alu instid0(VALU_DEP_1) | instskip(NEXT) | instid1(VALU_DEP_1)
	v_cmp_le_i32_e64 s4, s17, v4
	s_or_b32 s5, s4, vcc_lo
	s_delay_alu instid0(SALU_CYCLE_1) | instskip(SKIP_2) | instid1(SALU_CYCLE_1)
	v_cndmask_b32_e64 v5, 0, 0x7fefffff, s5
	v_cndmask_b32_e64 v4, 0, -1, s5
	s_or_b32 s5, s30, s5
	s_xor_b32 s5, s5, -1
	s_delay_alu instid0(SALU_CYCLE_1)
	s_and_saveexec_b32 s6, s5
	s_cbranch_execz .LBB179_14
; %bb.13:
	v_lshlrev_b64 v[4:5], 3, v[52:53]
	s_delay_alu instid0(VALU_DEP_1) | instskip(NEXT) | instid1(VALU_DEP_1)
	v_add_co_u32 v4, s5, v12, v4
	v_add_co_ci_u32_e64 v5, s5, v13, v5, s5
	flat_load_b64 v[4:5], v[4:5] offset:512
	s_waitcnt vmcnt(0) lgkmcnt(0)
	v_mul_f64 v[4:5], v[4:5], s[24:25]
.LBB179_14:
	s_or_b32 exec_lo, exec_lo, s6
	v_or_b32_e32 v6, 0x80, v52
	s_delay_alu instid0(VALU_DEP_1) | instskip(NEXT) | instid1(VALU_DEP_1)
	v_cmp_le_i32_e64 s5, s17, v6
	s_or_b32 s6, s5, vcc_lo
	s_delay_alu instid0(SALU_CYCLE_1) | instskip(SKIP_2) | instid1(SALU_CYCLE_1)
	v_cndmask_b32_e64 v7, 0, 0x7fefffff, s6
	v_cndmask_b32_e64 v6, 0, -1, s6
	s_or_b32 s6, s30, s6
	s_xor_b32 s6, s6, -1
	s_delay_alu instid0(SALU_CYCLE_1)
	s_and_saveexec_b32 s7, s6
	s_cbranch_execz .LBB179_16
; %bb.15:
	v_lshlrev_b64 v[6:7], 3, v[52:53]
	s_delay_alu instid0(VALU_DEP_1) | instskip(NEXT) | instid1(VALU_DEP_1)
	v_add_co_u32 v6, s6, v12, v6
	v_add_co_ci_u32_e64 v7, s6, v13, v7, s6
	flat_load_b64 v[6:7], v[6:7] offset:1024
	s_waitcnt vmcnt(0) lgkmcnt(0)
	v_mul_f64 v[6:7], v[6:7], s[24:25]
.LBB179_16:
	s_or_b32 exec_lo, exec_lo, s7
	v_or_b32_e32 v8, 0xc0, v52
	s_delay_alu instid0(VALU_DEP_1) | instskip(NEXT) | instid1(VALU_DEP_1)
	v_cmp_le_i32_e64 s6, s17, v8
	s_or_b32 s7, s6, vcc_lo
	s_delay_alu instid0(SALU_CYCLE_1) | instskip(SKIP_2) | instid1(SALU_CYCLE_1)
	v_cndmask_b32_e64 v9, 0, 0x7fefffff, s7
	v_cndmask_b32_e64 v8, 0, -1, s7
	s_or_b32 s7, s30, s7
	s_xor_b32 s31, s7, -1
	s_delay_alu instid0(SALU_CYCLE_1)
	s_and_saveexec_b32 s7, s31
	s_cbranch_execz .LBB179_18
; %bb.17:
	v_lshlrev_b64 v[8:9], 3, v[52:53]
	s_delay_alu instid0(VALU_DEP_1) | instskip(NEXT) | instid1(VALU_DEP_2)
	v_add_co_u32 v8, vcc_lo, v12, v8
	v_add_co_ci_u32_e32 v9, vcc_lo, v13, v9, vcc_lo
	flat_load_b64 v[8:9], v[8:9] offset:1536
	s_waitcnt vmcnt(0) lgkmcnt(0)
	v_mul_f64 v[8:9], v[8:9], s[24:25]
.LBB179_18:
	s_or_b32 exec_lo, exec_lo, s7
	v_or_b32_e32 v12, 4, v132
	s_delay_alu instid0(VALU_DEP_1) | instskip(SKIP_1) | instid1(SALU_CYCLE_1)
	v_cmp_le_i32_e32 vcc_lo, s18, v12
	s_or_b32 s7, vcc_lo, s2
	v_cndmask_b32_e64 v55, 0, 0x7fefffff, s7
	v_cndmask_b32_e64 v54, 0, -1, s7
	s_or_b32 s7, s30, s7
	s_delay_alu instid0(SALU_CYCLE_1) | instskip(NEXT) | instid1(SALU_CYCLE_1)
	s_xor_b32 s31, s7, -1
	s_and_saveexec_b32 s7, s31
	s_cbranch_execz .LBB179_20
; %bb.19:
	v_mad_i64_i32 v[12:13], null, v64, s33, 0
	s_delay_alu instid0(VALU_DEP_1) | instskip(NEXT) | instid1(VALU_DEP_1)
	v_lshlrev_b64 v[12:13], 3, v[12:13]
	v_add_co_u32 v12, vcc_lo, s28, v12
	s_delay_alu instid0(VALU_DEP_2) | instskip(NEXT) | instid1(VALU_DEP_2)
	v_add_co_ci_u32_e32 v13, vcc_lo, s29, v13, vcc_lo
	v_add_co_u32 v12, vcc_lo, v12, v11
	s_delay_alu instid0(VALU_DEP_2)
	v_add_co_ci_u32_e32 v13, vcc_lo, 0, v13, vcc_lo
	flat_load_b64 v[12:13], v[12:13] offset:32
	s_waitcnt vmcnt(0) lgkmcnt(0)
	v_mul_f64 v[54:55], v[12:13], s[24:25]
.LBB179_20:
	s_or_b32 exec_lo, exec_lo, s7
	v_add_nc_u32_e32 v14, 4, v133
	s_delay_alu instid0(VALU_DEP_1) | instskip(SKIP_1) | instid1(VALU_DEP_2)
	v_min_i32_e32 v15, s21, v14
	v_cmp_le_i32_e32 vcc_lo, s18, v14
	v_mad_i64_i32 v[12:13], null, s20, v15, 0
	s_or_b32 s31, s3, vcc_lo
	s_delay_alu instid0(SALU_CYCLE_1) | instskip(SKIP_1) | instid1(VALU_DEP_3)
	v_cndmask_b32_e64 v57, 0, 0x7fefffff, s31
	v_cndmask_b32_e64 v56, 0, -1, s31
	v_lshlrev_b64 v[12:13], 3, v[12:13]
	s_delay_alu instid0(VALU_DEP_1) | instskip(NEXT) | instid1(VALU_DEP_1)
	v_add_co_u32 v12, s7, s8, v12
	v_add_co_ci_u32_e64 v13, s7, s9, v13, s7
	s_or_b32 s7, s30, s31
	s_delay_alu instid0(SALU_CYCLE_1) | instskip(NEXT) | instid1(SALU_CYCLE_1)
	s_xor_b32 s7, s7, -1
	s_and_saveexec_b32 s31, s7
	s_cbranch_execz .LBB179_22
; %bb.21:
	v_lshlrev_b64 v[14:15], 3, v[52:53]
	s_delay_alu instid0(VALU_DEP_1) | instskip(NEXT) | instid1(VALU_DEP_1)
	v_add_co_u32 v14, s7, v12, v14
	v_add_co_ci_u32_e64 v15, s7, v13, v15, s7
	flat_load_b64 v[14:15], v[14:15]
	s_waitcnt vmcnt(0) lgkmcnt(0)
	v_mul_f64 v[56:57], v[14:15], s[24:25]
.LBB179_22:
	s_or_b32 exec_lo, exec_lo, s31
	s_or_b32 s7, s4, vcc_lo
	s_delay_alu instid0(SALU_CYCLE_1) | instskip(SKIP_2) | instid1(SALU_CYCLE_1)
	v_cndmask_b32_e64 v59, 0, 0x7fefffff, s7
	v_cndmask_b32_e64 v58, 0, -1, s7
	s_or_b32 s7, s30, s7
	s_xor_b32 s7, s7, -1
	s_delay_alu instid0(SALU_CYCLE_1)
	s_and_saveexec_b32 s31, s7
	s_cbranch_execz .LBB179_24
; %bb.23:
	v_lshlrev_b64 v[14:15], 3, v[52:53]
	s_delay_alu instid0(VALU_DEP_1) | instskip(NEXT) | instid1(VALU_DEP_1)
	v_add_co_u32 v14, s7, v12, v14
	v_add_co_ci_u32_e64 v15, s7, v13, v15, s7
	flat_load_b64 v[14:15], v[14:15] offset:512
	s_waitcnt vmcnt(0) lgkmcnt(0)
	v_mul_f64 v[58:59], v[14:15], s[24:25]
.LBB179_24:
	s_or_b32 exec_lo, exec_lo, s31
	s_or_b32 s7, s5, vcc_lo
	s_delay_alu instid0(SALU_CYCLE_1) | instskip(SKIP_2) | instid1(SALU_CYCLE_1)
	v_cndmask_b32_e64 v61, 0, 0x7fefffff, s7
	v_cndmask_b32_e64 v60, 0, -1, s7
	s_or_b32 s7, s30, s7
	s_xor_b32 s7, s7, -1
	s_delay_alu instid0(SALU_CYCLE_1)
	s_and_saveexec_b32 s31, s7
	s_cbranch_execz .LBB179_26
; %bb.25:
	v_lshlrev_b64 v[14:15], 3, v[52:53]
	s_delay_alu instid0(VALU_DEP_1) | instskip(NEXT) | instid1(VALU_DEP_1)
	v_add_co_u32 v14, s7, v12, v14
	v_add_co_ci_u32_e64 v15, s7, v13, v15, s7
	flat_load_b64 v[14:15], v[14:15] offset:1024
	s_waitcnt vmcnt(0) lgkmcnt(0)
	v_mul_f64 v[60:61], v[14:15], s[24:25]
.LBB179_26:
	s_or_b32 exec_lo, exec_lo, s31
	s_or_b32 s7, s6, vcc_lo
	s_delay_alu instid0(SALU_CYCLE_1) | instskip(SKIP_4) | instid1(SALU_CYCLE_1)
	v_cndmask_b32_e64 v63, 0, 0x7fefffff, s7
	v_cndmask_b32_e64 v62, 0, -1, s7
	s_or_b32 s31, s30, s7
	s_mov_b32 s7, -1
	s_xor_b32 s34, s31, -1
	s_and_saveexec_b32 s31, s34
	s_cbranch_execz .LBB179_28
; %bb.27:
	v_lshlrev_b64 v[14:15], 3, v[52:53]
	s_delay_alu instid0(VALU_DEP_1) | instskip(NEXT) | instid1(VALU_DEP_2)
	v_add_co_u32 v12, vcc_lo, v12, v14
	v_add_co_ci_u32_e32 v13, vcc_lo, v13, v15, vcc_lo
	flat_load_b64 v[12:13], v[12:13] offset:1536
	s_waitcnt vmcnt(0) lgkmcnt(0)
	v_mul_f64 v[62:63], v[12:13], s[24:25]
.LBB179_28:
	s_or_b32 exec_lo, exec_lo, s31
	v_dual_mov_b32 v67, 0x7f800000 :: v_dual_lshlrev_b32 v12, 3, v133
	v_lshl_or_b32 v136, v10, 5, v11
	v_dual_mov_b32 v66, 0x7f800000 :: v_dual_mov_b32 v69, 0x7f800000
	s_delay_alu instid0(VALU_DEP_3) | instskip(SKIP_1) | instid1(VALU_DEP_4)
	v_lshl_add_u32 v134, v65, 5, v12
	v_dual_mov_b32 v68, 0x7f800000 :: v_dual_mov_b32 v71, 0x7f800000
	v_add_nc_u32_e32 v135, 0x4000, v136
	v_dual_mov_b32 v70, 0x7f800000 :: v_dual_mov_b32 v73, 0x7f800000
	v_dual_mov_b32 v72, 0x7f800000 :: v_dual_mov_b32 v75, 0x7f800000
	;; [unrolled: 1-line block ×29, first 2 shown]
	v_mov_b32_e32 v130, 0x7f800000
	s_mov_b32 s31, 0
	ds_store_b64 v136, v[0:1] offset:16384
	ds_store_2addr_stride64_b64 v134, v[2:3], v[4:5] offset1:4
	ds_store_2addr_stride64_b64 v134, v[6:7], v[8:9] offset0:8 offset1:12
	s_waitcnt lgkmcnt(0)
	s_barrier
	buffer_gl0_inv
.LBB179_29:                             ; =>This Inner Loop Header: Depth=1
	s_lshl_b32 s31, s31, 3
	s_and_not1_b32 vcc_lo, exec_lo, s7
	v_lshl_add_u32 v0, v121, 5, s31
	v_lshl_add_u32 v16, v122, 5, s31
	s_mov_b32 s31, 2
	s_mov_b32 s7, 0
	ds_load_b128 v[32:35], v0 offset:16384
	ds_load_b128 v[28:31], v0 offset:16640
	ds_load_b128 v[24:27], v0 offset:16896
	ds_load_b128 v[20:23], v0 offset:17152
	ds_load_b128 v[12:15], v0 offset:17408
	ds_load_b128 v[8:11], v0 offset:17664
	ds_load_b128 v[4:7], v0 offset:17920
	ds_load_b128 v[0:3], v0 offset:18176
	ds_load_b128 v[137:140], v16
	ds_load_b128 v[141:144], v16 offset:1024
	ds_load_b128 v[145:148], v16 offset:2048
	;; [unrolled: 1-line block ×7, first 2 shown]
	s_waitcnt lgkmcnt(7)
	v_add_f64 v[149:150], v[34:35], v[139:140]
	v_add_f64 v[151:152], v[32:33], v[137:138]
	s_delay_alu instid0(VALU_DEP_2) | instskip(NEXT) | instid1(VALU_DEP_2)
	v_cvt_f32_f64_e32 v149, v[149:150]
	v_cvt_f32_f64_e32 v151, v[151:152]
	s_delay_alu instid0(VALU_DEP_1) | instskip(SKIP_2) | instid1(VALU_DEP_2)
	v_min3_f32 v131, v151, v149, v131
	v_add_f64 v[149:150], v[30:31], v[139:140]
	v_add_f64 v[151:152], v[28:29], v[137:138]
	v_cvt_f32_f64_e32 v149, v[149:150]
	s_delay_alu instid0(VALU_DEP_2) | instskip(NEXT) | instid1(VALU_DEP_1)
	v_cvt_f32_f64_e32 v151, v[151:152]
	v_min3_f32 v130, v151, v149, v130
	v_add_f64 v[149:150], v[26:27], v[139:140]
	v_add_f64 v[151:152], v[24:25], v[137:138]
	s_delay_alu instid0(VALU_DEP_2) | instskip(NEXT) | instid1(VALU_DEP_2)
	v_cvt_f32_f64_e32 v149, v[149:150]
	v_cvt_f32_f64_e32 v151, v[151:152]
	s_delay_alu instid0(VALU_DEP_1) | instskip(SKIP_2) | instid1(VALU_DEP_2)
	v_min3_f32 v129, v151, v149, v129
	v_add_f64 v[149:150], v[22:23], v[139:140]
	v_add_f64 v[151:152], v[20:21], v[137:138]
	v_cvt_f32_f64_e32 v149, v[149:150]
	s_delay_alu instid0(VALU_DEP_2) | instskip(NEXT) | instid1(VALU_DEP_1)
	v_cvt_f32_f64_e32 v151, v[151:152]
	v_min3_f32 v128, v151, v149, v128
	;; [unrolled: 13-line block ×3, first 2 shown]
	v_add_f64 v[149:150], v[6:7], v[139:140]
	v_add_f64 v[151:152], v[4:5], v[137:138]
	;; [unrolled: 1-line block ×4, first 2 shown]
	s_delay_alu instid0(VALU_DEP_4) | instskip(NEXT) | instid1(VALU_DEP_4)
	v_cvt_f32_f64_e32 v149, v[149:150]
	v_cvt_f32_f64_e32 v151, v[151:152]
	s_delay_alu instid0(VALU_DEP_3) | instskip(SKIP_3) | instid1(VALU_DEP_4)
	v_cvt_f32_f64_e32 v137, v[137:138]
	v_cvt_f32_f64_e32 v138, v[139:140]
	s_waitcnt lgkmcnt(6)
	v_add_f64 v[139:140], v[32:33], v[141:142]
	v_min3_f32 v125, v151, v149, v125
	s_delay_alu instid0(VALU_DEP_3) | instskip(SKIP_1) | instid1(VALU_DEP_4)
	v_min3_f32 v124, v137, v138, v124
	v_add_f64 v[137:138], v[34:35], v[143:144]
	v_cvt_f32_f64_e32 v139, v[139:140]
	s_delay_alu instid0(VALU_DEP_2) | instskip(NEXT) | instid1(VALU_DEP_1)
	v_cvt_f32_f64_e32 v137, v[137:138]
	v_min3_f32 v123, v139, v137, v123
	v_add_f64 v[137:138], v[30:31], v[143:144]
	v_add_f64 v[139:140], v[28:29], v[141:142]
	s_delay_alu instid0(VALU_DEP_2) | instskip(NEXT) | instid1(VALU_DEP_2)
	v_cvt_f32_f64_e32 v137, v[137:138]
	v_cvt_f32_f64_e32 v139, v[139:140]
	s_delay_alu instid0(VALU_DEP_1) | instskip(SKIP_2) | instid1(VALU_DEP_2)
	v_min3_f32 v120, v139, v137, v120
	v_add_f64 v[137:138], v[26:27], v[143:144]
	v_add_f64 v[139:140], v[24:25], v[141:142]
	v_cvt_f32_f64_e32 v137, v[137:138]
	s_delay_alu instid0(VALU_DEP_2) | instskip(NEXT) | instid1(VALU_DEP_1)
	v_cvt_f32_f64_e32 v139, v[139:140]
	v_min3_f32 v119, v139, v137, v119
	v_add_f64 v[137:138], v[22:23], v[143:144]
	v_add_f64 v[139:140], v[20:21], v[141:142]
	s_delay_alu instid0(VALU_DEP_2) | instskip(NEXT) | instid1(VALU_DEP_2)
	v_cvt_f32_f64_e32 v137, v[137:138]
	v_cvt_f32_f64_e32 v139, v[139:140]
	s_delay_alu instid0(VALU_DEP_1) | instskip(SKIP_2) | instid1(VALU_DEP_2)
	v_min3_f32 v118, v139, v137, v118
	v_add_f64 v[137:138], v[14:15], v[143:144]
	;; [unrolled: 13-line block ×3, first 2 shown]
	v_add_f64 v[139:140], v[4:5], v[141:142]
	v_cvt_f32_f64_e32 v137, v[137:138]
	s_delay_alu instid0(VALU_DEP_2) | instskip(NEXT) | instid1(VALU_DEP_1)
	v_cvt_f32_f64_e32 v139, v[139:140]
	v_min3_f32 v115, v139, v137, v115
	v_add_f64 v[137:138], v[2:3], v[143:144]
	v_add_f64 v[139:140], v[0:1], v[141:142]
	s_delay_alu instid0(VALU_DEP_2) | instskip(NEXT) | instid1(VALU_DEP_2)
	v_cvt_f32_f64_e32 v137, v[137:138]
	v_cvt_f32_f64_e32 v139, v[139:140]
	s_delay_alu instid0(VALU_DEP_1) | instskip(SKIP_3) | instid1(VALU_DEP_2)
	v_min3_f32 v114, v139, v137, v114
	s_waitcnt lgkmcnt(5)
	v_add_f64 v[137:138], v[34:35], v[147:148]
	v_add_f64 v[139:140], v[32:33], v[145:146]
	v_cvt_f32_f64_e32 v137, v[137:138]
	s_delay_alu instid0(VALU_DEP_2) | instskip(NEXT) | instid1(VALU_DEP_1)
	v_cvt_f32_f64_e32 v139, v[139:140]
	v_min3_f32 v113, v139, v137, v113
	v_add_f64 v[137:138], v[30:31], v[147:148]
	v_add_f64 v[139:140], v[28:29], v[145:146]
	s_delay_alu instid0(VALU_DEP_2) | instskip(NEXT) | instid1(VALU_DEP_2)
	v_cvt_f32_f64_e32 v137, v[137:138]
	v_cvt_f32_f64_e32 v139, v[139:140]
	s_delay_alu instid0(VALU_DEP_1) | instskip(SKIP_2) | instid1(VALU_DEP_2)
	v_min3_f32 v112, v139, v137, v112
	v_add_f64 v[137:138], v[26:27], v[147:148]
	v_add_f64 v[139:140], v[24:25], v[145:146]
	v_cvt_f32_f64_e32 v137, v[137:138]
	s_delay_alu instid0(VALU_DEP_2) | instskip(NEXT) | instid1(VALU_DEP_1)
	v_cvt_f32_f64_e32 v139, v[139:140]
	v_min3_f32 v111, v139, v137, v111
	v_add_f64 v[137:138], v[22:23], v[147:148]
	v_add_f64 v[139:140], v[20:21], v[145:146]
	s_delay_alu instid0(VALU_DEP_2) | instskip(NEXT) | instid1(VALU_DEP_2)
	v_cvt_f32_f64_e32 v137, v[137:138]
	v_cvt_f32_f64_e32 v139, v[139:140]
	s_delay_alu instid0(VALU_DEP_1) | instskip(SKIP_2) | instid1(VALU_DEP_2)
	v_min3_f32 v110, v139, v137, v110
	;; [unrolled: 13-line block ×3, first 2 shown]
	v_add_f64 v[137:138], v[6:7], v[147:148]
	v_add_f64 v[139:140], v[4:5], v[145:146]
	v_cvt_f32_f64_e32 v137, v[137:138]
	s_delay_alu instid0(VALU_DEP_2) | instskip(NEXT) | instid1(VALU_DEP_1)
	v_cvt_f32_f64_e32 v139, v[139:140]
	v_min3_f32 v107, v139, v137, v107
	v_add_f64 v[137:138], v[2:3], v[147:148]
	v_add_f64 v[139:140], v[0:1], v[145:146]
	s_delay_alu instid0(VALU_DEP_2) | instskip(NEXT) | instid1(VALU_DEP_2)
	v_cvt_f32_f64_e32 v137, v[137:138]
	v_cvt_f32_f64_e32 v139, v[139:140]
	s_delay_alu instid0(VALU_DEP_1) | instskip(SKIP_3) | instid1(VALU_DEP_2)
	v_min3_f32 v106, v139, v137, v106
	s_waitcnt lgkmcnt(4)
	v_add_f64 v[137:138], v[34:35], v[50:51]
	v_add_f64 v[139:140], v[32:33], v[48:49]
	v_cvt_f32_f64_e32 v137, v[137:138]
	s_delay_alu instid0(VALU_DEP_2) | instskip(NEXT) | instid1(VALU_DEP_1)
	v_cvt_f32_f64_e32 v139, v[139:140]
	v_min3_f32 v105, v139, v137, v105
	v_add_f64 v[137:138], v[30:31], v[50:51]
	v_add_f64 v[139:140], v[28:29], v[48:49]
	s_delay_alu instid0(VALU_DEP_2) | instskip(NEXT) | instid1(VALU_DEP_2)
	v_cvt_f32_f64_e32 v137, v[137:138]
	v_cvt_f32_f64_e32 v139, v[139:140]
	s_delay_alu instid0(VALU_DEP_1) | instskip(SKIP_2) | instid1(VALU_DEP_2)
	v_min3_f32 v104, v139, v137, v104
	v_add_f64 v[137:138], v[26:27], v[50:51]
	v_add_f64 v[139:140], v[24:25], v[48:49]
	v_cvt_f32_f64_e32 v137, v[137:138]
	s_delay_alu instid0(VALU_DEP_2) | instskip(NEXT) | instid1(VALU_DEP_1)
	v_cvt_f32_f64_e32 v139, v[139:140]
	v_min3_f32 v103, v139, v137, v103
	v_add_f64 v[137:138], v[22:23], v[50:51]
	v_add_f64 v[139:140], v[20:21], v[48:49]
	s_delay_alu instid0(VALU_DEP_2) | instskip(NEXT) | instid1(VALU_DEP_2)
	v_cvt_f32_f64_e32 v137, v[137:138]
	v_cvt_f32_f64_e32 v139, v[139:140]
	s_delay_alu instid0(VALU_DEP_1) | instskip(SKIP_2) | instid1(VALU_DEP_2)
	v_min3_f32 v102, v139, v137, v102
	v_add_f64 v[137:138], v[14:15], v[50:51]
	v_add_f64 v[139:140], v[12:13], v[48:49]
	v_cvt_f32_f64_e32 v137, v[137:138]
	s_delay_alu instid0(VALU_DEP_2) | instskip(NEXT) | instid1(VALU_DEP_1)
	v_cvt_f32_f64_e32 v139, v[139:140]
	v_min3_f32 v101, v139, v137, v101
	v_add_f64 v[137:138], v[10:11], v[50:51]
	v_add_f64 v[139:140], v[8:9], v[48:49]
	s_delay_alu instid0(VALU_DEP_2) | instskip(NEXT) | instid1(VALU_DEP_2)
	v_cvt_f32_f64_e32 v137, v[137:138]
	v_cvt_f32_f64_e32 v139, v[139:140]
	s_delay_alu instid0(VALU_DEP_1) | instskip(SKIP_4) | instid1(VALU_DEP_4)
	v_min3_f32 v100, v139, v137, v100
	v_add_f64 v[137:138], v[6:7], v[50:51]
	v_add_f64 v[139:140], v[4:5], v[48:49]
	;; [unrolled: 1-line block ×4, first 2 shown]
	v_cvt_f32_f64_e32 v137, v[137:138]
	s_delay_alu instid0(VALU_DEP_4) | instskip(NEXT) | instid1(VALU_DEP_3)
	v_cvt_f32_f64_e32 v139, v[139:140]
	v_cvt_f32_f64_e32 v48, v[48:49]
	v_cvt_f32_f64_e32 v49, v[50:51]
	s_waitcnt lgkmcnt(3)
	v_add_f64 v[50:51], v[32:33], v[44:45]
	s_delay_alu instid0(VALU_DEP_4) | instskip(NEXT) | instid1(VALU_DEP_3)
	v_min3_f32 v99, v139, v137, v99
	v_min3_f32 v98, v48, v49, v98
	v_add_f64 v[48:49], v[34:35], v[46:47]
	s_delay_alu instid0(VALU_DEP_4) | instskip(NEXT) | instid1(VALU_DEP_2)
	v_cvt_f32_f64_e32 v50, v[50:51]
	v_cvt_f32_f64_e32 v48, v[48:49]
	s_delay_alu instid0(VALU_DEP_1) | instskip(SKIP_2) | instid1(VALU_DEP_2)
	v_min3_f32 v97, v50, v48, v97
	v_add_f64 v[48:49], v[30:31], v[46:47]
	v_add_f64 v[50:51], v[28:29], v[44:45]
	v_cvt_f32_f64_e32 v48, v[48:49]
	s_delay_alu instid0(VALU_DEP_2) | instskip(NEXT) | instid1(VALU_DEP_1)
	v_cvt_f32_f64_e32 v50, v[50:51]
	v_min3_f32 v96, v50, v48, v96
	v_add_f64 v[48:49], v[26:27], v[46:47]
	v_add_f64 v[50:51], v[24:25], v[44:45]
	s_delay_alu instid0(VALU_DEP_2) | instskip(NEXT) | instid1(VALU_DEP_2)
	v_cvt_f32_f64_e32 v48, v[48:49]
	v_cvt_f32_f64_e32 v50, v[50:51]
	s_delay_alu instid0(VALU_DEP_1) | instskip(SKIP_2) | instid1(VALU_DEP_2)
	v_min3_f32 v95, v50, v48, v95
	v_add_f64 v[48:49], v[22:23], v[46:47]
	v_add_f64 v[50:51], v[20:21], v[44:45]
	v_cvt_f32_f64_e32 v48, v[48:49]
	s_delay_alu instid0(VALU_DEP_2) | instskip(NEXT) | instid1(VALU_DEP_1)
	v_cvt_f32_f64_e32 v50, v[50:51]
	v_min3_f32 v94, v50, v48, v94
	v_add_f64 v[48:49], v[14:15], v[46:47]
	v_add_f64 v[50:51], v[12:13], v[44:45]
	s_delay_alu instid0(VALU_DEP_2) | instskip(NEXT) | instid1(VALU_DEP_2)
	v_cvt_f32_f64_e32 v48, v[48:49]
	v_cvt_f32_f64_e32 v50, v[50:51]
	s_delay_alu instid0(VALU_DEP_1) | instskip(SKIP_2) | instid1(VALU_DEP_2)
	v_min3_f32 v93, v50, v48, v93
	v_add_f64 v[48:49], v[10:11], v[46:47]
	v_add_f64 v[50:51], v[8:9], v[44:45]
	v_cvt_f32_f64_e32 v48, v[48:49]
	s_delay_alu instid0(VALU_DEP_2) | instskip(NEXT) | instid1(VALU_DEP_1)
	v_cvt_f32_f64_e32 v50, v[50:51]
	v_min3_f32 v92, v50, v48, v92
	v_add_f64 v[48:49], v[6:7], v[46:47]
	v_add_f64 v[50:51], v[4:5], v[44:45]
	v_add_f64 v[46:47], v[2:3], v[46:47]
	v_add_f64 v[44:45], v[0:1], v[44:45]
	s_delay_alu instid0(VALU_DEP_4) | instskip(NEXT) | instid1(VALU_DEP_4)
	v_cvt_f32_f64_e32 v48, v[48:49]
	v_cvt_f32_f64_e32 v50, v[50:51]
	s_delay_alu instid0(VALU_DEP_3) | instskip(SKIP_3) | instid1(VALU_DEP_4)
	v_cvt_f32_f64_e32 v44, v[44:45]
	v_cvt_f32_f64_e32 v45, v[46:47]
	s_waitcnt lgkmcnt(2)
	v_add_f64 v[46:47], v[32:33], v[40:41]
	v_min3_f32 v91, v50, v48, v91
	s_delay_alu instid0(VALU_DEP_3) | instskip(SKIP_1) | instid1(VALU_DEP_4)
	v_min3_f32 v90, v44, v45, v90
	v_add_f64 v[44:45], v[34:35], v[42:43]
	v_cvt_f32_f64_e32 v46, v[46:47]
	s_delay_alu instid0(VALU_DEP_2) | instskip(NEXT) | instid1(VALU_DEP_1)
	v_cvt_f32_f64_e32 v44, v[44:45]
	v_min3_f32 v89, v46, v44, v89
	v_add_f64 v[44:45], v[30:31], v[42:43]
	v_add_f64 v[46:47], v[28:29], v[40:41]
	s_delay_alu instid0(VALU_DEP_2) | instskip(NEXT) | instid1(VALU_DEP_2)
	v_cvt_f32_f64_e32 v44, v[44:45]
	v_cvt_f32_f64_e32 v46, v[46:47]
	s_delay_alu instid0(VALU_DEP_1) | instskip(SKIP_2) | instid1(VALU_DEP_2)
	v_min3_f32 v88, v46, v44, v88
	v_add_f64 v[44:45], v[26:27], v[42:43]
	v_add_f64 v[46:47], v[24:25], v[40:41]
	v_cvt_f32_f64_e32 v44, v[44:45]
	s_delay_alu instid0(VALU_DEP_2) | instskip(NEXT) | instid1(VALU_DEP_1)
	v_cvt_f32_f64_e32 v46, v[46:47]
	v_min3_f32 v87, v46, v44, v87
	v_add_f64 v[44:45], v[22:23], v[42:43]
	v_add_f64 v[46:47], v[20:21], v[40:41]
	s_delay_alu instid0(VALU_DEP_2) | instskip(NEXT) | instid1(VALU_DEP_2)
	v_cvt_f32_f64_e32 v44, v[44:45]
	v_cvt_f32_f64_e32 v46, v[46:47]
	s_delay_alu instid0(VALU_DEP_1) | instskip(SKIP_2) | instid1(VALU_DEP_2)
	v_min3_f32 v86, v46, v44, v86
	v_add_f64 v[44:45], v[14:15], v[42:43]
	v_add_f64 v[46:47], v[12:13], v[40:41]
	v_cvt_f32_f64_e32 v44, v[44:45]
	s_delay_alu instid0(VALU_DEP_2) | instskip(NEXT) | instid1(VALU_DEP_1)
	v_cvt_f32_f64_e32 v46, v[46:47]
	v_min3_f32 v85, v46, v44, v85
	v_add_f64 v[44:45], v[10:11], v[42:43]
	v_add_f64 v[46:47], v[8:9], v[40:41]
	s_delay_alu instid0(VALU_DEP_2) | instskip(NEXT) | instid1(VALU_DEP_2)
	v_cvt_f32_f64_e32 v44, v[44:45]
	v_cvt_f32_f64_e32 v46, v[46:47]
	s_delay_alu instid0(VALU_DEP_1) | instskip(SKIP_4) | instid1(VALU_DEP_4)
	v_min3_f32 v84, v46, v44, v84
	v_add_f64 v[44:45], v[6:7], v[42:43]
	v_add_f64 v[46:47], v[4:5], v[40:41]
	;; [unrolled: 1-line block ×4, first 2 shown]
	v_cvt_f32_f64_e32 v44, v[44:45]
	s_delay_alu instid0(VALU_DEP_4) | instskip(NEXT) | instid1(VALU_DEP_3)
	v_cvt_f32_f64_e32 v46, v[46:47]
	v_cvt_f32_f64_e32 v40, v[40:41]
	;; [unrolled: 1-line block ×3, first 2 shown]
	s_waitcnt lgkmcnt(1)
	v_add_f64 v[42:43], v[32:33], v[36:37]
	s_waitcnt lgkmcnt(0)
	v_add_f64 v[32:33], v[32:33], v[16:17]
	v_min3_f32 v83, v46, v44, v83
	s_delay_alu instid0(VALU_DEP_4) | instskip(SKIP_4) | instid1(VALU_DEP_4)
	v_min3_f32 v82, v40, v41, v82
	v_add_f64 v[40:41], v[34:35], v[38:39]
	v_cvt_f32_f64_e32 v42, v[42:43]
	v_add_f64 v[34:35], v[34:35], v[18:19]
	v_cvt_f32_f64_e32 v32, v[32:33]
	v_cvt_f32_f64_e32 v40, v[40:41]
	s_delay_alu instid0(VALU_DEP_3) | instskip(NEXT) | instid1(VALU_DEP_2)
	v_cvt_f32_f64_e32 v33, v[34:35]
	v_min3_f32 v81, v42, v40, v81
	v_add_f64 v[40:41], v[30:31], v[38:39]
	v_add_f64 v[42:43], v[28:29], v[36:37]
	v_add_f64 v[30:31], v[30:31], v[18:19]
	v_add_f64 v[28:29], v[28:29], v[16:17]
	v_min3_f32 v73, v32, v33, v73
	v_cvt_f32_f64_e32 v40, v[40:41]
	v_cvt_f32_f64_e32 v42, v[42:43]
	s_delay_alu instid0(VALU_DEP_4) | instskip(SKIP_1) | instid1(VALU_DEP_3)
	v_cvt_f32_f64_e32 v28, v[28:29]
	v_cvt_f32_f64_e32 v29, v[30:31]
	v_min3_f32 v80, v42, v40, v80
	v_add_f64 v[40:41], v[26:27], v[38:39]
	v_add_f64 v[42:43], v[24:25], v[36:37]
	v_add_f64 v[26:27], v[26:27], v[18:19]
	v_add_f64 v[24:25], v[24:25], v[16:17]
	v_min3_f32 v72, v28, v29, v72
	v_cvt_f32_f64_e32 v40, v[40:41]
	v_cvt_f32_f64_e32 v42, v[42:43]
	s_delay_alu instid0(VALU_DEP_4) | instskip(SKIP_1) | instid1(VALU_DEP_3)
	v_cvt_f32_f64_e32 v24, v[24:25]
	v_cvt_f32_f64_e32 v25, v[26:27]
	v_min3_f32 v79, v42, v40, v79
	v_add_f64 v[40:41], v[22:23], v[38:39]
	v_add_f64 v[42:43], v[20:21], v[36:37]
	v_add_f64 v[22:23], v[22:23], v[18:19]
	v_add_f64 v[20:21], v[20:21], v[16:17]
	v_min3_f32 v71, v24, v25, v71
	v_cvt_f32_f64_e32 v40, v[40:41]
	v_cvt_f32_f64_e32 v42, v[42:43]
	s_delay_alu instid0(VALU_DEP_4) | instskip(SKIP_1) | instid1(VALU_DEP_3)
	v_cvt_f32_f64_e32 v20, v[20:21]
	v_cvt_f32_f64_e32 v21, v[22:23]
	v_min3_f32 v78, v42, v40, v78
	v_add_f64 v[40:41], v[14:15], v[38:39]
	v_add_f64 v[42:43], v[12:13], v[36:37]
	v_add_f64 v[14:15], v[14:15], v[18:19]
	v_add_f64 v[12:13], v[12:13], v[16:17]
	v_min3_f32 v70, v20, v21, v70
	v_cvt_f32_f64_e32 v40, v[40:41]
	v_cvt_f32_f64_e32 v42, v[42:43]
	s_delay_alu instid0(VALU_DEP_4) | instskip(SKIP_1) | instid1(VALU_DEP_3)
	v_cvt_f32_f64_e32 v12, v[12:13]
	v_cvt_f32_f64_e32 v13, v[14:15]
	v_min3_f32 v77, v42, v40, v77
	v_add_f64 v[40:41], v[10:11], v[38:39]
	v_add_f64 v[42:43], v[8:9], v[36:37]
	v_add_f64 v[10:11], v[10:11], v[18:19]
	v_add_f64 v[8:9], v[8:9], v[16:17]
	v_min3_f32 v69, v12, v13, v69
	v_cvt_f32_f64_e32 v40, v[40:41]
	v_cvt_f32_f64_e32 v42, v[42:43]
	s_delay_alu instid0(VALU_DEP_4) | instskip(SKIP_1) | instid1(VALU_DEP_3)
	v_cvt_f32_f64_e32 v8, v[8:9]
	v_cvt_f32_f64_e32 v9, v[10:11]
	v_min3_f32 v76, v42, v40, v76
	v_add_f64 v[40:41], v[6:7], v[38:39]
	v_add_f64 v[42:43], v[4:5], v[36:37]
	;; [unrolled: 1-line block ×8, first 2 shown]
	v_min3_f32 v68, v8, v9, v68
	v_cvt_f32_f64_e32 v40, v[40:41]
	v_cvt_f32_f64_e32 v42, v[42:43]
	;; [unrolled: 1-line block ×8, first 2 shown]
	v_min3_f32 v75, v42, v40, v75
	v_min3_f32 v74, v36, v37, v74
	;; [unrolled: 1-line block ×3, first 2 shown]
	s_delay_alu instid0(VALU_DEP_4)
	v_min3_f32 v66, v0, v1, v66
	s_cbranch_vccz .LBB179_29
; %bb.30:
	v_lshlrev_b32_e32 v0, 5, v65
	s_mov_b32 s31, 8
	s_cmp_gt_i32 s18, 8
	ds_store_b64 v136, v[54:55] offset:18432
	v_lshl_add_u32 v0, v133, 3, v0
	ds_store_2addr_stride64_b64 v0, v[56:57], v[58:59] offset0:16 offset1:20
	ds_store_2addr_stride64_b64 v0, v[60:61], v[62:63] offset0:24 offset1:28
	s_waitcnt lgkmcnt(0)
	s_barrier
	buffer_gl0_inv
	s_cbranch_scc0 .LBB179_57
; %bb.31:
	v_mad_i64_i32 v[1:2], null, v64, s33, 0
	v_lshlrev_b64 v[52:53], 3, v[52:53]
	v_dual_mov_b32 v55, 0 :: v_dual_add_nc_u32 v136, 0x4800, v136
	v_or_b32_e32 v137, 0x2000, v0
	s_delay_alu instid0(VALU_DEP_4) | instskip(NEXT) | instid1(VALU_DEP_1)
	v_lshlrev_b64 v[1:2], 3, v[1:2]
	v_add_co_u32 v138, vcc_lo, s28, v1
	s_delay_alu instid0(VALU_DEP_2) | instskip(SKIP_1) | instid1(VALU_DEP_2)
	v_add_co_ci_u32_e32 v139, vcc_lo, s29, v2, vcc_lo
	s_add_i32 s28, s18, -8
	v_add_co_u32 v140, vcc_lo, v138, 32
	s_delay_alu instid0(VALU_DEP_2)
	v_add_co_ci_u32_e32 v141, vcc_lo, 0, v139, vcc_lo
	s_mov_b32 s29, 0
.LBB179_32:                             ; =>This Loop Header: Depth=1
                                        ;     Child Loop BB179_43 Depth 2
                                        ;     Child Loop BB179_55 Depth 2
	v_or_b32_e32 v54, s31, v132
	s_delay_alu instid0(VALU_DEP_1) | instskip(SKIP_1) | instid1(SALU_CYCLE_1)
	v_cmp_le_i32_e32 vcc_lo, s18, v54
	s_or_b32 s7, vcc_lo, s2
	v_cndmask_b32_e64 v57, 0, 0x7fefffff, s7
	v_cndmask_b32_e64 v56, 0, -1, s7
	s_or_b32 s7, s30, s7
	s_delay_alu instid0(SALU_CYCLE_1) | instskip(NEXT) | instid1(SALU_CYCLE_1)
	s_xor_b32 s33, s7, -1
	s_and_saveexec_b32 s7, s33
	s_cbranch_execz .LBB179_34
; %bb.33:                               ;   in Loop: Header=BB179_32 Depth=1
	v_lshlrev_b64 v[0:1], 3, v[54:55]
	s_delay_alu instid0(VALU_DEP_1) | instskip(NEXT) | instid1(VALU_DEP_2)
	v_add_co_u32 v0, vcc_lo, v138, v0
	v_add_co_ci_u32_e32 v1, vcc_lo, v139, v1, vcc_lo
	flat_load_b64 v[0:1], v[0:1]
	s_waitcnt vmcnt(0) lgkmcnt(0)
	v_mul_f64 v[56:57], v[0:1], s[24:25]
.LBB179_34:                             ;   in Loop: Header=BB179_32 Depth=1
	s_or_b32 exec_lo, exec_lo, s7
	v_add_nc_u32_e32 v2, s31, v133
	s_delay_alu instid0(VALU_DEP_1) | instskip(SKIP_1) | instid1(VALU_DEP_2)
	v_min_i32_e32 v3, s21, v2
	v_cmp_le_i32_e32 vcc_lo, s18, v2
	v_mad_i64_i32 v[0:1], null, v3, s20, 0
	s_or_b32 s33, s3, vcc_lo
	s_delay_alu instid0(SALU_CYCLE_1) | instskip(SKIP_1) | instid1(VALU_DEP_3)
	v_cndmask_b32_e64 v59, 0, 0x7fefffff, s33
	v_cndmask_b32_e64 v58, 0, -1, s33
	v_lshlrev_b64 v[0:1], 3, v[0:1]
	s_delay_alu instid0(VALU_DEP_1) | instskip(NEXT) | instid1(VALU_DEP_1)
	v_add_co_u32 v0, s7, s8, v0
	v_add_co_ci_u32_e64 v1, s7, s9, v1, s7
	s_or_b32 s7, s30, s33
	s_delay_alu instid0(SALU_CYCLE_1) | instskip(NEXT) | instid1(SALU_CYCLE_1)
	s_xor_b32 s7, s7, -1
	s_and_saveexec_b32 s33, s7
	s_cbranch_execz .LBB179_36
; %bb.35:                               ;   in Loop: Header=BB179_32 Depth=1
	v_add_co_u32 v2, s7, v0, v52
	s_delay_alu instid0(VALU_DEP_1)
	v_add_co_ci_u32_e64 v3, s7, v1, v53, s7
	flat_load_b64 v[2:3], v[2:3]
	s_waitcnt vmcnt(0) lgkmcnt(0)
	v_mul_f64 v[58:59], v[2:3], s[24:25]
.LBB179_36:                             ;   in Loop: Header=BB179_32 Depth=1
	s_or_b32 exec_lo, exec_lo, s33
	s_or_b32 s7, s4, vcc_lo
	s_delay_alu instid0(SALU_CYCLE_1) | instskip(SKIP_2) | instid1(SALU_CYCLE_1)
	v_cndmask_b32_e64 v61, 0, 0x7fefffff, s7
	v_cndmask_b32_e64 v60, 0, -1, s7
	s_or_b32 s7, s30, s7
	s_xor_b32 s7, s7, -1
	s_delay_alu instid0(SALU_CYCLE_1)
	s_and_saveexec_b32 s33, s7
	s_cbranch_execz .LBB179_38
; %bb.37:                               ;   in Loop: Header=BB179_32 Depth=1
	v_add_co_u32 v2, s7, v0, v52
	s_delay_alu instid0(VALU_DEP_1)
	v_add_co_ci_u32_e64 v3, s7, v1, v53, s7
	flat_load_b64 v[2:3], v[2:3] offset:512
	s_waitcnt vmcnt(0) lgkmcnt(0)
	v_mul_f64 v[60:61], v[2:3], s[24:25]
.LBB179_38:                             ;   in Loop: Header=BB179_32 Depth=1
	s_or_b32 exec_lo, exec_lo, s33
	s_or_b32 s7, s5, vcc_lo
	s_delay_alu instid0(SALU_CYCLE_1) | instskip(SKIP_2) | instid1(SALU_CYCLE_1)
	v_cndmask_b32_e64 v63, 0, 0x7fefffff, s7
	v_cndmask_b32_e64 v62, 0, -1, s7
	s_or_b32 s7, s30, s7
	s_xor_b32 s7, s7, -1
	s_delay_alu instid0(SALU_CYCLE_1)
	s_and_saveexec_b32 s33, s7
	s_cbranch_execz .LBB179_40
; %bb.39:                               ;   in Loop: Header=BB179_32 Depth=1
	v_add_co_u32 v2, s7, v0, v52
	s_delay_alu instid0(VALU_DEP_1)
	v_add_co_ci_u32_e64 v3, s7, v1, v53, s7
	flat_load_b64 v[2:3], v[2:3] offset:1024
	s_waitcnt vmcnt(0) lgkmcnt(0)
	v_mul_f64 v[62:63], v[2:3], s[24:25]
.LBB179_40:                             ;   in Loop: Header=BB179_32 Depth=1
	s_or_b32 exec_lo, exec_lo, s33
	s_or_b32 s7, s6, vcc_lo
	s_delay_alu instid0(SALU_CYCLE_1) | instskip(SKIP_2) | instid1(SALU_CYCLE_1)
	v_cndmask_b32_e64 v65, 0, 0x7fefffff, s7
	v_cndmask_b32_e64 v64, 0, -1, s7
	s_or_b32 s7, s30, s7
	s_xor_b32 s33, s7, -1
	s_delay_alu instid0(SALU_CYCLE_1)
	s_and_saveexec_b32 s7, s33
	s_cbranch_execz .LBB179_42
; %bb.41:                               ;   in Loop: Header=BB179_32 Depth=1
	v_add_co_u32 v0, vcc_lo, v0, v52
	v_add_co_ci_u32_e32 v1, vcc_lo, v1, v53, vcc_lo
	flat_load_b64 v[0:1], v[0:1] offset:1536
	s_waitcnt vmcnt(0) lgkmcnt(0)
	v_mul_f64 v[64:65], v[0:1], s[24:25]
.LBB179_42:                             ;   in Loop: Header=BB179_32 Depth=1
	s_or_b32 exec_lo, exec_lo, s7
	s_mov_b32 s33, 0
	s_mov_b32 s7, -1
.LBB179_43:                             ;   Parent Loop BB179_32 Depth=1
                                        ; =>  This Inner Loop Header: Depth=2
	s_lshl_b32 s33, s33, 3
	s_and_not1_b32 vcc_lo, exec_lo, s7
	v_lshl_add_u32 v0, v121, 5, s33
	v_lshl_add_u32 v16, v122, 5, s33
	s_mov_b32 s33, 2
	s_mov_b32 s7, 0
	ds_load_b128 v[32:35], v0 offset:18432
	ds_load_b128 v[28:31], v0 offset:18688
	;; [unrolled: 1-line block ×16, first 2 shown]
	s_waitcnt lgkmcnt(7)
	v_add_f64 v[154:155], v[34:35], v[144:145]
	v_add_f64 v[156:157], v[32:33], v[142:143]
	s_delay_alu instid0(VALU_DEP_2) | instskip(NEXT) | instid1(VALU_DEP_2)
	v_cvt_f32_f64_e32 v154, v[154:155]
	v_cvt_f32_f64_e32 v156, v[156:157]
	s_delay_alu instid0(VALU_DEP_1) | instskip(SKIP_2) | instid1(VALU_DEP_2)
	v_min3_f32 v131, v156, v154, v131
	v_add_f64 v[154:155], v[30:31], v[144:145]
	v_add_f64 v[156:157], v[28:29], v[142:143]
	v_cvt_f32_f64_e32 v154, v[154:155]
	s_delay_alu instid0(VALU_DEP_2) | instskip(NEXT) | instid1(VALU_DEP_1)
	v_cvt_f32_f64_e32 v156, v[156:157]
	v_min3_f32 v130, v156, v154, v130
	v_add_f64 v[154:155], v[26:27], v[144:145]
	v_add_f64 v[156:157], v[24:25], v[142:143]
	s_delay_alu instid0(VALU_DEP_2) | instskip(NEXT) | instid1(VALU_DEP_2)
	v_cvt_f32_f64_e32 v154, v[154:155]
	v_cvt_f32_f64_e32 v156, v[156:157]
	s_delay_alu instid0(VALU_DEP_1) | instskip(SKIP_2) | instid1(VALU_DEP_2)
	v_min3_f32 v129, v156, v154, v129
	v_add_f64 v[154:155], v[22:23], v[144:145]
	v_add_f64 v[156:157], v[20:21], v[142:143]
	v_cvt_f32_f64_e32 v154, v[154:155]
	s_delay_alu instid0(VALU_DEP_2) | instskip(NEXT) | instid1(VALU_DEP_1)
	v_cvt_f32_f64_e32 v156, v[156:157]
	v_min3_f32 v128, v156, v154, v128
	;; [unrolled: 13-line block ×3, first 2 shown]
	v_add_f64 v[154:155], v[6:7], v[144:145]
	v_add_f64 v[156:157], v[4:5], v[142:143]
	;; [unrolled: 1-line block ×4, first 2 shown]
	s_delay_alu instid0(VALU_DEP_4) | instskip(NEXT) | instid1(VALU_DEP_4)
	v_cvt_f32_f64_e32 v154, v[154:155]
	v_cvt_f32_f64_e32 v156, v[156:157]
	s_delay_alu instid0(VALU_DEP_3) | instskip(SKIP_3) | instid1(VALU_DEP_4)
	v_cvt_f32_f64_e32 v142, v[142:143]
	v_cvt_f32_f64_e32 v143, v[144:145]
	s_waitcnt lgkmcnt(6)
	v_add_f64 v[144:145], v[32:33], v[146:147]
	v_min3_f32 v125, v156, v154, v125
	s_delay_alu instid0(VALU_DEP_3) | instskip(SKIP_1) | instid1(VALU_DEP_4)
	v_min3_f32 v124, v142, v143, v124
	v_add_f64 v[142:143], v[34:35], v[148:149]
	v_cvt_f32_f64_e32 v144, v[144:145]
	s_delay_alu instid0(VALU_DEP_2) | instskip(NEXT) | instid1(VALU_DEP_1)
	v_cvt_f32_f64_e32 v142, v[142:143]
	v_min3_f32 v123, v144, v142, v123
	v_add_f64 v[142:143], v[30:31], v[148:149]
	v_add_f64 v[144:145], v[28:29], v[146:147]
	s_delay_alu instid0(VALU_DEP_2) | instskip(NEXT) | instid1(VALU_DEP_2)
	v_cvt_f32_f64_e32 v142, v[142:143]
	v_cvt_f32_f64_e32 v144, v[144:145]
	s_delay_alu instid0(VALU_DEP_1) | instskip(SKIP_2) | instid1(VALU_DEP_2)
	v_min3_f32 v120, v144, v142, v120
	v_add_f64 v[142:143], v[26:27], v[148:149]
	v_add_f64 v[144:145], v[24:25], v[146:147]
	v_cvt_f32_f64_e32 v142, v[142:143]
	s_delay_alu instid0(VALU_DEP_2) | instskip(NEXT) | instid1(VALU_DEP_1)
	v_cvt_f32_f64_e32 v144, v[144:145]
	v_min3_f32 v119, v144, v142, v119
	v_add_f64 v[142:143], v[22:23], v[148:149]
	v_add_f64 v[144:145], v[20:21], v[146:147]
	s_delay_alu instid0(VALU_DEP_2) | instskip(NEXT) | instid1(VALU_DEP_2)
	v_cvt_f32_f64_e32 v142, v[142:143]
	v_cvt_f32_f64_e32 v144, v[144:145]
	s_delay_alu instid0(VALU_DEP_1) | instskip(SKIP_2) | instid1(VALU_DEP_2)
	v_min3_f32 v118, v144, v142, v118
	v_add_f64 v[142:143], v[14:15], v[148:149]
	v_add_f64 v[144:145], v[12:13], v[146:147]
	v_cvt_f32_f64_e32 v142, v[142:143]
	s_delay_alu instid0(VALU_DEP_2) | instskip(NEXT) | instid1(VALU_DEP_1)
	v_cvt_f32_f64_e32 v144, v[144:145]
	v_min3_f32 v117, v144, v142, v117
	v_add_f64 v[142:143], v[10:11], v[148:149]
	v_add_f64 v[144:145], v[8:9], v[146:147]
	s_delay_alu instid0(VALU_DEP_2) | instskip(NEXT) | instid1(VALU_DEP_2)
	v_cvt_f32_f64_e32 v142, v[142:143]
	v_cvt_f32_f64_e32 v144, v[144:145]
	s_delay_alu instid0(VALU_DEP_1) | instskip(SKIP_2) | instid1(VALU_DEP_2)
	v_min3_f32 v116, v144, v142, v116
	v_add_f64 v[142:143], v[6:7], v[148:149]
	v_add_f64 v[144:145], v[4:5], v[146:147]
	v_cvt_f32_f64_e32 v142, v[142:143]
	s_delay_alu instid0(VALU_DEP_2) | instskip(NEXT) | instid1(VALU_DEP_1)
	v_cvt_f32_f64_e32 v144, v[144:145]
	v_min3_f32 v115, v144, v142, v115
	v_add_f64 v[142:143], v[2:3], v[148:149]
	v_add_f64 v[144:145], v[0:1], v[146:147]
	s_delay_alu instid0(VALU_DEP_2) | instskip(NEXT) | instid1(VALU_DEP_2)
	v_cvt_f32_f64_e32 v142, v[142:143]
	v_cvt_f32_f64_e32 v144, v[144:145]
	s_delay_alu instid0(VALU_DEP_1) | instskip(SKIP_3) | instid1(VALU_DEP_2)
	v_min3_f32 v114, v144, v142, v114
	s_waitcnt lgkmcnt(5)
	v_add_f64 v[142:143], v[34:35], v[152:153]
	v_add_f64 v[144:145], v[32:33], v[150:151]
	v_cvt_f32_f64_e32 v142, v[142:143]
	s_delay_alu instid0(VALU_DEP_2) | instskip(NEXT) | instid1(VALU_DEP_1)
	v_cvt_f32_f64_e32 v144, v[144:145]
	v_min3_f32 v113, v144, v142, v113
	v_add_f64 v[142:143], v[30:31], v[152:153]
	v_add_f64 v[144:145], v[28:29], v[150:151]
	s_delay_alu instid0(VALU_DEP_2) | instskip(NEXT) | instid1(VALU_DEP_2)
	v_cvt_f32_f64_e32 v142, v[142:143]
	v_cvt_f32_f64_e32 v144, v[144:145]
	s_delay_alu instid0(VALU_DEP_1) | instskip(SKIP_2) | instid1(VALU_DEP_2)
	v_min3_f32 v112, v144, v142, v112
	v_add_f64 v[142:143], v[26:27], v[152:153]
	v_add_f64 v[144:145], v[24:25], v[150:151]
	v_cvt_f32_f64_e32 v142, v[142:143]
	s_delay_alu instid0(VALU_DEP_2) | instskip(NEXT) | instid1(VALU_DEP_1)
	v_cvt_f32_f64_e32 v144, v[144:145]
	v_min3_f32 v111, v144, v142, v111
	v_add_f64 v[142:143], v[22:23], v[152:153]
	v_add_f64 v[144:145], v[20:21], v[150:151]
	s_delay_alu instid0(VALU_DEP_2) | instskip(NEXT) | instid1(VALU_DEP_2)
	v_cvt_f32_f64_e32 v142, v[142:143]
	v_cvt_f32_f64_e32 v144, v[144:145]
	s_delay_alu instid0(VALU_DEP_1) | instskip(SKIP_2) | instid1(VALU_DEP_2)
	v_min3_f32 v110, v144, v142, v110
	;; [unrolled: 13-line block ×3, first 2 shown]
	v_add_f64 v[142:143], v[6:7], v[152:153]
	v_add_f64 v[144:145], v[4:5], v[150:151]
	v_cvt_f32_f64_e32 v142, v[142:143]
	s_delay_alu instid0(VALU_DEP_2) | instskip(NEXT) | instid1(VALU_DEP_1)
	v_cvt_f32_f64_e32 v144, v[144:145]
	v_min3_f32 v107, v144, v142, v107
	v_add_f64 v[142:143], v[2:3], v[152:153]
	v_add_f64 v[144:145], v[0:1], v[150:151]
	s_delay_alu instid0(VALU_DEP_2) | instskip(NEXT) | instid1(VALU_DEP_2)
	v_cvt_f32_f64_e32 v142, v[142:143]
	v_cvt_f32_f64_e32 v144, v[144:145]
	s_delay_alu instid0(VALU_DEP_1) | instskip(SKIP_3) | instid1(VALU_DEP_2)
	v_min3_f32 v106, v144, v142, v106
	s_waitcnt lgkmcnt(4)
	v_add_f64 v[142:143], v[34:35], v[50:51]
	v_add_f64 v[144:145], v[32:33], v[48:49]
	v_cvt_f32_f64_e32 v142, v[142:143]
	s_delay_alu instid0(VALU_DEP_2) | instskip(NEXT) | instid1(VALU_DEP_1)
	v_cvt_f32_f64_e32 v144, v[144:145]
	v_min3_f32 v105, v144, v142, v105
	v_add_f64 v[142:143], v[30:31], v[50:51]
	v_add_f64 v[144:145], v[28:29], v[48:49]
	s_delay_alu instid0(VALU_DEP_2) | instskip(NEXT) | instid1(VALU_DEP_2)
	v_cvt_f32_f64_e32 v142, v[142:143]
	v_cvt_f32_f64_e32 v144, v[144:145]
	s_delay_alu instid0(VALU_DEP_1) | instskip(SKIP_2) | instid1(VALU_DEP_2)
	v_min3_f32 v104, v144, v142, v104
	v_add_f64 v[142:143], v[26:27], v[50:51]
	v_add_f64 v[144:145], v[24:25], v[48:49]
	v_cvt_f32_f64_e32 v142, v[142:143]
	s_delay_alu instid0(VALU_DEP_2) | instskip(NEXT) | instid1(VALU_DEP_1)
	v_cvt_f32_f64_e32 v144, v[144:145]
	v_min3_f32 v103, v144, v142, v103
	v_add_f64 v[142:143], v[22:23], v[50:51]
	v_add_f64 v[144:145], v[20:21], v[48:49]
	s_delay_alu instid0(VALU_DEP_2) | instskip(NEXT) | instid1(VALU_DEP_2)
	v_cvt_f32_f64_e32 v142, v[142:143]
	v_cvt_f32_f64_e32 v144, v[144:145]
	s_delay_alu instid0(VALU_DEP_1) | instskip(SKIP_2) | instid1(VALU_DEP_2)
	v_min3_f32 v102, v144, v142, v102
	v_add_f64 v[142:143], v[14:15], v[50:51]
	v_add_f64 v[144:145], v[12:13], v[48:49]
	v_cvt_f32_f64_e32 v142, v[142:143]
	s_delay_alu instid0(VALU_DEP_2) | instskip(NEXT) | instid1(VALU_DEP_1)
	v_cvt_f32_f64_e32 v144, v[144:145]
	v_min3_f32 v101, v144, v142, v101
	v_add_f64 v[142:143], v[10:11], v[50:51]
	v_add_f64 v[144:145], v[8:9], v[48:49]
	s_delay_alu instid0(VALU_DEP_2) | instskip(NEXT) | instid1(VALU_DEP_2)
	v_cvt_f32_f64_e32 v142, v[142:143]
	v_cvt_f32_f64_e32 v144, v[144:145]
	s_delay_alu instid0(VALU_DEP_1) | instskip(SKIP_4) | instid1(VALU_DEP_4)
	v_min3_f32 v100, v144, v142, v100
	v_add_f64 v[142:143], v[6:7], v[50:51]
	v_add_f64 v[144:145], v[4:5], v[48:49]
	;; [unrolled: 1-line block ×4, first 2 shown]
	v_cvt_f32_f64_e32 v142, v[142:143]
	s_delay_alu instid0(VALU_DEP_4) | instskip(NEXT) | instid1(VALU_DEP_3)
	v_cvt_f32_f64_e32 v144, v[144:145]
	v_cvt_f32_f64_e32 v48, v[48:49]
	;; [unrolled: 1-line block ×3, first 2 shown]
	s_waitcnt lgkmcnt(3)
	v_add_f64 v[50:51], v[32:33], v[44:45]
	s_delay_alu instid0(VALU_DEP_4) | instskip(NEXT) | instid1(VALU_DEP_3)
	v_min3_f32 v99, v144, v142, v99
	v_min3_f32 v98, v48, v49, v98
	v_add_f64 v[48:49], v[34:35], v[46:47]
	s_delay_alu instid0(VALU_DEP_4) | instskip(NEXT) | instid1(VALU_DEP_2)
	v_cvt_f32_f64_e32 v50, v[50:51]
	v_cvt_f32_f64_e32 v48, v[48:49]
	s_delay_alu instid0(VALU_DEP_1) | instskip(SKIP_2) | instid1(VALU_DEP_2)
	v_min3_f32 v97, v50, v48, v97
	v_add_f64 v[48:49], v[30:31], v[46:47]
	v_add_f64 v[50:51], v[28:29], v[44:45]
	v_cvt_f32_f64_e32 v48, v[48:49]
	s_delay_alu instid0(VALU_DEP_2) | instskip(NEXT) | instid1(VALU_DEP_1)
	v_cvt_f32_f64_e32 v50, v[50:51]
	v_min3_f32 v96, v50, v48, v96
	v_add_f64 v[48:49], v[26:27], v[46:47]
	v_add_f64 v[50:51], v[24:25], v[44:45]
	s_delay_alu instid0(VALU_DEP_2) | instskip(NEXT) | instid1(VALU_DEP_2)
	v_cvt_f32_f64_e32 v48, v[48:49]
	v_cvt_f32_f64_e32 v50, v[50:51]
	s_delay_alu instid0(VALU_DEP_1) | instskip(SKIP_2) | instid1(VALU_DEP_2)
	v_min3_f32 v95, v50, v48, v95
	v_add_f64 v[48:49], v[22:23], v[46:47]
	v_add_f64 v[50:51], v[20:21], v[44:45]
	v_cvt_f32_f64_e32 v48, v[48:49]
	s_delay_alu instid0(VALU_DEP_2) | instskip(NEXT) | instid1(VALU_DEP_1)
	v_cvt_f32_f64_e32 v50, v[50:51]
	v_min3_f32 v94, v50, v48, v94
	v_add_f64 v[48:49], v[14:15], v[46:47]
	v_add_f64 v[50:51], v[12:13], v[44:45]
	s_delay_alu instid0(VALU_DEP_2) | instskip(NEXT) | instid1(VALU_DEP_2)
	v_cvt_f32_f64_e32 v48, v[48:49]
	v_cvt_f32_f64_e32 v50, v[50:51]
	s_delay_alu instid0(VALU_DEP_1) | instskip(SKIP_2) | instid1(VALU_DEP_2)
	v_min3_f32 v93, v50, v48, v93
	v_add_f64 v[48:49], v[10:11], v[46:47]
	v_add_f64 v[50:51], v[8:9], v[44:45]
	v_cvt_f32_f64_e32 v48, v[48:49]
	s_delay_alu instid0(VALU_DEP_2) | instskip(NEXT) | instid1(VALU_DEP_1)
	v_cvt_f32_f64_e32 v50, v[50:51]
	v_min3_f32 v92, v50, v48, v92
	v_add_f64 v[48:49], v[6:7], v[46:47]
	v_add_f64 v[50:51], v[4:5], v[44:45]
	;; [unrolled: 1-line block ×4, first 2 shown]
	s_delay_alu instid0(VALU_DEP_4) | instskip(NEXT) | instid1(VALU_DEP_4)
	v_cvt_f32_f64_e32 v48, v[48:49]
	v_cvt_f32_f64_e32 v50, v[50:51]
	s_delay_alu instid0(VALU_DEP_3) | instskip(SKIP_3) | instid1(VALU_DEP_4)
	v_cvt_f32_f64_e32 v44, v[44:45]
	v_cvt_f32_f64_e32 v45, v[46:47]
	s_waitcnt lgkmcnt(2)
	v_add_f64 v[46:47], v[32:33], v[40:41]
	v_min3_f32 v91, v50, v48, v91
	s_delay_alu instid0(VALU_DEP_3) | instskip(SKIP_1) | instid1(VALU_DEP_4)
	v_min3_f32 v90, v44, v45, v90
	v_add_f64 v[44:45], v[34:35], v[42:43]
	v_cvt_f32_f64_e32 v46, v[46:47]
	s_delay_alu instid0(VALU_DEP_2) | instskip(NEXT) | instid1(VALU_DEP_1)
	v_cvt_f32_f64_e32 v44, v[44:45]
	v_min3_f32 v89, v46, v44, v89
	v_add_f64 v[44:45], v[30:31], v[42:43]
	v_add_f64 v[46:47], v[28:29], v[40:41]
	s_delay_alu instid0(VALU_DEP_2) | instskip(NEXT) | instid1(VALU_DEP_2)
	v_cvt_f32_f64_e32 v44, v[44:45]
	v_cvt_f32_f64_e32 v46, v[46:47]
	s_delay_alu instid0(VALU_DEP_1) | instskip(SKIP_2) | instid1(VALU_DEP_2)
	v_min3_f32 v88, v46, v44, v88
	v_add_f64 v[44:45], v[26:27], v[42:43]
	v_add_f64 v[46:47], v[24:25], v[40:41]
	v_cvt_f32_f64_e32 v44, v[44:45]
	s_delay_alu instid0(VALU_DEP_2) | instskip(NEXT) | instid1(VALU_DEP_1)
	v_cvt_f32_f64_e32 v46, v[46:47]
	v_min3_f32 v87, v46, v44, v87
	v_add_f64 v[44:45], v[22:23], v[42:43]
	v_add_f64 v[46:47], v[20:21], v[40:41]
	s_delay_alu instid0(VALU_DEP_2) | instskip(NEXT) | instid1(VALU_DEP_2)
	v_cvt_f32_f64_e32 v44, v[44:45]
	v_cvt_f32_f64_e32 v46, v[46:47]
	s_delay_alu instid0(VALU_DEP_1) | instskip(SKIP_2) | instid1(VALU_DEP_2)
	v_min3_f32 v86, v46, v44, v86
	v_add_f64 v[44:45], v[14:15], v[42:43]
	v_add_f64 v[46:47], v[12:13], v[40:41]
	v_cvt_f32_f64_e32 v44, v[44:45]
	s_delay_alu instid0(VALU_DEP_2) | instskip(NEXT) | instid1(VALU_DEP_1)
	v_cvt_f32_f64_e32 v46, v[46:47]
	v_min3_f32 v85, v46, v44, v85
	v_add_f64 v[44:45], v[10:11], v[42:43]
	v_add_f64 v[46:47], v[8:9], v[40:41]
	s_delay_alu instid0(VALU_DEP_2) | instskip(NEXT) | instid1(VALU_DEP_2)
	v_cvt_f32_f64_e32 v44, v[44:45]
	v_cvt_f32_f64_e32 v46, v[46:47]
	s_delay_alu instid0(VALU_DEP_1) | instskip(SKIP_4) | instid1(VALU_DEP_4)
	v_min3_f32 v84, v46, v44, v84
	v_add_f64 v[44:45], v[6:7], v[42:43]
	v_add_f64 v[46:47], v[4:5], v[40:41]
	;; [unrolled: 1-line block ×4, first 2 shown]
	v_cvt_f32_f64_e32 v44, v[44:45]
	s_delay_alu instid0(VALU_DEP_4) | instskip(NEXT) | instid1(VALU_DEP_3)
	v_cvt_f32_f64_e32 v46, v[46:47]
	v_cvt_f32_f64_e32 v40, v[40:41]
	;; [unrolled: 1-line block ×3, first 2 shown]
	s_waitcnt lgkmcnt(1)
	v_add_f64 v[42:43], v[32:33], v[36:37]
	s_waitcnt lgkmcnt(0)
	v_add_f64 v[32:33], v[32:33], v[16:17]
	v_min3_f32 v83, v46, v44, v83
	s_delay_alu instid0(VALU_DEP_4) | instskip(SKIP_4) | instid1(VALU_DEP_4)
	v_min3_f32 v82, v40, v41, v82
	v_add_f64 v[40:41], v[34:35], v[38:39]
	v_cvt_f32_f64_e32 v42, v[42:43]
	v_add_f64 v[34:35], v[34:35], v[18:19]
	v_cvt_f32_f64_e32 v32, v[32:33]
	v_cvt_f32_f64_e32 v40, v[40:41]
	s_delay_alu instid0(VALU_DEP_3) | instskip(NEXT) | instid1(VALU_DEP_2)
	v_cvt_f32_f64_e32 v33, v[34:35]
	v_min3_f32 v81, v42, v40, v81
	v_add_f64 v[40:41], v[30:31], v[38:39]
	v_add_f64 v[42:43], v[28:29], v[36:37]
	v_add_f64 v[30:31], v[30:31], v[18:19]
	v_add_f64 v[28:29], v[28:29], v[16:17]
	v_min3_f32 v73, v32, v33, v73
	v_cvt_f32_f64_e32 v40, v[40:41]
	v_cvt_f32_f64_e32 v42, v[42:43]
	s_delay_alu instid0(VALU_DEP_4) | instskip(SKIP_1) | instid1(VALU_DEP_3)
	v_cvt_f32_f64_e32 v28, v[28:29]
	v_cvt_f32_f64_e32 v29, v[30:31]
	v_min3_f32 v80, v42, v40, v80
	v_add_f64 v[40:41], v[26:27], v[38:39]
	v_add_f64 v[42:43], v[24:25], v[36:37]
	v_add_f64 v[26:27], v[26:27], v[18:19]
	v_add_f64 v[24:25], v[24:25], v[16:17]
	v_min3_f32 v72, v28, v29, v72
	v_cvt_f32_f64_e32 v40, v[40:41]
	v_cvt_f32_f64_e32 v42, v[42:43]
	s_delay_alu instid0(VALU_DEP_4) | instskip(SKIP_1) | instid1(VALU_DEP_3)
	v_cvt_f32_f64_e32 v24, v[24:25]
	;; [unrolled: 11-line block ×5, first 2 shown]
	v_cvt_f32_f64_e32 v9, v[10:11]
	v_min3_f32 v76, v42, v40, v76
	v_add_f64 v[40:41], v[6:7], v[38:39]
	v_add_f64 v[42:43], v[4:5], v[36:37]
	;; [unrolled: 1-line block ×8, first 2 shown]
	v_min3_f32 v68, v8, v9, v68
	v_cvt_f32_f64_e32 v40, v[40:41]
	v_cvt_f32_f64_e32 v42, v[42:43]
	;; [unrolled: 1-line block ×8, first 2 shown]
	v_min3_f32 v75, v42, v40, v75
	v_min3_f32 v74, v36, v37, v74
	;; [unrolled: 1-line block ×3, first 2 shown]
	s_delay_alu instid0(VALU_DEP_4)
	v_min3_f32 v66, v0, v1, v66
	s_cbranch_vccz .LBB179_43
; %bb.44:                               ;   in Loop: Header=BB179_32 Depth=1
	v_or_b32_e32 v0, 4, v54
	ds_store_b64 v135, v[56:57]
	ds_store_2addr_stride64_b64 v134, v[58:59], v[60:61] offset1:4
	ds_store_2addr_stride64_b64 v134, v[62:63], v[64:65] offset0:8 offset1:12
	s_waitcnt lgkmcnt(0)
	s_barrier
	buffer_gl0_inv
	v_cmp_le_i32_e32 vcc_lo, s18, v0
	s_or_b32 s7, vcc_lo, s2
	s_delay_alu instid0(SALU_CYCLE_1) | instskip(SKIP_2) | instid1(SALU_CYCLE_1)
	v_cndmask_b32_e64 v57, 0, 0x7fefffff, s7
	v_cndmask_b32_e64 v56, 0, -1, s7
	s_or_b32 s7, s30, s7
	s_xor_b32 s33, s7, -1
	s_delay_alu instid0(SALU_CYCLE_1)
	s_and_saveexec_b32 s7, s33
	s_cbranch_execz .LBB179_46
; %bb.45:                               ;   in Loop: Header=BB179_32 Depth=1
	v_lshlrev_b64 v[0:1], 3, v[54:55]
	s_delay_alu instid0(VALU_DEP_1) | instskip(NEXT) | instid1(VALU_DEP_2)
	v_add_co_u32 v0, vcc_lo, v140, v0
	v_add_co_ci_u32_e32 v1, vcc_lo, v141, v1, vcc_lo
	flat_load_b64 v[0:1], v[0:1]
	s_waitcnt vmcnt(0) lgkmcnt(0)
	v_mul_f64 v[56:57], v[0:1], s[24:25]
.LBB179_46:                             ;   in Loop: Header=BB179_32 Depth=1
	s_or_b32 exec_lo, exec_lo, s7
	v_add3_u32 v2, v133, s31, 4
	s_delay_alu instid0(VALU_DEP_1) | instskip(SKIP_1) | instid1(VALU_DEP_2)
	v_min_i32_e32 v3, s21, v2
	v_cmp_le_i32_e32 vcc_lo, s18, v2
	v_mad_i64_i32 v[0:1], null, v3, s20, 0
	s_or_b32 s33, s3, vcc_lo
	s_delay_alu instid0(SALU_CYCLE_1) | instskip(SKIP_1) | instid1(VALU_DEP_3)
	v_cndmask_b32_e64 v59, 0, 0x7fefffff, s33
	v_cndmask_b32_e64 v58, 0, -1, s33
	v_lshlrev_b64 v[0:1], 3, v[0:1]
	s_delay_alu instid0(VALU_DEP_1) | instskip(NEXT) | instid1(VALU_DEP_1)
	v_add_co_u32 v0, s7, s8, v0
	v_add_co_ci_u32_e64 v1, s7, s9, v1, s7
	s_or_b32 s7, s30, s33
	s_delay_alu instid0(SALU_CYCLE_1) | instskip(NEXT) | instid1(SALU_CYCLE_1)
	s_xor_b32 s7, s7, -1
	s_and_saveexec_b32 s33, s7
	s_cbranch_execz .LBB179_48
; %bb.47:                               ;   in Loop: Header=BB179_32 Depth=1
	v_add_co_u32 v2, s7, v0, v52
	s_delay_alu instid0(VALU_DEP_1)
	v_add_co_ci_u32_e64 v3, s7, v1, v53, s7
	flat_load_b64 v[2:3], v[2:3]
	s_waitcnt vmcnt(0) lgkmcnt(0)
	v_mul_f64 v[58:59], v[2:3], s[24:25]
.LBB179_48:                             ;   in Loop: Header=BB179_32 Depth=1
	s_or_b32 exec_lo, exec_lo, s33
	s_or_b32 s7, s4, vcc_lo
	s_delay_alu instid0(SALU_CYCLE_1) | instskip(SKIP_2) | instid1(SALU_CYCLE_1)
	v_cndmask_b32_e64 v61, 0, 0x7fefffff, s7
	v_cndmask_b32_e64 v60, 0, -1, s7
	s_or_b32 s7, s30, s7
	s_xor_b32 s7, s7, -1
	s_delay_alu instid0(SALU_CYCLE_1)
	s_and_saveexec_b32 s33, s7
	s_cbranch_execz .LBB179_50
; %bb.49:                               ;   in Loop: Header=BB179_32 Depth=1
	v_add_co_u32 v2, s7, v0, v52
	s_delay_alu instid0(VALU_DEP_1)
	v_add_co_ci_u32_e64 v3, s7, v1, v53, s7
	flat_load_b64 v[2:3], v[2:3] offset:512
	s_waitcnt vmcnt(0) lgkmcnt(0)
	v_mul_f64 v[60:61], v[2:3], s[24:25]
.LBB179_50:                             ;   in Loop: Header=BB179_32 Depth=1
	s_or_b32 exec_lo, exec_lo, s33
	s_or_b32 s7, s5, vcc_lo
	s_delay_alu instid0(SALU_CYCLE_1) | instskip(SKIP_2) | instid1(SALU_CYCLE_1)
	v_cndmask_b32_e64 v63, 0, 0x7fefffff, s7
	v_cndmask_b32_e64 v62, 0, -1, s7
	s_or_b32 s7, s30, s7
	s_xor_b32 s7, s7, -1
	s_delay_alu instid0(SALU_CYCLE_1)
	s_and_saveexec_b32 s33, s7
	s_cbranch_execz .LBB179_52
; %bb.51:                               ;   in Loop: Header=BB179_32 Depth=1
	v_add_co_u32 v2, s7, v0, v52
	s_delay_alu instid0(VALU_DEP_1)
	v_add_co_ci_u32_e64 v3, s7, v1, v53, s7
	flat_load_b64 v[2:3], v[2:3] offset:1024
	s_waitcnt vmcnt(0) lgkmcnt(0)
	v_mul_f64 v[62:63], v[2:3], s[24:25]
.LBB179_52:                             ;   in Loop: Header=BB179_32 Depth=1
	s_or_b32 exec_lo, exec_lo, s33
	s_or_b32 s7, s6, vcc_lo
	s_delay_alu instid0(SALU_CYCLE_1) | instskip(SKIP_2) | instid1(SALU_CYCLE_1)
	v_cndmask_b32_e64 v65, 0, 0x7fefffff, s7
	v_cndmask_b32_e64 v64, 0, -1, s7
	s_or_b32 s7, s30, s7
	s_xor_b32 s33, s7, -1
	s_delay_alu instid0(SALU_CYCLE_1)
	s_and_saveexec_b32 s7, s33
	s_cbranch_execz .LBB179_54
; %bb.53:                               ;   in Loop: Header=BB179_32 Depth=1
	v_add_co_u32 v0, vcc_lo, v0, v52
	v_add_co_ci_u32_e32 v1, vcc_lo, v1, v53, vcc_lo
	flat_load_b64 v[0:1], v[0:1] offset:1536
	s_waitcnt vmcnt(0) lgkmcnt(0)
	v_mul_f64 v[64:65], v[0:1], s[24:25]
.LBB179_54:                             ;   in Loop: Header=BB179_32 Depth=1
	s_or_b32 exec_lo, exec_lo, s7
	s_mov_b32 s33, 0
	s_mov_b32 s7, -1
.LBB179_55:                             ;   Parent Loop BB179_32 Depth=1
                                        ; =>  This Inner Loop Header: Depth=2
	s_lshl_b32 s33, s33, 3
	s_and_not1_b32 vcc_lo, exec_lo, s7
	v_lshl_add_u32 v0, v121, 5, s33
	v_lshl_add_u32 v16, v122, 5, s33
	s_mov_b32 s33, 2
	s_mov_b32 s7, 0
	ds_load_b128 v[32:35], v0 offset:16384
	ds_load_b128 v[28:31], v0 offset:16640
	;; [unrolled: 1-line block ×8, first 2 shown]
	ds_load_b128 v[142:145], v16
	ds_load_b128 v[146:149], v16 offset:1024
	ds_load_b128 v[150:153], v16 offset:2048
	;; [unrolled: 1-line block ×7, first 2 shown]
	s_waitcnt lgkmcnt(7)
	v_add_f64 v[154:155], v[34:35], v[144:145]
	v_add_f64 v[156:157], v[32:33], v[142:143]
	s_delay_alu instid0(VALU_DEP_2) | instskip(NEXT) | instid1(VALU_DEP_2)
	v_cvt_f32_f64_e32 v154, v[154:155]
	v_cvt_f32_f64_e32 v54, v[156:157]
	v_add_f64 v[156:157], v[28:29], v[142:143]
	s_delay_alu instid0(VALU_DEP_2) | instskip(SKIP_1) | instid1(VALU_DEP_3)
	v_min3_f32 v131, v54, v154, v131
	v_add_f64 v[154:155], v[30:31], v[144:145]
	v_cvt_f32_f64_e32 v54, v[156:157]
	v_add_f64 v[156:157], v[24:25], v[142:143]
	s_delay_alu instid0(VALU_DEP_3) | instskip(NEXT) | instid1(VALU_DEP_1)
	v_cvt_f32_f64_e32 v154, v[154:155]
	v_min3_f32 v130, v54, v154, v130
	v_add_f64 v[154:155], v[26:27], v[144:145]
	s_delay_alu instid0(VALU_DEP_4) | instskip(SKIP_1) | instid1(VALU_DEP_3)
	v_cvt_f32_f64_e32 v54, v[156:157]
	v_add_f64 v[156:157], v[20:21], v[142:143]
	v_cvt_f32_f64_e32 v154, v[154:155]
	s_delay_alu instid0(VALU_DEP_1) | instskip(SKIP_1) | instid1(VALU_DEP_4)
	v_min3_f32 v129, v54, v154, v129
	v_add_f64 v[154:155], v[22:23], v[144:145]
	v_cvt_f32_f64_e32 v54, v[156:157]
	v_add_f64 v[156:157], v[12:13], v[142:143]
	s_delay_alu instid0(VALU_DEP_3) | instskip(NEXT) | instid1(VALU_DEP_1)
	v_cvt_f32_f64_e32 v154, v[154:155]
	v_min3_f32 v128, v54, v154, v128
	v_add_f64 v[154:155], v[14:15], v[144:145]
	s_delay_alu instid0(VALU_DEP_4) | instskip(SKIP_1) | instid1(VALU_DEP_3)
	v_cvt_f32_f64_e32 v54, v[156:157]
	v_add_f64 v[156:157], v[8:9], v[142:143]
	v_cvt_f32_f64_e32 v154, v[154:155]
	s_delay_alu instid0(VALU_DEP_1) | instskip(SKIP_1) | instid1(VALU_DEP_4)
	v_min3_f32 v127, v54, v154, v127
	v_add_f64 v[154:155], v[10:11], v[144:145]
	v_cvt_f32_f64_e32 v54, v[156:157]
	v_add_f64 v[156:157], v[4:5], v[142:143]
	v_add_f64 v[142:143], v[0:1], v[142:143]
	s_delay_alu instid0(VALU_DEP_4) | instskip(NEXT) | instid1(VALU_DEP_1)
	v_cvt_f32_f64_e32 v154, v[154:155]
	v_min3_f32 v126, v54, v154, v126
	v_add_f64 v[154:155], v[6:7], v[144:145]
	v_cvt_f32_f64_e32 v54, v[156:157]
	v_add_f64 v[144:145], v[2:3], v[144:145]
	s_delay_alu instid0(VALU_DEP_3) | instskip(NEXT) | instid1(VALU_DEP_1)
	v_cvt_f32_f64_e32 v154, v[154:155]
	v_min3_f32 v125, v54, v154, v125
	v_cvt_f32_f64_e32 v54, v[142:143]
	s_delay_alu instid0(VALU_DEP_4) | instskip(SKIP_2) | instid1(VALU_DEP_2)
	v_cvt_f32_f64_e32 v142, v[144:145]
	s_waitcnt lgkmcnt(6)
	v_add_f64 v[144:145], v[32:33], v[146:147]
	v_min3_f32 v124, v54, v142, v124
	v_add_f64 v[142:143], v[34:35], v[148:149]
	s_delay_alu instid0(VALU_DEP_3) | instskip(SKIP_1) | instid1(VALU_DEP_3)
	v_cvt_f32_f64_e32 v54, v[144:145]
	v_add_f64 v[144:145], v[28:29], v[146:147]
	v_cvt_f32_f64_e32 v142, v[142:143]
	s_delay_alu instid0(VALU_DEP_1) | instskip(SKIP_1) | instid1(VALU_DEP_4)
	v_min3_f32 v123, v54, v142, v123
	v_add_f64 v[142:143], v[30:31], v[148:149]
	v_cvt_f32_f64_e32 v54, v[144:145]
	v_add_f64 v[144:145], v[24:25], v[146:147]
	s_delay_alu instid0(VALU_DEP_3) | instskip(NEXT) | instid1(VALU_DEP_1)
	v_cvt_f32_f64_e32 v142, v[142:143]
	v_min3_f32 v120, v54, v142, v120
	v_add_f64 v[142:143], v[26:27], v[148:149]
	s_delay_alu instid0(VALU_DEP_4) | instskip(SKIP_1) | instid1(VALU_DEP_3)
	v_cvt_f32_f64_e32 v54, v[144:145]
	v_add_f64 v[144:145], v[20:21], v[146:147]
	v_cvt_f32_f64_e32 v142, v[142:143]
	s_delay_alu instid0(VALU_DEP_1) | instskip(SKIP_1) | instid1(VALU_DEP_4)
	v_min3_f32 v119, v54, v142, v119
	v_add_f64 v[142:143], v[22:23], v[148:149]
	v_cvt_f32_f64_e32 v54, v[144:145]
	v_add_f64 v[144:145], v[12:13], v[146:147]
	s_delay_alu instid0(VALU_DEP_3) | instskip(NEXT) | instid1(VALU_DEP_1)
	v_cvt_f32_f64_e32 v142, v[142:143]
	v_min3_f32 v118, v54, v142, v118
	v_add_f64 v[142:143], v[14:15], v[148:149]
	s_delay_alu instid0(VALU_DEP_4) | instskip(SKIP_1) | instid1(VALU_DEP_3)
	;; [unrolled: 13-line block ×3, first 2 shown]
	v_cvt_f32_f64_e32 v54, v[144:145]
	v_add_f64 v[144:145], v[0:1], v[146:147]
	v_cvt_f32_f64_e32 v142, v[142:143]
	s_delay_alu instid0(VALU_DEP_1) | instskip(SKIP_1) | instid1(VALU_DEP_4)
	v_min3_f32 v115, v54, v142, v115
	v_add_f64 v[142:143], v[2:3], v[148:149]
	v_cvt_f32_f64_e32 v54, v[144:145]
	s_waitcnt lgkmcnt(5)
	v_add_f64 v[144:145], v[32:33], v[150:151]
	s_delay_alu instid0(VALU_DEP_3) | instskip(NEXT) | instid1(VALU_DEP_1)
	v_cvt_f32_f64_e32 v142, v[142:143]
	v_min3_f32 v114, v54, v142, v114
	v_add_f64 v[142:143], v[34:35], v[152:153]
	s_delay_alu instid0(VALU_DEP_4) | instskip(SKIP_1) | instid1(VALU_DEP_3)
	v_cvt_f32_f64_e32 v54, v[144:145]
	v_add_f64 v[144:145], v[28:29], v[150:151]
	v_cvt_f32_f64_e32 v142, v[142:143]
	s_delay_alu instid0(VALU_DEP_1) | instskip(SKIP_1) | instid1(VALU_DEP_4)
	v_min3_f32 v113, v54, v142, v113
	v_add_f64 v[142:143], v[30:31], v[152:153]
	v_cvt_f32_f64_e32 v54, v[144:145]
	v_add_f64 v[144:145], v[24:25], v[150:151]
	s_delay_alu instid0(VALU_DEP_3) | instskip(NEXT) | instid1(VALU_DEP_1)
	v_cvt_f32_f64_e32 v142, v[142:143]
	v_min3_f32 v112, v54, v142, v112
	v_add_f64 v[142:143], v[26:27], v[152:153]
	s_delay_alu instid0(VALU_DEP_4) | instskip(SKIP_1) | instid1(VALU_DEP_3)
	v_cvt_f32_f64_e32 v54, v[144:145]
	v_add_f64 v[144:145], v[20:21], v[150:151]
	v_cvt_f32_f64_e32 v142, v[142:143]
	s_delay_alu instid0(VALU_DEP_1) | instskip(SKIP_1) | instid1(VALU_DEP_4)
	v_min3_f32 v111, v54, v142, v111
	v_add_f64 v[142:143], v[22:23], v[152:153]
	v_cvt_f32_f64_e32 v54, v[144:145]
	;; [unrolled: 13-line block ×4, first 2 shown]
	s_waitcnt lgkmcnt(4)
	v_add_f64 v[144:145], v[32:33], v[48:49]
	s_delay_alu instid0(VALU_DEP_3) | instskip(NEXT) | instid1(VALU_DEP_1)
	v_cvt_f32_f64_e32 v142, v[142:143]
	v_min3_f32 v106, v54, v142, v106
	v_add_f64 v[142:143], v[34:35], v[50:51]
	s_delay_alu instid0(VALU_DEP_4) | instskip(SKIP_1) | instid1(VALU_DEP_3)
	v_cvt_f32_f64_e32 v54, v[144:145]
	v_add_f64 v[144:145], v[28:29], v[48:49]
	v_cvt_f32_f64_e32 v142, v[142:143]
	s_delay_alu instid0(VALU_DEP_1) | instskip(SKIP_1) | instid1(VALU_DEP_4)
	v_min3_f32 v105, v54, v142, v105
	v_add_f64 v[142:143], v[30:31], v[50:51]
	v_cvt_f32_f64_e32 v54, v[144:145]
	v_add_f64 v[144:145], v[24:25], v[48:49]
	s_delay_alu instid0(VALU_DEP_3) | instskip(NEXT) | instid1(VALU_DEP_1)
	v_cvt_f32_f64_e32 v142, v[142:143]
	v_min3_f32 v104, v54, v142, v104
	v_add_f64 v[142:143], v[26:27], v[50:51]
	s_delay_alu instid0(VALU_DEP_4) | instskip(SKIP_1) | instid1(VALU_DEP_3)
	v_cvt_f32_f64_e32 v54, v[144:145]
	v_add_f64 v[144:145], v[20:21], v[48:49]
	v_cvt_f32_f64_e32 v142, v[142:143]
	s_delay_alu instid0(VALU_DEP_1) | instskip(SKIP_1) | instid1(VALU_DEP_4)
	v_min3_f32 v103, v54, v142, v103
	v_add_f64 v[142:143], v[22:23], v[50:51]
	v_cvt_f32_f64_e32 v54, v[144:145]
	;; [unrolled: 13-line block ×3, first 2 shown]
	v_add_f64 v[144:145], v[4:5], v[48:49]
	v_add_f64 v[48:49], v[0:1], v[48:49]
	s_delay_alu instid0(VALU_DEP_4) | instskip(NEXT) | instid1(VALU_DEP_2)
	v_cvt_f32_f64_e32 v142, v[142:143]
	v_cvt_f32_f64_e32 v48, v[48:49]
	s_delay_alu instid0(VALU_DEP_2) | instskip(SKIP_3) | instid1(VALU_DEP_3)
	v_min3_f32 v100, v54, v142, v100
	v_add_f64 v[142:143], v[6:7], v[50:51]
	v_add_f64 v[50:51], v[2:3], v[50:51]
	v_cvt_f32_f64_e32 v54, v[144:145]
	v_cvt_f32_f64_e32 v142, v[142:143]
	s_delay_alu instid0(VALU_DEP_3) | instskip(SKIP_2) | instid1(VALU_DEP_3)
	v_cvt_f32_f64_e32 v49, v[50:51]
	s_waitcnt lgkmcnt(3)
	v_add_f64 v[50:51], v[32:33], v[44:45]
	v_min3_f32 v99, v54, v142, v99
	s_delay_alu instid0(VALU_DEP_3) | instskip(SKIP_1) | instid1(VALU_DEP_4)
	v_min3_f32 v98, v48, v49, v98
	v_add_f64 v[48:49], v[34:35], v[46:47]
	v_cvt_f32_f64_e32 v50, v[50:51]
	s_delay_alu instid0(VALU_DEP_2) | instskip(NEXT) | instid1(VALU_DEP_1)
	v_cvt_f32_f64_e32 v48, v[48:49]
	v_min3_f32 v97, v50, v48, v97
	v_add_f64 v[48:49], v[30:31], v[46:47]
	v_add_f64 v[50:51], v[28:29], v[44:45]
	s_delay_alu instid0(VALU_DEP_2) | instskip(NEXT) | instid1(VALU_DEP_2)
	v_cvt_f32_f64_e32 v48, v[48:49]
	v_cvt_f32_f64_e32 v50, v[50:51]
	s_delay_alu instid0(VALU_DEP_1) | instskip(SKIP_2) | instid1(VALU_DEP_2)
	v_min3_f32 v96, v50, v48, v96
	v_add_f64 v[48:49], v[26:27], v[46:47]
	v_add_f64 v[50:51], v[24:25], v[44:45]
	v_cvt_f32_f64_e32 v48, v[48:49]
	s_delay_alu instid0(VALU_DEP_2) | instskip(NEXT) | instid1(VALU_DEP_1)
	v_cvt_f32_f64_e32 v50, v[50:51]
	v_min3_f32 v95, v50, v48, v95
	v_add_f64 v[48:49], v[22:23], v[46:47]
	v_add_f64 v[50:51], v[20:21], v[44:45]
	s_delay_alu instid0(VALU_DEP_2) | instskip(NEXT) | instid1(VALU_DEP_2)
	v_cvt_f32_f64_e32 v48, v[48:49]
	v_cvt_f32_f64_e32 v50, v[50:51]
	s_delay_alu instid0(VALU_DEP_1) | instskip(SKIP_2) | instid1(VALU_DEP_2)
	v_min3_f32 v94, v50, v48, v94
	v_add_f64 v[48:49], v[14:15], v[46:47]
	v_add_f64 v[50:51], v[12:13], v[44:45]
	v_cvt_f32_f64_e32 v48, v[48:49]
	s_delay_alu instid0(VALU_DEP_2) | instskip(NEXT) | instid1(VALU_DEP_1)
	v_cvt_f32_f64_e32 v50, v[50:51]
	v_min3_f32 v93, v50, v48, v93
	v_add_f64 v[48:49], v[10:11], v[46:47]
	v_add_f64 v[50:51], v[8:9], v[44:45]
	s_delay_alu instid0(VALU_DEP_2) | instskip(NEXT) | instid1(VALU_DEP_2)
	v_cvt_f32_f64_e32 v48, v[48:49]
	v_cvt_f32_f64_e32 v50, v[50:51]
	s_delay_alu instid0(VALU_DEP_1) | instskip(SKIP_4) | instid1(VALU_DEP_4)
	v_min3_f32 v92, v50, v48, v92
	v_add_f64 v[48:49], v[6:7], v[46:47]
	v_add_f64 v[50:51], v[4:5], v[44:45]
	;; [unrolled: 1-line block ×4, first 2 shown]
	v_cvt_f32_f64_e32 v48, v[48:49]
	s_delay_alu instid0(VALU_DEP_4) | instskip(NEXT) | instid1(VALU_DEP_3)
	v_cvt_f32_f64_e32 v50, v[50:51]
	v_cvt_f32_f64_e32 v44, v[44:45]
	;; [unrolled: 1-line block ×3, first 2 shown]
	s_waitcnt lgkmcnt(2)
	v_add_f64 v[46:47], v[32:33], v[40:41]
	s_delay_alu instid0(VALU_DEP_4) | instskip(NEXT) | instid1(VALU_DEP_3)
	v_min3_f32 v91, v50, v48, v91
	v_min3_f32 v90, v44, v45, v90
	v_add_f64 v[44:45], v[34:35], v[42:43]
	s_delay_alu instid0(VALU_DEP_4) | instskip(NEXT) | instid1(VALU_DEP_2)
	v_cvt_f32_f64_e32 v46, v[46:47]
	v_cvt_f32_f64_e32 v44, v[44:45]
	s_delay_alu instid0(VALU_DEP_1) | instskip(SKIP_2) | instid1(VALU_DEP_2)
	v_min3_f32 v89, v46, v44, v89
	v_add_f64 v[44:45], v[30:31], v[42:43]
	v_add_f64 v[46:47], v[28:29], v[40:41]
	v_cvt_f32_f64_e32 v44, v[44:45]
	s_delay_alu instid0(VALU_DEP_2) | instskip(NEXT) | instid1(VALU_DEP_1)
	v_cvt_f32_f64_e32 v46, v[46:47]
	v_min3_f32 v88, v46, v44, v88
	v_add_f64 v[44:45], v[26:27], v[42:43]
	v_add_f64 v[46:47], v[24:25], v[40:41]
	s_delay_alu instid0(VALU_DEP_2) | instskip(NEXT) | instid1(VALU_DEP_2)
	v_cvt_f32_f64_e32 v44, v[44:45]
	v_cvt_f32_f64_e32 v46, v[46:47]
	s_delay_alu instid0(VALU_DEP_1) | instskip(SKIP_2) | instid1(VALU_DEP_2)
	v_min3_f32 v87, v46, v44, v87
	v_add_f64 v[44:45], v[22:23], v[42:43]
	v_add_f64 v[46:47], v[20:21], v[40:41]
	v_cvt_f32_f64_e32 v44, v[44:45]
	s_delay_alu instid0(VALU_DEP_2) | instskip(NEXT) | instid1(VALU_DEP_1)
	v_cvt_f32_f64_e32 v46, v[46:47]
	v_min3_f32 v86, v46, v44, v86
	v_add_f64 v[44:45], v[14:15], v[42:43]
	v_add_f64 v[46:47], v[12:13], v[40:41]
	s_delay_alu instid0(VALU_DEP_2) | instskip(NEXT) | instid1(VALU_DEP_2)
	v_cvt_f32_f64_e32 v44, v[44:45]
	v_cvt_f32_f64_e32 v46, v[46:47]
	s_delay_alu instid0(VALU_DEP_1) | instskip(SKIP_2) | instid1(VALU_DEP_2)
	v_min3_f32 v85, v46, v44, v85
	v_add_f64 v[44:45], v[10:11], v[42:43]
	v_add_f64 v[46:47], v[8:9], v[40:41]
	v_cvt_f32_f64_e32 v44, v[44:45]
	s_delay_alu instid0(VALU_DEP_2) | instskip(NEXT) | instid1(VALU_DEP_1)
	v_cvt_f32_f64_e32 v46, v[46:47]
	v_min3_f32 v84, v46, v44, v84
	v_add_f64 v[44:45], v[6:7], v[42:43]
	v_add_f64 v[46:47], v[4:5], v[40:41]
	v_add_f64 v[42:43], v[2:3], v[42:43]
	v_add_f64 v[40:41], v[0:1], v[40:41]
	s_delay_alu instid0(VALU_DEP_4) | instskip(NEXT) | instid1(VALU_DEP_4)
	v_cvt_f32_f64_e32 v44, v[44:45]
	v_cvt_f32_f64_e32 v46, v[46:47]
	s_delay_alu instid0(VALU_DEP_3)
	v_cvt_f32_f64_e32 v40, v[40:41]
	v_cvt_f32_f64_e32 v41, v[42:43]
	s_waitcnt lgkmcnt(1)
	v_add_f64 v[42:43], v[32:33], v[36:37]
	s_waitcnt lgkmcnt(0)
	v_add_f64 v[32:33], v[32:33], v[16:17]
	v_min3_f32 v83, v46, v44, v83
	s_delay_alu instid0(VALU_DEP_4) | instskip(SKIP_4) | instid1(VALU_DEP_4)
	v_min3_f32 v82, v40, v41, v82
	v_add_f64 v[40:41], v[34:35], v[38:39]
	v_cvt_f32_f64_e32 v42, v[42:43]
	v_add_f64 v[34:35], v[34:35], v[18:19]
	v_cvt_f32_f64_e32 v32, v[32:33]
	v_cvt_f32_f64_e32 v40, v[40:41]
	s_delay_alu instid0(VALU_DEP_3) | instskip(NEXT) | instid1(VALU_DEP_2)
	v_cvt_f32_f64_e32 v33, v[34:35]
	v_min3_f32 v81, v42, v40, v81
	v_add_f64 v[40:41], v[30:31], v[38:39]
	v_add_f64 v[42:43], v[28:29], v[36:37]
	v_add_f64 v[30:31], v[30:31], v[18:19]
	v_add_f64 v[28:29], v[28:29], v[16:17]
	v_min3_f32 v73, v32, v33, v73
	v_cvt_f32_f64_e32 v40, v[40:41]
	v_cvt_f32_f64_e32 v42, v[42:43]
	s_delay_alu instid0(VALU_DEP_4) | instskip(SKIP_1) | instid1(VALU_DEP_3)
	v_cvt_f32_f64_e32 v28, v[28:29]
	v_cvt_f32_f64_e32 v29, v[30:31]
	v_min3_f32 v80, v42, v40, v80
	v_add_f64 v[40:41], v[26:27], v[38:39]
	v_add_f64 v[42:43], v[24:25], v[36:37]
	v_add_f64 v[26:27], v[26:27], v[18:19]
	v_add_f64 v[24:25], v[24:25], v[16:17]
	v_min3_f32 v72, v28, v29, v72
	v_cvt_f32_f64_e32 v40, v[40:41]
	v_cvt_f32_f64_e32 v42, v[42:43]
	s_delay_alu instid0(VALU_DEP_4) | instskip(SKIP_1) | instid1(VALU_DEP_3)
	v_cvt_f32_f64_e32 v24, v[24:25]
	;; [unrolled: 11-line block ×5, first 2 shown]
	v_cvt_f32_f64_e32 v9, v[10:11]
	v_min3_f32 v76, v42, v40, v76
	v_add_f64 v[40:41], v[6:7], v[38:39]
	v_add_f64 v[42:43], v[4:5], v[36:37]
	v_add_f64 v[38:39], v[2:3], v[38:39]
	v_add_f64 v[36:37], v[0:1], v[36:37]
	v_add_f64 v[6:7], v[6:7], v[18:19]
	v_add_f64 v[4:5], v[4:5], v[16:17]
	v_add_f64 v[2:3], v[2:3], v[18:19]
	v_add_f64 v[0:1], v[0:1], v[16:17]
	v_min3_f32 v68, v8, v9, v68
	v_cvt_f32_f64_e32 v40, v[40:41]
	v_cvt_f32_f64_e32 v42, v[42:43]
	;; [unrolled: 1-line block ×8, first 2 shown]
	v_min3_f32 v75, v42, v40, v75
	v_min3_f32 v74, v36, v37, v74
	;; [unrolled: 1-line block ×3, first 2 shown]
	s_delay_alu instid0(VALU_DEP_4)
	v_min3_f32 v66, v0, v1, v66
	s_cbranch_vccz .LBB179_55
; %bb.56:                               ;   in Loop: Header=BB179_32 Depth=1
	s_add_i32 s29, s29, 8
	s_add_i32 s31, s31, 8
	s_cmp_ge_i32 s29, s28
	ds_store_b64 v136, v[56:57]
	ds_store_2addr_stride64_b64 v137, v[58:59], v[60:61] offset1:4
	ds_store_2addr_stride64_b64 v137, v[62:63], v[64:65] offset0:8 offset1:12
	s_waitcnt lgkmcnt(0)
	s_barrier
	buffer_gl0_inv
	s_cbranch_scc0 .LBB179_32
.LBB179_57:
	s_mov_b32 s3, 0
	s_mov_b32 s2, -1
.LBB179_58:                             ; =>This Inner Loop Header: Depth=1
	s_lshl_b32 s3, s3, 3
	s_and_not1_b32 vcc_lo, exec_lo, s2
	v_lshl_add_u32 v0, v121, 5, s3
	v_lshl_add_u32 v16, v122, 5, s3
	s_mov_b32 s3, 2
	s_mov_b32 s2, 0
	ds_load_b128 v[32:35], v0 offset:18432
	ds_load_b128 v[28:31], v0 offset:18688
	;; [unrolled: 1-line block ×16, first 2 shown]
	s_waitcnt lgkmcnt(7)
	v_add_f64 v[64:65], v[34:35], v[54:55]
	v_add_f64 v[132:133], v[32:33], v[52:53]
	s_delay_alu instid0(VALU_DEP_2) | instskip(NEXT) | instid1(VALU_DEP_2)
	v_cvt_f32_f64_e32 v64, v[64:65]
	v_cvt_f32_f64_e32 v132, v[132:133]
	s_delay_alu instid0(VALU_DEP_1) | instskip(SKIP_2) | instid1(VALU_DEP_2)
	v_min3_f32 v131, v132, v64, v131
	v_add_f64 v[64:65], v[30:31], v[54:55]
	v_add_f64 v[132:133], v[28:29], v[52:53]
	v_cvt_f32_f64_e32 v64, v[64:65]
	s_delay_alu instid0(VALU_DEP_2) | instskip(NEXT) | instid1(VALU_DEP_1)
	v_cvt_f32_f64_e32 v132, v[132:133]
	v_min3_f32 v130, v132, v64, v130
	v_add_f64 v[64:65], v[26:27], v[54:55]
	v_add_f64 v[132:133], v[24:25], v[52:53]
	s_delay_alu instid0(VALU_DEP_2) | instskip(NEXT) | instid1(VALU_DEP_2)
	v_cvt_f32_f64_e32 v64, v[64:65]
	v_cvt_f32_f64_e32 v132, v[132:133]
	s_delay_alu instid0(VALU_DEP_1) | instskip(SKIP_2) | instid1(VALU_DEP_2)
	v_min3_f32 v129, v132, v64, v129
	v_add_f64 v[64:65], v[22:23], v[54:55]
	v_add_f64 v[132:133], v[20:21], v[52:53]
	v_cvt_f32_f64_e32 v64, v[64:65]
	s_delay_alu instid0(VALU_DEP_2) | instskip(NEXT) | instid1(VALU_DEP_1)
	v_cvt_f32_f64_e32 v132, v[132:133]
	v_min3_f32 v128, v132, v64, v128
	;; [unrolled: 13-line block ×3, first 2 shown]
	v_add_f64 v[64:65], v[6:7], v[54:55]
	v_add_f64 v[132:133], v[4:5], v[52:53]
	;; [unrolled: 1-line block ×4, first 2 shown]
	s_delay_alu instid0(VALU_DEP_4) | instskip(NEXT) | instid1(VALU_DEP_4)
	v_cvt_f32_f64_e32 v64, v[64:65]
	v_cvt_f32_f64_e32 v132, v[132:133]
	s_delay_alu instid0(VALU_DEP_3) | instskip(SKIP_3) | instid1(VALU_DEP_4)
	v_cvt_f32_f64_e32 v52, v[52:53]
	v_cvt_f32_f64_e32 v53, v[54:55]
	s_waitcnt lgkmcnt(6)
	v_add_f64 v[54:55], v[32:33], v[56:57]
	v_min3_f32 v125, v132, v64, v125
	s_delay_alu instid0(VALU_DEP_3) | instskip(SKIP_1) | instid1(VALU_DEP_4)
	v_min3_f32 v124, v52, v53, v124
	v_add_f64 v[52:53], v[34:35], v[58:59]
	v_cvt_f32_f64_e32 v54, v[54:55]
	s_delay_alu instid0(VALU_DEP_2) | instskip(NEXT) | instid1(VALU_DEP_1)
	v_cvt_f32_f64_e32 v52, v[52:53]
	v_min3_f32 v123, v54, v52, v123
	v_add_f64 v[52:53], v[30:31], v[58:59]
	v_add_f64 v[54:55], v[28:29], v[56:57]
	s_delay_alu instid0(VALU_DEP_2) | instskip(NEXT) | instid1(VALU_DEP_2)
	v_cvt_f32_f64_e32 v52, v[52:53]
	v_cvt_f32_f64_e32 v54, v[54:55]
	s_delay_alu instid0(VALU_DEP_1) | instskip(SKIP_2) | instid1(VALU_DEP_2)
	v_min3_f32 v120, v54, v52, v120
	v_add_f64 v[52:53], v[26:27], v[58:59]
	v_add_f64 v[54:55], v[24:25], v[56:57]
	v_cvt_f32_f64_e32 v52, v[52:53]
	s_delay_alu instid0(VALU_DEP_2) | instskip(NEXT) | instid1(VALU_DEP_1)
	v_cvt_f32_f64_e32 v54, v[54:55]
	v_min3_f32 v119, v54, v52, v119
	v_add_f64 v[52:53], v[22:23], v[58:59]
	v_add_f64 v[54:55], v[20:21], v[56:57]
	s_delay_alu instid0(VALU_DEP_2) | instskip(NEXT) | instid1(VALU_DEP_2)
	v_cvt_f32_f64_e32 v52, v[52:53]
	v_cvt_f32_f64_e32 v54, v[54:55]
	s_delay_alu instid0(VALU_DEP_1) | instskip(SKIP_2) | instid1(VALU_DEP_2)
	v_min3_f32 v118, v54, v52, v118
	v_add_f64 v[52:53], v[14:15], v[58:59]
	;; [unrolled: 13-line block ×3, first 2 shown]
	v_add_f64 v[54:55], v[4:5], v[56:57]
	v_cvt_f32_f64_e32 v52, v[52:53]
	s_delay_alu instid0(VALU_DEP_2) | instskip(NEXT) | instid1(VALU_DEP_1)
	v_cvt_f32_f64_e32 v54, v[54:55]
	v_min3_f32 v115, v54, v52, v115
	v_add_f64 v[52:53], v[2:3], v[58:59]
	v_add_f64 v[54:55], v[0:1], v[56:57]
	s_delay_alu instid0(VALU_DEP_2) | instskip(NEXT) | instid1(VALU_DEP_2)
	v_cvt_f32_f64_e32 v52, v[52:53]
	v_cvt_f32_f64_e32 v54, v[54:55]
	s_delay_alu instid0(VALU_DEP_1) | instskip(SKIP_3) | instid1(VALU_DEP_2)
	v_min3_f32 v114, v54, v52, v114
	s_waitcnt lgkmcnt(5)
	v_add_f64 v[52:53], v[34:35], v[62:63]
	v_add_f64 v[54:55], v[32:33], v[60:61]
	v_cvt_f32_f64_e32 v52, v[52:53]
	s_delay_alu instid0(VALU_DEP_2) | instskip(NEXT) | instid1(VALU_DEP_1)
	v_cvt_f32_f64_e32 v54, v[54:55]
	v_min3_f32 v113, v54, v52, v113
	v_add_f64 v[52:53], v[30:31], v[62:63]
	v_add_f64 v[54:55], v[28:29], v[60:61]
	s_delay_alu instid0(VALU_DEP_2) | instskip(NEXT) | instid1(VALU_DEP_2)
	v_cvt_f32_f64_e32 v52, v[52:53]
	v_cvt_f32_f64_e32 v54, v[54:55]
	s_delay_alu instid0(VALU_DEP_1) | instskip(SKIP_2) | instid1(VALU_DEP_2)
	v_min3_f32 v112, v54, v52, v112
	v_add_f64 v[52:53], v[26:27], v[62:63]
	v_add_f64 v[54:55], v[24:25], v[60:61]
	v_cvt_f32_f64_e32 v52, v[52:53]
	s_delay_alu instid0(VALU_DEP_2) | instskip(NEXT) | instid1(VALU_DEP_1)
	v_cvt_f32_f64_e32 v54, v[54:55]
	v_min3_f32 v111, v54, v52, v111
	v_add_f64 v[52:53], v[22:23], v[62:63]
	v_add_f64 v[54:55], v[20:21], v[60:61]
	s_delay_alu instid0(VALU_DEP_2) | instskip(NEXT) | instid1(VALU_DEP_2)
	v_cvt_f32_f64_e32 v52, v[52:53]
	v_cvt_f32_f64_e32 v54, v[54:55]
	s_delay_alu instid0(VALU_DEP_1) | instskip(SKIP_2) | instid1(VALU_DEP_2)
	v_min3_f32 v110, v54, v52, v110
	;; [unrolled: 13-line block ×3, first 2 shown]
	v_add_f64 v[52:53], v[6:7], v[62:63]
	v_add_f64 v[54:55], v[4:5], v[60:61]
	v_cvt_f32_f64_e32 v52, v[52:53]
	s_delay_alu instid0(VALU_DEP_2) | instskip(NEXT) | instid1(VALU_DEP_1)
	v_cvt_f32_f64_e32 v54, v[54:55]
	v_min3_f32 v107, v54, v52, v107
	v_add_f64 v[52:53], v[2:3], v[62:63]
	v_add_f64 v[54:55], v[0:1], v[60:61]
	s_delay_alu instid0(VALU_DEP_2) | instskip(NEXT) | instid1(VALU_DEP_2)
	v_cvt_f32_f64_e32 v52, v[52:53]
	v_cvt_f32_f64_e32 v54, v[54:55]
	s_delay_alu instid0(VALU_DEP_1) | instskip(SKIP_3) | instid1(VALU_DEP_2)
	v_min3_f32 v106, v54, v52, v106
	s_waitcnt lgkmcnt(4)
	v_add_f64 v[52:53], v[34:35], v[50:51]
	v_add_f64 v[54:55], v[32:33], v[48:49]
	v_cvt_f32_f64_e32 v52, v[52:53]
	s_delay_alu instid0(VALU_DEP_2) | instskip(NEXT) | instid1(VALU_DEP_1)
	v_cvt_f32_f64_e32 v54, v[54:55]
	v_min3_f32 v105, v54, v52, v105
	v_add_f64 v[52:53], v[30:31], v[50:51]
	v_add_f64 v[54:55], v[28:29], v[48:49]
	s_delay_alu instid0(VALU_DEP_2) | instskip(NEXT) | instid1(VALU_DEP_2)
	v_cvt_f32_f64_e32 v52, v[52:53]
	v_cvt_f32_f64_e32 v54, v[54:55]
	s_delay_alu instid0(VALU_DEP_1) | instskip(SKIP_2) | instid1(VALU_DEP_2)
	v_min3_f32 v104, v54, v52, v104
	v_add_f64 v[52:53], v[26:27], v[50:51]
	v_add_f64 v[54:55], v[24:25], v[48:49]
	v_cvt_f32_f64_e32 v52, v[52:53]
	s_delay_alu instid0(VALU_DEP_2) | instskip(NEXT) | instid1(VALU_DEP_1)
	v_cvt_f32_f64_e32 v54, v[54:55]
	v_min3_f32 v103, v54, v52, v103
	v_add_f64 v[52:53], v[22:23], v[50:51]
	v_add_f64 v[54:55], v[20:21], v[48:49]
	s_delay_alu instid0(VALU_DEP_2) | instskip(NEXT) | instid1(VALU_DEP_2)
	v_cvt_f32_f64_e32 v52, v[52:53]
	v_cvt_f32_f64_e32 v54, v[54:55]
	s_delay_alu instid0(VALU_DEP_1) | instskip(SKIP_2) | instid1(VALU_DEP_2)
	v_min3_f32 v102, v54, v52, v102
	v_add_f64 v[52:53], v[14:15], v[50:51]
	v_add_f64 v[54:55], v[12:13], v[48:49]
	v_cvt_f32_f64_e32 v52, v[52:53]
	s_delay_alu instid0(VALU_DEP_2) | instskip(NEXT) | instid1(VALU_DEP_1)
	v_cvt_f32_f64_e32 v54, v[54:55]
	v_min3_f32 v101, v54, v52, v101
	v_add_f64 v[52:53], v[10:11], v[50:51]
	v_add_f64 v[54:55], v[8:9], v[48:49]
	s_delay_alu instid0(VALU_DEP_2) | instskip(NEXT) | instid1(VALU_DEP_2)
	v_cvt_f32_f64_e32 v52, v[52:53]
	v_cvt_f32_f64_e32 v54, v[54:55]
	s_delay_alu instid0(VALU_DEP_1) | instskip(SKIP_4) | instid1(VALU_DEP_4)
	v_min3_f32 v100, v54, v52, v100
	v_add_f64 v[52:53], v[6:7], v[50:51]
	v_add_f64 v[54:55], v[4:5], v[48:49]
	;; [unrolled: 1-line block ×4, first 2 shown]
	v_cvt_f32_f64_e32 v52, v[52:53]
	s_delay_alu instid0(VALU_DEP_4) | instskip(NEXT) | instid1(VALU_DEP_3)
	v_cvt_f32_f64_e32 v54, v[54:55]
	v_cvt_f32_f64_e32 v48, v[48:49]
	;; [unrolled: 1-line block ×3, first 2 shown]
	s_waitcnt lgkmcnt(3)
	v_add_f64 v[50:51], v[32:33], v[44:45]
	s_delay_alu instid0(VALU_DEP_4) | instskip(NEXT) | instid1(VALU_DEP_3)
	v_min3_f32 v99, v54, v52, v99
	v_min3_f32 v98, v48, v49, v98
	v_add_f64 v[48:49], v[34:35], v[46:47]
	s_delay_alu instid0(VALU_DEP_4) | instskip(NEXT) | instid1(VALU_DEP_2)
	v_cvt_f32_f64_e32 v50, v[50:51]
	v_cvt_f32_f64_e32 v48, v[48:49]
	s_delay_alu instid0(VALU_DEP_1) | instskip(SKIP_2) | instid1(VALU_DEP_2)
	v_min3_f32 v97, v50, v48, v97
	v_add_f64 v[48:49], v[30:31], v[46:47]
	v_add_f64 v[50:51], v[28:29], v[44:45]
	v_cvt_f32_f64_e32 v48, v[48:49]
	s_delay_alu instid0(VALU_DEP_2) | instskip(NEXT) | instid1(VALU_DEP_1)
	v_cvt_f32_f64_e32 v50, v[50:51]
	v_min3_f32 v96, v50, v48, v96
	v_add_f64 v[48:49], v[26:27], v[46:47]
	v_add_f64 v[50:51], v[24:25], v[44:45]
	s_delay_alu instid0(VALU_DEP_2) | instskip(NEXT) | instid1(VALU_DEP_2)
	v_cvt_f32_f64_e32 v48, v[48:49]
	v_cvt_f32_f64_e32 v50, v[50:51]
	s_delay_alu instid0(VALU_DEP_1) | instskip(SKIP_2) | instid1(VALU_DEP_2)
	v_min3_f32 v95, v50, v48, v95
	v_add_f64 v[48:49], v[22:23], v[46:47]
	v_add_f64 v[50:51], v[20:21], v[44:45]
	v_cvt_f32_f64_e32 v48, v[48:49]
	s_delay_alu instid0(VALU_DEP_2) | instskip(NEXT) | instid1(VALU_DEP_1)
	v_cvt_f32_f64_e32 v50, v[50:51]
	v_min3_f32 v94, v50, v48, v94
	v_add_f64 v[48:49], v[14:15], v[46:47]
	v_add_f64 v[50:51], v[12:13], v[44:45]
	s_delay_alu instid0(VALU_DEP_2) | instskip(NEXT) | instid1(VALU_DEP_2)
	v_cvt_f32_f64_e32 v48, v[48:49]
	v_cvt_f32_f64_e32 v50, v[50:51]
	s_delay_alu instid0(VALU_DEP_1) | instskip(SKIP_2) | instid1(VALU_DEP_2)
	v_min3_f32 v93, v50, v48, v93
	v_add_f64 v[48:49], v[10:11], v[46:47]
	v_add_f64 v[50:51], v[8:9], v[44:45]
	v_cvt_f32_f64_e32 v48, v[48:49]
	s_delay_alu instid0(VALU_DEP_2) | instskip(NEXT) | instid1(VALU_DEP_1)
	v_cvt_f32_f64_e32 v50, v[50:51]
	v_min3_f32 v92, v50, v48, v92
	v_add_f64 v[48:49], v[6:7], v[46:47]
	v_add_f64 v[50:51], v[4:5], v[44:45]
	;; [unrolled: 1-line block ×4, first 2 shown]
	s_delay_alu instid0(VALU_DEP_4) | instskip(NEXT) | instid1(VALU_DEP_4)
	v_cvt_f32_f64_e32 v48, v[48:49]
	v_cvt_f32_f64_e32 v50, v[50:51]
	s_delay_alu instid0(VALU_DEP_3) | instskip(SKIP_3) | instid1(VALU_DEP_4)
	v_cvt_f32_f64_e32 v44, v[44:45]
	v_cvt_f32_f64_e32 v45, v[46:47]
	s_waitcnt lgkmcnt(2)
	v_add_f64 v[46:47], v[32:33], v[40:41]
	v_min3_f32 v91, v50, v48, v91
	s_delay_alu instid0(VALU_DEP_3) | instskip(SKIP_1) | instid1(VALU_DEP_4)
	v_min3_f32 v90, v44, v45, v90
	v_add_f64 v[44:45], v[34:35], v[42:43]
	v_cvt_f32_f64_e32 v46, v[46:47]
	s_delay_alu instid0(VALU_DEP_2) | instskip(NEXT) | instid1(VALU_DEP_1)
	v_cvt_f32_f64_e32 v44, v[44:45]
	v_min3_f32 v89, v46, v44, v89
	v_add_f64 v[44:45], v[30:31], v[42:43]
	v_add_f64 v[46:47], v[28:29], v[40:41]
	s_delay_alu instid0(VALU_DEP_2) | instskip(NEXT) | instid1(VALU_DEP_2)
	v_cvt_f32_f64_e32 v44, v[44:45]
	v_cvt_f32_f64_e32 v46, v[46:47]
	s_delay_alu instid0(VALU_DEP_1) | instskip(SKIP_2) | instid1(VALU_DEP_2)
	v_min3_f32 v88, v46, v44, v88
	v_add_f64 v[44:45], v[26:27], v[42:43]
	v_add_f64 v[46:47], v[24:25], v[40:41]
	v_cvt_f32_f64_e32 v44, v[44:45]
	s_delay_alu instid0(VALU_DEP_2) | instskip(NEXT) | instid1(VALU_DEP_1)
	v_cvt_f32_f64_e32 v46, v[46:47]
	v_min3_f32 v87, v46, v44, v87
	v_add_f64 v[44:45], v[22:23], v[42:43]
	v_add_f64 v[46:47], v[20:21], v[40:41]
	s_delay_alu instid0(VALU_DEP_2) | instskip(NEXT) | instid1(VALU_DEP_2)
	v_cvt_f32_f64_e32 v44, v[44:45]
	v_cvt_f32_f64_e32 v46, v[46:47]
	s_delay_alu instid0(VALU_DEP_1) | instskip(SKIP_2) | instid1(VALU_DEP_2)
	v_min3_f32 v86, v46, v44, v86
	v_add_f64 v[44:45], v[14:15], v[42:43]
	v_add_f64 v[46:47], v[12:13], v[40:41]
	v_cvt_f32_f64_e32 v44, v[44:45]
	s_delay_alu instid0(VALU_DEP_2) | instskip(NEXT) | instid1(VALU_DEP_1)
	v_cvt_f32_f64_e32 v46, v[46:47]
	v_min3_f32 v85, v46, v44, v85
	v_add_f64 v[44:45], v[10:11], v[42:43]
	v_add_f64 v[46:47], v[8:9], v[40:41]
	s_delay_alu instid0(VALU_DEP_2) | instskip(NEXT) | instid1(VALU_DEP_2)
	v_cvt_f32_f64_e32 v44, v[44:45]
	v_cvt_f32_f64_e32 v46, v[46:47]
	s_delay_alu instid0(VALU_DEP_1) | instskip(SKIP_4) | instid1(VALU_DEP_4)
	v_min3_f32 v84, v46, v44, v84
	v_add_f64 v[44:45], v[6:7], v[42:43]
	v_add_f64 v[46:47], v[4:5], v[40:41]
	;; [unrolled: 1-line block ×4, first 2 shown]
	v_cvt_f32_f64_e32 v44, v[44:45]
	s_delay_alu instid0(VALU_DEP_4) | instskip(NEXT) | instid1(VALU_DEP_3)
	v_cvt_f32_f64_e32 v46, v[46:47]
	v_cvt_f32_f64_e32 v40, v[40:41]
	;; [unrolled: 1-line block ×3, first 2 shown]
	s_waitcnt lgkmcnt(1)
	v_add_f64 v[42:43], v[32:33], v[36:37]
	s_waitcnt lgkmcnt(0)
	v_add_f64 v[32:33], v[32:33], v[16:17]
	v_min3_f32 v83, v46, v44, v83
	s_delay_alu instid0(VALU_DEP_4) | instskip(SKIP_4) | instid1(VALU_DEP_4)
	v_min3_f32 v82, v40, v41, v82
	v_add_f64 v[40:41], v[34:35], v[38:39]
	v_cvt_f32_f64_e32 v42, v[42:43]
	v_add_f64 v[34:35], v[34:35], v[18:19]
	v_cvt_f32_f64_e32 v32, v[32:33]
	v_cvt_f32_f64_e32 v40, v[40:41]
	s_delay_alu instid0(VALU_DEP_3) | instskip(NEXT) | instid1(VALU_DEP_2)
	v_cvt_f32_f64_e32 v33, v[34:35]
	v_min3_f32 v81, v42, v40, v81
	v_add_f64 v[40:41], v[30:31], v[38:39]
	v_add_f64 v[42:43], v[28:29], v[36:37]
	v_add_f64 v[30:31], v[30:31], v[18:19]
	v_add_f64 v[28:29], v[28:29], v[16:17]
	v_min3_f32 v73, v32, v33, v73
	v_cvt_f32_f64_e32 v40, v[40:41]
	v_cvt_f32_f64_e32 v42, v[42:43]
	s_delay_alu instid0(VALU_DEP_4) | instskip(SKIP_1) | instid1(VALU_DEP_3)
	v_cvt_f32_f64_e32 v28, v[28:29]
	v_cvt_f32_f64_e32 v29, v[30:31]
	v_min3_f32 v80, v42, v40, v80
	v_add_f64 v[40:41], v[26:27], v[38:39]
	v_add_f64 v[42:43], v[24:25], v[36:37]
	v_add_f64 v[26:27], v[26:27], v[18:19]
	v_add_f64 v[24:25], v[24:25], v[16:17]
	v_min3_f32 v72, v28, v29, v72
	v_cvt_f32_f64_e32 v40, v[40:41]
	v_cvt_f32_f64_e32 v42, v[42:43]
	s_delay_alu instid0(VALU_DEP_4) | instskip(SKIP_1) | instid1(VALU_DEP_3)
	v_cvt_f32_f64_e32 v24, v[24:25]
	;; [unrolled: 11-line block ×5, first 2 shown]
	v_cvt_f32_f64_e32 v9, v[10:11]
	v_min3_f32 v76, v42, v40, v76
	v_add_f64 v[40:41], v[6:7], v[38:39]
	v_add_f64 v[42:43], v[4:5], v[36:37]
	;; [unrolled: 1-line block ×8, first 2 shown]
	v_min3_f32 v68, v8, v9, v68
	v_cvt_f32_f64_e32 v40, v[40:41]
	v_cvt_f32_f64_e32 v42, v[42:43]
	;; [unrolled: 1-line block ×8, first 2 shown]
	v_min3_f32 v75, v42, v40, v75
	v_min3_f32 v74, v36, v37, v74
	;; [unrolled: 1-line block ×3, first 2 shown]
	s_delay_alu instid0(VALU_DEP_4)
	v_min3_f32 v66, v0, v1, v66
	s_cbranch_vccz .LBB179_58
; %bb.59:
	s_clause 0x2
	s_load_b64 s[2:3], s[0:1], 0x78
	s_load_b32 s18, s[0:1], 0x58
	s_load_b32 s9, s[0:1], 0x70
	v_add_nc_u32_e32 v19, s19, v122
	v_add_nc_u32_e32 v0, s14, v121
	v_cndmask_b32_e64 v18, 0, 1, s27
	s_delay_alu instid0(VALU_DEP_3) | instskip(NEXT) | instid1(VALU_DEP_3)
	v_cmp_gt_i32_e64 s8, s17, v19
	v_cmp_gt_i32_e64 s0, s16, v0
	v_ashrrev_i32_e32 v1, 31, v0
	s_waitcnt lgkmcnt(0)
	s_mul_i32 s1, s15, s3
	v_mad_i64_i32 v[2:3], null, v19, s18, 0
	v_mad_i64_i32 v[4:5], null, v19, s9, 0
	s_mul_hi_u32 s3, s15, s2
	s_mul_i32 s4, s26, s2
	s_add_i32 s1, s3, s1
	s_mul_i32 s2, s15, s2
	s_delay_alu instid0(VALU_DEP_2) | instskip(SKIP_1) | instid1(VALU_DEP_2)
	v_lshlrev_b64 v[2:3], 3, v[2:3]
	s_add_i32 s3, s1, s4
	v_lshlrev_b64 v[4:5], 3, v[4:5]
	s_lshl_b64 s[2:3], s[2:3], 3
	s_delay_alu instid0(SALU_CYCLE_1) | instskip(NEXT) | instid1(VALU_DEP_2)
	s_add_u32 s14, s22, s2
	v_add_co_u32 v16, vcc_lo, s12, v2
	v_add_co_ci_u32_e32 v17, vcc_lo, s13, v3, vcc_lo
	s_addc_u32 s15, s23, s3
	v_add_co_u32 v20, vcc_lo, s14, v4
	v_add_co_ci_u32_e32 v21, vcc_lo, s15, v5, vcc_lo
	s_and_b32 s2, s0, s8
	s_delay_alu instid0(SALU_CYCLE_1)
	s_and_saveexec_b32 s1, s2
	s_cbranch_execz .LBB179_64
; %bb.60:
	s_and_not1_b32 vcc_lo, exec_lo, s27
	s_cbranch_vccnz .LBB179_62
; %bb.61:
	v_lshlrev_b64 v[2:3], 3, v[0:1]
	s_delay_alu instid0(VALU_DEP_1) | instskip(NEXT) | instid1(VALU_DEP_2)
	v_add_co_u32 v2, vcc_lo, v16, v2
	v_add_co_ci_u32_e32 v3, vcc_lo, v17, v3, vcc_lo
	flat_load_b64 v[2:3], v[2:3]
	s_waitcnt vmcnt(0) lgkmcnt(0)
	v_mul_f64 v[2:3], v[2:3], s[10:11]
	s_branch .LBB179_63
.LBB179_62:
	v_mov_b32_e32 v2, 0
	v_mov_b32_e32 v3, 0
.LBB179_63:
	s_delay_alu instid0(VALU_DEP_1) | instskip(SKIP_2) | instid1(VALU_DEP_1)
	v_cvt_f32_f64_e32 v2, v[2:3]
	v_max_f32_e32 v3, v131, v131
	v_lshlrev_b64 v[4:5], 3, v[0:1]
	v_add_co_u32 v4, vcc_lo, v20, v4
	s_delay_alu instid0(VALU_DEP_2) | instskip(NEXT) | instid1(VALU_DEP_4)
	v_add_co_ci_u32_e32 v5, vcc_lo, v21, v5, vcc_lo
	v_min_f32_e32 v2, v2, v3
	s_delay_alu instid0(VALU_DEP_1)
	v_cvt_f64_f32_e32 v[2:3], v2
	global_store_b64 v[4:5], v[2:3], off
.LBB179_64:
	s_or_b32 exec_lo, exec_lo, s1
	v_add_nc_u32_e32 v2, 8, v0
	s_delay_alu instid0(VALU_DEP_1) | instskip(SKIP_1) | instid1(VALU_DEP_2)
	v_cmp_gt_i32_e64 s1, s16, v2
	v_ashrrev_i32_e32 v3, 31, v2
	s_and_b32 s3, s1, s8
	s_delay_alu instid0(SALU_CYCLE_1)
	s_and_saveexec_b32 s2, s3
	s_cbranch_execz .LBB179_69
; %bb.65:
	v_cmp_ne_u32_e32 vcc_lo, 1, v18
	s_cbranch_vccnz .LBB179_67
; %bb.66:
	v_lshlrev_b64 v[4:5], 3, v[2:3]
	s_delay_alu instid0(VALU_DEP_1) | instskip(NEXT) | instid1(VALU_DEP_2)
	v_add_co_u32 v4, vcc_lo, v16, v4
	v_add_co_ci_u32_e32 v5, vcc_lo, v17, v5, vcc_lo
	flat_load_b64 v[4:5], v[4:5]
	s_waitcnt vmcnt(0) lgkmcnt(0)
	v_mul_f64 v[4:5], v[4:5], s[10:11]
	s_branch .LBB179_68
.LBB179_67:
	v_mov_b32_e32 v4, 0
	v_mov_b32_e32 v5, 0
.LBB179_68:
	s_delay_alu instid0(VALU_DEP_1) | instskip(SKIP_2) | instid1(VALU_DEP_1)
	v_cvt_f32_f64_e32 v4, v[4:5]
	v_max_f32_e32 v5, v130, v130
	v_lshlrev_b64 v[6:7], 3, v[2:3]
	v_add_co_u32 v6, vcc_lo, v20, v6
	s_delay_alu instid0(VALU_DEP_2) | instskip(NEXT) | instid1(VALU_DEP_4)
	v_add_co_ci_u32_e32 v7, vcc_lo, v21, v7, vcc_lo
	v_min_f32_e32 v4, v4, v5
	s_delay_alu instid0(VALU_DEP_1)
	v_cvt_f64_f32_e32 v[4:5], v4
	global_store_b64 v[6:7], v[4:5], off
.LBB179_69:
	s_or_b32 exec_lo, exec_lo, s2
	v_add_nc_u32_e32 v4, 16, v0
	s_delay_alu instid0(VALU_DEP_1) | instskip(SKIP_1) | instid1(VALU_DEP_2)
	v_cmp_gt_i32_e64 s2, s16, v4
	v_ashrrev_i32_e32 v5, 31, v4
	s_and_b32 s4, s2, s8
	s_delay_alu instid0(SALU_CYCLE_1)
	s_and_saveexec_b32 s3, s4
	s_cbranch_execz .LBB179_74
; %bb.70:
	v_cmp_ne_u32_e32 vcc_lo, 1, v18
	s_cbranch_vccnz .LBB179_72
; %bb.71:
	v_lshlrev_b64 v[6:7], 3, v[4:5]
	s_delay_alu instid0(VALU_DEP_1) | instskip(NEXT) | instid1(VALU_DEP_2)
	v_add_co_u32 v6, vcc_lo, v16, v6
	v_add_co_ci_u32_e32 v7, vcc_lo, v17, v7, vcc_lo
	flat_load_b64 v[6:7], v[6:7]
	s_waitcnt vmcnt(0) lgkmcnt(0)
	v_mul_f64 v[6:7], v[6:7], s[10:11]
	s_branch .LBB179_73
.LBB179_72:
	v_mov_b32_e32 v6, 0
	v_mov_b32_e32 v7, 0
.LBB179_73:
	s_delay_alu instid0(VALU_DEP_1) | instskip(SKIP_2) | instid1(VALU_DEP_1)
	v_cvt_f32_f64_e32 v6, v[6:7]
	v_max_f32_e32 v7, v129, v129
	v_lshlrev_b64 v[8:9], 3, v[4:5]
	v_add_co_u32 v8, vcc_lo, v20, v8
	s_delay_alu instid0(VALU_DEP_2) | instskip(NEXT) | instid1(VALU_DEP_4)
	v_add_co_ci_u32_e32 v9, vcc_lo, v21, v9, vcc_lo
	v_min_f32_e32 v6, v6, v7
	s_delay_alu instid0(VALU_DEP_1)
	v_cvt_f64_f32_e32 v[6:7], v6
	global_store_b64 v[8:9], v[6:7], off
.LBB179_74:
	;; [unrolled: 37-line block ×7, first 2 shown]
	s_or_b32 exec_lo, exec_lo, s8
	v_add_nc_u32_e32 v22, 32, v19
	s_delay_alu instid0(VALU_DEP_1) | instskip(SKIP_2) | instid1(VALU_DEP_3)
	v_mad_i64_i32 v[16:17], null, v22, s18, 0
	v_mad_i64_i32 v[20:21], null, v22, s9, 0
	v_cmp_gt_i32_e64 s8, s17, v22
	v_lshlrev_b64 v[16:17], 3, v[16:17]
	s_delay_alu instid0(VALU_DEP_2) | instskip(NEXT) | instid1(VALU_DEP_3)
	s_and_b32 s19, s0, s8
	v_lshlrev_b64 v[20:21], 3, v[20:21]
	s_delay_alu instid0(VALU_DEP_2) | instskip(NEXT) | instid1(VALU_DEP_3)
	v_add_co_u32 v22, vcc_lo, s12, v16
	v_add_co_ci_u32_e32 v23, vcc_lo, s13, v17, vcc_lo
	s_delay_alu instid0(VALU_DEP_3) | instskip(NEXT) | instid1(VALU_DEP_4)
	v_add_co_u32 v20, vcc_lo, s14, v20
	v_add_co_ci_u32_e32 v21, vcc_lo, s15, v21, vcc_lo
	s_and_saveexec_b32 s16, s19
	s_cbranch_execnz .LBB179_107
; %bb.100:
	s_or_b32 exec_lo, exec_lo, s16
	s_and_b32 s19, s1, s8
	s_delay_alu instid0(SALU_CYCLE_1)
	s_and_saveexec_b32 s16, s19
	s_cbranch_execnz .LBB179_111
.LBB179_101:
	s_or_b32 exec_lo, exec_lo, s16
	s_and_b32 s19, s2, s8
	s_delay_alu instid0(SALU_CYCLE_1)
	s_and_saveexec_b32 s16, s19
	s_cbranch_execnz .LBB179_115
.LBB179_102:
	s_or_b32 exec_lo, exec_lo, s16
	s_and_b32 s19, s3, s8
	s_delay_alu instid0(SALU_CYCLE_1)
	s_and_saveexec_b32 s16, s19
	s_cbranch_execnz .LBB179_119
.LBB179_103:
	s_or_b32 exec_lo, exec_lo, s16
	s_and_b32 s19, s4, s8
	s_delay_alu instid0(SALU_CYCLE_1)
	s_and_saveexec_b32 s16, s19
	s_cbranch_execnz .LBB179_123
.LBB179_104:
	s_or_b32 exec_lo, exec_lo, s16
	s_and_b32 s19, s5, s8
	s_delay_alu instid0(SALU_CYCLE_1)
	s_and_saveexec_b32 s16, s19
	s_cbranch_execnz .LBB179_127
.LBB179_105:
	s_or_b32 exec_lo, exec_lo, s16
	s_and_b32 s19, s6, s8
	s_delay_alu instid0(SALU_CYCLE_1)
	s_and_saveexec_b32 s16, s19
	s_cbranch_execnz .LBB179_131
.LBB179_106:
	s_or_b32 exec_lo, exec_lo, s16
	s_and_b32 s16, s7, s8
	s_delay_alu instid0(SALU_CYCLE_1)
	s_and_saveexec_b32 s8, s16
	s_cbranch_execnz .LBB179_135
	s_branch .LBB179_139
.LBB179_107:
	v_cmp_ne_u32_e32 vcc_lo, 1, v18
	s_cbranch_vccnz .LBB179_109
; %bb.108:
	v_lshlrev_b64 v[16:17], 3, v[0:1]
	s_delay_alu instid0(VALU_DEP_1) | instskip(NEXT) | instid1(VALU_DEP_2)
	v_add_co_u32 v16, vcc_lo, v22, v16
	v_add_co_ci_u32_e32 v17, vcc_lo, v23, v17, vcc_lo
	flat_load_b64 v[16:17], v[16:17]
	s_waitcnt vmcnt(0) lgkmcnt(0)
	v_mul_f64 v[16:17], v[16:17], s[10:11]
	s_branch .LBB179_110
.LBB179_109:
	v_mov_b32_e32 v16, 0
	v_mov_b32_e32 v17, 0
.LBB179_110:
	s_delay_alu instid0(VALU_DEP_1) | instskip(SKIP_2) | instid1(VALU_DEP_1)
	v_cvt_f32_f64_e32 v16, v[16:17]
	v_max_f32_e32 v17, v123, v123
	v_lshlrev_b64 v[24:25], 3, v[0:1]
	v_add_co_u32 v24, vcc_lo, v20, v24
	s_delay_alu instid0(VALU_DEP_2) | instskip(NEXT) | instid1(VALU_DEP_4)
	v_add_co_ci_u32_e32 v25, vcc_lo, v21, v25, vcc_lo
	v_min_f32_e32 v16, v16, v17
	s_delay_alu instid0(VALU_DEP_1) | instskip(SKIP_3) | instid1(SALU_CYCLE_1)
	v_cvt_f64_f32_e32 v[16:17], v16
	global_store_b64 v[24:25], v[16:17], off
	s_or_b32 exec_lo, exec_lo, s16
	s_and_b32 s19, s1, s8
	s_and_saveexec_b32 s16, s19
	s_cbranch_execz .LBB179_101
.LBB179_111:
	v_cmp_ne_u32_e32 vcc_lo, 1, v18
	s_cbranch_vccnz .LBB179_113
; %bb.112:
	v_lshlrev_b64 v[16:17], 3, v[2:3]
	s_delay_alu instid0(VALU_DEP_1) | instskip(NEXT) | instid1(VALU_DEP_2)
	v_add_co_u32 v16, vcc_lo, v22, v16
	v_add_co_ci_u32_e32 v17, vcc_lo, v23, v17, vcc_lo
	flat_load_b64 v[16:17], v[16:17]
	s_waitcnt vmcnt(0) lgkmcnt(0)
	v_mul_f64 v[16:17], v[16:17], s[10:11]
	s_branch .LBB179_114
.LBB179_113:
	v_mov_b32_e32 v16, 0
	v_mov_b32_e32 v17, 0
.LBB179_114:
	s_delay_alu instid0(VALU_DEP_1) | instskip(SKIP_2) | instid1(VALU_DEP_1)
	v_cvt_f32_f64_e32 v16, v[16:17]
	v_max_f32_e32 v17, v120, v120
	v_lshlrev_b64 v[24:25], 3, v[2:3]
	v_add_co_u32 v24, vcc_lo, v20, v24
	s_delay_alu instid0(VALU_DEP_2) | instskip(NEXT) | instid1(VALU_DEP_4)
	v_add_co_ci_u32_e32 v25, vcc_lo, v21, v25, vcc_lo
	v_min_f32_e32 v16, v16, v17
	s_delay_alu instid0(VALU_DEP_1) | instskip(SKIP_3) | instid1(SALU_CYCLE_1)
	v_cvt_f64_f32_e32 v[16:17], v16
	global_store_b64 v[24:25], v[16:17], off
	s_or_b32 exec_lo, exec_lo, s16
	s_and_b32 s19, s2, s8
	s_and_saveexec_b32 s16, s19
	s_cbranch_execz .LBB179_102
.LBB179_115:
	v_cmp_ne_u32_e32 vcc_lo, 1, v18
	s_cbranch_vccnz .LBB179_117
; %bb.116:
	v_lshlrev_b64 v[16:17], 3, v[4:5]
	s_delay_alu instid0(VALU_DEP_1) | instskip(NEXT) | instid1(VALU_DEP_2)
	v_add_co_u32 v16, vcc_lo, v22, v16
	v_add_co_ci_u32_e32 v17, vcc_lo, v23, v17, vcc_lo
	flat_load_b64 v[16:17], v[16:17]
	s_waitcnt vmcnt(0) lgkmcnt(0)
	v_mul_f64 v[16:17], v[16:17], s[10:11]
	s_branch .LBB179_118
.LBB179_117:
	v_mov_b32_e32 v16, 0
	v_mov_b32_e32 v17, 0
.LBB179_118:
	s_delay_alu instid0(VALU_DEP_1) | instskip(SKIP_2) | instid1(VALU_DEP_1)
	v_cvt_f32_f64_e32 v16, v[16:17]
	v_max_f32_e32 v17, v119, v119
	v_lshlrev_b64 v[24:25], 3, v[4:5]
	v_add_co_u32 v24, vcc_lo, v20, v24
	s_delay_alu instid0(VALU_DEP_2) | instskip(NEXT) | instid1(VALU_DEP_4)
	v_add_co_ci_u32_e32 v25, vcc_lo, v21, v25, vcc_lo
	v_min_f32_e32 v16, v16, v17
	s_delay_alu instid0(VALU_DEP_1) | instskip(SKIP_3) | instid1(SALU_CYCLE_1)
	v_cvt_f64_f32_e32 v[16:17], v16
	global_store_b64 v[24:25], v[16:17], off
	s_or_b32 exec_lo, exec_lo, s16
	s_and_b32 s19, s3, s8
	s_and_saveexec_b32 s16, s19
	s_cbranch_execz .LBB179_103
.LBB179_119:
	v_cmp_ne_u32_e32 vcc_lo, 1, v18
	s_cbranch_vccnz .LBB179_121
; %bb.120:
	v_lshlrev_b64 v[16:17], 3, v[6:7]
	s_delay_alu instid0(VALU_DEP_1) | instskip(NEXT) | instid1(VALU_DEP_2)
	v_add_co_u32 v16, vcc_lo, v22, v16
	v_add_co_ci_u32_e32 v17, vcc_lo, v23, v17, vcc_lo
	flat_load_b64 v[16:17], v[16:17]
	s_waitcnt vmcnt(0) lgkmcnt(0)
	v_mul_f64 v[16:17], v[16:17], s[10:11]
	s_branch .LBB179_122
.LBB179_121:
	v_mov_b32_e32 v16, 0
	v_mov_b32_e32 v17, 0
.LBB179_122:
	s_delay_alu instid0(VALU_DEP_1) | instskip(SKIP_2) | instid1(VALU_DEP_1)
	v_cvt_f32_f64_e32 v16, v[16:17]
	v_max_f32_e32 v17, v118, v118
	v_lshlrev_b64 v[24:25], 3, v[6:7]
	v_add_co_u32 v24, vcc_lo, v20, v24
	s_delay_alu instid0(VALU_DEP_2) | instskip(NEXT) | instid1(VALU_DEP_4)
	v_add_co_ci_u32_e32 v25, vcc_lo, v21, v25, vcc_lo
	v_min_f32_e32 v16, v16, v17
	s_delay_alu instid0(VALU_DEP_1) | instskip(SKIP_3) | instid1(SALU_CYCLE_1)
	v_cvt_f64_f32_e32 v[16:17], v16
	global_store_b64 v[24:25], v[16:17], off
	s_or_b32 exec_lo, exec_lo, s16
	s_and_b32 s19, s4, s8
	s_and_saveexec_b32 s16, s19
	s_cbranch_execz .LBB179_104
.LBB179_123:
	v_cmp_ne_u32_e32 vcc_lo, 1, v18
	s_cbranch_vccnz .LBB179_125
; %bb.124:
	v_lshlrev_b64 v[16:17], 3, v[8:9]
	s_delay_alu instid0(VALU_DEP_1) | instskip(NEXT) | instid1(VALU_DEP_2)
	v_add_co_u32 v16, vcc_lo, v22, v16
	v_add_co_ci_u32_e32 v17, vcc_lo, v23, v17, vcc_lo
	flat_load_b64 v[16:17], v[16:17]
	s_waitcnt vmcnt(0) lgkmcnt(0)
	v_mul_f64 v[16:17], v[16:17], s[10:11]
	s_branch .LBB179_126
.LBB179_125:
	v_mov_b32_e32 v16, 0
	v_mov_b32_e32 v17, 0
.LBB179_126:
	s_delay_alu instid0(VALU_DEP_1) | instskip(SKIP_2) | instid1(VALU_DEP_1)
	v_cvt_f32_f64_e32 v16, v[16:17]
	v_max_f32_e32 v17, v117, v117
	v_lshlrev_b64 v[24:25], 3, v[8:9]
	v_add_co_u32 v24, vcc_lo, v20, v24
	s_delay_alu instid0(VALU_DEP_2) | instskip(NEXT) | instid1(VALU_DEP_4)
	v_add_co_ci_u32_e32 v25, vcc_lo, v21, v25, vcc_lo
	v_min_f32_e32 v16, v16, v17
	s_delay_alu instid0(VALU_DEP_1) | instskip(SKIP_3) | instid1(SALU_CYCLE_1)
	v_cvt_f64_f32_e32 v[16:17], v16
	global_store_b64 v[24:25], v[16:17], off
	s_or_b32 exec_lo, exec_lo, s16
	s_and_b32 s19, s5, s8
	s_and_saveexec_b32 s16, s19
	s_cbranch_execz .LBB179_105
.LBB179_127:
	v_cmp_ne_u32_e32 vcc_lo, 1, v18
	s_cbranch_vccnz .LBB179_129
; %bb.128:
	v_lshlrev_b64 v[16:17], 3, v[10:11]
	s_delay_alu instid0(VALU_DEP_1) | instskip(NEXT) | instid1(VALU_DEP_2)
	v_add_co_u32 v16, vcc_lo, v22, v16
	v_add_co_ci_u32_e32 v17, vcc_lo, v23, v17, vcc_lo
	flat_load_b64 v[16:17], v[16:17]
	s_waitcnt vmcnt(0) lgkmcnt(0)
	v_mul_f64 v[16:17], v[16:17], s[10:11]
	s_branch .LBB179_130
.LBB179_129:
	v_mov_b32_e32 v16, 0
	v_mov_b32_e32 v17, 0
.LBB179_130:
	s_delay_alu instid0(VALU_DEP_1) | instskip(SKIP_2) | instid1(VALU_DEP_1)
	v_cvt_f32_f64_e32 v16, v[16:17]
	v_max_f32_e32 v17, v116, v116
	v_lshlrev_b64 v[24:25], 3, v[10:11]
	v_add_co_u32 v24, vcc_lo, v20, v24
	s_delay_alu instid0(VALU_DEP_2) | instskip(NEXT) | instid1(VALU_DEP_4)
	v_add_co_ci_u32_e32 v25, vcc_lo, v21, v25, vcc_lo
	v_min_f32_e32 v16, v16, v17
	s_delay_alu instid0(VALU_DEP_1) | instskip(SKIP_3) | instid1(SALU_CYCLE_1)
	v_cvt_f64_f32_e32 v[16:17], v16
	global_store_b64 v[24:25], v[16:17], off
	s_or_b32 exec_lo, exec_lo, s16
	s_and_b32 s19, s6, s8
	s_and_saveexec_b32 s16, s19
	s_cbranch_execz .LBB179_106
.LBB179_131:
	v_cmp_ne_u32_e32 vcc_lo, 1, v18
	s_cbranch_vccnz .LBB179_133
; %bb.132:
	v_lshlrev_b64 v[16:17], 3, v[12:13]
	s_delay_alu instid0(VALU_DEP_1) | instskip(NEXT) | instid1(VALU_DEP_2)
	v_add_co_u32 v16, vcc_lo, v22, v16
	v_add_co_ci_u32_e32 v17, vcc_lo, v23, v17, vcc_lo
	flat_load_b64 v[16:17], v[16:17]
	s_waitcnt vmcnt(0) lgkmcnt(0)
	v_mul_f64 v[16:17], v[16:17], s[10:11]
	s_branch .LBB179_134
.LBB179_133:
	v_mov_b32_e32 v16, 0
	v_mov_b32_e32 v17, 0
.LBB179_134:
	s_delay_alu instid0(VALU_DEP_1) | instskip(SKIP_2) | instid1(VALU_DEP_1)
	v_cvt_f32_f64_e32 v16, v[16:17]
	v_max_f32_e32 v17, v115, v115
	v_lshlrev_b64 v[24:25], 3, v[12:13]
	v_add_co_u32 v24, vcc_lo, v20, v24
	s_delay_alu instid0(VALU_DEP_2) | instskip(NEXT) | instid1(VALU_DEP_4)
	v_add_co_ci_u32_e32 v25, vcc_lo, v21, v25, vcc_lo
	v_min_f32_e32 v16, v16, v17
	s_delay_alu instid0(VALU_DEP_1) | instskip(SKIP_3) | instid1(SALU_CYCLE_1)
	v_cvt_f64_f32_e32 v[16:17], v16
	global_store_b64 v[24:25], v[16:17], off
	s_or_b32 exec_lo, exec_lo, s16
	s_and_b32 s16, s7, s8
	s_and_saveexec_b32 s8, s16
	s_cbranch_execz .LBB179_139
.LBB179_135:
	v_cmp_ne_u32_e32 vcc_lo, 1, v18
	s_cbranch_vccnz .LBB179_137
; %bb.136:
	v_lshlrev_b64 v[16:17], 3, v[14:15]
	s_delay_alu instid0(VALU_DEP_1) | instskip(NEXT) | instid1(VALU_DEP_2)
	v_add_co_u32 v16, vcc_lo, v22, v16
	v_add_co_ci_u32_e32 v17, vcc_lo, v23, v17, vcc_lo
	flat_load_b64 v[16:17], v[16:17]
	s_waitcnt vmcnt(0) lgkmcnt(0)
	v_mul_f64 v[16:17], v[16:17], s[10:11]
	s_branch .LBB179_138
.LBB179_137:
	v_mov_b32_e32 v16, 0
	v_mov_b32_e32 v17, 0
.LBB179_138:
	s_delay_alu instid0(VALU_DEP_1) | instskip(SKIP_2) | instid1(VALU_DEP_1)
	v_cvt_f32_f64_e32 v16, v[16:17]
	v_max_f32_e32 v17, v114, v114
	v_lshlrev_b64 v[22:23], 3, v[14:15]
	v_add_co_u32 v20, vcc_lo, v20, v22
	s_delay_alu instid0(VALU_DEP_2) | instskip(NEXT) | instid1(VALU_DEP_4)
	v_add_co_ci_u32_e32 v21, vcc_lo, v21, v23, vcc_lo
	v_min_f32_e32 v16, v16, v17
	s_delay_alu instid0(VALU_DEP_1)
	v_cvt_f64_f32_e32 v[16:17], v16
	global_store_b64 v[20:21], v[16:17], off
.LBB179_139:
	s_or_b32 exec_lo, exec_lo, s8
	v_add_nc_u32_e32 v22, 64, v19
	s_delay_alu instid0(VALU_DEP_1) | instskip(SKIP_2) | instid1(VALU_DEP_3)
	v_mad_i64_i32 v[16:17], null, v22, s18, 0
	v_mad_i64_i32 v[20:21], null, v22, s9, 0
	v_cmp_gt_i32_e64 s8, s17, v22
	v_lshlrev_b64 v[16:17], 3, v[16:17]
	s_delay_alu instid0(VALU_DEP_2) | instskip(NEXT) | instid1(VALU_DEP_3)
	s_and_b32 s19, s0, s8
	v_lshlrev_b64 v[20:21], 3, v[20:21]
	s_delay_alu instid0(VALU_DEP_2) | instskip(NEXT) | instid1(VALU_DEP_3)
	v_add_co_u32 v22, vcc_lo, s12, v16
	v_add_co_ci_u32_e32 v23, vcc_lo, s13, v17, vcc_lo
	s_delay_alu instid0(VALU_DEP_3) | instskip(NEXT) | instid1(VALU_DEP_4)
	v_add_co_u32 v20, vcc_lo, s14, v20
	v_add_co_ci_u32_e32 v21, vcc_lo, s15, v21, vcc_lo
	s_and_saveexec_b32 s16, s19
	s_cbranch_execnz .LBB179_147
; %bb.140:
	s_or_b32 exec_lo, exec_lo, s16
	s_and_b32 s19, s1, s8
	s_delay_alu instid0(SALU_CYCLE_1)
	s_and_saveexec_b32 s16, s19
	s_cbranch_execnz .LBB179_151
.LBB179_141:
	s_or_b32 exec_lo, exec_lo, s16
	s_and_b32 s19, s2, s8
	s_delay_alu instid0(SALU_CYCLE_1)
	s_and_saveexec_b32 s16, s19
	s_cbranch_execnz .LBB179_155
.LBB179_142:
	s_or_b32 exec_lo, exec_lo, s16
	s_and_b32 s19, s3, s8
	s_delay_alu instid0(SALU_CYCLE_1)
	s_and_saveexec_b32 s16, s19
	s_cbranch_execnz .LBB179_159
.LBB179_143:
	s_or_b32 exec_lo, exec_lo, s16
	s_and_b32 s19, s4, s8
	s_delay_alu instid0(SALU_CYCLE_1)
	s_and_saveexec_b32 s16, s19
	s_cbranch_execnz .LBB179_163
.LBB179_144:
	s_or_b32 exec_lo, exec_lo, s16
	s_and_b32 s19, s5, s8
	s_delay_alu instid0(SALU_CYCLE_1)
	s_and_saveexec_b32 s16, s19
	s_cbranch_execnz .LBB179_167
.LBB179_145:
	s_or_b32 exec_lo, exec_lo, s16
	s_and_b32 s19, s6, s8
	s_delay_alu instid0(SALU_CYCLE_1)
	s_and_saveexec_b32 s16, s19
	s_cbranch_execnz .LBB179_171
.LBB179_146:
	s_or_b32 exec_lo, exec_lo, s16
	s_and_b32 s16, s7, s8
	s_delay_alu instid0(SALU_CYCLE_1)
	s_and_saveexec_b32 s8, s16
	s_cbranch_execnz .LBB179_175
	s_branch .LBB179_179
.LBB179_147:
	v_cmp_ne_u32_e32 vcc_lo, 1, v18
	s_cbranch_vccnz .LBB179_149
; %bb.148:
	v_lshlrev_b64 v[16:17], 3, v[0:1]
	s_delay_alu instid0(VALU_DEP_1) | instskip(NEXT) | instid1(VALU_DEP_2)
	v_add_co_u32 v16, vcc_lo, v22, v16
	v_add_co_ci_u32_e32 v17, vcc_lo, v23, v17, vcc_lo
	flat_load_b64 v[16:17], v[16:17]
	s_waitcnt vmcnt(0) lgkmcnt(0)
	v_mul_f64 v[16:17], v[16:17], s[10:11]
	s_branch .LBB179_150
.LBB179_149:
	v_mov_b32_e32 v16, 0
	v_mov_b32_e32 v17, 0
.LBB179_150:
	s_delay_alu instid0(VALU_DEP_1) | instskip(SKIP_2) | instid1(VALU_DEP_1)
	v_cvt_f32_f64_e32 v16, v[16:17]
	v_max_f32_e32 v17, v113, v113
	v_lshlrev_b64 v[24:25], 3, v[0:1]
	v_add_co_u32 v24, vcc_lo, v20, v24
	s_delay_alu instid0(VALU_DEP_2) | instskip(NEXT) | instid1(VALU_DEP_4)
	v_add_co_ci_u32_e32 v25, vcc_lo, v21, v25, vcc_lo
	v_min_f32_e32 v16, v16, v17
	s_delay_alu instid0(VALU_DEP_1) | instskip(SKIP_3) | instid1(SALU_CYCLE_1)
	v_cvt_f64_f32_e32 v[16:17], v16
	global_store_b64 v[24:25], v[16:17], off
	s_or_b32 exec_lo, exec_lo, s16
	s_and_b32 s19, s1, s8
	s_and_saveexec_b32 s16, s19
	s_cbranch_execz .LBB179_141
.LBB179_151:
	v_cmp_ne_u32_e32 vcc_lo, 1, v18
	s_cbranch_vccnz .LBB179_153
; %bb.152:
	v_lshlrev_b64 v[16:17], 3, v[2:3]
	s_delay_alu instid0(VALU_DEP_1) | instskip(NEXT) | instid1(VALU_DEP_2)
	v_add_co_u32 v16, vcc_lo, v22, v16
	v_add_co_ci_u32_e32 v17, vcc_lo, v23, v17, vcc_lo
	flat_load_b64 v[16:17], v[16:17]
	s_waitcnt vmcnt(0) lgkmcnt(0)
	v_mul_f64 v[16:17], v[16:17], s[10:11]
	s_branch .LBB179_154
.LBB179_153:
	v_mov_b32_e32 v16, 0
	v_mov_b32_e32 v17, 0
.LBB179_154:
	s_delay_alu instid0(VALU_DEP_1) | instskip(SKIP_2) | instid1(VALU_DEP_1)
	v_cvt_f32_f64_e32 v16, v[16:17]
	v_max_f32_e32 v17, v112, v112
	v_lshlrev_b64 v[24:25], 3, v[2:3]
	v_add_co_u32 v24, vcc_lo, v20, v24
	s_delay_alu instid0(VALU_DEP_2) | instskip(NEXT) | instid1(VALU_DEP_4)
	v_add_co_ci_u32_e32 v25, vcc_lo, v21, v25, vcc_lo
	v_min_f32_e32 v16, v16, v17
	s_delay_alu instid0(VALU_DEP_1) | instskip(SKIP_3) | instid1(SALU_CYCLE_1)
	v_cvt_f64_f32_e32 v[16:17], v16
	global_store_b64 v[24:25], v[16:17], off
	s_or_b32 exec_lo, exec_lo, s16
	s_and_b32 s19, s2, s8
	s_and_saveexec_b32 s16, s19
	s_cbranch_execz .LBB179_142
.LBB179_155:
	v_cmp_ne_u32_e32 vcc_lo, 1, v18
	s_cbranch_vccnz .LBB179_157
; %bb.156:
	v_lshlrev_b64 v[16:17], 3, v[4:5]
	s_delay_alu instid0(VALU_DEP_1) | instskip(NEXT) | instid1(VALU_DEP_2)
	v_add_co_u32 v16, vcc_lo, v22, v16
	v_add_co_ci_u32_e32 v17, vcc_lo, v23, v17, vcc_lo
	flat_load_b64 v[16:17], v[16:17]
	s_waitcnt vmcnt(0) lgkmcnt(0)
	v_mul_f64 v[16:17], v[16:17], s[10:11]
	s_branch .LBB179_158
.LBB179_157:
	v_mov_b32_e32 v16, 0
	v_mov_b32_e32 v17, 0
.LBB179_158:
	s_delay_alu instid0(VALU_DEP_1) | instskip(SKIP_2) | instid1(VALU_DEP_1)
	v_cvt_f32_f64_e32 v16, v[16:17]
	v_max_f32_e32 v17, v111, v111
	v_lshlrev_b64 v[24:25], 3, v[4:5]
	v_add_co_u32 v24, vcc_lo, v20, v24
	s_delay_alu instid0(VALU_DEP_2) | instskip(NEXT) | instid1(VALU_DEP_4)
	v_add_co_ci_u32_e32 v25, vcc_lo, v21, v25, vcc_lo
	v_min_f32_e32 v16, v16, v17
	s_delay_alu instid0(VALU_DEP_1) | instskip(SKIP_3) | instid1(SALU_CYCLE_1)
	v_cvt_f64_f32_e32 v[16:17], v16
	global_store_b64 v[24:25], v[16:17], off
	s_or_b32 exec_lo, exec_lo, s16
	s_and_b32 s19, s3, s8
	s_and_saveexec_b32 s16, s19
	s_cbranch_execz .LBB179_143
.LBB179_159:
	v_cmp_ne_u32_e32 vcc_lo, 1, v18
	s_cbranch_vccnz .LBB179_161
; %bb.160:
	v_lshlrev_b64 v[16:17], 3, v[6:7]
	s_delay_alu instid0(VALU_DEP_1) | instskip(NEXT) | instid1(VALU_DEP_2)
	v_add_co_u32 v16, vcc_lo, v22, v16
	v_add_co_ci_u32_e32 v17, vcc_lo, v23, v17, vcc_lo
	flat_load_b64 v[16:17], v[16:17]
	s_waitcnt vmcnt(0) lgkmcnt(0)
	v_mul_f64 v[16:17], v[16:17], s[10:11]
	s_branch .LBB179_162
.LBB179_161:
	v_mov_b32_e32 v16, 0
	v_mov_b32_e32 v17, 0
.LBB179_162:
	s_delay_alu instid0(VALU_DEP_1) | instskip(SKIP_2) | instid1(VALU_DEP_1)
	v_cvt_f32_f64_e32 v16, v[16:17]
	v_max_f32_e32 v17, v110, v110
	v_lshlrev_b64 v[24:25], 3, v[6:7]
	v_add_co_u32 v24, vcc_lo, v20, v24
	s_delay_alu instid0(VALU_DEP_2) | instskip(NEXT) | instid1(VALU_DEP_4)
	v_add_co_ci_u32_e32 v25, vcc_lo, v21, v25, vcc_lo
	v_min_f32_e32 v16, v16, v17
	s_delay_alu instid0(VALU_DEP_1) | instskip(SKIP_3) | instid1(SALU_CYCLE_1)
	v_cvt_f64_f32_e32 v[16:17], v16
	global_store_b64 v[24:25], v[16:17], off
	s_or_b32 exec_lo, exec_lo, s16
	s_and_b32 s19, s4, s8
	s_and_saveexec_b32 s16, s19
	s_cbranch_execz .LBB179_144
.LBB179_163:
	v_cmp_ne_u32_e32 vcc_lo, 1, v18
	s_cbranch_vccnz .LBB179_165
; %bb.164:
	v_lshlrev_b64 v[16:17], 3, v[8:9]
	s_delay_alu instid0(VALU_DEP_1) | instskip(NEXT) | instid1(VALU_DEP_2)
	v_add_co_u32 v16, vcc_lo, v22, v16
	v_add_co_ci_u32_e32 v17, vcc_lo, v23, v17, vcc_lo
	flat_load_b64 v[16:17], v[16:17]
	s_waitcnt vmcnt(0) lgkmcnt(0)
	v_mul_f64 v[16:17], v[16:17], s[10:11]
	s_branch .LBB179_166
.LBB179_165:
	v_mov_b32_e32 v16, 0
	v_mov_b32_e32 v17, 0
.LBB179_166:
	s_delay_alu instid0(VALU_DEP_1) | instskip(SKIP_2) | instid1(VALU_DEP_1)
	v_cvt_f32_f64_e32 v16, v[16:17]
	v_max_f32_e32 v17, v109, v109
	v_lshlrev_b64 v[24:25], 3, v[8:9]
	v_add_co_u32 v24, vcc_lo, v20, v24
	s_delay_alu instid0(VALU_DEP_2) | instskip(NEXT) | instid1(VALU_DEP_4)
	v_add_co_ci_u32_e32 v25, vcc_lo, v21, v25, vcc_lo
	v_min_f32_e32 v16, v16, v17
	s_delay_alu instid0(VALU_DEP_1) | instskip(SKIP_3) | instid1(SALU_CYCLE_1)
	v_cvt_f64_f32_e32 v[16:17], v16
	global_store_b64 v[24:25], v[16:17], off
	s_or_b32 exec_lo, exec_lo, s16
	s_and_b32 s19, s5, s8
	s_and_saveexec_b32 s16, s19
	s_cbranch_execz .LBB179_145
.LBB179_167:
	v_cmp_ne_u32_e32 vcc_lo, 1, v18
	s_cbranch_vccnz .LBB179_169
; %bb.168:
	v_lshlrev_b64 v[16:17], 3, v[10:11]
	s_delay_alu instid0(VALU_DEP_1) | instskip(NEXT) | instid1(VALU_DEP_2)
	v_add_co_u32 v16, vcc_lo, v22, v16
	v_add_co_ci_u32_e32 v17, vcc_lo, v23, v17, vcc_lo
	flat_load_b64 v[16:17], v[16:17]
	s_waitcnt vmcnt(0) lgkmcnt(0)
	v_mul_f64 v[16:17], v[16:17], s[10:11]
	s_branch .LBB179_170
.LBB179_169:
	v_mov_b32_e32 v16, 0
	v_mov_b32_e32 v17, 0
.LBB179_170:
	s_delay_alu instid0(VALU_DEP_1) | instskip(SKIP_2) | instid1(VALU_DEP_1)
	v_cvt_f32_f64_e32 v16, v[16:17]
	v_max_f32_e32 v17, v108, v108
	v_lshlrev_b64 v[24:25], 3, v[10:11]
	v_add_co_u32 v24, vcc_lo, v20, v24
	s_delay_alu instid0(VALU_DEP_2) | instskip(NEXT) | instid1(VALU_DEP_4)
	v_add_co_ci_u32_e32 v25, vcc_lo, v21, v25, vcc_lo
	v_min_f32_e32 v16, v16, v17
	s_delay_alu instid0(VALU_DEP_1) | instskip(SKIP_3) | instid1(SALU_CYCLE_1)
	v_cvt_f64_f32_e32 v[16:17], v16
	global_store_b64 v[24:25], v[16:17], off
	s_or_b32 exec_lo, exec_lo, s16
	s_and_b32 s19, s6, s8
	s_and_saveexec_b32 s16, s19
	s_cbranch_execz .LBB179_146
.LBB179_171:
	v_cmp_ne_u32_e32 vcc_lo, 1, v18
	s_cbranch_vccnz .LBB179_173
; %bb.172:
	v_lshlrev_b64 v[16:17], 3, v[12:13]
	s_delay_alu instid0(VALU_DEP_1) | instskip(NEXT) | instid1(VALU_DEP_2)
	v_add_co_u32 v16, vcc_lo, v22, v16
	v_add_co_ci_u32_e32 v17, vcc_lo, v23, v17, vcc_lo
	flat_load_b64 v[16:17], v[16:17]
	s_waitcnt vmcnt(0) lgkmcnt(0)
	v_mul_f64 v[16:17], v[16:17], s[10:11]
	s_branch .LBB179_174
.LBB179_173:
	v_mov_b32_e32 v16, 0
	v_mov_b32_e32 v17, 0
.LBB179_174:
	s_delay_alu instid0(VALU_DEP_1) | instskip(SKIP_2) | instid1(VALU_DEP_1)
	v_cvt_f32_f64_e32 v16, v[16:17]
	v_max_f32_e32 v17, v107, v107
	v_lshlrev_b64 v[24:25], 3, v[12:13]
	v_add_co_u32 v24, vcc_lo, v20, v24
	s_delay_alu instid0(VALU_DEP_2) | instskip(NEXT) | instid1(VALU_DEP_4)
	v_add_co_ci_u32_e32 v25, vcc_lo, v21, v25, vcc_lo
	v_min_f32_e32 v16, v16, v17
	s_delay_alu instid0(VALU_DEP_1) | instskip(SKIP_3) | instid1(SALU_CYCLE_1)
	v_cvt_f64_f32_e32 v[16:17], v16
	global_store_b64 v[24:25], v[16:17], off
	s_or_b32 exec_lo, exec_lo, s16
	s_and_b32 s16, s7, s8
	s_and_saveexec_b32 s8, s16
	s_cbranch_execz .LBB179_179
.LBB179_175:
	v_cmp_ne_u32_e32 vcc_lo, 1, v18
	s_cbranch_vccnz .LBB179_177
; %bb.176:
	v_lshlrev_b64 v[16:17], 3, v[14:15]
	s_delay_alu instid0(VALU_DEP_1) | instskip(NEXT) | instid1(VALU_DEP_2)
	v_add_co_u32 v16, vcc_lo, v22, v16
	v_add_co_ci_u32_e32 v17, vcc_lo, v23, v17, vcc_lo
	flat_load_b64 v[16:17], v[16:17]
	s_waitcnt vmcnt(0) lgkmcnt(0)
	v_mul_f64 v[16:17], v[16:17], s[10:11]
	s_branch .LBB179_178
.LBB179_177:
	v_mov_b32_e32 v16, 0
	v_mov_b32_e32 v17, 0
.LBB179_178:
	s_delay_alu instid0(VALU_DEP_1) | instskip(SKIP_2) | instid1(VALU_DEP_1)
	v_cvt_f32_f64_e32 v16, v[16:17]
	v_max_f32_e32 v17, v106, v106
	v_lshlrev_b64 v[22:23], 3, v[14:15]
	v_add_co_u32 v20, vcc_lo, v20, v22
	s_delay_alu instid0(VALU_DEP_2) | instskip(NEXT) | instid1(VALU_DEP_4)
	v_add_co_ci_u32_e32 v21, vcc_lo, v21, v23, vcc_lo
	v_min_f32_e32 v16, v16, v17
	s_delay_alu instid0(VALU_DEP_1)
	v_cvt_f64_f32_e32 v[16:17], v16
	global_store_b64 v[20:21], v[16:17], off
.LBB179_179:
	s_or_b32 exec_lo, exec_lo, s8
	v_add_nc_u32_e32 v22, 0x60, v19
	s_delay_alu instid0(VALU_DEP_1) | instskip(SKIP_2) | instid1(VALU_DEP_3)
	v_mad_i64_i32 v[16:17], null, v22, s18, 0
	v_mad_i64_i32 v[20:21], null, v22, s9, 0
	v_cmp_gt_i32_e64 s8, s17, v22
	v_lshlrev_b64 v[16:17], 3, v[16:17]
	s_delay_alu instid0(VALU_DEP_2) | instskip(NEXT) | instid1(VALU_DEP_3)
	s_and_b32 s19, s0, s8
	v_lshlrev_b64 v[20:21], 3, v[20:21]
	s_delay_alu instid0(VALU_DEP_2) | instskip(NEXT) | instid1(VALU_DEP_3)
	v_add_co_u32 v22, vcc_lo, s12, v16
	v_add_co_ci_u32_e32 v23, vcc_lo, s13, v17, vcc_lo
	s_delay_alu instid0(VALU_DEP_3) | instskip(NEXT) | instid1(VALU_DEP_4)
	v_add_co_u32 v20, vcc_lo, s14, v20
	v_add_co_ci_u32_e32 v21, vcc_lo, s15, v21, vcc_lo
	s_and_saveexec_b32 s16, s19
	s_cbranch_execnz .LBB179_187
; %bb.180:
	s_or_b32 exec_lo, exec_lo, s16
	s_and_b32 s19, s1, s8
	s_delay_alu instid0(SALU_CYCLE_1)
	s_and_saveexec_b32 s16, s19
	s_cbranch_execnz .LBB179_191
.LBB179_181:
	s_or_b32 exec_lo, exec_lo, s16
	s_and_b32 s19, s2, s8
	s_delay_alu instid0(SALU_CYCLE_1)
	s_and_saveexec_b32 s16, s19
	s_cbranch_execnz .LBB179_195
.LBB179_182:
	s_or_b32 exec_lo, exec_lo, s16
	s_and_b32 s19, s3, s8
	s_delay_alu instid0(SALU_CYCLE_1)
	s_and_saveexec_b32 s16, s19
	s_cbranch_execnz .LBB179_199
.LBB179_183:
	s_or_b32 exec_lo, exec_lo, s16
	s_and_b32 s19, s4, s8
	s_delay_alu instid0(SALU_CYCLE_1)
	s_and_saveexec_b32 s16, s19
	s_cbranch_execnz .LBB179_203
.LBB179_184:
	s_or_b32 exec_lo, exec_lo, s16
	s_and_b32 s19, s5, s8
	s_delay_alu instid0(SALU_CYCLE_1)
	s_and_saveexec_b32 s16, s19
	s_cbranch_execnz .LBB179_207
.LBB179_185:
	s_or_b32 exec_lo, exec_lo, s16
	s_and_b32 s19, s6, s8
	s_delay_alu instid0(SALU_CYCLE_1)
	s_and_saveexec_b32 s16, s19
	s_cbranch_execnz .LBB179_211
.LBB179_186:
	s_or_b32 exec_lo, exec_lo, s16
	s_and_b32 s16, s7, s8
	s_delay_alu instid0(SALU_CYCLE_1)
	s_and_saveexec_b32 s8, s16
	s_cbranch_execnz .LBB179_215
	s_branch .LBB179_219
.LBB179_187:
	v_cmp_ne_u32_e32 vcc_lo, 1, v18
	s_cbranch_vccnz .LBB179_189
; %bb.188:
	v_lshlrev_b64 v[16:17], 3, v[0:1]
	s_delay_alu instid0(VALU_DEP_1) | instskip(NEXT) | instid1(VALU_DEP_2)
	v_add_co_u32 v16, vcc_lo, v22, v16
	v_add_co_ci_u32_e32 v17, vcc_lo, v23, v17, vcc_lo
	flat_load_b64 v[16:17], v[16:17]
	s_waitcnt vmcnt(0) lgkmcnt(0)
	v_mul_f64 v[16:17], v[16:17], s[10:11]
	s_branch .LBB179_190
.LBB179_189:
	v_mov_b32_e32 v16, 0
	v_mov_b32_e32 v17, 0
.LBB179_190:
	s_delay_alu instid0(VALU_DEP_1) | instskip(SKIP_2) | instid1(VALU_DEP_1)
	v_cvt_f32_f64_e32 v16, v[16:17]
	v_max_f32_e32 v17, v105, v105
	v_lshlrev_b64 v[24:25], 3, v[0:1]
	v_add_co_u32 v24, vcc_lo, v20, v24
	s_delay_alu instid0(VALU_DEP_2) | instskip(NEXT) | instid1(VALU_DEP_4)
	v_add_co_ci_u32_e32 v25, vcc_lo, v21, v25, vcc_lo
	v_min_f32_e32 v16, v16, v17
	s_delay_alu instid0(VALU_DEP_1) | instskip(SKIP_3) | instid1(SALU_CYCLE_1)
	v_cvt_f64_f32_e32 v[16:17], v16
	global_store_b64 v[24:25], v[16:17], off
	s_or_b32 exec_lo, exec_lo, s16
	s_and_b32 s19, s1, s8
	s_and_saveexec_b32 s16, s19
	s_cbranch_execz .LBB179_181
.LBB179_191:
	v_cmp_ne_u32_e32 vcc_lo, 1, v18
	s_cbranch_vccnz .LBB179_193
; %bb.192:
	v_lshlrev_b64 v[16:17], 3, v[2:3]
	s_delay_alu instid0(VALU_DEP_1) | instskip(NEXT) | instid1(VALU_DEP_2)
	v_add_co_u32 v16, vcc_lo, v22, v16
	v_add_co_ci_u32_e32 v17, vcc_lo, v23, v17, vcc_lo
	flat_load_b64 v[16:17], v[16:17]
	s_waitcnt vmcnt(0) lgkmcnt(0)
	v_mul_f64 v[16:17], v[16:17], s[10:11]
	s_branch .LBB179_194
.LBB179_193:
	v_mov_b32_e32 v16, 0
	v_mov_b32_e32 v17, 0
.LBB179_194:
	s_delay_alu instid0(VALU_DEP_1) | instskip(SKIP_2) | instid1(VALU_DEP_1)
	v_cvt_f32_f64_e32 v16, v[16:17]
	v_max_f32_e32 v17, v104, v104
	v_lshlrev_b64 v[24:25], 3, v[2:3]
	v_add_co_u32 v24, vcc_lo, v20, v24
	s_delay_alu instid0(VALU_DEP_2) | instskip(NEXT) | instid1(VALU_DEP_4)
	v_add_co_ci_u32_e32 v25, vcc_lo, v21, v25, vcc_lo
	v_min_f32_e32 v16, v16, v17
	s_delay_alu instid0(VALU_DEP_1) | instskip(SKIP_3) | instid1(SALU_CYCLE_1)
	v_cvt_f64_f32_e32 v[16:17], v16
	global_store_b64 v[24:25], v[16:17], off
	s_or_b32 exec_lo, exec_lo, s16
	s_and_b32 s19, s2, s8
	s_and_saveexec_b32 s16, s19
	s_cbranch_execz .LBB179_182
.LBB179_195:
	v_cmp_ne_u32_e32 vcc_lo, 1, v18
	s_cbranch_vccnz .LBB179_197
; %bb.196:
	v_lshlrev_b64 v[16:17], 3, v[4:5]
	s_delay_alu instid0(VALU_DEP_1) | instskip(NEXT) | instid1(VALU_DEP_2)
	v_add_co_u32 v16, vcc_lo, v22, v16
	v_add_co_ci_u32_e32 v17, vcc_lo, v23, v17, vcc_lo
	flat_load_b64 v[16:17], v[16:17]
	s_waitcnt vmcnt(0) lgkmcnt(0)
	v_mul_f64 v[16:17], v[16:17], s[10:11]
	s_branch .LBB179_198
.LBB179_197:
	v_mov_b32_e32 v16, 0
	v_mov_b32_e32 v17, 0
.LBB179_198:
	s_delay_alu instid0(VALU_DEP_1) | instskip(SKIP_2) | instid1(VALU_DEP_1)
	v_cvt_f32_f64_e32 v16, v[16:17]
	v_max_f32_e32 v17, v103, v103
	v_lshlrev_b64 v[24:25], 3, v[4:5]
	v_add_co_u32 v24, vcc_lo, v20, v24
	s_delay_alu instid0(VALU_DEP_2) | instskip(NEXT) | instid1(VALU_DEP_4)
	v_add_co_ci_u32_e32 v25, vcc_lo, v21, v25, vcc_lo
	v_min_f32_e32 v16, v16, v17
	s_delay_alu instid0(VALU_DEP_1) | instskip(SKIP_3) | instid1(SALU_CYCLE_1)
	v_cvt_f64_f32_e32 v[16:17], v16
	global_store_b64 v[24:25], v[16:17], off
	s_or_b32 exec_lo, exec_lo, s16
	s_and_b32 s19, s3, s8
	s_and_saveexec_b32 s16, s19
	s_cbranch_execz .LBB179_183
.LBB179_199:
	v_cmp_ne_u32_e32 vcc_lo, 1, v18
	s_cbranch_vccnz .LBB179_201
; %bb.200:
	v_lshlrev_b64 v[16:17], 3, v[6:7]
	s_delay_alu instid0(VALU_DEP_1) | instskip(NEXT) | instid1(VALU_DEP_2)
	v_add_co_u32 v16, vcc_lo, v22, v16
	v_add_co_ci_u32_e32 v17, vcc_lo, v23, v17, vcc_lo
	flat_load_b64 v[16:17], v[16:17]
	s_waitcnt vmcnt(0) lgkmcnt(0)
	v_mul_f64 v[16:17], v[16:17], s[10:11]
	s_branch .LBB179_202
.LBB179_201:
	v_mov_b32_e32 v16, 0
	v_mov_b32_e32 v17, 0
.LBB179_202:
	s_delay_alu instid0(VALU_DEP_1) | instskip(SKIP_2) | instid1(VALU_DEP_1)
	v_cvt_f32_f64_e32 v16, v[16:17]
	v_max_f32_e32 v17, v102, v102
	v_lshlrev_b64 v[24:25], 3, v[6:7]
	v_add_co_u32 v24, vcc_lo, v20, v24
	s_delay_alu instid0(VALU_DEP_2) | instskip(NEXT) | instid1(VALU_DEP_4)
	v_add_co_ci_u32_e32 v25, vcc_lo, v21, v25, vcc_lo
	v_min_f32_e32 v16, v16, v17
	s_delay_alu instid0(VALU_DEP_1) | instskip(SKIP_3) | instid1(SALU_CYCLE_1)
	v_cvt_f64_f32_e32 v[16:17], v16
	global_store_b64 v[24:25], v[16:17], off
	s_or_b32 exec_lo, exec_lo, s16
	s_and_b32 s19, s4, s8
	s_and_saveexec_b32 s16, s19
	s_cbranch_execz .LBB179_184
.LBB179_203:
	v_cmp_ne_u32_e32 vcc_lo, 1, v18
	s_cbranch_vccnz .LBB179_205
; %bb.204:
	v_lshlrev_b64 v[16:17], 3, v[8:9]
	s_delay_alu instid0(VALU_DEP_1) | instskip(NEXT) | instid1(VALU_DEP_2)
	v_add_co_u32 v16, vcc_lo, v22, v16
	v_add_co_ci_u32_e32 v17, vcc_lo, v23, v17, vcc_lo
	flat_load_b64 v[16:17], v[16:17]
	s_waitcnt vmcnt(0) lgkmcnt(0)
	v_mul_f64 v[16:17], v[16:17], s[10:11]
	s_branch .LBB179_206
.LBB179_205:
	v_mov_b32_e32 v16, 0
	v_mov_b32_e32 v17, 0
.LBB179_206:
	s_delay_alu instid0(VALU_DEP_1) | instskip(SKIP_2) | instid1(VALU_DEP_1)
	v_cvt_f32_f64_e32 v16, v[16:17]
	v_max_f32_e32 v17, v101, v101
	v_lshlrev_b64 v[24:25], 3, v[8:9]
	v_add_co_u32 v24, vcc_lo, v20, v24
	s_delay_alu instid0(VALU_DEP_2) | instskip(NEXT) | instid1(VALU_DEP_4)
	v_add_co_ci_u32_e32 v25, vcc_lo, v21, v25, vcc_lo
	v_min_f32_e32 v16, v16, v17
	s_delay_alu instid0(VALU_DEP_1) | instskip(SKIP_3) | instid1(SALU_CYCLE_1)
	v_cvt_f64_f32_e32 v[16:17], v16
	global_store_b64 v[24:25], v[16:17], off
	s_or_b32 exec_lo, exec_lo, s16
	s_and_b32 s19, s5, s8
	s_and_saveexec_b32 s16, s19
	s_cbranch_execz .LBB179_185
.LBB179_207:
	v_cmp_ne_u32_e32 vcc_lo, 1, v18
	s_cbranch_vccnz .LBB179_209
; %bb.208:
	v_lshlrev_b64 v[16:17], 3, v[10:11]
	s_delay_alu instid0(VALU_DEP_1) | instskip(NEXT) | instid1(VALU_DEP_2)
	v_add_co_u32 v16, vcc_lo, v22, v16
	v_add_co_ci_u32_e32 v17, vcc_lo, v23, v17, vcc_lo
	flat_load_b64 v[16:17], v[16:17]
	s_waitcnt vmcnt(0) lgkmcnt(0)
	v_mul_f64 v[16:17], v[16:17], s[10:11]
	s_branch .LBB179_210
.LBB179_209:
	v_mov_b32_e32 v16, 0
	v_mov_b32_e32 v17, 0
.LBB179_210:
	s_delay_alu instid0(VALU_DEP_1) | instskip(SKIP_2) | instid1(VALU_DEP_1)
	v_cvt_f32_f64_e32 v16, v[16:17]
	v_max_f32_e32 v17, v100, v100
	v_lshlrev_b64 v[24:25], 3, v[10:11]
	v_add_co_u32 v24, vcc_lo, v20, v24
	s_delay_alu instid0(VALU_DEP_2) | instskip(NEXT) | instid1(VALU_DEP_4)
	v_add_co_ci_u32_e32 v25, vcc_lo, v21, v25, vcc_lo
	v_min_f32_e32 v16, v16, v17
	s_delay_alu instid0(VALU_DEP_1) | instskip(SKIP_3) | instid1(SALU_CYCLE_1)
	v_cvt_f64_f32_e32 v[16:17], v16
	global_store_b64 v[24:25], v[16:17], off
	s_or_b32 exec_lo, exec_lo, s16
	s_and_b32 s19, s6, s8
	s_and_saveexec_b32 s16, s19
	s_cbranch_execz .LBB179_186
.LBB179_211:
	v_cmp_ne_u32_e32 vcc_lo, 1, v18
	s_cbranch_vccnz .LBB179_213
; %bb.212:
	v_lshlrev_b64 v[16:17], 3, v[12:13]
	s_delay_alu instid0(VALU_DEP_1) | instskip(NEXT) | instid1(VALU_DEP_2)
	v_add_co_u32 v16, vcc_lo, v22, v16
	v_add_co_ci_u32_e32 v17, vcc_lo, v23, v17, vcc_lo
	flat_load_b64 v[16:17], v[16:17]
	s_waitcnt vmcnt(0) lgkmcnt(0)
	v_mul_f64 v[16:17], v[16:17], s[10:11]
	s_branch .LBB179_214
.LBB179_213:
	v_mov_b32_e32 v16, 0
	v_mov_b32_e32 v17, 0
.LBB179_214:
	s_delay_alu instid0(VALU_DEP_1) | instskip(SKIP_2) | instid1(VALU_DEP_1)
	v_cvt_f32_f64_e32 v16, v[16:17]
	v_max_f32_e32 v17, v99, v99
	v_lshlrev_b64 v[24:25], 3, v[12:13]
	v_add_co_u32 v24, vcc_lo, v20, v24
	s_delay_alu instid0(VALU_DEP_2) | instskip(NEXT) | instid1(VALU_DEP_4)
	v_add_co_ci_u32_e32 v25, vcc_lo, v21, v25, vcc_lo
	v_min_f32_e32 v16, v16, v17
	s_delay_alu instid0(VALU_DEP_1) | instskip(SKIP_3) | instid1(SALU_CYCLE_1)
	v_cvt_f64_f32_e32 v[16:17], v16
	global_store_b64 v[24:25], v[16:17], off
	s_or_b32 exec_lo, exec_lo, s16
	s_and_b32 s16, s7, s8
	s_and_saveexec_b32 s8, s16
	s_cbranch_execz .LBB179_219
.LBB179_215:
	v_cmp_ne_u32_e32 vcc_lo, 1, v18
	s_cbranch_vccnz .LBB179_217
; %bb.216:
	v_lshlrev_b64 v[16:17], 3, v[14:15]
	s_delay_alu instid0(VALU_DEP_1) | instskip(NEXT) | instid1(VALU_DEP_2)
	v_add_co_u32 v16, vcc_lo, v22, v16
	v_add_co_ci_u32_e32 v17, vcc_lo, v23, v17, vcc_lo
	flat_load_b64 v[16:17], v[16:17]
	s_waitcnt vmcnt(0) lgkmcnt(0)
	v_mul_f64 v[16:17], v[16:17], s[10:11]
	s_branch .LBB179_218
.LBB179_217:
	v_mov_b32_e32 v16, 0
	v_mov_b32_e32 v17, 0
.LBB179_218:
	s_delay_alu instid0(VALU_DEP_1) | instskip(SKIP_2) | instid1(VALU_DEP_1)
	v_cvt_f32_f64_e32 v16, v[16:17]
	v_max_f32_e32 v17, v98, v98
	v_lshlrev_b64 v[22:23], 3, v[14:15]
	v_add_co_u32 v20, vcc_lo, v20, v22
	s_delay_alu instid0(VALU_DEP_2) | instskip(NEXT) | instid1(VALU_DEP_4)
	v_add_co_ci_u32_e32 v21, vcc_lo, v21, v23, vcc_lo
	v_min_f32_e32 v16, v16, v17
	s_delay_alu instid0(VALU_DEP_1)
	v_cvt_f64_f32_e32 v[16:17], v16
	global_store_b64 v[20:21], v[16:17], off
.LBB179_219:
	s_or_b32 exec_lo, exec_lo, s8
	v_add_nc_u32_e32 v22, 0x80, v19
	s_delay_alu instid0(VALU_DEP_1) | instskip(SKIP_2) | instid1(VALU_DEP_3)
	v_mad_i64_i32 v[16:17], null, v22, s18, 0
	v_mad_i64_i32 v[20:21], null, v22, s9, 0
	v_cmp_gt_i32_e64 s8, s17, v22
	v_lshlrev_b64 v[16:17], 3, v[16:17]
	s_delay_alu instid0(VALU_DEP_2) | instskip(NEXT) | instid1(VALU_DEP_3)
	s_and_b32 s19, s0, s8
	v_lshlrev_b64 v[20:21], 3, v[20:21]
	s_delay_alu instid0(VALU_DEP_2) | instskip(NEXT) | instid1(VALU_DEP_3)
	v_add_co_u32 v22, vcc_lo, s12, v16
	v_add_co_ci_u32_e32 v23, vcc_lo, s13, v17, vcc_lo
	s_delay_alu instid0(VALU_DEP_3) | instskip(NEXT) | instid1(VALU_DEP_4)
	v_add_co_u32 v20, vcc_lo, s14, v20
	v_add_co_ci_u32_e32 v21, vcc_lo, s15, v21, vcc_lo
	s_and_saveexec_b32 s16, s19
	s_cbranch_execnz .LBB179_227
; %bb.220:
	s_or_b32 exec_lo, exec_lo, s16
	s_and_b32 s19, s1, s8
	s_delay_alu instid0(SALU_CYCLE_1)
	s_and_saveexec_b32 s16, s19
	s_cbranch_execnz .LBB179_231
.LBB179_221:
	s_or_b32 exec_lo, exec_lo, s16
	s_and_b32 s19, s2, s8
	s_delay_alu instid0(SALU_CYCLE_1)
	s_and_saveexec_b32 s16, s19
	s_cbranch_execnz .LBB179_235
.LBB179_222:
	s_or_b32 exec_lo, exec_lo, s16
	s_and_b32 s19, s3, s8
	s_delay_alu instid0(SALU_CYCLE_1)
	s_and_saveexec_b32 s16, s19
	s_cbranch_execnz .LBB179_239
.LBB179_223:
	s_or_b32 exec_lo, exec_lo, s16
	s_and_b32 s19, s4, s8
	s_delay_alu instid0(SALU_CYCLE_1)
	s_and_saveexec_b32 s16, s19
	s_cbranch_execnz .LBB179_243
.LBB179_224:
	s_or_b32 exec_lo, exec_lo, s16
	s_and_b32 s19, s5, s8
	s_delay_alu instid0(SALU_CYCLE_1)
	s_and_saveexec_b32 s16, s19
	s_cbranch_execnz .LBB179_247
.LBB179_225:
	s_or_b32 exec_lo, exec_lo, s16
	s_and_b32 s19, s6, s8
	s_delay_alu instid0(SALU_CYCLE_1)
	s_and_saveexec_b32 s16, s19
	s_cbranch_execnz .LBB179_251
.LBB179_226:
	s_or_b32 exec_lo, exec_lo, s16
	s_and_b32 s16, s7, s8
	s_delay_alu instid0(SALU_CYCLE_1)
	s_and_saveexec_b32 s8, s16
	s_cbranch_execnz .LBB179_255
	s_branch .LBB179_259
.LBB179_227:
	v_cmp_ne_u32_e32 vcc_lo, 1, v18
	s_cbranch_vccnz .LBB179_229
; %bb.228:
	v_lshlrev_b64 v[16:17], 3, v[0:1]
	s_delay_alu instid0(VALU_DEP_1) | instskip(NEXT) | instid1(VALU_DEP_2)
	v_add_co_u32 v16, vcc_lo, v22, v16
	v_add_co_ci_u32_e32 v17, vcc_lo, v23, v17, vcc_lo
	flat_load_b64 v[16:17], v[16:17]
	s_waitcnt vmcnt(0) lgkmcnt(0)
	v_mul_f64 v[16:17], v[16:17], s[10:11]
	s_branch .LBB179_230
.LBB179_229:
	v_mov_b32_e32 v16, 0
	v_mov_b32_e32 v17, 0
.LBB179_230:
	s_delay_alu instid0(VALU_DEP_1) | instskip(SKIP_2) | instid1(VALU_DEP_1)
	v_cvt_f32_f64_e32 v16, v[16:17]
	v_max_f32_e32 v17, v97, v97
	v_lshlrev_b64 v[24:25], 3, v[0:1]
	v_add_co_u32 v24, vcc_lo, v20, v24
	s_delay_alu instid0(VALU_DEP_2) | instskip(NEXT) | instid1(VALU_DEP_4)
	v_add_co_ci_u32_e32 v25, vcc_lo, v21, v25, vcc_lo
	v_min_f32_e32 v16, v16, v17
	s_delay_alu instid0(VALU_DEP_1) | instskip(SKIP_3) | instid1(SALU_CYCLE_1)
	v_cvt_f64_f32_e32 v[16:17], v16
	global_store_b64 v[24:25], v[16:17], off
	s_or_b32 exec_lo, exec_lo, s16
	s_and_b32 s19, s1, s8
	s_and_saveexec_b32 s16, s19
	s_cbranch_execz .LBB179_221
.LBB179_231:
	v_cmp_ne_u32_e32 vcc_lo, 1, v18
	s_cbranch_vccnz .LBB179_233
; %bb.232:
	v_lshlrev_b64 v[16:17], 3, v[2:3]
	s_delay_alu instid0(VALU_DEP_1) | instskip(NEXT) | instid1(VALU_DEP_2)
	v_add_co_u32 v16, vcc_lo, v22, v16
	v_add_co_ci_u32_e32 v17, vcc_lo, v23, v17, vcc_lo
	flat_load_b64 v[16:17], v[16:17]
	s_waitcnt vmcnt(0) lgkmcnt(0)
	v_mul_f64 v[16:17], v[16:17], s[10:11]
	s_branch .LBB179_234
.LBB179_233:
	v_mov_b32_e32 v16, 0
	v_mov_b32_e32 v17, 0
.LBB179_234:
	s_delay_alu instid0(VALU_DEP_1) | instskip(SKIP_2) | instid1(VALU_DEP_1)
	v_cvt_f32_f64_e32 v16, v[16:17]
	v_max_f32_e32 v17, v96, v96
	v_lshlrev_b64 v[24:25], 3, v[2:3]
	v_add_co_u32 v24, vcc_lo, v20, v24
	s_delay_alu instid0(VALU_DEP_2) | instskip(NEXT) | instid1(VALU_DEP_4)
	v_add_co_ci_u32_e32 v25, vcc_lo, v21, v25, vcc_lo
	v_min_f32_e32 v16, v16, v17
	s_delay_alu instid0(VALU_DEP_1) | instskip(SKIP_3) | instid1(SALU_CYCLE_1)
	v_cvt_f64_f32_e32 v[16:17], v16
	global_store_b64 v[24:25], v[16:17], off
	s_or_b32 exec_lo, exec_lo, s16
	s_and_b32 s19, s2, s8
	s_and_saveexec_b32 s16, s19
	s_cbranch_execz .LBB179_222
.LBB179_235:
	v_cmp_ne_u32_e32 vcc_lo, 1, v18
	s_cbranch_vccnz .LBB179_237
; %bb.236:
	v_lshlrev_b64 v[16:17], 3, v[4:5]
	s_delay_alu instid0(VALU_DEP_1) | instskip(NEXT) | instid1(VALU_DEP_2)
	v_add_co_u32 v16, vcc_lo, v22, v16
	v_add_co_ci_u32_e32 v17, vcc_lo, v23, v17, vcc_lo
	flat_load_b64 v[16:17], v[16:17]
	s_waitcnt vmcnt(0) lgkmcnt(0)
	v_mul_f64 v[16:17], v[16:17], s[10:11]
	s_branch .LBB179_238
.LBB179_237:
	v_mov_b32_e32 v16, 0
	v_mov_b32_e32 v17, 0
.LBB179_238:
	s_delay_alu instid0(VALU_DEP_1) | instskip(SKIP_2) | instid1(VALU_DEP_1)
	v_cvt_f32_f64_e32 v16, v[16:17]
	v_max_f32_e32 v17, v95, v95
	v_lshlrev_b64 v[24:25], 3, v[4:5]
	v_add_co_u32 v24, vcc_lo, v20, v24
	s_delay_alu instid0(VALU_DEP_2) | instskip(NEXT) | instid1(VALU_DEP_4)
	v_add_co_ci_u32_e32 v25, vcc_lo, v21, v25, vcc_lo
	v_min_f32_e32 v16, v16, v17
	s_delay_alu instid0(VALU_DEP_1) | instskip(SKIP_3) | instid1(SALU_CYCLE_1)
	v_cvt_f64_f32_e32 v[16:17], v16
	global_store_b64 v[24:25], v[16:17], off
	s_or_b32 exec_lo, exec_lo, s16
	s_and_b32 s19, s3, s8
	s_and_saveexec_b32 s16, s19
	s_cbranch_execz .LBB179_223
.LBB179_239:
	v_cmp_ne_u32_e32 vcc_lo, 1, v18
	s_cbranch_vccnz .LBB179_241
; %bb.240:
	v_lshlrev_b64 v[16:17], 3, v[6:7]
	s_delay_alu instid0(VALU_DEP_1) | instskip(NEXT) | instid1(VALU_DEP_2)
	v_add_co_u32 v16, vcc_lo, v22, v16
	v_add_co_ci_u32_e32 v17, vcc_lo, v23, v17, vcc_lo
	flat_load_b64 v[16:17], v[16:17]
	s_waitcnt vmcnt(0) lgkmcnt(0)
	v_mul_f64 v[16:17], v[16:17], s[10:11]
	s_branch .LBB179_242
.LBB179_241:
	v_mov_b32_e32 v16, 0
	v_mov_b32_e32 v17, 0
.LBB179_242:
	s_delay_alu instid0(VALU_DEP_1) | instskip(SKIP_2) | instid1(VALU_DEP_1)
	v_cvt_f32_f64_e32 v16, v[16:17]
	v_max_f32_e32 v17, v94, v94
	v_lshlrev_b64 v[24:25], 3, v[6:7]
	v_add_co_u32 v24, vcc_lo, v20, v24
	s_delay_alu instid0(VALU_DEP_2) | instskip(NEXT) | instid1(VALU_DEP_4)
	v_add_co_ci_u32_e32 v25, vcc_lo, v21, v25, vcc_lo
	v_min_f32_e32 v16, v16, v17
	s_delay_alu instid0(VALU_DEP_1) | instskip(SKIP_3) | instid1(SALU_CYCLE_1)
	v_cvt_f64_f32_e32 v[16:17], v16
	global_store_b64 v[24:25], v[16:17], off
	s_or_b32 exec_lo, exec_lo, s16
	s_and_b32 s19, s4, s8
	s_and_saveexec_b32 s16, s19
	s_cbranch_execz .LBB179_224
.LBB179_243:
	v_cmp_ne_u32_e32 vcc_lo, 1, v18
	s_cbranch_vccnz .LBB179_245
; %bb.244:
	v_lshlrev_b64 v[16:17], 3, v[8:9]
	s_delay_alu instid0(VALU_DEP_1) | instskip(NEXT) | instid1(VALU_DEP_2)
	v_add_co_u32 v16, vcc_lo, v22, v16
	v_add_co_ci_u32_e32 v17, vcc_lo, v23, v17, vcc_lo
	flat_load_b64 v[16:17], v[16:17]
	s_waitcnt vmcnt(0) lgkmcnt(0)
	v_mul_f64 v[16:17], v[16:17], s[10:11]
	s_branch .LBB179_246
.LBB179_245:
	v_mov_b32_e32 v16, 0
	v_mov_b32_e32 v17, 0
.LBB179_246:
	s_delay_alu instid0(VALU_DEP_1) | instskip(SKIP_2) | instid1(VALU_DEP_1)
	v_cvt_f32_f64_e32 v16, v[16:17]
	v_max_f32_e32 v17, v93, v93
	v_lshlrev_b64 v[24:25], 3, v[8:9]
	v_add_co_u32 v24, vcc_lo, v20, v24
	s_delay_alu instid0(VALU_DEP_2) | instskip(NEXT) | instid1(VALU_DEP_4)
	v_add_co_ci_u32_e32 v25, vcc_lo, v21, v25, vcc_lo
	v_min_f32_e32 v16, v16, v17
	s_delay_alu instid0(VALU_DEP_1) | instskip(SKIP_3) | instid1(SALU_CYCLE_1)
	v_cvt_f64_f32_e32 v[16:17], v16
	global_store_b64 v[24:25], v[16:17], off
	s_or_b32 exec_lo, exec_lo, s16
	s_and_b32 s19, s5, s8
	s_and_saveexec_b32 s16, s19
	s_cbranch_execz .LBB179_225
.LBB179_247:
	v_cmp_ne_u32_e32 vcc_lo, 1, v18
	s_cbranch_vccnz .LBB179_249
; %bb.248:
	v_lshlrev_b64 v[16:17], 3, v[10:11]
	s_delay_alu instid0(VALU_DEP_1) | instskip(NEXT) | instid1(VALU_DEP_2)
	v_add_co_u32 v16, vcc_lo, v22, v16
	v_add_co_ci_u32_e32 v17, vcc_lo, v23, v17, vcc_lo
	flat_load_b64 v[16:17], v[16:17]
	s_waitcnt vmcnt(0) lgkmcnt(0)
	v_mul_f64 v[16:17], v[16:17], s[10:11]
	s_branch .LBB179_250
.LBB179_249:
	v_mov_b32_e32 v16, 0
	v_mov_b32_e32 v17, 0
.LBB179_250:
	s_delay_alu instid0(VALU_DEP_1) | instskip(SKIP_2) | instid1(VALU_DEP_1)
	v_cvt_f32_f64_e32 v16, v[16:17]
	v_max_f32_e32 v17, v92, v92
	v_lshlrev_b64 v[24:25], 3, v[10:11]
	v_add_co_u32 v24, vcc_lo, v20, v24
	s_delay_alu instid0(VALU_DEP_2) | instskip(NEXT) | instid1(VALU_DEP_4)
	v_add_co_ci_u32_e32 v25, vcc_lo, v21, v25, vcc_lo
	v_min_f32_e32 v16, v16, v17
	s_delay_alu instid0(VALU_DEP_1) | instskip(SKIP_3) | instid1(SALU_CYCLE_1)
	v_cvt_f64_f32_e32 v[16:17], v16
	global_store_b64 v[24:25], v[16:17], off
	s_or_b32 exec_lo, exec_lo, s16
	s_and_b32 s19, s6, s8
	s_and_saveexec_b32 s16, s19
	s_cbranch_execz .LBB179_226
.LBB179_251:
	v_cmp_ne_u32_e32 vcc_lo, 1, v18
	s_cbranch_vccnz .LBB179_253
; %bb.252:
	v_lshlrev_b64 v[16:17], 3, v[12:13]
	s_delay_alu instid0(VALU_DEP_1) | instskip(NEXT) | instid1(VALU_DEP_2)
	v_add_co_u32 v16, vcc_lo, v22, v16
	v_add_co_ci_u32_e32 v17, vcc_lo, v23, v17, vcc_lo
	flat_load_b64 v[16:17], v[16:17]
	s_waitcnt vmcnt(0) lgkmcnt(0)
	v_mul_f64 v[16:17], v[16:17], s[10:11]
	s_branch .LBB179_254
.LBB179_253:
	v_mov_b32_e32 v16, 0
	v_mov_b32_e32 v17, 0
.LBB179_254:
	s_delay_alu instid0(VALU_DEP_1) | instskip(SKIP_2) | instid1(VALU_DEP_1)
	v_cvt_f32_f64_e32 v16, v[16:17]
	v_max_f32_e32 v17, v91, v91
	v_lshlrev_b64 v[24:25], 3, v[12:13]
	v_add_co_u32 v24, vcc_lo, v20, v24
	s_delay_alu instid0(VALU_DEP_2) | instskip(NEXT) | instid1(VALU_DEP_4)
	v_add_co_ci_u32_e32 v25, vcc_lo, v21, v25, vcc_lo
	v_min_f32_e32 v16, v16, v17
	s_delay_alu instid0(VALU_DEP_1) | instskip(SKIP_3) | instid1(SALU_CYCLE_1)
	v_cvt_f64_f32_e32 v[16:17], v16
	global_store_b64 v[24:25], v[16:17], off
	s_or_b32 exec_lo, exec_lo, s16
	s_and_b32 s16, s7, s8
	s_and_saveexec_b32 s8, s16
	s_cbranch_execz .LBB179_259
.LBB179_255:
	v_cmp_ne_u32_e32 vcc_lo, 1, v18
	s_cbranch_vccnz .LBB179_257
; %bb.256:
	v_lshlrev_b64 v[16:17], 3, v[14:15]
	s_delay_alu instid0(VALU_DEP_1) | instskip(NEXT) | instid1(VALU_DEP_2)
	v_add_co_u32 v16, vcc_lo, v22, v16
	v_add_co_ci_u32_e32 v17, vcc_lo, v23, v17, vcc_lo
	flat_load_b64 v[16:17], v[16:17]
	s_waitcnt vmcnt(0) lgkmcnt(0)
	v_mul_f64 v[16:17], v[16:17], s[10:11]
	s_branch .LBB179_258
.LBB179_257:
	v_mov_b32_e32 v16, 0
	v_mov_b32_e32 v17, 0
.LBB179_258:
	s_delay_alu instid0(VALU_DEP_1) | instskip(SKIP_2) | instid1(VALU_DEP_1)
	v_cvt_f32_f64_e32 v16, v[16:17]
	v_max_f32_e32 v17, v90, v90
	v_lshlrev_b64 v[22:23], 3, v[14:15]
	v_add_co_u32 v20, vcc_lo, v20, v22
	s_delay_alu instid0(VALU_DEP_2) | instskip(NEXT) | instid1(VALU_DEP_4)
	v_add_co_ci_u32_e32 v21, vcc_lo, v21, v23, vcc_lo
	v_min_f32_e32 v16, v16, v17
	s_delay_alu instid0(VALU_DEP_1)
	v_cvt_f64_f32_e32 v[16:17], v16
	global_store_b64 v[20:21], v[16:17], off
.LBB179_259:
	s_or_b32 exec_lo, exec_lo, s8
	v_add_nc_u32_e32 v22, 0xa0, v19
	s_delay_alu instid0(VALU_DEP_1) | instskip(SKIP_2) | instid1(VALU_DEP_3)
	v_mad_i64_i32 v[16:17], null, v22, s18, 0
	v_mad_i64_i32 v[20:21], null, v22, s9, 0
	v_cmp_gt_i32_e64 s8, s17, v22
	v_lshlrev_b64 v[16:17], 3, v[16:17]
	s_delay_alu instid0(VALU_DEP_2) | instskip(NEXT) | instid1(VALU_DEP_3)
	s_and_b32 s19, s0, s8
	v_lshlrev_b64 v[20:21], 3, v[20:21]
	s_delay_alu instid0(VALU_DEP_2) | instskip(NEXT) | instid1(VALU_DEP_3)
	v_add_co_u32 v22, vcc_lo, s12, v16
	v_add_co_ci_u32_e32 v23, vcc_lo, s13, v17, vcc_lo
	s_delay_alu instid0(VALU_DEP_3) | instskip(NEXT) | instid1(VALU_DEP_4)
	v_add_co_u32 v20, vcc_lo, s14, v20
	v_add_co_ci_u32_e32 v21, vcc_lo, s15, v21, vcc_lo
	s_and_saveexec_b32 s16, s19
	s_cbranch_execnz .LBB179_267
; %bb.260:
	s_or_b32 exec_lo, exec_lo, s16
	s_and_b32 s19, s1, s8
	s_delay_alu instid0(SALU_CYCLE_1)
	s_and_saveexec_b32 s16, s19
	s_cbranch_execnz .LBB179_271
.LBB179_261:
	s_or_b32 exec_lo, exec_lo, s16
	s_and_b32 s19, s2, s8
	s_delay_alu instid0(SALU_CYCLE_1)
	s_and_saveexec_b32 s16, s19
	s_cbranch_execnz .LBB179_275
.LBB179_262:
	s_or_b32 exec_lo, exec_lo, s16
	s_and_b32 s19, s3, s8
	s_delay_alu instid0(SALU_CYCLE_1)
	s_and_saveexec_b32 s16, s19
	s_cbranch_execnz .LBB179_279
.LBB179_263:
	s_or_b32 exec_lo, exec_lo, s16
	s_and_b32 s19, s4, s8
	s_delay_alu instid0(SALU_CYCLE_1)
	s_and_saveexec_b32 s16, s19
	s_cbranch_execnz .LBB179_283
.LBB179_264:
	s_or_b32 exec_lo, exec_lo, s16
	s_and_b32 s19, s5, s8
	s_delay_alu instid0(SALU_CYCLE_1)
	s_and_saveexec_b32 s16, s19
	s_cbranch_execnz .LBB179_287
.LBB179_265:
	s_or_b32 exec_lo, exec_lo, s16
	s_and_b32 s19, s6, s8
	s_delay_alu instid0(SALU_CYCLE_1)
	s_and_saveexec_b32 s16, s19
	s_cbranch_execnz .LBB179_291
.LBB179_266:
	s_or_b32 exec_lo, exec_lo, s16
	s_and_b32 s16, s7, s8
	s_delay_alu instid0(SALU_CYCLE_1)
	s_and_saveexec_b32 s8, s16
	s_cbranch_execnz .LBB179_295
	s_branch .LBB179_299
.LBB179_267:
	v_cmp_ne_u32_e32 vcc_lo, 1, v18
	s_cbranch_vccnz .LBB179_269
; %bb.268:
	v_lshlrev_b64 v[16:17], 3, v[0:1]
	s_delay_alu instid0(VALU_DEP_1) | instskip(NEXT) | instid1(VALU_DEP_2)
	v_add_co_u32 v16, vcc_lo, v22, v16
	v_add_co_ci_u32_e32 v17, vcc_lo, v23, v17, vcc_lo
	flat_load_b64 v[16:17], v[16:17]
	s_waitcnt vmcnt(0) lgkmcnt(0)
	v_mul_f64 v[16:17], v[16:17], s[10:11]
	s_branch .LBB179_270
.LBB179_269:
	v_mov_b32_e32 v16, 0
	v_mov_b32_e32 v17, 0
.LBB179_270:
	s_delay_alu instid0(VALU_DEP_1) | instskip(SKIP_2) | instid1(VALU_DEP_1)
	v_cvt_f32_f64_e32 v16, v[16:17]
	v_max_f32_e32 v17, v89, v89
	v_lshlrev_b64 v[24:25], 3, v[0:1]
	v_add_co_u32 v24, vcc_lo, v20, v24
	s_delay_alu instid0(VALU_DEP_2) | instskip(NEXT) | instid1(VALU_DEP_4)
	v_add_co_ci_u32_e32 v25, vcc_lo, v21, v25, vcc_lo
	v_min_f32_e32 v16, v16, v17
	s_delay_alu instid0(VALU_DEP_1) | instskip(SKIP_3) | instid1(SALU_CYCLE_1)
	v_cvt_f64_f32_e32 v[16:17], v16
	global_store_b64 v[24:25], v[16:17], off
	s_or_b32 exec_lo, exec_lo, s16
	s_and_b32 s19, s1, s8
	s_and_saveexec_b32 s16, s19
	s_cbranch_execz .LBB179_261
.LBB179_271:
	v_cmp_ne_u32_e32 vcc_lo, 1, v18
	s_cbranch_vccnz .LBB179_273
; %bb.272:
	v_lshlrev_b64 v[16:17], 3, v[2:3]
	s_delay_alu instid0(VALU_DEP_1) | instskip(NEXT) | instid1(VALU_DEP_2)
	v_add_co_u32 v16, vcc_lo, v22, v16
	v_add_co_ci_u32_e32 v17, vcc_lo, v23, v17, vcc_lo
	flat_load_b64 v[16:17], v[16:17]
	s_waitcnt vmcnt(0) lgkmcnt(0)
	v_mul_f64 v[16:17], v[16:17], s[10:11]
	s_branch .LBB179_274
.LBB179_273:
	v_mov_b32_e32 v16, 0
	v_mov_b32_e32 v17, 0
.LBB179_274:
	s_delay_alu instid0(VALU_DEP_1) | instskip(SKIP_2) | instid1(VALU_DEP_1)
	v_cvt_f32_f64_e32 v16, v[16:17]
	v_max_f32_e32 v17, v88, v88
	v_lshlrev_b64 v[24:25], 3, v[2:3]
	v_add_co_u32 v24, vcc_lo, v20, v24
	s_delay_alu instid0(VALU_DEP_2) | instskip(NEXT) | instid1(VALU_DEP_4)
	v_add_co_ci_u32_e32 v25, vcc_lo, v21, v25, vcc_lo
	v_min_f32_e32 v16, v16, v17
	s_delay_alu instid0(VALU_DEP_1) | instskip(SKIP_3) | instid1(SALU_CYCLE_1)
	v_cvt_f64_f32_e32 v[16:17], v16
	global_store_b64 v[24:25], v[16:17], off
	s_or_b32 exec_lo, exec_lo, s16
	s_and_b32 s19, s2, s8
	s_and_saveexec_b32 s16, s19
	s_cbranch_execz .LBB179_262
.LBB179_275:
	v_cmp_ne_u32_e32 vcc_lo, 1, v18
	s_cbranch_vccnz .LBB179_277
; %bb.276:
	v_lshlrev_b64 v[16:17], 3, v[4:5]
	s_delay_alu instid0(VALU_DEP_1) | instskip(NEXT) | instid1(VALU_DEP_2)
	v_add_co_u32 v16, vcc_lo, v22, v16
	v_add_co_ci_u32_e32 v17, vcc_lo, v23, v17, vcc_lo
	flat_load_b64 v[16:17], v[16:17]
	s_waitcnt vmcnt(0) lgkmcnt(0)
	v_mul_f64 v[16:17], v[16:17], s[10:11]
	s_branch .LBB179_278
.LBB179_277:
	v_mov_b32_e32 v16, 0
	v_mov_b32_e32 v17, 0
.LBB179_278:
	s_delay_alu instid0(VALU_DEP_1) | instskip(SKIP_2) | instid1(VALU_DEP_1)
	v_cvt_f32_f64_e32 v16, v[16:17]
	v_max_f32_e32 v17, v87, v87
	v_lshlrev_b64 v[24:25], 3, v[4:5]
	v_add_co_u32 v24, vcc_lo, v20, v24
	s_delay_alu instid0(VALU_DEP_2) | instskip(NEXT) | instid1(VALU_DEP_4)
	v_add_co_ci_u32_e32 v25, vcc_lo, v21, v25, vcc_lo
	v_min_f32_e32 v16, v16, v17
	s_delay_alu instid0(VALU_DEP_1) | instskip(SKIP_3) | instid1(SALU_CYCLE_1)
	v_cvt_f64_f32_e32 v[16:17], v16
	global_store_b64 v[24:25], v[16:17], off
	s_or_b32 exec_lo, exec_lo, s16
	s_and_b32 s19, s3, s8
	s_and_saveexec_b32 s16, s19
	s_cbranch_execz .LBB179_263
.LBB179_279:
	v_cmp_ne_u32_e32 vcc_lo, 1, v18
	s_cbranch_vccnz .LBB179_281
; %bb.280:
	v_lshlrev_b64 v[16:17], 3, v[6:7]
	s_delay_alu instid0(VALU_DEP_1) | instskip(NEXT) | instid1(VALU_DEP_2)
	v_add_co_u32 v16, vcc_lo, v22, v16
	v_add_co_ci_u32_e32 v17, vcc_lo, v23, v17, vcc_lo
	flat_load_b64 v[16:17], v[16:17]
	s_waitcnt vmcnt(0) lgkmcnt(0)
	v_mul_f64 v[16:17], v[16:17], s[10:11]
	s_branch .LBB179_282
.LBB179_281:
	v_mov_b32_e32 v16, 0
	v_mov_b32_e32 v17, 0
.LBB179_282:
	s_delay_alu instid0(VALU_DEP_1) | instskip(SKIP_2) | instid1(VALU_DEP_1)
	v_cvt_f32_f64_e32 v16, v[16:17]
	v_max_f32_e32 v17, v86, v86
	v_lshlrev_b64 v[24:25], 3, v[6:7]
	v_add_co_u32 v24, vcc_lo, v20, v24
	s_delay_alu instid0(VALU_DEP_2) | instskip(NEXT) | instid1(VALU_DEP_4)
	v_add_co_ci_u32_e32 v25, vcc_lo, v21, v25, vcc_lo
	v_min_f32_e32 v16, v16, v17
	s_delay_alu instid0(VALU_DEP_1) | instskip(SKIP_3) | instid1(SALU_CYCLE_1)
	v_cvt_f64_f32_e32 v[16:17], v16
	global_store_b64 v[24:25], v[16:17], off
	s_or_b32 exec_lo, exec_lo, s16
	s_and_b32 s19, s4, s8
	s_and_saveexec_b32 s16, s19
	s_cbranch_execz .LBB179_264
.LBB179_283:
	v_cmp_ne_u32_e32 vcc_lo, 1, v18
	s_cbranch_vccnz .LBB179_285
; %bb.284:
	v_lshlrev_b64 v[16:17], 3, v[8:9]
	s_delay_alu instid0(VALU_DEP_1) | instskip(NEXT) | instid1(VALU_DEP_2)
	v_add_co_u32 v16, vcc_lo, v22, v16
	v_add_co_ci_u32_e32 v17, vcc_lo, v23, v17, vcc_lo
	flat_load_b64 v[16:17], v[16:17]
	s_waitcnt vmcnt(0) lgkmcnt(0)
	v_mul_f64 v[16:17], v[16:17], s[10:11]
	s_branch .LBB179_286
.LBB179_285:
	v_mov_b32_e32 v16, 0
	v_mov_b32_e32 v17, 0
.LBB179_286:
	s_delay_alu instid0(VALU_DEP_1) | instskip(SKIP_2) | instid1(VALU_DEP_1)
	v_cvt_f32_f64_e32 v16, v[16:17]
	v_max_f32_e32 v17, v85, v85
	v_lshlrev_b64 v[24:25], 3, v[8:9]
	v_add_co_u32 v24, vcc_lo, v20, v24
	s_delay_alu instid0(VALU_DEP_2) | instskip(NEXT) | instid1(VALU_DEP_4)
	v_add_co_ci_u32_e32 v25, vcc_lo, v21, v25, vcc_lo
	v_min_f32_e32 v16, v16, v17
	s_delay_alu instid0(VALU_DEP_1) | instskip(SKIP_3) | instid1(SALU_CYCLE_1)
	v_cvt_f64_f32_e32 v[16:17], v16
	global_store_b64 v[24:25], v[16:17], off
	s_or_b32 exec_lo, exec_lo, s16
	s_and_b32 s19, s5, s8
	s_and_saveexec_b32 s16, s19
	s_cbranch_execz .LBB179_265
.LBB179_287:
	v_cmp_ne_u32_e32 vcc_lo, 1, v18
	s_cbranch_vccnz .LBB179_289
; %bb.288:
	v_lshlrev_b64 v[16:17], 3, v[10:11]
	s_delay_alu instid0(VALU_DEP_1) | instskip(NEXT) | instid1(VALU_DEP_2)
	v_add_co_u32 v16, vcc_lo, v22, v16
	v_add_co_ci_u32_e32 v17, vcc_lo, v23, v17, vcc_lo
	flat_load_b64 v[16:17], v[16:17]
	s_waitcnt vmcnt(0) lgkmcnt(0)
	v_mul_f64 v[16:17], v[16:17], s[10:11]
	s_branch .LBB179_290
.LBB179_289:
	v_mov_b32_e32 v16, 0
	v_mov_b32_e32 v17, 0
.LBB179_290:
	s_delay_alu instid0(VALU_DEP_1) | instskip(SKIP_2) | instid1(VALU_DEP_1)
	v_cvt_f32_f64_e32 v16, v[16:17]
	v_max_f32_e32 v17, v84, v84
	v_lshlrev_b64 v[24:25], 3, v[10:11]
	v_add_co_u32 v24, vcc_lo, v20, v24
	s_delay_alu instid0(VALU_DEP_2) | instskip(NEXT) | instid1(VALU_DEP_4)
	v_add_co_ci_u32_e32 v25, vcc_lo, v21, v25, vcc_lo
	v_min_f32_e32 v16, v16, v17
	s_delay_alu instid0(VALU_DEP_1) | instskip(SKIP_3) | instid1(SALU_CYCLE_1)
	v_cvt_f64_f32_e32 v[16:17], v16
	global_store_b64 v[24:25], v[16:17], off
	s_or_b32 exec_lo, exec_lo, s16
	s_and_b32 s19, s6, s8
	s_and_saveexec_b32 s16, s19
	s_cbranch_execz .LBB179_266
.LBB179_291:
	v_cmp_ne_u32_e32 vcc_lo, 1, v18
	s_cbranch_vccnz .LBB179_293
; %bb.292:
	v_lshlrev_b64 v[16:17], 3, v[12:13]
	s_delay_alu instid0(VALU_DEP_1) | instskip(NEXT) | instid1(VALU_DEP_2)
	v_add_co_u32 v16, vcc_lo, v22, v16
	v_add_co_ci_u32_e32 v17, vcc_lo, v23, v17, vcc_lo
	flat_load_b64 v[16:17], v[16:17]
	s_waitcnt vmcnt(0) lgkmcnt(0)
	v_mul_f64 v[16:17], v[16:17], s[10:11]
	s_branch .LBB179_294
.LBB179_293:
	v_mov_b32_e32 v16, 0
	v_mov_b32_e32 v17, 0
.LBB179_294:
	s_delay_alu instid0(VALU_DEP_1) | instskip(SKIP_2) | instid1(VALU_DEP_1)
	v_cvt_f32_f64_e32 v16, v[16:17]
	v_max_f32_e32 v17, v83, v83
	v_lshlrev_b64 v[24:25], 3, v[12:13]
	v_add_co_u32 v24, vcc_lo, v20, v24
	s_delay_alu instid0(VALU_DEP_2) | instskip(NEXT) | instid1(VALU_DEP_4)
	v_add_co_ci_u32_e32 v25, vcc_lo, v21, v25, vcc_lo
	v_min_f32_e32 v16, v16, v17
	s_delay_alu instid0(VALU_DEP_1) | instskip(SKIP_3) | instid1(SALU_CYCLE_1)
	v_cvt_f64_f32_e32 v[16:17], v16
	global_store_b64 v[24:25], v[16:17], off
	s_or_b32 exec_lo, exec_lo, s16
	s_and_b32 s16, s7, s8
	s_and_saveexec_b32 s8, s16
	s_cbranch_execz .LBB179_299
.LBB179_295:
	v_cmp_ne_u32_e32 vcc_lo, 1, v18
	s_cbranch_vccnz .LBB179_297
; %bb.296:
	v_lshlrev_b64 v[16:17], 3, v[14:15]
	s_delay_alu instid0(VALU_DEP_1) | instskip(NEXT) | instid1(VALU_DEP_2)
	v_add_co_u32 v16, vcc_lo, v22, v16
	v_add_co_ci_u32_e32 v17, vcc_lo, v23, v17, vcc_lo
	flat_load_b64 v[16:17], v[16:17]
	s_waitcnt vmcnt(0) lgkmcnt(0)
	v_mul_f64 v[16:17], v[16:17], s[10:11]
	s_branch .LBB179_298
.LBB179_297:
	v_mov_b32_e32 v16, 0
	v_mov_b32_e32 v17, 0
.LBB179_298:
	s_delay_alu instid0(VALU_DEP_1) | instskip(SKIP_2) | instid1(VALU_DEP_1)
	v_cvt_f32_f64_e32 v16, v[16:17]
	v_max_f32_e32 v17, v82, v82
	v_lshlrev_b64 v[22:23], 3, v[14:15]
	v_add_co_u32 v20, vcc_lo, v20, v22
	s_delay_alu instid0(VALU_DEP_2) | instskip(NEXT) | instid1(VALU_DEP_4)
	v_add_co_ci_u32_e32 v21, vcc_lo, v21, v23, vcc_lo
	v_min_f32_e32 v16, v16, v17
	s_delay_alu instid0(VALU_DEP_1)
	v_cvt_f64_f32_e32 v[16:17], v16
	global_store_b64 v[20:21], v[16:17], off
.LBB179_299:
	s_or_b32 exec_lo, exec_lo, s8
	v_add_nc_u32_e32 v22, 0xc0, v19
	s_delay_alu instid0(VALU_DEP_1) | instskip(SKIP_2) | instid1(VALU_DEP_3)
	v_mad_i64_i32 v[16:17], null, v22, s18, 0
	v_mad_i64_i32 v[20:21], null, v22, s9, 0
	v_cmp_gt_i32_e64 s8, s17, v22
	v_lshlrev_b64 v[16:17], 3, v[16:17]
	s_delay_alu instid0(VALU_DEP_2) | instskip(NEXT) | instid1(VALU_DEP_3)
	s_and_b32 s19, s0, s8
	v_lshlrev_b64 v[20:21], 3, v[20:21]
	s_delay_alu instid0(VALU_DEP_2) | instskip(NEXT) | instid1(VALU_DEP_3)
	v_add_co_u32 v22, vcc_lo, s12, v16
	v_add_co_ci_u32_e32 v23, vcc_lo, s13, v17, vcc_lo
	s_delay_alu instid0(VALU_DEP_3) | instskip(NEXT) | instid1(VALU_DEP_4)
	v_add_co_u32 v20, vcc_lo, s14, v20
	v_add_co_ci_u32_e32 v21, vcc_lo, s15, v21, vcc_lo
	s_and_saveexec_b32 s16, s19
	s_cbranch_execnz .LBB179_307
; %bb.300:
	s_or_b32 exec_lo, exec_lo, s16
	s_and_b32 s19, s1, s8
	s_delay_alu instid0(SALU_CYCLE_1)
	s_and_saveexec_b32 s16, s19
	s_cbranch_execnz .LBB179_311
.LBB179_301:
	s_or_b32 exec_lo, exec_lo, s16
	s_and_b32 s19, s2, s8
	s_delay_alu instid0(SALU_CYCLE_1)
	s_and_saveexec_b32 s16, s19
	s_cbranch_execnz .LBB179_315
.LBB179_302:
	s_or_b32 exec_lo, exec_lo, s16
	s_and_b32 s19, s3, s8
	s_delay_alu instid0(SALU_CYCLE_1)
	s_and_saveexec_b32 s16, s19
	s_cbranch_execnz .LBB179_319
.LBB179_303:
	s_or_b32 exec_lo, exec_lo, s16
	s_and_b32 s19, s4, s8
	s_delay_alu instid0(SALU_CYCLE_1)
	s_and_saveexec_b32 s16, s19
	s_cbranch_execnz .LBB179_323
.LBB179_304:
	s_or_b32 exec_lo, exec_lo, s16
	s_and_b32 s19, s5, s8
	s_delay_alu instid0(SALU_CYCLE_1)
	s_and_saveexec_b32 s16, s19
	s_cbranch_execnz .LBB179_327
.LBB179_305:
	s_or_b32 exec_lo, exec_lo, s16
	s_and_b32 s19, s6, s8
	s_delay_alu instid0(SALU_CYCLE_1)
	s_and_saveexec_b32 s16, s19
	s_cbranch_execnz .LBB179_331
.LBB179_306:
	s_or_b32 exec_lo, exec_lo, s16
	s_and_b32 s16, s7, s8
	s_delay_alu instid0(SALU_CYCLE_1)
	s_and_saveexec_b32 s8, s16
	s_cbranch_execnz .LBB179_335
	s_branch .LBB179_339
.LBB179_307:
	v_cmp_ne_u32_e32 vcc_lo, 1, v18
	s_cbranch_vccnz .LBB179_309
; %bb.308:
	v_lshlrev_b64 v[16:17], 3, v[0:1]
	s_delay_alu instid0(VALU_DEP_1) | instskip(NEXT) | instid1(VALU_DEP_2)
	v_add_co_u32 v16, vcc_lo, v22, v16
	v_add_co_ci_u32_e32 v17, vcc_lo, v23, v17, vcc_lo
	flat_load_b64 v[16:17], v[16:17]
	s_waitcnt vmcnt(0) lgkmcnt(0)
	v_mul_f64 v[16:17], v[16:17], s[10:11]
	s_branch .LBB179_310
.LBB179_309:
	v_mov_b32_e32 v16, 0
	v_mov_b32_e32 v17, 0
.LBB179_310:
	s_delay_alu instid0(VALU_DEP_1) | instskip(SKIP_2) | instid1(VALU_DEP_1)
	v_cvt_f32_f64_e32 v16, v[16:17]
	v_max_f32_e32 v17, v81, v81
	v_lshlrev_b64 v[24:25], 3, v[0:1]
	v_add_co_u32 v24, vcc_lo, v20, v24
	s_delay_alu instid0(VALU_DEP_2) | instskip(NEXT) | instid1(VALU_DEP_4)
	v_add_co_ci_u32_e32 v25, vcc_lo, v21, v25, vcc_lo
	v_min_f32_e32 v16, v16, v17
	s_delay_alu instid0(VALU_DEP_1) | instskip(SKIP_3) | instid1(SALU_CYCLE_1)
	v_cvt_f64_f32_e32 v[16:17], v16
	global_store_b64 v[24:25], v[16:17], off
	s_or_b32 exec_lo, exec_lo, s16
	s_and_b32 s19, s1, s8
	s_and_saveexec_b32 s16, s19
	s_cbranch_execz .LBB179_301
.LBB179_311:
	v_cmp_ne_u32_e32 vcc_lo, 1, v18
	s_cbranch_vccnz .LBB179_313
; %bb.312:
	v_lshlrev_b64 v[16:17], 3, v[2:3]
	s_delay_alu instid0(VALU_DEP_1) | instskip(NEXT) | instid1(VALU_DEP_2)
	v_add_co_u32 v16, vcc_lo, v22, v16
	v_add_co_ci_u32_e32 v17, vcc_lo, v23, v17, vcc_lo
	flat_load_b64 v[16:17], v[16:17]
	s_waitcnt vmcnt(0) lgkmcnt(0)
	v_mul_f64 v[16:17], v[16:17], s[10:11]
	s_branch .LBB179_314
.LBB179_313:
	v_mov_b32_e32 v16, 0
	v_mov_b32_e32 v17, 0
.LBB179_314:
	s_delay_alu instid0(VALU_DEP_1) | instskip(SKIP_2) | instid1(VALU_DEP_1)
	v_cvt_f32_f64_e32 v16, v[16:17]
	v_max_f32_e32 v17, v80, v80
	v_lshlrev_b64 v[24:25], 3, v[2:3]
	v_add_co_u32 v24, vcc_lo, v20, v24
	s_delay_alu instid0(VALU_DEP_2) | instskip(NEXT) | instid1(VALU_DEP_4)
	v_add_co_ci_u32_e32 v25, vcc_lo, v21, v25, vcc_lo
	v_min_f32_e32 v16, v16, v17
	s_delay_alu instid0(VALU_DEP_1) | instskip(SKIP_3) | instid1(SALU_CYCLE_1)
	v_cvt_f64_f32_e32 v[16:17], v16
	global_store_b64 v[24:25], v[16:17], off
	s_or_b32 exec_lo, exec_lo, s16
	s_and_b32 s19, s2, s8
	s_and_saveexec_b32 s16, s19
	s_cbranch_execz .LBB179_302
.LBB179_315:
	v_cmp_ne_u32_e32 vcc_lo, 1, v18
	s_cbranch_vccnz .LBB179_317
; %bb.316:
	v_lshlrev_b64 v[16:17], 3, v[4:5]
	s_delay_alu instid0(VALU_DEP_1) | instskip(NEXT) | instid1(VALU_DEP_2)
	v_add_co_u32 v16, vcc_lo, v22, v16
	v_add_co_ci_u32_e32 v17, vcc_lo, v23, v17, vcc_lo
	flat_load_b64 v[16:17], v[16:17]
	s_waitcnt vmcnt(0) lgkmcnt(0)
	v_mul_f64 v[16:17], v[16:17], s[10:11]
	s_branch .LBB179_318
.LBB179_317:
	v_mov_b32_e32 v16, 0
	v_mov_b32_e32 v17, 0
.LBB179_318:
	s_delay_alu instid0(VALU_DEP_1) | instskip(SKIP_2) | instid1(VALU_DEP_1)
	v_cvt_f32_f64_e32 v16, v[16:17]
	v_max_f32_e32 v17, v79, v79
	v_lshlrev_b64 v[24:25], 3, v[4:5]
	v_add_co_u32 v24, vcc_lo, v20, v24
	s_delay_alu instid0(VALU_DEP_2) | instskip(NEXT) | instid1(VALU_DEP_4)
	v_add_co_ci_u32_e32 v25, vcc_lo, v21, v25, vcc_lo
	v_min_f32_e32 v16, v16, v17
	s_delay_alu instid0(VALU_DEP_1) | instskip(SKIP_3) | instid1(SALU_CYCLE_1)
	v_cvt_f64_f32_e32 v[16:17], v16
	global_store_b64 v[24:25], v[16:17], off
	s_or_b32 exec_lo, exec_lo, s16
	s_and_b32 s19, s3, s8
	s_and_saveexec_b32 s16, s19
	s_cbranch_execz .LBB179_303
.LBB179_319:
	v_cmp_ne_u32_e32 vcc_lo, 1, v18
	s_cbranch_vccnz .LBB179_321
; %bb.320:
	v_lshlrev_b64 v[16:17], 3, v[6:7]
	s_delay_alu instid0(VALU_DEP_1) | instskip(NEXT) | instid1(VALU_DEP_2)
	v_add_co_u32 v16, vcc_lo, v22, v16
	v_add_co_ci_u32_e32 v17, vcc_lo, v23, v17, vcc_lo
	flat_load_b64 v[16:17], v[16:17]
	s_waitcnt vmcnt(0) lgkmcnt(0)
	v_mul_f64 v[16:17], v[16:17], s[10:11]
	s_branch .LBB179_322
.LBB179_321:
	v_mov_b32_e32 v16, 0
	v_mov_b32_e32 v17, 0
.LBB179_322:
	s_delay_alu instid0(VALU_DEP_1) | instskip(SKIP_2) | instid1(VALU_DEP_1)
	v_cvt_f32_f64_e32 v16, v[16:17]
	v_max_f32_e32 v17, v78, v78
	v_lshlrev_b64 v[24:25], 3, v[6:7]
	v_add_co_u32 v24, vcc_lo, v20, v24
	s_delay_alu instid0(VALU_DEP_2) | instskip(NEXT) | instid1(VALU_DEP_4)
	v_add_co_ci_u32_e32 v25, vcc_lo, v21, v25, vcc_lo
	v_min_f32_e32 v16, v16, v17
	s_delay_alu instid0(VALU_DEP_1) | instskip(SKIP_3) | instid1(SALU_CYCLE_1)
	v_cvt_f64_f32_e32 v[16:17], v16
	global_store_b64 v[24:25], v[16:17], off
	s_or_b32 exec_lo, exec_lo, s16
	s_and_b32 s19, s4, s8
	s_and_saveexec_b32 s16, s19
	s_cbranch_execz .LBB179_304
.LBB179_323:
	v_cmp_ne_u32_e32 vcc_lo, 1, v18
	s_cbranch_vccnz .LBB179_325
; %bb.324:
	v_lshlrev_b64 v[16:17], 3, v[8:9]
	s_delay_alu instid0(VALU_DEP_1) | instskip(NEXT) | instid1(VALU_DEP_2)
	v_add_co_u32 v16, vcc_lo, v22, v16
	v_add_co_ci_u32_e32 v17, vcc_lo, v23, v17, vcc_lo
	flat_load_b64 v[16:17], v[16:17]
	s_waitcnt vmcnt(0) lgkmcnt(0)
	v_mul_f64 v[16:17], v[16:17], s[10:11]
	s_branch .LBB179_326
.LBB179_325:
	v_mov_b32_e32 v16, 0
	v_mov_b32_e32 v17, 0
.LBB179_326:
	s_delay_alu instid0(VALU_DEP_1) | instskip(SKIP_2) | instid1(VALU_DEP_1)
	v_cvt_f32_f64_e32 v16, v[16:17]
	v_max_f32_e32 v17, v77, v77
	v_lshlrev_b64 v[24:25], 3, v[8:9]
	v_add_co_u32 v24, vcc_lo, v20, v24
	s_delay_alu instid0(VALU_DEP_2) | instskip(NEXT) | instid1(VALU_DEP_4)
	v_add_co_ci_u32_e32 v25, vcc_lo, v21, v25, vcc_lo
	v_min_f32_e32 v16, v16, v17
	s_delay_alu instid0(VALU_DEP_1) | instskip(SKIP_3) | instid1(SALU_CYCLE_1)
	v_cvt_f64_f32_e32 v[16:17], v16
	global_store_b64 v[24:25], v[16:17], off
	s_or_b32 exec_lo, exec_lo, s16
	s_and_b32 s19, s5, s8
	s_and_saveexec_b32 s16, s19
	s_cbranch_execz .LBB179_305
.LBB179_327:
	v_cmp_ne_u32_e32 vcc_lo, 1, v18
	s_cbranch_vccnz .LBB179_329
; %bb.328:
	v_lshlrev_b64 v[16:17], 3, v[10:11]
	s_delay_alu instid0(VALU_DEP_1) | instskip(NEXT) | instid1(VALU_DEP_2)
	v_add_co_u32 v16, vcc_lo, v22, v16
	v_add_co_ci_u32_e32 v17, vcc_lo, v23, v17, vcc_lo
	flat_load_b64 v[16:17], v[16:17]
	s_waitcnt vmcnt(0) lgkmcnt(0)
	v_mul_f64 v[16:17], v[16:17], s[10:11]
	s_branch .LBB179_330
.LBB179_329:
	v_mov_b32_e32 v16, 0
	v_mov_b32_e32 v17, 0
.LBB179_330:
	s_delay_alu instid0(VALU_DEP_1) | instskip(SKIP_2) | instid1(VALU_DEP_1)
	v_cvt_f32_f64_e32 v16, v[16:17]
	v_max_f32_e32 v17, v76, v76
	v_lshlrev_b64 v[24:25], 3, v[10:11]
	v_add_co_u32 v24, vcc_lo, v20, v24
	s_delay_alu instid0(VALU_DEP_2) | instskip(NEXT) | instid1(VALU_DEP_4)
	v_add_co_ci_u32_e32 v25, vcc_lo, v21, v25, vcc_lo
	v_min_f32_e32 v16, v16, v17
	s_delay_alu instid0(VALU_DEP_1) | instskip(SKIP_3) | instid1(SALU_CYCLE_1)
	v_cvt_f64_f32_e32 v[16:17], v16
	global_store_b64 v[24:25], v[16:17], off
	s_or_b32 exec_lo, exec_lo, s16
	s_and_b32 s19, s6, s8
	s_and_saveexec_b32 s16, s19
	s_cbranch_execz .LBB179_306
.LBB179_331:
	v_cmp_ne_u32_e32 vcc_lo, 1, v18
	s_cbranch_vccnz .LBB179_333
; %bb.332:
	v_lshlrev_b64 v[16:17], 3, v[12:13]
	s_delay_alu instid0(VALU_DEP_1) | instskip(NEXT) | instid1(VALU_DEP_2)
	v_add_co_u32 v16, vcc_lo, v22, v16
	v_add_co_ci_u32_e32 v17, vcc_lo, v23, v17, vcc_lo
	flat_load_b64 v[16:17], v[16:17]
	s_waitcnt vmcnt(0) lgkmcnt(0)
	v_mul_f64 v[16:17], v[16:17], s[10:11]
	s_branch .LBB179_334
.LBB179_333:
	v_mov_b32_e32 v16, 0
	v_mov_b32_e32 v17, 0
.LBB179_334:
	s_delay_alu instid0(VALU_DEP_1) | instskip(SKIP_2) | instid1(VALU_DEP_1)
	v_cvt_f32_f64_e32 v16, v[16:17]
	v_max_f32_e32 v17, v75, v75
	v_lshlrev_b64 v[24:25], 3, v[12:13]
	v_add_co_u32 v24, vcc_lo, v20, v24
	s_delay_alu instid0(VALU_DEP_2) | instskip(NEXT) | instid1(VALU_DEP_4)
	v_add_co_ci_u32_e32 v25, vcc_lo, v21, v25, vcc_lo
	v_min_f32_e32 v16, v16, v17
	s_delay_alu instid0(VALU_DEP_1) | instskip(SKIP_3) | instid1(SALU_CYCLE_1)
	v_cvt_f64_f32_e32 v[16:17], v16
	global_store_b64 v[24:25], v[16:17], off
	s_or_b32 exec_lo, exec_lo, s16
	s_and_b32 s16, s7, s8
	s_and_saveexec_b32 s8, s16
	s_cbranch_execz .LBB179_339
.LBB179_335:
	v_cmp_ne_u32_e32 vcc_lo, 1, v18
	s_cbranch_vccnz .LBB179_337
; %bb.336:
	v_lshlrev_b64 v[16:17], 3, v[14:15]
	s_delay_alu instid0(VALU_DEP_1) | instskip(NEXT) | instid1(VALU_DEP_2)
	v_add_co_u32 v16, vcc_lo, v22, v16
	v_add_co_ci_u32_e32 v17, vcc_lo, v23, v17, vcc_lo
	flat_load_b64 v[16:17], v[16:17]
	s_waitcnt vmcnt(0) lgkmcnt(0)
	v_mul_f64 v[16:17], v[16:17], s[10:11]
	s_branch .LBB179_338
.LBB179_337:
	v_mov_b32_e32 v16, 0
	v_mov_b32_e32 v17, 0
.LBB179_338:
	s_delay_alu instid0(VALU_DEP_1) | instskip(SKIP_2) | instid1(VALU_DEP_1)
	v_cvt_f32_f64_e32 v16, v[16:17]
	v_max_f32_e32 v17, v74, v74
	v_lshlrev_b64 v[22:23], 3, v[14:15]
	v_add_co_u32 v20, vcc_lo, v20, v22
	s_delay_alu instid0(VALU_DEP_2) | instskip(NEXT) | instid1(VALU_DEP_4)
	v_add_co_ci_u32_e32 v21, vcc_lo, v21, v23, vcc_lo
	v_min_f32_e32 v16, v16, v17
	s_delay_alu instid0(VALU_DEP_1)
	v_cvt_f64_f32_e32 v[16:17], v16
	global_store_b64 v[20:21], v[16:17], off
.LBB179_339:
	s_or_b32 exec_lo, exec_lo, s8
	v_add_nc_u32_e32 v21, 0xe0, v19
	s_delay_alu instid0(VALU_DEP_1) | instskip(SKIP_2) | instid1(VALU_DEP_3)
	v_mad_i64_i32 v[16:17], null, v21, s18, 0
	v_mad_i64_i32 v[19:20], null, v21, s9, 0
	v_cmp_gt_i32_e64 s8, s17, v21
	v_lshlrev_b64 v[16:17], 3, v[16:17]
	s_delay_alu instid0(VALU_DEP_2) | instskip(NEXT) | instid1(VALU_DEP_3)
	s_and_b32 s9, s0, s8
	v_lshlrev_b64 v[21:22], 3, v[19:20]
	s_delay_alu instid0(VALU_DEP_2) | instskip(NEXT) | instid1(VALU_DEP_3)
	v_add_co_u32 v19, vcc_lo, s12, v16
	v_add_co_ci_u32_e32 v20, vcc_lo, s13, v17, vcc_lo
	s_delay_alu instid0(VALU_DEP_3) | instskip(NEXT) | instid1(VALU_DEP_4)
	v_add_co_u32 v16, vcc_lo, s14, v21
	v_add_co_ci_u32_e32 v17, vcc_lo, s15, v22, vcc_lo
	s_and_saveexec_b32 s0, s9
	s_cbranch_execnz .LBB179_348
; %bb.340:
	s_or_b32 exec_lo, exec_lo, s0
	s_and_b32 s1, s1, s8
	s_delay_alu instid0(SALU_CYCLE_1)
	s_and_saveexec_b32 s0, s1
	s_cbranch_execnz .LBB179_352
.LBB179_341:
	s_or_b32 exec_lo, exec_lo, s0
	s_and_b32 s1, s2, s8
	s_delay_alu instid0(SALU_CYCLE_1)
	s_and_saveexec_b32 s0, s1
	s_cbranch_execnz .LBB179_356
.LBB179_342:
	s_or_b32 exec_lo, exec_lo, s0
	s_and_b32 s1, s3, s8
	s_delay_alu instid0(SALU_CYCLE_1)
	s_and_saveexec_b32 s0, s1
	s_cbranch_execnz .LBB179_360
.LBB179_343:
	s_or_b32 exec_lo, exec_lo, s0
	s_and_b32 s1, s4, s8
	s_delay_alu instid0(SALU_CYCLE_1)
	s_and_saveexec_b32 s0, s1
	s_cbranch_execnz .LBB179_364
.LBB179_344:
	s_or_b32 exec_lo, exec_lo, s0
	s_and_b32 s1, s5, s8
	s_delay_alu instid0(SALU_CYCLE_1)
	s_and_saveexec_b32 s0, s1
	s_cbranch_execnz .LBB179_368
.LBB179_345:
	s_or_b32 exec_lo, exec_lo, s0
	s_and_b32 s1, s6, s8
	s_delay_alu instid0(SALU_CYCLE_1)
	s_and_saveexec_b32 s0, s1
	s_cbranch_execnz .LBB179_372
.LBB179_346:
	s_or_b32 exec_lo, exec_lo, s0
	s_and_b32 s0, s7, s8
	s_delay_alu instid0(SALU_CYCLE_1)
	s_and_saveexec_b32 s1, s0
	s_cbranch_execnz .LBB179_376
.LBB179_347:
	s_nop 0
	s_sendmsg sendmsg(MSG_DEALLOC_VGPRS)
	s_endpgm
.LBB179_348:
	v_cmp_ne_u32_e32 vcc_lo, 1, v18
	v_lshlrev_b64 v[0:1], 3, v[0:1]
	s_cbranch_vccnz .LBB179_350
; %bb.349:
	s_delay_alu instid0(VALU_DEP_1) | instskip(NEXT) | instid1(VALU_DEP_2)
	v_add_co_u32 v21, vcc_lo, v19, v0
	v_add_co_ci_u32_e32 v22, vcc_lo, v20, v1, vcc_lo
	flat_load_b64 v[21:22], v[21:22]
	s_waitcnt vmcnt(0) lgkmcnt(0)
	v_mul_f64 v[21:22], v[21:22], s[10:11]
	s_delay_alu instid0(VALU_DEP_1)
	v_cvt_f32_f64_e32 v21, v[21:22]
	s_branch .LBB179_351
.LBB179_350:
	v_mov_b32_e32 v21, 0
.LBB179_351:
	v_max_f32_e32 v22, v73, v73
	s_delay_alu instid0(VALU_DEP_2) | instskip(NEXT) | instid1(VALU_DEP_4)
	v_max_f32_e32 v21, v21, v21
	v_add_co_u32 v0, vcc_lo, v16, v0
	v_add_co_ci_u32_e32 v1, vcc_lo, v17, v1, vcc_lo
	s_delay_alu instid0(VALU_DEP_3) | instskip(NEXT) | instid1(VALU_DEP_1)
	v_min_f32_e32 v21, v21, v22
	v_cvt_f64_f32_e32 v[21:22], v21
	global_store_b64 v[0:1], v[21:22], off
	s_or_b32 exec_lo, exec_lo, s0
	s_and_b32 s1, s1, s8
	s_delay_alu instid0(SALU_CYCLE_1)
	s_and_saveexec_b32 s0, s1
	s_cbranch_execz .LBB179_341
.LBB179_352:
	v_cmp_ne_u32_e32 vcc_lo, 1, v18
	v_lshlrev_b64 v[0:1], 3, v[2:3]
	s_cbranch_vccnz .LBB179_354
; %bb.353:
	s_delay_alu instid0(VALU_DEP_1) | instskip(NEXT) | instid1(VALU_DEP_2)
	v_add_co_u32 v2, vcc_lo, v19, v0
	v_add_co_ci_u32_e32 v3, vcc_lo, v20, v1, vcc_lo
	flat_load_b64 v[2:3], v[2:3]
	s_waitcnt vmcnt(0) lgkmcnt(0)
	v_mul_f64 v[2:3], v[2:3], s[10:11]
	s_delay_alu instid0(VALU_DEP_1)
	v_cvt_f32_f64_e32 v2, v[2:3]
	s_branch .LBB179_355
.LBB179_354:
	v_mov_b32_e32 v2, 0
.LBB179_355:
	s_delay_alu instid0(VALU_DEP_1) | instskip(NEXT) | instid1(VALU_DEP_3)
	v_dual_max_f32 v3, v72, v72 :: v_dual_max_f32 v2, v2, v2
	v_add_co_u32 v0, vcc_lo, v16, v0
	s_delay_alu instid0(VALU_DEP_4) | instskip(NEXT) | instid1(VALU_DEP_3)
	v_add_co_ci_u32_e32 v1, vcc_lo, v17, v1, vcc_lo
	v_min_f32_e32 v2, v2, v3
	s_delay_alu instid0(VALU_DEP_1) | instskip(SKIP_3) | instid1(SALU_CYCLE_1)
	v_cvt_f64_f32_e32 v[2:3], v2
	global_store_b64 v[0:1], v[2:3], off
	s_or_b32 exec_lo, exec_lo, s0
	s_and_b32 s1, s2, s8
	s_and_saveexec_b32 s0, s1
	s_cbranch_execz .LBB179_342
.LBB179_356:
	v_cmp_ne_u32_e32 vcc_lo, 1, v18
	v_lshlrev_b64 v[0:1], 3, v[4:5]
	s_cbranch_vccnz .LBB179_358
; %bb.357:
	s_delay_alu instid0(VALU_DEP_1) | instskip(NEXT) | instid1(VALU_DEP_2)
	v_add_co_u32 v2, vcc_lo, v19, v0
	v_add_co_ci_u32_e32 v3, vcc_lo, v20, v1, vcc_lo
	flat_load_b64 v[2:3], v[2:3]
	s_waitcnt vmcnt(0) lgkmcnt(0)
	v_mul_f64 v[2:3], v[2:3], s[10:11]
	s_delay_alu instid0(VALU_DEP_1)
	v_cvt_f32_f64_e32 v2, v[2:3]
	s_branch .LBB179_359
.LBB179_358:
	v_mov_b32_e32 v2, 0
.LBB179_359:
	s_delay_alu instid0(VALU_DEP_1) | instskip(NEXT) | instid1(VALU_DEP_3)
	v_dual_max_f32 v3, v71, v71 :: v_dual_max_f32 v2, v2, v2
	v_add_co_u32 v0, vcc_lo, v16, v0
	s_delay_alu instid0(VALU_DEP_4) | instskip(NEXT) | instid1(VALU_DEP_3)
	v_add_co_ci_u32_e32 v1, vcc_lo, v17, v1, vcc_lo
	v_min_f32_e32 v2, v2, v3
	s_delay_alu instid0(VALU_DEP_1) | instskip(SKIP_3) | instid1(SALU_CYCLE_1)
	v_cvt_f64_f32_e32 v[2:3], v2
	global_store_b64 v[0:1], v[2:3], off
	s_or_b32 exec_lo, exec_lo, s0
	s_and_b32 s1, s3, s8
	s_and_saveexec_b32 s0, s1
	s_cbranch_execz .LBB179_343
.LBB179_360:
	v_cmp_ne_u32_e32 vcc_lo, 1, v18
	v_lshlrev_b64 v[0:1], 3, v[6:7]
	s_cbranch_vccnz .LBB179_362
; %bb.361:
	s_delay_alu instid0(VALU_DEP_1) | instskip(NEXT) | instid1(VALU_DEP_2)
	v_add_co_u32 v2, vcc_lo, v19, v0
	v_add_co_ci_u32_e32 v3, vcc_lo, v20, v1, vcc_lo
	flat_load_b64 v[2:3], v[2:3]
	s_waitcnt vmcnt(0) lgkmcnt(0)
	v_mul_f64 v[2:3], v[2:3], s[10:11]
	s_delay_alu instid0(VALU_DEP_1)
	v_cvt_f32_f64_e32 v2, v[2:3]
	s_branch .LBB179_363
.LBB179_362:
	v_mov_b32_e32 v2, 0
.LBB179_363:
	v_max_f32_e32 v3, v70, v70
	s_delay_alu instid0(VALU_DEP_2) | instskip(NEXT) | instid1(VALU_DEP_4)
	v_max_f32_e32 v2, v2, v2
	v_add_co_u32 v0, vcc_lo, v16, v0
	v_add_co_ci_u32_e32 v1, vcc_lo, v17, v1, vcc_lo
	s_delay_alu instid0(VALU_DEP_3) | instskip(NEXT) | instid1(VALU_DEP_1)
	v_min_f32_e32 v2, v2, v3
	v_cvt_f64_f32_e32 v[2:3], v2
	global_store_b64 v[0:1], v[2:3], off
	s_or_b32 exec_lo, exec_lo, s0
	s_and_b32 s1, s4, s8
	s_delay_alu instid0(SALU_CYCLE_1)
	s_and_saveexec_b32 s0, s1
	s_cbranch_execz .LBB179_344
.LBB179_364:
	v_cmp_ne_u32_e32 vcc_lo, 1, v18
	v_lshlrev_b64 v[0:1], 3, v[8:9]
	s_cbranch_vccnz .LBB179_366
; %bb.365:
	s_delay_alu instid0(VALU_DEP_1) | instskip(NEXT) | instid1(VALU_DEP_2)
	v_add_co_u32 v2, vcc_lo, v19, v0
	v_add_co_ci_u32_e32 v3, vcc_lo, v20, v1, vcc_lo
	flat_load_b64 v[2:3], v[2:3]
	s_waitcnt vmcnt(0) lgkmcnt(0)
	v_mul_f64 v[2:3], v[2:3], s[10:11]
	s_delay_alu instid0(VALU_DEP_1)
	v_cvt_f32_f64_e32 v2, v[2:3]
	s_branch .LBB179_367
.LBB179_366:
	v_mov_b32_e32 v2, 0
.LBB179_367:
	s_delay_alu instid0(VALU_DEP_1) | instskip(NEXT) | instid1(VALU_DEP_3)
	v_dual_max_f32 v3, v69, v69 :: v_dual_max_f32 v2, v2, v2
	v_add_co_u32 v0, vcc_lo, v16, v0
	s_delay_alu instid0(VALU_DEP_4) | instskip(NEXT) | instid1(VALU_DEP_3)
	v_add_co_ci_u32_e32 v1, vcc_lo, v17, v1, vcc_lo
	v_min_f32_e32 v2, v2, v3
	s_delay_alu instid0(VALU_DEP_1) | instskip(SKIP_3) | instid1(SALU_CYCLE_1)
	v_cvt_f64_f32_e32 v[2:3], v2
	global_store_b64 v[0:1], v[2:3], off
	s_or_b32 exec_lo, exec_lo, s0
	s_and_b32 s1, s5, s8
	s_and_saveexec_b32 s0, s1
	s_cbranch_execz .LBB179_345
.LBB179_368:
	v_cmp_ne_u32_e32 vcc_lo, 1, v18
	v_lshlrev_b64 v[0:1], 3, v[10:11]
	s_cbranch_vccnz .LBB179_370
; %bb.369:
	s_delay_alu instid0(VALU_DEP_1) | instskip(NEXT) | instid1(VALU_DEP_2)
	v_add_co_u32 v2, vcc_lo, v19, v0
	v_add_co_ci_u32_e32 v3, vcc_lo, v20, v1, vcc_lo
	flat_load_b64 v[2:3], v[2:3]
	s_waitcnt vmcnt(0) lgkmcnt(0)
	v_mul_f64 v[2:3], v[2:3], s[10:11]
	s_delay_alu instid0(VALU_DEP_1)
	v_cvt_f32_f64_e32 v2, v[2:3]
	s_branch .LBB179_371
.LBB179_370:
	v_mov_b32_e32 v2, 0
.LBB179_371:
	s_delay_alu instid0(VALU_DEP_1) | instskip(NEXT) | instid1(VALU_DEP_3)
	v_dual_max_f32 v3, v68, v68 :: v_dual_max_f32 v2, v2, v2
	v_add_co_u32 v0, vcc_lo, v16, v0
	s_delay_alu instid0(VALU_DEP_4) | instskip(NEXT) | instid1(VALU_DEP_3)
	v_add_co_ci_u32_e32 v1, vcc_lo, v17, v1, vcc_lo
	v_min_f32_e32 v2, v2, v3
	s_delay_alu instid0(VALU_DEP_1) | instskip(SKIP_3) | instid1(SALU_CYCLE_1)
	v_cvt_f64_f32_e32 v[2:3], v2
	global_store_b64 v[0:1], v[2:3], off
	s_or_b32 exec_lo, exec_lo, s0
	s_and_b32 s1, s6, s8
	s_and_saveexec_b32 s0, s1
	s_cbranch_execz .LBB179_346
.LBB179_372:
	v_cmp_ne_u32_e32 vcc_lo, 1, v18
	v_lshlrev_b64 v[0:1], 3, v[12:13]
	s_cbranch_vccnz .LBB179_374
; %bb.373:
	s_delay_alu instid0(VALU_DEP_1) | instskip(NEXT) | instid1(VALU_DEP_2)
	v_add_co_u32 v2, vcc_lo, v19, v0
	v_add_co_ci_u32_e32 v3, vcc_lo, v20, v1, vcc_lo
	flat_load_b64 v[2:3], v[2:3]
	s_waitcnt vmcnt(0) lgkmcnt(0)
	v_mul_f64 v[2:3], v[2:3], s[10:11]
	s_delay_alu instid0(VALU_DEP_1)
	v_cvt_f32_f64_e32 v2, v[2:3]
	s_branch .LBB179_375
.LBB179_374:
	v_mov_b32_e32 v2, 0
.LBB179_375:
	s_delay_alu instid0(VALU_DEP_1) | instskip(NEXT) | instid1(VALU_DEP_3)
	v_dual_max_f32 v3, v67, v67 :: v_dual_max_f32 v2, v2, v2
	v_add_co_u32 v0, vcc_lo, v16, v0
	s_delay_alu instid0(VALU_DEP_4) | instskip(NEXT) | instid1(VALU_DEP_3)
	v_add_co_ci_u32_e32 v1, vcc_lo, v17, v1, vcc_lo
	v_min_f32_e32 v2, v2, v3
	s_delay_alu instid0(VALU_DEP_1) | instskip(SKIP_3) | instid1(SALU_CYCLE_1)
	v_cvt_f64_f32_e32 v[2:3], v2
	global_store_b64 v[0:1], v[2:3], off
	s_or_b32 exec_lo, exec_lo, s0
	s_and_b32 s0, s7, s8
	s_and_saveexec_b32 s1, s0
	s_cbranch_execz .LBB179_347
.LBB179_376:
	v_cmp_ne_u32_e32 vcc_lo, 1, v18
	v_lshlrev_b64 v[0:1], 3, v[14:15]
	s_cbranch_vccnz .LBB179_378
; %bb.377:
	s_delay_alu instid0(VALU_DEP_1) | instskip(NEXT) | instid1(VALU_DEP_2)
	v_add_co_u32 v2, vcc_lo, v19, v0
	v_add_co_ci_u32_e32 v3, vcc_lo, v20, v1, vcc_lo
	flat_load_b64 v[2:3], v[2:3]
	s_waitcnt vmcnt(0) lgkmcnt(0)
	v_mul_f64 v[2:3], v[2:3], s[10:11]
	s_delay_alu instid0(VALU_DEP_1)
	v_cvt_f32_f64_e32 v2, v[2:3]
	s_branch .LBB179_379
.LBB179_378:
	v_mov_b32_e32 v2, 0
.LBB179_379:
	v_max_f32_e32 v3, v66, v66
	s_delay_alu instid0(VALU_DEP_2) | instskip(NEXT) | instid1(VALU_DEP_4)
	v_max_f32_e32 v2, v2, v2
	v_add_co_u32 v0, vcc_lo, v16, v0
	v_add_co_ci_u32_e32 v1, vcc_lo, v17, v1, vcc_lo
	s_delay_alu instid0(VALU_DEP_3) | instskip(NEXT) | instid1(VALU_DEP_1)
	v_min_f32_e32 v2, v2, v3
	v_cvt_f64_f32_e32 v[2:3], v2
	global_store_b64 v[0:1], v[2:3], off
	s_nop 0
	s_sendmsg sendmsg(MSG_DEALLOC_VGPRS)
	s_endpgm
	.section	.rodata,"a",@progbits
	.p2align	6, 0x0
	.amdhsa_kernel _ZN12_GLOBAL__N_120geam_min_plus_kernelId15HIP_vector_typeIdLj2EEdLi8ELi32ELi64ELi256ELi4ELi4ELi64ELi64ELi4ELc84ELc84ELb0ELb1ELb1EdKddEEviiiT16_PT17_ilS6_ilS4_S6_ilPT18_ili26rocblas_geam_ex_operation_
		.amdhsa_group_segment_fixed_size 20480
		.amdhsa_private_segment_fixed_size 0
		.amdhsa_kernarg_size 136
		.amdhsa_user_sgpr_count 14
		.amdhsa_user_sgpr_dispatch_ptr 0
		.amdhsa_user_sgpr_queue_ptr 0
		.amdhsa_user_sgpr_kernarg_segment_ptr 1
		.amdhsa_user_sgpr_dispatch_id 0
		.amdhsa_user_sgpr_private_segment_size 0
		.amdhsa_wavefront_size32 1
		.amdhsa_uses_dynamic_stack 0
		.amdhsa_enable_private_segment 0
		.amdhsa_system_sgpr_workgroup_id_x 1
		.amdhsa_system_sgpr_workgroup_id_y 0
		.amdhsa_system_sgpr_workgroup_id_z 1
		.amdhsa_system_sgpr_workgroup_info 0
		.amdhsa_system_vgpr_workitem_id 1
		.amdhsa_next_free_vgpr 158
		.amdhsa_next_free_sgpr 35
		.amdhsa_reserve_vcc 1
		.amdhsa_float_round_mode_32 0
		.amdhsa_float_round_mode_16_64 0
		.amdhsa_float_denorm_mode_32 3
		.amdhsa_float_denorm_mode_16_64 3
		.amdhsa_dx10_clamp 1
		.amdhsa_ieee_mode 1
		.amdhsa_fp16_overflow 0
		.amdhsa_workgroup_processor_mode 1
		.amdhsa_memory_ordered 1
		.amdhsa_forward_progress 0
		.amdhsa_shared_vgpr_count 0
		.amdhsa_exception_fp_ieee_invalid_op 0
		.amdhsa_exception_fp_denorm_src 0
		.amdhsa_exception_fp_ieee_div_zero 0
		.amdhsa_exception_fp_ieee_overflow 0
		.amdhsa_exception_fp_ieee_underflow 0
		.amdhsa_exception_fp_ieee_inexact 0
		.amdhsa_exception_int_div_zero 0
	.end_amdhsa_kernel
	.section	.text._ZN12_GLOBAL__N_120geam_min_plus_kernelId15HIP_vector_typeIdLj2EEdLi8ELi32ELi64ELi256ELi4ELi4ELi64ELi64ELi4ELc84ELc84ELb0ELb1ELb1EdKddEEviiiT16_PT17_ilS6_ilS4_S6_ilPT18_ili26rocblas_geam_ex_operation_,"axG",@progbits,_ZN12_GLOBAL__N_120geam_min_plus_kernelId15HIP_vector_typeIdLj2EEdLi8ELi32ELi64ELi256ELi4ELi4ELi64ELi64ELi4ELc84ELc84ELb0ELb1ELb1EdKddEEviiiT16_PT17_ilS6_ilS4_S6_ilPT18_ili26rocblas_geam_ex_operation_,comdat
.Lfunc_end179:
	.size	_ZN12_GLOBAL__N_120geam_min_plus_kernelId15HIP_vector_typeIdLj2EEdLi8ELi32ELi64ELi256ELi4ELi4ELi64ELi64ELi4ELc84ELc84ELb0ELb1ELb1EdKddEEviiiT16_PT17_ilS6_ilS4_S6_ilPT18_ili26rocblas_geam_ex_operation_, .Lfunc_end179-_ZN12_GLOBAL__N_120geam_min_plus_kernelId15HIP_vector_typeIdLj2EEdLi8ELi32ELi64ELi256ELi4ELi4ELi64ELi64ELi4ELc84ELc84ELb0ELb1ELb1EdKddEEviiiT16_PT17_ilS6_ilS4_S6_ilPT18_ili26rocblas_geam_ex_operation_
                                        ; -- End function
	.section	.AMDGPU.csdata,"",@progbits
; Kernel info:
; codeLenInByte = 24408
; NumSgprs: 37
; NumVgprs: 158
; ScratchSize: 0
; MemoryBound: 0
; FloatMode: 240
; IeeeMode: 1
; LDSByteSize: 20480 bytes/workgroup (compile time only)
; SGPRBlocks: 4
; VGPRBlocks: 19
; NumSGPRsForWavesPerEU: 37
; NumVGPRsForWavesPerEU: 158
; Occupancy: 9
; WaveLimiterHint : 0
; COMPUTE_PGM_RSRC2:SCRATCH_EN: 0
; COMPUTE_PGM_RSRC2:USER_SGPR: 14
; COMPUTE_PGM_RSRC2:TRAP_HANDLER: 0
; COMPUTE_PGM_RSRC2:TGID_X_EN: 1
; COMPUTE_PGM_RSRC2:TGID_Y_EN: 0
; COMPUTE_PGM_RSRC2:TGID_Z_EN: 1
; COMPUTE_PGM_RSRC2:TIDIG_COMP_CNT: 1
	.section	.text._ZN12_GLOBAL__N_120geam_min_plus_kernelIdddLi4ELi64ELi128ELi128ELi4ELi64ELi4ELi4ELi64ELc78ELc78ELb0ELb0ELb0EPKdS1_dEEviiiT16_PT17_ilS5_ilS3_S5_ilPT18_ili26rocblas_geam_ex_operation_,"axG",@progbits,_ZN12_GLOBAL__N_120geam_min_plus_kernelIdddLi4ELi64ELi128ELi128ELi4ELi64ELi4ELi4ELi64ELc78ELc78ELb0ELb0ELb0EPKdS1_dEEviiiT16_PT17_ilS5_ilS3_S5_ilPT18_ili26rocblas_geam_ex_operation_,comdat
	.globl	_ZN12_GLOBAL__N_120geam_min_plus_kernelIdddLi4ELi64ELi128ELi128ELi4ELi64ELi4ELi4ELi64ELc78ELc78ELb0ELb0ELb0EPKdS1_dEEviiiT16_PT17_ilS5_ilS3_S5_ilPT18_ili26rocblas_geam_ex_operation_ ; -- Begin function _ZN12_GLOBAL__N_120geam_min_plus_kernelIdddLi4ELi64ELi128ELi128ELi4ELi64ELi4ELi4ELi64ELc78ELc78ELb0ELb0ELb0EPKdS1_dEEviiiT16_PT17_ilS5_ilS3_S5_ilPT18_ili26rocblas_geam_ex_operation_
	.p2align	8
	.type	_ZN12_GLOBAL__N_120geam_min_plus_kernelIdddLi4ELi64ELi128ELi128ELi4ELi64ELi4ELi4ELi64ELc78ELc78ELb0ELb0ELb0EPKdS1_dEEviiiT16_PT17_ilS5_ilS3_S5_ilPT18_ili26rocblas_geam_ex_operation_,@function
_ZN12_GLOBAL__N_120geam_min_plus_kernelIdddLi4ELi64ELi128ELi128ELi4ELi64ELi4ELi4ELi64ELc78ELc78ELb0ELb0ELb0EPKdS1_dEEviiiT16_PT17_ilS5_ilS3_S5_ilPT18_ili26rocblas_geam_ex_operation_: ; @_ZN12_GLOBAL__N_120geam_min_plus_kernelIdddLi4ELi64ELi128ELi128ELi4ELi64ELi4ELi4ELi64ELc78ELc78ELb0ELb0ELb0EPKdS1_dEEviiiT16_PT17_ilS5_ilS3_S5_ilPT18_ili26rocblas_geam_ex_operation_
; %bb.0:
	s_clause 0x1
	s_load_b128 s[8:11], s[0:1], 0x10
	s_load_b128 s[4:7], s[0:1], 0x28
	s_mov_b32 s12, s15
	s_mov_b32 s13, 0
	s_mov_b64 s[22:23], 0
	s_lshl_b64 s[2:3], s[12:13], 3
	s_waitcnt lgkmcnt(0)
	s_add_u32 s8, s8, s2
	s_addc_u32 s9, s9, s3
	s_load_b64 s[20:21], s[8:9], 0x0
	s_clause 0x1
	s_load_b128 s[16:19], s[0:1], 0x40
	s_load_b64 s[24:25], s[0:1], 0x50
	s_waitcnt lgkmcnt(0)
	s_add_u32 s2, s18, s2
	v_cmp_eq_f64_e64 s8, s[20:21], 0
	v_cmp_neq_f64_e64 s26, s[20:21], 0
	s_addc_u32 s3, s19, s3
	s_mov_b64 s[18:19], 0
	s_delay_alu instid0(VALU_DEP_2)
	s_and_b32 vcc_lo, exec_lo, s8
	s_cbranch_vccnz .LBB180_2
; %bb.1:
	s_mul_i32 s5, s12, s5
	s_mul_hi_u32 s8, s12, s4
	s_mul_i32 s4, s12, s4
	s_add_i32 s5, s8, s5
	s_delay_alu instid0(SALU_CYCLE_1) | instskip(NEXT) | instid1(SALU_CYCLE_1)
	s_lshl_b64 s[4:5], s[4:5], 3
	s_add_u32 s22, s10, s4
	s_addc_u32 s23, s11, s5
.LBB180_2:
	s_load_b64 s[8:9], s[2:3], 0x0
	s_delay_alu instid0(VALU_DEP_1) | instskip(SKIP_1) | instid1(VALU_DEP_1)
	v_cndmask_b32_e64 v1, 0, 1, s26
	s_and_not1_b32 vcc_lo, exec_lo, s26
	v_cmp_ne_u32_e64 s2, 1, v1
	s_cbranch_vccnz .LBB180_4
; %bb.3:
	s_mul_i32 s3, s12, s17
	s_mul_hi_u32 s4, s12, s16
	s_delay_alu instid0(SALU_CYCLE_1) | instskip(SKIP_1) | instid1(SALU_CYCLE_1)
	s_add_i32 s5, s4, s3
	s_mul_i32 s4, s12, s16
	s_lshl_b64 s[4:5], s[4:5], 3
	s_delay_alu instid0(SALU_CYCLE_1)
	s_add_u32 s18, s6, s4
	s_addc_u32 s19, s7, s5
.LBB180_4:
	s_waitcnt lgkmcnt(0)
	v_cmp_eq_f64_e64 s3, s[8:9], 0
	s_load_b128 s[4:7], s[0:1], 0x60
	s_mov_b64 s[10:11], 0
	s_delay_alu instid0(VALU_DEP_1)
	s_and_b32 vcc_lo, exec_lo, s3
	s_cbranch_vccnz .LBB180_6
; %bb.5:
	s_waitcnt lgkmcnt(0)
	s_mul_i32 s3, s12, s5
	s_mul_hi_u32 s5, s12, s4
	s_mul_i32 s4, s12, s4
	s_add_i32 s5, s5, s3
	s_delay_alu instid0(SALU_CYCLE_1) | instskip(NEXT) | instid1(SALU_CYCLE_1)
	s_lshl_b64 s[4:5], s[4:5], 3
	s_add_u32 s10, s24, s4
	s_addc_u32 s11, s25, s5
.LBB180_6:
	s_clause 0x1
	s_load_b32 s3, s[0:1], 0x0
	s_load_b32 s16, s[0:1], 0x20
	s_waitcnt lgkmcnt(0)
	s_mov_b32 s4, 0
	v_bfe_u32 v82, v0, 10, 10
	s_mov_b32 s5, s4
	v_dual_mov_b32 v0, s4 :: v_dual_and_b32 v81, 0x3ff, v0
	v_mov_b32_e32 v1, s5
	s_delay_alu instid0(VALU_DEP_2) | instskip(NEXT) | instid1(VALU_DEP_1)
	v_lshl_add_u32 v4, v82, 2, v81
	v_and_b32_e32 v78, 63, v4
	v_lshrrev_b32_e32 v83, 6, v4
	s_add_i32 s3, s3, -1
	s_ashr_i32 s17, s16, 31
	s_ashr_i32 s4, s3, 31
	s_delay_alu instid0(SALU_CYCLE_1) | instskip(NEXT) | instid1(SALU_CYCLE_1)
	s_lshr_b32 s4, s4, 25
	s_add_i32 s3, s3, s4
	s_delay_alu instid0(SALU_CYCLE_1) | instskip(NEXT) | instid1(SALU_CYCLE_1)
	s_ashr_i32 s3, s3, 7
	s_add_i32 s5, s3, 1
	s_not_b32 s3, s3
	v_cvt_f32_u32_e32 v2, s5
	s_delay_alu instid0(VALU_DEP_1)
	v_rcp_iflag_f32_e32 v2, v2
	s_waitcnt_depctr 0xfff
	v_mul_f32_e32 v2, 0x4f7ffffe, v2
	s_clause 0xf
	scratch_store_b64 off, v[0:1], off
	scratch_store_b64 off, v[0:1], off offset:8
	scratch_store_b64 off, v[0:1], off offset:16
	;; [unrolled: 1-line block ×15, first 2 shown]
	v_cvt_u32_f32_e32 v2, v2
	s_clause 0xe
	scratch_store_b64 off, v[0:1], off offset:128
	scratch_store_b64 off, v[0:1], off offset:136
	;; [unrolled: 1-line block ×15, first 2 shown]
	v_readfirstlane_b32 s4, v2
	s_clause 0xd
	scratch_store_b64 off, v[0:1], off offset:248
	scratch_store_b64 off, v[0:1], off offset:256
	;; [unrolled: 1-line block ×14, first 2 shown]
	s_mul_i32 s3, s3, s4
	s_clause 0x3
	scratch_store_b64 off, v[0:1], off offset:360
	scratch_store_b64 off, v[0:1], off offset:368
	;; [unrolled: 1-line block ×4, first 2 shown]
	s_mul_hi_u32 s3, s4, s3
	s_clause 0x7
	scratch_store_b64 off, v[0:1], off offset:392
	scratch_store_b64 off, v[0:1], off offset:400
	;; [unrolled: 1-line block ×8, first 2 shown]
	s_add_i32 s4, s4, s3
	s_clause 0x3
	scratch_store_b64 off, v[0:1], off offset:456
	scratch_store_b64 off, v[0:1], off offset:464
	;; [unrolled: 1-line block ×4, first 2 shown]
	s_mul_hi_u32 s3, s14, s4
	scratch_store_b64 off, v[0:1], off offset:488
	s_mul_i32 s4, s3, s5
	s_add_i32 s13, s3, 1
	s_sub_i32 s4, s14, s4
	s_clause 0x1
	scratch_store_b64 off, v[0:1], off offset:496
	scratch_store_b64 off, v[0:1], off offset:504
	s_sub_i32 s15, s4, s5
	s_cmp_ge_u32 s4, s5
	s_cselect_b32 s3, s13, s3
	s_cselect_b32 s4, s15, s4
	s_add_i32 s13, s3, 1
	s_cmp_ge_u32 s4, s5
	s_cselect_b32 s4, s13, s3
	s_and_b32 vcc_lo, exec_lo, s2
	s_mul_i32 s3, s4, s5
	s_delay_alu instid0(SALU_CYCLE_1) | instskip(NEXT) | instid1(SALU_CYCLE_1)
	s_sub_i32 s3, s14, s3
	s_lshl_b32 s13, s3, 7
	s_delay_alu instid0(SALU_CYCLE_1) | instskip(NEXT) | instid1(VALU_DEP_1)
	v_or_b32_e32 v68, s13, v78
	v_ashrrev_i32_e32 v69, 31, v68
	s_cbranch_vccnz .LBB180_8
; %bb.7:
	v_mad_i64_i32 v[0:1], null, s16, v83, 0
	s_delay_alu instid0(VALU_DEP_2) | instskip(NEXT) | instid1(VALU_DEP_2)
	v_lshlrev_b64 v[2:3], 3, v[68:69]
	v_lshlrev_b64 v[0:1], 3, v[0:1]
	s_delay_alu instid0(VALU_DEP_1) | instskip(NEXT) | instid1(VALU_DEP_2)
	v_add_co_u32 v0, vcc_lo, s22, v0
	v_add_co_ci_u32_e32 v1, vcc_lo, s23, v1, vcc_lo
	s_delay_alu instid0(VALU_DEP_2) | instskip(NEXT) | instid1(VALU_DEP_2)
	v_add_co_u32 v0, vcc_lo, v0, v2
	v_add_co_ci_u32_e32 v1, vcc_lo, v1, v3, vcc_lo
	s_clause 0x1
	flat_load_b64 v[2:3], v[0:1]
	flat_load_b64 v[5:6], v[0:1] offset:512
	s_waitcnt vmcnt(1) lgkmcnt(1)
	v_mul_f64 v[0:1], s[20:21], v[2:3]
	s_waitcnt vmcnt(0) lgkmcnt(0)
	v_mul_f64 v[2:3], s[20:21], v[5:6]
	s_branch .LBB180_9
.LBB180_8:
	v_mov_b32_e32 v0, 0
	v_dual_mov_b32 v1, 0 :: v_dual_mov_b32 v2, 0
	v_mov_b32_e32 v3, 0
.LBB180_9:
	s_load_b32 s3, s[0:1], 0x38
	v_lshrrev_b32_e32 v8, 2, v4
	s_lshl_b32 s14, s4, 7
	v_and_b32_e32 v84, 3, v81
	s_and_b32 vcc_lo, exec_lo, s2
	s_delay_alu instid0(VALU_DEP_2) | instskip(NEXT) | instid1(VALU_DEP_2)
	v_add_nc_u32_e32 v80, s14, v8
	v_lshlrev_b32_e32 v9, 3, v84
	s_delay_alu instid0(VALU_DEP_2)
	v_add_nc_u32_e32 v79, 64, v80
	s_cbranch_vccnz .LBB180_13
; %bb.10:
	s_waitcnt lgkmcnt(0)
	v_mad_i64_i32 v[4:5], null, v80, s3, 0
	s_delay_alu instid0(VALU_DEP_2) | instskip(SKIP_1) | instid1(VALU_DEP_1)
	v_mad_i64_i32 v[6:7], null, v79, s3, 0
	v_add_co_u32 v10, s4, s18, v9
	v_add_co_ci_u32_e64 v11, null, s19, 0, s4
	s_delay_alu instid0(VALU_DEP_4) | instskip(NEXT) | instid1(VALU_DEP_4)
	v_lshlrev_b64 v[4:5], 3, v[4:5]
	v_lshlrev_b64 v[6:7], 3, v[6:7]
	s_delay_alu instid0(VALU_DEP_2) | instskip(NEXT) | instid1(VALU_DEP_3)
	v_add_co_u32 v4, vcc_lo, v10, v4
	v_add_co_ci_u32_e32 v5, vcc_lo, v11, v5, vcc_lo
	s_delay_alu instid0(VALU_DEP_3) | instskip(NEXT) | instid1(VALU_DEP_4)
	v_add_co_u32 v6, vcc_lo, v10, v6
	v_add_co_ci_u32_e32 v7, vcc_lo, v11, v7, vcc_lo
	s_clause 0x1
	flat_load_b64 v[4:5], v[4:5]
	flat_load_b64 v[6:7], v[6:7]
	s_waitcnt vmcnt(1) lgkmcnt(1)
	v_mul_f64 v[4:5], s[20:21], v[4:5]
	s_waitcnt vmcnt(0) lgkmcnt(0)
	v_mul_f64 v[6:7], s[20:21], v[6:7]
	v_add_nc_u32_e32 v85, 4, v83
	s_and_b32 vcc_lo, exec_lo, s2
	s_cbranch_vccnz .LBB180_14
.LBB180_11:
	s_delay_alu instid0(VALU_DEP_1) | instskip(SKIP_1) | instid1(VALU_DEP_2)
	v_mad_i64_i32 v[10:11], null, s16, v85, 0
	v_lshlrev_b64 v[12:13], 3, v[68:69]
	v_lshlrev_b64 v[10:11], 3, v[10:11]
	s_delay_alu instid0(VALU_DEP_1) | instskip(NEXT) | instid1(VALU_DEP_2)
	v_add_co_u32 v10, vcc_lo, s22, v10
	v_add_co_ci_u32_e32 v11, vcc_lo, s23, v11, vcc_lo
	s_delay_alu instid0(VALU_DEP_2) | instskip(NEXT) | instid1(VALU_DEP_2)
	v_add_co_u32 v10, vcc_lo, v10, v12
	v_add_co_ci_u32_e32 v11, vcc_lo, v11, v13, vcc_lo
	s_clause 0x1
	flat_load_b64 v[12:13], v[10:11]
	flat_load_b64 v[10:11], v[10:11] offset:512
	s_waitcnt vmcnt(1) lgkmcnt(0)
	v_mul_f64 v[70:71], s[20:21], v[12:13]
	s_waitcnt vmcnt(0)
	v_mul_f64 v[72:73], s[20:21], v[10:11]
	s_and_b32 vcc_lo, exec_lo, s2
	s_mov_b64 s[4:5], 0
	s_cbranch_vccnz .LBB180_15
.LBB180_12:
	s_waitcnt lgkmcnt(0)
	v_mad_i64_i32 v[10:11], null, v80, s3, 0
	v_mad_i64_i32 v[12:13], null, v79, s3, 0
	v_add_co_u32 v14, s5, s18, v9
	s_delay_alu instid0(VALU_DEP_1) | instskip(NEXT) | instid1(VALU_DEP_4)
	v_add_co_ci_u32_e64 v15, null, s19, 0, s5
	v_lshlrev_b64 v[10:11], 3, v[10:11]
	s_delay_alu instid0(VALU_DEP_4) | instskip(NEXT) | instid1(VALU_DEP_2)
	v_lshlrev_b64 v[12:13], 3, v[12:13]
	v_add_co_u32 v10, vcc_lo, v14, v10
	s_delay_alu instid0(VALU_DEP_3) | instskip(NEXT) | instid1(VALU_DEP_3)
	v_add_co_ci_u32_e32 v11, vcc_lo, v15, v11, vcc_lo
	v_add_co_u32 v12, vcc_lo, v14, v12
	s_delay_alu instid0(VALU_DEP_4)
	v_add_co_ci_u32_e32 v13, vcc_lo, v15, v13, vcc_lo
	s_clause 0x1
	flat_load_b64 v[10:11], v[10:11] offset:32
	flat_load_b64 v[12:13], v[12:13] offset:32
	s_waitcnt vmcnt(1) lgkmcnt(1)
	v_mul_f64 v[74:75], s[20:21], v[10:11]
	s_waitcnt vmcnt(0) lgkmcnt(0)
	v_mul_f64 v[76:77], s[20:21], v[12:13]
	s_branch .LBB180_16
.LBB180_13:
	v_mov_b32_e32 v4, 0
	v_dual_mov_b32 v5, 0 :: v_dual_mov_b32 v6, 0
	v_mov_b32_e32 v7, 0
	v_add_nc_u32_e32 v85, 4, v83
	s_and_b32 vcc_lo, exec_lo, s2
	s_cbranch_vccz .LBB180_11
.LBB180_14:
	v_mov_b32_e32 v70, 0
	v_dual_mov_b32 v71, 0 :: v_dual_mov_b32 v72, 0
	v_mov_b32_e32 v73, 0
	s_and_b32 vcc_lo, exec_lo, s2
	s_mov_b64 s[4:5], 0
	s_cbranch_vccz .LBB180_12
.LBB180_15:
	v_mov_b32_e32 v74, 0
	v_dual_mov_b32 v75, 0 :: v_dual_mov_b32 v76, 0
	v_mov_b32_e32 v77, 0
.LBB180_16:
	v_cmp_neq_f64_e64 s15, s[8:9], 0
	v_dual_mov_b32 v91, 0 :: v_dual_lshlrev_b32 v10, 3, v83
	v_dual_mov_b32 v93, 8 :: v_dual_lshlrev_b32 v86, 5, v81
	v_lshl_or_b32 v92, v8, 5, v9
	s_delay_alu instid0(VALU_DEP_3) | instskip(NEXT) | instid1(VALU_DEP_3)
	v_lshl_add_u32 v87, v78, 5, v10
	v_dual_mov_b32 v97, 40 :: v_dual_add_nc_u32 v48, 0x800, v86
	ds_store_2addr_stride64_b64 v92, v[4:5], v[6:7] offset0:16 offset1:20
	ds_store_2addr_stride64_b64 v87, v[0:1], v[2:3] offset1:4
	s_waitcnt lgkmcnt(0)
	s_waitcnt_vscnt null, 0x0
	s_barrier
	buffer_gl0_inv
	ds_load_2addr_b64 v[0:3], v86 offset1:16
	ds_load_2addr_b64 v[4:7], v86 offset0:32 offset1:48
	ds_load_2addr_b64 v[8:11], v86 offset0:64 offset1:80
	;; [unrolled: 1-line block ×4, first 2 shown]
	ds_load_2addr_b64 v[20:23], v48 offset1:16
	ds_load_2addr_b64 v[24:27], v48 offset0:32 offset1:48
	ds_load_2addr_b64 v[28:31], v48 offset0:64 offset1:80
	v_dual_mov_b32 v94, 16 :: v_dual_lshlrev_b32 v89, 5, v82
	ds_load_2addr_b64 v[32:35], v48 offset0:96 offset1:112
	ds_load_2addr_b64 v[36:39], v48 offset0:128 offset1:144
	;; [unrolled: 1-line block ×8, first 2 shown]
	ds_load_2addr_stride64_b64 v[64:67], v89 offset0:16 offset1:20
	v_dual_mov_b32 v95, 24 :: v_dual_add_nc_u32 v88, 0x2000, v92
	v_dual_mov_b32 v99, 56 :: v_dual_add_nc_u32 v90, 0x2000, v89
	v_dual_mov_b32 v96, 32 :: v_dual_mov_b32 v101, 0x48
	v_dual_mov_b32 v98, 48 :: v_dual_mov_b32 v103, 0x58
	;; [unrolled: 1-line block ×3, first 2 shown]
	v_mov_b32_e32 v102, 0x50
	v_mov_b32_e32 v104, 0x60
	;; [unrolled: 1-line block ×20, first 2 shown]
	s_mov_b32 s24, -1
.LBB180_17:                             ; =>This Inner Loop Header: Depth=1
	scratch_load_b64 v[124:125], v91, off
	scratch_load_b64 v[126:127], v93, off
	;; [unrolled: 1-line block ×32, first 2 shown]
	s_cmp_eq_u32 s4, 1
	s_waitcnt lgkmcnt(16)
	v_max_f64 v[190:191], v[0:1], v[0:1]
	s_cselect_b32 vcc_lo, -1, 0
	v_max_f64 v[192:193], v[2:3], v[2:3]
	s_waitcnt lgkmcnt(0)
	v_dual_cndmask_b32 v189, v65, v67 :: v_dual_cndmask_b32 v188, v64, v66
	v_max_f64 v[194:195], v[4:5], v[4:5]
	v_max_f64 v[196:197], v[6:7], v[6:7]
	;; [unrolled: 1-line block ×31, first 2 shown]
	s_mov_b64 s[4:5], 1
	s_and_b32 vcc_lo, exec_lo, s24
	s_mov_b32 s24, 0
	v_min_f64 v[190:191], v[190:191], v[188:189]
	v_min_f64 v[192:193], v[192:193], v[188:189]
	;; [unrolled: 1-line block ×32, first 2 shown]
	s_waitcnt vmcnt(31)
	v_add_f64 v[124:125], v[124:125], v[190:191]
	s_waitcnt vmcnt(30)
	v_add_f64 v[126:127], v[192:193], v[126:127]
	;; [unrolled: 2-line block ×32, first 2 shown]
	scratch_store_b64 v91, v[124:125], off
	scratch_store_b64 v93, v[126:127], off
	;; [unrolled: 1-line block ×32, first 2 shown]
	v_mov_b32_e32 v91, 0x100
	v_mov_b32_e32 v93, 0x108
	;; [unrolled: 1-line block ×32, first 2 shown]
	s_cbranch_vccnz .LBB180_17
; %bb.18:
	v_dual_mov_b32 v91, 0 :: v_dual_add_nc_u32 v60, 0x800, v86
	ds_load_2addr_b64 v[0:3], v86 offset0:1 offset1:17
	ds_load_2addr_b64 v[4:7], v86 offset0:33 offset1:49
	;; [unrolled: 1-line block ×12, first 2 shown]
	v_dual_mov_b32 v93, 8 :: v_dual_add_nc_u32 v64, 8, v90
	ds_load_2addr_b64 v[48:51], v60 offset0:129 offset1:145
	ds_load_2addr_b64 v[52:55], v60 offset0:161 offset1:177
	;; [unrolled: 1-line block ×4, first 2 shown]
	ds_load_2addr_stride64_b64 v[64:67], v64 offset1:4
	v_dual_mov_b32 v94, 16 :: v_dual_mov_b32 v95, 24
	v_dual_mov_b32 v96, 32 :: v_dual_mov_b32 v97, 40
	;; [unrolled: 1-line block ×4, first 2 shown]
	v_mov_b32_e32 v102, 0x50
	v_mov_b32_e32 v103, 0x58
	;; [unrolled: 1-line block ×22, first 2 shown]
	s_mov_b64 s[4:5], 0
	s_mov_b32 s24, -1
.LBB180_19:                             ; =>This Inner Loop Header: Depth=1
	scratch_load_b64 v[124:125], v91, off
	scratch_load_b64 v[126:127], v93, off
	;; [unrolled: 1-line block ×32, first 2 shown]
	s_cmp_eq_u32 s4, 1
	s_waitcnt lgkmcnt(16)
	v_max_f64 v[190:191], v[0:1], v[0:1]
	s_cselect_b32 vcc_lo, -1, 0
	v_max_f64 v[192:193], v[2:3], v[2:3]
	s_waitcnt lgkmcnt(0)
	v_dual_cndmask_b32 v189, v65, v67 :: v_dual_cndmask_b32 v188, v64, v66
	v_max_f64 v[194:195], v[4:5], v[4:5]
	v_max_f64 v[196:197], v[6:7], v[6:7]
	;; [unrolled: 1-line block ×31, first 2 shown]
	s_mov_b64 s[4:5], 1
	s_and_b32 vcc_lo, exec_lo, s24
	s_mov_b32 s24, 0
	v_min_f64 v[190:191], v[190:191], v[188:189]
	v_min_f64 v[192:193], v[192:193], v[188:189]
	;; [unrolled: 1-line block ×32, first 2 shown]
	s_waitcnt vmcnt(31)
	v_add_f64 v[124:125], v[124:125], v[190:191]
	s_waitcnt vmcnt(30)
	v_add_f64 v[126:127], v[192:193], v[126:127]
	;; [unrolled: 2-line block ×32, first 2 shown]
	scratch_store_b64 v91, v[124:125], off
	scratch_store_b64 v93, v[126:127], off
	scratch_store_b64 v94, v[128:129], off
	scratch_store_b64 v95, v[130:131], off
	scratch_store_b64 v96, v[132:133], off
	scratch_store_b64 v97, v[134:135], off
	scratch_store_b64 v98, v[136:137], off
	scratch_store_b64 v99, v[138:139], off
	scratch_store_b64 v100, v[140:141], off
	scratch_store_b64 v101, v[142:143], off
	scratch_store_b64 v102, v[144:145], off
	scratch_store_b64 v103, v[146:147], off
	scratch_store_b64 v104, v[148:149], off
	scratch_store_b64 v105, v[150:151], off
	scratch_store_b64 v106, v[152:153], off
	scratch_store_b64 v107, v[154:155], off
	scratch_store_b64 v108, v[156:157], off
	scratch_store_b64 v109, v[158:159], off
	scratch_store_b64 v110, v[160:161], off
	scratch_store_b64 v111, v[162:163], off
	scratch_store_b64 v112, v[164:165], off
	scratch_store_b64 v113, v[166:167], off
	scratch_store_b64 v114, v[168:169], off
	scratch_store_b64 v115, v[170:171], off
	scratch_store_b64 v116, v[172:173], off
	scratch_store_b64 v117, v[174:175], off
	scratch_store_b64 v118, v[176:177], off
	scratch_store_b64 v119, v[178:179], off
	scratch_store_b64 v120, v[180:181], off
	scratch_store_b64 v121, v[182:183], off
	scratch_store_b64 v122, v[184:185], off
	scratch_store_b64 v123, v[186:187], off
	v_mov_b32_e32 v91, 0x100
	v_mov_b32_e32 v93, 0x108
	;; [unrolled: 1-line block ×32, first 2 shown]
	s_cbranch_vccnz .LBB180_19
; %bb.20:
	v_dual_mov_b32 v91, 0 :: v_dual_add_nc_u32 v60, 0x800, v86
	ds_load_2addr_b64 v[0:3], v86 offset0:2 offset1:18
	ds_load_2addr_b64 v[4:7], v86 offset0:34 offset1:50
	ds_load_2addr_b64 v[8:11], v86 offset0:66 offset1:82
	ds_load_2addr_b64 v[12:15], v86 offset0:98 offset1:114
	ds_load_2addr_b64 v[16:19], v86 offset0:130 offset1:146
	ds_load_2addr_b64 v[20:23], v86 offset0:162 offset1:178
	ds_load_2addr_b64 v[24:27], v86 offset0:194 offset1:210
	ds_load_2addr_b64 v[28:31], v86 offset0:226 offset1:242
	ds_load_2addr_b64 v[32:35], v60 offset0:2 offset1:18
	ds_load_2addr_b64 v[36:39], v60 offset0:34 offset1:50
	ds_load_2addr_b64 v[40:43], v60 offset0:66 offset1:82
	ds_load_2addr_b64 v[44:47], v60 offset0:98 offset1:114
	v_dual_mov_b32 v93, 8 :: v_dual_add_nc_u32 v64, 16, v90
	ds_load_2addr_b64 v[48:51], v60 offset0:130 offset1:146
	ds_load_2addr_b64 v[52:55], v60 offset0:162 offset1:178
	;; [unrolled: 1-line block ×4, first 2 shown]
	ds_load_2addr_stride64_b64 v[64:67], v64 offset1:4
	v_dual_mov_b32 v94, 16 :: v_dual_mov_b32 v95, 24
	v_dual_mov_b32 v96, 32 :: v_dual_mov_b32 v97, 40
	;; [unrolled: 1-line block ×4, first 2 shown]
	v_mov_b32_e32 v102, 0x50
	v_mov_b32_e32 v103, 0x58
	;; [unrolled: 1-line block ×22, first 2 shown]
	s_mov_b64 s[4:5], 0
	s_mov_b32 s24, -1
.LBB180_21:                             ; =>This Inner Loop Header: Depth=1
	scratch_load_b64 v[124:125], v91, off
	scratch_load_b64 v[126:127], v93, off
	;; [unrolled: 1-line block ×32, first 2 shown]
	s_cmp_eq_u32 s4, 1
	s_waitcnt lgkmcnt(16)
	v_max_f64 v[190:191], v[0:1], v[0:1]
	s_cselect_b32 vcc_lo, -1, 0
	v_max_f64 v[192:193], v[2:3], v[2:3]
	s_waitcnt lgkmcnt(0)
	v_dual_cndmask_b32 v189, v65, v67 :: v_dual_cndmask_b32 v188, v64, v66
	v_max_f64 v[194:195], v[4:5], v[4:5]
	v_max_f64 v[196:197], v[6:7], v[6:7]
	;; [unrolled: 1-line block ×31, first 2 shown]
	s_mov_b64 s[4:5], 1
	s_and_b32 vcc_lo, exec_lo, s24
	s_mov_b32 s24, 0
	v_min_f64 v[190:191], v[190:191], v[188:189]
	v_min_f64 v[192:193], v[192:193], v[188:189]
	v_min_f64 v[194:195], v[194:195], v[188:189]
	v_min_f64 v[196:197], v[196:197], v[188:189]
	v_min_f64 v[198:199], v[198:199], v[188:189]
	v_min_f64 v[200:201], v[200:201], v[188:189]
	v_min_f64 v[202:203], v[202:203], v[188:189]
	v_min_f64 v[204:205], v[204:205], v[188:189]
	v_min_f64 v[206:207], v[206:207], v[188:189]
	v_min_f64 v[208:209], v[208:209], v[188:189]
	v_min_f64 v[210:211], v[210:211], v[188:189]
	v_min_f64 v[212:213], v[212:213], v[188:189]
	v_min_f64 v[214:215], v[214:215], v[188:189]
	v_min_f64 v[216:217], v[216:217], v[188:189]
	v_min_f64 v[218:219], v[218:219], v[188:189]
	v_min_f64 v[220:221], v[220:221], v[188:189]
	v_min_f64 v[222:223], v[222:223], v[188:189]
	v_min_f64 v[224:225], v[224:225], v[188:189]
	v_min_f64 v[226:227], v[226:227], v[188:189]
	v_min_f64 v[228:229], v[228:229], v[188:189]
	v_min_f64 v[230:231], v[230:231], v[188:189]
	v_min_f64 v[232:233], v[232:233], v[188:189]
	v_min_f64 v[234:235], v[234:235], v[188:189]
	v_min_f64 v[236:237], v[236:237], v[188:189]
	v_min_f64 v[238:239], v[238:239], v[188:189]
	v_min_f64 v[240:241], v[240:241], v[188:189]
	v_min_f64 v[242:243], v[242:243], v[188:189]
	v_min_f64 v[244:245], v[244:245], v[188:189]
	v_min_f64 v[246:247], v[246:247], v[188:189]
	v_min_f64 v[248:249], v[248:249], v[188:189]
	v_min_f64 v[250:251], v[250:251], v[188:189]
	v_min_f64 v[188:189], v[252:253], v[188:189]
	s_waitcnt vmcnt(31)
	v_add_f64 v[124:125], v[124:125], v[190:191]
	s_waitcnt vmcnt(30)
	v_add_f64 v[126:127], v[192:193], v[126:127]
	;; [unrolled: 2-line block ×32, first 2 shown]
	scratch_store_b64 v91, v[124:125], off
	scratch_store_b64 v93, v[126:127], off
	;; [unrolled: 1-line block ×32, first 2 shown]
	v_mov_b32_e32 v91, 0x100
	v_mov_b32_e32 v93, 0x108
	;; [unrolled: 1-line block ×32, first 2 shown]
	s_cbranch_vccnz .LBB180_21
; %bb.22:
	v_dual_mov_b32 v91, 0 :: v_dual_add_nc_u32 v60, 0x800, v86
	ds_load_2addr_b64 v[0:3], v86 offset0:3 offset1:19
	ds_load_2addr_b64 v[4:7], v86 offset0:35 offset1:51
	;; [unrolled: 1-line block ×12, first 2 shown]
	v_dual_mov_b32 v93, 8 :: v_dual_add_nc_u32 v64, 24, v90
	ds_load_2addr_b64 v[48:51], v60 offset0:131 offset1:147
	ds_load_2addr_b64 v[52:55], v60 offset0:163 offset1:179
	ds_load_2addr_b64 v[56:59], v60 offset0:195 offset1:211
	ds_load_2addr_b64 v[60:63], v60 offset0:227 offset1:243
	ds_load_2addr_stride64_b64 v[64:67], v64 offset1:4
	v_dual_mov_b32 v94, 16 :: v_dual_mov_b32 v95, 24
	v_dual_mov_b32 v96, 32 :: v_dual_mov_b32 v97, 40
	;; [unrolled: 1-line block ×4, first 2 shown]
	v_mov_b32_e32 v102, 0x50
	v_mov_b32_e32 v103, 0x58
	;; [unrolled: 1-line block ×22, first 2 shown]
	s_mov_b64 s[4:5], 0
	s_mov_b32 s24, -1
.LBB180_23:                             ; =>This Inner Loop Header: Depth=1
	scratch_load_b64 v[124:125], v91, off
	scratch_load_b64 v[126:127], v93, off
	scratch_load_b64 v[128:129], v94, off
	scratch_load_b64 v[130:131], v95, off
	scratch_load_b64 v[132:133], v96, off
	scratch_load_b64 v[134:135], v97, off
	scratch_load_b64 v[136:137], v98, off
	scratch_load_b64 v[138:139], v99, off
	scratch_load_b64 v[140:141], v100, off
	scratch_load_b64 v[142:143], v101, off
	scratch_load_b64 v[144:145], v102, off
	scratch_load_b64 v[146:147], v103, off
	scratch_load_b64 v[148:149], v104, off
	scratch_load_b64 v[150:151], v105, off
	scratch_load_b64 v[152:153], v106, off
	scratch_load_b64 v[154:155], v107, off
	scratch_load_b64 v[156:157], v108, off
	scratch_load_b64 v[158:159], v109, off
	scratch_load_b64 v[160:161], v110, off
	scratch_load_b64 v[162:163], v111, off
	scratch_load_b64 v[164:165], v112, off
	scratch_load_b64 v[166:167], v113, off
	scratch_load_b64 v[168:169], v114, off
	scratch_load_b64 v[170:171], v115, off
	scratch_load_b64 v[172:173], v116, off
	scratch_load_b64 v[174:175], v117, off
	scratch_load_b64 v[176:177], v118, off
	scratch_load_b64 v[178:179], v119, off
	scratch_load_b64 v[180:181], v120, off
	scratch_load_b64 v[182:183], v121, off
	scratch_load_b64 v[184:185], v122, off
	scratch_load_b64 v[186:187], v123, off
	s_cmp_eq_u32 s4, 1
	s_waitcnt lgkmcnt(16)
	v_max_f64 v[190:191], v[0:1], v[0:1]
	s_cselect_b32 vcc_lo, -1, 0
	v_max_f64 v[192:193], v[2:3], v[2:3]
	s_waitcnt lgkmcnt(0)
	v_dual_cndmask_b32 v189, v65, v67 :: v_dual_cndmask_b32 v188, v64, v66
	v_max_f64 v[194:195], v[4:5], v[4:5]
	v_max_f64 v[196:197], v[6:7], v[6:7]
	;; [unrolled: 1-line block ×31, first 2 shown]
	s_mov_b64 s[4:5], 1
	s_and_b32 vcc_lo, exec_lo, s24
	s_mov_b32 s24, 0
	v_min_f64 v[190:191], v[190:191], v[188:189]
	v_min_f64 v[192:193], v[192:193], v[188:189]
	;; [unrolled: 1-line block ×32, first 2 shown]
	s_waitcnt vmcnt(31)
	v_add_f64 v[124:125], v[124:125], v[190:191]
	s_waitcnt vmcnt(30)
	v_add_f64 v[126:127], v[192:193], v[126:127]
	s_waitcnt vmcnt(29)
	v_add_f64 v[128:129], v[194:195], v[128:129]
	s_waitcnt vmcnt(28)
	v_add_f64 v[130:131], v[196:197], v[130:131]
	s_waitcnt vmcnt(27)
	v_add_f64 v[132:133], v[198:199], v[132:133]
	s_waitcnt vmcnt(26)
	v_add_f64 v[134:135], v[200:201], v[134:135]
	s_waitcnt vmcnt(25)
	v_add_f64 v[136:137], v[202:203], v[136:137]
	s_waitcnt vmcnt(24)
	v_add_f64 v[138:139], v[204:205], v[138:139]
	s_waitcnt vmcnt(23)
	v_add_f64 v[140:141], v[206:207], v[140:141]
	s_waitcnt vmcnt(22)
	v_add_f64 v[142:143], v[208:209], v[142:143]
	s_waitcnt vmcnt(21)
	v_add_f64 v[144:145], v[210:211], v[144:145]
	s_waitcnt vmcnt(20)
	v_add_f64 v[146:147], v[212:213], v[146:147]
	s_waitcnt vmcnt(19)
	v_add_f64 v[148:149], v[214:215], v[148:149]
	s_waitcnt vmcnt(18)
	v_add_f64 v[150:151], v[216:217], v[150:151]
	s_waitcnt vmcnt(17)
	v_add_f64 v[152:153], v[218:219], v[152:153]
	s_waitcnt vmcnt(16)
	v_add_f64 v[154:155], v[220:221], v[154:155]
	s_waitcnt vmcnt(15)
	v_add_f64 v[156:157], v[222:223], v[156:157]
	s_waitcnt vmcnt(14)
	v_add_f64 v[158:159], v[224:225], v[158:159]
	s_waitcnt vmcnt(13)
	v_add_f64 v[160:161], v[226:227], v[160:161]
	s_waitcnt vmcnt(12)
	v_add_f64 v[162:163], v[228:229], v[162:163]
	s_waitcnt vmcnt(11)
	v_add_f64 v[164:165], v[230:231], v[164:165]
	s_waitcnt vmcnt(10)
	v_add_f64 v[166:167], v[232:233], v[166:167]
	s_waitcnt vmcnt(9)
	v_add_f64 v[168:169], v[234:235], v[168:169]
	s_waitcnt vmcnt(8)
	v_add_f64 v[170:171], v[236:237], v[170:171]
	s_waitcnt vmcnt(7)
	v_add_f64 v[172:173], v[238:239], v[172:173]
	s_waitcnt vmcnt(6)
	v_add_f64 v[174:175], v[240:241], v[174:175]
	s_waitcnt vmcnt(5)
	v_add_f64 v[176:177], v[242:243], v[176:177]
	s_waitcnt vmcnt(4)
	v_add_f64 v[178:179], v[244:245], v[178:179]
	s_waitcnt vmcnt(3)
	v_add_f64 v[180:181], v[246:247], v[180:181]
	s_waitcnt vmcnt(2)
	v_add_f64 v[182:183], v[248:249], v[182:183]
	s_waitcnt vmcnt(1)
	v_add_f64 v[184:185], v[250:251], v[184:185]
	s_waitcnt vmcnt(0)
	v_add_f64 v[186:187], v[188:189], v[186:187]
	scratch_store_b64 v91, v[124:125], off
	scratch_store_b64 v93, v[126:127], off
	;; [unrolled: 1-line block ×32, first 2 shown]
	v_mov_b32_e32 v91, 0x100
	v_mov_b32_e32 v93, 0x108
	;; [unrolled: 1-line block ×32, first 2 shown]
	s_cbranch_vccnz .LBB180_23
; %bb.24:
	s_load_b32 s4, s[0:1], 0x8
	v_lshlrev_b32_e32 v0, 5, v78
	s_mov_b32 s24, 8
	s_delay_alu instid0(VALU_DEP_1)
	v_lshl_add_u32 v0, v83, 3, v0
	ds_store_2addr_stride64_b64 v0, v[70:71], v[72:73] offset0:8 offset1:12
	ds_store_2addr_stride64_b64 v92, v[74:75], v[76:77] offset0:24 offset1:28
	s_waitcnt lgkmcnt(0)
	s_waitcnt_vscnt null, 0x0
	s_barrier
	buffer_gl0_inv
	s_cmp_gt_i32 s4, 8
	s_cbranch_scc0 .LBB180_53
; %bb.25:
	v_or_b32_e32 v91, 0x1000, v0
	v_mad_i64_i32 v[0:1], null, v80, s3, 0
	v_mad_i64_i32 v[4:5], null, v79, s3, 0
	v_lshlrev_b64 v[2:3], 3, v[68:69]
	v_lshl_add_u32 v93, v81, 5, 0x1000
	v_add_nc_u32_e32 v92, 0x3000, v92
	v_lshl_add_u32 v94, v82, 5, 0x3000
	v_lshlrev_b64 v[69:70], 3, v[0:1]
	s_delay_alu instid0(VALU_DEP_4)
	v_dual_mov_b32 v68, 0 :: v_dual_add_nc_u32 v97, 0x800, v93
	v_add_co_u32 v95, vcc_lo, s22, v2
	v_lshlrev_b64 v[71:72], 3, v[4:5]
	v_add_co_ci_u32_e32 v96, vcc_lo, s23, v3, vcc_lo
	s_add_i32 s22, s4, -8
	s_mov_b32 s23, 0
	s_and_b32 s3, exec_lo, s26
.LBB180_26:                             ; =>This Loop Header: Depth=1
                                        ;     Child Loop BB180_32 Depth 2
                                        ;     Child Loop BB180_34 Depth 2
	;; [unrolled: 1-line block ×8, first 2 shown]
	s_and_b32 vcc_lo, exec_lo, s2
	s_cbranch_vccnz .LBB180_29
; %bb.27:                               ;   in Loop: Header=BB180_26 Depth=1
	v_add_nc_u32_e32 v4, s24, v83
	s_delay_alu instid0(VALU_DEP_1) | instskip(NEXT) | instid1(VALU_DEP_1)
	v_mad_u64_u32 v[0:1], null, v4, s16, 0
	v_mad_u64_u32 v[2:3], null, v4, s17, v[1:2]
	s_delay_alu instid0(VALU_DEP_1) | instskip(NEXT) | instid1(VALU_DEP_1)
	v_mov_b32_e32 v1, v2
	v_lshlrev_b64 v[0:1], 3, v[0:1]
	s_delay_alu instid0(VALU_DEP_1) | instskip(NEXT) | instid1(VALU_DEP_2)
	v_add_co_u32 v0, vcc_lo, v95, v0
	v_add_co_ci_u32_e32 v1, vcc_lo, v96, v1, vcc_lo
	s_clause 0x1
	flat_load_b64 v[2:3], v[0:1]
	flat_load_b64 v[0:1], v[0:1] offset:512
	s_waitcnt vmcnt(1) lgkmcnt(1)
	v_mul_f64 v[73:74], s[20:21], v[2:3]
	s_waitcnt vmcnt(0) lgkmcnt(0)
	v_mul_f64 v[75:76], s[20:21], v[0:1]
	s_and_b32 vcc_lo, exec_lo, s2
	s_mov_b64 s[4:5], 0
	s_cbranch_vccnz .LBB180_30
.LBB180_28:                             ;   in Loop: Header=BB180_26 Depth=1
	v_or_b32_e32 v67, s24, v84
	s_delay_alu instid0(VALU_DEP_1) | instskip(NEXT) | instid1(VALU_DEP_1)
	v_lshlrev_b64 v[0:1], 3, v[67:68]
	v_add_co_u32 v2, vcc_lo, s18, v0
	s_delay_alu instid0(VALU_DEP_2) | instskip(NEXT) | instid1(VALU_DEP_2)
	v_add_co_ci_u32_e32 v3, vcc_lo, s19, v1, vcc_lo
	v_add_co_u32 v0, vcc_lo, v2, v69
	s_delay_alu instid0(VALU_DEP_2)
	v_add_co_ci_u32_e32 v1, vcc_lo, v3, v70, vcc_lo
	v_add_co_u32 v2, vcc_lo, v2, v71
	v_add_co_ci_u32_e32 v3, vcc_lo, v3, v72, vcc_lo
	s_clause 0x1
	flat_load_b64 v[0:1], v[0:1]
	flat_load_b64 v[2:3], v[2:3]
	s_waitcnt vmcnt(1) lgkmcnt(1)
	v_mul_f64 v[77:78], s[20:21], v[0:1]
	s_waitcnt vmcnt(0) lgkmcnt(0)
	v_mul_f64 v[79:80], s[20:21], v[2:3]
	s_branch .LBB180_31
.LBB180_29:                             ;   in Loop: Header=BB180_26 Depth=1
	v_mov_b32_e32 v73, 0
	v_dual_mov_b32 v74, 0 :: v_dual_mov_b32 v75, 0
	v_mov_b32_e32 v76, 0
	s_and_b32 vcc_lo, exec_lo, s2
	s_mov_b64 s[4:5], 0
	s_cbranch_vccz .LBB180_28
.LBB180_30:                             ;   in Loop: Header=BB180_26 Depth=1
	v_mov_b32_e32 v77, 0
	v_dual_mov_b32 v78, 0 :: v_dual_mov_b32 v79, 0
	v_mov_b32_e32 v80, 0
.LBB180_31:                             ;   in Loop: Header=BB180_26 Depth=1
	ds_load_2addr_b64 v[0:3], v93 offset1:16
	ds_load_2addr_b64 v[4:7], v93 offset0:32 offset1:48
	ds_load_2addr_b64 v[8:11], v93 offset0:64 offset1:80
	;; [unrolled: 1-line block ×7, first 2 shown]
	ds_load_2addr_b64 v[32:35], v97 offset1:16
	ds_load_2addr_b64 v[36:39], v97 offset0:32 offset1:48
	ds_load_2addr_b64 v[40:43], v97 offset0:64 offset1:80
	ds_load_2addr_b64 v[44:47], v97 offset0:96 offset1:112
	ds_load_2addr_b64 v[48:51], v97 offset0:128 offset1:144
	ds_load_2addr_b64 v[52:55], v97 offset0:160 offset1:176
	ds_load_2addr_b64 v[56:59], v97 offset0:192 offset1:208
	ds_load_2addr_b64 v[60:63], v97 offset0:224 offset1:240
	ds_load_2addr_stride64_b64 v[64:67], v94 offset1:4
	v_dual_mov_b32 v129, 0 :: v_dual_mov_b32 v128, 8
	v_dual_mov_b32 v127, 16 :: v_dual_mov_b32 v126, 24
	;; [unrolled: 1-line block ×5, first 2 shown]
	v_mov_b32_e32 v119, 0x50
	v_mov_b32_e32 v118, 0x58
	;; [unrolled: 1-line block ×22, first 2 shown]
	s_mov_b32 s25, -1
.LBB180_32:                             ;   Parent Loop BB180_26 Depth=1
                                        ; =>  This Inner Loop Header: Depth=2
	scratch_load_b64 v[134:135], v129, off
	s_cmp_eq_u32 s4, 1
	s_waitcnt lgkmcnt(16)
	v_max_f64 v[132:133], v[0:1], v[0:1]
	s_cselect_b32 vcc_lo, -1, 0
	s_mov_b64 s[4:5], 1
	s_waitcnt lgkmcnt(0)
	v_dual_cndmask_b32 v131, v65, v67 :: v_dual_cndmask_b32 v130, v64, v66
	s_and_b32 vcc_lo, exec_lo, s25
	s_mov_b32 s25, 0
	s_delay_alu instid0(VALU_DEP_1) | instskip(NEXT) | instid1(VALU_DEP_1)
	v_max_f64 v[130:131], v[130:131], v[130:131]
	v_min_f64 v[132:133], v[132:133], v[130:131]
	s_waitcnt vmcnt(0)
	s_delay_alu instid0(VALU_DEP_1) | instskip(SKIP_3) | instid1(VALU_DEP_1)
	v_add_f64 v[132:133], v[134:135], v[132:133]
	scratch_load_b64 v[134:135], v128, off
	scratch_store_b64 v129, v[132:133], off
	v_max_f64 v[132:133], v[2:3], v[2:3]
	v_min_f64 v[132:133], v[132:133], v[130:131]
	s_waitcnt vmcnt(0)
	s_delay_alu instid0(VALU_DEP_1) | instskip(SKIP_3) | instid1(VALU_DEP_1)
	v_add_f64 v[132:133], v[132:133], v[134:135]
	scratch_store_b64 v128, v[132:133], off
	scratch_load_b64 v[132:133], v127, off
	v_max_f64 v[128:129], v[4:5], v[4:5]
	v_min_f64 v[128:129], v[128:129], v[130:131]
	s_waitcnt vmcnt(0)
	s_delay_alu instid0(VALU_DEP_1) | instskip(SKIP_3) | instid1(VALU_DEP_1)
	v_add_f64 v[128:129], v[128:129], v[132:133]
	scratch_load_b64 v[132:133], v126, off
	scratch_store_b64 v127, v[128:129], off
	v_max_f64 v[127:128], v[6:7], v[6:7]
	v_min_f64 v[127:128], v[127:128], v[130:131]
	s_waitcnt vmcnt(0)
	s_delay_alu instid0(VALU_DEP_1) | instskip(SKIP_3) | instid1(VALU_DEP_1)
	v_add_f64 v[127:128], v[127:128], v[132:133]
	scratch_store_b64 v126, v[127:128], off
	scratch_load_b64 v[128:129], v125, off
	v_max_f64 v[126:127], v[8:9], v[8:9]
	v_min_f64 v[126:127], v[126:127], v[130:131]
	s_waitcnt vmcnt(0)
	s_delay_alu instid0(VALU_DEP_1) | instskip(SKIP_4) | instid1(VALU_DEP_1)
	v_add_f64 v[126:127], v[126:127], v[128:129]
	v_mov_b32_e32 v129, 0x100
	scratch_store_b64 v125, v[126:127], off
	scratch_load_b64 v[127:128], v124, off
	v_max_f64 v[125:126], v[10:11], v[10:11]
	v_min_f64 v[125:126], v[125:126], v[130:131]
	s_waitcnt vmcnt(0)
	s_delay_alu instid0(VALU_DEP_1) | instskip(SKIP_4) | instid1(VALU_DEP_1)
	v_add_f64 v[125:126], v[125:126], v[127:128]
	v_mov_b32_e32 v128, 0x108
	;; [unrolled: 8-line block ×27, first 2 shown]
	scratch_store_b64 v99, v[100:101], off
	scratch_load_b64 v[101:102], v98, off
	v_max_f64 v[99:100], v[62:63], v[62:63]
	v_min_f64 v[99:100], v[99:100], v[130:131]
	s_waitcnt vmcnt(0)
	s_delay_alu instid0(VALU_DEP_1)
	v_add_f64 v[99:100], v[99:100], v[101:102]
	v_mov_b32_e32 v102, 0x1d8
	v_mov_b32_e32 v101, 0x1e0
	scratch_store_b64 v98, v[99:100], off
	v_mov_b32_e32 v100, 0x1e8
	v_mov_b32_e32 v99, 0x1f0
	;; [unrolled: 1-line block ×3, first 2 shown]
	s_cbranch_vccnz .LBB180_32
; %bb.33:                               ;   in Loop: Header=BB180_26 Depth=1
	ds_load_2addr_b64 v[0:3], v93 offset0:1 offset1:17
	ds_load_2addr_b64 v[4:7], v93 offset0:33 offset1:49
	;; [unrolled: 1-line block ×12, first 2 shown]
	v_dual_mov_b32 v129, 0 :: v_dual_add_nc_u32 v64, 8, v94
	ds_load_2addr_b64 v[48:51], v97 offset0:129 offset1:145
	ds_load_2addr_b64 v[52:55], v97 offset0:161 offset1:177
	;; [unrolled: 1-line block ×4, first 2 shown]
	ds_load_2addr_stride64_b64 v[64:67], v64 offset1:4
	v_dual_mov_b32 v128, 8 :: v_dual_mov_b32 v127, 16
	v_dual_mov_b32 v126, 24 :: v_dual_mov_b32 v125, 32
	;; [unrolled: 1-line block ×4, first 2 shown]
	v_mov_b32_e32 v120, 0x48
	v_mov_b32_e32 v119, 0x50
	v_mov_b32_e32 v118, 0x58
	v_mov_b32_e32 v117, 0x60
	v_mov_b32_e32 v116, 0x68
	v_mov_b32_e32 v115, 0x70
	v_mov_b32_e32 v114, 0x78
	v_mov_b32_e32 v113, 0x80
	v_mov_b32_e32 v112, 0x88
	v_mov_b32_e32 v111, 0x90
	v_mov_b32_e32 v110, 0x98
	v_mov_b32_e32 v109, 0xa0
	v_mov_b32_e32 v108, 0xa8
	v_mov_b32_e32 v107, 0xb0
	v_mov_b32_e32 v106, 0xb8
	v_mov_b32_e32 v105, 0xc0
	v_mov_b32_e32 v104, 0xc8
	v_mov_b32_e32 v103, 0xd0
	v_mov_b32_e32 v102, 0xd8
	v_mov_b32_e32 v101, 0xe0
	v_mov_b32_e32 v100, 0xe8
	v_mov_b32_e32 v99, 0xf0
	v_mov_b32_e32 v98, 0xf8
	s_mov_b64 s[4:5], 0
	s_mov_b32 s25, -1
.LBB180_34:                             ;   Parent Loop BB180_26 Depth=1
                                        ; =>  This Inner Loop Header: Depth=2
	scratch_load_b64 v[134:135], v129, off
	s_cmp_eq_u32 s4, 1
	s_waitcnt lgkmcnt(16)
	v_max_f64 v[132:133], v[0:1], v[0:1]
	s_cselect_b32 vcc_lo, -1, 0
	s_mov_b64 s[4:5], 1
	s_waitcnt lgkmcnt(0)
	v_dual_cndmask_b32 v131, v65, v67 :: v_dual_cndmask_b32 v130, v64, v66
	s_and_b32 vcc_lo, exec_lo, s25
	s_mov_b32 s25, 0
	s_delay_alu instid0(VALU_DEP_1) | instskip(NEXT) | instid1(VALU_DEP_1)
	v_max_f64 v[130:131], v[130:131], v[130:131]
	v_min_f64 v[132:133], v[132:133], v[130:131]
	s_waitcnt vmcnt(0)
	s_delay_alu instid0(VALU_DEP_1) | instskip(SKIP_3) | instid1(VALU_DEP_1)
	v_add_f64 v[132:133], v[134:135], v[132:133]
	scratch_load_b64 v[134:135], v128, off
	scratch_store_b64 v129, v[132:133], off
	v_max_f64 v[132:133], v[2:3], v[2:3]
	v_min_f64 v[132:133], v[132:133], v[130:131]
	s_waitcnt vmcnt(0)
	s_delay_alu instid0(VALU_DEP_1) | instskip(SKIP_3) | instid1(VALU_DEP_1)
	v_add_f64 v[132:133], v[132:133], v[134:135]
	scratch_store_b64 v128, v[132:133], off
	scratch_load_b64 v[132:133], v127, off
	v_max_f64 v[128:129], v[4:5], v[4:5]
	v_min_f64 v[128:129], v[128:129], v[130:131]
	s_waitcnt vmcnt(0)
	s_delay_alu instid0(VALU_DEP_1) | instskip(SKIP_3) | instid1(VALU_DEP_1)
	v_add_f64 v[128:129], v[128:129], v[132:133]
	scratch_load_b64 v[132:133], v126, off
	scratch_store_b64 v127, v[128:129], off
	v_max_f64 v[127:128], v[6:7], v[6:7]
	v_min_f64 v[127:128], v[127:128], v[130:131]
	s_waitcnt vmcnt(0)
	s_delay_alu instid0(VALU_DEP_1) | instskip(SKIP_3) | instid1(VALU_DEP_1)
	v_add_f64 v[127:128], v[127:128], v[132:133]
	scratch_store_b64 v126, v[127:128], off
	scratch_load_b64 v[128:129], v125, off
	v_max_f64 v[126:127], v[8:9], v[8:9]
	v_min_f64 v[126:127], v[126:127], v[130:131]
	s_waitcnt vmcnt(0)
	s_delay_alu instid0(VALU_DEP_1) | instskip(SKIP_4) | instid1(VALU_DEP_1)
	v_add_f64 v[126:127], v[126:127], v[128:129]
	v_mov_b32_e32 v129, 0x100
	scratch_store_b64 v125, v[126:127], off
	scratch_load_b64 v[127:128], v124, off
	v_max_f64 v[125:126], v[10:11], v[10:11]
	v_min_f64 v[125:126], v[125:126], v[130:131]
	s_waitcnt vmcnt(0)
	s_delay_alu instid0(VALU_DEP_1) | instskip(SKIP_4) | instid1(VALU_DEP_1)
	v_add_f64 v[125:126], v[125:126], v[127:128]
	v_mov_b32_e32 v128, 0x108
	;; [unrolled: 8-line block ×27, first 2 shown]
	scratch_store_b64 v99, v[100:101], off
	scratch_load_b64 v[101:102], v98, off
	v_max_f64 v[99:100], v[62:63], v[62:63]
	v_min_f64 v[99:100], v[99:100], v[130:131]
	s_waitcnt vmcnt(0)
	s_delay_alu instid0(VALU_DEP_1)
	v_add_f64 v[99:100], v[99:100], v[101:102]
	v_mov_b32_e32 v102, 0x1d8
	v_mov_b32_e32 v101, 0x1e0
	scratch_store_b64 v98, v[99:100], off
	v_mov_b32_e32 v100, 0x1e8
	v_mov_b32_e32 v99, 0x1f0
	;; [unrolled: 1-line block ×3, first 2 shown]
	s_cbranch_vccnz .LBB180_34
; %bb.35:                               ;   in Loop: Header=BB180_26 Depth=1
	ds_load_2addr_b64 v[0:3], v93 offset0:2 offset1:18
	ds_load_2addr_b64 v[4:7], v93 offset0:34 offset1:50
	;; [unrolled: 1-line block ×12, first 2 shown]
	v_dual_mov_b32 v129, 0 :: v_dual_add_nc_u32 v64, 16, v94
	ds_load_2addr_b64 v[48:51], v97 offset0:130 offset1:146
	ds_load_2addr_b64 v[52:55], v97 offset0:162 offset1:178
	;; [unrolled: 1-line block ×4, first 2 shown]
	ds_load_2addr_stride64_b64 v[64:67], v64 offset1:4
	v_dual_mov_b32 v128, 8 :: v_dual_mov_b32 v127, 16
	v_dual_mov_b32 v126, 24 :: v_dual_mov_b32 v125, 32
	;; [unrolled: 1-line block ×4, first 2 shown]
	v_mov_b32_e32 v120, 0x48
	v_mov_b32_e32 v119, 0x50
	v_mov_b32_e32 v118, 0x58
	v_mov_b32_e32 v117, 0x60
	v_mov_b32_e32 v116, 0x68
	v_mov_b32_e32 v115, 0x70
	v_mov_b32_e32 v114, 0x78
	v_mov_b32_e32 v113, 0x80
	v_mov_b32_e32 v112, 0x88
	v_mov_b32_e32 v111, 0x90
	v_mov_b32_e32 v110, 0x98
	v_mov_b32_e32 v109, 0xa0
	v_mov_b32_e32 v108, 0xa8
	v_mov_b32_e32 v107, 0xb0
	v_mov_b32_e32 v106, 0xb8
	v_mov_b32_e32 v105, 0xc0
	v_mov_b32_e32 v104, 0xc8
	v_mov_b32_e32 v103, 0xd0
	v_mov_b32_e32 v102, 0xd8
	v_mov_b32_e32 v101, 0xe0
	v_mov_b32_e32 v100, 0xe8
	v_mov_b32_e32 v99, 0xf0
	v_mov_b32_e32 v98, 0xf8
	s_mov_b64 s[4:5], 0
	s_mov_b32 s25, -1
.LBB180_36:                             ;   Parent Loop BB180_26 Depth=1
                                        ; =>  This Inner Loop Header: Depth=2
	scratch_load_b64 v[134:135], v129, off
	s_cmp_eq_u32 s4, 1
	s_waitcnt lgkmcnt(16)
	v_max_f64 v[132:133], v[0:1], v[0:1]
	s_cselect_b32 vcc_lo, -1, 0
	s_mov_b64 s[4:5], 1
	s_waitcnt lgkmcnt(0)
	v_dual_cndmask_b32 v131, v65, v67 :: v_dual_cndmask_b32 v130, v64, v66
	s_and_b32 vcc_lo, exec_lo, s25
	s_mov_b32 s25, 0
	s_delay_alu instid0(VALU_DEP_1) | instskip(NEXT) | instid1(VALU_DEP_1)
	v_max_f64 v[130:131], v[130:131], v[130:131]
	v_min_f64 v[132:133], v[132:133], v[130:131]
	s_waitcnt vmcnt(0)
	s_delay_alu instid0(VALU_DEP_1) | instskip(SKIP_3) | instid1(VALU_DEP_1)
	v_add_f64 v[132:133], v[134:135], v[132:133]
	scratch_load_b64 v[134:135], v128, off
	scratch_store_b64 v129, v[132:133], off
	v_max_f64 v[132:133], v[2:3], v[2:3]
	v_min_f64 v[132:133], v[132:133], v[130:131]
	s_waitcnt vmcnt(0)
	s_delay_alu instid0(VALU_DEP_1) | instskip(SKIP_3) | instid1(VALU_DEP_1)
	v_add_f64 v[132:133], v[132:133], v[134:135]
	scratch_store_b64 v128, v[132:133], off
	scratch_load_b64 v[132:133], v127, off
	v_max_f64 v[128:129], v[4:5], v[4:5]
	v_min_f64 v[128:129], v[128:129], v[130:131]
	s_waitcnt vmcnt(0)
	s_delay_alu instid0(VALU_DEP_1) | instskip(SKIP_3) | instid1(VALU_DEP_1)
	v_add_f64 v[128:129], v[128:129], v[132:133]
	scratch_load_b64 v[132:133], v126, off
	scratch_store_b64 v127, v[128:129], off
	v_max_f64 v[127:128], v[6:7], v[6:7]
	v_min_f64 v[127:128], v[127:128], v[130:131]
	s_waitcnt vmcnt(0)
	s_delay_alu instid0(VALU_DEP_1) | instskip(SKIP_3) | instid1(VALU_DEP_1)
	v_add_f64 v[127:128], v[127:128], v[132:133]
	scratch_store_b64 v126, v[127:128], off
	scratch_load_b64 v[128:129], v125, off
	v_max_f64 v[126:127], v[8:9], v[8:9]
	v_min_f64 v[126:127], v[126:127], v[130:131]
	s_waitcnt vmcnt(0)
	s_delay_alu instid0(VALU_DEP_1) | instskip(SKIP_4) | instid1(VALU_DEP_1)
	v_add_f64 v[126:127], v[126:127], v[128:129]
	v_mov_b32_e32 v129, 0x100
	scratch_store_b64 v125, v[126:127], off
	scratch_load_b64 v[127:128], v124, off
	v_max_f64 v[125:126], v[10:11], v[10:11]
	v_min_f64 v[125:126], v[125:126], v[130:131]
	s_waitcnt vmcnt(0)
	s_delay_alu instid0(VALU_DEP_1) | instskip(SKIP_4) | instid1(VALU_DEP_1)
	v_add_f64 v[125:126], v[125:126], v[127:128]
	v_mov_b32_e32 v128, 0x108
	;; [unrolled: 8-line block ×27, first 2 shown]
	scratch_store_b64 v99, v[100:101], off
	scratch_load_b64 v[101:102], v98, off
	v_max_f64 v[99:100], v[62:63], v[62:63]
	v_min_f64 v[99:100], v[99:100], v[130:131]
	s_waitcnt vmcnt(0)
	s_delay_alu instid0(VALU_DEP_1)
	v_add_f64 v[99:100], v[99:100], v[101:102]
	v_mov_b32_e32 v102, 0x1d8
	v_mov_b32_e32 v101, 0x1e0
	scratch_store_b64 v98, v[99:100], off
	v_mov_b32_e32 v100, 0x1e8
	v_mov_b32_e32 v99, 0x1f0
	v_mov_b32_e32 v98, 0x1f8
	s_cbranch_vccnz .LBB180_36
; %bb.37:                               ;   in Loop: Header=BB180_26 Depth=1
	ds_load_2addr_b64 v[0:3], v93 offset0:3 offset1:19
	ds_load_2addr_b64 v[4:7], v93 offset0:35 offset1:51
	;; [unrolled: 1-line block ×12, first 2 shown]
	v_dual_mov_b32 v129, 0 :: v_dual_add_nc_u32 v64, 24, v94
	ds_load_2addr_b64 v[48:51], v97 offset0:131 offset1:147
	ds_load_2addr_b64 v[52:55], v97 offset0:163 offset1:179
	;; [unrolled: 1-line block ×4, first 2 shown]
	ds_load_2addr_stride64_b64 v[64:67], v64 offset1:4
	v_dual_mov_b32 v128, 8 :: v_dual_mov_b32 v127, 16
	v_dual_mov_b32 v126, 24 :: v_dual_mov_b32 v125, 32
	;; [unrolled: 1-line block ×4, first 2 shown]
	v_mov_b32_e32 v120, 0x48
	v_mov_b32_e32 v119, 0x50
	;; [unrolled: 1-line block ×23, first 2 shown]
	s_mov_b64 s[4:5], 0
	s_mov_b32 s25, -1
.LBB180_38:                             ;   Parent Loop BB180_26 Depth=1
                                        ; =>  This Inner Loop Header: Depth=2
	scratch_load_b64 v[134:135], v129, off
	s_cmp_eq_u32 s4, 1
	s_waitcnt lgkmcnt(16)
	v_max_f64 v[132:133], v[0:1], v[0:1]
	s_cselect_b32 vcc_lo, -1, 0
	s_mov_b64 s[4:5], 1
	s_waitcnt lgkmcnt(0)
	v_dual_cndmask_b32 v131, v65, v67 :: v_dual_cndmask_b32 v130, v64, v66
	s_and_b32 vcc_lo, exec_lo, s25
	s_mov_b32 s25, 0
	s_delay_alu instid0(VALU_DEP_1) | instskip(NEXT) | instid1(VALU_DEP_1)
	v_max_f64 v[130:131], v[130:131], v[130:131]
	v_min_f64 v[132:133], v[132:133], v[130:131]
	s_waitcnt vmcnt(0)
	s_delay_alu instid0(VALU_DEP_1) | instskip(SKIP_3) | instid1(VALU_DEP_1)
	v_add_f64 v[132:133], v[134:135], v[132:133]
	scratch_load_b64 v[134:135], v128, off
	scratch_store_b64 v129, v[132:133], off
	v_max_f64 v[132:133], v[2:3], v[2:3]
	v_min_f64 v[132:133], v[132:133], v[130:131]
	s_waitcnt vmcnt(0)
	s_delay_alu instid0(VALU_DEP_1) | instskip(SKIP_3) | instid1(VALU_DEP_1)
	v_add_f64 v[132:133], v[132:133], v[134:135]
	scratch_store_b64 v128, v[132:133], off
	scratch_load_b64 v[132:133], v127, off
	v_max_f64 v[128:129], v[4:5], v[4:5]
	v_min_f64 v[128:129], v[128:129], v[130:131]
	s_waitcnt vmcnt(0)
	s_delay_alu instid0(VALU_DEP_1) | instskip(SKIP_3) | instid1(VALU_DEP_1)
	v_add_f64 v[128:129], v[128:129], v[132:133]
	scratch_load_b64 v[132:133], v126, off
	scratch_store_b64 v127, v[128:129], off
	v_max_f64 v[127:128], v[6:7], v[6:7]
	v_min_f64 v[127:128], v[127:128], v[130:131]
	s_waitcnt vmcnt(0)
	s_delay_alu instid0(VALU_DEP_1) | instskip(SKIP_3) | instid1(VALU_DEP_1)
	v_add_f64 v[127:128], v[127:128], v[132:133]
	scratch_store_b64 v126, v[127:128], off
	scratch_load_b64 v[128:129], v125, off
	v_max_f64 v[126:127], v[8:9], v[8:9]
	v_min_f64 v[126:127], v[126:127], v[130:131]
	s_waitcnt vmcnt(0)
	s_delay_alu instid0(VALU_DEP_1) | instskip(SKIP_4) | instid1(VALU_DEP_1)
	v_add_f64 v[126:127], v[126:127], v[128:129]
	v_mov_b32_e32 v129, 0x100
	scratch_store_b64 v125, v[126:127], off
	scratch_load_b64 v[127:128], v124, off
	v_max_f64 v[125:126], v[10:11], v[10:11]
	v_min_f64 v[125:126], v[125:126], v[130:131]
	s_waitcnt vmcnt(0)
	s_delay_alu instid0(VALU_DEP_1) | instskip(SKIP_4) | instid1(VALU_DEP_1)
	v_add_f64 v[125:126], v[125:126], v[127:128]
	v_mov_b32_e32 v128, 0x108
	;; [unrolled: 8-line block ×27, first 2 shown]
	scratch_store_b64 v99, v[100:101], off
	scratch_load_b64 v[101:102], v98, off
	v_max_f64 v[99:100], v[62:63], v[62:63]
	v_min_f64 v[99:100], v[99:100], v[130:131]
	s_waitcnt vmcnt(0)
	s_delay_alu instid0(VALU_DEP_1)
	v_add_f64 v[99:100], v[99:100], v[101:102]
	v_mov_b32_e32 v102, 0x1d8
	v_mov_b32_e32 v101, 0x1e0
	scratch_store_b64 v98, v[99:100], off
	v_mov_b32_e32 v100, 0x1e8
	v_mov_b32_e32 v99, 0x1f0
	v_mov_b32_e32 v98, 0x1f8
	s_cbranch_vccnz .LBB180_38
; %bb.39:                               ;   in Loop: Header=BB180_26 Depth=1
	s_mov_b32 vcc_lo, s3
	ds_store_2addr_stride64_b64 v87, v[73:74], v[75:76] offset1:4
	ds_store_2addr_stride64_b64 v88, v[77:78], v[79:80] offset1:4
	s_waitcnt lgkmcnt(0)
	s_waitcnt_vscnt null, 0x0
	s_barrier
	buffer_gl0_inv
	s_cbranch_vccz .LBB180_42
; %bb.40:                               ;   in Loop: Header=BB180_26 Depth=1
	v_add_nc_u32_e32 v4, s24, v85
	s_delay_alu instid0(VALU_DEP_1) | instskip(NEXT) | instid1(VALU_DEP_1)
	v_mad_u64_u32 v[0:1], null, v4, s16, 0
	v_mad_u64_u32 v[2:3], null, v4, s17, v[1:2]
	s_delay_alu instid0(VALU_DEP_1) | instskip(NEXT) | instid1(VALU_DEP_1)
	v_mov_b32_e32 v1, v2
	v_lshlrev_b64 v[0:1], 3, v[0:1]
	s_delay_alu instid0(VALU_DEP_1) | instskip(NEXT) | instid1(VALU_DEP_2)
	v_add_co_u32 v0, vcc_lo, v95, v0
	v_add_co_ci_u32_e32 v1, vcc_lo, v96, v1, vcc_lo
	s_clause 0x1
	flat_load_b64 v[2:3], v[0:1]
	flat_load_b64 v[0:1], v[0:1] offset:512
	s_waitcnt vmcnt(1) lgkmcnt(1)
	v_mul_f64 v[73:74], s[20:21], v[2:3]
	s_waitcnt vmcnt(0) lgkmcnt(0)
	v_mul_f64 v[75:76], s[20:21], v[0:1]
	s_and_b32 vcc_lo, exec_lo, s2
	s_mov_b64 s[4:5], 0
	s_cbranch_vccnz .LBB180_43
.LBB180_41:                             ;   in Loop: Header=BB180_26 Depth=1
	v_or_b32_e32 v67, s24, v84
	s_delay_alu instid0(VALU_DEP_1) | instskip(NEXT) | instid1(VALU_DEP_1)
	v_lshlrev_b64 v[0:1], 3, v[67:68]
	v_add_co_u32 v2, vcc_lo, s18, v0
	s_delay_alu instid0(VALU_DEP_2) | instskip(NEXT) | instid1(VALU_DEP_2)
	v_add_co_ci_u32_e32 v3, vcc_lo, s19, v1, vcc_lo
	v_add_co_u32 v0, vcc_lo, v2, v69
	s_delay_alu instid0(VALU_DEP_2)
	v_add_co_ci_u32_e32 v1, vcc_lo, v3, v70, vcc_lo
	v_add_co_u32 v2, vcc_lo, v2, v71
	v_add_co_ci_u32_e32 v3, vcc_lo, v3, v72, vcc_lo
	s_clause 0x1
	flat_load_b64 v[0:1], v[0:1] offset:32
	flat_load_b64 v[2:3], v[2:3] offset:32
	s_waitcnt vmcnt(1) lgkmcnt(1)
	v_mul_f64 v[77:78], s[20:21], v[0:1]
	s_waitcnt vmcnt(0) lgkmcnt(0)
	v_mul_f64 v[79:80], s[20:21], v[2:3]
	s_branch .LBB180_44
.LBB180_42:                             ;   in Loop: Header=BB180_26 Depth=1
	v_mov_b32_e32 v73, 0
	v_dual_mov_b32 v74, 0 :: v_dual_mov_b32 v75, 0
	v_mov_b32_e32 v76, 0
	s_and_b32 vcc_lo, exec_lo, s2
	s_mov_b64 s[4:5], 0
	s_cbranch_vccz .LBB180_41
.LBB180_43:                             ;   in Loop: Header=BB180_26 Depth=1
	v_mov_b32_e32 v77, 0
	v_dual_mov_b32 v78, 0 :: v_dual_mov_b32 v79, 0
	v_mov_b32_e32 v80, 0
.LBB180_44:                             ;   in Loop: Header=BB180_26 Depth=1
	v_dual_mov_b32 v129, 8 :: v_dual_add_nc_u32 v98, 0x800, v86
	ds_load_2addr_b64 v[0:3], v86 offset1:16
	ds_load_2addr_b64 v[4:7], v86 offset0:32 offset1:48
	ds_load_2addr_b64 v[8:11], v86 offset0:64 offset1:80
	;; [unrolled: 1-line block ×7, first 2 shown]
	ds_load_2addr_b64 v[32:35], v98 offset1:16
	ds_load_2addr_b64 v[36:39], v98 offset0:32 offset1:48
	ds_load_2addr_b64 v[40:43], v98 offset0:64 offset1:80
	;; [unrolled: 1-line block ×7, first 2 shown]
	ds_load_2addr_stride64_b64 v[64:67], v90 offset1:4
	v_dual_mov_b32 v130, 0 :: v_dual_mov_b32 v127, 24
	v_dual_mov_b32 v128, 16 :: v_dual_mov_b32 v125, 40
	;; [unrolled: 1-line block ×5, first 2 shown]
	v_mov_b32_e32 v120, 0x50
	v_mov_b32_e32 v118, 0x60
	;; [unrolled: 1-line block ×21, first 2 shown]
	s_mov_b32 s25, -1
.LBB180_45:                             ;   Parent Loop BB180_26 Depth=1
                                        ; =>  This Inner Loop Header: Depth=2
	scratch_load_b64 v[135:136], v130, off
	s_cmp_eq_u32 s4, 1
	s_waitcnt lgkmcnt(16)
	v_max_f64 v[133:134], v[0:1], v[0:1]
	s_cselect_b32 vcc_lo, -1, 0
	s_mov_b64 s[4:5], 1
	s_waitcnt lgkmcnt(0)
	v_dual_cndmask_b32 v132, v65, v67 :: v_dual_cndmask_b32 v131, v64, v66
	s_and_b32 vcc_lo, exec_lo, s25
	s_mov_b32 s25, 0
	s_delay_alu instid0(VALU_DEP_1) | instskip(NEXT) | instid1(VALU_DEP_1)
	v_max_f64 v[131:132], v[131:132], v[131:132]
	v_min_f64 v[133:134], v[133:134], v[131:132]
	s_waitcnt vmcnt(0)
	s_delay_alu instid0(VALU_DEP_1) | instskip(SKIP_3) | instid1(VALU_DEP_1)
	v_add_f64 v[133:134], v[135:136], v[133:134]
	scratch_load_b64 v[135:136], v129, off
	scratch_store_b64 v130, v[133:134], off
	v_max_f64 v[133:134], v[2:3], v[2:3]
	v_min_f64 v[133:134], v[133:134], v[131:132]
	s_waitcnt vmcnt(0)
	s_delay_alu instid0(VALU_DEP_1) | instskip(SKIP_3) | instid1(VALU_DEP_1)
	v_add_f64 v[133:134], v[133:134], v[135:136]
	scratch_store_b64 v129, v[133:134], off
	scratch_load_b64 v[133:134], v128, off
	v_max_f64 v[129:130], v[4:5], v[4:5]
	v_min_f64 v[129:130], v[129:130], v[131:132]
	s_waitcnt vmcnt(0)
	s_delay_alu instid0(VALU_DEP_1) | instskip(SKIP_3) | instid1(VALU_DEP_1)
	v_add_f64 v[129:130], v[129:130], v[133:134]
	scratch_load_b64 v[133:134], v127, off
	scratch_store_b64 v128, v[129:130], off
	v_max_f64 v[128:129], v[6:7], v[6:7]
	v_min_f64 v[128:129], v[128:129], v[131:132]
	s_waitcnt vmcnt(0)
	s_delay_alu instid0(VALU_DEP_1) | instskip(SKIP_3) | instid1(VALU_DEP_1)
	v_add_f64 v[128:129], v[128:129], v[133:134]
	scratch_store_b64 v127, v[128:129], off
	scratch_load_b64 v[129:130], v126, off
	v_max_f64 v[127:128], v[8:9], v[8:9]
	v_min_f64 v[127:128], v[127:128], v[131:132]
	s_waitcnt vmcnt(0)
	s_delay_alu instid0(VALU_DEP_1) | instskip(SKIP_4) | instid1(VALU_DEP_1)
	v_add_f64 v[127:128], v[127:128], v[129:130]
	v_mov_b32_e32 v130, 0x100
	scratch_store_b64 v126, v[127:128], off
	scratch_load_b64 v[128:129], v125, off
	v_max_f64 v[126:127], v[10:11], v[10:11]
	v_min_f64 v[126:127], v[126:127], v[131:132]
	s_waitcnt vmcnt(0)
	s_delay_alu instid0(VALU_DEP_1) | instskip(SKIP_4) | instid1(VALU_DEP_1)
	v_add_f64 v[126:127], v[126:127], v[128:129]
	v_mov_b32_e32 v129, 0x108
	;; [unrolled: 8-line block ×27, first 2 shown]
	scratch_store_b64 v100, v[101:102], off
	scratch_load_b64 v[102:103], v99, off
	v_max_f64 v[100:101], v[62:63], v[62:63]
	v_min_f64 v[100:101], v[100:101], v[131:132]
	s_waitcnt vmcnt(0)
	s_delay_alu instid0(VALU_DEP_1)
	v_add_f64 v[100:101], v[100:101], v[102:103]
	v_mov_b32_e32 v103, 0x1d8
	v_mov_b32_e32 v102, 0x1e0
	scratch_store_b64 v99, v[100:101], off
	v_mov_b32_e32 v101, 0x1e8
	v_mov_b32_e32 v100, 0x1f0
	;; [unrolled: 1-line block ×3, first 2 shown]
	s_cbranch_vccnz .LBB180_45
; %bb.46:                               ;   in Loop: Header=BB180_26 Depth=1
	ds_load_2addr_b64 v[0:3], v86 offset0:1 offset1:17
	ds_load_2addr_b64 v[4:7], v86 offset0:33 offset1:49
	;; [unrolled: 1-line block ×12, first 2 shown]
	v_dual_mov_b32 v129, 8 :: v_dual_add_nc_u32 v64, 8, v90
	ds_load_2addr_b64 v[48:51], v98 offset0:129 offset1:145
	ds_load_2addr_b64 v[52:55], v98 offset0:161 offset1:177
	;; [unrolled: 1-line block ×4, first 2 shown]
	ds_load_2addr_stride64_b64 v[64:67], v64 offset1:4
	v_dual_mov_b32 v130, 0 :: v_dual_mov_b32 v127, 24
	v_dual_mov_b32 v128, 16 :: v_dual_mov_b32 v125, 40
	;; [unrolled: 1-line block ×5, first 2 shown]
	v_mov_b32_e32 v120, 0x50
	v_mov_b32_e32 v118, 0x60
	v_mov_b32_e32 v117, 0x68
	v_mov_b32_e32 v116, 0x70
	v_mov_b32_e32 v115, 0x78
	v_mov_b32_e32 v114, 0x80
	v_mov_b32_e32 v113, 0x88
	v_mov_b32_e32 v112, 0x90
	v_mov_b32_e32 v111, 0x98
	v_mov_b32_e32 v110, 0xa0
	v_mov_b32_e32 v109, 0xa8
	v_mov_b32_e32 v108, 0xb0
	v_mov_b32_e32 v107, 0xb8
	v_mov_b32_e32 v106, 0xc0
	v_mov_b32_e32 v105, 0xc8
	v_mov_b32_e32 v104, 0xd0
	v_mov_b32_e32 v103, 0xd8
	v_mov_b32_e32 v102, 0xe0
	v_mov_b32_e32 v101, 0xe8
	v_mov_b32_e32 v100, 0xf0
	v_mov_b32_e32 v99, 0xf8
	s_mov_b64 s[4:5], 0
	s_mov_b32 s25, -1
.LBB180_47:                             ;   Parent Loop BB180_26 Depth=1
                                        ; =>  This Inner Loop Header: Depth=2
	scratch_load_b64 v[135:136], v130, off
	s_cmp_eq_u32 s4, 1
	s_waitcnt lgkmcnt(16)
	v_max_f64 v[133:134], v[0:1], v[0:1]
	s_cselect_b32 vcc_lo, -1, 0
	s_mov_b64 s[4:5], 1
	s_waitcnt lgkmcnt(0)
	v_dual_cndmask_b32 v132, v65, v67 :: v_dual_cndmask_b32 v131, v64, v66
	s_and_b32 vcc_lo, exec_lo, s25
	s_mov_b32 s25, 0
	s_delay_alu instid0(VALU_DEP_1) | instskip(NEXT) | instid1(VALU_DEP_1)
	v_max_f64 v[131:132], v[131:132], v[131:132]
	v_min_f64 v[133:134], v[133:134], v[131:132]
	s_waitcnt vmcnt(0)
	s_delay_alu instid0(VALU_DEP_1) | instskip(SKIP_3) | instid1(VALU_DEP_1)
	v_add_f64 v[133:134], v[135:136], v[133:134]
	scratch_load_b64 v[135:136], v129, off
	scratch_store_b64 v130, v[133:134], off
	v_max_f64 v[133:134], v[2:3], v[2:3]
	v_min_f64 v[133:134], v[133:134], v[131:132]
	s_waitcnt vmcnt(0)
	s_delay_alu instid0(VALU_DEP_1) | instskip(SKIP_3) | instid1(VALU_DEP_1)
	v_add_f64 v[133:134], v[133:134], v[135:136]
	scratch_store_b64 v129, v[133:134], off
	scratch_load_b64 v[133:134], v128, off
	v_max_f64 v[129:130], v[4:5], v[4:5]
	v_min_f64 v[129:130], v[129:130], v[131:132]
	s_waitcnt vmcnt(0)
	s_delay_alu instid0(VALU_DEP_1) | instskip(SKIP_3) | instid1(VALU_DEP_1)
	v_add_f64 v[129:130], v[129:130], v[133:134]
	scratch_load_b64 v[133:134], v127, off
	scratch_store_b64 v128, v[129:130], off
	v_max_f64 v[128:129], v[6:7], v[6:7]
	v_min_f64 v[128:129], v[128:129], v[131:132]
	s_waitcnt vmcnt(0)
	s_delay_alu instid0(VALU_DEP_1) | instskip(SKIP_3) | instid1(VALU_DEP_1)
	v_add_f64 v[128:129], v[128:129], v[133:134]
	scratch_store_b64 v127, v[128:129], off
	scratch_load_b64 v[129:130], v126, off
	v_max_f64 v[127:128], v[8:9], v[8:9]
	v_min_f64 v[127:128], v[127:128], v[131:132]
	s_waitcnt vmcnt(0)
	s_delay_alu instid0(VALU_DEP_1) | instskip(SKIP_4) | instid1(VALU_DEP_1)
	v_add_f64 v[127:128], v[127:128], v[129:130]
	v_mov_b32_e32 v130, 0x100
	scratch_store_b64 v126, v[127:128], off
	scratch_load_b64 v[128:129], v125, off
	v_max_f64 v[126:127], v[10:11], v[10:11]
	v_min_f64 v[126:127], v[126:127], v[131:132]
	s_waitcnt vmcnt(0)
	s_delay_alu instid0(VALU_DEP_1) | instskip(SKIP_4) | instid1(VALU_DEP_1)
	v_add_f64 v[126:127], v[126:127], v[128:129]
	v_mov_b32_e32 v129, 0x108
	;; [unrolled: 8-line block ×27, first 2 shown]
	scratch_store_b64 v100, v[101:102], off
	scratch_load_b64 v[102:103], v99, off
	v_max_f64 v[100:101], v[62:63], v[62:63]
	v_min_f64 v[100:101], v[100:101], v[131:132]
	s_waitcnt vmcnt(0)
	s_delay_alu instid0(VALU_DEP_1)
	v_add_f64 v[100:101], v[100:101], v[102:103]
	v_mov_b32_e32 v103, 0x1d8
	v_mov_b32_e32 v102, 0x1e0
	scratch_store_b64 v99, v[100:101], off
	v_mov_b32_e32 v101, 0x1e8
	v_mov_b32_e32 v100, 0x1f0
	v_mov_b32_e32 v99, 0x1f8
	s_cbranch_vccnz .LBB180_47
; %bb.48:                               ;   in Loop: Header=BB180_26 Depth=1
	ds_load_2addr_b64 v[0:3], v86 offset0:2 offset1:18
	ds_load_2addr_b64 v[4:7], v86 offset0:34 offset1:50
	;; [unrolled: 1-line block ×12, first 2 shown]
	v_dual_mov_b32 v129, 8 :: v_dual_add_nc_u32 v64, 16, v90
	ds_load_2addr_b64 v[48:51], v98 offset0:130 offset1:146
	ds_load_2addr_b64 v[52:55], v98 offset0:162 offset1:178
	;; [unrolled: 1-line block ×4, first 2 shown]
	ds_load_2addr_stride64_b64 v[64:67], v64 offset1:4
	v_dual_mov_b32 v130, 0 :: v_dual_mov_b32 v127, 24
	v_dual_mov_b32 v128, 16 :: v_dual_mov_b32 v125, 40
	;; [unrolled: 1-line block ×5, first 2 shown]
	v_mov_b32_e32 v120, 0x50
	v_mov_b32_e32 v118, 0x60
	;; [unrolled: 1-line block ×21, first 2 shown]
	s_mov_b64 s[4:5], 0
	s_mov_b32 s25, -1
.LBB180_49:                             ;   Parent Loop BB180_26 Depth=1
                                        ; =>  This Inner Loop Header: Depth=2
	scratch_load_b64 v[135:136], v130, off
	s_cmp_eq_u32 s4, 1
	s_waitcnt lgkmcnt(16)
	v_max_f64 v[133:134], v[0:1], v[0:1]
	s_cselect_b32 vcc_lo, -1, 0
	s_mov_b64 s[4:5], 1
	s_waitcnt lgkmcnt(0)
	v_dual_cndmask_b32 v132, v65, v67 :: v_dual_cndmask_b32 v131, v64, v66
	s_and_b32 vcc_lo, exec_lo, s25
	s_mov_b32 s25, 0
	s_delay_alu instid0(VALU_DEP_1) | instskip(NEXT) | instid1(VALU_DEP_1)
	v_max_f64 v[131:132], v[131:132], v[131:132]
	v_min_f64 v[133:134], v[133:134], v[131:132]
	s_waitcnt vmcnt(0)
	s_delay_alu instid0(VALU_DEP_1) | instskip(SKIP_3) | instid1(VALU_DEP_1)
	v_add_f64 v[133:134], v[135:136], v[133:134]
	scratch_load_b64 v[135:136], v129, off
	scratch_store_b64 v130, v[133:134], off
	v_max_f64 v[133:134], v[2:3], v[2:3]
	v_min_f64 v[133:134], v[133:134], v[131:132]
	s_waitcnt vmcnt(0)
	s_delay_alu instid0(VALU_DEP_1) | instskip(SKIP_3) | instid1(VALU_DEP_1)
	v_add_f64 v[133:134], v[133:134], v[135:136]
	scratch_store_b64 v129, v[133:134], off
	scratch_load_b64 v[133:134], v128, off
	v_max_f64 v[129:130], v[4:5], v[4:5]
	v_min_f64 v[129:130], v[129:130], v[131:132]
	s_waitcnt vmcnt(0)
	s_delay_alu instid0(VALU_DEP_1) | instskip(SKIP_3) | instid1(VALU_DEP_1)
	v_add_f64 v[129:130], v[129:130], v[133:134]
	scratch_load_b64 v[133:134], v127, off
	scratch_store_b64 v128, v[129:130], off
	v_max_f64 v[128:129], v[6:7], v[6:7]
	v_min_f64 v[128:129], v[128:129], v[131:132]
	s_waitcnt vmcnt(0)
	s_delay_alu instid0(VALU_DEP_1) | instskip(SKIP_3) | instid1(VALU_DEP_1)
	v_add_f64 v[128:129], v[128:129], v[133:134]
	scratch_store_b64 v127, v[128:129], off
	scratch_load_b64 v[129:130], v126, off
	v_max_f64 v[127:128], v[8:9], v[8:9]
	v_min_f64 v[127:128], v[127:128], v[131:132]
	s_waitcnt vmcnt(0)
	s_delay_alu instid0(VALU_DEP_1) | instskip(SKIP_4) | instid1(VALU_DEP_1)
	v_add_f64 v[127:128], v[127:128], v[129:130]
	v_mov_b32_e32 v130, 0x100
	scratch_store_b64 v126, v[127:128], off
	scratch_load_b64 v[128:129], v125, off
	v_max_f64 v[126:127], v[10:11], v[10:11]
	v_min_f64 v[126:127], v[126:127], v[131:132]
	s_waitcnt vmcnt(0)
	s_delay_alu instid0(VALU_DEP_1) | instskip(SKIP_4) | instid1(VALU_DEP_1)
	v_add_f64 v[126:127], v[126:127], v[128:129]
	v_mov_b32_e32 v129, 0x108
	;; [unrolled: 8-line block ×27, first 2 shown]
	scratch_store_b64 v100, v[101:102], off
	scratch_load_b64 v[102:103], v99, off
	v_max_f64 v[100:101], v[62:63], v[62:63]
	v_min_f64 v[100:101], v[100:101], v[131:132]
	s_waitcnt vmcnt(0)
	s_delay_alu instid0(VALU_DEP_1)
	v_add_f64 v[100:101], v[100:101], v[102:103]
	v_mov_b32_e32 v103, 0x1d8
	v_mov_b32_e32 v102, 0x1e0
	scratch_store_b64 v99, v[100:101], off
	v_mov_b32_e32 v101, 0x1e8
	v_mov_b32_e32 v100, 0x1f0
	v_mov_b32_e32 v99, 0x1f8
	s_cbranch_vccnz .LBB180_49
; %bb.50:                               ;   in Loop: Header=BB180_26 Depth=1
	ds_load_2addr_b64 v[0:3], v86 offset0:3 offset1:19
	ds_load_2addr_b64 v[4:7], v86 offset0:35 offset1:51
	;; [unrolled: 1-line block ×12, first 2 shown]
	v_dual_mov_b32 v129, 0 :: v_dual_add_nc_u32 v64, 24, v90
	ds_load_2addr_b64 v[48:51], v98 offset0:131 offset1:147
	ds_load_2addr_b64 v[52:55], v98 offset0:163 offset1:179
	;; [unrolled: 1-line block ×4, first 2 shown]
	ds_load_2addr_stride64_b64 v[64:67], v64 offset1:4
	v_dual_mov_b32 v128, 8 :: v_dual_mov_b32 v127, 16
	v_dual_mov_b32 v126, 24 :: v_dual_mov_b32 v125, 32
	v_dual_mov_b32 v124, 40 :: v_dual_mov_b32 v123, 48
	v_dual_mov_b32 v122, 56 :: v_dual_mov_b32 v121, 64
	v_mov_b32_e32 v120, 0x48
	v_mov_b32_e32 v119, 0x50
	;; [unrolled: 1-line block ×23, first 2 shown]
	s_mov_b64 s[4:5], 0
	s_mov_b32 s25, -1
.LBB180_51:                             ;   Parent Loop BB180_26 Depth=1
                                        ; =>  This Inner Loop Header: Depth=2
	scratch_load_b64 v[134:135], v129, off
	s_cmp_eq_u32 s4, 1
	s_waitcnt lgkmcnt(16)
	v_max_f64 v[132:133], v[0:1], v[0:1]
	s_cselect_b32 vcc_lo, -1, 0
	s_mov_b64 s[4:5], 1
	s_waitcnt lgkmcnt(0)
	v_dual_cndmask_b32 v131, v65, v67 :: v_dual_cndmask_b32 v130, v64, v66
	s_and_b32 vcc_lo, exec_lo, s25
	s_mov_b32 s25, 0
	s_delay_alu instid0(VALU_DEP_1) | instskip(NEXT) | instid1(VALU_DEP_1)
	v_max_f64 v[130:131], v[130:131], v[130:131]
	v_min_f64 v[132:133], v[132:133], v[130:131]
	s_waitcnt vmcnt(0)
	s_delay_alu instid0(VALU_DEP_1) | instskip(SKIP_3) | instid1(VALU_DEP_1)
	v_add_f64 v[132:133], v[134:135], v[132:133]
	scratch_load_b64 v[134:135], v128, off
	scratch_store_b64 v129, v[132:133], off
	v_max_f64 v[132:133], v[2:3], v[2:3]
	v_min_f64 v[132:133], v[132:133], v[130:131]
	s_waitcnt vmcnt(0)
	s_delay_alu instid0(VALU_DEP_1) | instskip(SKIP_3) | instid1(VALU_DEP_1)
	v_add_f64 v[132:133], v[132:133], v[134:135]
	scratch_store_b64 v128, v[132:133], off
	scratch_load_b64 v[132:133], v127, off
	v_max_f64 v[128:129], v[4:5], v[4:5]
	v_min_f64 v[128:129], v[128:129], v[130:131]
	s_waitcnt vmcnt(0)
	s_delay_alu instid0(VALU_DEP_1) | instskip(SKIP_3) | instid1(VALU_DEP_1)
	v_add_f64 v[128:129], v[128:129], v[132:133]
	scratch_load_b64 v[132:133], v126, off
	scratch_store_b64 v127, v[128:129], off
	v_max_f64 v[127:128], v[6:7], v[6:7]
	v_min_f64 v[127:128], v[127:128], v[130:131]
	s_waitcnt vmcnt(0)
	s_delay_alu instid0(VALU_DEP_1) | instskip(SKIP_3) | instid1(VALU_DEP_1)
	v_add_f64 v[127:128], v[127:128], v[132:133]
	scratch_store_b64 v126, v[127:128], off
	scratch_load_b64 v[128:129], v125, off
	v_max_f64 v[126:127], v[8:9], v[8:9]
	v_min_f64 v[126:127], v[126:127], v[130:131]
	s_waitcnt vmcnt(0)
	s_delay_alu instid0(VALU_DEP_1) | instskip(SKIP_4) | instid1(VALU_DEP_1)
	v_add_f64 v[126:127], v[126:127], v[128:129]
	v_mov_b32_e32 v129, 0x100
	scratch_store_b64 v125, v[126:127], off
	scratch_load_b64 v[127:128], v124, off
	v_max_f64 v[125:126], v[10:11], v[10:11]
	v_min_f64 v[125:126], v[125:126], v[130:131]
	s_waitcnt vmcnt(0)
	s_delay_alu instid0(VALU_DEP_1) | instskip(SKIP_4) | instid1(VALU_DEP_1)
	v_add_f64 v[125:126], v[125:126], v[127:128]
	v_mov_b32_e32 v128, 0x108
	;; [unrolled: 8-line block ×27, first 2 shown]
	scratch_store_b64 v99, v[100:101], off
	scratch_load_b64 v[101:102], v98, off
	v_max_f64 v[99:100], v[62:63], v[62:63]
	v_min_f64 v[99:100], v[99:100], v[130:131]
	s_waitcnt vmcnt(0)
	s_delay_alu instid0(VALU_DEP_1)
	v_add_f64 v[99:100], v[99:100], v[101:102]
	v_mov_b32_e32 v102, 0x1d8
	v_mov_b32_e32 v101, 0x1e0
	scratch_store_b64 v98, v[99:100], off
	v_mov_b32_e32 v100, 0x1e8
	v_mov_b32_e32 v99, 0x1f0
	;; [unrolled: 1-line block ×3, first 2 shown]
	s_cbranch_vccnz .LBB180_51
; %bb.52:                               ;   in Loop: Header=BB180_26 Depth=1
	s_add_i32 s23, s23, 8
	s_add_i32 s24, s24, 8
	s_cmp_ge_i32 s23, s22
	ds_store_2addr_stride64_b64 v91, v[73:74], v[75:76] offset1:4
	ds_store_2addr_stride64_b64 v92, v[77:78], v[79:80] offset1:4
	s_waitcnt lgkmcnt(0)
	s_waitcnt_vscnt null, 0x0
	s_barrier
	buffer_gl0_inv
	s_cbranch_scc0 .LBB180_26
.LBB180_53:
	v_dual_mov_b32 v71, 8 :: v_dual_add_nc_u32 v28, 0x1000, v86
	v_dual_mov_b32 v75, 40 :: v_dual_add_nc_u32 v60, 0x1800, v86
	;; [unrolled: 1-line block ×3, first 2 shown]
	ds_load_2addr_b64 v[0:3], v28 offset1:16
	ds_load_2addr_b64 v[4:7], v28 offset0:32 offset1:48
	ds_load_2addr_b64 v[8:11], v28 offset0:64 offset1:80
	;; [unrolled: 1-line block ×7, first 2 shown]
	ds_load_2addr_b64 v[32:35], v60 offset1:16
	ds_load_2addr_b64 v[36:39], v60 offset0:32 offset1:48
	ds_load_2addr_b64 v[40:43], v60 offset0:64 offset1:80
	ds_load_2addr_b64 v[44:47], v60 offset0:96 offset1:112
	ds_load_2addr_b64 v[48:51], v60 offset0:128 offset1:144
	ds_load_2addr_b64 v[52:55], v60 offset0:160 offset1:176
	ds_load_2addr_b64 v[56:59], v60 offset0:192 offset1:208
	ds_load_2addr_b64 v[60:63], v60 offset0:224 offset1:240
	ds_load_2addr_stride64_b64 v[64:67], v89 offset0:24 offset1:28
	v_dual_mov_b32 v70, 0 :: v_dual_add_nc_u32 v69, 0x3000, v89
	v_dual_mov_b32 v72, 16 :: v_dual_mov_b32 v77, 56
	v_dual_mov_b32 v74, 32 :: v_dual_mov_b32 v79, 0x48
	;; [unrolled: 1-line block ×4, first 2 shown]
	v_mov_b32_e32 v80, 0x50
	v_mov_b32_e32 v84, 0x60
	;; [unrolled: 1-line block ×20, first 2 shown]
	s_mov_b64 s[2:3], 0
	s_mov_b32 s4, -1
.LBB180_54:                             ; =>This Inner Loop Header: Depth=1
	scratch_load_b64 v[104:105], v70, off
	scratch_load_b64 v[106:107], v71, off
	;; [unrolled: 1-line block ×32, first 2 shown]
	s_cmp_eq_u32 s2, 1
	s_waitcnt lgkmcnt(16)
	v_max_f64 v[170:171], v[0:1], v[0:1]
	s_cselect_b32 vcc_lo, -1, 0
	v_max_f64 v[172:173], v[2:3], v[2:3]
	s_waitcnt lgkmcnt(0)
	v_dual_cndmask_b32 v169, v65, v67 :: v_dual_cndmask_b32 v168, v64, v66
	v_max_f64 v[174:175], v[4:5], v[4:5]
	v_max_f64 v[176:177], v[6:7], v[6:7]
	v_max_f64 v[178:179], v[8:9], v[8:9]
	v_max_f64 v[180:181], v[10:11], v[10:11]
	v_max_f64 v[168:169], v[168:169], v[168:169]
	v_max_f64 v[182:183], v[12:13], v[12:13]
	v_max_f64 v[184:185], v[14:15], v[14:15]
	v_max_f64 v[186:187], v[16:17], v[16:17]
	v_max_f64 v[188:189], v[18:19], v[18:19]
	v_max_f64 v[190:191], v[20:21], v[20:21]
	v_max_f64 v[192:193], v[22:23], v[22:23]
	v_max_f64 v[194:195], v[24:25], v[24:25]
	v_max_f64 v[196:197], v[26:27], v[26:27]
	v_max_f64 v[198:199], v[28:29], v[28:29]
	v_max_f64 v[200:201], v[30:31], v[30:31]
	v_max_f64 v[202:203], v[32:33], v[32:33]
	v_max_f64 v[204:205], v[34:35], v[34:35]
	v_max_f64 v[206:207], v[36:37], v[36:37]
	v_max_f64 v[208:209], v[38:39], v[38:39]
	v_max_f64 v[210:211], v[40:41], v[40:41]
	v_max_f64 v[212:213], v[42:43], v[42:43]
	v_max_f64 v[214:215], v[44:45], v[44:45]
	v_max_f64 v[216:217], v[46:47], v[46:47]
	v_max_f64 v[218:219], v[48:49], v[48:49]
	v_max_f64 v[220:221], v[50:51], v[50:51]
	v_max_f64 v[222:223], v[52:53], v[52:53]
	v_max_f64 v[224:225], v[54:55], v[54:55]
	v_max_f64 v[226:227], v[56:57], v[56:57]
	v_max_f64 v[228:229], v[58:59], v[58:59]
	v_max_f64 v[230:231], v[60:61], v[60:61]
	v_max_f64 v[232:233], v[62:63], v[62:63]
	s_mov_b64 s[2:3], 1
	s_and_b32 vcc_lo, exec_lo, s4
	s_mov_b32 s4, 0
	v_min_f64 v[170:171], v[170:171], v[168:169]
	v_min_f64 v[172:173], v[172:173], v[168:169]
	;; [unrolled: 1-line block ×32, first 2 shown]
	s_waitcnt vmcnt(31)
	v_add_f64 v[104:105], v[104:105], v[170:171]
	s_waitcnt vmcnt(30)
	v_add_f64 v[106:107], v[172:173], v[106:107]
	;; [unrolled: 2-line block ×32, first 2 shown]
	scratch_store_b64 v70, v[104:105], off
	scratch_store_b64 v71, v[106:107], off
	;; [unrolled: 1-line block ×32, first 2 shown]
	v_mov_b32_e32 v70, 0x100
	v_mov_b32_e32 v71, 0x108
	;; [unrolled: 1-line block ×32, first 2 shown]
	s_cbranch_vccnz .LBB180_54
; %bb.55:
	v_dual_mov_b32 v71, 8 :: v_dual_add_nc_u32 v60, 0x800, v68
	ds_load_2addr_b64 v[0:3], v68 offset0:1 offset1:17
	ds_load_2addr_b64 v[4:7], v68 offset0:33 offset1:49
	;; [unrolled: 1-line block ×12, first 2 shown]
	v_dual_mov_b32 v73, 24 :: v_dual_add_nc_u32 v64, 8, v69
	ds_load_2addr_b64 v[48:51], v60 offset0:129 offset1:145
	ds_load_2addr_b64 v[52:55], v60 offset0:161 offset1:177
	;; [unrolled: 1-line block ×4, first 2 shown]
	ds_load_2addr_stride64_b64 v[64:67], v64 offset1:4
	v_dual_mov_b32 v70, 0 :: v_dual_mov_b32 v75, 40
	v_dual_mov_b32 v72, 16 :: v_dual_mov_b32 v77, 56
	;; [unrolled: 1-line block ×5, first 2 shown]
	v_mov_b32_e32 v80, 0x50
	v_mov_b32_e32 v84, 0x60
	;; [unrolled: 1-line block ×20, first 2 shown]
	s_mov_b64 s[2:3], 0
	s_mov_b32 s4, -1
.LBB180_56:                             ; =>This Inner Loop Header: Depth=1
	scratch_load_b64 v[104:105], v70, off
	scratch_load_b64 v[106:107], v71, off
	;; [unrolled: 1-line block ×32, first 2 shown]
	s_cmp_eq_u32 s2, 1
	s_waitcnt lgkmcnt(16)
	v_max_f64 v[170:171], v[0:1], v[0:1]
	s_cselect_b32 vcc_lo, -1, 0
	v_max_f64 v[172:173], v[2:3], v[2:3]
	s_waitcnt lgkmcnt(0)
	v_dual_cndmask_b32 v169, v65, v67 :: v_dual_cndmask_b32 v168, v64, v66
	v_max_f64 v[174:175], v[4:5], v[4:5]
	v_max_f64 v[176:177], v[6:7], v[6:7]
	;; [unrolled: 1-line block ×31, first 2 shown]
	s_mov_b64 s[2:3], 1
	s_and_b32 vcc_lo, exec_lo, s4
	s_mov_b32 s4, 0
	v_min_f64 v[170:171], v[170:171], v[168:169]
	v_min_f64 v[172:173], v[172:173], v[168:169]
	;; [unrolled: 1-line block ×32, first 2 shown]
	s_waitcnt vmcnt(31)
	v_add_f64 v[104:105], v[104:105], v[170:171]
	s_waitcnt vmcnt(30)
	v_add_f64 v[106:107], v[172:173], v[106:107]
	;; [unrolled: 2-line block ×32, first 2 shown]
	scratch_store_b64 v70, v[104:105], off
	scratch_store_b64 v71, v[106:107], off
	;; [unrolled: 1-line block ×32, first 2 shown]
	v_mov_b32_e32 v70, 0x100
	v_mov_b32_e32 v71, 0x108
	;; [unrolled: 1-line block ×32, first 2 shown]
	s_cbranch_vccnz .LBB180_56
; %bb.57:
	v_dual_mov_b32 v71, 8 :: v_dual_add_nc_u32 v60, 0x800, v68
	ds_load_2addr_b64 v[0:3], v68 offset0:2 offset1:18
	ds_load_2addr_b64 v[4:7], v68 offset0:34 offset1:50
	;; [unrolled: 1-line block ×12, first 2 shown]
	v_dual_mov_b32 v73, 24 :: v_dual_add_nc_u32 v64, 16, v69
	ds_load_2addr_b64 v[48:51], v60 offset0:130 offset1:146
	ds_load_2addr_b64 v[52:55], v60 offset0:162 offset1:178
	;; [unrolled: 1-line block ×4, first 2 shown]
	ds_load_2addr_stride64_b64 v[64:67], v64 offset1:4
	v_dual_mov_b32 v70, 0 :: v_dual_mov_b32 v75, 40
	v_dual_mov_b32 v72, 16 :: v_dual_mov_b32 v77, 56
	;; [unrolled: 1-line block ×5, first 2 shown]
	v_mov_b32_e32 v80, 0x50
	v_mov_b32_e32 v84, 0x60
	;; [unrolled: 1-line block ×20, first 2 shown]
	s_mov_b64 s[2:3], 0
	s_mov_b32 s4, -1
.LBB180_58:                             ; =>This Inner Loop Header: Depth=1
	scratch_load_b64 v[104:105], v70, off
	scratch_load_b64 v[106:107], v71, off
	;; [unrolled: 1-line block ×32, first 2 shown]
	s_cmp_eq_u32 s2, 1
	s_waitcnt lgkmcnt(16)
	v_max_f64 v[170:171], v[0:1], v[0:1]
	s_cselect_b32 vcc_lo, -1, 0
	v_max_f64 v[172:173], v[2:3], v[2:3]
	s_waitcnt lgkmcnt(0)
	v_dual_cndmask_b32 v169, v65, v67 :: v_dual_cndmask_b32 v168, v64, v66
	v_max_f64 v[174:175], v[4:5], v[4:5]
	v_max_f64 v[176:177], v[6:7], v[6:7]
	;; [unrolled: 1-line block ×31, first 2 shown]
	s_mov_b64 s[2:3], 1
	s_and_b32 vcc_lo, exec_lo, s4
	s_mov_b32 s4, 0
	v_min_f64 v[170:171], v[170:171], v[168:169]
	v_min_f64 v[172:173], v[172:173], v[168:169]
	;; [unrolled: 1-line block ×32, first 2 shown]
	s_waitcnt vmcnt(31)
	v_add_f64 v[104:105], v[104:105], v[170:171]
	s_waitcnt vmcnt(30)
	v_add_f64 v[106:107], v[172:173], v[106:107]
	;; [unrolled: 2-line block ×32, first 2 shown]
	scratch_store_b64 v70, v[104:105], off
	scratch_store_b64 v71, v[106:107], off
	;; [unrolled: 1-line block ×32, first 2 shown]
	v_mov_b32_e32 v70, 0x100
	v_mov_b32_e32 v71, 0x108
	;; [unrolled: 1-line block ×32, first 2 shown]
	s_cbranch_vccnz .LBB180_58
; %bb.59:
	v_add_nc_u32_e32 v60, 0x800, v68
	ds_load_2addr_b64 v[0:3], v68 offset0:3 offset1:19
	ds_load_2addr_b64 v[4:7], v68 offset0:35 offset1:51
	;; [unrolled: 1-line block ×4, first 2 shown]
	v_dual_mov_b32 v71, 24 :: v_dual_add_nc_u32 v64, 24, v69
	v_mov_b32_e32 v69, 8
	ds_load_2addr_b64 v[16:19], v68 offset0:131 offset1:147
	ds_load_2addr_b64 v[20:23], v68 offset0:163 offset1:179
	;; [unrolled: 1-line block ×12, first 2 shown]
	ds_load_2addr_stride64_b64 v[64:67], v64 offset1:4
	v_dual_mov_b32 v68, 0 :: v_dual_mov_b32 v73, 40
	v_dual_mov_b32 v70, 16 :: v_dual_mov_b32 v75, 56
	;; [unrolled: 1-line block ×5, first 2 shown]
	v_mov_b32_e32 v78, 0x50
	v_mov_b32_e32 v80, 0x60
	;; [unrolled: 1-line block ×20, first 2 shown]
	s_mov_b64 s[2:3], 0
	s_mov_b32 s4, -1
.LBB180_60:                             ; =>This Inner Loop Header: Depth=1
	scratch_load_b64 v[102:103], v68, off
	scratch_load_b64 v[104:105], v69, off
	;; [unrolled: 1-line block ×32, first 2 shown]
	s_cmp_eq_u32 s2, 1
	s_waitcnt lgkmcnt(16)
	v_max_f64 v[168:169], v[0:1], v[0:1]
	s_cselect_b32 vcc_lo, -1, 0
	v_max_f64 v[170:171], v[2:3], v[2:3]
	s_waitcnt lgkmcnt(0)
	v_dual_cndmask_b32 v167, v65, v67 :: v_dual_cndmask_b32 v166, v64, v66
	v_max_f64 v[172:173], v[4:5], v[4:5]
	v_max_f64 v[174:175], v[6:7], v[6:7]
	;; [unrolled: 1-line block ×31, first 2 shown]
	s_mov_b64 s[2:3], 1
	s_and_b32 vcc_lo, exec_lo, s4
	s_mov_b32 s4, 0
	v_min_f64 v[168:169], v[168:169], v[166:167]
	v_min_f64 v[170:171], v[170:171], v[166:167]
	;; [unrolled: 1-line block ×32, first 2 shown]
	s_waitcnt vmcnt(31)
	v_add_f64 v[102:103], v[102:103], v[168:169]
	s_waitcnt vmcnt(30)
	v_add_f64 v[104:105], v[170:171], v[104:105]
	;; [unrolled: 2-line block ×32, first 2 shown]
	scratch_store_b64 v68, v[102:103], off
	scratch_store_b64 v69, v[104:105], off
	;; [unrolled: 1-line block ×32, first 2 shown]
	v_mov_b32_e32 v68, 0x100
	v_mov_b32_e32 v69, 0x108
	;; [unrolled: 1-line block ×32, first 2 shown]
	s_cbranch_vccnz .LBB180_60
; %bb.61:
	scratch_load_b64 v[2:3], off, off
	s_load_b32 s3, s[0:1], 0x58
	v_dual_mov_b32 v4, 0 :: v_dual_add_nc_u32 v71, s14, v82
	v_dual_mov_b32 v5, 0 :: v_dual_add_nc_u32 v12, s13, v81
	v_mov_b32_e32 v8, 0
	v_mov_b32_e32 v9, 0
	s_and_b32 s2, exec_lo, s15
	s_delay_alu instid0(VALU_DEP_3) | instskip(SKIP_2) | instid1(VALU_DEP_1)
	v_ashrrev_i32_e32 v13, 31, v12
	s_waitcnt lgkmcnt(0)
	v_mad_i64_i32 v[0:1], null, v71, s3, 0
	v_lshlrev_b64 v[0:1], 3, v[0:1]
	s_delay_alu instid0(VALU_DEP_1) | instskip(NEXT) | instid1(VALU_DEP_2)
	v_add_co_u32 v72, vcc_lo, s10, v0
	v_add_co_ci_u32_e32 v73, vcc_lo, s11, v1, vcc_lo
	v_lshlrev_b64 v[0:1], 3, v[12:13]
	s_mov_b32 vcc_lo, s2
	s_cbranch_vccz .LBB180_63
; %bb.62:
	s_delay_alu instid0(VALU_DEP_1) | instskip(NEXT) | instid1(VALU_DEP_2)
	v_add_co_u32 v6, vcc_lo, v72, v0
	v_add_co_ci_u32_e32 v7, vcc_lo, v73, v1, vcc_lo
	flat_load_b64 v[6:7], v[6:7]
	s_waitcnt vmcnt(0) lgkmcnt(0)
	v_mul_f64 v[8:9], s[8:9], v[6:7]
.LBB180_63:
	scratch_load_b64 v[6:7], off, off offset:8
	s_clause 0x1
	s_load_b32 s4, s[0:1], 0x70
	s_load_b64 s[0:1], s[0:1], 0x78
	s_waitcnt vmcnt(1)
	v_add_f64 v[8:9], v[2:3], v[8:9]
	v_add_nc_u32_e32 v10, 4, v12
	v_cndmask_b32_e64 v13, 0, 1, s15
	s_delay_alu instid0(VALU_DEP_2)
	v_ashrrev_i32_e32 v11, 31, v10
	s_waitcnt lgkmcnt(0)
	v_mad_i64_i32 v[2:3], null, v71, s4, 0
	s_mul_i32 s1, s12, s1
	s_mul_hi_u32 s5, s12, s0
	s_mul_i32 s0, s12, s0
	s_add_i32 s1, s5, s1
	s_delay_alu instid0(SALU_CYCLE_1) | instskip(NEXT) | instid1(VALU_DEP_1)
	s_lshl_b64 s[12:13], s[0:1], 3
	v_lshlrev_b64 v[2:3], 3, v[2:3]
	s_add_u32 s1, s6, s12
	s_addc_u32 s5, s7, s13
	v_cmp_ne_u32_e64 s0, 1, v13
	s_delay_alu instid0(VALU_DEP_2) | instskip(NEXT) | instid1(VALU_DEP_3)
	v_add_co_u32 v74, vcc_lo, s1, v2
	v_add_co_ci_u32_e32 v75, vcc_lo, s5, v3, vcc_lo
	v_lshlrev_b64 v[2:3], 3, v[10:11]
	s_delay_alu instid0(VALU_DEP_3) | instskip(NEXT) | instid1(VALU_DEP_3)
	v_add_co_u32 v13, vcc_lo, v74, v0
	v_add_co_ci_u32_e32 v14, vcc_lo, v75, v1, vcc_lo
	s_and_not1_b32 vcc_lo, exec_lo, s15
	global_store_b64 v[13:14], v[8:9], off
	s_cbranch_vccnz .LBB180_65
; %bb.64:
	v_add_co_u32 v4, vcc_lo, v72, v2
	v_add_co_ci_u32_e32 v5, vcc_lo, v73, v3, vcc_lo
	flat_load_b64 v[4:5], v[4:5]
	s_waitcnt vmcnt(0) lgkmcnt(0)
	v_mul_f64 v[4:5], s[8:9], v[4:5]
.LBB180_65:
	scratch_load_b64 v[10:11], off, off offset:16
	s_waitcnt vmcnt(1)
	v_add_f64 v[13:14], v[6:7], v[4:5]
	v_add_nc_u32_e32 v4, 8, v12
	v_mov_b32_e32 v8, 0
	v_mov_b32_e32 v9, 0
	v_add_co_u32 v15, vcc_lo, v74, v2
	s_delay_alu instid0(VALU_DEP_4) | instskip(SKIP_3) | instid1(VALU_DEP_4)
	v_ashrrev_i32_e32 v5, 31, v4
	v_mov_b32_e32 v6, 0
	v_mov_b32_e32 v7, 0
	v_add_co_ci_u32_e32 v16, vcc_lo, v75, v3, vcc_lo
	v_lshlrev_b64 v[4:5], 3, v[4:5]
	s_and_b32 vcc_lo, exec_lo, s0
	global_store_b64 v[15:16], v[13:14], off
	s_cbranch_vccnz .LBB180_67
; %bb.66:
	v_add_co_u32 v6, vcc_lo, v72, v4
	v_add_co_ci_u32_e32 v7, vcc_lo, v73, v5, vcc_lo
	flat_load_b64 v[6:7], v[6:7]
	s_waitcnt vmcnt(0) lgkmcnt(0)
	v_mul_f64 v[6:7], s[8:9], v[6:7]
.LBB180_67:
	scratch_load_b64 v[13:14], off, off offset:24
	s_waitcnt vmcnt(1)
	v_add_f64 v[10:11], v[10:11], v[6:7]
	v_add_nc_u32_e32 v6, 12, v12
	v_add_co_u32 v15, vcc_lo, v74, v4
	v_add_co_ci_u32_e32 v16, vcc_lo, v75, v5, vcc_lo
	s_delay_alu instid0(VALU_DEP_3) | instskip(SKIP_1) | instid1(VALU_DEP_1)
	v_ashrrev_i32_e32 v7, 31, v6
	s_and_b32 vcc_lo, exec_lo, s0
	v_lshlrev_b64 v[6:7], 3, v[6:7]
	global_store_b64 v[15:16], v[10:11], off
	s_cbranch_vccnz .LBB180_69
; %bb.68:
	v_add_co_u32 v8, vcc_lo, v72, v6
	v_add_co_ci_u32_e32 v9, vcc_lo, v73, v7, vcc_lo
	flat_load_b64 v[8:9], v[8:9]
	s_waitcnt vmcnt(0) lgkmcnt(0)
	v_mul_f64 v[8:9], s[8:9], v[8:9]
.LBB180_69:
	scratch_load_b64 v[10:11], off, off offset:32
	s_waitcnt vmcnt(1)
	v_add_f64 v[17:18], v[13:14], v[8:9]
	v_dual_mov_b32 v13, 0 :: v_dual_add_nc_u32 v8, 16, v12
	v_add_co_u32 v19, vcc_lo, v74, v6
	v_dual_mov_b32 v14, 0 :: v_dual_mov_b32 v15, 0
	s_delay_alu instid0(VALU_DEP_3) | instskip(SKIP_3) | instid1(VALU_DEP_3)
	v_ashrrev_i32_e32 v9, 31, v8
	v_add_co_ci_u32_e32 v20, vcc_lo, v75, v7, vcc_lo
	v_mov_b32_e32 v16, 0
	s_and_b32 vcc_lo, exec_lo, s0
	v_lshlrev_b64 v[8:9], 3, v[8:9]
	global_store_b64 v[19:20], v[17:18], off
	s_cbranch_vccnz .LBB180_71
; %bb.70:
	v_add_co_u32 v15, vcc_lo, v72, v8
	v_add_co_ci_u32_e32 v16, vcc_lo, v73, v9, vcc_lo
	flat_load_b64 v[15:16], v[15:16]
	s_waitcnt vmcnt(0) lgkmcnt(0)
	v_mul_f64 v[15:16], s[8:9], v[15:16]
.LBB180_71:
	scratch_load_b64 v[17:18], off, off offset:40
	s_waitcnt vmcnt(1)
	v_add_f64 v[15:16], v[10:11], v[15:16]
	v_add_nc_u32_e32 v10, 20, v12
	v_add_co_u32 v19, vcc_lo, v74, v8
	v_add_co_ci_u32_e32 v20, vcc_lo, v75, v9, vcc_lo
	s_delay_alu instid0(VALU_DEP_3) | instskip(SKIP_1) | instid1(VALU_DEP_1)
	v_ashrrev_i32_e32 v11, 31, v10
	s_and_b32 vcc_lo, exec_lo, s0
	v_lshlrev_b64 v[10:11], 3, v[10:11]
	global_store_b64 v[19:20], v[15:16], off
	s_cbranch_vccnz .LBB180_73
; %bb.72:
	v_add_co_u32 v13, vcc_lo, v72, v10
	v_add_co_ci_u32_e32 v14, vcc_lo, v73, v11, vcc_lo
	flat_load_b64 v[13:14], v[13:14]
	s_waitcnt vmcnt(0) lgkmcnt(0)
	v_mul_f64 v[13:14], s[8:9], v[13:14]
.LBB180_73:
	scratch_load_b64 v[15:16], off, off offset:48
	s_waitcnt vmcnt(1)
	v_add_f64 v[21:22], v[17:18], v[13:14]
	v_add_nc_u32_e32 v13, 24, v12
	v_mov_b32_e32 v17, 0
	v_mov_b32_e32 v18, 0
	v_add_co_u32 v23, vcc_lo, v74, v10
	s_delay_alu instid0(VALU_DEP_4) | instskip(SKIP_3) | instid1(VALU_DEP_4)
	v_ashrrev_i32_e32 v14, 31, v13
	v_mov_b32_e32 v19, 0
	v_mov_b32_e32 v20, 0
	v_add_co_ci_u32_e32 v24, vcc_lo, v75, v11, vcc_lo
	v_lshlrev_b64 v[13:14], 3, v[13:14]
	s_and_b32 vcc_lo, exec_lo, s0
	global_store_b64 v[23:24], v[21:22], off
	s_cbranch_vccnz .LBB180_75
; %bb.74:
	v_add_co_u32 v19, vcc_lo, v72, v13
	v_add_co_ci_u32_e32 v20, vcc_lo, v73, v14, vcc_lo
	flat_load_b64 v[19:20], v[19:20]
	s_waitcnt vmcnt(0) lgkmcnt(0)
	v_mul_f64 v[19:20], s[8:9], v[19:20]
.LBB180_75:
	scratch_load_b64 v[21:22], off, off offset:56
	s_waitcnt vmcnt(1)
	v_add_f64 v[19:20], v[15:16], v[19:20]
	v_add_nc_u32_e32 v15, 28, v12
	v_add_co_u32 v23, vcc_lo, v74, v13
	v_add_co_ci_u32_e32 v24, vcc_lo, v75, v14, vcc_lo
	s_delay_alu instid0(VALU_DEP_3) | instskip(SKIP_1) | instid1(VALU_DEP_1)
	v_ashrrev_i32_e32 v16, 31, v15
	s_and_b32 vcc_lo, exec_lo, s0
	v_lshlrev_b64 v[15:16], 3, v[15:16]
	global_store_b64 v[23:24], v[19:20], off
	s_cbranch_vccnz .LBB180_77
; %bb.76:
	v_add_co_u32 v17, vcc_lo, v72, v15
	v_add_co_ci_u32_e32 v18, vcc_lo, v73, v16, vcc_lo
	flat_load_b64 v[17:18], v[17:18]
	s_waitcnt vmcnt(0) lgkmcnt(0)
	v_mul_f64 v[17:18], s[8:9], v[17:18]
.LBB180_77:
	scratch_load_b64 v[19:20], off, off offset:64
	s_waitcnt vmcnt(1)
	v_add_f64 v[25:26], v[21:22], v[17:18]
	v_add_nc_u32_e32 v17, 32, v12
	v_mov_b32_e32 v21, 0
	v_mov_b32_e32 v22, 0
	v_add_co_u32 v27, vcc_lo, v74, v15
	s_delay_alu instid0(VALU_DEP_4) | instskip(SKIP_3) | instid1(VALU_DEP_4)
	v_ashrrev_i32_e32 v18, 31, v17
	v_mov_b32_e32 v23, 0
	v_mov_b32_e32 v24, 0
	v_add_co_ci_u32_e32 v28, vcc_lo, v75, v16, vcc_lo
	v_lshlrev_b64 v[17:18], 3, v[17:18]
	s_and_b32 vcc_lo, exec_lo, s0
	;; [unrolled: 42-line block ×13, first 2 shown]
	global_store_b64 v[76:77], v[67:68], off
	s_cbranch_vccnz .LBB180_123
; %bb.122:
	v_add_co_u32 v67, vcc_lo, v72, v61
	v_add_co_ci_u32_e32 v68, vcc_lo, v73, v62, vcc_lo
	flat_load_b64 v[67:68], v[67:68]
	s_waitcnt vmcnt(0) lgkmcnt(0)
	v_mul_f64 v[69:70], s[8:9], v[67:68]
.LBB180_123:
	scratch_load_b64 v[67:68], off, off offset:248
	s_waitcnt vmcnt(1)
	v_add_f64 v[69:70], v[63:64], v[69:70]
	v_add_nc_u32_e32 v63, 0x7c, v12
	v_add_co_u32 v76, vcc_lo, v74, v61
	v_add_co_ci_u32_e32 v77, vcc_lo, v75, v62, vcc_lo
	s_delay_alu instid0(VALU_DEP_3) | instskip(SKIP_1) | instid1(VALU_DEP_1)
	v_ashrrev_i32_e32 v64, 31, v63
	s_and_b32 vcc_lo, exec_lo, s0
	v_lshlrev_b64 v[63:64], 3, v[63:64]
	global_store_b64 v[76:77], v[69:70], off
	s_cbranch_vccnz .LBB180_125
; %bb.124:
	v_add_co_u32 v65, vcc_lo, v72, v63
	v_add_co_ci_u32_e32 v66, vcc_lo, v73, v64, vcc_lo
	flat_load_b64 v[65:66], v[65:66]
	s_waitcnt vmcnt(0) lgkmcnt(0)
	v_mul_f64 v[65:66], s[8:9], v[65:66]
.LBB180_125:
	scratch_load_b64 v[69:70], off, off offset:256
	s_waitcnt vmcnt(1)
	v_add_f64 v[67:68], v[67:68], v[65:66]
	v_add_nc_u32_e32 v76, 64, v71
	v_add_co_u32 v74, vcc_lo, v74, v63
	v_add_co_ci_u32_e32 v75, vcc_lo, v75, v64, vcc_lo
	s_delay_alu instid0(VALU_DEP_3) | instskip(SKIP_2) | instid1(VALU_DEP_3)
	v_mad_i64_i32 v[65:66], null, v76, s3, 0
	v_mov_b32_e32 v71, 0
	v_mov_b32_e32 v72, 0
	v_lshlrev_b64 v[77:78], 3, v[65:66]
	v_mov_b32_e32 v65, 0
	v_mov_b32_e32 v66, 0
	s_delay_alu instid0(VALU_DEP_3) | instskip(NEXT) | instid1(VALU_DEP_4)
	v_add_co_u32 v12, vcc_lo, s10, v77
	v_add_co_ci_u32_e32 v73, vcc_lo, s11, v78, vcc_lo
	s_mov_b32 vcc_lo, s2
	global_store_b64 v[74:75], v[67:68], off
	s_cbranch_vccz .LBB180_127
; %bb.126:
	v_add_co_u32 v67, vcc_lo, v12, v0
	v_add_co_ci_u32_e32 v68, vcc_lo, v73, v1, vcc_lo
	flat_load_b64 v[67:68], v[67:68]
	s_waitcnt vmcnt(0) lgkmcnt(0)
	v_mul_f64 v[71:72], s[8:9], v[67:68]
.LBB180_127:
	scratch_load_b64 v[67:68], off, off offset:264
	s_waitcnt vmcnt(1)
	v_add_f64 v[69:70], v[69:70], v[71:72]
	v_mad_i64_i32 v[71:72], null, v76, s4, 0
	s_delay_alu instid0(VALU_DEP_1) | instskip(NEXT) | instid1(VALU_DEP_1)
	v_lshlrev_b64 v[71:72], 3, v[71:72]
	v_add_co_u32 v71, vcc_lo, s1, v71
	s_delay_alu instid0(VALU_DEP_2) | instskip(NEXT) | instid1(VALU_DEP_2)
	v_add_co_ci_u32_e32 v72, vcc_lo, s5, v72, vcc_lo
	v_add_co_u32 v0, vcc_lo, v71, v0
	s_delay_alu instid0(VALU_DEP_2)
	v_add_co_ci_u32_e32 v1, vcc_lo, v72, v1, vcc_lo
	s_and_b32 vcc_lo, exec_lo, s0
	global_store_b64 v[0:1], v[69:70], off
	s_cbranch_vccnz .LBB180_129
; %bb.128:
	v_add_co_u32 v0, vcc_lo, v12, v2
	v_add_co_ci_u32_e32 v1, vcc_lo, v73, v3, vcc_lo
	flat_load_b64 v[0:1], v[0:1]
	s_waitcnt vmcnt(0) lgkmcnt(0)
	v_mul_f64 v[65:66], s[8:9], v[0:1]
.LBB180_129:
	scratch_load_b64 v[69:70], off, off offset:272
	s_waitcnt vmcnt(1)
	v_add_f64 v[65:66], v[67:68], v[65:66]
	v_add_co_u32 v67, vcc_lo, v71, v2
	v_mov_b32_e32 v0, 0
	v_add_co_ci_u32_e32 v68, vcc_lo, v72, v3, vcc_lo
	v_dual_mov_b32 v1, 0 :: v_dual_mov_b32 v2, 0
	v_mov_b32_e32 v3, 0
	s_and_b32 vcc_lo, exec_lo, s0
	global_store_b64 v[67:68], v[65:66], off
	s_cbranch_vccnz .LBB180_131
; %bb.130:
	v_add_co_u32 v2, vcc_lo, v12, v4
	v_add_co_ci_u32_e32 v3, vcc_lo, v73, v5, vcc_lo
	flat_load_b64 v[2:3], v[2:3]
	s_waitcnt vmcnt(0) lgkmcnt(0)
	v_mul_f64 v[2:3], s[8:9], v[2:3]
.LBB180_131:
	scratch_load_b64 v[65:66], off, off offset:280
	s_waitcnt vmcnt(1)
	v_add_f64 v[2:3], v[69:70], v[2:3]
	v_add_co_u32 v4, vcc_lo, v71, v4
	v_add_co_ci_u32_e32 v5, vcc_lo, v72, v5, vcc_lo
	s_and_b32 vcc_lo, exec_lo, s0
	global_store_b64 v[4:5], v[2:3], off
	s_cbranch_vccnz .LBB180_133
; %bb.132:
	v_add_co_u32 v0, vcc_lo, v12, v6
	v_add_co_ci_u32_e32 v1, vcc_lo, v73, v7, vcc_lo
	flat_load_b64 v[0:1], v[0:1]
	s_waitcnt vmcnt(0) lgkmcnt(0)
	v_mul_f64 v[0:1], s[8:9], v[0:1]
.LBB180_133:
	scratch_load_b64 v[2:3], off, off offset:288
	s_waitcnt vmcnt(1)
	v_add_f64 v[4:5], v[65:66], v[0:1]
	v_add_co_u32 v65, vcc_lo, v71, v6
	v_mov_b32_e32 v0, 0
	v_add_co_ci_u32_e32 v66, vcc_lo, v72, v7, vcc_lo
	v_dual_mov_b32 v1, 0 :: v_dual_mov_b32 v6, 0
	v_mov_b32_e32 v7, 0
	s_and_b32 vcc_lo, exec_lo, s0
	global_store_b64 v[65:66], v[4:5], off
	s_cbranch_vccnz .LBB180_135
; %bb.134:
	v_add_co_u32 v4, vcc_lo, v12, v8
	v_add_co_ci_u32_e32 v5, vcc_lo, v73, v9, vcc_lo
	flat_load_b64 v[4:5], v[4:5]
	s_waitcnt vmcnt(0) lgkmcnt(0)
	v_mul_f64 v[6:7], s[8:9], v[4:5]
.LBB180_135:
	scratch_load_b64 v[4:5], off, off offset:296
	s_waitcnt vmcnt(1)
	v_add_f64 v[2:3], v[2:3], v[6:7]
	v_add_co_u32 v6, vcc_lo, v71, v8
	v_add_co_ci_u32_e32 v7, vcc_lo, v72, v9, vcc_lo
	s_and_b32 vcc_lo, exec_lo, s0
	global_store_b64 v[6:7], v[2:3], off
	s_cbranch_vccnz .LBB180_137
; %bb.136:
	v_add_co_u32 v0, vcc_lo, v12, v10
	v_add_co_ci_u32_e32 v1, vcc_lo, v73, v11, vcc_lo
	flat_load_b64 v[0:1], v[0:1]
	s_waitcnt vmcnt(0) lgkmcnt(0)
	v_mul_f64 v[0:1], s[8:9], v[0:1]
.LBB180_137:
	scratch_load_b64 v[2:3], off, off offset:304
	s_waitcnt vmcnt(1)
	v_add_f64 v[4:5], v[4:5], v[0:1]
	v_add_co_u32 v8, vcc_lo, v71, v10
	v_mov_b32_e32 v0, 0
	v_dual_mov_b32 v1, 0 :: v_dual_mov_b32 v6, 0
	v_add_co_ci_u32_e32 v9, vcc_lo, v72, v11, vcc_lo
	v_mov_b32_e32 v7, 0
	s_and_b32 vcc_lo, exec_lo, s0
	global_store_b64 v[8:9], v[4:5], off
	s_cbranch_vccnz .LBB180_139
; %bb.138:
	v_add_co_u32 v4, vcc_lo, v12, v13
	v_add_co_ci_u32_e32 v5, vcc_lo, v73, v14, vcc_lo
	flat_load_b64 v[4:5], v[4:5]
	s_waitcnt vmcnt(0) lgkmcnt(0)
	v_mul_f64 v[6:7], s[8:9], v[4:5]
.LBB180_139:
	scratch_load_b64 v[4:5], off, off offset:312
	s_waitcnt vmcnt(1)
	v_add_f64 v[2:3], v[2:3], v[6:7]
	v_add_co_u32 v6, vcc_lo, v71, v13
	v_add_co_ci_u32_e32 v7, vcc_lo, v72, v14, vcc_lo
	s_and_b32 vcc_lo, exec_lo, s0
	global_store_b64 v[6:7], v[2:3], off
	s_cbranch_vccnz .LBB180_141
; %bb.140:
	v_add_co_u32 v0, vcc_lo, v12, v15
	v_add_co_ci_u32_e32 v1, vcc_lo, v73, v16, vcc_lo
	flat_load_b64 v[0:1], v[0:1]
	s_waitcnt vmcnt(0) lgkmcnt(0)
	v_mul_f64 v[0:1], s[8:9], v[0:1]
.LBB180_141:
	scratch_load_b64 v[2:3], off, off offset:320
	s_waitcnt vmcnt(1)
	v_add_f64 v[4:5], v[4:5], v[0:1]
	v_add_co_u32 v8, vcc_lo, v71, v15
	v_mov_b32_e32 v0, 0
	v_dual_mov_b32 v1, 0 :: v_dual_mov_b32 v6, 0
	v_add_co_ci_u32_e32 v9, vcc_lo, v72, v16, vcc_lo
	;; [unrolled: 33-line block ×13, first 2 shown]
	v_mov_b32_e32 v7, 0
	s_and_b32 vcc_lo, exec_lo, s0
	global_store_b64 v[8:9], v[4:5], off
	s_cbranch_vccnz .LBB180_187
; %bb.186:
	v_add_co_u32 v4, vcc_lo, v12, v61
	v_add_co_ci_u32_e32 v5, vcc_lo, v73, v62, vcc_lo
	flat_load_b64 v[4:5], v[4:5]
	s_waitcnt vmcnt(0) lgkmcnt(0)
	v_mul_f64 v[6:7], s[8:9], v[4:5]
.LBB180_187:
	scratch_load_b64 v[4:5], off, off offset:504
	s_waitcnt vmcnt(1)
	v_add_f64 v[2:3], v[2:3], v[6:7]
	v_add_co_u32 v6, vcc_lo, v71, v61
	v_add_co_ci_u32_e32 v7, vcc_lo, v72, v62, vcc_lo
	s_and_b32 vcc_lo, exec_lo, s0
	global_store_b64 v[6:7], v[2:3], off
	s_cbranch_vccnz .LBB180_189
; %bb.188:
	v_add_co_u32 v0, vcc_lo, v12, v63
	v_add_co_ci_u32_e32 v1, vcc_lo, v73, v64, vcc_lo
	flat_load_b64 v[0:1], v[0:1]
	s_waitcnt vmcnt(0) lgkmcnt(0)
	v_mul_f64 v[0:1], s[8:9], v[0:1]
.LBB180_189:
	s_waitcnt vmcnt(0)
	s_delay_alu instid0(VALU_DEP_1)
	v_add_f64 v[0:1], v[4:5], v[0:1]
	v_add_co_u32 v2, vcc_lo, v71, v63
	v_add_co_ci_u32_e32 v3, vcc_lo, v72, v64, vcc_lo
	global_store_b64 v[2:3], v[0:1], off
	s_endpgm
	.section	.rodata,"a",@progbits
	.p2align	6, 0x0
	.amdhsa_kernel _ZN12_GLOBAL__N_120geam_min_plus_kernelIdddLi4ELi64ELi128ELi128ELi4ELi64ELi4ELi4ELi64ELc78ELc78ELb0ELb0ELb0EPKdS1_dEEviiiT16_PT17_ilS5_ilS3_S5_ilPT18_ili26rocblas_geam_ex_operation_
		.amdhsa_group_segment_fixed_size 16384
		.amdhsa_private_segment_fixed_size 528
		.amdhsa_kernarg_size 136
		.amdhsa_user_sgpr_count 14
		.amdhsa_user_sgpr_dispatch_ptr 0
		.amdhsa_user_sgpr_queue_ptr 0
		.amdhsa_user_sgpr_kernarg_segment_ptr 1
		.amdhsa_user_sgpr_dispatch_id 0
		.amdhsa_user_sgpr_private_segment_size 0
		.amdhsa_wavefront_size32 1
		.amdhsa_uses_dynamic_stack 0
		.amdhsa_enable_private_segment 1
		.amdhsa_system_sgpr_workgroup_id_x 1
		.amdhsa_system_sgpr_workgroup_id_y 0
		.amdhsa_system_sgpr_workgroup_id_z 1
		.amdhsa_system_sgpr_workgroup_info 0
		.amdhsa_system_vgpr_workitem_id 1
		.amdhsa_next_free_vgpr 254
		.amdhsa_next_free_sgpr 27
		.amdhsa_reserve_vcc 1
		.amdhsa_float_round_mode_32 0
		.amdhsa_float_round_mode_16_64 0
		.amdhsa_float_denorm_mode_32 3
		.amdhsa_float_denorm_mode_16_64 3
		.amdhsa_dx10_clamp 1
		.amdhsa_ieee_mode 1
		.amdhsa_fp16_overflow 0
		.amdhsa_workgroup_processor_mode 1
		.amdhsa_memory_ordered 1
		.amdhsa_forward_progress 0
		.amdhsa_shared_vgpr_count 0
		.amdhsa_exception_fp_ieee_invalid_op 0
		.amdhsa_exception_fp_denorm_src 0
		.amdhsa_exception_fp_ieee_div_zero 0
		.amdhsa_exception_fp_ieee_overflow 0
		.amdhsa_exception_fp_ieee_underflow 0
		.amdhsa_exception_fp_ieee_inexact 0
		.amdhsa_exception_int_div_zero 0
	.end_amdhsa_kernel
	.section	.text._ZN12_GLOBAL__N_120geam_min_plus_kernelIdddLi4ELi64ELi128ELi128ELi4ELi64ELi4ELi4ELi64ELc78ELc78ELb0ELb0ELb0EPKdS1_dEEviiiT16_PT17_ilS5_ilS3_S5_ilPT18_ili26rocblas_geam_ex_operation_,"axG",@progbits,_ZN12_GLOBAL__N_120geam_min_plus_kernelIdddLi4ELi64ELi128ELi128ELi4ELi64ELi4ELi4ELi64ELc78ELc78ELb0ELb0ELb0EPKdS1_dEEviiiT16_PT17_ilS5_ilS3_S5_ilPT18_ili26rocblas_geam_ex_operation_,comdat
.Lfunc_end180:
	.size	_ZN12_GLOBAL__N_120geam_min_plus_kernelIdddLi4ELi64ELi128ELi128ELi4ELi64ELi4ELi4ELi64ELc78ELc78ELb0ELb0ELb0EPKdS1_dEEviiiT16_PT17_ilS5_ilS3_S5_ilPT18_ili26rocblas_geam_ex_operation_, .Lfunc_end180-_ZN12_GLOBAL__N_120geam_min_plus_kernelIdddLi4ELi64ELi128ELi128ELi4ELi64ELi4ELi4ELi64ELc78ELc78ELb0ELb0ELb0EPKdS1_dEEviiiT16_PT17_ilS5_ilS3_S5_ilPT18_ili26rocblas_geam_ex_operation_
                                        ; -- End function
	.section	.AMDGPU.csdata,"",@progbits
; Kernel info:
; codeLenInByte = 43628
; NumSgprs: 29
; NumVgprs: 254
; ScratchSize: 528
; MemoryBound: 1
; FloatMode: 240
; IeeeMode: 1
; LDSByteSize: 16384 bytes/workgroup (compile time only)
; SGPRBlocks: 3
; VGPRBlocks: 31
; NumSGPRsForWavesPerEU: 29
; NumVGPRsForWavesPerEU: 254
; Occupancy: 5
; WaveLimiterHint : 1
; COMPUTE_PGM_RSRC2:SCRATCH_EN: 1
; COMPUTE_PGM_RSRC2:USER_SGPR: 14
; COMPUTE_PGM_RSRC2:TRAP_HANDLER: 0
; COMPUTE_PGM_RSRC2:TGID_X_EN: 1
; COMPUTE_PGM_RSRC2:TGID_Y_EN: 0
; COMPUTE_PGM_RSRC2:TGID_Z_EN: 1
; COMPUTE_PGM_RSRC2:TIDIG_COMP_CNT: 1
	.section	.text._ZN12_GLOBAL__N_120geam_min_plus_kernelIdddLi4ELi64ELi128ELi128ELi4ELi64ELi4ELi4ELi64ELc78ELc78ELb1ELb0ELb0EdKddEEviiiT16_PT17_ilS4_ilS2_S4_ilPT18_ili26rocblas_geam_ex_operation_,"axG",@progbits,_ZN12_GLOBAL__N_120geam_min_plus_kernelIdddLi4ELi64ELi128ELi128ELi4ELi64ELi4ELi4ELi64ELc78ELc78ELb1ELb0ELb0EdKddEEviiiT16_PT17_ilS4_ilS2_S4_ilPT18_ili26rocblas_geam_ex_operation_,comdat
	.globl	_ZN12_GLOBAL__N_120geam_min_plus_kernelIdddLi4ELi64ELi128ELi128ELi4ELi64ELi4ELi4ELi64ELc78ELc78ELb1ELb0ELb0EdKddEEviiiT16_PT17_ilS4_ilS2_S4_ilPT18_ili26rocblas_geam_ex_operation_ ; -- Begin function _ZN12_GLOBAL__N_120geam_min_plus_kernelIdddLi4ELi64ELi128ELi128ELi4ELi64ELi4ELi4ELi64ELc78ELc78ELb1ELb0ELb0EdKddEEviiiT16_PT17_ilS4_ilS2_S4_ilPT18_ili26rocblas_geam_ex_operation_
	.p2align	8
	.type	_ZN12_GLOBAL__N_120geam_min_plus_kernelIdddLi4ELi64ELi128ELi128ELi4ELi64ELi4ELi4ELi64ELc78ELc78ELb1ELb0ELb0EdKddEEviiiT16_PT17_ilS4_ilS2_S4_ilPT18_ili26rocblas_geam_ex_operation_,@function
_ZN12_GLOBAL__N_120geam_min_plus_kernelIdddLi4ELi64ELi128ELi128ELi4ELi64ELi4ELi4ELi64ELc78ELc78ELb1ELb0ELb0EdKddEEviiiT16_PT17_ilS4_ilS2_S4_ilPT18_ili26rocblas_geam_ex_operation_: ; @_ZN12_GLOBAL__N_120geam_min_plus_kernelIdddLi4ELi64ELi128ELi128ELi4ELi64ELi4ELi4ELi64ELc78ELc78ELb1ELb0ELb0EdKddEEviiiT16_PT17_ilS4_ilS2_S4_ilPT18_ili26rocblas_geam_ex_operation_
; %bb.0:
	s_clause 0x1
	s_load_b128 s[4:7], s[0:1], 0x10
	s_load_b128 s[8:11], s[0:1], 0x28
	s_mov_b64 s[12:13], 0
	s_waitcnt lgkmcnt(0)
	v_cmp_eq_f64_e64 s2, s[4:5], 0
	s_delay_alu instid0(VALU_DEP_1)
	s_and_b32 vcc_lo, exec_lo, s2
	s_cbranch_vccnz .LBB181_2
; %bb.1:
	s_mul_i32 s3, s15, s9
	s_mul_hi_u32 s4, s15, s8
	s_delay_alu instid0(SALU_CYCLE_1) | instskip(SKIP_1) | instid1(SALU_CYCLE_1)
	s_add_i32 s5, s4, s3
	s_mul_i32 s4, s15, s8
	s_lshl_b64 s[4:5], s[4:5], 3
	s_delay_alu instid0(SALU_CYCLE_1)
	s_add_u32 s12, s6, s4
	s_addc_u32 s13, s7, s5
.LBB181_2:
	s_clause 0x1
	s_load_b128 s[4:7], s[0:1], 0x40
	s_load_b64 s[18:19], s[0:1], 0x50
	s_and_not1_b32 vcc_lo, exec_lo, s2
	s_cbranch_vccnz .LBB181_4
; %bb.3:
	s_mov_b32 s20, 0
	s_mov_b64 s[2:3], 0
	s_cbranch_execz .LBB181_5
	s_branch .LBB181_6
.LBB181_4:
	s_mov_b32 s20, -1
                                        ; implicit-def: $sgpr2_sgpr3
.LBB181_5:
	s_waitcnt lgkmcnt(0)
	s_mul_i32 s2, s15, s5
	s_mul_hi_u32 s3, s15, s4
	s_mov_b32 s20, 0
	s_add_i32 s3, s3, s2
	s_mul_i32 s2, s15, s4
	s_delay_alu instid0(SALU_CYCLE_1) | instskip(NEXT) | instid1(SALU_CYCLE_1)
	s_lshl_b64 s[2:3], s[2:3], 3
	s_add_u32 s2, s10, s2
	s_addc_u32 s3, s11, s3
.LBB181_6:
	s_waitcnt lgkmcnt(0)
	v_cmp_eq_f64_e64 s4, s[6:7], 0
	s_load_b128 s[8:11], s[0:1], 0x60
	s_mov_b64 s[16:17], 0
	s_delay_alu instid0(VALU_DEP_1)
	s_and_b32 vcc_lo, exec_lo, s4
	s_mov_b64 s[4:5], 0
	s_cbranch_vccnz .LBB181_8
; %bb.7:
	s_waitcnt lgkmcnt(0)
	s_mul_i32 s4, s15, s9
	s_mul_hi_u32 s5, s15, s8
	s_mul_i32 s9, s20, s8
	s_add_i32 s4, s5, s4
	s_delay_alu instid0(SALU_CYCLE_1) | instskip(SKIP_1) | instid1(SALU_CYCLE_1)
	s_add_i32 s5, s4, s9
	s_mul_i32 s4, s15, s8
	s_lshl_b64 s[4:5], s[4:5], 3
	s_delay_alu instid0(SALU_CYCLE_1)
	s_add_u32 s4, s18, s4
	s_addc_u32 s5, s19, s5
.LBB181_8:
	s_load_b32 s17, s[0:1], 0x0
	s_waitcnt lgkmcnt(0)
	s_mov_b32 s8, 0
	v_bfe_u32 v87, v0, 10, 10
	s_mov_b32 s9, s8
	v_and_b32_e32 v86, 0x3ff, v0
	v_dual_mov_b32 v0, s8 :: v_dual_mov_b32 v1, s9
	s_clause 0x1
	s_load_b32 s21, s[0:1], 0x20
	s_load_b32 s8, s[0:1], 0x38
	v_mov_b32_e32 v85, 8
	v_lshl_add_u32 v2, v87, 2, v86
	v_dual_mov_b32 v111, 0x88 :: v_dual_and_b32 v88, 3, v86
	v_dual_mov_b32 v97, 24 :: v_dual_lshlrev_b32 v92, 5, v86
	s_delay_alu instid0(VALU_DEP_3) | instskip(SKIP_3) | instid1(VALU_DEP_4)
	v_lshrrev_b32_e32 v89, 6, v2
	v_and_b32_e32 v82, 63, v2
	v_lshrrev_b32_e32 v14, 2, v2
	v_dual_mov_b32 v96, 16 :: v_dual_lshlrev_b32 v15, 3, v88
	v_dual_mov_b32 v101, 56 :: v_dual_add_nc_u32 v90, 4, v89
	s_add_i32 s9, s17, -1
	s_delay_alu instid0(VALU_DEP_2)
	v_lshl_or_b32 v83, v14, 5, v15
	s_ashr_i32 s17, s9, 31
	v_add_nc_u32_e32 v32, 0x800, v92
	s_lshr_b32 s17, s17, 25
	s_waitcnt lgkmcnt(0)
	s_ashr_i32 s22, s21, 31
	s_add_i32 s9, s9, s17
	v_mad_i64_i32 v[12:13], null, s21, v90, 0
	s_ashr_i32 s9, s9, 7
	v_dual_mov_b32 v104, 0x50 :: v_dual_lshlrev_b32 v91, 5, v87
	s_add_i32 s17, s9, 1
	s_not_b32 s9, s9
	v_cvt_f32_u32_e32 v3, s17
	s_delay_alu instid0(VALU_DEP_3) | instskip(SKIP_2) | instid1(VALU_DEP_4)
	v_lshlrev_b64 v[12:13], 3, v[12:13]
	v_dual_mov_b32 v98, 32 :: v_dual_mov_b32 v103, 0x48
	v_dual_mov_b32 v100, 48 :: v_dual_mov_b32 v105, 0x58
	v_rcp_iflag_f32_e32 v3, v3
	v_dual_mov_b32 v102, 64 :: v_dual_mov_b32 v107, 0x68
	v_mov_b32_e32 v106, 0x60
	v_mov_b32_e32 v108, 0x70
	;; [unrolled: 1-line block ×7, first 2 shown]
	s_delay_alu instid0(TRANS32_DEP_1)
	v_mul_f32_e32 v3, 0x4f7ffffe, v3
	s_clause 0xd
	scratch_store_b64 off, v[0:1], off
	scratch_store_b64 off, v[0:1], off offset:8
	scratch_store_b64 off, v[0:1], off offset:16
	;; [unrolled: 1-line block ×13, first 2 shown]
	v_cvt_u32_f32_e32 v3, v3
	s_clause 0xe
	scratch_store_b64 off, v[0:1], off offset:112
	scratch_store_b64 off, v[0:1], off offset:120
	;; [unrolled: 1-line block ×15, first 2 shown]
	v_readfirstlane_b32 s18, v3
	v_mad_i64_i32 v[2:3], null, s21, v89, 0
	s_clause 0x7
	scratch_store_b64 off, v[0:1], off offset:232
	scratch_store_b64 off, v[0:1], off offset:240
	;; [unrolled: 1-line block ×8, first 2 shown]
	s_mul_i32 s9, s9, s18
	s_clause 0x1
	scratch_store_b64 off, v[0:1], off offset:296
	scratch_store_b64 off, v[0:1], off offset:304
	s_mul_hi_u32 s9, s18, s9
	s_clause 0x3
	scratch_store_b64 off, v[0:1], off offset:312
	scratch_store_b64 off, v[0:1], off offset:320
	;; [unrolled: 1-line block ×4, first 2 shown]
	s_add_i32 s18, s18, s9
	v_lshlrev_b64 v[2:3], 3, v[2:3]
	s_mul_hi_u32 s9, s14, s18
	s_clause 0x1
	scratch_store_b64 off, v[0:1], off offset:344
	scratch_store_b64 off, v[0:1], off offset:352
	s_mul_i32 s18, s9, s17
	s_add_i32 s19, s9, 1
	s_sub_i32 s18, s14, s18
	v_add_co_u32 v7, vcc_lo, s12, v2
	s_sub_i32 s23, s18, s17
	s_cmp_ge_u32 s18, s17
	v_mov_b32_e32 v99, 40
	s_cselect_b32 s9, s19, s9
	s_cselect_b32 s18, s23, s18
	s_add_i32 s19, s9, 1
	s_cmp_ge_u32 s18, s17
	v_add_co_ci_u32_e32 v8, vcc_lo, s13, v3, vcc_lo
	s_cselect_b32 s9, s19, s9
	v_mov_b32_e32 v84, 0
	s_mul_i32 s17, s9, s17
	s_lshl_b32 s18, s9, 7
	s_sub_i32 s14, s14, s17
	v_add_nc_u32_e32 v6, s18, v14
	s_lshl_b32 s14, s14, 7
	s_clause 0x9
	scratch_store_b64 off, v[0:1], off offset:360
	scratch_store_b64 off, v[0:1], off offset:368
	;; [unrolled: 1-line block ×10, first 2 shown]
	v_or_b32_e32 v4, s14, v82
	s_clause 0x4
	scratch_store_b64 off, v[0:1], off offset:440
	scratch_store_b64 off, v[0:1], off offset:448
	scratch_store_b64 off, v[0:1], off offset:456
	scratch_store_b64 off, v[0:1], off offset:464
	scratch_store_b64 off, v[0:1], off offset:472
	v_add_nc_u32_e32 v9, 64, v6
	v_mad_i64_i32 v[2:3], null, v6, s8, 0
	v_ashrrev_i32_e32 v5, 31, v4
	s_clause 0x3
	scratch_store_b64 off, v[0:1], off offset:480
	scratch_store_b64 off, v[0:1], off offset:488
	;; [unrolled: 1-line block ×4, first 2 shown]
	v_cmp_neq_f64_e64 s19, s[6:7], 0
	v_lshlrev_b64 v[72:73], 3, v[4:5]
	v_mad_i64_i32 v[4:5], null, v9, s8, 0
	v_lshlrev_b64 v[68:69], 3, v[2:3]
	v_mov_b32_e32 v116, 0xb0
	v_mov_b32_e32 v117, 0xb8
	v_add_co_u32 v6, vcc_lo, v7, v72
	v_add_co_ci_u32_e32 v7, vcc_lo, v8, v73, vcc_lo
	v_add_co_u32 v8, s8, s2, v15
	s_delay_alu instid0(VALU_DEP_1) | instskip(SKIP_1) | instid1(VALU_DEP_3)
	v_add_co_ci_u32_e64 v9, null, s3, 0, s8
	v_lshlrev_b64 v[70:71], 3, v[4:5]
	v_add_co_u32 v2, vcc_lo, v8, v68
	s_delay_alu instid0(VALU_DEP_3) | instskip(SKIP_1) | instid1(VALU_DEP_4)
	v_add_co_ci_u32_e32 v3, vcc_lo, v9, v69, vcc_lo
	v_mov_b32_e32 v118, 0xc0
	v_add_co_u32 v4, vcc_lo, v8, v70
	v_add_co_ci_u32_e32 v5, vcc_lo, v9, v71, vcc_lo
	s_clause 0x1
	flat_load_b64 v[0:1], v[6:7]
	flat_load_b64 v[6:7], v[6:7] offset:512
	s_clause 0x1
	flat_load_b64 v[8:9], v[2:3]
	flat_load_b64 v[10:11], v[4:5]
	v_add_co_u32 v12, vcc_lo, s12, v12
	v_add_co_ci_u32_e32 v13, vcc_lo, s13, v13, vcc_lo
	v_mov_b32_e32 v109, 0x78
	s_delay_alu instid0(VALU_DEP_3) | instskip(NEXT) | instid1(VALU_DEP_3)
	v_add_co_u32 v12, vcc_lo, v12, v72
	v_add_co_ci_u32_e32 v13, vcc_lo, v13, v73, vcc_lo
	s_clause 0x1
	flat_load_b64 v[74:75], v[12:13]
	flat_load_b64 v[76:77], v[12:13] offset:512
	s_clause 0x1
	flat_load_b64 v[78:79], v[4:5] offset:32
	flat_load_b64 v[80:81], v[2:3] offset:32
	v_dual_mov_b32 v119, 0xc8 :: v_dual_lshlrev_b32 v2, 3, v89
	v_mov_b32_e32 v120, 0xd0
	v_mov_b32_e32 v121, 0xd8
	;; [unrolled: 1-line block ×3, first 2 shown]
	s_delay_alu instid0(VALU_DEP_4)
	v_lshl_add_u32 v93, v82, 5, v2
	v_mov_b32_e32 v123, 0xe8
	v_mov_b32_e32 v124, 0xf0
	;; [unrolled: 1-line block ×3, first 2 shown]
	v_add_nc_u32_e32 v94, 0x2000, v91
	v_add_nc_u32_e32 v95, 0x2000, v83
	s_mov_b32 s8, -1
	s_waitcnt vmcnt(6) lgkmcnt(6)
	ds_store_2addr_stride64_b64 v93, v[0:1], v[6:7] offset1:4
	s_waitcnt vmcnt(4) lgkmcnt(5)
	ds_store_2addr_stride64_b64 v83, v[8:9], v[10:11] offset0:16 offset1:20
	s_waitcnt vmcnt(0) lgkmcnt(0)
	s_waitcnt_vscnt null, 0x0
	s_barrier
	buffer_gl0_inv
	ds_load_2addr_b64 v[0:3], v92 offset1:16
	ds_load_2addr_b64 v[4:7], v32 offset1:16
	ds_load_2addr_b64 v[8:11], v32 offset0:32 offset1:48
	ds_load_2addr_b64 v[12:15], v32 offset0:64 offset1:80
	;; [unrolled: 1-line block ×14, first 2 shown]
	ds_load_2addr_stride64_b64 v[64:67], v91 offset0:16 offset1:20
.LBB181_9:                              ; =>This Inner Loop Header: Depth=1
	scratch_load_b64 v[126:127], v84, off
	scratch_load_b64 v[128:129], v85, off
	;; [unrolled: 1-line block ×32, first 2 shown]
	s_cmp_eq_u32 s16, 1
	s_waitcnt lgkmcnt(16)
	v_max_f64 v[192:193], v[0:1], v[0:1]
	s_cselect_b32 vcc_lo, -1, 0
	v_max_f64 v[194:195], v[2:3], v[2:3]
	s_waitcnt lgkmcnt(0)
	v_dual_cndmask_b32 v191, v65, v67 :: v_dual_cndmask_b32 v190, v64, v66
	v_max_f64 v[196:197], v[36:37], v[36:37]
	v_max_f64 v[198:199], v[38:39], v[38:39]
	;; [unrolled: 1-line block ×31, first 2 shown]
	s_mov_b64 s[16:17], 1
	s_and_b32 vcc_lo, exec_lo, s8
	s_mov_b32 s8, 0
	v_min_f64 v[192:193], v[192:193], v[190:191]
	v_min_f64 v[194:195], v[194:195], v[190:191]
	;; [unrolled: 1-line block ×32, first 2 shown]
	s_waitcnt vmcnt(31)
	v_add_f64 v[126:127], v[126:127], v[192:193]
	s_waitcnt vmcnt(30)
	v_add_f64 v[128:129], v[194:195], v[128:129]
	;; [unrolled: 2-line block ×32, first 2 shown]
	scratch_store_b64 v84, v[126:127], off
	scratch_store_b64 v85, v[128:129], off
	;; [unrolled: 1-line block ×32, first 2 shown]
	v_mov_b32_e32 v84, 0x100
	v_mov_b32_e32 v85, 0x108
	;; [unrolled: 1-line block ×32, first 2 shown]
	s_cbranch_vccnz .LBB181_9
; %bb.10:
	v_dual_mov_b32 v85, 8 :: v_dual_add_nc_u32 v60, 0x800, v92
	ds_load_2addr_b64 v[0:3], v92 offset0:1 offset1:17
	ds_load_2addr_b64 v[4:7], v92 offset0:33 offset1:49
	;; [unrolled: 1-line block ×12, first 2 shown]
	v_dual_mov_b32 v97, 24 :: v_dual_add_nc_u32 v64, 8, v94
	ds_load_2addr_b64 v[48:51], v60 offset0:129 offset1:145
	ds_load_2addr_b64 v[52:55], v60 offset0:161 offset1:177
	;; [unrolled: 1-line block ×4, first 2 shown]
	ds_load_2addr_stride64_b64 v[64:67], v64 offset1:4
	v_dual_mov_b32 v84, 0 :: v_dual_mov_b32 v99, 40
	v_dual_mov_b32 v96, 16 :: v_dual_mov_b32 v101, 56
	;; [unrolled: 1-line block ×5, first 2 shown]
	v_mov_b32_e32 v104, 0x50
	v_mov_b32_e32 v106, 0x60
	;; [unrolled: 1-line block ×20, first 2 shown]
	s_mov_b64 s[8:9], 0
	s_mov_b32 s16, -1
.LBB181_11:                             ; =>This Inner Loop Header: Depth=1
	scratch_load_b64 v[126:127], v84, off
	scratch_load_b64 v[128:129], v85, off
	;; [unrolled: 1-line block ×32, first 2 shown]
	s_cmp_eq_u32 s8, 1
	s_waitcnt lgkmcnt(16)
	v_max_f64 v[192:193], v[0:1], v[0:1]
	s_cselect_b32 vcc_lo, -1, 0
	v_max_f64 v[194:195], v[2:3], v[2:3]
	s_waitcnt lgkmcnt(0)
	v_dual_cndmask_b32 v191, v65, v67 :: v_dual_cndmask_b32 v190, v64, v66
	v_max_f64 v[196:197], v[4:5], v[4:5]
	v_max_f64 v[198:199], v[6:7], v[6:7]
	;; [unrolled: 1-line block ×31, first 2 shown]
	s_mov_b64 s[8:9], 1
	s_and_b32 vcc_lo, exec_lo, s16
	s_mov_b32 s16, 0
	v_min_f64 v[192:193], v[192:193], v[190:191]
	v_min_f64 v[194:195], v[194:195], v[190:191]
	;; [unrolled: 1-line block ×32, first 2 shown]
	s_waitcnt vmcnt(31)
	v_add_f64 v[126:127], v[126:127], v[192:193]
	s_waitcnt vmcnt(30)
	v_add_f64 v[128:129], v[194:195], v[128:129]
	;; [unrolled: 2-line block ×32, first 2 shown]
	scratch_store_b64 v84, v[126:127], off
	scratch_store_b64 v85, v[128:129], off
	;; [unrolled: 1-line block ×32, first 2 shown]
	v_mov_b32_e32 v84, 0x100
	v_mov_b32_e32 v85, 0x108
	;; [unrolled: 1-line block ×32, first 2 shown]
	s_cbranch_vccnz .LBB181_11
; %bb.12:
	v_dual_mov_b32 v85, 8 :: v_dual_add_nc_u32 v60, 0x800, v92
	ds_load_2addr_b64 v[0:3], v92 offset0:2 offset1:18
	ds_load_2addr_b64 v[4:7], v92 offset0:34 offset1:50
	ds_load_2addr_b64 v[8:11], v92 offset0:66 offset1:82
	ds_load_2addr_b64 v[12:15], v92 offset0:98 offset1:114
	ds_load_2addr_b64 v[16:19], v92 offset0:130 offset1:146
	ds_load_2addr_b64 v[20:23], v92 offset0:162 offset1:178
	ds_load_2addr_b64 v[24:27], v92 offset0:194 offset1:210
	ds_load_2addr_b64 v[28:31], v92 offset0:226 offset1:242
	ds_load_2addr_b64 v[32:35], v60 offset0:2 offset1:18
	ds_load_2addr_b64 v[36:39], v60 offset0:34 offset1:50
	ds_load_2addr_b64 v[40:43], v60 offset0:66 offset1:82
	ds_load_2addr_b64 v[44:47], v60 offset0:98 offset1:114
	v_dual_mov_b32 v97, 24 :: v_dual_add_nc_u32 v64, 16, v94
	ds_load_2addr_b64 v[48:51], v60 offset0:130 offset1:146
	ds_load_2addr_b64 v[52:55], v60 offset0:162 offset1:178
	;; [unrolled: 1-line block ×4, first 2 shown]
	ds_load_2addr_stride64_b64 v[64:67], v64 offset1:4
	v_dual_mov_b32 v84, 0 :: v_dual_mov_b32 v99, 40
	v_dual_mov_b32 v96, 16 :: v_dual_mov_b32 v101, 56
	;; [unrolled: 1-line block ×5, first 2 shown]
	v_mov_b32_e32 v104, 0x50
	v_mov_b32_e32 v106, 0x60
	;; [unrolled: 1-line block ×20, first 2 shown]
	s_mov_b64 s[8:9], 0
	s_mov_b32 s16, -1
.LBB181_13:                             ; =>This Inner Loop Header: Depth=1
	scratch_load_b64 v[126:127], v84, off
	scratch_load_b64 v[128:129], v85, off
	;; [unrolled: 1-line block ×32, first 2 shown]
	s_cmp_eq_u32 s8, 1
	s_waitcnt lgkmcnt(16)
	v_max_f64 v[192:193], v[0:1], v[0:1]
	s_cselect_b32 vcc_lo, -1, 0
	v_max_f64 v[194:195], v[2:3], v[2:3]
	s_waitcnt lgkmcnt(0)
	v_dual_cndmask_b32 v191, v65, v67 :: v_dual_cndmask_b32 v190, v64, v66
	v_max_f64 v[196:197], v[4:5], v[4:5]
	v_max_f64 v[198:199], v[6:7], v[6:7]
	;; [unrolled: 1-line block ×31, first 2 shown]
	s_mov_b64 s[8:9], 1
	s_and_b32 vcc_lo, exec_lo, s16
	s_mov_b32 s16, 0
	v_min_f64 v[192:193], v[192:193], v[190:191]
	v_min_f64 v[194:195], v[194:195], v[190:191]
	;; [unrolled: 1-line block ×32, first 2 shown]
	s_waitcnt vmcnt(31)
	v_add_f64 v[126:127], v[126:127], v[192:193]
	s_waitcnt vmcnt(30)
	v_add_f64 v[128:129], v[194:195], v[128:129]
	;; [unrolled: 2-line block ×32, first 2 shown]
	scratch_store_b64 v84, v[126:127], off
	scratch_store_b64 v85, v[128:129], off
	;; [unrolled: 1-line block ×32, first 2 shown]
	v_mov_b32_e32 v84, 0x100
	v_mov_b32_e32 v85, 0x108
	;; [unrolled: 1-line block ×32, first 2 shown]
	s_cbranch_vccnz .LBB181_13
; %bb.14:
	v_dual_mov_b32 v125, 0 :: v_dual_add_nc_u32 v60, 0x800, v92
	ds_load_2addr_b64 v[0:3], v92 offset0:3 offset1:19
	ds_load_2addr_b64 v[4:7], v92 offset0:35 offset1:51
	;; [unrolled: 1-line block ×12, first 2 shown]
	v_dual_mov_b32 v123, 16 :: v_dual_add_nc_u32 v64, 24, v94
	ds_load_2addr_b64 v[48:51], v60 offset0:131 offset1:147
	ds_load_2addr_b64 v[52:55], v60 offset0:163 offset1:179
	;; [unrolled: 1-line block ×4, first 2 shown]
	ds_load_2addr_stride64_b64 v[64:67], v64 offset1:4
	v_dual_mov_b32 v124, 8 :: v_dual_mov_b32 v121, 32
	v_dual_mov_b32 v122, 24 :: v_dual_mov_b32 v119, 48
	;; [unrolled: 1-line block ×4, first 2 shown]
	v_mov_b32_e32 v116, 0x48
	v_mov_b32_e32 v114, 0x58
	;; [unrolled: 1-line block ×22, first 2 shown]
	s_mov_b64 s[8:9], 0
	s_mov_b32 s16, -1
.LBB181_15:                             ; =>This Inner Loop Header: Depth=1
	scratch_load_b64 v[130:131], v125, off
	s_cmp_eq_u32 s8, 1
	s_waitcnt lgkmcnt(16)
	v_max_f64 v[128:129], v[0:1], v[0:1]
	s_cselect_b32 vcc_lo, -1, 0
	s_mov_b64 s[8:9], 1
	s_waitcnt lgkmcnt(0)
	v_dual_cndmask_b32 v127, v65, v67 :: v_dual_cndmask_b32 v126, v64, v66
	s_and_b32 vcc_lo, exec_lo, s16
	s_mov_b32 s16, 0
	s_delay_alu instid0(VALU_DEP_1) | instskip(NEXT) | instid1(VALU_DEP_1)
	v_max_f64 v[126:127], v[126:127], v[126:127]
	v_min_f64 v[128:129], v[128:129], v[126:127]
	s_waitcnt vmcnt(0)
	s_delay_alu instid0(VALU_DEP_1) | instskip(SKIP_3) | instid1(VALU_DEP_1)
	v_add_f64 v[128:129], v[130:131], v[128:129]
	scratch_load_b64 v[130:131], v124, off
	scratch_store_b64 v125, v[128:129], off
	v_max_f64 v[128:129], v[2:3], v[2:3]
	v_min_f64 v[128:129], v[128:129], v[126:127]
	s_waitcnt vmcnt(0)
	s_delay_alu instid0(VALU_DEP_1) | instskip(SKIP_3) | instid1(VALU_DEP_1)
	v_add_f64 v[128:129], v[128:129], v[130:131]
	scratch_store_b64 v124, v[128:129], off
	scratch_load_b64 v[128:129], v123, off
	v_max_f64 v[124:125], v[4:5], v[4:5]
	v_min_f64 v[124:125], v[124:125], v[126:127]
	s_waitcnt vmcnt(0)
	s_delay_alu instid0(VALU_DEP_1) | instskip(SKIP_3) | instid1(VALU_DEP_1)
	v_add_f64 v[124:125], v[124:125], v[128:129]
	scratch_load_b64 v[128:129], v122, off
	scratch_store_b64 v123, v[124:125], off
	v_max_f64 v[123:124], v[6:7], v[6:7]
	v_min_f64 v[123:124], v[123:124], v[126:127]
	s_waitcnt vmcnt(0)
	s_delay_alu instid0(VALU_DEP_1) | instskip(SKIP_3) | instid1(VALU_DEP_1)
	v_add_f64 v[123:124], v[123:124], v[128:129]
	scratch_store_b64 v122, v[123:124], off
	scratch_load_b64 v[124:125], v121, off
	v_max_f64 v[122:123], v[8:9], v[8:9]
	v_min_f64 v[122:123], v[122:123], v[126:127]
	s_waitcnt vmcnt(0)
	s_delay_alu instid0(VALU_DEP_1) | instskip(SKIP_4) | instid1(VALU_DEP_1)
	v_add_f64 v[122:123], v[122:123], v[124:125]
	v_mov_b32_e32 v125, 0x100
	scratch_store_b64 v121, v[122:123], off
	scratch_load_b64 v[123:124], v120, off
	v_max_f64 v[121:122], v[10:11], v[10:11]
	v_min_f64 v[121:122], v[121:122], v[126:127]
	s_waitcnt vmcnt(0)
	s_delay_alu instid0(VALU_DEP_1) | instskip(SKIP_4) | instid1(VALU_DEP_1)
	v_add_f64 v[121:122], v[121:122], v[123:124]
	v_mov_b32_e32 v124, 0x108
	;; [unrolled: 8-line block ×26, first 2 shown]
	scratch_store_b64 v96, v[97:98], off
	scratch_load_b64 v[98:99], v85, off
	v_max_f64 v[96:97], v[60:61], v[60:61]
	v_min_f64 v[96:97], v[96:97], v[126:127]
	s_waitcnt vmcnt(0)
	s_delay_alu instid0(VALU_DEP_1) | instskip(SKIP_4) | instid1(VALU_DEP_2)
	v_add_f64 v[96:97], v[96:97], v[98:99]
	scratch_load_b64 v[98:99], v84, off
	scratch_store_b64 v85, v[96:97], off
	v_max_f64 v[96:97], v[62:63], v[62:63]
	v_mov_b32_e32 v85, 0x1f0
	v_min_f64 v[96:97], v[96:97], v[126:127]
	s_waitcnt vmcnt(0)
	s_delay_alu instid0(VALU_DEP_1)
	v_add_f64 v[96:97], v[96:97], v[98:99]
	v_mov_b32_e32 v99, 0x1d0
	v_mov_b32_e32 v98, 0x1d8
	scratch_store_b64 v84, v[96:97], off
	v_mov_b32_e32 v97, 0x1e0
	v_mov_b32_e32 v96, 0x1e8
	;; [unrolled: 1-line block ×3, first 2 shown]
	s_cbranch_vccnz .LBB181_15
; %bb.16:
	s_load_b32 s8, s[0:1], 0x8
	v_lshlrev_b32_e32 v0, 5, v82
	s_mov_b32 s16, 8
	s_delay_alu instid0(VALU_DEP_1)
	v_lshl_add_u32 v0, v89, 3, v0
	ds_store_2addr_stride64_b64 v0, v[74:75], v[76:77] offset0:8 offset1:12
	ds_store_2addr_stride64_b64 v83, v[80:81], v[78:79] offset0:24 offset1:28
	s_waitcnt lgkmcnt(0)
	s_waitcnt_vscnt null, 0x0
	s_barrier
	buffer_gl0_inv
	s_cmp_gt_i32 s8, 8
	s_cbranch_scc0 .LBB181_35
; %bb.17:
	v_lshl_add_u32 v98, v86, 5, 0x1000
	v_add_co_u32 v100, vcc_lo, s12, v72
	v_or_b32_e32 v96, 0x1000, v0
	v_add_nc_u32_e32 v97, 0x3000, v83
	v_lshl_add_u32 v99, v87, 5, 0x3000
	v_add_co_ci_u32_e32 v101, vcc_lo, s13, v73, vcc_lo
	v_dual_mov_b32 v73, 0 :: v_dual_add_nc_u32 v102, 0x800, v98
	s_add_i32 s12, s8, -8
	s_mov_b32 s13, 0
.LBB181_18:                             ; =>This Loop Header: Depth=1
                                        ;     Child Loop BB181_19 Depth 2
                                        ;     Child Loop BB181_21 Depth 2
	;; [unrolled: 1-line block ×8, first 2 shown]
	v_add_nc_u32_e32 v4, s16, v89
	v_or_b32_e32 v72, s16, v88
	v_dual_mov_b32 v133, 0 :: v_dual_mov_b32 v132, 8
	v_dual_mov_b32 v131, 16 :: v_dual_mov_b32 v130, 24
	s_delay_alu instid0(VALU_DEP_4) | instskip(SKIP_3) | instid1(VALU_DEP_4)
	v_mad_u64_u32 v[0:1], null, v4, s21, 0
	v_dual_mov_b32 v129, 32 :: v_dual_mov_b32 v128, 40
	v_dual_mov_b32 v127, 48 :: v_dual_mov_b32 v126, 56
	;; [unrolled: 1-line block ×3, first 2 shown]
	v_mad_u64_u32 v[2:3], null, v4, s22, v[1:2]
	v_lshlrev_b64 v[3:4], 3, v[72:73]
	v_mov_b32_e32 v123, 0x50
	v_mov_b32_e32 v122, 0x58
	v_mov_b32_e32 v121, 0x60
	v_mov_b32_e32 v120, 0x68
	v_mov_b32_e32 v119, 0x70
	v_mov_b32_e32 v1, v2
	v_add_co_u32 v2, vcc_lo, s2, v3
	v_add_co_ci_u32_e32 v3, vcc_lo, s3, v4, vcc_lo
	s_delay_alu instid0(VALU_DEP_3) | instskip(NEXT) | instid1(VALU_DEP_3)
	v_lshlrev_b64 v[0:1], 3, v[0:1]
	v_add_co_u32 v74, vcc_lo, v2, v68
	s_delay_alu instid0(VALU_DEP_3) | instskip(SKIP_1) | instid1(VALU_DEP_4)
	v_add_co_ci_u32_e32 v75, vcc_lo, v3, v69, vcc_lo
	v_mov_b32_e32 v118, 0x78
	v_add_co_u32 v0, vcc_lo, v100, v0
	v_add_co_ci_u32_e32 v1, vcc_lo, v101, v1, vcc_lo
	v_add_co_u32 v76, vcc_lo, v2, v70
	v_add_co_ci_u32_e32 v77, vcc_lo, v3, v71, vcc_lo
	s_clause 0x1
	flat_load_b64 v[80:81], v[0:1]
	flat_load_b64 v[82:83], v[0:1] offset:512
	s_clause 0x1
	flat_load_b64 v[78:79], v[74:75]
	flat_load_b64 v[84:85], v[76:77]
	ds_load_2addr_b64 v[0:3], v98 offset1:16
	ds_load_2addr_b64 v[4:7], v98 offset0:32 offset1:48
	ds_load_2addr_b64 v[8:11], v98 offset0:64 offset1:80
	;; [unrolled: 1-line block ×7, first 2 shown]
	ds_load_2addr_b64 v[32:35], v102 offset1:16
	ds_load_2addr_b64 v[36:39], v102 offset0:32 offset1:48
	ds_load_2addr_b64 v[40:43], v102 offset0:64 offset1:80
	;; [unrolled: 1-line block ×7, first 2 shown]
	ds_load_2addr_stride64_b64 v[64:67], v99 offset1:4
	v_mov_b32_e32 v117, 0x80
	v_mov_b32_e32 v116, 0x88
	;; [unrolled: 1-line block ×16, first 2 shown]
	s_mov_b64 s[8:9], 0
	s_mov_b32 s17, -1
.LBB181_19:                             ;   Parent Loop BB181_18 Depth=1
                                        ; =>  This Inner Loop Header: Depth=2
	scratch_load_b64 v[138:139], v133, off
	s_cmp_eq_u32 s8, 1
	s_waitcnt lgkmcnt(16)
	v_max_f64 v[136:137], v[0:1], v[0:1]
	s_cselect_b32 vcc_lo, -1, 0
	s_mov_b64 s[8:9], 1
	s_waitcnt lgkmcnt(0)
	v_dual_cndmask_b32 v135, v65, v67 :: v_dual_cndmask_b32 v134, v64, v66
	s_and_b32 vcc_lo, exec_lo, s17
	s_mov_b32 s17, 0
	s_delay_alu instid0(VALU_DEP_1) | instskip(NEXT) | instid1(VALU_DEP_1)
	v_max_f64 v[134:135], v[134:135], v[134:135]
	v_min_f64 v[136:137], v[136:137], v[134:135]
	s_waitcnt vmcnt(0)
	s_delay_alu instid0(VALU_DEP_1) | instskip(SKIP_3) | instid1(VALU_DEP_1)
	v_add_f64 v[136:137], v[138:139], v[136:137]
	scratch_load_b64 v[138:139], v132, off
	scratch_store_b64 v133, v[136:137], off
	v_max_f64 v[136:137], v[2:3], v[2:3]
	v_min_f64 v[136:137], v[136:137], v[134:135]
	s_waitcnt vmcnt(0)
	s_delay_alu instid0(VALU_DEP_1) | instskip(SKIP_3) | instid1(VALU_DEP_1)
	v_add_f64 v[136:137], v[136:137], v[138:139]
	scratch_store_b64 v132, v[136:137], off
	scratch_load_b64 v[136:137], v131, off
	v_max_f64 v[132:133], v[4:5], v[4:5]
	v_min_f64 v[132:133], v[132:133], v[134:135]
	s_waitcnt vmcnt(0)
	s_delay_alu instid0(VALU_DEP_1) | instskip(SKIP_3) | instid1(VALU_DEP_1)
	v_add_f64 v[132:133], v[132:133], v[136:137]
	scratch_load_b64 v[136:137], v130, off
	scratch_store_b64 v131, v[132:133], off
	v_max_f64 v[131:132], v[6:7], v[6:7]
	v_min_f64 v[131:132], v[131:132], v[134:135]
	s_waitcnt vmcnt(0)
	s_delay_alu instid0(VALU_DEP_1) | instskip(SKIP_3) | instid1(VALU_DEP_1)
	v_add_f64 v[131:132], v[131:132], v[136:137]
	scratch_store_b64 v130, v[131:132], off
	scratch_load_b64 v[132:133], v129, off
	v_max_f64 v[130:131], v[8:9], v[8:9]
	v_min_f64 v[130:131], v[130:131], v[134:135]
	s_waitcnt vmcnt(0)
	s_delay_alu instid0(VALU_DEP_1) | instskip(SKIP_4) | instid1(VALU_DEP_1)
	v_add_f64 v[130:131], v[130:131], v[132:133]
	v_mov_b32_e32 v133, 0x100
	scratch_store_b64 v129, v[130:131], off
	scratch_load_b64 v[131:132], v128, off
	v_max_f64 v[129:130], v[10:11], v[10:11]
	v_min_f64 v[129:130], v[129:130], v[134:135]
	s_waitcnt vmcnt(0)
	s_delay_alu instid0(VALU_DEP_1) | instskip(SKIP_4) | instid1(VALU_DEP_1)
	v_add_f64 v[129:130], v[129:130], v[131:132]
	v_mov_b32_e32 v132, 0x108
	;; [unrolled: 8-line block ×27, first 2 shown]
	scratch_store_b64 v103, v[104:105], off
	scratch_load_b64 v[105:106], v72, off
	v_max_f64 v[103:104], v[62:63], v[62:63]
	v_min_f64 v[103:104], v[103:104], v[134:135]
	s_waitcnt vmcnt(0)
	s_delay_alu instid0(VALU_DEP_1)
	v_add_f64 v[103:104], v[103:104], v[105:106]
	v_mov_b32_e32 v106, 0x1d8
	v_mov_b32_e32 v105, 0x1e0
	scratch_store_b64 v72, v[103:104], off
	v_mov_b32_e32 v104, 0x1e8
	v_mov_b32_e32 v103, 0x1f0
	;; [unrolled: 1-line block ×3, first 2 shown]
	s_cbranch_vccnz .LBB181_19
; %bb.20:                               ;   in Loop: Header=BB181_18 Depth=1
	ds_load_2addr_b64 v[0:3], v98 offset0:1 offset1:17
	ds_load_2addr_b64 v[4:7], v98 offset0:33 offset1:49
	;; [unrolled: 1-line block ×12, first 2 shown]
	v_dual_mov_b32 v133, 0 :: v_dual_add_nc_u32 v64, 8, v99
	ds_load_2addr_b64 v[48:51], v102 offset0:129 offset1:145
	ds_load_2addr_b64 v[52:55], v102 offset0:161 offset1:177
	;; [unrolled: 1-line block ×4, first 2 shown]
	ds_load_2addr_stride64_b64 v[64:67], v64 offset1:4
	v_dual_mov_b32 v132, 8 :: v_dual_mov_b32 v131, 16
	v_dual_mov_b32 v130, 24 :: v_dual_mov_b32 v129, 32
	;; [unrolled: 1-line block ×4, first 2 shown]
	v_mov_b32_e32 v124, 0x48
	v_mov_b32_e32 v123, 0x50
	;; [unrolled: 1-line block ×23, first 2 shown]
	s_mov_b64 s[8:9], 0
	s_mov_b32 s17, -1
.LBB181_21:                             ;   Parent Loop BB181_18 Depth=1
                                        ; =>  This Inner Loop Header: Depth=2
	scratch_load_b64 v[138:139], v133, off
	s_cmp_eq_u32 s8, 1
	s_waitcnt lgkmcnt(16)
	v_max_f64 v[136:137], v[0:1], v[0:1]
	s_cselect_b32 vcc_lo, -1, 0
	s_mov_b64 s[8:9], 1
	s_waitcnt lgkmcnt(0)
	v_dual_cndmask_b32 v135, v65, v67 :: v_dual_cndmask_b32 v134, v64, v66
	s_and_b32 vcc_lo, exec_lo, s17
	s_mov_b32 s17, 0
	s_delay_alu instid0(VALU_DEP_1) | instskip(NEXT) | instid1(VALU_DEP_1)
	v_max_f64 v[134:135], v[134:135], v[134:135]
	v_min_f64 v[136:137], v[136:137], v[134:135]
	s_waitcnt vmcnt(0)
	s_delay_alu instid0(VALU_DEP_1) | instskip(SKIP_3) | instid1(VALU_DEP_1)
	v_add_f64 v[136:137], v[138:139], v[136:137]
	scratch_load_b64 v[138:139], v132, off
	scratch_store_b64 v133, v[136:137], off
	v_max_f64 v[136:137], v[2:3], v[2:3]
	v_min_f64 v[136:137], v[136:137], v[134:135]
	s_waitcnt vmcnt(0)
	s_delay_alu instid0(VALU_DEP_1) | instskip(SKIP_3) | instid1(VALU_DEP_1)
	v_add_f64 v[136:137], v[136:137], v[138:139]
	scratch_store_b64 v132, v[136:137], off
	scratch_load_b64 v[136:137], v131, off
	v_max_f64 v[132:133], v[4:5], v[4:5]
	v_min_f64 v[132:133], v[132:133], v[134:135]
	s_waitcnt vmcnt(0)
	s_delay_alu instid0(VALU_DEP_1) | instskip(SKIP_3) | instid1(VALU_DEP_1)
	v_add_f64 v[132:133], v[132:133], v[136:137]
	scratch_load_b64 v[136:137], v130, off
	scratch_store_b64 v131, v[132:133], off
	v_max_f64 v[131:132], v[6:7], v[6:7]
	v_min_f64 v[131:132], v[131:132], v[134:135]
	s_waitcnt vmcnt(0)
	s_delay_alu instid0(VALU_DEP_1) | instskip(SKIP_3) | instid1(VALU_DEP_1)
	v_add_f64 v[131:132], v[131:132], v[136:137]
	scratch_store_b64 v130, v[131:132], off
	scratch_load_b64 v[132:133], v129, off
	v_max_f64 v[130:131], v[8:9], v[8:9]
	v_min_f64 v[130:131], v[130:131], v[134:135]
	s_waitcnt vmcnt(0)
	s_delay_alu instid0(VALU_DEP_1) | instskip(SKIP_4) | instid1(VALU_DEP_1)
	v_add_f64 v[130:131], v[130:131], v[132:133]
	v_mov_b32_e32 v133, 0x100
	scratch_store_b64 v129, v[130:131], off
	scratch_load_b64 v[131:132], v128, off
	v_max_f64 v[129:130], v[10:11], v[10:11]
	v_min_f64 v[129:130], v[129:130], v[134:135]
	s_waitcnt vmcnt(0)
	s_delay_alu instid0(VALU_DEP_1) | instskip(SKIP_4) | instid1(VALU_DEP_1)
	v_add_f64 v[129:130], v[129:130], v[131:132]
	v_mov_b32_e32 v132, 0x108
	;; [unrolled: 8-line block ×27, first 2 shown]
	scratch_store_b64 v103, v[104:105], off
	scratch_load_b64 v[105:106], v72, off
	v_max_f64 v[103:104], v[62:63], v[62:63]
	v_min_f64 v[103:104], v[103:104], v[134:135]
	s_waitcnt vmcnt(0)
	s_delay_alu instid0(VALU_DEP_1)
	v_add_f64 v[103:104], v[103:104], v[105:106]
	v_mov_b32_e32 v106, 0x1d8
	v_mov_b32_e32 v105, 0x1e0
	scratch_store_b64 v72, v[103:104], off
	v_mov_b32_e32 v104, 0x1e8
	v_mov_b32_e32 v103, 0x1f0
	;; [unrolled: 1-line block ×3, first 2 shown]
	s_cbranch_vccnz .LBB181_21
; %bb.22:                               ;   in Loop: Header=BB181_18 Depth=1
	ds_load_2addr_b64 v[0:3], v98 offset0:2 offset1:18
	ds_load_2addr_b64 v[4:7], v98 offset0:34 offset1:50
	;; [unrolled: 1-line block ×12, first 2 shown]
	v_dual_mov_b32 v133, 0 :: v_dual_add_nc_u32 v64, 16, v99
	ds_load_2addr_b64 v[48:51], v102 offset0:130 offset1:146
	ds_load_2addr_b64 v[52:55], v102 offset0:162 offset1:178
	;; [unrolled: 1-line block ×4, first 2 shown]
	ds_load_2addr_stride64_b64 v[64:67], v64 offset1:4
	v_dual_mov_b32 v132, 8 :: v_dual_mov_b32 v131, 16
	v_dual_mov_b32 v130, 24 :: v_dual_mov_b32 v129, 32
	;; [unrolled: 1-line block ×4, first 2 shown]
	v_mov_b32_e32 v124, 0x48
	v_mov_b32_e32 v123, 0x50
	;; [unrolled: 1-line block ×23, first 2 shown]
	s_mov_b64 s[8:9], 0
	s_mov_b32 s17, -1
.LBB181_23:                             ;   Parent Loop BB181_18 Depth=1
                                        ; =>  This Inner Loop Header: Depth=2
	scratch_load_b64 v[138:139], v133, off
	s_cmp_eq_u32 s8, 1
	s_waitcnt lgkmcnt(16)
	v_max_f64 v[136:137], v[0:1], v[0:1]
	s_cselect_b32 vcc_lo, -1, 0
	s_mov_b64 s[8:9], 1
	s_waitcnt lgkmcnt(0)
	v_dual_cndmask_b32 v135, v65, v67 :: v_dual_cndmask_b32 v134, v64, v66
	s_and_b32 vcc_lo, exec_lo, s17
	s_mov_b32 s17, 0
	s_delay_alu instid0(VALU_DEP_1) | instskip(NEXT) | instid1(VALU_DEP_1)
	v_max_f64 v[134:135], v[134:135], v[134:135]
	v_min_f64 v[136:137], v[136:137], v[134:135]
	s_waitcnt vmcnt(0)
	s_delay_alu instid0(VALU_DEP_1) | instskip(SKIP_3) | instid1(VALU_DEP_1)
	v_add_f64 v[136:137], v[138:139], v[136:137]
	scratch_load_b64 v[138:139], v132, off
	scratch_store_b64 v133, v[136:137], off
	v_max_f64 v[136:137], v[2:3], v[2:3]
	v_min_f64 v[136:137], v[136:137], v[134:135]
	s_waitcnt vmcnt(0)
	s_delay_alu instid0(VALU_DEP_1) | instskip(SKIP_3) | instid1(VALU_DEP_1)
	v_add_f64 v[136:137], v[136:137], v[138:139]
	scratch_store_b64 v132, v[136:137], off
	scratch_load_b64 v[136:137], v131, off
	v_max_f64 v[132:133], v[4:5], v[4:5]
	v_min_f64 v[132:133], v[132:133], v[134:135]
	s_waitcnt vmcnt(0)
	s_delay_alu instid0(VALU_DEP_1) | instskip(SKIP_3) | instid1(VALU_DEP_1)
	v_add_f64 v[132:133], v[132:133], v[136:137]
	scratch_load_b64 v[136:137], v130, off
	scratch_store_b64 v131, v[132:133], off
	v_max_f64 v[131:132], v[6:7], v[6:7]
	v_min_f64 v[131:132], v[131:132], v[134:135]
	s_waitcnt vmcnt(0)
	s_delay_alu instid0(VALU_DEP_1) | instskip(SKIP_3) | instid1(VALU_DEP_1)
	v_add_f64 v[131:132], v[131:132], v[136:137]
	scratch_store_b64 v130, v[131:132], off
	scratch_load_b64 v[132:133], v129, off
	v_max_f64 v[130:131], v[8:9], v[8:9]
	v_min_f64 v[130:131], v[130:131], v[134:135]
	s_waitcnt vmcnt(0)
	s_delay_alu instid0(VALU_DEP_1) | instskip(SKIP_4) | instid1(VALU_DEP_1)
	v_add_f64 v[130:131], v[130:131], v[132:133]
	v_mov_b32_e32 v133, 0x100
	scratch_store_b64 v129, v[130:131], off
	scratch_load_b64 v[131:132], v128, off
	v_max_f64 v[129:130], v[10:11], v[10:11]
	v_min_f64 v[129:130], v[129:130], v[134:135]
	s_waitcnt vmcnt(0)
	s_delay_alu instid0(VALU_DEP_1) | instskip(SKIP_4) | instid1(VALU_DEP_1)
	v_add_f64 v[129:130], v[129:130], v[131:132]
	v_mov_b32_e32 v132, 0x108
	;; [unrolled: 8-line block ×27, first 2 shown]
	scratch_store_b64 v103, v[104:105], off
	scratch_load_b64 v[105:106], v72, off
	v_max_f64 v[103:104], v[62:63], v[62:63]
	v_min_f64 v[103:104], v[103:104], v[134:135]
	s_waitcnt vmcnt(0)
	s_delay_alu instid0(VALU_DEP_1)
	v_add_f64 v[103:104], v[103:104], v[105:106]
	v_mov_b32_e32 v106, 0x1d8
	v_mov_b32_e32 v105, 0x1e0
	scratch_store_b64 v72, v[103:104], off
	v_mov_b32_e32 v104, 0x1e8
	v_mov_b32_e32 v103, 0x1f0
	v_mov_b32_e32 v72, 0x1f8
	s_cbranch_vccnz .LBB181_23
; %bb.24:                               ;   in Loop: Header=BB181_18 Depth=1
	ds_load_2addr_b64 v[0:3], v98 offset0:3 offset1:19
	ds_load_2addr_b64 v[4:7], v98 offset0:35 offset1:51
	;; [unrolled: 1-line block ×12, first 2 shown]
	v_dual_mov_b32 v133, 0 :: v_dual_add_nc_u32 v64, 24, v99
	ds_load_2addr_b64 v[48:51], v102 offset0:131 offset1:147
	ds_load_2addr_b64 v[52:55], v102 offset0:163 offset1:179
	;; [unrolled: 1-line block ×4, first 2 shown]
	ds_load_2addr_stride64_b64 v[64:67], v64 offset1:4
	v_dual_mov_b32 v132, 8 :: v_dual_mov_b32 v131, 16
	v_dual_mov_b32 v130, 24 :: v_dual_mov_b32 v129, 32
	v_dual_mov_b32 v128, 40 :: v_dual_mov_b32 v127, 48
	v_dual_mov_b32 v126, 56 :: v_dual_mov_b32 v125, 64
	v_mov_b32_e32 v124, 0x48
	v_mov_b32_e32 v123, 0x50
	v_mov_b32_e32 v122, 0x58
	v_mov_b32_e32 v121, 0x60
	v_mov_b32_e32 v120, 0x68
	v_mov_b32_e32 v119, 0x70
	v_mov_b32_e32 v118, 0x78
	v_mov_b32_e32 v117, 0x80
	v_mov_b32_e32 v116, 0x88
	v_mov_b32_e32 v115, 0x90
	v_mov_b32_e32 v114, 0x98
	v_mov_b32_e32 v113, 0xa0
	v_mov_b32_e32 v112, 0xa8
	v_mov_b32_e32 v111, 0xb0
	v_mov_b32_e32 v110, 0xb8
	v_mov_b32_e32 v109, 0xc0
	v_mov_b32_e32 v108, 0xc8
	v_mov_b32_e32 v107, 0xd0
	v_mov_b32_e32 v106, 0xd8
	v_mov_b32_e32 v105, 0xe0
	v_mov_b32_e32 v104, 0xe8
	v_mov_b32_e32 v103, 0xf0
	v_mov_b32_e32 v72, 0xf8
	s_mov_b64 s[8:9], 0
	s_mov_b32 s17, -1
.LBB181_25:                             ;   Parent Loop BB181_18 Depth=1
                                        ; =>  This Inner Loop Header: Depth=2
	scratch_load_b64 v[138:139], v133, off
	s_cmp_eq_u32 s8, 1
	s_waitcnt lgkmcnt(16)
	v_max_f64 v[136:137], v[0:1], v[0:1]
	s_cselect_b32 vcc_lo, -1, 0
	s_mov_b64 s[8:9], 1
	s_waitcnt lgkmcnt(0)
	v_dual_cndmask_b32 v135, v65, v67 :: v_dual_cndmask_b32 v134, v64, v66
	s_and_b32 vcc_lo, exec_lo, s17
	s_mov_b32 s17, 0
	s_delay_alu instid0(VALU_DEP_1) | instskip(NEXT) | instid1(VALU_DEP_1)
	v_max_f64 v[134:135], v[134:135], v[134:135]
	v_min_f64 v[136:137], v[136:137], v[134:135]
	s_waitcnt vmcnt(0)
	s_delay_alu instid0(VALU_DEP_1) | instskip(SKIP_3) | instid1(VALU_DEP_1)
	v_add_f64 v[136:137], v[138:139], v[136:137]
	scratch_load_b64 v[138:139], v132, off
	scratch_store_b64 v133, v[136:137], off
	v_max_f64 v[136:137], v[2:3], v[2:3]
	v_min_f64 v[136:137], v[136:137], v[134:135]
	s_waitcnt vmcnt(0)
	s_delay_alu instid0(VALU_DEP_1) | instskip(SKIP_3) | instid1(VALU_DEP_1)
	v_add_f64 v[136:137], v[136:137], v[138:139]
	scratch_store_b64 v132, v[136:137], off
	scratch_load_b64 v[136:137], v131, off
	v_max_f64 v[132:133], v[4:5], v[4:5]
	v_min_f64 v[132:133], v[132:133], v[134:135]
	s_waitcnt vmcnt(0)
	s_delay_alu instid0(VALU_DEP_1) | instskip(SKIP_3) | instid1(VALU_DEP_1)
	v_add_f64 v[132:133], v[132:133], v[136:137]
	scratch_load_b64 v[136:137], v130, off
	scratch_store_b64 v131, v[132:133], off
	v_max_f64 v[131:132], v[6:7], v[6:7]
	v_min_f64 v[131:132], v[131:132], v[134:135]
	s_waitcnt vmcnt(0)
	s_delay_alu instid0(VALU_DEP_1) | instskip(SKIP_3) | instid1(VALU_DEP_1)
	v_add_f64 v[131:132], v[131:132], v[136:137]
	scratch_store_b64 v130, v[131:132], off
	scratch_load_b64 v[132:133], v129, off
	v_max_f64 v[130:131], v[8:9], v[8:9]
	v_min_f64 v[130:131], v[130:131], v[134:135]
	s_waitcnt vmcnt(0)
	s_delay_alu instid0(VALU_DEP_1) | instskip(SKIP_4) | instid1(VALU_DEP_1)
	v_add_f64 v[130:131], v[130:131], v[132:133]
	v_mov_b32_e32 v133, 0x100
	scratch_store_b64 v129, v[130:131], off
	scratch_load_b64 v[131:132], v128, off
	v_max_f64 v[129:130], v[10:11], v[10:11]
	v_min_f64 v[129:130], v[129:130], v[134:135]
	s_waitcnt vmcnt(0)
	s_delay_alu instid0(VALU_DEP_1) | instskip(SKIP_4) | instid1(VALU_DEP_1)
	v_add_f64 v[129:130], v[129:130], v[131:132]
	v_mov_b32_e32 v132, 0x108
	;; [unrolled: 8-line block ×27, first 2 shown]
	scratch_store_b64 v103, v[104:105], off
	scratch_load_b64 v[105:106], v72, off
	v_max_f64 v[103:104], v[62:63], v[62:63]
	v_min_f64 v[103:104], v[103:104], v[134:135]
	s_waitcnt vmcnt(0)
	s_delay_alu instid0(VALU_DEP_1)
	v_add_f64 v[103:104], v[103:104], v[105:106]
	v_mov_b32_e32 v106, 0x1d8
	v_mov_b32_e32 v105, 0x1e0
	scratch_store_b64 v72, v[103:104], off
	v_mov_b32_e32 v104, 0x1e8
	v_mov_b32_e32 v103, 0x1f0
	;; [unrolled: 1-line block ×3, first 2 shown]
	s_cbranch_vccnz .LBB181_25
; %bb.26:                               ;   in Loop: Header=BB181_18 Depth=1
	v_add_nc_u32_e32 v4, s16, v90
	ds_store_2addr_stride64_b64 v93, v[80:81], v[82:83] offset1:4
	ds_store_2addr_stride64_b64 v95, v[78:79], v[84:85] offset1:4
	s_waitcnt lgkmcnt(0)
	s_waitcnt_vscnt null, 0x0
	s_barrier
	v_mad_u64_u32 v[0:1], null, v4, s21, 0
	buffer_gl0_inv
	v_dual_mov_b32 v129, 8 :: v_dual_add_nc_u32 v72, 0x800, v92
	v_dual_mov_b32 v130, 0 :: v_dual_mov_b32 v127, 24
	v_dual_mov_b32 v128, 16 :: v_dual_mov_b32 v125, 40
	v_mad_u64_u32 v[2:3], null, v4, s22, v[1:2]
	v_dual_mov_b32 v126, 32 :: v_dual_mov_b32 v123, 56
	v_dual_mov_b32 v124, 48 :: v_dual_mov_b32 v121, 0x48
	v_dual_mov_b32 v122, 64 :: v_dual_mov_b32 v119, 0x58
	s_delay_alu instid0(VALU_DEP_4) | instskip(SKIP_3) | instid1(VALU_DEP_4)
	v_dual_mov_b32 v1, v2 :: v_dual_mov_b32 v120, 0x50
	v_mov_b32_e32 v118, 0x60
	v_mov_b32_e32 v117, 0x68
	;; [unrolled: 1-line block ×3, first 2 shown]
	v_lshlrev_b64 v[0:1], 3, v[0:1]
	v_mov_b32_e32 v115, 0x78
	v_mov_b32_e32 v114, 0x80
	;; [unrolled: 1-line block ×5, first 2 shown]
	v_add_co_u32 v0, vcc_lo, v100, v0
	v_add_co_ci_u32_e32 v1, vcc_lo, v101, v1, vcc_lo
	v_mov_b32_e32 v110, 0xa0
	v_mov_b32_e32 v109, 0xa8
	s_clause 0x1
	flat_load_b64 v[78:79], v[0:1]
	flat_load_b64 v[80:81], v[0:1] offset:512
	s_clause 0x1
	flat_load_b64 v[74:75], v[74:75] offset:32
	flat_load_b64 v[76:77], v[76:77] offset:32
	ds_load_2addr_b64 v[0:3], v92 offset1:16
	ds_load_2addr_b64 v[4:7], v92 offset0:32 offset1:48
	ds_load_2addr_b64 v[8:11], v92 offset0:64 offset1:80
	;; [unrolled: 1-line block ×7, first 2 shown]
	ds_load_2addr_b64 v[32:35], v72 offset1:16
	ds_load_2addr_b64 v[36:39], v72 offset0:32 offset1:48
	ds_load_2addr_b64 v[40:43], v72 offset0:64 offset1:80
	;; [unrolled: 1-line block ×7, first 2 shown]
	ds_load_2addr_stride64_b64 v[64:67], v94 offset1:4
	v_mov_b32_e32 v108, 0xb0
	v_mov_b32_e32 v107, 0xb8
	;; [unrolled: 1-line block ×10, first 2 shown]
	s_mov_b64 s[8:9], 0
	s_mov_b32 s17, -1
.LBB181_27:                             ;   Parent Loop BB181_18 Depth=1
                                        ; =>  This Inner Loop Header: Depth=2
	scratch_load_b64 v[135:136], v130, off
	s_cmp_eq_u32 s8, 1
	s_waitcnt lgkmcnt(16)
	v_max_f64 v[133:134], v[0:1], v[0:1]
	s_cselect_b32 vcc_lo, -1, 0
	s_mov_b64 s[8:9], 1
	s_waitcnt lgkmcnt(0)
	v_dual_cndmask_b32 v132, v65, v67 :: v_dual_cndmask_b32 v131, v64, v66
	s_and_b32 vcc_lo, exec_lo, s17
	s_mov_b32 s17, 0
	s_delay_alu instid0(VALU_DEP_1) | instskip(NEXT) | instid1(VALU_DEP_1)
	v_max_f64 v[131:132], v[131:132], v[131:132]
	v_min_f64 v[133:134], v[133:134], v[131:132]
	s_waitcnt vmcnt(0)
	s_delay_alu instid0(VALU_DEP_1) | instskip(SKIP_3) | instid1(VALU_DEP_1)
	v_add_f64 v[133:134], v[135:136], v[133:134]
	scratch_load_b64 v[135:136], v129, off
	scratch_store_b64 v130, v[133:134], off
	v_max_f64 v[133:134], v[2:3], v[2:3]
	v_min_f64 v[133:134], v[133:134], v[131:132]
	s_waitcnt vmcnt(0)
	s_delay_alu instid0(VALU_DEP_1) | instskip(SKIP_3) | instid1(VALU_DEP_1)
	v_add_f64 v[133:134], v[133:134], v[135:136]
	scratch_store_b64 v129, v[133:134], off
	scratch_load_b64 v[133:134], v128, off
	v_max_f64 v[129:130], v[4:5], v[4:5]
	v_min_f64 v[129:130], v[129:130], v[131:132]
	s_waitcnt vmcnt(0)
	s_delay_alu instid0(VALU_DEP_1) | instskip(SKIP_3) | instid1(VALU_DEP_1)
	v_add_f64 v[129:130], v[129:130], v[133:134]
	scratch_load_b64 v[133:134], v127, off
	scratch_store_b64 v128, v[129:130], off
	v_max_f64 v[128:129], v[6:7], v[6:7]
	v_min_f64 v[128:129], v[128:129], v[131:132]
	s_waitcnt vmcnt(0)
	s_delay_alu instid0(VALU_DEP_1) | instskip(SKIP_3) | instid1(VALU_DEP_1)
	v_add_f64 v[128:129], v[128:129], v[133:134]
	scratch_store_b64 v127, v[128:129], off
	scratch_load_b64 v[129:130], v126, off
	v_max_f64 v[127:128], v[8:9], v[8:9]
	v_min_f64 v[127:128], v[127:128], v[131:132]
	s_waitcnt vmcnt(0)
	s_delay_alu instid0(VALU_DEP_1) | instskip(SKIP_4) | instid1(VALU_DEP_1)
	v_add_f64 v[127:128], v[127:128], v[129:130]
	v_mov_b32_e32 v130, 0x100
	scratch_store_b64 v126, v[127:128], off
	scratch_load_b64 v[128:129], v125, off
	v_max_f64 v[126:127], v[10:11], v[10:11]
	v_min_f64 v[126:127], v[126:127], v[131:132]
	s_waitcnt vmcnt(0)
	s_delay_alu instid0(VALU_DEP_1) | instskip(SKIP_4) | instid1(VALU_DEP_1)
	v_add_f64 v[126:127], v[126:127], v[128:129]
	v_mov_b32_e32 v129, 0x108
	;; [unrolled: 8-line block ×24, first 2 shown]
	scratch_store_b64 v103, v[104:105], off
	scratch_load_b64 v[105:106], v85, off
	v_max_f64 v[103:104], v[56:57], v[56:57]
	v_min_f64 v[103:104], v[103:104], v[131:132]
	s_waitcnt vmcnt(0)
	s_delay_alu instid0(VALU_DEP_1) | instskip(SKIP_3) | instid1(VALU_DEP_1)
	v_add_f64 v[103:104], v[103:104], v[105:106]
	scratch_load_b64 v[105:106], v84, off
	scratch_store_b64 v85, v[103:104], off
	v_max_f64 v[103:104], v[58:59], v[58:59]
	v_min_f64 v[103:104], v[103:104], v[131:132]
	s_waitcnt vmcnt(0)
	s_delay_alu instid0(VALU_DEP_1)
	v_add_f64 v[103:104], v[103:104], v[105:106]
	v_mov_b32_e32 v106, 0x1c0
	v_mov_b32_e32 v105, 0x1c8
	scratch_store_b64 v84, v[103:104], off
	scratch_load_b64 v[103:104], v83, off
	v_max_f64 v[84:85], v[60:61], v[60:61]
	s_delay_alu instid0(VALU_DEP_1) | instskip(SKIP_1) | instid1(VALU_DEP_1)
	v_min_f64 v[84:85], v[84:85], v[131:132]
	s_waitcnt vmcnt(0)
	v_add_f64 v[84:85], v[84:85], v[103:104]
	scratch_load_b64 v[103:104], v82, off
	scratch_store_b64 v83, v[84:85], off
	v_max_f64 v[83:84], v[62:63], v[62:63]
	v_mov_b32_e32 v85, 0x1e0
	s_delay_alu instid0(VALU_DEP_2) | instskip(SKIP_1) | instid1(VALU_DEP_1)
	v_min_f64 v[83:84], v[83:84], v[131:132]
	s_waitcnt vmcnt(0)
	v_add_f64 v[83:84], v[83:84], v[103:104]
	v_mov_b32_e32 v104, 0x1d0
	v_mov_b32_e32 v103, 0x1d8
	scratch_store_b64 v82, v[83:84], off
	v_mov_b32_e32 v84, 0x1e8
	v_mov_b32_e32 v83, 0x1f0
	;; [unrolled: 1-line block ×3, first 2 shown]
	s_cbranch_vccnz .LBB181_27
; %bb.28:                               ;   in Loop: Header=BB181_18 Depth=1
	ds_load_2addr_b64 v[0:3], v92 offset0:1 offset1:17
	ds_load_2addr_b64 v[4:7], v92 offset0:33 offset1:49
	;; [unrolled: 1-line block ×12, first 2 shown]
	v_dual_mov_b32 v129, 8 :: v_dual_add_nc_u32 v64, 8, v94
	ds_load_2addr_b64 v[48:51], v72 offset0:129 offset1:145
	ds_load_2addr_b64 v[52:55], v72 offset0:161 offset1:177
	;; [unrolled: 1-line block ×4, first 2 shown]
	ds_load_2addr_stride64_b64 v[64:67], v64 offset1:4
	v_dual_mov_b32 v130, 0 :: v_dual_mov_b32 v127, 24
	v_dual_mov_b32 v128, 16 :: v_dual_mov_b32 v125, 40
	;; [unrolled: 1-line block ×5, first 2 shown]
	v_mov_b32_e32 v120, 0x50
	v_mov_b32_e32 v118, 0x60
	;; [unrolled: 1-line block ×21, first 2 shown]
	s_mov_b64 s[8:9], 0
	s_mov_b32 s17, -1
.LBB181_29:                             ;   Parent Loop BB181_18 Depth=1
                                        ; =>  This Inner Loop Header: Depth=2
	scratch_load_b64 v[135:136], v130, off
	s_cmp_eq_u32 s8, 1
	s_waitcnt lgkmcnt(16)
	v_max_f64 v[133:134], v[0:1], v[0:1]
	s_cselect_b32 vcc_lo, -1, 0
	s_mov_b64 s[8:9], 1
	s_waitcnt lgkmcnt(0)
	v_dual_cndmask_b32 v132, v65, v67 :: v_dual_cndmask_b32 v131, v64, v66
	s_and_b32 vcc_lo, exec_lo, s17
	s_mov_b32 s17, 0
	s_delay_alu instid0(VALU_DEP_1) | instskip(NEXT) | instid1(VALU_DEP_1)
	v_max_f64 v[131:132], v[131:132], v[131:132]
	v_min_f64 v[133:134], v[133:134], v[131:132]
	s_waitcnt vmcnt(0)
	s_delay_alu instid0(VALU_DEP_1) | instskip(SKIP_3) | instid1(VALU_DEP_1)
	v_add_f64 v[133:134], v[135:136], v[133:134]
	scratch_load_b64 v[135:136], v129, off
	scratch_store_b64 v130, v[133:134], off
	v_max_f64 v[133:134], v[2:3], v[2:3]
	v_min_f64 v[133:134], v[133:134], v[131:132]
	s_waitcnt vmcnt(0)
	s_delay_alu instid0(VALU_DEP_1) | instskip(SKIP_3) | instid1(VALU_DEP_1)
	v_add_f64 v[133:134], v[133:134], v[135:136]
	scratch_store_b64 v129, v[133:134], off
	scratch_load_b64 v[133:134], v128, off
	v_max_f64 v[129:130], v[4:5], v[4:5]
	v_min_f64 v[129:130], v[129:130], v[131:132]
	s_waitcnt vmcnt(0)
	s_delay_alu instid0(VALU_DEP_1) | instskip(SKIP_3) | instid1(VALU_DEP_1)
	v_add_f64 v[129:130], v[129:130], v[133:134]
	scratch_load_b64 v[133:134], v127, off
	scratch_store_b64 v128, v[129:130], off
	v_max_f64 v[128:129], v[6:7], v[6:7]
	v_min_f64 v[128:129], v[128:129], v[131:132]
	s_waitcnt vmcnt(0)
	s_delay_alu instid0(VALU_DEP_1) | instskip(SKIP_3) | instid1(VALU_DEP_1)
	v_add_f64 v[128:129], v[128:129], v[133:134]
	scratch_store_b64 v127, v[128:129], off
	scratch_load_b64 v[129:130], v126, off
	v_max_f64 v[127:128], v[8:9], v[8:9]
	v_min_f64 v[127:128], v[127:128], v[131:132]
	s_waitcnt vmcnt(0)
	s_delay_alu instid0(VALU_DEP_1) | instskip(SKIP_4) | instid1(VALU_DEP_1)
	v_add_f64 v[127:128], v[127:128], v[129:130]
	v_mov_b32_e32 v130, 0x100
	scratch_store_b64 v126, v[127:128], off
	scratch_load_b64 v[128:129], v125, off
	v_max_f64 v[126:127], v[10:11], v[10:11]
	v_min_f64 v[126:127], v[126:127], v[131:132]
	s_waitcnt vmcnt(0)
	s_delay_alu instid0(VALU_DEP_1) | instskip(SKIP_4) | instid1(VALU_DEP_1)
	v_add_f64 v[126:127], v[126:127], v[128:129]
	v_mov_b32_e32 v129, 0x108
	;; [unrolled: 8-line block ×24, first 2 shown]
	scratch_store_b64 v103, v[104:105], off
	scratch_load_b64 v[105:106], v85, off
	v_max_f64 v[103:104], v[56:57], v[56:57]
	v_min_f64 v[103:104], v[103:104], v[131:132]
	s_waitcnt vmcnt(0)
	s_delay_alu instid0(VALU_DEP_1) | instskip(SKIP_3) | instid1(VALU_DEP_1)
	v_add_f64 v[103:104], v[103:104], v[105:106]
	scratch_load_b64 v[105:106], v84, off
	scratch_store_b64 v85, v[103:104], off
	v_max_f64 v[103:104], v[58:59], v[58:59]
	v_min_f64 v[103:104], v[103:104], v[131:132]
	s_waitcnt vmcnt(0)
	s_delay_alu instid0(VALU_DEP_1)
	v_add_f64 v[103:104], v[103:104], v[105:106]
	v_mov_b32_e32 v106, 0x1c0
	v_mov_b32_e32 v105, 0x1c8
	scratch_store_b64 v84, v[103:104], off
	scratch_load_b64 v[103:104], v83, off
	v_max_f64 v[84:85], v[60:61], v[60:61]
	s_delay_alu instid0(VALU_DEP_1) | instskip(SKIP_1) | instid1(VALU_DEP_1)
	v_min_f64 v[84:85], v[84:85], v[131:132]
	s_waitcnt vmcnt(0)
	v_add_f64 v[84:85], v[84:85], v[103:104]
	scratch_load_b64 v[103:104], v82, off
	scratch_store_b64 v83, v[84:85], off
	v_max_f64 v[83:84], v[62:63], v[62:63]
	v_mov_b32_e32 v85, 0x1e0
	s_delay_alu instid0(VALU_DEP_2) | instskip(SKIP_1) | instid1(VALU_DEP_1)
	v_min_f64 v[83:84], v[83:84], v[131:132]
	s_waitcnt vmcnt(0)
	v_add_f64 v[83:84], v[83:84], v[103:104]
	v_mov_b32_e32 v104, 0x1d0
	v_mov_b32_e32 v103, 0x1d8
	scratch_store_b64 v82, v[83:84], off
	v_mov_b32_e32 v84, 0x1e8
	v_mov_b32_e32 v83, 0x1f0
	;; [unrolled: 1-line block ×3, first 2 shown]
	s_cbranch_vccnz .LBB181_29
; %bb.30:                               ;   in Loop: Header=BB181_18 Depth=1
	ds_load_2addr_b64 v[0:3], v92 offset0:2 offset1:18
	ds_load_2addr_b64 v[4:7], v92 offset0:34 offset1:50
	;; [unrolled: 1-line block ×12, first 2 shown]
	v_dual_mov_b32 v129, 8 :: v_dual_add_nc_u32 v64, 16, v94
	ds_load_2addr_b64 v[48:51], v72 offset0:130 offset1:146
	ds_load_2addr_b64 v[52:55], v72 offset0:162 offset1:178
	;; [unrolled: 1-line block ×4, first 2 shown]
	ds_load_2addr_stride64_b64 v[64:67], v64 offset1:4
	v_dual_mov_b32 v130, 0 :: v_dual_mov_b32 v127, 24
	v_dual_mov_b32 v128, 16 :: v_dual_mov_b32 v125, 40
	v_dual_mov_b32 v126, 32 :: v_dual_mov_b32 v123, 56
	v_dual_mov_b32 v124, 48 :: v_dual_mov_b32 v121, 0x48
	v_dual_mov_b32 v122, 64 :: v_dual_mov_b32 v119, 0x58
	v_mov_b32_e32 v120, 0x50
	v_mov_b32_e32 v118, 0x60
	;; [unrolled: 1-line block ×21, first 2 shown]
	s_mov_b64 s[8:9], 0
	s_mov_b32 s17, -1
.LBB181_31:                             ;   Parent Loop BB181_18 Depth=1
                                        ; =>  This Inner Loop Header: Depth=2
	scratch_load_b64 v[135:136], v130, off
	s_cmp_eq_u32 s8, 1
	s_waitcnt lgkmcnt(16)
	v_max_f64 v[133:134], v[0:1], v[0:1]
	s_cselect_b32 vcc_lo, -1, 0
	s_mov_b64 s[8:9], 1
	s_waitcnt lgkmcnt(0)
	v_dual_cndmask_b32 v132, v65, v67 :: v_dual_cndmask_b32 v131, v64, v66
	s_and_b32 vcc_lo, exec_lo, s17
	s_mov_b32 s17, 0
	s_delay_alu instid0(VALU_DEP_1) | instskip(NEXT) | instid1(VALU_DEP_1)
	v_max_f64 v[131:132], v[131:132], v[131:132]
	v_min_f64 v[133:134], v[133:134], v[131:132]
	s_waitcnt vmcnt(0)
	s_delay_alu instid0(VALU_DEP_1) | instskip(SKIP_3) | instid1(VALU_DEP_1)
	v_add_f64 v[133:134], v[135:136], v[133:134]
	scratch_load_b64 v[135:136], v129, off
	scratch_store_b64 v130, v[133:134], off
	v_max_f64 v[133:134], v[2:3], v[2:3]
	v_min_f64 v[133:134], v[133:134], v[131:132]
	s_waitcnt vmcnt(0)
	s_delay_alu instid0(VALU_DEP_1) | instskip(SKIP_3) | instid1(VALU_DEP_1)
	v_add_f64 v[133:134], v[133:134], v[135:136]
	scratch_store_b64 v129, v[133:134], off
	scratch_load_b64 v[133:134], v128, off
	v_max_f64 v[129:130], v[4:5], v[4:5]
	v_min_f64 v[129:130], v[129:130], v[131:132]
	s_waitcnt vmcnt(0)
	s_delay_alu instid0(VALU_DEP_1) | instskip(SKIP_3) | instid1(VALU_DEP_1)
	v_add_f64 v[129:130], v[129:130], v[133:134]
	scratch_load_b64 v[133:134], v127, off
	scratch_store_b64 v128, v[129:130], off
	v_max_f64 v[128:129], v[6:7], v[6:7]
	v_min_f64 v[128:129], v[128:129], v[131:132]
	s_waitcnt vmcnt(0)
	s_delay_alu instid0(VALU_DEP_1) | instskip(SKIP_3) | instid1(VALU_DEP_1)
	v_add_f64 v[128:129], v[128:129], v[133:134]
	scratch_store_b64 v127, v[128:129], off
	scratch_load_b64 v[129:130], v126, off
	v_max_f64 v[127:128], v[8:9], v[8:9]
	v_min_f64 v[127:128], v[127:128], v[131:132]
	s_waitcnt vmcnt(0)
	s_delay_alu instid0(VALU_DEP_1) | instskip(SKIP_4) | instid1(VALU_DEP_1)
	v_add_f64 v[127:128], v[127:128], v[129:130]
	v_mov_b32_e32 v130, 0x100
	scratch_store_b64 v126, v[127:128], off
	scratch_load_b64 v[128:129], v125, off
	v_max_f64 v[126:127], v[10:11], v[10:11]
	v_min_f64 v[126:127], v[126:127], v[131:132]
	s_waitcnt vmcnt(0)
	s_delay_alu instid0(VALU_DEP_1) | instskip(SKIP_4) | instid1(VALU_DEP_1)
	v_add_f64 v[126:127], v[126:127], v[128:129]
	v_mov_b32_e32 v129, 0x108
	;; [unrolled: 8-line block ×24, first 2 shown]
	scratch_store_b64 v103, v[104:105], off
	scratch_load_b64 v[105:106], v85, off
	v_max_f64 v[103:104], v[56:57], v[56:57]
	v_min_f64 v[103:104], v[103:104], v[131:132]
	s_waitcnt vmcnt(0)
	s_delay_alu instid0(VALU_DEP_1) | instskip(SKIP_3) | instid1(VALU_DEP_1)
	v_add_f64 v[103:104], v[103:104], v[105:106]
	scratch_load_b64 v[105:106], v84, off
	scratch_store_b64 v85, v[103:104], off
	v_max_f64 v[103:104], v[58:59], v[58:59]
	v_min_f64 v[103:104], v[103:104], v[131:132]
	s_waitcnt vmcnt(0)
	s_delay_alu instid0(VALU_DEP_1)
	v_add_f64 v[103:104], v[103:104], v[105:106]
	v_mov_b32_e32 v106, 0x1c0
	v_mov_b32_e32 v105, 0x1c8
	scratch_store_b64 v84, v[103:104], off
	scratch_load_b64 v[103:104], v83, off
	v_max_f64 v[84:85], v[60:61], v[60:61]
	s_delay_alu instid0(VALU_DEP_1) | instskip(SKIP_1) | instid1(VALU_DEP_1)
	v_min_f64 v[84:85], v[84:85], v[131:132]
	s_waitcnt vmcnt(0)
	v_add_f64 v[84:85], v[84:85], v[103:104]
	scratch_load_b64 v[103:104], v82, off
	scratch_store_b64 v83, v[84:85], off
	v_max_f64 v[83:84], v[62:63], v[62:63]
	v_mov_b32_e32 v85, 0x1e0
	s_delay_alu instid0(VALU_DEP_2) | instskip(SKIP_1) | instid1(VALU_DEP_1)
	v_min_f64 v[83:84], v[83:84], v[131:132]
	s_waitcnt vmcnt(0)
	v_add_f64 v[83:84], v[83:84], v[103:104]
	v_mov_b32_e32 v104, 0x1d0
	v_mov_b32_e32 v103, 0x1d8
	scratch_store_b64 v82, v[83:84], off
	v_mov_b32_e32 v84, 0x1e8
	v_mov_b32_e32 v83, 0x1f0
	;; [unrolled: 1-line block ×3, first 2 shown]
	s_cbranch_vccnz .LBB181_31
; %bb.32:                               ;   in Loop: Header=BB181_18 Depth=1
	ds_load_2addr_b64 v[0:3], v92 offset0:3 offset1:19
	ds_load_2addr_b64 v[4:7], v92 offset0:35 offset1:51
	;; [unrolled: 1-line block ×12, first 2 shown]
	v_dual_mov_b32 v129, 0 :: v_dual_add_nc_u32 v64, 24, v94
	ds_load_2addr_b64 v[48:51], v72 offset0:131 offset1:147
	ds_load_2addr_b64 v[52:55], v72 offset0:163 offset1:179
	;; [unrolled: 1-line block ×4, first 2 shown]
	ds_load_2addr_stride64_b64 v[64:67], v64 offset1:4
	v_dual_mov_b32 v128, 8 :: v_dual_mov_b32 v127, 16
	v_dual_mov_b32 v126, 24 :: v_dual_mov_b32 v125, 32
	v_dual_mov_b32 v124, 40 :: v_dual_mov_b32 v123, 48
	v_dual_mov_b32 v122, 56 :: v_dual_mov_b32 v121, 64
	v_mov_b32_e32 v120, 0x48
	v_mov_b32_e32 v119, 0x50
	;; [unrolled: 1-line block ×23, first 2 shown]
	s_mov_b64 s[8:9], 0
	s_mov_b32 s17, -1
.LBB181_33:                             ;   Parent Loop BB181_18 Depth=1
                                        ; =>  This Inner Loop Header: Depth=2
	scratch_load_b64 v[134:135], v129, off
	s_cmp_eq_u32 s8, 1
	s_waitcnt lgkmcnt(16)
	v_max_f64 v[132:133], v[0:1], v[0:1]
	s_cselect_b32 vcc_lo, -1, 0
	s_mov_b64 s[8:9], 1
	s_waitcnt lgkmcnt(0)
	v_dual_cndmask_b32 v131, v65, v67 :: v_dual_cndmask_b32 v130, v64, v66
	s_and_b32 vcc_lo, exec_lo, s17
	s_mov_b32 s17, 0
	s_delay_alu instid0(VALU_DEP_1) | instskip(NEXT) | instid1(VALU_DEP_1)
	v_max_f64 v[130:131], v[130:131], v[130:131]
	v_min_f64 v[132:133], v[132:133], v[130:131]
	s_waitcnt vmcnt(0)
	s_delay_alu instid0(VALU_DEP_1) | instskip(SKIP_3) | instid1(VALU_DEP_1)
	v_add_f64 v[132:133], v[134:135], v[132:133]
	scratch_load_b64 v[134:135], v128, off
	scratch_store_b64 v129, v[132:133], off
	v_max_f64 v[132:133], v[2:3], v[2:3]
	v_min_f64 v[132:133], v[132:133], v[130:131]
	s_waitcnt vmcnt(0)
	s_delay_alu instid0(VALU_DEP_1) | instskip(SKIP_3) | instid1(VALU_DEP_1)
	v_add_f64 v[132:133], v[132:133], v[134:135]
	scratch_store_b64 v128, v[132:133], off
	scratch_load_b64 v[132:133], v127, off
	v_max_f64 v[128:129], v[4:5], v[4:5]
	v_min_f64 v[128:129], v[128:129], v[130:131]
	s_waitcnt vmcnt(0)
	s_delay_alu instid0(VALU_DEP_1) | instskip(SKIP_3) | instid1(VALU_DEP_1)
	v_add_f64 v[128:129], v[128:129], v[132:133]
	scratch_load_b64 v[132:133], v126, off
	scratch_store_b64 v127, v[128:129], off
	v_max_f64 v[127:128], v[6:7], v[6:7]
	v_min_f64 v[127:128], v[127:128], v[130:131]
	s_waitcnt vmcnt(0)
	s_delay_alu instid0(VALU_DEP_1) | instskip(SKIP_3) | instid1(VALU_DEP_1)
	v_add_f64 v[127:128], v[127:128], v[132:133]
	scratch_store_b64 v126, v[127:128], off
	scratch_load_b64 v[128:129], v125, off
	v_max_f64 v[126:127], v[8:9], v[8:9]
	v_min_f64 v[126:127], v[126:127], v[130:131]
	s_waitcnt vmcnt(0)
	s_delay_alu instid0(VALU_DEP_1) | instskip(SKIP_4) | instid1(VALU_DEP_1)
	v_add_f64 v[126:127], v[126:127], v[128:129]
	v_mov_b32_e32 v129, 0x100
	scratch_store_b64 v125, v[126:127], off
	scratch_load_b64 v[127:128], v124, off
	v_max_f64 v[125:126], v[10:11], v[10:11]
	v_min_f64 v[125:126], v[125:126], v[130:131]
	s_waitcnt vmcnt(0)
	s_delay_alu instid0(VALU_DEP_1) | instskip(SKIP_4) | instid1(VALU_DEP_1)
	v_add_f64 v[125:126], v[125:126], v[127:128]
	v_mov_b32_e32 v128, 0x108
	;; [unrolled: 8-line block ×23, first 2 shown]
	scratch_store_b64 v103, v[104:105], off
	scratch_load_b64 v[105:106], v85, off
	v_max_f64 v[103:104], v[54:55], v[54:55]
	v_min_f64 v[103:104], v[103:104], v[130:131]
	s_waitcnt vmcnt(0)
	s_delay_alu instid0(VALU_DEP_1) | instskip(SKIP_3) | instid1(VALU_DEP_1)
	v_add_f64 v[103:104], v[103:104], v[105:106]
	scratch_load_b64 v[105:106], v84, off
	scratch_store_b64 v85, v[103:104], off
	v_max_f64 v[103:104], v[56:57], v[56:57]
	v_min_f64 v[103:104], v[103:104], v[130:131]
	s_waitcnt vmcnt(0)
	s_delay_alu instid0(VALU_DEP_1)
	v_add_f64 v[103:104], v[103:104], v[105:106]
	v_mov_b32_e32 v106, 0x1b8
	v_mov_b32_e32 v105, 0x1c0
	scratch_store_b64 v84, v[103:104], off
	scratch_load_b64 v[103:104], v83, off
	v_max_f64 v[84:85], v[58:59], v[58:59]
	s_delay_alu instid0(VALU_DEP_1) | instskip(SKIP_1) | instid1(VALU_DEP_1)
	v_min_f64 v[84:85], v[84:85], v[130:131]
	s_waitcnt vmcnt(0)
	v_add_f64 v[84:85], v[84:85], v[103:104]
	scratch_load_b64 v[103:104], v82, off
	scratch_store_b64 v83, v[84:85], off
	v_max_f64 v[83:84], v[60:61], v[60:61]
	s_delay_alu instid0(VALU_DEP_1) | instskip(SKIP_1) | instid1(VALU_DEP_1)
	v_min_f64 v[83:84], v[83:84], v[130:131]
	s_waitcnt vmcnt(0)
	v_add_f64 v[83:84], v[83:84], v[103:104]
	v_mov_b32_e32 v104, 0x1c8
	v_mov_b32_e32 v103, 0x1d0
	scratch_store_b64 v82, v[83:84], off
	scratch_load_b64 v[84:85], v72, off
	v_max_f64 v[82:83], v[62:63], v[62:63]
	s_delay_alu instid0(VALU_DEP_1) | instskip(SKIP_1) | instid1(VALU_DEP_1)
	v_min_f64 v[82:83], v[82:83], v[130:131]
	s_waitcnt vmcnt(0)
	v_add_f64 v[82:83], v[82:83], v[84:85]
	v_mov_b32_e32 v85, 0x1d8
	v_mov_b32_e32 v84, 0x1e0
	scratch_store_b64 v72, v[82:83], off
	v_mov_b32_e32 v83, 0x1e8
	v_mov_b32_e32 v82, 0x1f0
	;; [unrolled: 1-line block ×3, first 2 shown]
	s_cbranch_vccnz .LBB181_33
; %bb.34:                               ;   in Loop: Header=BB181_18 Depth=1
	s_add_i32 s13, s13, 8
	s_add_i32 s16, s16, 8
	s_cmp_ge_i32 s13, s12
	ds_store_2addr_stride64_b64 v96, v[78:79], v[80:81] offset1:4
	ds_store_2addr_stride64_b64 v97, v[74:75], v[76:77] offset1:4
	s_waitcnt lgkmcnt(0)
	s_waitcnt_vscnt null, 0x0
	s_barrier
	buffer_gl0_inv
	s_cbranch_scc0 .LBB181_18
.LBB181_35:
	v_dual_mov_b32 v71, 8 :: v_dual_add_nc_u32 v28, 0x1000, v92
	v_dual_mov_b32 v75, 40 :: v_dual_add_nc_u32 v60, 0x1800, v92
	;; [unrolled: 1-line block ×3, first 2 shown]
	ds_load_2addr_b64 v[0:3], v28 offset1:16
	ds_load_2addr_b64 v[4:7], v28 offset0:32 offset1:48
	ds_load_2addr_b64 v[8:11], v28 offset0:64 offset1:80
	;; [unrolled: 1-line block ×7, first 2 shown]
	ds_load_2addr_b64 v[32:35], v60 offset1:16
	ds_load_2addr_b64 v[36:39], v60 offset0:32 offset1:48
	ds_load_2addr_b64 v[40:43], v60 offset0:64 offset1:80
	;; [unrolled: 1-line block ×7, first 2 shown]
	ds_load_2addr_stride64_b64 v[64:67], v91 offset0:24 offset1:28
	v_dual_mov_b32 v70, 0 :: v_dual_add_nc_u32 v69, 0x3000, v91
	v_dual_mov_b32 v72, 16 :: v_dual_mov_b32 v77, 56
	v_dual_mov_b32 v74, 32 :: v_dual_mov_b32 v79, 0x48
	;; [unrolled: 1-line block ×4, first 2 shown]
	v_mov_b32_e32 v80, 0x50
	v_mov_b32_e32 v82, 0x60
	v_mov_b32_e32 v84, 0x70
	v_mov_b32_e32 v85, 0x78
	v_mov_b32_e32 v88, 0x80
	v_mov_b32_e32 v89, 0x88
	v_mov_b32_e32 v90, 0x90
	v_mov_b32_e32 v91, 0x98
	v_mov_b32_e32 v92, 0xa0
	v_mov_b32_e32 v93, 0xa8
	v_mov_b32_e32 v94, 0xb0
	v_mov_b32_e32 v95, 0xb8
	v_mov_b32_e32 v96, 0xc0
	v_mov_b32_e32 v97, 0xc8
	v_mov_b32_e32 v98, 0xd0
	v_mov_b32_e32 v99, 0xd8
	v_mov_b32_e32 v100, 0xe0
	v_mov_b32_e32 v101, 0xe8
	v_mov_b32_e32 v102, 0xf0
	v_mov_b32_e32 v103, 0xf8
	s_mov_b64 s[2:3], 0
	s_mov_b32 s8, -1
.LBB181_36:                             ; =>This Inner Loop Header: Depth=1
	scratch_load_b64 v[104:105], v70, off
	scratch_load_b64 v[106:107], v71, off
	;; [unrolled: 1-line block ×32, first 2 shown]
	s_cmp_eq_u32 s2, 1
	s_waitcnt lgkmcnt(16)
	v_max_f64 v[170:171], v[0:1], v[0:1]
	s_cselect_b32 vcc_lo, -1, 0
	v_max_f64 v[172:173], v[2:3], v[2:3]
	s_waitcnt lgkmcnt(0)
	v_dual_cndmask_b32 v169, v65, v67 :: v_dual_cndmask_b32 v168, v64, v66
	v_max_f64 v[174:175], v[4:5], v[4:5]
	v_max_f64 v[176:177], v[6:7], v[6:7]
	;; [unrolled: 1-line block ×31, first 2 shown]
	s_mov_b64 s[2:3], 1
	s_and_b32 vcc_lo, exec_lo, s8
	s_mov_b32 s8, 0
	v_min_f64 v[170:171], v[170:171], v[168:169]
	v_min_f64 v[172:173], v[172:173], v[168:169]
	;; [unrolled: 1-line block ×32, first 2 shown]
	s_waitcnt vmcnt(31)
	v_add_f64 v[104:105], v[104:105], v[170:171]
	s_waitcnt vmcnt(30)
	v_add_f64 v[106:107], v[172:173], v[106:107]
	;; [unrolled: 2-line block ×32, first 2 shown]
	scratch_store_b64 v70, v[104:105], off
	scratch_store_b64 v71, v[106:107], off
	;; [unrolled: 1-line block ×32, first 2 shown]
	v_mov_b32_e32 v70, 0x100
	v_mov_b32_e32 v71, 0x108
	;; [unrolled: 1-line block ×32, first 2 shown]
	s_cbranch_vccnz .LBB181_36
; %bb.37:
	v_dual_mov_b32 v71, 8 :: v_dual_add_nc_u32 v60, 0x800, v68
	ds_load_2addr_b64 v[0:3], v68 offset0:1 offset1:17
	ds_load_2addr_b64 v[4:7], v68 offset0:33 offset1:49
	;; [unrolled: 1-line block ×12, first 2 shown]
	v_dual_mov_b32 v73, 24 :: v_dual_add_nc_u32 v64, 8, v69
	ds_load_2addr_b64 v[48:51], v60 offset0:129 offset1:145
	ds_load_2addr_b64 v[52:55], v60 offset0:161 offset1:177
	;; [unrolled: 1-line block ×4, first 2 shown]
	ds_load_2addr_stride64_b64 v[64:67], v64 offset1:4
	v_dual_mov_b32 v70, 0 :: v_dual_mov_b32 v75, 40
	v_dual_mov_b32 v72, 16 :: v_dual_mov_b32 v77, 56
	;; [unrolled: 1-line block ×5, first 2 shown]
	v_mov_b32_e32 v80, 0x50
	v_mov_b32_e32 v82, 0x60
	;; [unrolled: 1-line block ×20, first 2 shown]
	s_mov_b64 s[2:3], 0
	s_mov_b32 s8, -1
.LBB181_38:                             ; =>This Inner Loop Header: Depth=1
	scratch_load_b64 v[104:105], v70, off
	scratch_load_b64 v[106:107], v71, off
	scratch_load_b64 v[108:109], v72, off
	scratch_load_b64 v[110:111], v73, off
	scratch_load_b64 v[112:113], v74, off
	scratch_load_b64 v[114:115], v75, off
	scratch_load_b64 v[116:117], v76, off
	scratch_load_b64 v[118:119], v77, off
	scratch_load_b64 v[120:121], v78, off
	scratch_load_b64 v[122:123], v79, off
	scratch_load_b64 v[124:125], v80, off
	scratch_load_b64 v[126:127], v81, off
	scratch_load_b64 v[128:129], v82, off
	scratch_load_b64 v[130:131], v83, off
	scratch_load_b64 v[132:133], v84, off
	scratch_load_b64 v[134:135], v85, off
	scratch_load_b64 v[136:137], v88, off
	scratch_load_b64 v[138:139], v89, off
	scratch_load_b64 v[140:141], v90, off
	scratch_load_b64 v[142:143], v91, off
	scratch_load_b64 v[144:145], v92, off
	scratch_load_b64 v[146:147], v93, off
	scratch_load_b64 v[148:149], v94, off
	scratch_load_b64 v[150:151], v95, off
	scratch_load_b64 v[152:153], v96, off
	scratch_load_b64 v[154:155], v97, off
	scratch_load_b64 v[156:157], v98, off
	scratch_load_b64 v[158:159], v99, off
	scratch_load_b64 v[160:161], v100, off
	scratch_load_b64 v[162:163], v101, off
	scratch_load_b64 v[164:165], v102, off
	scratch_load_b64 v[166:167], v103, off
	s_cmp_eq_u32 s2, 1
	s_waitcnt lgkmcnt(16)
	v_max_f64 v[170:171], v[0:1], v[0:1]
	s_cselect_b32 vcc_lo, -1, 0
	v_max_f64 v[172:173], v[2:3], v[2:3]
	s_waitcnt lgkmcnt(0)
	v_dual_cndmask_b32 v169, v65, v67 :: v_dual_cndmask_b32 v168, v64, v66
	v_max_f64 v[174:175], v[4:5], v[4:5]
	v_max_f64 v[176:177], v[6:7], v[6:7]
	;; [unrolled: 1-line block ×31, first 2 shown]
	s_mov_b64 s[2:3], 1
	s_and_b32 vcc_lo, exec_lo, s8
	s_mov_b32 s8, 0
	v_min_f64 v[170:171], v[170:171], v[168:169]
	v_min_f64 v[172:173], v[172:173], v[168:169]
	;; [unrolled: 1-line block ×32, first 2 shown]
	s_waitcnt vmcnt(31)
	v_add_f64 v[104:105], v[104:105], v[170:171]
	s_waitcnt vmcnt(30)
	v_add_f64 v[106:107], v[172:173], v[106:107]
	;; [unrolled: 2-line block ×32, first 2 shown]
	scratch_store_b64 v70, v[104:105], off
	scratch_store_b64 v71, v[106:107], off
	;; [unrolled: 1-line block ×32, first 2 shown]
	v_mov_b32_e32 v70, 0x100
	v_mov_b32_e32 v71, 0x108
	;; [unrolled: 1-line block ×32, first 2 shown]
	s_cbranch_vccnz .LBB181_38
; %bb.39:
	v_dual_mov_b32 v71, 8 :: v_dual_add_nc_u32 v60, 0x800, v68
	ds_load_2addr_b64 v[0:3], v68 offset0:2 offset1:18
	ds_load_2addr_b64 v[4:7], v68 offset0:34 offset1:50
	;; [unrolled: 1-line block ×12, first 2 shown]
	v_dual_mov_b32 v73, 24 :: v_dual_add_nc_u32 v64, 16, v69
	ds_load_2addr_b64 v[48:51], v60 offset0:130 offset1:146
	ds_load_2addr_b64 v[52:55], v60 offset0:162 offset1:178
	;; [unrolled: 1-line block ×4, first 2 shown]
	ds_load_2addr_stride64_b64 v[64:67], v64 offset1:4
	v_dual_mov_b32 v70, 0 :: v_dual_mov_b32 v75, 40
	v_dual_mov_b32 v72, 16 :: v_dual_mov_b32 v77, 56
	;; [unrolled: 1-line block ×5, first 2 shown]
	v_mov_b32_e32 v80, 0x50
	v_mov_b32_e32 v82, 0x60
	;; [unrolled: 1-line block ×20, first 2 shown]
	s_mov_b64 s[2:3], 0
	s_mov_b32 s8, -1
.LBB181_40:                             ; =>This Inner Loop Header: Depth=1
	scratch_load_b64 v[104:105], v70, off
	scratch_load_b64 v[106:107], v71, off
	;; [unrolled: 1-line block ×32, first 2 shown]
	s_cmp_eq_u32 s2, 1
	s_waitcnt lgkmcnt(16)
	v_max_f64 v[170:171], v[0:1], v[0:1]
	s_cselect_b32 vcc_lo, -1, 0
	v_max_f64 v[172:173], v[2:3], v[2:3]
	s_waitcnt lgkmcnt(0)
	v_dual_cndmask_b32 v169, v65, v67 :: v_dual_cndmask_b32 v168, v64, v66
	v_max_f64 v[174:175], v[4:5], v[4:5]
	v_max_f64 v[176:177], v[6:7], v[6:7]
	;; [unrolled: 1-line block ×31, first 2 shown]
	s_mov_b64 s[2:3], 1
	s_and_b32 vcc_lo, exec_lo, s8
	s_mov_b32 s8, 0
	v_min_f64 v[170:171], v[170:171], v[168:169]
	v_min_f64 v[172:173], v[172:173], v[168:169]
	;; [unrolled: 1-line block ×32, first 2 shown]
	s_waitcnt vmcnt(31)
	v_add_f64 v[104:105], v[104:105], v[170:171]
	s_waitcnt vmcnt(30)
	v_add_f64 v[106:107], v[172:173], v[106:107]
	;; [unrolled: 2-line block ×32, first 2 shown]
	scratch_store_b64 v70, v[104:105], off
	scratch_store_b64 v71, v[106:107], off
	;; [unrolled: 1-line block ×32, first 2 shown]
	v_mov_b32_e32 v70, 0x100
	v_mov_b32_e32 v71, 0x108
	;; [unrolled: 1-line block ×32, first 2 shown]
	s_cbranch_vccnz .LBB181_40
; %bb.41:
	v_add_nc_u32_e32 v60, 0x800, v68
	ds_load_2addr_b64 v[0:3], v68 offset0:3 offset1:19
	ds_load_2addr_b64 v[4:7], v68 offset0:35 offset1:51
	;; [unrolled: 1-line block ×4, first 2 shown]
	v_dual_mov_b32 v71, 24 :: v_dual_add_nc_u32 v64, 24, v69
	v_mov_b32_e32 v69, 8
	ds_load_2addr_b64 v[16:19], v68 offset0:131 offset1:147
	ds_load_2addr_b64 v[20:23], v68 offset0:163 offset1:179
	;; [unrolled: 1-line block ×12, first 2 shown]
	ds_load_2addr_stride64_b64 v[64:67], v64 offset1:4
	v_dual_mov_b32 v68, 0 :: v_dual_mov_b32 v73, 40
	v_dual_mov_b32 v70, 16 :: v_dual_mov_b32 v75, 56
	;; [unrolled: 1-line block ×5, first 2 shown]
	v_mov_b32_e32 v78, 0x50
	v_mov_b32_e32 v80, 0x60
	;; [unrolled: 1-line block ×20, first 2 shown]
	s_mov_b64 s[2:3], 0
	s_mov_b32 s8, -1
.LBB181_42:                             ; =>This Inner Loop Header: Depth=1
	scratch_load_b64 v[102:103], v68, off
	scratch_load_b64 v[104:105], v69, off
	;; [unrolled: 1-line block ×32, first 2 shown]
	s_cmp_eq_u32 s2, 1
	s_waitcnt lgkmcnt(16)
	v_max_f64 v[168:169], v[0:1], v[0:1]
	s_cselect_b32 vcc_lo, -1, 0
	v_max_f64 v[170:171], v[2:3], v[2:3]
	s_waitcnt lgkmcnt(0)
	v_dual_cndmask_b32 v167, v65, v67 :: v_dual_cndmask_b32 v166, v64, v66
	v_max_f64 v[172:173], v[4:5], v[4:5]
	v_max_f64 v[174:175], v[6:7], v[6:7]
	;; [unrolled: 1-line block ×31, first 2 shown]
	s_mov_b64 s[2:3], 1
	s_and_b32 vcc_lo, exec_lo, s8
	s_mov_b32 s8, 0
	v_min_f64 v[168:169], v[168:169], v[166:167]
	v_min_f64 v[170:171], v[170:171], v[166:167]
	;; [unrolled: 1-line block ×32, first 2 shown]
	s_waitcnt vmcnt(31)
	v_add_f64 v[102:103], v[102:103], v[168:169]
	s_waitcnt vmcnt(30)
	v_add_f64 v[104:105], v[170:171], v[104:105]
	;; [unrolled: 2-line block ×32, first 2 shown]
	scratch_store_b64 v68, v[102:103], off
	scratch_store_b64 v69, v[104:105], off
	;; [unrolled: 1-line block ×32, first 2 shown]
	v_mov_b32_e32 v68, 0x100
	v_mov_b32_e32 v69, 0x108
	;; [unrolled: 1-line block ×32, first 2 shown]
	s_cbranch_vccnz .LBB181_42
; %bb.43:
	scratch_load_b64 v[2:3], off, off
	s_load_b32 s3, s[0:1], 0x58
	v_dual_mov_b32 v4, 0 :: v_dual_add_nc_u32 v71, s18, v87
	v_dual_mov_b32 v5, 0 :: v_dual_add_nc_u32 v12, s14, v86
	v_mov_b32_e32 v8, 0
	v_mov_b32_e32 v9, 0
	s_and_b32 s2, exec_lo, s19
	s_delay_alu instid0(VALU_DEP_3) | instskip(SKIP_2) | instid1(VALU_DEP_1)
	v_ashrrev_i32_e32 v13, 31, v12
	s_waitcnt lgkmcnt(0)
	v_mad_i64_i32 v[0:1], null, v71, s3, 0
	v_lshlrev_b64 v[0:1], 3, v[0:1]
	s_delay_alu instid0(VALU_DEP_1) | instskip(NEXT) | instid1(VALU_DEP_2)
	v_add_co_u32 v72, vcc_lo, s4, v0
	v_add_co_ci_u32_e32 v73, vcc_lo, s5, v1, vcc_lo
	v_lshlrev_b64 v[0:1], 3, v[12:13]
	s_mov_b32 vcc_lo, s2
	s_cbranch_vccz .LBB181_45
; %bb.44:
	s_delay_alu instid0(VALU_DEP_1) | instskip(NEXT) | instid1(VALU_DEP_2)
	v_add_co_u32 v6, vcc_lo, v72, v0
	v_add_co_ci_u32_e32 v7, vcc_lo, v73, v1, vcc_lo
	flat_load_b64 v[6:7], v[6:7]
	s_waitcnt vmcnt(0) lgkmcnt(0)
	v_mul_f64 v[8:9], v[6:7], s[6:7]
.LBB181_45:
	scratch_load_b64 v[6:7], off, off offset:8
	s_clause 0x1
	s_load_b64 s[8:9], s[0:1], 0x78
	s_load_b32 s1, s[0:1], 0x70
	s_waitcnt vmcnt(1)
	v_add_f64 v[8:9], v[2:3], v[8:9]
	v_add_nc_u32_e32 v10, 4, v12
	v_cndmask_b32_e64 v13, 0, 1, s19
	s_delay_alu instid0(VALU_DEP_2) | instskip(SKIP_4) | instid1(SALU_CYCLE_1)
	v_ashrrev_i32_e32 v11, 31, v10
	s_waitcnt lgkmcnt(0)
	s_mul_i32 s0, s15, s9
	v_mad_i64_i32 v[2:3], null, v71, s1, 0
	s_mul_hi_u32 s9, s15, s8
	s_add_i32 s0, s9, s0
	s_mul_i32 s9, s20, s8
	s_mul_i32 s8, s15, s8
	s_add_i32 s9, s0, s9
	s_delay_alu instid0(VALU_DEP_1) | instskip(SKIP_4) | instid1(VALU_DEP_2)
	v_lshlrev_b64 v[2:3], 3, v[2:3]
	s_lshl_b64 s[8:9], s[8:9], 3
	v_cmp_ne_u32_e64 s0, 1, v13
	s_add_u32 s8, s10, s8
	s_addc_u32 s9, s11, s9
	v_add_co_u32 v74, vcc_lo, s8, v2
	v_add_co_ci_u32_e32 v75, vcc_lo, s9, v3, vcc_lo
	v_lshlrev_b64 v[2:3], 3, v[10:11]
	s_delay_alu instid0(VALU_DEP_3) | instskip(NEXT) | instid1(VALU_DEP_3)
	v_add_co_u32 v13, vcc_lo, v74, v0
	v_add_co_ci_u32_e32 v14, vcc_lo, v75, v1, vcc_lo
	s_and_not1_b32 vcc_lo, exec_lo, s19
	global_store_b64 v[13:14], v[8:9], off
	s_cbranch_vccnz .LBB181_47
; %bb.46:
	v_add_co_u32 v4, vcc_lo, v72, v2
	v_add_co_ci_u32_e32 v5, vcc_lo, v73, v3, vcc_lo
	flat_load_b64 v[4:5], v[4:5]
	s_waitcnt vmcnt(0) lgkmcnt(0)
	v_mul_f64 v[4:5], v[4:5], s[6:7]
.LBB181_47:
	scratch_load_b64 v[10:11], off, off offset:16
	s_waitcnt vmcnt(1)
	v_add_f64 v[13:14], v[6:7], v[4:5]
	v_add_nc_u32_e32 v4, 8, v12
	v_mov_b32_e32 v8, 0
	v_mov_b32_e32 v9, 0
	v_add_co_u32 v15, vcc_lo, v74, v2
	s_delay_alu instid0(VALU_DEP_4) | instskip(SKIP_3) | instid1(VALU_DEP_4)
	v_ashrrev_i32_e32 v5, 31, v4
	v_mov_b32_e32 v6, 0
	v_mov_b32_e32 v7, 0
	v_add_co_ci_u32_e32 v16, vcc_lo, v75, v3, vcc_lo
	v_lshlrev_b64 v[4:5], 3, v[4:5]
	s_and_b32 vcc_lo, exec_lo, s0
	global_store_b64 v[15:16], v[13:14], off
	s_cbranch_vccnz .LBB181_49
; %bb.48:
	v_add_co_u32 v6, vcc_lo, v72, v4
	v_add_co_ci_u32_e32 v7, vcc_lo, v73, v5, vcc_lo
	flat_load_b64 v[6:7], v[6:7]
	s_waitcnt vmcnt(0) lgkmcnt(0)
	v_mul_f64 v[6:7], v[6:7], s[6:7]
.LBB181_49:
	scratch_load_b64 v[13:14], off, off offset:24
	s_waitcnt vmcnt(1)
	v_add_f64 v[10:11], v[10:11], v[6:7]
	v_add_nc_u32_e32 v6, 12, v12
	v_add_co_u32 v15, vcc_lo, v74, v4
	v_add_co_ci_u32_e32 v16, vcc_lo, v75, v5, vcc_lo
	s_delay_alu instid0(VALU_DEP_3) | instskip(SKIP_1) | instid1(VALU_DEP_1)
	v_ashrrev_i32_e32 v7, 31, v6
	s_and_b32 vcc_lo, exec_lo, s0
	v_lshlrev_b64 v[6:7], 3, v[6:7]
	global_store_b64 v[15:16], v[10:11], off
	s_cbranch_vccnz .LBB181_51
; %bb.50:
	v_add_co_u32 v8, vcc_lo, v72, v6
	v_add_co_ci_u32_e32 v9, vcc_lo, v73, v7, vcc_lo
	flat_load_b64 v[8:9], v[8:9]
	s_waitcnt vmcnt(0) lgkmcnt(0)
	v_mul_f64 v[8:9], v[8:9], s[6:7]
.LBB181_51:
	scratch_load_b64 v[10:11], off, off offset:32
	s_waitcnt vmcnt(1)
	v_add_f64 v[17:18], v[13:14], v[8:9]
	v_dual_mov_b32 v13, 0 :: v_dual_add_nc_u32 v8, 16, v12
	v_add_co_u32 v19, vcc_lo, v74, v6
	v_dual_mov_b32 v14, 0 :: v_dual_mov_b32 v15, 0
	s_delay_alu instid0(VALU_DEP_3) | instskip(SKIP_3) | instid1(VALU_DEP_3)
	v_ashrrev_i32_e32 v9, 31, v8
	v_add_co_ci_u32_e32 v20, vcc_lo, v75, v7, vcc_lo
	v_mov_b32_e32 v16, 0
	s_and_b32 vcc_lo, exec_lo, s0
	v_lshlrev_b64 v[8:9], 3, v[8:9]
	global_store_b64 v[19:20], v[17:18], off
	s_cbranch_vccnz .LBB181_53
; %bb.52:
	v_add_co_u32 v15, vcc_lo, v72, v8
	v_add_co_ci_u32_e32 v16, vcc_lo, v73, v9, vcc_lo
	flat_load_b64 v[15:16], v[15:16]
	s_waitcnt vmcnt(0) lgkmcnt(0)
	v_mul_f64 v[15:16], v[15:16], s[6:7]
.LBB181_53:
	scratch_load_b64 v[17:18], off, off offset:40
	s_waitcnt vmcnt(1)
	v_add_f64 v[15:16], v[10:11], v[15:16]
	v_add_nc_u32_e32 v10, 20, v12
	v_add_co_u32 v19, vcc_lo, v74, v8
	v_add_co_ci_u32_e32 v20, vcc_lo, v75, v9, vcc_lo
	s_delay_alu instid0(VALU_DEP_3) | instskip(SKIP_1) | instid1(VALU_DEP_1)
	v_ashrrev_i32_e32 v11, 31, v10
	s_and_b32 vcc_lo, exec_lo, s0
	v_lshlrev_b64 v[10:11], 3, v[10:11]
	global_store_b64 v[19:20], v[15:16], off
	s_cbranch_vccnz .LBB181_55
; %bb.54:
	v_add_co_u32 v13, vcc_lo, v72, v10
	v_add_co_ci_u32_e32 v14, vcc_lo, v73, v11, vcc_lo
	flat_load_b64 v[13:14], v[13:14]
	s_waitcnt vmcnt(0) lgkmcnt(0)
	v_mul_f64 v[13:14], v[13:14], s[6:7]
.LBB181_55:
	scratch_load_b64 v[15:16], off, off offset:48
	s_waitcnt vmcnt(1)
	v_add_f64 v[21:22], v[17:18], v[13:14]
	v_add_nc_u32_e32 v13, 24, v12
	v_mov_b32_e32 v17, 0
	v_mov_b32_e32 v18, 0
	v_add_co_u32 v23, vcc_lo, v74, v10
	s_delay_alu instid0(VALU_DEP_4) | instskip(SKIP_3) | instid1(VALU_DEP_4)
	v_ashrrev_i32_e32 v14, 31, v13
	v_mov_b32_e32 v19, 0
	v_mov_b32_e32 v20, 0
	v_add_co_ci_u32_e32 v24, vcc_lo, v75, v11, vcc_lo
	v_lshlrev_b64 v[13:14], 3, v[13:14]
	s_and_b32 vcc_lo, exec_lo, s0
	global_store_b64 v[23:24], v[21:22], off
	s_cbranch_vccnz .LBB181_57
; %bb.56:
	v_add_co_u32 v19, vcc_lo, v72, v13
	v_add_co_ci_u32_e32 v20, vcc_lo, v73, v14, vcc_lo
	flat_load_b64 v[19:20], v[19:20]
	s_waitcnt vmcnt(0) lgkmcnt(0)
	v_mul_f64 v[19:20], v[19:20], s[6:7]
.LBB181_57:
	scratch_load_b64 v[21:22], off, off offset:56
	s_waitcnt vmcnt(1)
	v_add_f64 v[19:20], v[15:16], v[19:20]
	v_add_nc_u32_e32 v15, 28, v12
	v_add_co_u32 v23, vcc_lo, v74, v13
	v_add_co_ci_u32_e32 v24, vcc_lo, v75, v14, vcc_lo
	s_delay_alu instid0(VALU_DEP_3) | instskip(SKIP_1) | instid1(VALU_DEP_1)
	v_ashrrev_i32_e32 v16, 31, v15
	s_and_b32 vcc_lo, exec_lo, s0
	v_lshlrev_b64 v[15:16], 3, v[15:16]
	global_store_b64 v[23:24], v[19:20], off
	s_cbranch_vccnz .LBB181_59
; %bb.58:
	v_add_co_u32 v17, vcc_lo, v72, v15
	v_add_co_ci_u32_e32 v18, vcc_lo, v73, v16, vcc_lo
	flat_load_b64 v[17:18], v[17:18]
	s_waitcnt vmcnt(0) lgkmcnt(0)
	v_mul_f64 v[17:18], v[17:18], s[6:7]
.LBB181_59:
	scratch_load_b64 v[19:20], off, off offset:64
	s_waitcnt vmcnt(1)
	v_add_f64 v[25:26], v[21:22], v[17:18]
	v_add_nc_u32_e32 v17, 32, v12
	v_mov_b32_e32 v21, 0
	v_mov_b32_e32 v22, 0
	v_add_co_u32 v27, vcc_lo, v74, v15
	s_delay_alu instid0(VALU_DEP_4) | instskip(SKIP_3) | instid1(VALU_DEP_4)
	v_ashrrev_i32_e32 v18, 31, v17
	v_mov_b32_e32 v23, 0
	v_mov_b32_e32 v24, 0
	v_add_co_ci_u32_e32 v28, vcc_lo, v75, v16, vcc_lo
	v_lshlrev_b64 v[17:18], 3, v[17:18]
	s_and_b32 vcc_lo, exec_lo, s0
	global_store_b64 v[27:28], v[25:26], off
	s_cbranch_vccnz .LBB181_61
; %bb.60:
	v_add_co_u32 v23, vcc_lo, v72, v17
	v_add_co_ci_u32_e32 v24, vcc_lo, v73, v18, vcc_lo
	flat_load_b64 v[23:24], v[23:24]
	s_waitcnt vmcnt(0) lgkmcnt(0)
	v_mul_f64 v[23:24], v[23:24], s[6:7]
.LBB181_61:
	scratch_load_b64 v[25:26], off, off offset:72
	s_waitcnt vmcnt(1)
	v_add_f64 v[23:24], v[19:20], v[23:24]
	v_add_nc_u32_e32 v19, 36, v12
	v_add_co_u32 v27, vcc_lo, v74, v17
	v_add_co_ci_u32_e32 v28, vcc_lo, v75, v18, vcc_lo
	s_delay_alu instid0(VALU_DEP_3) | instskip(SKIP_1) | instid1(VALU_DEP_1)
	v_ashrrev_i32_e32 v20, 31, v19
	s_and_b32 vcc_lo, exec_lo, s0
	v_lshlrev_b64 v[19:20], 3, v[19:20]
	global_store_b64 v[27:28], v[23:24], off
	s_cbranch_vccnz .LBB181_63
; %bb.62:
	v_add_co_u32 v21, vcc_lo, v72, v19
	v_add_co_ci_u32_e32 v22, vcc_lo, v73, v20, vcc_lo
	flat_load_b64 v[21:22], v[21:22]
	s_waitcnt vmcnt(0) lgkmcnt(0)
	v_mul_f64 v[21:22], v[21:22], s[6:7]
.LBB181_63:
	scratch_load_b64 v[23:24], off, off offset:80
	s_waitcnt vmcnt(1)
	v_add_f64 v[29:30], v[25:26], v[21:22]
	v_add_nc_u32_e32 v21, 40, v12
	v_mov_b32_e32 v25, 0
	v_mov_b32_e32 v26, 0
	v_add_co_u32 v31, vcc_lo, v74, v19
	s_delay_alu instid0(VALU_DEP_4) | instskip(SKIP_3) | instid1(VALU_DEP_4)
	v_ashrrev_i32_e32 v22, 31, v21
	v_mov_b32_e32 v27, 0
	v_mov_b32_e32 v28, 0
	v_add_co_ci_u32_e32 v32, vcc_lo, v75, v20, vcc_lo
	v_lshlrev_b64 v[21:22], 3, v[21:22]
	s_and_b32 vcc_lo, exec_lo, s0
	global_store_b64 v[31:32], v[29:30], off
	s_cbranch_vccnz .LBB181_65
; %bb.64:
	v_add_co_u32 v27, vcc_lo, v72, v21
	v_add_co_ci_u32_e32 v28, vcc_lo, v73, v22, vcc_lo
	flat_load_b64 v[27:28], v[27:28]
	s_waitcnt vmcnt(0) lgkmcnt(0)
	v_mul_f64 v[27:28], v[27:28], s[6:7]
.LBB181_65:
	scratch_load_b64 v[29:30], off, off offset:88
	s_waitcnt vmcnt(1)
	v_add_f64 v[27:28], v[23:24], v[27:28]
	v_add_nc_u32_e32 v23, 44, v12
	v_add_co_u32 v31, vcc_lo, v74, v21
	v_add_co_ci_u32_e32 v32, vcc_lo, v75, v22, vcc_lo
	s_delay_alu instid0(VALU_DEP_3) | instskip(SKIP_1) | instid1(VALU_DEP_1)
	v_ashrrev_i32_e32 v24, 31, v23
	s_and_b32 vcc_lo, exec_lo, s0
	v_lshlrev_b64 v[23:24], 3, v[23:24]
	global_store_b64 v[31:32], v[27:28], off
	s_cbranch_vccnz .LBB181_67
; %bb.66:
	v_add_co_u32 v25, vcc_lo, v72, v23
	v_add_co_ci_u32_e32 v26, vcc_lo, v73, v24, vcc_lo
	flat_load_b64 v[25:26], v[25:26]
	s_waitcnt vmcnt(0) lgkmcnt(0)
	v_mul_f64 v[25:26], v[25:26], s[6:7]
.LBB181_67:
	scratch_load_b64 v[27:28], off, off offset:96
	s_waitcnt vmcnt(1)
	v_add_f64 v[33:34], v[29:30], v[25:26]
	v_add_nc_u32_e32 v25, 48, v12
	v_mov_b32_e32 v29, 0
	v_mov_b32_e32 v30, 0
	v_add_co_u32 v35, vcc_lo, v74, v23
	s_delay_alu instid0(VALU_DEP_4) | instskip(SKIP_3) | instid1(VALU_DEP_4)
	v_ashrrev_i32_e32 v26, 31, v25
	v_mov_b32_e32 v31, 0
	v_mov_b32_e32 v32, 0
	v_add_co_ci_u32_e32 v36, vcc_lo, v75, v24, vcc_lo
	v_lshlrev_b64 v[25:26], 3, v[25:26]
	s_and_b32 vcc_lo, exec_lo, s0
	global_store_b64 v[35:36], v[33:34], off
	s_cbranch_vccnz .LBB181_69
; %bb.68:
	v_add_co_u32 v31, vcc_lo, v72, v25
	v_add_co_ci_u32_e32 v32, vcc_lo, v73, v26, vcc_lo
	flat_load_b64 v[31:32], v[31:32]
	s_waitcnt vmcnt(0) lgkmcnt(0)
	v_mul_f64 v[31:32], v[31:32], s[6:7]
.LBB181_69:
	scratch_load_b64 v[33:34], off, off offset:104
	s_waitcnt vmcnt(1)
	v_add_f64 v[31:32], v[27:28], v[31:32]
	v_add_nc_u32_e32 v27, 52, v12
	v_add_co_u32 v35, vcc_lo, v74, v25
	v_add_co_ci_u32_e32 v36, vcc_lo, v75, v26, vcc_lo
	s_delay_alu instid0(VALU_DEP_3) | instskip(SKIP_1) | instid1(VALU_DEP_1)
	v_ashrrev_i32_e32 v28, 31, v27
	s_and_b32 vcc_lo, exec_lo, s0
	v_lshlrev_b64 v[27:28], 3, v[27:28]
	global_store_b64 v[35:36], v[31:32], off
	s_cbranch_vccnz .LBB181_71
; %bb.70:
	v_add_co_u32 v29, vcc_lo, v72, v27
	v_add_co_ci_u32_e32 v30, vcc_lo, v73, v28, vcc_lo
	flat_load_b64 v[29:30], v[29:30]
	s_waitcnt vmcnt(0) lgkmcnt(0)
	v_mul_f64 v[29:30], v[29:30], s[6:7]
.LBB181_71:
	scratch_load_b64 v[31:32], off, off offset:112
	s_waitcnt vmcnt(1)
	v_add_f64 v[37:38], v[33:34], v[29:30]
	v_add_nc_u32_e32 v29, 56, v12
	v_mov_b32_e32 v33, 0
	v_mov_b32_e32 v34, 0
	v_add_co_u32 v39, vcc_lo, v74, v27
	s_delay_alu instid0(VALU_DEP_4) | instskip(SKIP_3) | instid1(VALU_DEP_4)
	v_ashrrev_i32_e32 v30, 31, v29
	v_mov_b32_e32 v35, 0
	v_mov_b32_e32 v36, 0
	v_add_co_ci_u32_e32 v40, vcc_lo, v75, v28, vcc_lo
	v_lshlrev_b64 v[29:30], 3, v[29:30]
	s_and_b32 vcc_lo, exec_lo, s0
	global_store_b64 v[39:40], v[37:38], off
	s_cbranch_vccnz .LBB181_73
; %bb.72:
	v_add_co_u32 v35, vcc_lo, v72, v29
	v_add_co_ci_u32_e32 v36, vcc_lo, v73, v30, vcc_lo
	flat_load_b64 v[35:36], v[35:36]
	s_waitcnt vmcnt(0) lgkmcnt(0)
	v_mul_f64 v[35:36], v[35:36], s[6:7]
.LBB181_73:
	scratch_load_b64 v[37:38], off, off offset:120
	s_waitcnt vmcnt(1)
	v_add_f64 v[35:36], v[31:32], v[35:36]
	v_add_nc_u32_e32 v31, 60, v12
	v_add_co_u32 v39, vcc_lo, v74, v29
	v_add_co_ci_u32_e32 v40, vcc_lo, v75, v30, vcc_lo
	s_delay_alu instid0(VALU_DEP_3) | instskip(SKIP_1) | instid1(VALU_DEP_1)
	v_ashrrev_i32_e32 v32, 31, v31
	s_and_b32 vcc_lo, exec_lo, s0
	v_lshlrev_b64 v[31:32], 3, v[31:32]
	global_store_b64 v[39:40], v[35:36], off
	s_cbranch_vccnz .LBB181_75
; %bb.74:
	v_add_co_u32 v33, vcc_lo, v72, v31
	v_add_co_ci_u32_e32 v34, vcc_lo, v73, v32, vcc_lo
	flat_load_b64 v[33:34], v[33:34]
	s_waitcnt vmcnt(0) lgkmcnt(0)
	v_mul_f64 v[33:34], v[33:34], s[6:7]
.LBB181_75:
	scratch_load_b64 v[35:36], off, off offset:128
	s_waitcnt vmcnt(1)
	v_add_f64 v[41:42], v[37:38], v[33:34]
	v_add_nc_u32_e32 v33, 64, v12
	v_mov_b32_e32 v37, 0
	v_mov_b32_e32 v38, 0
	v_add_co_u32 v43, vcc_lo, v74, v31
	s_delay_alu instid0(VALU_DEP_4) | instskip(SKIP_3) | instid1(VALU_DEP_4)
	v_ashrrev_i32_e32 v34, 31, v33
	v_mov_b32_e32 v39, 0
	v_mov_b32_e32 v40, 0
	v_add_co_ci_u32_e32 v44, vcc_lo, v75, v32, vcc_lo
	v_lshlrev_b64 v[33:34], 3, v[33:34]
	s_and_b32 vcc_lo, exec_lo, s0
	global_store_b64 v[43:44], v[41:42], off
	s_cbranch_vccnz .LBB181_77
; %bb.76:
	v_add_co_u32 v39, vcc_lo, v72, v33
	v_add_co_ci_u32_e32 v40, vcc_lo, v73, v34, vcc_lo
	flat_load_b64 v[39:40], v[39:40]
	s_waitcnt vmcnt(0) lgkmcnt(0)
	v_mul_f64 v[39:40], v[39:40], s[6:7]
.LBB181_77:
	scratch_load_b64 v[41:42], off, off offset:136
	s_waitcnt vmcnt(1)
	v_add_f64 v[39:40], v[35:36], v[39:40]
	v_add_nc_u32_e32 v35, 0x44, v12
	v_add_co_u32 v43, vcc_lo, v74, v33
	v_add_co_ci_u32_e32 v44, vcc_lo, v75, v34, vcc_lo
	s_delay_alu instid0(VALU_DEP_3) | instskip(SKIP_1) | instid1(VALU_DEP_1)
	v_ashrrev_i32_e32 v36, 31, v35
	s_and_b32 vcc_lo, exec_lo, s0
	v_lshlrev_b64 v[35:36], 3, v[35:36]
	global_store_b64 v[43:44], v[39:40], off
	s_cbranch_vccnz .LBB181_79
; %bb.78:
	v_add_co_u32 v37, vcc_lo, v72, v35
	v_add_co_ci_u32_e32 v38, vcc_lo, v73, v36, vcc_lo
	flat_load_b64 v[37:38], v[37:38]
	s_waitcnt vmcnt(0) lgkmcnt(0)
	v_mul_f64 v[37:38], v[37:38], s[6:7]
.LBB181_79:
	scratch_load_b64 v[39:40], off, off offset:144
	s_waitcnt vmcnt(1)
	v_add_f64 v[45:46], v[41:42], v[37:38]
	v_add_nc_u32_e32 v37, 0x48, v12
	v_mov_b32_e32 v41, 0
	v_mov_b32_e32 v42, 0
	v_add_co_u32 v47, vcc_lo, v74, v35
	s_delay_alu instid0(VALU_DEP_4) | instskip(SKIP_3) | instid1(VALU_DEP_4)
	v_ashrrev_i32_e32 v38, 31, v37
	v_mov_b32_e32 v43, 0
	v_mov_b32_e32 v44, 0
	v_add_co_ci_u32_e32 v48, vcc_lo, v75, v36, vcc_lo
	v_lshlrev_b64 v[37:38], 3, v[37:38]
	s_and_b32 vcc_lo, exec_lo, s0
	global_store_b64 v[47:48], v[45:46], off
	s_cbranch_vccnz .LBB181_81
; %bb.80:
	v_add_co_u32 v43, vcc_lo, v72, v37
	v_add_co_ci_u32_e32 v44, vcc_lo, v73, v38, vcc_lo
	flat_load_b64 v[43:44], v[43:44]
	s_waitcnt vmcnt(0) lgkmcnt(0)
	v_mul_f64 v[43:44], v[43:44], s[6:7]
.LBB181_81:
	scratch_load_b64 v[45:46], off, off offset:152
	s_waitcnt vmcnt(1)
	v_add_f64 v[43:44], v[39:40], v[43:44]
	v_add_nc_u32_e32 v39, 0x4c, v12
	v_add_co_u32 v47, vcc_lo, v74, v37
	v_add_co_ci_u32_e32 v48, vcc_lo, v75, v38, vcc_lo
	s_delay_alu instid0(VALU_DEP_3) | instskip(SKIP_1) | instid1(VALU_DEP_1)
	v_ashrrev_i32_e32 v40, 31, v39
	s_and_b32 vcc_lo, exec_lo, s0
	v_lshlrev_b64 v[39:40], 3, v[39:40]
	global_store_b64 v[47:48], v[43:44], off
	s_cbranch_vccnz .LBB181_83
; %bb.82:
	v_add_co_u32 v41, vcc_lo, v72, v39
	v_add_co_ci_u32_e32 v42, vcc_lo, v73, v40, vcc_lo
	flat_load_b64 v[41:42], v[41:42]
	s_waitcnt vmcnt(0) lgkmcnt(0)
	v_mul_f64 v[41:42], v[41:42], s[6:7]
.LBB181_83:
	scratch_load_b64 v[43:44], off, off offset:160
	s_waitcnt vmcnt(1)
	v_add_f64 v[49:50], v[45:46], v[41:42]
	v_add_nc_u32_e32 v41, 0x50, v12
	v_mov_b32_e32 v45, 0
	v_mov_b32_e32 v46, 0
	v_add_co_u32 v51, vcc_lo, v74, v39
	s_delay_alu instid0(VALU_DEP_4) | instskip(SKIP_3) | instid1(VALU_DEP_4)
	v_ashrrev_i32_e32 v42, 31, v41
	v_mov_b32_e32 v47, 0
	v_mov_b32_e32 v48, 0
	v_add_co_ci_u32_e32 v52, vcc_lo, v75, v40, vcc_lo
	v_lshlrev_b64 v[41:42], 3, v[41:42]
	s_and_b32 vcc_lo, exec_lo, s0
	global_store_b64 v[51:52], v[49:50], off
	s_cbranch_vccnz .LBB181_85
; %bb.84:
	v_add_co_u32 v47, vcc_lo, v72, v41
	v_add_co_ci_u32_e32 v48, vcc_lo, v73, v42, vcc_lo
	flat_load_b64 v[47:48], v[47:48]
	s_waitcnt vmcnt(0) lgkmcnt(0)
	v_mul_f64 v[47:48], v[47:48], s[6:7]
.LBB181_85:
	scratch_load_b64 v[49:50], off, off offset:168
	s_waitcnt vmcnt(1)
	v_add_f64 v[47:48], v[43:44], v[47:48]
	v_add_nc_u32_e32 v43, 0x54, v12
	v_add_co_u32 v51, vcc_lo, v74, v41
	v_add_co_ci_u32_e32 v52, vcc_lo, v75, v42, vcc_lo
	s_delay_alu instid0(VALU_DEP_3) | instskip(SKIP_1) | instid1(VALU_DEP_1)
	v_ashrrev_i32_e32 v44, 31, v43
	s_and_b32 vcc_lo, exec_lo, s0
	v_lshlrev_b64 v[43:44], 3, v[43:44]
	global_store_b64 v[51:52], v[47:48], off
	s_cbranch_vccnz .LBB181_87
; %bb.86:
	v_add_co_u32 v45, vcc_lo, v72, v43
	v_add_co_ci_u32_e32 v46, vcc_lo, v73, v44, vcc_lo
	flat_load_b64 v[45:46], v[45:46]
	s_waitcnt vmcnt(0) lgkmcnt(0)
	v_mul_f64 v[45:46], v[45:46], s[6:7]
.LBB181_87:
	scratch_load_b64 v[47:48], off, off offset:176
	s_waitcnt vmcnt(1)
	v_add_f64 v[53:54], v[49:50], v[45:46]
	v_add_nc_u32_e32 v45, 0x58, v12
	v_mov_b32_e32 v49, 0
	v_mov_b32_e32 v50, 0
	v_add_co_u32 v55, vcc_lo, v74, v43
	s_delay_alu instid0(VALU_DEP_4) | instskip(SKIP_3) | instid1(VALU_DEP_4)
	v_ashrrev_i32_e32 v46, 31, v45
	v_mov_b32_e32 v51, 0
	v_mov_b32_e32 v52, 0
	v_add_co_ci_u32_e32 v56, vcc_lo, v75, v44, vcc_lo
	v_lshlrev_b64 v[45:46], 3, v[45:46]
	s_and_b32 vcc_lo, exec_lo, s0
	global_store_b64 v[55:56], v[53:54], off
	s_cbranch_vccnz .LBB181_89
; %bb.88:
	v_add_co_u32 v51, vcc_lo, v72, v45
	v_add_co_ci_u32_e32 v52, vcc_lo, v73, v46, vcc_lo
	flat_load_b64 v[51:52], v[51:52]
	s_waitcnt vmcnt(0) lgkmcnt(0)
	v_mul_f64 v[51:52], v[51:52], s[6:7]
.LBB181_89:
	scratch_load_b64 v[53:54], off, off offset:184
	s_waitcnt vmcnt(1)
	v_add_f64 v[51:52], v[47:48], v[51:52]
	v_add_nc_u32_e32 v47, 0x5c, v12
	v_add_co_u32 v55, vcc_lo, v74, v45
	v_add_co_ci_u32_e32 v56, vcc_lo, v75, v46, vcc_lo
	s_delay_alu instid0(VALU_DEP_3) | instskip(SKIP_1) | instid1(VALU_DEP_1)
	v_ashrrev_i32_e32 v48, 31, v47
	s_and_b32 vcc_lo, exec_lo, s0
	v_lshlrev_b64 v[47:48], 3, v[47:48]
	global_store_b64 v[55:56], v[51:52], off
	s_cbranch_vccnz .LBB181_91
; %bb.90:
	v_add_co_u32 v49, vcc_lo, v72, v47
	v_add_co_ci_u32_e32 v50, vcc_lo, v73, v48, vcc_lo
	flat_load_b64 v[49:50], v[49:50]
	s_waitcnt vmcnt(0) lgkmcnt(0)
	v_mul_f64 v[49:50], v[49:50], s[6:7]
.LBB181_91:
	scratch_load_b64 v[51:52], off, off offset:192
	s_waitcnt vmcnt(1)
	v_add_f64 v[57:58], v[53:54], v[49:50]
	v_add_nc_u32_e32 v49, 0x60, v12
	v_mov_b32_e32 v53, 0
	v_mov_b32_e32 v54, 0
	v_add_co_u32 v59, vcc_lo, v74, v47
	s_delay_alu instid0(VALU_DEP_4) | instskip(SKIP_3) | instid1(VALU_DEP_4)
	v_ashrrev_i32_e32 v50, 31, v49
	v_mov_b32_e32 v55, 0
	v_mov_b32_e32 v56, 0
	v_add_co_ci_u32_e32 v60, vcc_lo, v75, v48, vcc_lo
	v_lshlrev_b64 v[49:50], 3, v[49:50]
	s_and_b32 vcc_lo, exec_lo, s0
	global_store_b64 v[59:60], v[57:58], off
	s_cbranch_vccnz .LBB181_93
; %bb.92:
	v_add_co_u32 v55, vcc_lo, v72, v49
	v_add_co_ci_u32_e32 v56, vcc_lo, v73, v50, vcc_lo
	flat_load_b64 v[55:56], v[55:56]
	s_waitcnt vmcnt(0) lgkmcnt(0)
	v_mul_f64 v[55:56], v[55:56], s[6:7]
.LBB181_93:
	scratch_load_b64 v[57:58], off, off offset:200
	s_waitcnt vmcnt(1)
	v_add_f64 v[55:56], v[51:52], v[55:56]
	v_add_nc_u32_e32 v51, 0x64, v12
	v_add_co_u32 v59, vcc_lo, v74, v49
	v_add_co_ci_u32_e32 v60, vcc_lo, v75, v50, vcc_lo
	s_delay_alu instid0(VALU_DEP_3) | instskip(SKIP_1) | instid1(VALU_DEP_1)
	v_ashrrev_i32_e32 v52, 31, v51
	s_and_b32 vcc_lo, exec_lo, s0
	v_lshlrev_b64 v[51:52], 3, v[51:52]
	global_store_b64 v[59:60], v[55:56], off
	s_cbranch_vccnz .LBB181_95
; %bb.94:
	v_add_co_u32 v53, vcc_lo, v72, v51
	v_add_co_ci_u32_e32 v54, vcc_lo, v73, v52, vcc_lo
	flat_load_b64 v[53:54], v[53:54]
	s_waitcnt vmcnt(0) lgkmcnt(0)
	v_mul_f64 v[53:54], v[53:54], s[6:7]
.LBB181_95:
	scratch_load_b64 v[55:56], off, off offset:208
	s_waitcnt vmcnt(1)
	v_add_f64 v[61:62], v[57:58], v[53:54]
	v_add_nc_u32_e32 v53, 0x68, v12
	v_mov_b32_e32 v57, 0
	v_mov_b32_e32 v58, 0
	v_add_co_u32 v63, vcc_lo, v74, v51
	s_delay_alu instid0(VALU_DEP_4) | instskip(SKIP_3) | instid1(VALU_DEP_4)
	v_ashrrev_i32_e32 v54, 31, v53
	v_mov_b32_e32 v59, 0
	v_mov_b32_e32 v60, 0
	v_add_co_ci_u32_e32 v64, vcc_lo, v75, v52, vcc_lo
	v_lshlrev_b64 v[53:54], 3, v[53:54]
	s_and_b32 vcc_lo, exec_lo, s0
	global_store_b64 v[63:64], v[61:62], off
	s_cbranch_vccnz .LBB181_97
; %bb.96:
	v_add_co_u32 v59, vcc_lo, v72, v53
	v_add_co_ci_u32_e32 v60, vcc_lo, v73, v54, vcc_lo
	flat_load_b64 v[59:60], v[59:60]
	s_waitcnt vmcnt(0) lgkmcnt(0)
	v_mul_f64 v[59:60], v[59:60], s[6:7]
.LBB181_97:
	scratch_load_b64 v[61:62], off, off offset:216
	s_waitcnt vmcnt(1)
	v_add_f64 v[59:60], v[55:56], v[59:60]
	v_add_nc_u32_e32 v55, 0x6c, v12
	v_add_co_u32 v63, vcc_lo, v74, v53
	v_add_co_ci_u32_e32 v64, vcc_lo, v75, v54, vcc_lo
	s_delay_alu instid0(VALU_DEP_3) | instskip(SKIP_1) | instid1(VALU_DEP_1)
	v_ashrrev_i32_e32 v56, 31, v55
	s_and_b32 vcc_lo, exec_lo, s0
	v_lshlrev_b64 v[55:56], 3, v[55:56]
	global_store_b64 v[63:64], v[59:60], off
	s_cbranch_vccnz .LBB181_99
; %bb.98:
	v_add_co_u32 v57, vcc_lo, v72, v55
	v_add_co_ci_u32_e32 v58, vcc_lo, v73, v56, vcc_lo
	flat_load_b64 v[57:58], v[57:58]
	s_waitcnt vmcnt(0) lgkmcnt(0)
	v_mul_f64 v[57:58], v[57:58], s[6:7]
.LBB181_99:
	scratch_load_b64 v[59:60], off, off offset:224
	s_waitcnt vmcnt(1)
	v_add_f64 v[65:66], v[61:62], v[57:58]
	v_add_nc_u32_e32 v57, 0x70, v12
	v_mov_b32_e32 v61, 0
	v_mov_b32_e32 v62, 0
	v_add_co_u32 v67, vcc_lo, v74, v55
	s_delay_alu instid0(VALU_DEP_4) | instskip(SKIP_3) | instid1(VALU_DEP_4)
	v_ashrrev_i32_e32 v58, 31, v57
	v_mov_b32_e32 v63, 0
	v_mov_b32_e32 v64, 0
	v_add_co_ci_u32_e32 v68, vcc_lo, v75, v56, vcc_lo
	v_lshlrev_b64 v[57:58], 3, v[57:58]
	s_and_b32 vcc_lo, exec_lo, s0
	global_store_b64 v[67:68], v[65:66], off
	s_cbranch_vccnz .LBB181_101
; %bb.100:
	v_add_co_u32 v63, vcc_lo, v72, v57
	v_add_co_ci_u32_e32 v64, vcc_lo, v73, v58, vcc_lo
	flat_load_b64 v[63:64], v[63:64]
	s_waitcnt vmcnt(0) lgkmcnt(0)
	v_mul_f64 v[63:64], v[63:64], s[6:7]
.LBB181_101:
	scratch_load_b64 v[65:66], off, off offset:232
	s_waitcnt vmcnt(1)
	v_add_f64 v[63:64], v[59:60], v[63:64]
	v_add_nc_u32_e32 v59, 0x74, v12
	v_add_co_u32 v67, vcc_lo, v74, v57
	v_add_co_ci_u32_e32 v68, vcc_lo, v75, v58, vcc_lo
	s_delay_alu instid0(VALU_DEP_3) | instskip(SKIP_1) | instid1(VALU_DEP_1)
	v_ashrrev_i32_e32 v60, 31, v59
	s_and_b32 vcc_lo, exec_lo, s0
	v_lshlrev_b64 v[59:60], 3, v[59:60]
	global_store_b64 v[67:68], v[63:64], off
	s_cbranch_vccnz .LBB181_103
; %bb.102:
	v_add_co_u32 v61, vcc_lo, v72, v59
	v_add_co_ci_u32_e32 v62, vcc_lo, v73, v60, vcc_lo
	flat_load_b64 v[61:62], v[61:62]
	s_waitcnt vmcnt(0) lgkmcnt(0)
	v_mul_f64 v[61:62], v[61:62], s[6:7]
.LBB181_103:
	scratch_load_b64 v[63:64], off, off offset:240
	s_waitcnt vmcnt(1)
	v_add_f64 v[67:68], v[65:66], v[61:62]
	v_add_nc_u32_e32 v61, 0x78, v12
	v_mov_b32_e32 v65, 0
	v_mov_b32_e32 v66, 0
	v_add_co_u32 v76, vcc_lo, v74, v59
	s_delay_alu instid0(VALU_DEP_4) | instskip(SKIP_3) | instid1(VALU_DEP_4)
	v_ashrrev_i32_e32 v62, 31, v61
	v_mov_b32_e32 v69, 0
	v_mov_b32_e32 v70, 0
	v_add_co_ci_u32_e32 v77, vcc_lo, v75, v60, vcc_lo
	v_lshlrev_b64 v[61:62], 3, v[61:62]
	s_and_b32 vcc_lo, exec_lo, s0
	global_store_b64 v[76:77], v[67:68], off
	s_cbranch_vccnz .LBB181_105
; %bb.104:
	v_add_co_u32 v67, vcc_lo, v72, v61
	v_add_co_ci_u32_e32 v68, vcc_lo, v73, v62, vcc_lo
	flat_load_b64 v[67:68], v[67:68]
	s_waitcnt vmcnt(0) lgkmcnt(0)
	v_mul_f64 v[69:70], v[67:68], s[6:7]
.LBB181_105:
	scratch_load_b64 v[67:68], off, off offset:248
	s_waitcnt vmcnt(1)
	v_add_f64 v[69:70], v[63:64], v[69:70]
	v_add_nc_u32_e32 v63, 0x7c, v12
	v_add_co_u32 v76, vcc_lo, v74, v61
	v_add_co_ci_u32_e32 v77, vcc_lo, v75, v62, vcc_lo
	s_delay_alu instid0(VALU_DEP_3) | instskip(SKIP_1) | instid1(VALU_DEP_1)
	v_ashrrev_i32_e32 v64, 31, v63
	s_and_b32 vcc_lo, exec_lo, s0
	v_lshlrev_b64 v[63:64], 3, v[63:64]
	global_store_b64 v[76:77], v[69:70], off
	s_cbranch_vccnz .LBB181_107
; %bb.106:
	v_add_co_u32 v65, vcc_lo, v72, v63
	v_add_co_ci_u32_e32 v66, vcc_lo, v73, v64, vcc_lo
	flat_load_b64 v[65:66], v[65:66]
	s_waitcnt vmcnt(0) lgkmcnt(0)
	v_mul_f64 v[65:66], v[65:66], s[6:7]
.LBB181_107:
	scratch_load_b64 v[69:70], off, off offset:256
	s_waitcnt vmcnt(1)
	v_add_f64 v[67:68], v[67:68], v[65:66]
	v_add_nc_u32_e32 v76, 64, v71
	v_add_co_u32 v74, vcc_lo, v74, v63
	v_add_co_ci_u32_e32 v75, vcc_lo, v75, v64, vcc_lo
	s_delay_alu instid0(VALU_DEP_3) | instskip(SKIP_2) | instid1(VALU_DEP_3)
	v_mad_i64_i32 v[65:66], null, v76, s3, 0
	v_mov_b32_e32 v71, 0
	v_mov_b32_e32 v72, 0
	v_lshlrev_b64 v[77:78], 3, v[65:66]
	v_mov_b32_e32 v65, 0
	v_mov_b32_e32 v66, 0
	s_delay_alu instid0(VALU_DEP_3) | instskip(NEXT) | instid1(VALU_DEP_4)
	v_add_co_u32 v12, vcc_lo, s4, v77
	v_add_co_ci_u32_e32 v73, vcc_lo, s5, v78, vcc_lo
	s_mov_b32 vcc_lo, s2
	global_store_b64 v[74:75], v[67:68], off
	s_cbranch_vccz .LBB181_109
; %bb.108:
	v_add_co_u32 v67, vcc_lo, v12, v0
	v_add_co_ci_u32_e32 v68, vcc_lo, v73, v1, vcc_lo
	flat_load_b64 v[67:68], v[67:68]
	s_waitcnt vmcnt(0) lgkmcnt(0)
	v_mul_f64 v[71:72], v[67:68], s[6:7]
.LBB181_109:
	scratch_load_b64 v[67:68], off, off offset:264
	s_waitcnt vmcnt(1)
	v_add_f64 v[69:70], v[69:70], v[71:72]
	v_mad_i64_i32 v[71:72], null, v76, s1, 0
	s_delay_alu instid0(VALU_DEP_1) | instskip(NEXT) | instid1(VALU_DEP_1)
	v_lshlrev_b64 v[71:72], 3, v[71:72]
	v_add_co_u32 v71, vcc_lo, s8, v71
	s_delay_alu instid0(VALU_DEP_2) | instskip(NEXT) | instid1(VALU_DEP_2)
	v_add_co_ci_u32_e32 v72, vcc_lo, s9, v72, vcc_lo
	v_add_co_u32 v0, vcc_lo, v71, v0
	s_delay_alu instid0(VALU_DEP_2)
	v_add_co_ci_u32_e32 v1, vcc_lo, v72, v1, vcc_lo
	s_and_b32 vcc_lo, exec_lo, s0
	global_store_b64 v[0:1], v[69:70], off
	s_cbranch_vccnz .LBB181_111
; %bb.110:
	v_add_co_u32 v0, vcc_lo, v12, v2
	v_add_co_ci_u32_e32 v1, vcc_lo, v73, v3, vcc_lo
	flat_load_b64 v[0:1], v[0:1]
	s_waitcnt vmcnt(0) lgkmcnt(0)
	v_mul_f64 v[65:66], v[0:1], s[6:7]
.LBB181_111:
	scratch_load_b64 v[69:70], off, off offset:272
	s_waitcnt vmcnt(1)
	v_add_f64 v[65:66], v[67:68], v[65:66]
	v_add_co_u32 v67, vcc_lo, v71, v2
	v_mov_b32_e32 v0, 0
	v_add_co_ci_u32_e32 v68, vcc_lo, v72, v3, vcc_lo
	v_dual_mov_b32 v1, 0 :: v_dual_mov_b32 v2, 0
	v_mov_b32_e32 v3, 0
	s_and_b32 vcc_lo, exec_lo, s0
	global_store_b64 v[67:68], v[65:66], off
	s_cbranch_vccnz .LBB181_113
; %bb.112:
	v_add_co_u32 v2, vcc_lo, v12, v4
	v_add_co_ci_u32_e32 v3, vcc_lo, v73, v5, vcc_lo
	flat_load_b64 v[2:3], v[2:3]
	s_waitcnt vmcnt(0) lgkmcnt(0)
	v_mul_f64 v[2:3], v[2:3], s[6:7]
.LBB181_113:
	scratch_load_b64 v[65:66], off, off offset:280
	s_waitcnt vmcnt(1)
	v_add_f64 v[2:3], v[69:70], v[2:3]
	v_add_co_u32 v4, vcc_lo, v71, v4
	v_add_co_ci_u32_e32 v5, vcc_lo, v72, v5, vcc_lo
	s_and_b32 vcc_lo, exec_lo, s0
	global_store_b64 v[4:5], v[2:3], off
	s_cbranch_vccnz .LBB181_115
; %bb.114:
	v_add_co_u32 v0, vcc_lo, v12, v6
	v_add_co_ci_u32_e32 v1, vcc_lo, v73, v7, vcc_lo
	flat_load_b64 v[0:1], v[0:1]
	s_waitcnt vmcnt(0) lgkmcnt(0)
	v_mul_f64 v[0:1], v[0:1], s[6:7]
.LBB181_115:
	scratch_load_b64 v[2:3], off, off offset:288
	s_waitcnt vmcnt(1)
	v_add_f64 v[4:5], v[65:66], v[0:1]
	v_add_co_u32 v65, vcc_lo, v71, v6
	v_mov_b32_e32 v0, 0
	v_add_co_ci_u32_e32 v66, vcc_lo, v72, v7, vcc_lo
	v_dual_mov_b32 v1, 0 :: v_dual_mov_b32 v6, 0
	v_mov_b32_e32 v7, 0
	s_and_b32 vcc_lo, exec_lo, s0
	global_store_b64 v[65:66], v[4:5], off
	s_cbranch_vccnz .LBB181_117
; %bb.116:
	v_add_co_u32 v4, vcc_lo, v12, v8
	v_add_co_ci_u32_e32 v5, vcc_lo, v73, v9, vcc_lo
	flat_load_b64 v[4:5], v[4:5]
	s_waitcnt vmcnt(0) lgkmcnt(0)
	v_mul_f64 v[6:7], v[4:5], s[6:7]
.LBB181_117:
	scratch_load_b64 v[4:5], off, off offset:296
	s_waitcnt vmcnt(1)
	v_add_f64 v[2:3], v[2:3], v[6:7]
	v_add_co_u32 v6, vcc_lo, v71, v8
	v_add_co_ci_u32_e32 v7, vcc_lo, v72, v9, vcc_lo
	s_and_b32 vcc_lo, exec_lo, s0
	global_store_b64 v[6:7], v[2:3], off
	s_cbranch_vccnz .LBB181_119
; %bb.118:
	v_add_co_u32 v0, vcc_lo, v12, v10
	v_add_co_ci_u32_e32 v1, vcc_lo, v73, v11, vcc_lo
	flat_load_b64 v[0:1], v[0:1]
	s_waitcnt vmcnt(0) lgkmcnt(0)
	v_mul_f64 v[0:1], v[0:1], s[6:7]
.LBB181_119:
	scratch_load_b64 v[2:3], off, off offset:304
	s_waitcnt vmcnt(1)
	v_add_f64 v[4:5], v[4:5], v[0:1]
	v_add_co_u32 v8, vcc_lo, v71, v10
	v_mov_b32_e32 v0, 0
	v_dual_mov_b32 v1, 0 :: v_dual_mov_b32 v6, 0
	v_add_co_ci_u32_e32 v9, vcc_lo, v72, v11, vcc_lo
	v_mov_b32_e32 v7, 0
	s_and_b32 vcc_lo, exec_lo, s0
	global_store_b64 v[8:9], v[4:5], off
	s_cbranch_vccnz .LBB181_121
; %bb.120:
	v_add_co_u32 v4, vcc_lo, v12, v13
	v_add_co_ci_u32_e32 v5, vcc_lo, v73, v14, vcc_lo
	flat_load_b64 v[4:5], v[4:5]
	s_waitcnt vmcnt(0) lgkmcnt(0)
	v_mul_f64 v[6:7], v[4:5], s[6:7]
.LBB181_121:
	scratch_load_b64 v[4:5], off, off offset:312
	s_waitcnt vmcnt(1)
	v_add_f64 v[2:3], v[2:3], v[6:7]
	v_add_co_u32 v6, vcc_lo, v71, v13
	v_add_co_ci_u32_e32 v7, vcc_lo, v72, v14, vcc_lo
	s_and_b32 vcc_lo, exec_lo, s0
	global_store_b64 v[6:7], v[2:3], off
	s_cbranch_vccnz .LBB181_123
; %bb.122:
	v_add_co_u32 v0, vcc_lo, v12, v15
	v_add_co_ci_u32_e32 v1, vcc_lo, v73, v16, vcc_lo
	flat_load_b64 v[0:1], v[0:1]
	s_waitcnt vmcnt(0) lgkmcnt(0)
	v_mul_f64 v[0:1], v[0:1], s[6:7]
.LBB181_123:
	scratch_load_b64 v[2:3], off, off offset:320
	s_waitcnt vmcnt(1)
	v_add_f64 v[4:5], v[4:5], v[0:1]
	v_add_co_u32 v8, vcc_lo, v71, v15
	v_mov_b32_e32 v0, 0
	v_dual_mov_b32 v1, 0 :: v_dual_mov_b32 v6, 0
	v_add_co_ci_u32_e32 v9, vcc_lo, v72, v16, vcc_lo
	;; [unrolled: 33-line block ×13, first 2 shown]
	v_mov_b32_e32 v7, 0
	s_and_b32 vcc_lo, exec_lo, s0
	global_store_b64 v[8:9], v[4:5], off
	s_cbranch_vccnz .LBB181_169
; %bb.168:
	v_add_co_u32 v4, vcc_lo, v12, v61
	v_add_co_ci_u32_e32 v5, vcc_lo, v73, v62, vcc_lo
	flat_load_b64 v[4:5], v[4:5]
	s_waitcnt vmcnt(0) lgkmcnt(0)
	v_mul_f64 v[6:7], v[4:5], s[6:7]
.LBB181_169:
	scratch_load_b64 v[4:5], off, off offset:504
	s_waitcnt vmcnt(1)
	v_add_f64 v[2:3], v[2:3], v[6:7]
	v_add_co_u32 v6, vcc_lo, v71, v61
	v_add_co_ci_u32_e32 v7, vcc_lo, v72, v62, vcc_lo
	s_and_b32 vcc_lo, exec_lo, s0
	global_store_b64 v[6:7], v[2:3], off
	s_cbranch_vccnz .LBB181_171
; %bb.170:
	v_add_co_u32 v0, vcc_lo, v12, v63
	v_add_co_ci_u32_e32 v1, vcc_lo, v73, v64, vcc_lo
	flat_load_b64 v[0:1], v[0:1]
	s_waitcnt vmcnt(0) lgkmcnt(0)
	v_mul_f64 v[0:1], v[0:1], s[6:7]
.LBB181_171:
	s_waitcnt vmcnt(0)
	s_delay_alu instid0(VALU_DEP_1)
	v_add_f64 v[0:1], v[4:5], v[0:1]
	v_add_co_u32 v2, vcc_lo, v71, v63
	v_add_co_ci_u32_e32 v3, vcc_lo, v72, v64, vcc_lo
	global_store_b64 v[2:3], v[0:1], off
	s_endpgm
	.section	.rodata,"a",@progbits
	.p2align	6, 0x0
	.amdhsa_kernel _ZN12_GLOBAL__N_120geam_min_plus_kernelIdddLi4ELi64ELi128ELi128ELi4ELi64ELi4ELi4ELi64ELc78ELc78ELb1ELb0ELb0EdKddEEviiiT16_PT17_ilS4_ilS2_S4_ilPT18_ili26rocblas_geam_ex_operation_
		.amdhsa_group_segment_fixed_size 16384
		.amdhsa_private_segment_fixed_size 528
		.amdhsa_kernarg_size 136
		.amdhsa_user_sgpr_count 14
		.amdhsa_user_sgpr_dispatch_ptr 0
		.amdhsa_user_sgpr_queue_ptr 0
		.amdhsa_user_sgpr_kernarg_segment_ptr 1
		.amdhsa_user_sgpr_dispatch_id 0
		.amdhsa_user_sgpr_private_segment_size 0
		.amdhsa_wavefront_size32 1
		.amdhsa_uses_dynamic_stack 0
		.amdhsa_enable_private_segment 1
		.amdhsa_system_sgpr_workgroup_id_x 1
		.amdhsa_system_sgpr_workgroup_id_y 0
		.amdhsa_system_sgpr_workgroup_id_z 1
		.amdhsa_system_sgpr_workgroup_info 0
		.amdhsa_system_vgpr_workitem_id 1
		.amdhsa_next_free_vgpr 256
		.amdhsa_next_free_sgpr 24
		.amdhsa_reserve_vcc 1
		.amdhsa_float_round_mode_32 0
		.amdhsa_float_round_mode_16_64 0
		.amdhsa_float_denorm_mode_32 3
		.amdhsa_float_denorm_mode_16_64 3
		.amdhsa_dx10_clamp 1
		.amdhsa_ieee_mode 1
		.amdhsa_fp16_overflow 0
		.amdhsa_workgroup_processor_mode 1
		.amdhsa_memory_ordered 1
		.amdhsa_forward_progress 0
		.amdhsa_shared_vgpr_count 0
		.amdhsa_exception_fp_ieee_invalid_op 0
		.amdhsa_exception_fp_denorm_src 0
		.amdhsa_exception_fp_ieee_div_zero 0
		.amdhsa_exception_fp_ieee_overflow 0
		.amdhsa_exception_fp_ieee_underflow 0
		.amdhsa_exception_fp_ieee_inexact 0
		.amdhsa_exception_int_div_zero 0
	.end_amdhsa_kernel
	.section	.text._ZN12_GLOBAL__N_120geam_min_plus_kernelIdddLi4ELi64ELi128ELi128ELi4ELi64ELi4ELi4ELi64ELc78ELc78ELb1ELb0ELb0EdKddEEviiiT16_PT17_ilS4_ilS2_S4_ilPT18_ili26rocblas_geam_ex_operation_,"axG",@progbits,_ZN12_GLOBAL__N_120geam_min_plus_kernelIdddLi4ELi64ELi128ELi128ELi4ELi64ELi4ELi4ELi64ELc78ELc78ELb1ELb0ELb0EdKddEEviiiT16_PT17_ilS4_ilS2_S4_ilPT18_ili26rocblas_geam_ex_operation_,comdat
.Lfunc_end181:
	.size	_ZN12_GLOBAL__N_120geam_min_plus_kernelIdddLi4ELi64ELi128ELi128ELi4ELi64ELi4ELi4ELi64ELc78ELc78ELb1ELb0ELb0EdKddEEviiiT16_PT17_ilS4_ilS2_S4_ilPT18_ili26rocblas_geam_ex_operation_, .Lfunc_end181-_ZN12_GLOBAL__N_120geam_min_plus_kernelIdddLi4ELi64ELi128ELi128ELi4ELi64ELi4ELi4ELi64ELc78ELc78ELb1ELb0ELb0EdKddEEviiiT16_PT17_ilS4_ilS2_S4_ilPT18_ili26rocblas_geam_ex_operation_
                                        ; -- End function
	.section	.AMDGPU.csdata,"",@progbits
; Kernel info:
; codeLenInByte = 43016
; NumSgprs: 26
; NumVgprs: 256
; ScratchSize: 528
; MemoryBound: 1
; FloatMode: 240
; IeeeMode: 1
; LDSByteSize: 16384 bytes/workgroup (compile time only)
; SGPRBlocks: 3
; VGPRBlocks: 31
; NumSGPRsForWavesPerEU: 26
; NumVGPRsForWavesPerEU: 256
; Occupancy: 5
; WaveLimiterHint : 1
; COMPUTE_PGM_RSRC2:SCRATCH_EN: 1
; COMPUTE_PGM_RSRC2:USER_SGPR: 14
; COMPUTE_PGM_RSRC2:TRAP_HANDLER: 0
; COMPUTE_PGM_RSRC2:TGID_X_EN: 1
; COMPUTE_PGM_RSRC2:TGID_Y_EN: 0
; COMPUTE_PGM_RSRC2:TGID_Z_EN: 1
; COMPUTE_PGM_RSRC2:TIDIG_COMP_CNT: 1
	.section	.text._ZN12_GLOBAL__N_120geam_min_plus_kernelIdddLi4ELi64ELi128ELi128ELi4ELi64ELi4ELi4ELi64ELc78ELc78ELb0ELb0ELb0EdKddEEviiiT16_PT17_ilS4_ilS2_S4_ilPT18_ili26rocblas_geam_ex_operation_,"axG",@progbits,_ZN12_GLOBAL__N_120geam_min_plus_kernelIdddLi4ELi64ELi128ELi128ELi4ELi64ELi4ELi4ELi64ELc78ELc78ELb0ELb0ELb0EdKddEEviiiT16_PT17_ilS4_ilS2_S4_ilPT18_ili26rocblas_geam_ex_operation_,comdat
	.globl	_ZN12_GLOBAL__N_120geam_min_plus_kernelIdddLi4ELi64ELi128ELi128ELi4ELi64ELi4ELi4ELi64ELc78ELc78ELb0ELb0ELb0EdKddEEviiiT16_PT17_ilS4_ilS2_S4_ilPT18_ili26rocblas_geam_ex_operation_ ; -- Begin function _ZN12_GLOBAL__N_120geam_min_plus_kernelIdddLi4ELi64ELi128ELi128ELi4ELi64ELi4ELi4ELi64ELc78ELc78ELb0ELb0ELb0EdKddEEviiiT16_PT17_ilS4_ilS2_S4_ilPT18_ili26rocblas_geam_ex_operation_
	.p2align	8
	.type	_ZN12_GLOBAL__N_120geam_min_plus_kernelIdddLi4ELi64ELi128ELi128ELi4ELi64ELi4ELi4ELi64ELc78ELc78ELb0ELb0ELb0EdKddEEviiiT16_PT17_ilS4_ilS2_S4_ilPT18_ili26rocblas_geam_ex_operation_,@function
_ZN12_GLOBAL__N_120geam_min_plus_kernelIdddLi4ELi64ELi128ELi128ELi4ELi64ELi4ELi4ELi64ELc78ELc78ELb0ELb0ELb0EdKddEEviiiT16_PT17_ilS4_ilS2_S4_ilPT18_ili26rocblas_geam_ex_operation_: ; @_ZN12_GLOBAL__N_120geam_min_plus_kernelIdddLi4ELi64ELi128ELi128ELi4ELi64ELi4ELi4ELi64ELc78ELc78ELb0ELb0ELb0EdKddEEviiiT16_PT17_ilS4_ilS2_S4_ilPT18_ili26rocblas_geam_ex_operation_
; %bb.0:
	s_clause 0x1
	s_load_b128 s[16:19], s[0:1], 0x10
	s_load_b128 s[8:11], s[0:1], 0x28
	s_mov_b64 s[20:21], 0
	s_waitcnt lgkmcnt(0)
	v_cmp_eq_f64_e64 s12, s[16:17], 0
	s_delay_alu instid0(VALU_DEP_1)
	s_and_b32 vcc_lo, exec_lo, s12
	s_cbranch_vccnz .LBB182_2
; %bb.1:
	s_mul_i32 s2, s15, s9
	s_mul_hi_u32 s3, s15, s8
	s_delay_alu instid0(SALU_CYCLE_1) | instskip(SKIP_1) | instid1(SALU_CYCLE_1)
	s_add_i32 s3, s3, s2
	s_mul_i32 s2, s15, s8
	s_lshl_b64 s[2:3], s[2:3], 3
	s_delay_alu instid0(SALU_CYCLE_1)
	s_add_u32 s20, s18, s2
	s_addc_u32 s21, s19, s3
.LBB182_2:
	s_clause 0x1
	s_load_b128 s[4:7], s[0:1], 0x40
	s_load_b64 s[2:3], s[0:1], 0x50
	s_and_not1_b32 vcc_lo, exec_lo, s12
	s_cbranch_vccnz .LBB182_4
; %bb.3:
	s_mov_b32 s18, 0
	s_mov_b64 s[12:13], 0
	s_cbranch_execz .LBB182_5
	s_branch .LBB182_6
.LBB182_4:
	s_mov_b32 s18, -1
                                        ; implicit-def: $sgpr12_sgpr13
.LBB182_5:
	s_waitcnt lgkmcnt(0)
	s_mul_i32 s5, s15, s5
	s_mul_hi_u32 s8, s15, s4
	s_mul_i32 s4, s15, s4
	s_add_i32 s5, s8, s5
	s_mov_b32 s18, 0
	s_lshl_b64 s[4:5], s[4:5], 3
	s_delay_alu instid0(SALU_CYCLE_1)
	s_add_u32 s12, s10, s4
	s_addc_u32 s13, s11, s5
.LBB182_6:
	s_waitcnt lgkmcnt(0)
	v_cmp_eq_f64_e64 s4, s[6:7], 0
	v_cmp_neq_f64_e64 s26, s[16:17], 0
	s_load_b128 s[8:11], s[0:1], 0x60
	s_delay_alu instid0(VALU_DEP_2)
	s_and_b32 vcc_lo, exec_lo, s4
	s_mov_b64 s[4:5], 0
	s_cbranch_vccnz .LBB182_8
; %bb.7:
	s_waitcnt lgkmcnt(0)
	s_mul_i32 s4, s15, s9
	s_mul_hi_u32 s5, s15, s8
	s_mul_i32 s9, s18, s8
	s_add_i32 s4, s5, s4
	s_delay_alu instid0(SALU_CYCLE_1) | instskip(SKIP_1) | instid1(SALU_CYCLE_1)
	s_add_i32 s5, s4, s9
	s_mul_i32 s4, s15, s8
	s_lshl_b64 s[4:5], s[4:5], 3
	s_delay_alu instid0(SALU_CYCLE_1)
	s_add_u32 s4, s2, s4
	s_addc_u32 s5, s3, s5
.LBB182_8:
	s_waitcnt lgkmcnt(0)
	s_clause 0x1
	s_load_b32 s8, s[0:1], 0x0
	s_load_b32 s23, s[0:1], 0x20
	s_mov_b32 s2, 0
	v_bfe_u32 v82, v0, 10, 10
	s_mov_b32 s3, s2
	v_dual_mov_b32 v0, s2 :: v_dual_and_b32 v81, 0x3ff, v0
	v_mov_b32_e32 v1, s3
	s_delay_alu instid0(VALU_DEP_2) | instskip(NEXT) | instid1(VALU_DEP_1)
	v_lshl_add_u32 v4, v82, 2, v81
	v_and_b32_e32 v78, 63, v4
	v_lshrrev_b32_e32 v83, 6, v4
	s_waitcnt lgkmcnt(0)
	s_add_i32 s2, s8, -1
	s_ashr_i32 s24, s23, 31
	s_ashr_i32 s3, s2, 31
	s_delay_alu instid0(SALU_CYCLE_1) | instskip(NEXT) | instid1(SALU_CYCLE_1)
	s_lshr_b32 s3, s3, 25
	s_add_i32 s2, s2, s3
	s_delay_alu instid0(SALU_CYCLE_1) | instskip(NEXT) | instid1(SALU_CYCLE_1)
	s_ashr_i32 s2, s2, 7
	s_add_i32 s3, s2, 1
	s_not_b32 s2, s2
	v_cvt_f32_u32_e32 v2, s3
	s_delay_alu instid0(VALU_DEP_1)
	v_rcp_iflag_f32_e32 v2, v2
	s_waitcnt_depctr 0xfff
	v_mul_f32_e32 v2, 0x4f7ffffe, v2
	s_clause 0xf
	scratch_store_b64 off, v[0:1], off
	scratch_store_b64 off, v[0:1], off offset:8
	scratch_store_b64 off, v[0:1], off offset:16
	;; [unrolled: 1-line block ×15, first 2 shown]
	v_cvt_u32_f32_e32 v2, v2
	s_clause 0xe
	scratch_store_b64 off, v[0:1], off offset:128
	scratch_store_b64 off, v[0:1], off offset:136
	;; [unrolled: 1-line block ×15, first 2 shown]
	v_readfirstlane_b32 s8, v2
	v_cndmask_b32_e64 v2, 0, 1, s26
	s_clause 0x9
	scratch_store_b64 off, v[0:1], off offset:248
	scratch_store_b64 off, v[0:1], off offset:256
	;; [unrolled: 1-line block ×10, first 2 shown]
	s_mul_i32 s2, s2, s8
	s_clause 0x3
	scratch_store_b64 off, v[0:1], off offset:328
	scratch_store_b64 off, v[0:1], off offset:336
	;; [unrolled: 1-line block ×4, first 2 shown]
	s_mul_hi_u32 s2, s8, s2
	s_clause 0x3
	scratch_store_b64 off, v[0:1], off offset:360
	scratch_store_b64 off, v[0:1], off offset:368
	;; [unrolled: 1-line block ×4, first 2 shown]
	s_add_i32 s8, s8, s2
	s_clause 0x6
	scratch_store_b64 off, v[0:1], off offset:392
	scratch_store_b64 off, v[0:1], off offset:400
	;; [unrolled: 1-line block ×7, first 2 shown]
	s_mul_hi_u32 s2, s14, s8
	s_clause 0x1
	scratch_store_b64 off, v[0:1], off offset:448
	scratch_store_b64 off, v[0:1], off offset:456
	s_mul_i32 s8, s2, s3
	s_add_i32 s9, s2, 1
	s_sub_i32 s8, s14, s8
	scratch_store_b64 off, v[0:1], off offset:464
	s_sub_i32 s19, s8, s3
	s_cmp_ge_u32 s8, s3
	s_clause 0x1
	scratch_store_b64 off, v[0:1], off offset:472
	scratch_store_b64 off, v[0:1], off offset:480
	s_cselect_b32 s2, s9, s2
	s_cselect_b32 s8, s19, s8
	s_add_i32 s9, s2, 1
	s_cmp_ge_u32 s8, s3
	scratch_store_b64 off, v[0:1], off offset:488
	s_cselect_b32 s8, s9, s2
	s_and_not1_b32 vcc_lo, exec_lo, s26
	s_mul_i32 s2, s8, s3
	s_clause 0x1
	scratch_store_b64 off, v[0:1], off offset:496
	scratch_store_b64 off, v[0:1], off offset:504
	s_sub_i32 s2, s14, s2
	s_delay_alu instid0(SALU_CYCLE_1) | instskip(SKIP_2) | instid1(VALU_DEP_1)
	s_lshl_b32 s14, s2, 7
	v_cmp_ne_u32_e64 s2, 1, v2
	v_or_b32_e32 v68, s14, v78
	v_ashrrev_i32_e32 v69, 31, v68
	s_cbranch_vccnz .LBB182_10
; %bb.9:
	v_mad_i64_i32 v[0:1], null, s23, v83, 0
	s_delay_alu instid0(VALU_DEP_2) | instskip(NEXT) | instid1(VALU_DEP_2)
	v_lshlrev_b64 v[2:3], 3, v[68:69]
	v_lshlrev_b64 v[0:1], 3, v[0:1]
	s_delay_alu instid0(VALU_DEP_1) | instskip(NEXT) | instid1(VALU_DEP_2)
	v_add_co_u32 v0, vcc_lo, s20, v0
	v_add_co_ci_u32_e32 v1, vcc_lo, s21, v1, vcc_lo
	s_delay_alu instid0(VALU_DEP_2) | instskip(NEXT) | instid1(VALU_DEP_2)
	v_add_co_u32 v0, vcc_lo, v0, v2
	v_add_co_ci_u32_e32 v1, vcc_lo, v1, v3, vcc_lo
	s_clause 0x1
	flat_load_b64 v[2:3], v[0:1]
	flat_load_b64 v[5:6], v[0:1] offset:512
	s_waitcnt vmcnt(1) lgkmcnt(1)
	v_mul_f64 v[0:1], v[2:3], s[16:17]
	s_waitcnt vmcnt(0) lgkmcnt(0)
	v_mul_f64 v[2:3], v[5:6], s[16:17]
	s_branch .LBB182_11
.LBB182_10:
	v_mov_b32_e32 v0, 0
	v_dual_mov_b32 v1, 0 :: v_dual_mov_b32 v2, 0
	v_mov_b32_e32 v3, 0
.LBB182_11:
	s_load_b32 s3, s[0:1], 0x38
	v_lshrrev_b32_e32 v8, 2, v4
	s_lshl_b32 s19, s8, 7
	v_and_b32_e32 v84, 3, v81
	s_and_b32 vcc_lo, exec_lo, s2
	s_delay_alu instid0(VALU_DEP_2) | instskip(NEXT) | instid1(VALU_DEP_2)
	v_add_nc_u32_e32 v80, s19, v8
	v_lshlrev_b32_e32 v9, 3, v84
	s_delay_alu instid0(VALU_DEP_2)
	v_add_nc_u32_e32 v79, 64, v80
	s_cbranch_vccnz .LBB182_15
; %bb.12:
	s_waitcnt lgkmcnt(0)
	v_mad_i64_i32 v[4:5], null, v80, s3, 0
	s_delay_alu instid0(VALU_DEP_2) | instskip(SKIP_1) | instid1(VALU_DEP_1)
	v_mad_i64_i32 v[6:7], null, v79, s3, 0
	v_add_co_u32 v10, s8, s12, v9
	v_add_co_ci_u32_e64 v11, null, s13, 0, s8
	s_delay_alu instid0(VALU_DEP_4) | instskip(NEXT) | instid1(VALU_DEP_4)
	v_lshlrev_b64 v[4:5], 3, v[4:5]
	v_lshlrev_b64 v[6:7], 3, v[6:7]
	s_delay_alu instid0(VALU_DEP_2) | instskip(NEXT) | instid1(VALU_DEP_3)
	v_add_co_u32 v4, vcc_lo, v10, v4
	v_add_co_ci_u32_e32 v5, vcc_lo, v11, v5, vcc_lo
	s_delay_alu instid0(VALU_DEP_3) | instskip(NEXT) | instid1(VALU_DEP_4)
	v_add_co_u32 v6, vcc_lo, v10, v6
	v_add_co_ci_u32_e32 v7, vcc_lo, v11, v7, vcc_lo
	s_clause 0x1
	flat_load_b64 v[4:5], v[4:5]
	flat_load_b64 v[6:7], v[6:7]
	s_waitcnt vmcnt(1) lgkmcnt(1)
	v_mul_f64 v[4:5], v[4:5], s[16:17]
	s_waitcnt vmcnt(0) lgkmcnt(0)
	v_mul_f64 v[6:7], v[6:7], s[16:17]
	v_add_nc_u32_e32 v85, 4, v83
	s_and_b32 vcc_lo, exec_lo, s2
	s_cbranch_vccnz .LBB182_16
.LBB182_13:
	s_delay_alu instid0(VALU_DEP_1) | instskip(SKIP_1) | instid1(VALU_DEP_2)
	v_mad_i64_i32 v[10:11], null, s23, v85, 0
	v_lshlrev_b64 v[12:13], 3, v[68:69]
	v_lshlrev_b64 v[10:11], 3, v[10:11]
	s_delay_alu instid0(VALU_DEP_1) | instskip(NEXT) | instid1(VALU_DEP_2)
	v_add_co_u32 v10, vcc_lo, s20, v10
	v_add_co_ci_u32_e32 v11, vcc_lo, s21, v11, vcc_lo
	s_delay_alu instid0(VALU_DEP_2) | instskip(NEXT) | instid1(VALU_DEP_2)
	v_add_co_u32 v10, vcc_lo, v10, v12
	v_add_co_ci_u32_e32 v11, vcc_lo, v11, v13, vcc_lo
	s_clause 0x1
	flat_load_b64 v[12:13], v[10:11]
	flat_load_b64 v[10:11], v[10:11] offset:512
	s_waitcnt vmcnt(1) lgkmcnt(0)
	v_mul_f64 v[70:71], v[12:13], s[16:17]
	s_waitcnt vmcnt(0)
	v_mul_f64 v[72:73], v[10:11], s[16:17]
	s_and_b32 vcc_lo, exec_lo, s2
	s_mov_b64 s[8:9], 0
	s_cbranch_vccnz .LBB182_17
.LBB182_14:
	s_waitcnt lgkmcnt(0)
	v_mad_i64_i32 v[10:11], null, v80, s3, 0
	v_mad_i64_i32 v[12:13], null, v79, s3, 0
	v_add_co_u32 v14, s9, s12, v9
	s_delay_alu instid0(VALU_DEP_1) | instskip(NEXT) | instid1(VALU_DEP_4)
	v_add_co_ci_u32_e64 v15, null, s13, 0, s9
	v_lshlrev_b64 v[10:11], 3, v[10:11]
	s_delay_alu instid0(VALU_DEP_4) | instskip(NEXT) | instid1(VALU_DEP_2)
	v_lshlrev_b64 v[12:13], 3, v[12:13]
	v_add_co_u32 v10, vcc_lo, v14, v10
	s_delay_alu instid0(VALU_DEP_3) | instskip(NEXT) | instid1(VALU_DEP_3)
	v_add_co_ci_u32_e32 v11, vcc_lo, v15, v11, vcc_lo
	v_add_co_u32 v12, vcc_lo, v14, v12
	s_delay_alu instid0(VALU_DEP_4)
	v_add_co_ci_u32_e32 v13, vcc_lo, v15, v13, vcc_lo
	s_clause 0x1
	flat_load_b64 v[10:11], v[10:11] offset:32
	flat_load_b64 v[12:13], v[12:13] offset:32
	s_waitcnt vmcnt(1) lgkmcnt(1)
	v_mul_f64 v[74:75], v[10:11], s[16:17]
	s_waitcnt vmcnt(0) lgkmcnt(0)
	v_mul_f64 v[76:77], v[12:13], s[16:17]
	s_branch .LBB182_18
.LBB182_15:
	v_mov_b32_e32 v4, 0
	v_dual_mov_b32 v5, 0 :: v_dual_mov_b32 v6, 0
	v_mov_b32_e32 v7, 0
	v_add_nc_u32_e32 v85, 4, v83
	s_and_b32 vcc_lo, exec_lo, s2
	s_cbranch_vccz .LBB182_13
.LBB182_16:
	v_mov_b32_e32 v70, 0
	v_dual_mov_b32 v71, 0 :: v_dual_mov_b32 v72, 0
	v_mov_b32_e32 v73, 0
	s_and_b32 vcc_lo, exec_lo, s2
	s_mov_b64 s[8:9], 0
	s_cbranch_vccz .LBB182_14
.LBB182_17:
	v_mov_b32_e32 v74, 0
	v_dual_mov_b32 v75, 0 :: v_dual_mov_b32 v76, 0
	v_mov_b32_e32 v77, 0
.LBB182_18:
	v_cmp_neq_f64_e64 s22, s[6:7], 0
	v_dual_mov_b32 v91, 0 :: v_dual_lshlrev_b32 v10, 3, v83
	v_dual_mov_b32 v93, 8 :: v_dual_lshlrev_b32 v86, 5, v81
	v_lshl_or_b32 v92, v8, 5, v9
	s_delay_alu instid0(VALU_DEP_3) | instskip(NEXT) | instid1(VALU_DEP_3)
	v_lshl_add_u32 v87, v78, 5, v10
	v_dual_mov_b32 v97, 40 :: v_dual_add_nc_u32 v48, 0x800, v86
	ds_store_2addr_stride64_b64 v92, v[4:5], v[6:7] offset0:16 offset1:20
	ds_store_2addr_stride64_b64 v87, v[0:1], v[2:3] offset1:4
	s_waitcnt lgkmcnt(0)
	s_waitcnt_vscnt null, 0x0
	s_barrier
	buffer_gl0_inv
	ds_load_2addr_b64 v[0:3], v86 offset1:16
	ds_load_2addr_b64 v[4:7], v86 offset0:32 offset1:48
	ds_load_2addr_b64 v[8:11], v86 offset0:64 offset1:80
	;; [unrolled: 1-line block ×4, first 2 shown]
	ds_load_2addr_b64 v[20:23], v48 offset1:16
	ds_load_2addr_b64 v[24:27], v48 offset0:32 offset1:48
	ds_load_2addr_b64 v[28:31], v48 offset0:64 offset1:80
	v_dual_mov_b32 v94, 16 :: v_dual_lshlrev_b32 v89, 5, v82
	ds_load_2addr_b64 v[32:35], v48 offset0:96 offset1:112
	ds_load_2addr_b64 v[36:39], v48 offset0:128 offset1:144
	;; [unrolled: 1-line block ×8, first 2 shown]
	ds_load_2addr_stride64_b64 v[64:67], v89 offset0:16 offset1:20
	v_dual_mov_b32 v95, 24 :: v_dual_add_nc_u32 v88, 0x2000, v92
	v_dual_mov_b32 v99, 56 :: v_dual_add_nc_u32 v90, 0x2000, v89
	v_dual_mov_b32 v96, 32 :: v_dual_mov_b32 v101, 0x48
	v_dual_mov_b32 v98, 48 :: v_dual_mov_b32 v103, 0x58
	;; [unrolled: 1-line block ×3, first 2 shown]
	v_mov_b32_e32 v102, 0x50
	v_mov_b32_e32 v104, 0x60
	;; [unrolled: 1-line block ×20, first 2 shown]
	s_mov_b32 s25, -1
.LBB182_19:                             ; =>This Inner Loop Header: Depth=1
	scratch_load_b64 v[124:125], v91, off
	scratch_load_b64 v[126:127], v93, off
	;; [unrolled: 1-line block ×32, first 2 shown]
	s_cmp_eq_u32 s8, 1
	s_waitcnt lgkmcnt(16)
	v_max_f64 v[190:191], v[0:1], v[0:1]
	s_cselect_b32 vcc_lo, -1, 0
	v_max_f64 v[192:193], v[2:3], v[2:3]
	s_waitcnt lgkmcnt(0)
	v_dual_cndmask_b32 v189, v65, v67 :: v_dual_cndmask_b32 v188, v64, v66
	v_max_f64 v[194:195], v[4:5], v[4:5]
	v_max_f64 v[196:197], v[6:7], v[6:7]
	;; [unrolled: 1-line block ×31, first 2 shown]
	s_mov_b64 s[8:9], 1
	s_and_b32 vcc_lo, exec_lo, s25
	s_mov_b32 s25, 0
	v_min_f64 v[190:191], v[190:191], v[188:189]
	v_min_f64 v[192:193], v[192:193], v[188:189]
	;; [unrolled: 1-line block ×32, first 2 shown]
	s_waitcnt vmcnt(31)
	v_add_f64 v[124:125], v[124:125], v[190:191]
	s_waitcnt vmcnt(30)
	v_add_f64 v[126:127], v[192:193], v[126:127]
	;; [unrolled: 2-line block ×32, first 2 shown]
	scratch_store_b64 v91, v[124:125], off
	scratch_store_b64 v93, v[126:127], off
	;; [unrolled: 1-line block ×32, first 2 shown]
	v_mov_b32_e32 v91, 0x100
	v_mov_b32_e32 v93, 0x108
	;; [unrolled: 1-line block ×32, first 2 shown]
	s_cbranch_vccnz .LBB182_19
; %bb.20:
	v_dual_mov_b32 v91, 0 :: v_dual_add_nc_u32 v60, 0x800, v86
	ds_load_2addr_b64 v[0:3], v86 offset0:1 offset1:17
	ds_load_2addr_b64 v[4:7], v86 offset0:33 offset1:49
	;; [unrolled: 1-line block ×12, first 2 shown]
	v_dual_mov_b32 v93, 8 :: v_dual_add_nc_u32 v64, 8, v90
	ds_load_2addr_b64 v[48:51], v60 offset0:129 offset1:145
	ds_load_2addr_b64 v[52:55], v60 offset0:161 offset1:177
	;; [unrolled: 1-line block ×4, first 2 shown]
	ds_load_2addr_stride64_b64 v[64:67], v64 offset1:4
	v_dual_mov_b32 v94, 16 :: v_dual_mov_b32 v95, 24
	v_dual_mov_b32 v96, 32 :: v_dual_mov_b32 v97, 40
	;; [unrolled: 1-line block ×4, first 2 shown]
	v_mov_b32_e32 v102, 0x50
	v_mov_b32_e32 v103, 0x58
	;; [unrolled: 1-line block ×22, first 2 shown]
	s_mov_b64 s[8:9], 0
	s_mov_b32 s25, -1
.LBB182_21:                             ; =>This Inner Loop Header: Depth=1
	scratch_load_b64 v[124:125], v91, off
	scratch_load_b64 v[126:127], v93, off
	;; [unrolled: 1-line block ×32, first 2 shown]
	s_cmp_eq_u32 s8, 1
	s_waitcnt lgkmcnt(16)
	v_max_f64 v[190:191], v[0:1], v[0:1]
	s_cselect_b32 vcc_lo, -1, 0
	v_max_f64 v[192:193], v[2:3], v[2:3]
	s_waitcnt lgkmcnt(0)
	v_dual_cndmask_b32 v189, v65, v67 :: v_dual_cndmask_b32 v188, v64, v66
	v_max_f64 v[194:195], v[4:5], v[4:5]
	v_max_f64 v[196:197], v[6:7], v[6:7]
	;; [unrolled: 1-line block ×31, first 2 shown]
	s_mov_b64 s[8:9], 1
	s_and_b32 vcc_lo, exec_lo, s25
	s_mov_b32 s25, 0
	v_min_f64 v[190:191], v[190:191], v[188:189]
	v_min_f64 v[192:193], v[192:193], v[188:189]
	v_min_f64 v[194:195], v[194:195], v[188:189]
	v_min_f64 v[196:197], v[196:197], v[188:189]
	v_min_f64 v[198:199], v[198:199], v[188:189]
	v_min_f64 v[200:201], v[200:201], v[188:189]
	v_min_f64 v[202:203], v[202:203], v[188:189]
	v_min_f64 v[204:205], v[204:205], v[188:189]
	v_min_f64 v[206:207], v[206:207], v[188:189]
	v_min_f64 v[208:209], v[208:209], v[188:189]
	v_min_f64 v[210:211], v[210:211], v[188:189]
	v_min_f64 v[212:213], v[212:213], v[188:189]
	v_min_f64 v[214:215], v[214:215], v[188:189]
	v_min_f64 v[216:217], v[216:217], v[188:189]
	v_min_f64 v[218:219], v[218:219], v[188:189]
	v_min_f64 v[220:221], v[220:221], v[188:189]
	v_min_f64 v[222:223], v[222:223], v[188:189]
	v_min_f64 v[224:225], v[224:225], v[188:189]
	v_min_f64 v[226:227], v[226:227], v[188:189]
	v_min_f64 v[228:229], v[228:229], v[188:189]
	v_min_f64 v[230:231], v[230:231], v[188:189]
	v_min_f64 v[232:233], v[232:233], v[188:189]
	v_min_f64 v[234:235], v[234:235], v[188:189]
	v_min_f64 v[236:237], v[236:237], v[188:189]
	v_min_f64 v[238:239], v[238:239], v[188:189]
	v_min_f64 v[240:241], v[240:241], v[188:189]
	v_min_f64 v[242:243], v[242:243], v[188:189]
	v_min_f64 v[244:245], v[244:245], v[188:189]
	v_min_f64 v[246:247], v[246:247], v[188:189]
	v_min_f64 v[248:249], v[248:249], v[188:189]
	v_min_f64 v[250:251], v[250:251], v[188:189]
	v_min_f64 v[188:189], v[252:253], v[188:189]
	s_waitcnt vmcnt(31)
	v_add_f64 v[124:125], v[124:125], v[190:191]
	s_waitcnt vmcnt(30)
	v_add_f64 v[126:127], v[192:193], v[126:127]
	;; [unrolled: 2-line block ×32, first 2 shown]
	scratch_store_b64 v91, v[124:125], off
	scratch_store_b64 v93, v[126:127], off
	;; [unrolled: 1-line block ×32, first 2 shown]
	v_mov_b32_e32 v91, 0x100
	v_mov_b32_e32 v93, 0x108
	;; [unrolled: 1-line block ×32, first 2 shown]
	s_cbranch_vccnz .LBB182_21
; %bb.22:
	v_dual_mov_b32 v91, 0 :: v_dual_add_nc_u32 v60, 0x800, v86
	ds_load_2addr_b64 v[0:3], v86 offset0:2 offset1:18
	ds_load_2addr_b64 v[4:7], v86 offset0:34 offset1:50
	ds_load_2addr_b64 v[8:11], v86 offset0:66 offset1:82
	ds_load_2addr_b64 v[12:15], v86 offset0:98 offset1:114
	ds_load_2addr_b64 v[16:19], v86 offset0:130 offset1:146
	ds_load_2addr_b64 v[20:23], v86 offset0:162 offset1:178
	ds_load_2addr_b64 v[24:27], v86 offset0:194 offset1:210
	ds_load_2addr_b64 v[28:31], v86 offset0:226 offset1:242
	ds_load_2addr_b64 v[32:35], v60 offset0:2 offset1:18
	ds_load_2addr_b64 v[36:39], v60 offset0:34 offset1:50
	ds_load_2addr_b64 v[40:43], v60 offset0:66 offset1:82
	ds_load_2addr_b64 v[44:47], v60 offset0:98 offset1:114
	v_dual_mov_b32 v93, 8 :: v_dual_add_nc_u32 v64, 16, v90
	ds_load_2addr_b64 v[48:51], v60 offset0:130 offset1:146
	ds_load_2addr_b64 v[52:55], v60 offset0:162 offset1:178
	;; [unrolled: 1-line block ×4, first 2 shown]
	ds_load_2addr_stride64_b64 v[64:67], v64 offset1:4
	v_dual_mov_b32 v94, 16 :: v_dual_mov_b32 v95, 24
	v_dual_mov_b32 v96, 32 :: v_dual_mov_b32 v97, 40
	;; [unrolled: 1-line block ×4, first 2 shown]
	v_mov_b32_e32 v102, 0x50
	v_mov_b32_e32 v103, 0x58
	;; [unrolled: 1-line block ×22, first 2 shown]
	s_mov_b64 s[8:9], 0
	s_mov_b32 s25, -1
.LBB182_23:                             ; =>This Inner Loop Header: Depth=1
	scratch_load_b64 v[124:125], v91, off
	scratch_load_b64 v[126:127], v93, off
	;; [unrolled: 1-line block ×32, first 2 shown]
	s_cmp_eq_u32 s8, 1
	s_waitcnt lgkmcnt(16)
	v_max_f64 v[190:191], v[0:1], v[0:1]
	s_cselect_b32 vcc_lo, -1, 0
	v_max_f64 v[192:193], v[2:3], v[2:3]
	s_waitcnt lgkmcnt(0)
	v_dual_cndmask_b32 v189, v65, v67 :: v_dual_cndmask_b32 v188, v64, v66
	v_max_f64 v[194:195], v[4:5], v[4:5]
	v_max_f64 v[196:197], v[6:7], v[6:7]
	v_max_f64 v[198:199], v[8:9], v[8:9]
	v_max_f64 v[200:201], v[10:11], v[10:11]
	v_max_f64 v[188:189], v[188:189], v[188:189]
	v_max_f64 v[202:203], v[12:13], v[12:13]
	v_max_f64 v[204:205], v[14:15], v[14:15]
	v_max_f64 v[206:207], v[16:17], v[16:17]
	v_max_f64 v[208:209], v[18:19], v[18:19]
	v_max_f64 v[210:211], v[20:21], v[20:21]
	v_max_f64 v[212:213], v[22:23], v[22:23]
	v_max_f64 v[214:215], v[24:25], v[24:25]
	v_max_f64 v[216:217], v[26:27], v[26:27]
	v_max_f64 v[218:219], v[28:29], v[28:29]
	v_max_f64 v[220:221], v[30:31], v[30:31]
	v_max_f64 v[222:223], v[32:33], v[32:33]
	v_max_f64 v[224:225], v[34:35], v[34:35]
	v_max_f64 v[226:227], v[36:37], v[36:37]
	v_max_f64 v[228:229], v[38:39], v[38:39]
	v_max_f64 v[230:231], v[40:41], v[40:41]
	v_max_f64 v[232:233], v[42:43], v[42:43]
	v_max_f64 v[234:235], v[44:45], v[44:45]
	v_max_f64 v[236:237], v[46:47], v[46:47]
	v_max_f64 v[238:239], v[48:49], v[48:49]
	v_max_f64 v[240:241], v[50:51], v[50:51]
	v_max_f64 v[242:243], v[52:53], v[52:53]
	v_max_f64 v[244:245], v[54:55], v[54:55]
	v_max_f64 v[246:247], v[56:57], v[56:57]
	v_max_f64 v[248:249], v[58:59], v[58:59]
	v_max_f64 v[250:251], v[60:61], v[60:61]
	v_max_f64 v[252:253], v[62:63], v[62:63]
	s_mov_b64 s[8:9], 1
	s_and_b32 vcc_lo, exec_lo, s25
	s_mov_b32 s25, 0
	v_min_f64 v[190:191], v[190:191], v[188:189]
	v_min_f64 v[192:193], v[192:193], v[188:189]
	;; [unrolled: 1-line block ×32, first 2 shown]
	s_waitcnt vmcnt(31)
	v_add_f64 v[124:125], v[124:125], v[190:191]
	s_waitcnt vmcnt(30)
	v_add_f64 v[126:127], v[192:193], v[126:127]
	;; [unrolled: 2-line block ×32, first 2 shown]
	scratch_store_b64 v91, v[124:125], off
	scratch_store_b64 v93, v[126:127], off
	;; [unrolled: 1-line block ×32, first 2 shown]
	v_mov_b32_e32 v91, 0x100
	v_mov_b32_e32 v93, 0x108
	;; [unrolled: 1-line block ×32, first 2 shown]
	s_cbranch_vccnz .LBB182_23
; %bb.24:
	v_dual_mov_b32 v91, 0 :: v_dual_add_nc_u32 v60, 0x800, v86
	ds_load_2addr_b64 v[0:3], v86 offset0:3 offset1:19
	ds_load_2addr_b64 v[4:7], v86 offset0:35 offset1:51
	;; [unrolled: 1-line block ×12, first 2 shown]
	v_dual_mov_b32 v93, 8 :: v_dual_add_nc_u32 v64, 24, v90
	ds_load_2addr_b64 v[48:51], v60 offset0:131 offset1:147
	ds_load_2addr_b64 v[52:55], v60 offset0:163 offset1:179
	;; [unrolled: 1-line block ×4, first 2 shown]
	ds_load_2addr_stride64_b64 v[64:67], v64 offset1:4
	v_dual_mov_b32 v94, 16 :: v_dual_mov_b32 v95, 24
	v_dual_mov_b32 v96, 32 :: v_dual_mov_b32 v97, 40
	;; [unrolled: 1-line block ×4, first 2 shown]
	v_mov_b32_e32 v102, 0x50
	v_mov_b32_e32 v103, 0x58
	;; [unrolled: 1-line block ×22, first 2 shown]
	s_mov_b64 s[8:9], 0
	s_mov_b32 s25, -1
.LBB182_25:                             ; =>This Inner Loop Header: Depth=1
	scratch_load_b64 v[124:125], v91, off
	scratch_load_b64 v[126:127], v93, off
	;; [unrolled: 1-line block ×32, first 2 shown]
	s_cmp_eq_u32 s8, 1
	s_waitcnt lgkmcnt(16)
	v_max_f64 v[190:191], v[0:1], v[0:1]
	s_cselect_b32 vcc_lo, -1, 0
	v_max_f64 v[192:193], v[2:3], v[2:3]
	s_waitcnt lgkmcnt(0)
	v_dual_cndmask_b32 v189, v65, v67 :: v_dual_cndmask_b32 v188, v64, v66
	v_max_f64 v[194:195], v[4:5], v[4:5]
	v_max_f64 v[196:197], v[6:7], v[6:7]
	;; [unrolled: 1-line block ×31, first 2 shown]
	s_mov_b64 s[8:9], 1
	s_and_b32 vcc_lo, exec_lo, s25
	s_mov_b32 s25, 0
	v_min_f64 v[190:191], v[190:191], v[188:189]
	v_min_f64 v[192:193], v[192:193], v[188:189]
	;; [unrolled: 1-line block ×32, first 2 shown]
	s_waitcnt vmcnt(31)
	v_add_f64 v[124:125], v[124:125], v[190:191]
	s_waitcnt vmcnt(30)
	v_add_f64 v[126:127], v[192:193], v[126:127]
	;; [unrolled: 2-line block ×32, first 2 shown]
	scratch_store_b64 v91, v[124:125], off
	scratch_store_b64 v93, v[126:127], off
	;; [unrolled: 1-line block ×32, first 2 shown]
	v_mov_b32_e32 v91, 0x100
	v_mov_b32_e32 v93, 0x108
	;; [unrolled: 1-line block ×32, first 2 shown]
	s_cbranch_vccnz .LBB182_25
; %bb.26:
	s_load_b32 s8, s[0:1], 0x8
	v_lshlrev_b32_e32 v0, 5, v78
	s_mov_b32 s25, 8
	s_delay_alu instid0(VALU_DEP_1)
	v_lshl_add_u32 v0, v83, 3, v0
	ds_store_2addr_stride64_b64 v0, v[70:71], v[72:73] offset0:8 offset1:12
	ds_store_2addr_stride64_b64 v92, v[74:75], v[76:77] offset0:24 offset1:28
	s_waitcnt lgkmcnt(0)
	s_waitcnt_vscnt null, 0x0
	s_barrier
	buffer_gl0_inv
	s_cmp_gt_i32 s8, 8
	s_cbranch_scc0 .LBB182_55
; %bb.27:
	v_or_b32_e32 v91, 0x1000, v0
	v_mad_i64_i32 v[0:1], null, v80, s3, 0
	v_mad_i64_i32 v[4:5], null, v79, s3, 0
	v_lshlrev_b64 v[2:3], 3, v[68:69]
	v_lshl_add_u32 v93, v81, 5, 0x1000
	v_add_nc_u32_e32 v92, 0x3000, v92
	v_lshl_add_u32 v94, v82, 5, 0x3000
	v_lshlrev_b64 v[69:70], 3, v[0:1]
	s_delay_alu instid0(VALU_DEP_4)
	v_dual_mov_b32 v68, 0 :: v_dual_add_nc_u32 v97, 0x800, v93
	v_add_co_u32 v95, vcc_lo, s20, v2
	v_lshlrev_b64 v[71:72], 3, v[4:5]
	v_add_co_ci_u32_e32 v96, vcc_lo, s21, v3, vcc_lo
	s_add_i32 s20, s8, -8
	s_mov_b32 s21, 0
	s_and_b32 s3, exec_lo, s26
.LBB182_28:                             ; =>This Loop Header: Depth=1
                                        ;     Child Loop BB182_34 Depth 2
                                        ;     Child Loop BB182_36 Depth 2
                                        ;     Child Loop BB182_38 Depth 2
                                        ;     Child Loop BB182_40 Depth 2
                                        ;     Child Loop BB182_47 Depth 2
                                        ;     Child Loop BB182_49 Depth 2
                                        ;     Child Loop BB182_51 Depth 2
                                        ;     Child Loop BB182_53 Depth 2
	s_and_b32 vcc_lo, exec_lo, s2
	s_cbranch_vccnz .LBB182_31
; %bb.29:                               ;   in Loop: Header=BB182_28 Depth=1
	v_add_nc_u32_e32 v4, s25, v83
	s_delay_alu instid0(VALU_DEP_1) | instskip(NEXT) | instid1(VALU_DEP_1)
	v_mad_u64_u32 v[0:1], null, v4, s23, 0
	v_mad_u64_u32 v[2:3], null, v4, s24, v[1:2]
	s_delay_alu instid0(VALU_DEP_1) | instskip(NEXT) | instid1(VALU_DEP_1)
	v_mov_b32_e32 v1, v2
	v_lshlrev_b64 v[0:1], 3, v[0:1]
	s_delay_alu instid0(VALU_DEP_1) | instskip(NEXT) | instid1(VALU_DEP_2)
	v_add_co_u32 v0, vcc_lo, v95, v0
	v_add_co_ci_u32_e32 v1, vcc_lo, v96, v1, vcc_lo
	s_clause 0x1
	flat_load_b64 v[2:3], v[0:1]
	flat_load_b64 v[0:1], v[0:1] offset:512
	s_waitcnt vmcnt(1) lgkmcnt(1)
	v_mul_f64 v[73:74], v[2:3], s[16:17]
	s_waitcnt vmcnt(0) lgkmcnt(0)
	v_mul_f64 v[75:76], v[0:1], s[16:17]
	s_and_b32 vcc_lo, exec_lo, s2
	s_mov_b64 s[8:9], 0
	s_cbranch_vccnz .LBB182_32
.LBB182_30:                             ;   in Loop: Header=BB182_28 Depth=1
	v_or_b32_e32 v67, s25, v84
	s_delay_alu instid0(VALU_DEP_1) | instskip(NEXT) | instid1(VALU_DEP_1)
	v_lshlrev_b64 v[0:1], 3, v[67:68]
	v_add_co_u32 v2, vcc_lo, s12, v0
	s_delay_alu instid0(VALU_DEP_2) | instskip(NEXT) | instid1(VALU_DEP_2)
	v_add_co_ci_u32_e32 v3, vcc_lo, s13, v1, vcc_lo
	v_add_co_u32 v0, vcc_lo, v2, v69
	s_delay_alu instid0(VALU_DEP_2)
	v_add_co_ci_u32_e32 v1, vcc_lo, v3, v70, vcc_lo
	v_add_co_u32 v2, vcc_lo, v2, v71
	v_add_co_ci_u32_e32 v3, vcc_lo, v3, v72, vcc_lo
	s_clause 0x1
	flat_load_b64 v[0:1], v[0:1]
	flat_load_b64 v[2:3], v[2:3]
	s_waitcnt vmcnt(1) lgkmcnt(1)
	v_mul_f64 v[77:78], v[0:1], s[16:17]
	s_waitcnt vmcnt(0) lgkmcnt(0)
	v_mul_f64 v[79:80], v[2:3], s[16:17]
	s_branch .LBB182_33
.LBB182_31:                             ;   in Loop: Header=BB182_28 Depth=1
	v_mov_b32_e32 v73, 0
	v_dual_mov_b32 v74, 0 :: v_dual_mov_b32 v75, 0
	v_mov_b32_e32 v76, 0
	s_and_b32 vcc_lo, exec_lo, s2
	s_mov_b64 s[8:9], 0
	s_cbranch_vccz .LBB182_30
.LBB182_32:                             ;   in Loop: Header=BB182_28 Depth=1
	v_mov_b32_e32 v77, 0
	v_dual_mov_b32 v78, 0 :: v_dual_mov_b32 v79, 0
	v_mov_b32_e32 v80, 0
.LBB182_33:                             ;   in Loop: Header=BB182_28 Depth=1
	ds_load_2addr_b64 v[0:3], v93 offset1:16
	ds_load_2addr_b64 v[4:7], v93 offset0:32 offset1:48
	ds_load_2addr_b64 v[8:11], v93 offset0:64 offset1:80
	;; [unrolled: 1-line block ×7, first 2 shown]
	ds_load_2addr_b64 v[32:35], v97 offset1:16
	ds_load_2addr_b64 v[36:39], v97 offset0:32 offset1:48
	ds_load_2addr_b64 v[40:43], v97 offset0:64 offset1:80
	;; [unrolled: 1-line block ×7, first 2 shown]
	ds_load_2addr_stride64_b64 v[64:67], v94 offset1:4
	v_dual_mov_b32 v129, 0 :: v_dual_mov_b32 v128, 8
	v_dual_mov_b32 v127, 16 :: v_dual_mov_b32 v126, 24
	;; [unrolled: 1-line block ×5, first 2 shown]
	v_mov_b32_e32 v119, 0x50
	v_mov_b32_e32 v118, 0x58
	;; [unrolled: 1-line block ×22, first 2 shown]
	s_mov_b32 s26, -1
.LBB182_34:                             ;   Parent Loop BB182_28 Depth=1
                                        ; =>  This Inner Loop Header: Depth=2
	scratch_load_b64 v[134:135], v129, off
	s_cmp_eq_u32 s8, 1
	s_waitcnt lgkmcnt(16)
	v_max_f64 v[132:133], v[0:1], v[0:1]
	s_cselect_b32 vcc_lo, -1, 0
	s_mov_b64 s[8:9], 1
	s_waitcnt lgkmcnt(0)
	v_dual_cndmask_b32 v131, v65, v67 :: v_dual_cndmask_b32 v130, v64, v66
	s_and_b32 vcc_lo, exec_lo, s26
	s_mov_b32 s26, 0
	s_delay_alu instid0(VALU_DEP_1) | instskip(NEXT) | instid1(VALU_DEP_1)
	v_max_f64 v[130:131], v[130:131], v[130:131]
	v_min_f64 v[132:133], v[132:133], v[130:131]
	s_waitcnt vmcnt(0)
	s_delay_alu instid0(VALU_DEP_1) | instskip(SKIP_3) | instid1(VALU_DEP_1)
	v_add_f64 v[132:133], v[134:135], v[132:133]
	scratch_load_b64 v[134:135], v128, off
	scratch_store_b64 v129, v[132:133], off
	v_max_f64 v[132:133], v[2:3], v[2:3]
	v_min_f64 v[132:133], v[132:133], v[130:131]
	s_waitcnt vmcnt(0)
	s_delay_alu instid0(VALU_DEP_1) | instskip(SKIP_3) | instid1(VALU_DEP_1)
	v_add_f64 v[132:133], v[132:133], v[134:135]
	scratch_store_b64 v128, v[132:133], off
	scratch_load_b64 v[132:133], v127, off
	v_max_f64 v[128:129], v[4:5], v[4:5]
	v_min_f64 v[128:129], v[128:129], v[130:131]
	s_waitcnt vmcnt(0)
	s_delay_alu instid0(VALU_DEP_1) | instskip(SKIP_3) | instid1(VALU_DEP_1)
	v_add_f64 v[128:129], v[128:129], v[132:133]
	scratch_load_b64 v[132:133], v126, off
	scratch_store_b64 v127, v[128:129], off
	v_max_f64 v[127:128], v[6:7], v[6:7]
	v_min_f64 v[127:128], v[127:128], v[130:131]
	s_waitcnt vmcnt(0)
	s_delay_alu instid0(VALU_DEP_1) | instskip(SKIP_3) | instid1(VALU_DEP_1)
	v_add_f64 v[127:128], v[127:128], v[132:133]
	scratch_store_b64 v126, v[127:128], off
	scratch_load_b64 v[128:129], v125, off
	v_max_f64 v[126:127], v[8:9], v[8:9]
	v_min_f64 v[126:127], v[126:127], v[130:131]
	s_waitcnt vmcnt(0)
	s_delay_alu instid0(VALU_DEP_1) | instskip(SKIP_4) | instid1(VALU_DEP_1)
	v_add_f64 v[126:127], v[126:127], v[128:129]
	v_mov_b32_e32 v129, 0x100
	scratch_store_b64 v125, v[126:127], off
	scratch_load_b64 v[127:128], v124, off
	v_max_f64 v[125:126], v[10:11], v[10:11]
	v_min_f64 v[125:126], v[125:126], v[130:131]
	s_waitcnt vmcnt(0)
	s_delay_alu instid0(VALU_DEP_1) | instskip(SKIP_4) | instid1(VALU_DEP_1)
	v_add_f64 v[125:126], v[125:126], v[127:128]
	v_mov_b32_e32 v128, 0x108
	;; [unrolled: 8-line block ×27, first 2 shown]
	scratch_store_b64 v99, v[100:101], off
	scratch_load_b64 v[101:102], v98, off
	v_max_f64 v[99:100], v[62:63], v[62:63]
	v_min_f64 v[99:100], v[99:100], v[130:131]
	s_waitcnt vmcnt(0)
	s_delay_alu instid0(VALU_DEP_1)
	v_add_f64 v[99:100], v[99:100], v[101:102]
	v_mov_b32_e32 v102, 0x1d8
	v_mov_b32_e32 v101, 0x1e0
	scratch_store_b64 v98, v[99:100], off
	v_mov_b32_e32 v100, 0x1e8
	v_mov_b32_e32 v99, 0x1f0
	;; [unrolled: 1-line block ×3, first 2 shown]
	s_cbranch_vccnz .LBB182_34
; %bb.35:                               ;   in Loop: Header=BB182_28 Depth=1
	ds_load_2addr_b64 v[0:3], v93 offset0:1 offset1:17
	ds_load_2addr_b64 v[4:7], v93 offset0:33 offset1:49
	;; [unrolled: 1-line block ×12, first 2 shown]
	v_dual_mov_b32 v129, 0 :: v_dual_add_nc_u32 v64, 8, v94
	ds_load_2addr_b64 v[48:51], v97 offset0:129 offset1:145
	ds_load_2addr_b64 v[52:55], v97 offset0:161 offset1:177
	;; [unrolled: 1-line block ×4, first 2 shown]
	ds_load_2addr_stride64_b64 v[64:67], v64 offset1:4
	v_dual_mov_b32 v128, 8 :: v_dual_mov_b32 v127, 16
	v_dual_mov_b32 v126, 24 :: v_dual_mov_b32 v125, 32
	;; [unrolled: 1-line block ×4, first 2 shown]
	v_mov_b32_e32 v120, 0x48
	v_mov_b32_e32 v119, 0x50
	;; [unrolled: 1-line block ×23, first 2 shown]
	s_mov_b64 s[8:9], 0
	s_mov_b32 s26, -1
.LBB182_36:                             ;   Parent Loop BB182_28 Depth=1
                                        ; =>  This Inner Loop Header: Depth=2
	scratch_load_b64 v[134:135], v129, off
	s_cmp_eq_u32 s8, 1
	s_waitcnt lgkmcnt(16)
	v_max_f64 v[132:133], v[0:1], v[0:1]
	s_cselect_b32 vcc_lo, -1, 0
	s_mov_b64 s[8:9], 1
	s_waitcnt lgkmcnt(0)
	v_dual_cndmask_b32 v131, v65, v67 :: v_dual_cndmask_b32 v130, v64, v66
	s_and_b32 vcc_lo, exec_lo, s26
	s_mov_b32 s26, 0
	s_delay_alu instid0(VALU_DEP_1) | instskip(NEXT) | instid1(VALU_DEP_1)
	v_max_f64 v[130:131], v[130:131], v[130:131]
	v_min_f64 v[132:133], v[132:133], v[130:131]
	s_waitcnt vmcnt(0)
	s_delay_alu instid0(VALU_DEP_1) | instskip(SKIP_3) | instid1(VALU_DEP_1)
	v_add_f64 v[132:133], v[134:135], v[132:133]
	scratch_load_b64 v[134:135], v128, off
	scratch_store_b64 v129, v[132:133], off
	v_max_f64 v[132:133], v[2:3], v[2:3]
	v_min_f64 v[132:133], v[132:133], v[130:131]
	s_waitcnt vmcnt(0)
	s_delay_alu instid0(VALU_DEP_1) | instskip(SKIP_3) | instid1(VALU_DEP_1)
	v_add_f64 v[132:133], v[132:133], v[134:135]
	scratch_store_b64 v128, v[132:133], off
	scratch_load_b64 v[132:133], v127, off
	v_max_f64 v[128:129], v[4:5], v[4:5]
	v_min_f64 v[128:129], v[128:129], v[130:131]
	s_waitcnt vmcnt(0)
	s_delay_alu instid0(VALU_DEP_1) | instskip(SKIP_3) | instid1(VALU_DEP_1)
	v_add_f64 v[128:129], v[128:129], v[132:133]
	scratch_load_b64 v[132:133], v126, off
	scratch_store_b64 v127, v[128:129], off
	v_max_f64 v[127:128], v[6:7], v[6:7]
	v_min_f64 v[127:128], v[127:128], v[130:131]
	s_waitcnt vmcnt(0)
	s_delay_alu instid0(VALU_DEP_1) | instskip(SKIP_3) | instid1(VALU_DEP_1)
	v_add_f64 v[127:128], v[127:128], v[132:133]
	scratch_store_b64 v126, v[127:128], off
	scratch_load_b64 v[128:129], v125, off
	v_max_f64 v[126:127], v[8:9], v[8:9]
	v_min_f64 v[126:127], v[126:127], v[130:131]
	s_waitcnt vmcnt(0)
	s_delay_alu instid0(VALU_DEP_1) | instskip(SKIP_4) | instid1(VALU_DEP_1)
	v_add_f64 v[126:127], v[126:127], v[128:129]
	v_mov_b32_e32 v129, 0x100
	scratch_store_b64 v125, v[126:127], off
	scratch_load_b64 v[127:128], v124, off
	v_max_f64 v[125:126], v[10:11], v[10:11]
	v_min_f64 v[125:126], v[125:126], v[130:131]
	s_waitcnt vmcnt(0)
	s_delay_alu instid0(VALU_DEP_1) | instskip(SKIP_4) | instid1(VALU_DEP_1)
	v_add_f64 v[125:126], v[125:126], v[127:128]
	v_mov_b32_e32 v128, 0x108
	;; [unrolled: 8-line block ×27, first 2 shown]
	scratch_store_b64 v99, v[100:101], off
	scratch_load_b64 v[101:102], v98, off
	v_max_f64 v[99:100], v[62:63], v[62:63]
	v_min_f64 v[99:100], v[99:100], v[130:131]
	s_waitcnt vmcnt(0)
	s_delay_alu instid0(VALU_DEP_1)
	v_add_f64 v[99:100], v[99:100], v[101:102]
	v_mov_b32_e32 v102, 0x1d8
	v_mov_b32_e32 v101, 0x1e0
	scratch_store_b64 v98, v[99:100], off
	v_mov_b32_e32 v100, 0x1e8
	v_mov_b32_e32 v99, 0x1f0
	;; [unrolled: 1-line block ×3, first 2 shown]
	s_cbranch_vccnz .LBB182_36
; %bb.37:                               ;   in Loop: Header=BB182_28 Depth=1
	ds_load_2addr_b64 v[0:3], v93 offset0:2 offset1:18
	ds_load_2addr_b64 v[4:7], v93 offset0:34 offset1:50
	;; [unrolled: 1-line block ×12, first 2 shown]
	v_dual_mov_b32 v129, 0 :: v_dual_add_nc_u32 v64, 16, v94
	ds_load_2addr_b64 v[48:51], v97 offset0:130 offset1:146
	ds_load_2addr_b64 v[52:55], v97 offset0:162 offset1:178
	;; [unrolled: 1-line block ×4, first 2 shown]
	ds_load_2addr_stride64_b64 v[64:67], v64 offset1:4
	v_dual_mov_b32 v128, 8 :: v_dual_mov_b32 v127, 16
	v_dual_mov_b32 v126, 24 :: v_dual_mov_b32 v125, 32
	;; [unrolled: 1-line block ×4, first 2 shown]
	v_mov_b32_e32 v120, 0x48
	v_mov_b32_e32 v119, 0x50
	;; [unrolled: 1-line block ×23, first 2 shown]
	s_mov_b64 s[8:9], 0
	s_mov_b32 s26, -1
.LBB182_38:                             ;   Parent Loop BB182_28 Depth=1
                                        ; =>  This Inner Loop Header: Depth=2
	scratch_load_b64 v[134:135], v129, off
	s_cmp_eq_u32 s8, 1
	s_waitcnt lgkmcnt(16)
	v_max_f64 v[132:133], v[0:1], v[0:1]
	s_cselect_b32 vcc_lo, -1, 0
	s_mov_b64 s[8:9], 1
	s_waitcnt lgkmcnt(0)
	v_dual_cndmask_b32 v131, v65, v67 :: v_dual_cndmask_b32 v130, v64, v66
	s_and_b32 vcc_lo, exec_lo, s26
	s_mov_b32 s26, 0
	s_delay_alu instid0(VALU_DEP_1) | instskip(NEXT) | instid1(VALU_DEP_1)
	v_max_f64 v[130:131], v[130:131], v[130:131]
	v_min_f64 v[132:133], v[132:133], v[130:131]
	s_waitcnt vmcnt(0)
	s_delay_alu instid0(VALU_DEP_1) | instskip(SKIP_3) | instid1(VALU_DEP_1)
	v_add_f64 v[132:133], v[134:135], v[132:133]
	scratch_load_b64 v[134:135], v128, off
	scratch_store_b64 v129, v[132:133], off
	v_max_f64 v[132:133], v[2:3], v[2:3]
	v_min_f64 v[132:133], v[132:133], v[130:131]
	s_waitcnt vmcnt(0)
	s_delay_alu instid0(VALU_DEP_1) | instskip(SKIP_3) | instid1(VALU_DEP_1)
	v_add_f64 v[132:133], v[132:133], v[134:135]
	scratch_store_b64 v128, v[132:133], off
	scratch_load_b64 v[132:133], v127, off
	v_max_f64 v[128:129], v[4:5], v[4:5]
	v_min_f64 v[128:129], v[128:129], v[130:131]
	s_waitcnt vmcnt(0)
	s_delay_alu instid0(VALU_DEP_1) | instskip(SKIP_3) | instid1(VALU_DEP_1)
	v_add_f64 v[128:129], v[128:129], v[132:133]
	scratch_load_b64 v[132:133], v126, off
	scratch_store_b64 v127, v[128:129], off
	v_max_f64 v[127:128], v[6:7], v[6:7]
	v_min_f64 v[127:128], v[127:128], v[130:131]
	s_waitcnt vmcnt(0)
	s_delay_alu instid0(VALU_DEP_1) | instskip(SKIP_3) | instid1(VALU_DEP_1)
	v_add_f64 v[127:128], v[127:128], v[132:133]
	scratch_store_b64 v126, v[127:128], off
	scratch_load_b64 v[128:129], v125, off
	v_max_f64 v[126:127], v[8:9], v[8:9]
	v_min_f64 v[126:127], v[126:127], v[130:131]
	s_waitcnt vmcnt(0)
	s_delay_alu instid0(VALU_DEP_1) | instskip(SKIP_4) | instid1(VALU_DEP_1)
	v_add_f64 v[126:127], v[126:127], v[128:129]
	v_mov_b32_e32 v129, 0x100
	scratch_store_b64 v125, v[126:127], off
	scratch_load_b64 v[127:128], v124, off
	v_max_f64 v[125:126], v[10:11], v[10:11]
	v_min_f64 v[125:126], v[125:126], v[130:131]
	s_waitcnt vmcnt(0)
	s_delay_alu instid0(VALU_DEP_1) | instskip(SKIP_4) | instid1(VALU_DEP_1)
	v_add_f64 v[125:126], v[125:126], v[127:128]
	v_mov_b32_e32 v128, 0x108
	;; [unrolled: 8-line block ×27, first 2 shown]
	scratch_store_b64 v99, v[100:101], off
	scratch_load_b64 v[101:102], v98, off
	v_max_f64 v[99:100], v[62:63], v[62:63]
	v_min_f64 v[99:100], v[99:100], v[130:131]
	s_waitcnt vmcnt(0)
	s_delay_alu instid0(VALU_DEP_1)
	v_add_f64 v[99:100], v[99:100], v[101:102]
	v_mov_b32_e32 v102, 0x1d8
	v_mov_b32_e32 v101, 0x1e0
	scratch_store_b64 v98, v[99:100], off
	v_mov_b32_e32 v100, 0x1e8
	v_mov_b32_e32 v99, 0x1f0
	;; [unrolled: 1-line block ×3, first 2 shown]
	s_cbranch_vccnz .LBB182_38
; %bb.39:                               ;   in Loop: Header=BB182_28 Depth=1
	ds_load_2addr_b64 v[0:3], v93 offset0:3 offset1:19
	ds_load_2addr_b64 v[4:7], v93 offset0:35 offset1:51
	;; [unrolled: 1-line block ×12, first 2 shown]
	v_dual_mov_b32 v129, 0 :: v_dual_add_nc_u32 v64, 24, v94
	ds_load_2addr_b64 v[48:51], v97 offset0:131 offset1:147
	ds_load_2addr_b64 v[52:55], v97 offset0:163 offset1:179
	;; [unrolled: 1-line block ×4, first 2 shown]
	ds_load_2addr_stride64_b64 v[64:67], v64 offset1:4
	v_dual_mov_b32 v128, 8 :: v_dual_mov_b32 v127, 16
	v_dual_mov_b32 v126, 24 :: v_dual_mov_b32 v125, 32
	;; [unrolled: 1-line block ×4, first 2 shown]
	v_mov_b32_e32 v120, 0x48
	v_mov_b32_e32 v119, 0x50
	v_mov_b32_e32 v118, 0x58
	v_mov_b32_e32 v117, 0x60
	v_mov_b32_e32 v116, 0x68
	v_mov_b32_e32 v115, 0x70
	v_mov_b32_e32 v114, 0x78
	v_mov_b32_e32 v113, 0x80
	v_mov_b32_e32 v112, 0x88
	v_mov_b32_e32 v111, 0x90
	v_mov_b32_e32 v110, 0x98
	v_mov_b32_e32 v109, 0xa0
	v_mov_b32_e32 v108, 0xa8
	v_mov_b32_e32 v107, 0xb0
	v_mov_b32_e32 v106, 0xb8
	v_mov_b32_e32 v105, 0xc0
	v_mov_b32_e32 v104, 0xc8
	v_mov_b32_e32 v103, 0xd0
	v_mov_b32_e32 v102, 0xd8
	v_mov_b32_e32 v101, 0xe0
	v_mov_b32_e32 v100, 0xe8
	v_mov_b32_e32 v99, 0xf0
	v_mov_b32_e32 v98, 0xf8
	s_mov_b64 s[8:9], 0
	s_mov_b32 s26, -1
.LBB182_40:                             ;   Parent Loop BB182_28 Depth=1
                                        ; =>  This Inner Loop Header: Depth=2
	scratch_load_b64 v[134:135], v129, off
	s_cmp_eq_u32 s8, 1
	s_waitcnt lgkmcnt(16)
	v_max_f64 v[132:133], v[0:1], v[0:1]
	s_cselect_b32 vcc_lo, -1, 0
	s_mov_b64 s[8:9], 1
	s_waitcnt lgkmcnt(0)
	v_dual_cndmask_b32 v131, v65, v67 :: v_dual_cndmask_b32 v130, v64, v66
	s_and_b32 vcc_lo, exec_lo, s26
	s_mov_b32 s26, 0
	s_delay_alu instid0(VALU_DEP_1) | instskip(NEXT) | instid1(VALU_DEP_1)
	v_max_f64 v[130:131], v[130:131], v[130:131]
	v_min_f64 v[132:133], v[132:133], v[130:131]
	s_waitcnt vmcnt(0)
	s_delay_alu instid0(VALU_DEP_1) | instskip(SKIP_3) | instid1(VALU_DEP_1)
	v_add_f64 v[132:133], v[134:135], v[132:133]
	scratch_load_b64 v[134:135], v128, off
	scratch_store_b64 v129, v[132:133], off
	v_max_f64 v[132:133], v[2:3], v[2:3]
	v_min_f64 v[132:133], v[132:133], v[130:131]
	s_waitcnt vmcnt(0)
	s_delay_alu instid0(VALU_DEP_1) | instskip(SKIP_3) | instid1(VALU_DEP_1)
	v_add_f64 v[132:133], v[132:133], v[134:135]
	scratch_store_b64 v128, v[132:133], off
	scratch_load_b64 v[132:133], v127, off
	v_max_f64 v[128:129], v[4:5], v[4:5]
	v_min_f64 v[128:129], v[128:129], v[130:131]
	s_waitcnt vmcnt(0)
	s_delay_alu instid0(VALU_DEP_1) | instskip(SKIP_3) | instid1(VALU_DEP_1)
	v_add_f64 v[128:129], v[128:129], v[132:133]
	scratch_load_b64 v[132:133], v126, off
	scratch_store_b64 v127, v[128:129], off
	v_max_f64 v[127:128], v[6:7], v[6:7]
	v_min_f64 v[127:128], v[127:128], v[130:131]
	s_waitcnt vmcnt(0)
	s_delay_alu instid0(VALU_DEP_1) | instskip(SKIP_3) | instid1(VALU_DEP_1)
	v_add_f64 v[127:128], v[127:128], v[132:133]
	scratch_store_b64 v126, v[127:128], off
	scratch_load_b64 v[128:129], v125, off
	v_max_f64 v[126:127], v[8:9], v[8:9]
	v_min_f64 v[126:127], v[126:127], v[130:131]
	s_waitcnt vmcnt(0)
	s_delay_alu instid0(VALU_DEP_1) | instskip(SKIP_4) | instid1(VALU_DEP_1)
	v_add_f64 v[126:127], v[126:127], v[128:129]
	v_mov_b32_e32 v129, 0x100
	scratch_store_b64 v125, v[126:127], off
	scratch_load_b64 v[127:128], v124, off
	v_max_f64 v[125:126], v[10:11], v[10:11]
	v_min_f64 v[125:126], v[125:126], v[130:131]
	s_waitcnt vmcnt(0)
	s_delay_alu instid0(VALU_DEP_1) | instskip(SKIP_4) | instid1(VALU_DEP_1)
	v_add_f64 v[125:126], v[125:126], v[127:128]
	v_mov_b32_e32 v128, 0x108
	;; [unrolled: 8-line block ×27, first 2 shown]
	scratch_store_b64 v99, v[100:101], off
	scratch_load_b64 v[101:102], v98, off
	v_max_f64 v[99:100], v[62:63], v[62:63]
	v_min_f64 v[99:100], v[99:100], v[130:131]
	s_waitcnt vmcnt(0)
	s_delay_alu instid0(VALU_DEP_1)
	v_add_f64 v[99:100], v[99:100], v[101:102]
	v_mov_b32_e32 v102, 0x1d8
	v_mov_b32_e32 v101, 0x1e0
	scratch_store_b64 v98, v[99:100], off
	v_mov_b32_e32 v100, 0x1e8
	v_mov_b32_e32 v99, 0x1f0
	;; [unrolled: 1-line block ×3, first 2 shown]
	s_cbranch_vccnz .LBB182_40
; %bb.41:                               ;   in Loop: Header=BB182_28 Depth=1
	s_mov_b32 vcc_lo, s3
	ds_store_2addr_stride64_b64 v87, v[73:74], v[75:76] offset1:4
	ds_store_2addr_stride64_b64 v88, v[77:78], v[79:80] offset1:4
	s_waitcnt lgkmcnt(0)
	s_waitcnt_vscnt null, 0x0
	s_barrier
	buffer_gl0_inv
	s_cbranch_vccz .LBB182_44
; %bb.42:                               ;   in Loop: Header=BB182_28 Depth=1
	v_add_nc_u32_e32 v4, s25, v85
	s_delay_alu instid0(VALU_DEP_1) | instskip(NEXT) | instid1(VALU_DEP_1)
	v_mad_u64_u32 v[0:1], null, v4, s23, 0
	v_mad_u64_u32 v[2:3], null, v4, s24, v[1:2]
	s_delay_alu instid0(VALU_DEP_1) | instskip(NEXT) | instid1(VALU_DEP_1)
	v_mov_b32_e32 v1, v2
	v_lshlrev_b64 v[0:1], 3, v[0:1]
	s_delay_alu instid0(VALU_DEP_1) | instskip(NEXT) | instid1(VALU_DEP_2)
	v_add_co_u32 v0, vcc_lo, v95, v0
	v_add_co_ci_u32_e32 v1, vcc_lo, v96, v1, vcc_lo
	s_clause 0x1
	flat_load_b64 v[2:3], v[0:1]
	flat_load_b64 v[0:1], v[0:1] offset:512
	s_waitcnt vmcnt(1) lgkmcnt(1)
	v_mul_f64 v[73:74], v[2:3], s[16:17]
	s_waitcnt vmcnt(0) lgkmcnt(0)
	v_mul_f64 v[75:76], v[0:1], s[16:17]
	s_and_b32 vcc_lo, exec_lo, s2
	s_mov_b64 s[8:9], 0
	s_cbranch_vccnz .LBB182_45
.LBB182_43:                             ;   in Loop: Header=BB182_28 Depth=1
	v_or_b32_e32 v67, s25, v84
	s_delay_alu instid0(VALU_DEP_1) | instskip(NEXT) | instid1(VALU_DEP_1)
	v_lshlrev_b64 v[0:1], 3, v[67:68]
	v_add_co_u32 v2, vcc_lo, s12, v0
	s_delay_alu instid0(VALU_DEP_2) | instskip(NEXT) | instid1(VALU_DEP_2)
	v_add_co_ci_u32_e32 v3, vcc_lo, s13, v1, vcc_lo
	v_add_co_u32 v0, vcc_lo, v2, v69
	s_delay_alu instid0(VALU_DEP_2)
	v_add_co_ci_u32_e32 v1, vcc_lo, v3, v70, vcc_lo
	v_add_co_u32 v2, vcc_lo, v2, v71
	v_add_co_ci_u32_e32 v3, vcc_lo, v3, v72, vcc_lo
	s_clause 0x1
	flat_load_b64 v[0:1], v[0:1] offset:32
	flat_load_b64 v[2:3], v[2:3] offset:32
	s_waitcnt vmcnt(1) lgkmcnt(1)
	v_mul_f64 v[77:78], v[0:1], s[16:17]
	s_waitcnt vmcnt(0) lgkmcnt(0)
	v_mul_f64 v[79:80], v[2:3], s[16:17]
	s_branch .LBB182_46
.LBB182_44:                             ;   in Loop: Header=BB182_28 Depth=1
	v_mov_b32_e32 v73, 0
	v_dual_mov_b32 v74, 0 :: v_dual_mov_b32 v75, 0
	v_mov_b32_e32 v76, 0
	s_and_b32 vcc_lo, exec_lo, s2
	s_mov_b64 s[8:9], 0
	s_cbranch_vccz .LBB182_43
.LBB182_45:                             ;   in Loop: Header=BB182_28 Depth=1
	v_mov_b32_e32 v77, 0
	v_dual_mov_b32 v78, 0 :: v_dual_mov_b32 v79, 0
	v_mov_b32_e32 v80, 0
.LBB182_46:                             ;   in Loop: Header=BB182_28 Depth=1
	v_dual_mov_b32 v129, 8 :: v_dual_add_nc_u32 v98, 0x800, v86
	ds_load_2addr_b64 v[0:3], v86 offset1:16
	ds_load_2addr_b64 v[4:7], v86 offset0:32 offset1:48
	ds_load_2addr_b64 v[8:11], v86 offset0:64 offset1:80
	;; [unrolled: 1-line block ×7, first 2 shown]
	ds_load_2addr_b64 v[32:35], v98 offset1:16
	ds_load_2addr_b64 v[36:39], v98 offset0:32 offset1:48
	ds_load_2addr_b64 v[40:43], v98 offset0:64 offset1:80
	;; [unrolled: 1-line block ×7, first 2 shown]
	ds_load_2addr_stride64_b64 v[64:67], v90 offset1:4
	v_dual_mov_b32 v130, 0 :: v_dual_mov_b32 v127, 24
	v_dual_mov_b32 v128, 16 :: v_dual_mov_b32 v125, 40
	;; [unrolled: 1-line block ×5, first 2 shown]
	v_mov_b32_e32 v120, 0x50
	v_mov_b32_e32 v118, 0x60
	;; [unrolled: 1-line block ×21, first 2 shown]
	s_mov_b32 s26, -1
.LBB182_47:                             ;   Parent Loop BB182_28 Depth=1
                                        ; =>  This Inner Loop Header: Depth=2
	scratch_load_b64 v[135:136], v130, off
	s_cmp_eq_u32 s8, 1
	s_waitcnt lgkmcnt(16)
	v_max_f64 v[133:134], v[0:1], v[0:1]
	s_cselect_b32 vcc_lo, -1, 0
	s_mov_b64 s[8:9], 1
	s_waitcnt lgkmcnt(0)
	v_dual_cndmask_b32 v132, v65, v67 :: v_dual_cndmask_b32 v131, v64, v66
	s_and_b32 vcc_lo, exec_lo, s26
	s_mov_b32 s26, 0
	s_delay_alu instid0(VALU_DEP_1) | instskip(NEXT) | instid1(VALU_DEP_1)
	v_max_f64 v[131:132], v[131:132], v[131:132]
	v_min_f64 v[133:134], v[133:134], v[131:132]
	s_waitcnt vmcnt(0)
	s_delay_alu instid0(VALU_DEP_1) | instskip(SKIP_3) | instid1(VALU_DEP_1)
	v_add_f64 v[133:134], v[135:136], v[133:134]
	scratch_load_b64 v[135:136], v129, off
	scratch_store_b64 v130, v[133:134], off
	v_max_f64 v[133:134], v[2:3], v[2:3]
	v_min_f64 v[133:134], v[133:134], v[131:132]
	s_waitcnt vmcnt(0)
	s_delay_alu instid0(VALU_DEP_1) | instskip(SKIP_3) | instid1(VALU_DEP_1)
	v_add_f64 v[133:134], v[133:134], v[135:136]
	scratch_store_b64 v129, v[133:134], off
	scratch_load_b64 v[133:134], v128, off
	v_max_f64 v[129:130], v[4:5], v[4:5]
	v_min_f64 v[129:130], v[129:130], v[131:132]
	s_waitcnt vmcnt(0)
	s_delay_alu instid0(VALU_DEP_1) | instskip(SKIP_3) | instid1(VALU_DEP_1)
	v_add_f64 v[129:130], v[129:130], v[133:134]
	scratch_load_b64 v[133:134], v127, off
	scratch_store_b64 v128, v[129:130], off
	v_max_f64 v[128:129], v[6:7], v[6:7]
	v_min_f64 v[128:129], v[128:129], v[131:132]
	s_waitcnt vmcnt(0)
	s_delay_alu instid0(VALU_DEP_1) | instskip(SKIP_3) | instid1(VALU_DEP_1)
	v_add_f64 v[128:129], v[128:129], v[133:134]
	scratch_store_b64 v127, v[128:129], off
	scratch_load_b64 v[129:130], v126, off
	v_max_f64 v[127:128], v[8:9], v[8:9]
	v_min_f64 v[127:128], v[127:128], v[131:132]
	s_waitcnt vmcnt(0)
	s_delay_alu instid0(VALU_DEP_1) | instskip(SKIP_4) | instid1(VALU_DEP_1)
	v_add_f64 v[127:128], v[127:128], v[129:130]
	v_mov_b32_e32 v130, 0x100
	scratch_store_b64 v126, v[127:128], off
	scratch_load_b64 v[128:129], v125, off
	v_max_f64 v[126:127], v[10:11], v[10:11]
	v_min_f64 v[126:127], v[126:127], v[131:132]
	s_waitcnt vmcnt(0)
	s_delay_alu instid0(VALU_DEP_1) | instskip(SKIP_4) | instid1(VALU_DEP_1)
	v_add_f64 v[126:127], v[126:127], v[128:129]
	v_mov_b32_e32 v129, 0x108
	;; [unrolled: 8-line block ×27, first 2 shown]
	scratch_store_b64 v100, v[101:102], off
	scratch_load_b64 v[102:103], v99, off
	v_max_f64 v[100:101], v[62:63], v[62:63]
	v_min_f64 v[100:101], v[100:101], v[131:132]
	s_waitcnt vmcnt(0)
	s_delay_alu instid0(VALU_DEP_1)
	v_add_f64 v[100:101], v[100:101], v[102:103]
	v_mov_b32_e32 v103, 0x1d8
	v_mov_b32_e32 v102, 0x1e0
	scratch_store_b64 v99, v[100:101], off
	v_mov_b32_e32 v101, 0x1e8
	v_mov_b32_e32 v100, 0x1f0
	;; [unrolled: 1-line block ×3, first 2 shown]
	s_cbranch_vccnz .LBB182_47
; %bb.48:                               ;   in Loop: Header=BB182_28 Depth=1
	ds_load_2addr_b64 v[0:3], v86 offset0:1 offset1:17
	ds_load_2addr_b64 v[4:7], v86 offset0:33 offset1:49
	;; [unrolled: 1-line block ×12, first 2 shown]
	v_dual_mov_b32 v129, 8 :: v_dual_add_nc_u32 v64, 8, v90
	ds_load_2addr_b64 v[48:51], v98 offset0:129 offset1:145
	ds_load_2addr_b64 v[52:55], v98 offset0:161 offset1:177
	;; [unrolled: 1-line block ×4, first 2 shown]
	ds_load_2addr_stride64_b64 v[64:67], v64 offset1:4
	v_dual_mov_b32 v130, 0 :: v_dual_mov_b32 v127, 24
	v_dual_mov_b32 v128, 16 :: v_dual_mov_b32 v125, 40
	;; [unrolled: 1-line block ×5, first 2 shown]
	v_mov_b32_e32 v120, 0x50
	v_mov_b32_e32 v118, 0x60
	;; [unrolled: 1-line block ×21, first 2 shown]
	s_mov_b64 s[8:9], 0
	s_mov_b32 s26, -1
.LBB182_49:                             ;   Parent Loop BB182_28 Depth=1
                                        ; =>  This Inner Loop Header: Depth=2
	scratch_load_b64 v[135:136], v130, off
	s_cmp_eq_u32 s8, 1
	s_waitcnt lgkmcnt(16)
	v_max_f64 v[133:134], v[0:1], v[0:1]
	s_cselect_b32 vcc_lo, -1, 0
	s_mov_b64 s[8:9], 1
	s_waitcnt lgkmcnt(0)
	v_dual_cndmask_b32 v132, v65, v67 :: v_dual_cndmask_b32 v131, v64, v66
	s_and_b32 vcc_lo, exec_lo, s26
	s_mov_b32 s26, 0
	s_delay_alu instid0(VALU_DEP_1) | instskip(NEXT) | instid1(VALU_DEP_1)
	v_max_f64 v[131:132], v[131:132], v[131:132]
	v_min_f64 v[133:134], v[133:134], v[131:132]
	s_waitcnt vmcnt(0)
	s_delay_alu instid0(VALU_DEP_1) | instskip(SKIP_3) | instid1(VALU_DEP_1)
	v_add_f64 v[133:134], v[135:136], v[133:134]
	scratch_load_b64 v[135:136], v129, off
	scratch_store_b64 v130, v[133:134], off
	v_max_f64 v[133:134], v[2:3], v[2:3]
	v_min_f64 v[133:134], v[133:134], v[131:132]
	s_waitcnt vmcnt(0)
	s_delay_alu instid0(VALU_DEP_1) | instskip(SKIP_3) | instid1(VALU_DEP_1)
	v_add_f64 v[133:134], v[133:134], v[135:136]
	scratch_store_b64 v129, v[133:134], off
	scratch_load_b64 v[133:134], v128, off
	v_max_f64 v[129:130], v[4:5], v[4:5]
	v_min_f64 v[129:130], v[129:130], v[131:132]
	s_waitcnt vmcnt(0)
	s_delay_alu instid0(VALU_DEP_1) | instskip(SKIP_3) | instid1(VALU_DEP_1)
	v_add_f64 v[129:130], v[129:130], v[133:134]
	scratch_load_b64 v[133:134], v127, off
	scratch_store_b64 v128, v[129:130], off
	v_max_f64 v[128:129], v[6:7], v[6:7]
	v_min_f64 v[128:129], v[128:129], v[131:132]
	s_waitcnt vmcnt(0)
	s_delay_alu instid0(VALU_DEP_1) | instskip(SKIP_3) | instid1(VALU_DEP_1)
	v_add_f64 v[128:129], v[128:129], v[133:134]
	scratch_store_b64 v127, v[128:129], off
	scratch_load_b64 v[129:130], v126, off
	v_max_f64 v[127:128], v[8:9], v[8:9]
	v_min_f64 v[127:128], v[127:128], v[131:132]
	s_waitcnt vmcnt(0)
	s_delay_alu instid0(VALU_DEP_1) | instskip(SKIP_4) | instid1(VALU_DEP_1)
	v_add_f64 v[127:128], v[127:128], v[129:130]
	v_mov_b32_e32 v130, 0x100
	scratch_store_b64 v126, v[127:128], off
	scratch_load_b64 v[128:129], v125, off
	v_max_f64 v[126:127], v[10:11], v[10:11]
	v_min_f64 v[126:127], v[126:127], v[131:132]
	s_waitcnt vmcnt(0)
	s_delay_alu instid0(VALU_DEP_1) | instskip(SKIP_4) | instid1(VALU_DEP_1)
	v_add_f64 v[126:127], v[126:127], v[128:129]
	v_mov_b32_e32 v129, 0x108
	;; [unrolled: 8-line block ×27, first 2 shown]
	scratch_store_b64 v100, v[101:102], off
	scratch_load_b64 v[102:103], v99, off
	v_max_f64 v[100:101], v[62:63], v[62:63]
	v_min_f64 v[100:101], v[100:101], v[131:132]
	s_waitcnt vmcnt(0)
	s_delay_alu instid0(VALU_DEP_1)
	v_add_f64 v[100:101], v[100:101], v[102:103]
	v_mov_b32_e32 v103, 0x1d8
	v_mov_b32_e32 v102, 0x1e0
	scratch_store_b64 v99, v[100:101], off
	v_mov_b32_e32 v101, 0x1e8
	v_mov_b32_e32 v100, 0x1f0
	;; [unrolled: 1-line block ×3, first 2 shown]
	s_cbranch_vccnz .LBB182_49
; %bb.50:                               ;   in Loop: Header=BB182_28 Depth=1
	ds_load_2addr_b64 v[0:3], v86 offset0:2 offset1:18
	ds_load_2addr_b64 v[4:7], v86 offset0:34 offset1:50
	;; [unrolled: 1-line block ×12, first 2 shown]
	v_dual_mov_b32 v129, 8 :: v_dual_add_nc_u32 v64, 16, v90
	ds_load_2addr_b64 v[48:51], v98 offset0:130 offset1:146
	ds_load_2addr_b64 v[52:55], v98 offset0:162 offset1:178
	;; [unrolled: 1-line block ×4, first 2 shown]
	ds_load_2addr_stride64_b64 v[64:67], v64 offset1:4
	v_dual_mov_b32 v130, 0 :: v_dual_mov_b32 v127, 24
	v_dual_mov_b32 v128, 16 :: v_dual_mov_b32 v125, 40
	;; [unrolled: 1-line block ×5, first 2 shown]
	v_mov_b32_e32 v120, 0x50
	v_mov_b32_e32 v118, 0x60
	;; [unrolled: 1-line block ×21, first 2 shown]
	s_mov_b64 s[8:9], 0
	s_mov_b32 s26, -1
.LBB182_51:                             ;   Parent Loop BB182_28 Depth=1
                                        ; =>  This Inner Loop Header: Depth=2
	scratch_load_b64 v[135:136], v130, off
	s_cmp_eq_u32 s8, 1
	s_waitcnt lgkmcnt(16)
	v_max_f64 v[133:134], v[0:1], v[0:1]
	s_cselect_b32 vcc_lo, -1, 0
	s_mov_b64 s[8:9], 1
	s_waitcnt lgkmcnt(0)
	v_dual_cndmask_b32 v132, v65, v67 :: v_dual_cndmask_b32 v131, v64, v66
	s_and_b32 vcc_lo, exec_lo, s26
	s_mov_b32 s26, 0
	s_delay_alu instid0(VALU_DEP_1) | instskip(NEXT) | instid1(VALU_DEP_1)
	v_max_f64 v[131:132], v[131:132], v[131:132]
	v_min_f64 v[133:134], v[133:134], v[131:132]
	s_waitcnt vmcnt(0)
	s_delay_alu instid0(VALU_DEP_1) | instskip(SKIP_3) | instid1(VALU_DEP_1)
	v_add_f64 v[133:134], v[135:136], v[133:134]
	scratch_load_b64 v[135:136], v129, off
	scratch_store_b64 v130, v[133:134], off
	v_max_f64 v[133:134], v[2:3], v[2:3]
	v_min_f64 v[133:134], v[133:134], v[131:132]
	s_waitcnt vmcnt(0)
	s_delay_alu instid0(VALU_DEP_1) | instskip(SKIP_3) | instid1(VALU_DEP_1)
	v_add_f64 v[133:134], v[133:134], v[135:136]
	scratch_store_b64 v129, v[133:134], off
	scratch_load_b64 v[133:134], v128, off
	v_max_f64 v[129:130], v[4:5], v[4:5]
	v_min_f64 v[129:130], v[129:130], v[131:132]
	s_waitcnt vmcnt(0)
	s_delay_alu instid0(VALU_DEP_1) | instskip(SKIP_3) | instid1(VALU_DEP_1)
	v_add_f64 v[129:130], v[129:130], v[133:134]
	scratch_load_b64 v[133:134], v127, off
	scratch_store_b64 v128, v[129:130], off
	v_max_f64 v[128:129], v[6:7], v[6:7]
	v_min_f64 v[128:129], v[128:129], v[131:132]
	s_waitcnt vmcnt(0)
	s_delay_alu instid0(VALU_DEP_1) | instskip(SKIP_3) | instid1(VALU_DEP_1)
	v_add_f64 v[128:129], v[128:129], v[133:134]
	scratch_store_b64 v127, v[128:129], off
	scratch_load_b64 v[129:130], v126, off
	v_max_f64 v[127:128], v[8:9], v[8:9]
	v_min_f64 v[127:128], v[127:128], v[131:132]
	s_waitcnt vmcnt(0)
	s_delay_alu instid0(VALU_DEP_1) | instskip(SKIP_4) | instid1(VALU_DEP_1)
	v_add_f64 v[127:128], v[127:128], v[129:130]
	v_mov_b32_e32 v130, 0x100
	scratch_store_b64 v126, v[127:128], off
	scratch_load_b64 v[128:129], v125, off
	v_max_f64 v[126:127], v[10:11], v[10:11]
	v_min_f64 v[126:127], v[126:127], v[131:132]
	s_waitcnt vmcnt(0)
	s_delay_alu instid0(VALU_DEP_1) | instskip(SKIP_4) | instid1(VALU_DEP_1)
	v_add_f64 v[126:127], v[126:127], v[128:129]
	v_mov_b32_e32 v129, 0x108
	;; [unrolled: 8-line block ×27, first 2 shown]
	scratch_store_b64 v100, v[101:102], off
	scratch_load_b64 v[102:103], v99, off
	v_max_f64 v[100:101], v[62:63], v[62:63]
	v_min_f64 v[100:101], v[100:101], v[131:132]
	s_waitcnt vmcnt(0)
	s_delay_alu instid0(VALU_DEP_1)
	v_add_f64 v[100:101], v[100:101], v[102:103]
	v_mov_b32_e32 v103, 0x1d8
	v_mov_b32_e32 v102, 0x1e0
	scratch_store_b64 v99, v[100:101], off
	v_mov_b32_e32 v101, 0x1e8
	v_mov_b32_e32 v100, 0x1f0
	v_mov_b32_e32 v99, 0x1f8
	s_cbranch_vccnz .LBB182_51
; %bb.52:                               ;   in Loop: Header=BB182_28 Depth=1
	ds_load_2addr_b64 v[0:3], v86 offset0:3 offset1:19
	ds_load_2addr_b64 v[4:7], v86 offset0:35 offset1:51
	;; [unrolled: 1-line block ×12, first 2 shown]
	v_dual_mov_b32 v129, 0 :: v_dual_add_nc_u32 v64, 24, v90
	ds_load_2addr_b64 v[48:51], v98 offset0:131 offset1:147
	ds_load_2addr_b64 v[52:55], v98 offset0:163 offset1:179
	;; [unrolled: 1-line block ×4, first 2 shown]
	ds_load_2addr_stride64_b64 v[64:67], v64 offset1:4
	v_dual_mov_b32 v128, 8 :: v_dual_mov_b32 v127, 16
	v_dual_mov_b32 v126, 24 :: v_dual_mov_b32 v125, 32
	;; [unrolled: 1-line block ×4, first 2 shown]
	v_mov_b32_e32 v120, 0x48
	v_mov_b32_e32 v119, 0x50
	;; [unrolled: 1-line block ×23, first 2 shown]
	s_mov_b64 s[8:9], 0
	s_mov_b32 s26, -1
.LBB182_53:                             ;   Parent Loop BB182_28 Depth=1
                                        ; =>  This Inner Loop Header: Depth=2
	scratch_load_b64 v[134:135], v129, off
	s_cmp_eq_u32 s8, 1
	s_waitcnt lgkmcnt(16)
	v_max_f64 v[132:133], v[0:1], v[0:1]
	s_cselect_b32 vcc_lo, -1, 0
	s_mov_b64 s[8:9], 1
	s_waitcnt lgkmcnt(0)
	v_dual_cndmask_b32 v131, v65, v67 :: v_dual_cndmask_b32 v130, v64, v66
	s_and_b32 vcc_lo, exec_lo, s26
	s_mov_b32 s26, 0
	s_delay_alu instid0(VALU_DEP_1) | instskip(NEXT) | instid1(VALU_DEP_1)
	v_max_f64 v[130:131], v[130:131], v[130:131]
	v_min_f64 v[132:133], v[132:133], v[130:131]
	s_waitcnt vmcnt(0)
	s_delay_alu instid0(VALU_DEP_1) | instskip(SKIP_3) | instid1(VALU_DEP_1)
	v_add_f64 v[132:133], v[134:135], v[132:133]
	scratch_load_b64 v[134:135], v128, off
	scratch_store_b64 v129, v[132:133], off
	v_max_f64 v[132:133], v[2:3], v[2:3]
	v_min_f64 v[132:133], v[132:133], v[130:131]
	s_waitcnt vmcnt(0)
	s_delay_alu instid0(VALU_DEP_1) | instskip(SKIP_3) | instid1(VALU_DEP_1)
	v_add_f64 v[132:133], v[132:133], v[134:135]
	scratch_store_b64 v128, v[132:133], off
	scratch_load_b64 v[132:133], v127, off
	v_max_f64 v[128:129], v[4:5], v[4:5]
	v_min_f64 v[128:129], v[128:129], v[130:131]
	s_waitcnt vmcnt(0)
	s_delay_alu instid0(VALU_DEP_1) | instskip(SKIP_3) | instid1(VALU_DEP_1)
	v_add_f64 v[128:129], v[128:129], v[132:133]
	scratch_load_b64 v[132:133], v126, off
	scratch_store_b64 v127, v[128:129], off
	v_max_f64 v[127:128], v[6:7], v[6:7]
	v_min_f64 v[127:128], v[127:128], v[130:131]
	s_waitcnt vmcnt(0)
	s_delay_alu instid0(VALU_DEP_1) | instskip(SKIP_3) | instid1(VALU_DEP_1)
	v_add_f64 v[127:128], v[127:128], v[132:133]
	scratch_store_b64 v126, v[127:128], off
	scratch_load_b64 v[128:129], v125, off
	v_max_f64 v[126:127], v[8:9], v[8:9]
	v_min_f64 v[126:127], v[126:127], v[130:131]
	s_waitcnt vmcnt(0)
	s_delay_alu instid0(VALU_DEP_1) | instskip(SKIP_4) | instid1(VALU_DEP_1)
	v_add_f64 v[126:127], v[126:127], v[128:129]
	v_mov_b32_e32 v129, 0x100
	scratch_store_b64 v125, v[126:127], off
	scratch_load_b64 v[127:128], v124, off
	v_max_f64 v[125:126], v[10:11], v[10:11]
	v_min_f64 v[125:126], v[125:126], v[130:131]
	s_waitcnt vmcnt(0)
	s_delay_alu instid0(VALU_DEP_1) | instskip(SKIP_4) | instid1(VALU_DEP_1)
	v_add_f64 v[125:126], v[125:126], v[127:128]
	v_mov_b32_e32 v128, 0x108
	;; [unrolled: 8-line block ×27, first 2 shown]
	scratch_store_b64 v99, v[100:101], off
	scratch_load_b64 v[101:102], v98, off
	v_max_f64 v[99:100], v[62:63], v[62:63]
	v_min_f64 v[99:100], v[99:100], v[130:131]
	s_waitcnt vmcnt(0)
	s_delay_alu instid0(VALU_DEP_1)
	v_add_f64 v[99:100], v[99:100], v[101:102]
	v_mov_b32_e32 v102, 0x1d8
	v_mov_b32_e32 v101, 0x1e0
	scratch_store_b64 v98, v[99:100], off
	v_mov_b32_e32 v100, 0x1e8
	v_mov_b32_e32 v99, 0x1f0
	;; [unrolled: 1-line block ×3, first 2 shown]
	s_cbranch_vccnz .LBB182_53
; %bb.54:                               ;   in Loop: Header=BB182_28 Depth=1
	s_add_i32 s21, s21, 8
	s_add_i32 s25, s25, 8
	s_cmp_ge_i32 s21, s20
	ds_store_2addr_stride64_b64 v91, v[73:74], v[75:76] offset1:4
	ds_store_2addr_stride64_b64 v92, v[77:78], v[79:80] offset1:4
	s_waitcnt lgkmcnt(0)
	s_waitcnt_vscnt null, 0x0
	s_barrier
	buffer_gl0_inv
	s_cbranch_scc0 .LBB182_28
.LBB182_55:
	v_dual_mov_b32 v71, 8 :: v_dual_add_nc_u32 v28, 0x1000, v86
	v_dual_mov_b32 v75, 40 :: v_dual_add_nc_u32 v60, 0x1800, v86
	;; [unrolled: 1-line block ×3, first 2 shown]
	ds_load_2addr_b64 v[0:3], v28 offset1:16
	ds_load_2addr_b64 v[4:7], v28 offset0:32 offset1:48
	ds_load_2addr_b64 v[8:11], v28 offset0:64 offset1:80
	;; [unrolled: 1-line block ×7, first 2 shown]
	ds_load_2addr_b64 v[32:35], v60 offset1:16
	ds_load_2addr_b64 v[36:39], v60 offset0:32 offset1:48
	ds_load_2addr_b64 v[40:43], v60 offset0:64 offset1:80
	;; [unrolled: 1-line block ×7, first 2 shown]
	ds_load_2addr_stride64_b64 v[64:67], v89 offset0:24 offset1:28
	v_dual_mov_b32 v70, 0 :: v_dual_add_nc_u32 v69, 0x3000, v89
	v_dual_mov_b32 v72, 16 :: v_dual_mov_b32 v77, 56
	v_dual_mov_b32 v74, 32 :: v_dual_mov_b32 v79, 0x48
	;; [unrolled: 1-line block ×4, first 2 shown]
	v_mov_b32_e32 v80, 0x50
	v_mov_b32_e32 v84, 0x60
	;; [unrolled: 1-line block ×20, first 2 shown]
	s_mov_b64 s[2:3], 0
	s_mov_b32 s8, -1
.LBB182_56:                             ; =>This Inner Loop Header: Depth=1
	scratch_load_b64 v[104:105], v70, off
	scratch_load_b64 v[106:107], v71, off
	;; [unrolled: 1-line block ×32, first 2 shown]
	s_cmp_eq_u32 s2, 1
	s_waitcnt lgkmcnt(16)
	v_max_f64 v[170:171], v[0:1], v[0:1]
	s_cselect_b32 vcc_lo, -1, 0
	v_max_f64 v[172:173], v[2:3], v[2:3]
	s_waitcnt lgkmcnt(0)
	v_dual_cndmask_b32 v169, v65, v67 :: v_dual_cndmask_b32 v168, v64, v66
	v_max_f64 v[174:175], v[4:5], v[4:5]
	v_max_f64 v[176:177], v[6:7], v[6:7]
	;; [unrolled: 1-line block ×31, first 2 shown]
	s_mov_b64 s[2:3], 1
	s_and_b32 vcc_lo, exec_lo, s8
	s_mov_b32 s8, 0
	v_min_f64 v[170:171], v[170:171], v[168:169]
	v_min_f64 v[172:173], v[172:173], v[168:169]
	v_min_f64 v[174:175], v[174:175], v[168:169]
	v_min_f64 v[176:177], v[176:177], v[168:169]
	v_min_f64 v[178:179], v[178:179], v[168:169]
	v_min_f64 v[180:181], v[180:181], v[168:169]
	v_min_f64 v[182:183], v[182:183], v[168:169]
	v_min_f64 v[184:185], v[184:185], v[168:169]
	v_min_f64 v[186:187], v[186:187], v[168:169]
	v_min_f64 v[188:189], v[188:189], v[168:169]
	v_min_f64 v[190:191], v[190:191], v[168:169]
	v_min_f64 v[192:193], v[192:193], v[168:169]
	v_min_f64 v[194:195], v[194:195], v[168:169]
	v_min_f64 v[196:197], v[196:197], v[168:169]
	v_min_f64 v[198:199], v[198:199], v[168:169]
	v_min_f64 v[200:201], v[200:201], v[168:169]
	v_min_f64 v[202:203], v[202:203], v[168:169]
	v_min_f64 v[204:205], v[204:205], v[168:169]
	v_min_f64 v[206:207], v[206:207], v[168:169]
	v_min_f64 v[208:209], v[208:209], v[168:169]
	v_min_f64 v[210:211], v[210:211], v[168:169]
	v_min_f64 v[212:213], v[212:213], v[168:169]
	v_min_f64 v[214:215], v[214:215], v[168:169]
	v_min_f64 v[216:217], v[216:217], v[168:169]
	v_min_f64 v[218:219], v[218:219], v[168:169]
	v_min_f64 v[220:221], v[220:221], v[168:169]
	v_min_f64 v[222:223], v[222:223], v[168:169]
	v_min_f64 v[224:225], v[224:225], v[168:169]
	v_min_f64 v[226:227], v[226:227], v[168:169]
	v_min_f64 v[228:229], v[228:229], v[168:169]
	v_min_f64 v[230:231], v[230:231], v[168:169]
	v_min_f64 v[168:169], v[232:233], v[168:169]
	s_waitcnt vmcnt(31)
	v_add_f64 v[104:105], v[104:105], v[170:171]
	s_waitcnt vmcnt(30)
	v_add_f64 v[106:107], v[172:173], v[106:107]
	;; [unrolled: 2-line block ×32, first 2 shown]
	scratch_store_b64 v70, v[104:105], off
	scratch_store_b64 v71, v[106:107], off
	;; [unrolled: 1-line block ×32, first 2 shown]
	v_mov_b32_e32 v70, 0x100
	v_mov_b32_e32 v71, 0x108
	;; [unrolled: 1-line block ×32, first 2 shown]
	s_cbranch_vccnz .LBB182_56
; %bb.57:
	v_dual_mov_b32 v71, 8 :: v_dual_add_nc_u32 v60, 0x800, v68
	ds_load_2addr_b64 v[0:3], v68 offset0:1 offset1:17
	ds_load_2addr_b64 v[4:7], v68 offset0:33 offset1:49
	;; [unrolled: 1-line block ×12, first 2 shown]
	v_dual_mov_b32 v73, 24 :: v_dual_add_nc_u32 v64, 8, v69
	ds_load_2addr_b64 v[48:51], v60 offset0:129 offset1:145
	ds_load_2addr_b64 v[52:55], v60 offset0:161 offset1:177
	;; [unrolled: 1-line block ×4, first 2 shown]
	ds_load_2addr_stride64_b64 v[64:67], v64 offset1:4
	v_dual_mov_b32 v70, 0 :: v_dual_mov_b32 v75, 40
	v_dual_mov_b32 v72, 16 :: v_dual_mov_b32 v77, 56
	;; [unrolled: 1-line block ×5, first 2 shown]
	v_mov_b32_e32 v80, 0x50
	v_mov_b32_e32 v84, 0x60
	;; [unrolled: 1-line block ×20, first 2 shown]
	s_mov_b64 s[2:3], 0
	s_mov_b32 s8, -1
.LBB182_58:                             ; =>This Inner Loop Header: Depth=1
	scratch_load_b64 v[104:105], v70, off
	scratch_load_b64 v[106:107], v71, off
	;; [unrolled: 1-line block ×32, first 2 shown]
	s_cmp_eq_u32 s2, 1
	s_waitcnt lgkmcnt(16)
	v_max_f64 v[170:171], v[0:1], v[0:1]
	s_cselect_b32 vcc_lo, -1, 0
	v_max_f64 v[172:173], v[2:3], v[2:3]
	s_waitcnt lgkmcnt(0)
	v_dual_cndmask_b32 v169, v65, v67 :: v_dual_cndmask_b32 v168, v64, v66
	v_max_f64 v[174:175], v[4:5], v[4:5]
	v_max_f64 v[176:177], v[6:7], v[6:7]
	;; [unrolled: 1-line block ×31, first 2 shown]
	s_mov_b64 s[2:3], 1
	s_and_b32 vcc_lo, exec_lo, s8
	s_mov_b32 s8, 0
	v_min_f64 v[170:171], v[170:171], v[168:169]
	v_min_f64 v[172:173], v[172:173], v[168:169]
	;; [unrolled: 1-line block ×32, first 2 shown]
	s_waitcnt vmcnt(31)
	v_add_f64 v[104:105], v[104:105], v[170:171]
	s_waitcnt vmcnt(30)
	v_add_f64 v[106:107], v[172:173], v[106:107]
	;; [unrolled: 2-line block ×32, first 2 shown]
	scratch_store_b64 v70, v[104:105], off
	scratch_store_b64 v71, v[106:107], off
	;; [unrolled: 1-line block ×32, first 2 shown]
	v_mov_b32_e32 v70, 0x100
	v_mov_b32_e32 v71, 0x108
	;; [unrolled: 1-line block ×32, first 2 shown]
	s_cbranch_vccnz .LBB182_58
; %bb.59:
	v_dual_mov_b32 v71, 8 :: v_dual_add_nc_u32 v60, 0x800, v68
	ds_load_2addr_b64 v[0:3], v68 offset0:2 offset1:18
	ds_load_2addr_b64 v[4:7], v68 offset0:34 offset1:50
	;; [unrolled: 1-line block ×12, first 2 shown]
	v_dual_mov_b32 v73, 24 :: v_dual_add_nc_u32 v64, 16, v69
	ds_load_2addr_b64 v[48:51], v60 offset0:130 offset1:146
	ds_load_2addr_b64 v[52:55], v60 offset0:162 offset1:178
	;; [unrolled: 1-line block ×4, first 2 shown]
	ds_load_2addr_stride64_b64 v[64:67], v64 offset1:4
	v_dual_mov_b32 v70, 0 :: v_dual_mov_b32 v75, 40
	v_dual_mov_b32 v72, 16 :: v_dual_mov_b32 v77, 56
	;; [unrolled: 1-line block ×5, first 2 shown]
	v_mov_b32_e32 v80, 0x50
	v_mov_b32_e32 v84, 0x60
	;; [unrolled: 1-line block ×20, first 2 shown]
	s_mov_b64 s[2:3], 0
	s_mov_b32 s8, -1
.LBB182_60:                             ; =>This Inner Loop Header: Depth=1
	scratch_load_b64 v[104:105], v70, off
	scratch_load_b64 v[106:107], v71, off
	;; [unrolled: 1-line block ×32, first 2 shown]
	s_cmp_eq_u32 s2, 1
	s_waitcnt lgkmcnt(16)
	v_max_f64 v[170:171], v[0:1], v[0:1]
	s_cselect_b32 vcc_lo, -1, 0
	v_max_f64 v[172:173], v[2:3], v[2:3]
	s_waitcnt lgkmcnt(0)
	v_dual_cndmask_b32 v169, v65, v67 :: v_dual_cndmask_b32 v168, v64, v66
	v_max_f64 v[174:175], v[4:5], v[4:5]
	v_max_f64 v[176:177], v[6:7], v[6:7]
	;; [unrolled: 1-line block ×31, first 2 shown]
	s_mov_b64 s[2:3], 1
	s_and_b32 vcc_lo, exec_lo, s8
	s_mov_b32 s8, 0
	v_min_f64 v[170:171], v[170:171], v[168:169]
	v_min_f64 v[172:173], v[172:173], v[168:169]
	;; [unrolled: 1-line block ×32, first 2 shown]
	s_waitcnt vmcnt(31)
	v_add_f64 v[104:105], v[104:105], v[170:171]
	s_waitcnt vmcnt(30)
	v_add_f64 v[106:107], v[172:173], v[106:107]
	;; [unrolled: 2-line block ×32, first 2 shown]
	scratch_store_b64 v70, v[104:105], off
	scratch_store_b64 v71, v[106:107], off
	;; [unrolled: 1-line block ×32, first 2 shown]
	v_mov_b32_e32 v70, 0x100
	v_mov_b32_e32 v71, 0x108
	;; [unrolled: 1-line block ×32, first 2 shown]
	s_cbranch_vccnz .LBB182_60
; %bb.61:
	v_add_nc_u32_e32 v60, 0x800, v68
	ds_load_2addr_b64 v[0:3], v68 offset0:3 offset1:19
	ds_load_2addr_b64 v[4:7], v68 offset0:35 offset1:51
	;; [unrolled: 1-line block ×4, first 2 shown]
	v_dual_mov_b32 v71, 24 :: v_dual_add_nc_u32 v64, 24, v69
	v_mov_b32_e32 v69, 8
	ds_load_2addr_b64 v[16:19], v68 offset0:131 offset1:147
	ds_load_2addr_b64 v[20:23], v68 offset0:163 offset1:179
	;; [unrolled: 1-line block ×12, first 2 shown]
	ds_load_2addr_stride64_b64 v[64:67], v64 offset1:4
	v_dual_mov_b32 v68, 0 :: v_dual_mov_b32 v73, 40
	v_dual_mov_b32 v70, 16 :: v_dual_mov_b32 v75, 56
	;; [unrolled: 1-line block ×5, first 2 shown]
	v_mov_b32_e32 v78, 0x50
	v_mov_b32_e32 v80, 0x60
	;; [unrolled: 1-line block ×20, first 2 shown]
	s_mov_b64 s[2:3], 0
	s_mov_b32 s8, -1
.LBB182_62:                             ; =>This Inner Loop Header: Depth=1
	scratch_load_b64 v[102:103], v68, off
	scratch_load_b64 v[104:105], v69, off
	;; [unrolled: 1-line block ×32, first 2 shown]
	s_cmp_eq_u32 s2, 1
	s_waitcnt lgkmcnt(16)
	v_max_f64 v[168:169], v[0:1], v[0:1]
	s_cselect_b32 vcc_lo, -1, 0
	v_max_f64 v[170:171], v[2:3], v[2:3]
	s_waitcnt lgkmcnt(0)
	v_dual_cndmask_b32 v167, v65, v67 :: v_dual_cndmask_b32 v166, v64, v66
	v_max_f64 v[172:173], v[4:5], v[4:5]
	v_max_f64 v[174:175], v[6:7], v[6:7]
	;; [unrolled: 1-line block ×31, first 2 shown]
	s_mov_b64 s[2:3], 1
	s_and_b32 vcc_lo, exec_lo, s8
	s_mov_b32 s8, 0
	v_min_f64 v[168:169], v[168:169], v[166:167]
	v_min_f64 v[170:171], v[170:171], v[166:167]
	v_min_f64 v[172:173], v[172:173], v[166:167]
	v_min_f64 v[174:175], v[174:175], v[166:167]
	v_min_f64 v[176:177], v[176:177], v[166:167]
	v_min_f64 v[178:179], v[178:179], v[166:167]
	v_min_f64 v[180:181], v[180:181], v[166:167]
	v_min_f64 v[182:183], v[182:183], v[166:167]
	v_min_f64 v[184:185], v[184:185], v[166:167]
	v_min_f64 v[186:187], v[186:187], v[166:167]
	v_min_f64 v[188:189], v[188:189], v[166:167]
	v_min_f64 v[190:191], v[190:191], v[166:167]
	v_min_f64 v[192:193], v[192:193], v[166:167]
	v_min_f64 v[194:195], v[194:195], v[166:167]
	v_min_f64 v[196:197], v[196:197], v[166:167]
	v_min_f64 v[198:199], v[198:199], v[166:167]
	v_min_f64 v[200:201], v[200:201], v[166:167]
	v_min_f64 v[202:203], v[202:203], v[166:167]
	v_min_f64 v[204:205], v[204:205], v[166:167]
	v_min_f64 v[206:207], v[206:207], v[166:167]
	v_min_f64 v[208:209], v[208:209], v[166:167]
	v_min_f64 v[210:211], v[210:211], v[166:167]
	v_min_f64 v[212:213], v[212:213], v[166:167]
	v_min_f64 v[214:215], v[214:215], v[166:167]
	v_min_f64 v[216:217], v[216:217], v[166:167]
	v_min_f64 v[218:219], v[218:219], v[166:167]
	v_min_f64 v[220:221], v[220:221], v[166:167]
	v_min_f64 v[222:223], v[222:223], v[166:167]
	v_min_f64 v[224:225], v[224:225], v[166:167]
	v_min_f64 v[226:227], v[226:227], v[166:167]
	v_min_f64 v[228:229], v[228:229], v[166:167]
	v_min_f64 v[166:167], v[230:231], v[166:167]
	s_waitcnt vmcnt(31)
	v_add_f64 v[102:103], v[102:103], v[168:169]
	s_waitcnt vmcnt(30)
	v_add_f64 v[104:105], v[170:171], v[104:105]
	s_waitcnt vmcnt(29)
	v_add_f64 v[106:107], v[172:173], v[106:107]
	s_waitcnt vmcnt(28)
	v_add_f64 v[108:109], v[174:175], v[108:109]
	s_waitcnt vmcnt(27)
	v_add_f64 v[110:111], v[176:177], v[110:111]
	s_waitcnt vmcnt(26)
	v_add_f64 v[112:113], v[178:179], v[112:113]
	s_waitcnt vmcnt(25)
	v_add_f64 v[114:115], v[180:181], v[114:115]
	s_waitcnt vmcnt(24)
	v_add_f64 v[116:117], v[182:183], v[116:117]
	s_waitcnt vmcnt(23)
	v_add_f64 v[118:119], v[184:185], v[118:119]
	s_waitcnt vmcnt(22)
	v_add_f64 v[120:121], v[186:187], v[120:121]
	s_waitcnt vmcnt(21)
	v_add_f64 v[122:123], v[188:189], v[122:123]
	s_waitcnt vmcnt(20)
	v_add_f64 v[124:125], v[190:191], v[124:125]
	s_waitcnt vmcnt(19)
	v_add_f64 v[126:127], v[192:193], v[126:127]
	s_waitcnt vmcnt(18)
	v_add_f64 v[128:129], v[194:195], v[128:129]
	s_waitcnt vmcnt(17)
	v_add_f64 v[130:131], v[196:197], v[130:131]
	s_waitcnt vmcnt(16)
	v_add_f64 v[132:133], v[198:199], v[132:133]
	s_waitcnt vmcnt(15)
	v_add_f64 v[134:135], v[200:201], v[134:135]
	s_waitcnt vmcnt(14)
	v_add_f64 v[136:137], v[202:203], v[136:137]
	s_waitcnt vmcnt(13)
	v_add_f64 v[138:139], v[204:205], v[138:139]
	s_waitcnt vmcnt(12)
	v_add_f64 v[140:141], v[206:207], v[140:141]
	s_waitcnt vmcnt(11)
	v_add_f64 v[142:143], v[208:209], v[142:143]
	s_waitcnt vmcnt(10)
	v_add_f64 v[144:145], v[210:211], v[144:145]
	s_waitcnt vmcnt(9)
	v_add_f64 v[146:147], v[212:213], v[146:147]
	s_waitcnt vmcnt(8)
	v_add_f64 v[148:149], v[214:215], v[148:149]
	s_waitcnt vmcnt(7)
	v_add_f64 v[150:151], v[216:217], v[150:151]
	s_waitcnt vmcnt(6)
	v_add_f64 v[152:153], v[218:219], v[152:153]
	s_waitcnt vmcnt(5)
	v_add_f64 v[154:155], v[220:221], v[154:155]
	s_waitcnt vmcnt(4)
	v_add_f64 v[156:157], v[222:223], v[156:157]
	s_waitcnt vmcnt(3)
	v_add_f64 v[158:159], v[224:225], v[158:159]
	s_waitcnt vmcnt(2)
	v_add_f64 v[160:161], v[226:227], v[160:161]
	s_waitcnt vmcnt(1)
	v_add_f64 v[162:163], v[228:229], v[162:163]
	s_waitcnt vmcnt(0)
	v_add_f64 v[164:165], v[166:167], v[164:165]
	scratch_store_b64 v68, v[102:103], off
	scratch_store_b64 v69, v[104:105], off
	;; [unrolled: 1-line block ×32, first 2 shown]
	v_mov_b32_e32 v68, 0x100
	v_mov_b32_e32 v69, 0x108
	;; [unrolled: 1-line block ×32, first 2 shown]
	s_cbranch_vccnz .LBB182_62
; %bb.63:
	scratch_load_b64 v[2:3], off, off
	s_load_b32 s3, s[0:1], 0x58
	v_dual_mov_b32 v4, 0 :: v_dual_add_nc_u32 v71, s19, v82
	v_dual_mov_b32 v5, 0 :: v_dual_add_nc_u32 v12, s14, v81
	v_mov_b32_e32 v8, 0
	v_mov_b32_e32 v9, 0
	s_and_b32 s2, exec_lo, s22
	s_delay_alu instid0(VALU_DEP_3) | instskip(SKIP_2) | instid1(VALU_DEP_1)
	v_ashrrev_i32_e32 v13, 31, v12
	s_waitcnt lgkmcnt(0)
	v_mad_i64_i32 v[0:1], null, v71, s3, 0
	v_lshlrev_b64 v[0:1], 3, v[0:1]
	s_delay_alu instid0(VALU_DEP_1) | instskip(NEXT) | instid1(VALU_DEP_2)
	v_add_co_u32 v72, vcc_lo, s4, v0
	v_add_co_ci_u32_e32 v73, vcc_lo, s5, v1, vcc_lo
	v_lshlrev_b64 v[0:1], 3, v[12:13]
	s_mov_b32 vcc_lo, s2
	s_cbranch_vccz .LBB182_65
; %bb.64:
	s_delay_alu instid0(VALU_DEP_1) | instskip(NEXT) | instid1(VALU_DEP_2)
	v_add_co_u32 v6, vcc_lo, v72, v0
	v_add_co_ci_u32_e32 v7, vcc_lo, v73, v1, vcc_lo
	flat_load_b64 v[6:7], v[6:7]
	s_waitcnt vmcnt(0) lgkmcnt(0)
	v_mul_f64 v[8:9], v[6:7], s[6:7]
.LBB182_65:
	scratch_load_b64 v[6:7], off, off offset:8
	s_clause 0x1
	s_load_b64 s[8:9], s[0:1], 0x78
	s_load_b32 s1, s[0:1], 0x70
	s_waitcnt vmcnt(1)
	v_add_f64 v[8:9], v[2:3], v[8:9]
	v_add_nc_u32_e32 v10, 4, v12
	v_cndmask_b32_e64 v13, 0, 1, s22
	s_delay_alu instid0(VALU_DEP_2) | instskip(SKIP_4) | instid1(SALU_CYCLE_1)
	v_ashrrev_i32_e32 v11, 31, v10
	s_waitcnt lgkmcnt(0)
	s_mul_i32 s0, s15, s9
	v_mad_i64_i32 v[2:3], null, v71, s1, 0
	s_mul_hi_u32 s9, s15, s8
	s_add_i32 s0, s9, s0
	s_mul_i32 s9, s18, s8
	s_mul_i32 s8, s15, s8
	s_add_i32 s9, s0, s9
	s_delay_alu instid0(VALU_DEP_1) | instskip(SKIP_4) | instid1(VALU_DEP_2)
	v_lshlrev_b64 v[2:3], 3, v[2:3]
	s_lshl_b64 s[8:9], s[8:9], 3
	v_cmp_ne_u32_e64 s0, 1, v13
	s_add_u32 s8, s10, s8
	s_addc_u32 s9, s11, s9
	v_add_co_u32 v74, vcc_lo, s8, v2
	v_add_co_ci_u32_e32 v75, vcc_lo, s9, v3, vcc_lo
	v_lshlrev_b64 v[2:3], 3, v[10:11]
	s_delay_alu instid0(VALU_DEP_3) | instskip(NEXT) | instid1(VALU_DEP_3)
	v_add_co_u32 v13, vcc_lo, v74, v0
	v_add_co_ci_u32_e32 v14, vcc_lo, v75, v1, vcc_lo
	s_and_not1_b32 vcc_lo, exec_lo, s22
	global_store_b64 v[13:14], v[8:9], off
	s_cbranch_vccnz .LBB182_67
; %bb.66:
	v_add_co_u32 v4, vcc_lo, v72, v2
	v_add_co_ci_u32_e32 v5, vcc_lo, v73, v3, vcc_lo
	flat_load_b64 v[4:5], v[4:5]
	s_waitcnt vmcnt(0) lgkmcnt(0)
	v_mul_f64 v[4:5], v[4:5], s[6:7]
.LBB182_67:
	scratch_load_b64 v[10:11], off, off offset:16
	s_waitcnt vmcnt(1)
	v_add_f64 v[13:14], v[6:7], v[4:5]
	v_add_nc_u32_e32 v4, 8, v12
	v_mov_b32_e32 v8, 0
	v_mov_b32_e32 v9, 0
	v_add_co_u32 v15, vcc_lo, v74, v2
	s_delay_alu instid0(VALU_DEP_4) | instskip(SKIP_3) | instid1(VALU_DEP_4)
	v_ashrrev_i32_e32 v5, 31, v4
	v_mov_b32_e32 v6, 0
	v_mov_b32_e32 v7, 0
	v_add_co_ci_u32_e32 v16, vcc_lo, v75, v3, vcc_lo
	v_lshlrev_b64 v[4:5], 3, v[4:5]
	s_and_b32 vcc_lo, exec_lo, s0
	global_store_b64 v[15:16], v[13:14], off
	s_cbranch_vccnz .LBB182_69
; %bb.68:
	v_add_co_u32 v6, vcc_lo, v72, v4
	v_add_co_ci_u32_e32 v7, vcc_lo, v73, v5, vcc_lo
	flat_load_b64 v[6:7], v[6:7]
	s_waitcnt vmcnt(0) lgkmcnt(0)
	v_mul_f64 v[6:7], v[6:7], s[6:7]
.LBB182_69:
	scratch_load_b64 v[13:14], off, off offset:24
	s_waitcnt vmcnt(1)
	v_add_f64 v[10:11], v[10:11], v[6:7]
	v_add_nc_u32_e32 v6, 12, v12
	v_add_co_u32 v15, vcc_lo, v74, v4
	v_add_co_ci_u32_e32 v16, vcc_lo, v75, v5, vcc_lo
	s_delay_alu instid0(VALU_DEP_3) | instskip(SKIP_1) | instid1(VALU_DEP_1)
	v_ashrrev_i32_e32 v7, 31, v6
	s_and_b32 vcc_lo, exec_lo, s0
	v_lshlrev_b64 v[6:7], 3, v[6:7]
	global_store_b64 v[15:16], v[10:11], off
	s_cbranch_vccnz .LBB182_71
; %bb.70:
	v_add_co_u32 v8, vcc_lo, v72, v6
	v_add_co_ci_u32_e32 v9, vcc_lo, v73, v7, vcc_lo
	flat_load_b64 v[8:9], v[8:9]
	s_waitcnt vmcnt(0) lgkmcnt(0)
	v_mul_f64 v[8:9], v[8:9], s[6:7]
.LBB182_71:
	scratch_load_b64 v[10:11], off, off offset:32
	s_waitcnt vmcnt(1)
	v_add_f64 v[17:18], v[13:14], v[8:9]
	v_dual_mov_b32 v13, 0 :: v_dual_add_nc_u32 v8, 16, v12
	v_add_co_u32 v19, vcc_lo, v74, v6
	v_dual_mov_b32 v14, 0 :: v_dual_mov_b32 v15, 0
	s_delay_alu instid0(VALU_DEP_3) | instskip(SKIP_3) | instid1(VALU_DEP_3)
	v_ashrrev_i32_e32 v9, 31, v8
	v_add_co_ci_u32_e32 v20, vcc_lo, v75, v7, vcc_lo
	v_mov_b32_e32 v16, 0
	s_and_b32 vcc_lo, exec_lo, s0
	v_lshlrev_b64 v[8:9], 3, v[8:9]
	global_store_b64 v[19:20], v[17:18], off
	s_cbranch_vccnz .LBB182_73
; %bb.72:
	v_add_co_u32 v15, vcc_lo, v72, v8
	v_add_co_ci_u32_e32 v16, vcc_lo, v73, v9, vcc_lo
	flat_load_b64 v[15:16], v[15:16]
	s_waitcnt vmcnt(0) lgkmcnt(0)
	v_mul_f64 v[15:16], v[15:16], s[6:7]
.LBB182_73:
	scratch_load_b64 v[17:18], off, off offset:40
	s_waitcnt vmcnt(1)
	v_add_f64 v[15:16], v[10:11], v[15:16]
	v_add_nc_u32_e32 v10, 20, v12
	v_add_co_u32 v19, vcc_lo, v74, v8
	v_add_co_ci_u32_e32 v20, vcc_lo, v75, v9, vcc_lo
	s_delay_alu instid0(VALU_DEP_3) | instskip(SKIP_1) | instid1(VALU_DEP_1)
	v_ashrrev_i32_e32 v11, 31, v10
	s_and_b32 vcc_lo, exec_lo, s0
	v_lshlrev_b64 v[10:11], 3, v[10:11]
	global_store_b64 v[19:20], v[15:16], off
	s_cbranch_vccnz .LBB182_75
; %bb.74:
	v_add_co_u32 v13, vcc_lo, v72, v10
	v_add_co_ci_u32_e32 v14, vcc_lo, v73, v11, vcc_lo
	flat_load_b64 v[13:14], v[13:14]
	s_waitcnt vmcnt(0) lgkmcnt(0)
	v_mul_f64 v[13:14], v[13:14], s[6:7]
.LBB182_75:
	scratch_load_b64 v[15:16], off, off offset:48
	s_waitcnt vmcnt(1)
	v_add_f64 v[21:22], v[17:18], v[13:14]
	v_add_nc_u32_e32 v13, 24, v12
	v_mov_b32_e32 v17, 0
	v_mov_b32_e32 v18, 0
	v_add_co_u32 v23, vcc_lo, v74, v10
	s_delay_alu instid0(VALU_DEP_4) | instskip(SKIP_3) | instid1(VALU_DEP_4)
	v_ashrrev_i32_e32 v14, 31, v13
	v_mov_b32_e32 v19, 0
	v_mov_b32_e32 v20, 0
	v_add_co_ci_u32_e32 v24, vcc_lo, v75, v11, vcc_lo
	v_lshlrev_b64 v[13:14], 3, v[13:14]
	s_and_b32 vcc_lo, exec_lo, s0
	global_store_b64 v[23:24], v[21:22], off
	s_cbranch_vccnz .LBB182_77
; %bb.76:
	v_add_co_u32 v19, vcc_lo, v72, v13
	v_add_co_ci_u32_e32 v20, vcc_lo, v73, v14, vcc_lo
	flat_load_b64 v[19:20], v[19:20]
	s_waitcnt vmcnt(0) lgkmcnt(0)
	v_mul_f64 v[19:20], v[19:20], s[6:7]
.LBB182_77:
	scratch_load_b64 v[21:22], off, off offset:56
	s_waitcnt vmcnt(1)
	v_add_f64 v[19:20], v[15:16], v[19:20]
	v_add_nc_u32_e32 v15, 28, v12
	v_add_co_u32 v23, vcc_lo, v74, v13
	v_add_co_ci_u32_e32 v24, vcc_lo, v75, v14, vcc_lo
	s_delay_alu instid0(VALU_DEP_3) | instskip(SKIP_1) | instid1(VALU_DEP_1)
	v_ashrrev_i32_e32 v16, 31, v15
	s_and_b32 vcc_lo, exec_lo, s0
	v_lshlrev_b64 v[15:16], 3, v[15:16]
	global_store_b64 v[23:24], v[19:20], off
	s_cbranch_vccnz .LBB182_79
; %bb.78:
	v_add_co_u32 v17, vcc_lo, v72, v15
	v_add_co_ci_u32_e32 v18, vcc_lo, v73, v16, vcc_lo
	flat_load_b64 v[17:18], v[17:18]
	s_waitcnt vmcnt(0) lgkmcnt(0)
	v_mul_f64 v[17:18], v[17:18], s[6:7]
.LBB182_79:
	scratch_load_b64 v[19:20], off, off offset:64
	s_waitcnt vmcnt(1)
	v_add_f64 v[25:26], v[21:22], v[17:18]
	v_add_nc_u32_e32 v17, 32, v12
	v_mov_b32_e32 v21, 0
	v_mov_b32_e32 v22, 0
	v_add_co_u32 v27, vcc_lo, v74, v15
	s_delay_alu instid0(VALU_DEP_4) | instskip(SKIP_3) | instid1(VALU_DEP_4)
	v_ashrrev_i32_e32 v18, 31, v17
	v_mov_b32_e32 v23, 0
	v_mov_b32_e32 v24, 0
	v_add_co_ci_u32_e32 v28, vcc_lo, v75, v16, vcc_lo
	v_lshlrev_b64 v[17:18], 3, v[17:18]
	s_and_b32 vcc_lo, exec_lo, s0
	;; [unrolled: 42-line block ×13, first 2 shown]
	global_store_b64 v[76:77], v[67:68], off
	s_cbranch_vccnz .LBB182_125
; %bb.124:
	v_add_co_u32 v67, vcc_lo, v72, v61
	v_add_co_ci_u32_e32 v68, vcc_lo, v73, v62, vcc_lo
	flat_load_b64 v[67:68], v[67:68]
	s_waitcnt vmcnt(0) lgkmcnt(0)
	v_mul_f64 v[69:70], v[67:68], s[6:7]
.LBB182_125:
	scratch_load_b64 v[67:68], off, off offset:248
	s_waitcnt vmcnt(1)
	v_add_f64 v[69:70], v[63:64], v[69:70]
	v_add_nc_u32_e32 v63, 0x7c, v12
	v_add_co_u32 v76, vcc_lo, v74, v61
	v_add_co_ci_u32_e32 v77, vcc_lo, v75, v62, vcc_lo
	s_delay_alu instid0(VALU_DEP_3) | instskip(SKIP_1) | instid1(VALU_DEP_1)
	v_ashrrev_i32_e32 v64, 31, v63
	s_and_b32 vcc_lo, exec_lo, s0
	v_lshlrev_b64 v[63:64], 3, v[63:64]
	global_store_b64 v[76:77], v[69:70], off
	s_cbranch_vccnz .LBB182_127
; %bb.126:
	v_add_co_u32 v65, vcc_lo, v72, v63
	v_add_co_ci_u32_e32 v66, vcc_lo, v73, v64, vcc_lo
	flat_load_b64 v[65:66], v[65:66]
	s_waitcnt vmcnt(0) lgkmcnt(0)
	v_mul_f64 v[65:66], v[65:66], s[6:7]
.LBB182_127:
	scratch_load_b64 v[69:70], off, off offset:256
	s_waitcnt vmcnt(1)
	v_add_f64 v[67:68], v[67:68], v[65:66]
	v_add_nc_u32_e32 v76, 64, v71
	v_add_co_u32 v74, vcc_lo, v74, v63
	v_add_co_ci_u32_e32 v75, vcc_lo, v75, v64, vcc_lo
	s_delay_alu instid0(VALU_DEP_3) | instskip(SKIP_2) | instid1(VALU_DEP_3)
	v_mad_i64_i32 v[65:66], null, v76, s3, 0
	v_mov_b32_e32 v71, 0
	v_mov_b32_e32 v72, 0
	v_lshlrev_b64 v[77:78], 3, v[65:66]
	v_mov_b32_e32 v65, 0
	v_mov_b32_e32 v66, 0
	s_delay_alu instid0(VALU_DEP_3) | instskip(NEXT) | instid1(VALU_DEP_4)
	v_add_co_u32 v12, vcc_lo, s4, v77
	v_add_co_ci_u32_e32 v73, vcc_lo, s5, v78, vcc_lo
	s_mov_b32 vcc_lo, s2
	global_store_b64 v[74:75], v[67:68], off
	s_cbranch_vccz .LBB182_129
; %bb.128:
	v_add_co_u32 v67, vcc_lo, v12, v0
	v_add_co_ci_u32_e32 v68, vcc_lo, v73, v1, vcc_lo
	flat_load_b64 v[67:68], v[67:68]
	s_waitcnt vmcnt(0) lgkmcnt(0)
	v_mul_f64 v[71:72], v[67:68], s[6:7]
.LBB182_129:
	scratch_load_b64 v[67:68], off, off offset:264
	s_waitcnt vmcnt(1)
	v_add_f64 v[69:70], v[69:70], v[71:72]
	v_mad_i64_i32 v[71:72], null, v76, s1, 0
	s_delay_alu instid0(VALU_DEP_1) | instskip(NEXT) | instid1(VALU_DEP_1)
	v_lshlrev_b64 v[71:72], 3, v[71:72]
	v_add_co_u32 v71, vcc_lo, s8, v71
	s_delay_alu instid0(VALU_DEP_2) | instskip(NEXT) | instid1(VALU_DEP_2)
	v_add_co_ci_u32_e32 v72, vcc_lo, s9, v72, vcc_lo
	v_add_co_u32 v0, vcc_lo, v71, v0
	s_delay_alu instid0(VALU_DEP_2)
	v_add_co_ci_u32_e32 v1, vcc_lo, v72, v1, vcc_lo
	s_and_b32 vcc_lo, exec_lo, s0
	global_store_b64 v[0:1], v[69:70], off
	s_cbranch_vccnz .LBB182_131
; %bb.130:
	v_add_co_u32 v0, vcc_lo, v12, v2
	v_add_co_ci_u32_e32 v1, vcc_lo, v73, v3, vcc_lo
	flat_load_b64 v[0:1], v[0:1]
	s_waitcnt vmcnt(0) lgkmcnt(0)
	v_mul_f64 v[65:66], v[0:1], s[6:7]
.LBB182_131:
	scratch_load_b64 v[69:70], off, off offset:272
	s_waitcnt vmcnt(1)
	v_add_f64 v[65:66], v[67:68], v[65:66]
	v_add_co_u32 v67, vcc_lo, v71, v2
	v_mov_b32_e32 v0, 0
	v_add_co_ci_u32_e32 v68, vcc_lo, v72, v3, vcc_lo
	v_dual_mov_b32 v1, 0 :: v_dual_mov_b32 v2, 0
	v_mov_b32_e32 v3, 0
	s_and_b32 vcc_lo, exec_lo, s0
	global_store_b64 v[67:68], v[65:66], off
	s_cbranch_vccnz .LBB182_133
; %bb.132:
	v_add_co_u32 v2, vcc_lo, v12, v4
	v_add_co_ci_u32_e32 v3, vcc_lo, v73, v5, vcc_lo
	flat_load_b64 v[2:3], v[2:3]
	s_waitcnt vmcnt(0) lgkmcnt(0)
	v_mul_f64 v[2:3], v[2:3], s[6:7]
.LBB182_133:
	scratch_load_b64 v[65:66], off, off offset:280
	s_waitcnt vmcnt(1)
	v_add_f64 v[2:3], v[69:70], v[2:3]
	v_add_co_u32 v4, vcc_lo, v71, v4
	v_add_co_ci_u32_e32 v5, vcc_lo, v72, v5, vcc_lo
	s_and_b32 vcc_lo, exec_lo, s0
	global_store_b64 v[4:5], v[2:3], off
	s_cbranch_vccnz .LBB182_135
; %bb.134:
	v_add_co_u32 v0, vcc_lo, v12, v6
	v_add_co_ci_u32_e32 v1, vcc_lo, v73, v7, vcc_lo
	flat_load_b64 v[0:1], v[0:1]
	s_waitcnt vmcnt(0) lgkmcnt(0)
	v_mul_f64 v[0:1], v[0:1], s[6:7]
.LBB182_135:
	scratch_load_b64 v[2:3], off, off offset:288
	s_waitcnt vmcnt(1)
	v_add_f64 v[4:5], v[65:66], v[0:1]
	v_add_co_u32 v65, vcc_lo, v71, v6
	v_mov_b32_e32 v0, 0
	v_add_co_ci_u32_e32 v66, vcc_lo, v72, v7, vcc_lo
	v_dual_mov_b32 v1, 0 :: v_dual_mov_b32 v6, 0
	v_mov_b32_e32 v7, 0
	s_and_b32 vcc_lo, exec_lo, s0
	global_store_b64 v[65:66], v[4:5], off
	s_cbranch_vccnz .LBB182_137
; %bb.136:
	v_add_co_u32 v4, vcc_lo, v12, v8
	v_add_co_ci_u32_e32 v5, vcc_lo, v73, v9, vcc_lo
	flat_load_b64 v[4:5], v[4:5]
	s_waitcnt vmcnt(0) lgkmcnt(0)
	v_mul_f64 v[6:7], v[4:5], s[6:7]
.LBB182_137:
	scratch_load_b64 v[4:5], off, off offset:296
	s_waitcnt vmcnt(1)
	v_add_f64 v[2:3], v[2:3], v[6:7]
	v_add_co_u32 v6, vcc_lo, v71, v8
	v_add_co_ci_u32_e32 v7, vcc_lo, v72, v9, vcc_lo
	s_and_b32 vcc_lo, exec_lo, s0
	global_store_b64 v[6:7], v[2:3], off
	s_cbranch_vccnz .LBB182_139
; %bb.138:
	v_add_co_u32 v0, vcc_lo, v12, v10
	v_add_co_ci_u32_e32 v1, vcc_lo, v73, v11, vcc_lo
	flat_load_b64 v[0:1], v[0:1]
	s_waitcnt vmcnt(0) lgkmcnt(0)
	v_mul_f64 v[0:1], v[0:1], s[6:7]
.LBB182_139:
	scratch_load_b64 v[2:3], off, off offset:304
	s_waitcnt vmcnt(1)
	v_add_f64 v[4:5], v[4:5], v[0:1]
	v_add_co_u32 v8, vcc_lo, v71, v10
	v_mov_b32_e32 v0, 0
	v_dual_mov_b32 v1, 0 :: v_dual_mov_b32 v6, 0
	v_add_co_ci_u32_e32 v9, vcc_lo, v72, v11, vcc_lo
	v_mov_b32_e32 v7, 0
	s_and_b32 vcc_lo, exec_lo, s0
	global_store_b64 v[8:9], v[4:5], off
	s_cbranch_vccnz .LBB182_141
; %bb.140:
	v_add_co_u32 v4, vcc_lo, v12, v13
	v_add_co_ci_u32_e32 v5, vcc_lo, v73, v14, vcc_lo
	flat_load_b64 v[4:5], v[4:5]
	s_waitcnt vmcnt(0) lgkmcnt(0)
	v_mul_f64 v[6:7], v[4:5], s[6:7]
.LBB182_141:
	scratch_load_b64 v[4:5], off, off offset:312
	s_waitcnt vmcnt(1)
	v_add_f64 v[2:3], v[2:3], v[6:7]
	v_add_co_u32 v6, vcc_lo, v71, v13
	v_add_co_ci_u32_e32 v7, vcc_lo, v72, v14, vcc_lo
	s_and_b32 vcc_lo, exec_lo, s0
	global_store_b64 v[6:7], v[2:3], off
	s_cbranch_vccnz .LBB182_143
; %bb.142:
	v_add_co_u32 v0, vcc_lo, v12, v15
	v_add_co_ci_u32_e32 v1, vcc_lo, v73, v16, vcc_lo
	flat_load_b64 v[0:1], v[0:1]
	s_waitcnt vmcnt(0) lgkmcnt(0)
	v_mul_f64 v[0:1], v[0:1], s[6:7]
.LBB182_143:
	scratch_load_b64 v[2:3], off, off offset:320
	s_waitcnt vmcnt(1)
	v_add_f64 v[4:5], v[4:5], v[0:1]
	v_add_co_u32 v8, vcc_lo, v71, v15
	v_mov_b32_e32 v0, 0
	v_dual_mov_b32 v1, 0 :: v_dual_mov_b32 v6, 0
	v_add_co_ci_u32_e32 v9, vcc_lo, v72, v16, vcc_lo
	;; [unrolled: 33-line block ×13, first 2 shown]
	v_mov_b32_e32 v7, 0
	s_and_b32 vcc_lo, exec_lo, s0
	global_store_b64 v[8:9], v[4:5], off
	s_cbranch_vccnz .LBB182_189
; %bb.188:
	v_add_co_u32 v4, vcc_lo, v12, v61
	v_add_co_ci_u32_e32 v5, vcc_lo, v73, v62, vcc_lo
	flat_load_b64 v[4:5], v[4:5]
	s_waitcnt vmcnt(0) lgkmcnt(0)
	v_mul_f64 v[6:7], v[4:5], s[6:7]
.LBB182_189:
	scratch_load_b64 v[4:5], off, off offset:504
	s_waitcnt vmcnt(1)
	v_add_f64 v[2:3], v[2:3], v[6:7]
	v_add_co_u32 v6, vcc_lo, v71, v61
	v_add_co_ci_u32_e32 v7, vcc_lo, v72, v62, vcc_lo
	s_and_b32 vcc_lo, exec_lo, s0
	global_store_b64 v[6:7], v[2:3], off
	s_cbranch_vccnz .LBB182_191
; %bb.190:
	v_add_co_u32 v0, vcc_lo, v12, v63
	v_add_co_ci_u32_e32 v1, vcc_lo, v73, v64, vcc_lo
	flat_load_b64 v[0:1], v[0:1]
	s_waitcnt vmcnt(0) lgkmcnt(0)
	v_mul_f64 v[0:1], v[0:1], s[6:7]
.LBB182_191:
	s_waitcnt vmcnt(0)
	s_delay_alu instid0(VALU_DEP_1)
	v_add_f64 v[0:1], v[4:5], v[0:1]
	v_add_co_u32 v2, vcc_lo, v71, v63
	v_add_co_ci_u32_e32 v3, vcc_lo, v72, v64, vcc_lo
	global_store_b64 v[2:3], v[0:1], off
	s_endpgm
	.section	.rodata,"a",@progbits
	.p2align	6, 0x0
	.amdhsa_kernel _ZN12_GLOBAL__N_120geam_min_plus_kernelIdddLi4ELi64ELi128ELi128ELi4ELi64ELi4ELi4ELi64ELc78ELc78ELb0ELb0ELb0EdKddEEviiiT16_PT17_ilS4_ilS2_S4_ilPT18_ili26rocblas_geam_ex_operation_
		.amdhsa_group_segment_fixed_size 16384
		.amdhsa_private_segment_fixed_size 528
		.amdhsa_kernarg_size 136
		.amdhsa_user_sgpr_count 14
		.amdhsa_user_sgpr_dispatch_ptr 0
		.amdhsa_user_sgpr_queue_ptr 0
		.amdhsa_user_sgpr_kernarg_segment_ptr 1
		.amdhsa_user_sgpr_dispatch_id 0
		.amdhsa_user_sgpr_private_segment_size 0
		.amdhsa_wavefront_size32 1
		.amdhsa_uses_dynamic_stack 0
		.amdhsa_enable_private_segment 1
		.amdhsa_system_sgpr_workgroup_id_x 1
		.amdhsa_system_sgpr_workgroup_id_y 0
		.amdhsa_system_sgpr_workgroup_id_z 1
		.amdhsa_system_sgpr_workgroup_info 0
		.amdhsa_system_vgpr_workitem_id 1
		.amdhsa_next_free_vgpr 254
		.amdhsa_next_free_sgpr 27
		.amdhsa_reserve_vcc 1
		.amdhsa_float_round_mode_32 0
		.amdhsa_float_round_mode_16_64 0
		.amdhsa_float_denorm_mode_32 3
		.amdhsa_float_denorm_mode_16_64 3
		.amdhsa_dx10_clamp 1
		.amdhsa_ieee_mode 1
		.amdhsa_fp16_overflow 0
		.amdhsa_workgroup_processor_mode 1
		.amdhsa_memory_ordered 1
		.amdhsa_forward_progress 0
		.amdhsa_shared_vgpr_count 0
		.amdhsa_exception_fp_ieee_invalid_op 0
		.amdhsa_exception_fp_denorm_src 0
		.amdhsa_exception_fp_ieee_div_zero 0
		.amdhsa_exception_fp_ieee_overflow 0
		.amdhsa_exception_fp_ieee_underflow 0
		.amdhsa_exception_fp_ieee_inexact 0
		.amdhsa_exception_int_div_zero 0
	.end_amdhsa_kernel
	.section	.text._ZN12_GLOBAL__N_120geam_min_plus_kernelIdddLi4ELi64ELi128ELi128ELi4ELi64ELi4ELi4ELi64ELc78ELc78ELb0ELb0ELb0EdKddEEviiiT16_PT17_ilS4_ilS2_S4_ilPT18_ili26rocblas_geam_ex_operation_,"axG",@progbits,_ZN12_GLOBAL__N_120geam_min_plus_kernelIdddLi4ELi64ELi128ELi128ELi4ELi64ELi4ELi4ELi64ELc78ELc78ELb0ELb0ELb0EdKddEEviiiT16_PT17_ilS4_ilS2_S4_ilPT18_ili26rocblas_geam_ex_operation_,comdat
.Lfunc_end182:
	.size	_ZN12_GLOBAL__N_120geam_min_plus_kernelIdddLi4ELi64ELi128ELi128ELi4ELi64ELi4ELi4ELi64ELc78ELc78ELb0ELb0ELb0EdKddEEviiiT16_PT17_ilS4_ilS2_S4_ilPT18_ili26rocblas_geam_ex_operation_, .Lfunc_end182-_ZN12_GLOBAL__N_120geam_min_plus_kernelIdddLi4ELi64ELi128ELi128ELi4ELi64ELi4ELi4ELi64ELc78ELc78ELb0ELb0ELb0EdKddEEviiiT16_PT17_ilS4_ilS2_S4_ilPT18_ili26rocblas_geam_ex_operation_
                                        ; -- End function
	.section	.AMDGPU.csdata,"",@progbits
; Kernel info:
; codeLenInByte = 43624
; NumSgprs: 29
; NumVgprs: 254
; ScratchSize: 528
; MemoryBound: 1
; FloatMode: 240
; IeeeMode: 1
; LDSByteSize: 16384 bytes/workgroup (compile time only)
; SGPRBlocks: 3
; VGPRBlocks: 31
; NumSGPRsForWavesPerEU: 29
; NumVGPRsForWavesPerEU: 254
; Occupancy: 5
; WaveLimiterHint : 1
; COMPUTE_PGM_RSRC2:SCRATCH_EN: 1
; COMPUTE_PGM_RSRC2:USER_SGPR: 14
; COMPUTE_PGM_RSRC2:TRAP_HANDLER: 0
; COMPUTE_PGM_RSRC2:TGID_X_EN: 1
; COMPUTE_PGM_RSRC2:TGID_Y_EN: 0
; COMPUTE_PGM_RSRC2:TGID_Z_EN: 1
; COMPUTE_PGM_RSRC2:TIDIG_COMP_CNT: 1
	.section	.text._ZN12_GLOBAL__N_120geam_min_plus_kernelIdddLi4ELi64ELi128ELi128ELi4ELi64ELi4ELi4ELi64ELc78ELc78ELb0ELb1ELb0EPKdS1_dEEviiiT16_PT17_ilS5_ilS3_S5_ilPT18_ili26rocblas_geam_ex_operation_,"axG",@progbits,_ZN12_GLOBAL__N_120geam_min_plus_kernelIdddLi4ELi64ELi128ELi128ELi4ELi64ELi4ELi4ELi64ELc78ELc78ELb0ELb1ELb0EPKdS1_dEEviiiT16_PT17_ilS5_ilS3_S5_ilPT18_ili26rocblas_geam_ex_operation_,comdat
	.globl	_ZN12_GLOBAL__N_120geam_min_plus_kernelIdddLi4ELi64ELi128ELi128ELi4ELi64ELi4ELi4ELi64ELc78ELc78ELb0ELb1ELb0EPKdS1_dEEviiiT16_PT17_ilS5_ilS3_S5_ilPT18_ili26rocblas_geam_ex_operation_ ; -- Begin function _ZN12_GLOBAL__N_120geam_min_plus_kernelIdddLi4ELi64ELi128ELi128ELi4ELi64ELi4ELi4ELi64ELc78ELc78ELb0ELb1ELb0EPKdS1_dEEviiiT16_PT17_ilS5_ilS3_S5_ilPT18_ili26rocblas_geam_ex_operation_
	.p2align	8
	.type	_ZN12_GLOBAL__N_120geam_min_plus_kernelIdddLi4ELi64ELi128ELi128ELi4ELi64ELi4ELi4ELi64ELc78ELc78ELb0ELb1ELb0EPKdS1_dEEviiiT16_PT17_ilS5_ilS3_S5_ilPT18_ili26rocblas_geam_ex_operation_,@function
_ZN12_GLOBAL__N_120geam_min_plus_kernelIdddLi4ELi64ELi128ELi128ELi4ELi64ELi4ELi4ELi64ELc78ELc78ELb0ELb1ELb0EPKdS1_dEEviiiT16_PT17_ilS5_ilS3_S5_ilPT18_ili26rocblas_geam_ex_operation_: ; @_ZN12_GLOBAL__N_120geam_min_plus_kernelIdddLi4ELi64ELi128ELi128ELi4ELi64ELi4ELi4ELi64ELc78ELc78ELb0ELb1ELb0EPKdS1_dEEviiiT16_PT17_ilS5_ilS3_S5_ilPT18_ili26rocblas_geam_ex_operation_
; %bb.0:
	s_clause 0x1
	s_load_b128 s[8:11], s[0:1], 0x10
	s_load_b128 s[4:7], s[0:1], 0x28
	s_mov_b32 s12, s15
	s_mov_b32 s13, 0
	s_delay_alu instid0(SALU_CYCLE_1)
	s_lshl_b64 s[22:23], s[12:13], 3
	s_waitcnt lgkmcnt(0)
	s_add_u32 s2, s8, s22
	s_addc_u32 s3, s9, s23
	s_load_b64 s[20:21], s[2:3], 0x0
	s_clause 0x1
	s_load_b128 s[16:19], s[0:1], 0x40
	s_load_b64 s[2:3], s[0:1], 0x50
	s_waitcnt lgkmcnt(0)
	s_add_u32 s8, s18, s22
	v_cmp_eq_f64_e64 s15, s[20:21], 0
	v_cmp_neq_f64_e64 s13, s[20:21], 0
	s_addc_u32 s9, s19, s23
	s_mov_b64 s[18:19], 0
	s_mov_b64 s[22:23], 0
	s_delay_alu instid0(VALU_DEP_2)
	s_and_b32 vcc_lo, exec_lo, s15
	s_cbranch_vccnz .LBB183_2
; %bb.1:
	s_mul_i32 s5, s12, s5
	s_mul_hi_u32 s15, s12, s4
	s_mul_i32 s4, s12, s4
	s_add_i32 s5, s15, s5
	s_delay_alu instid0(SALU_CYCLE_1) | instskip(NEXT) | instid1(SALU_CYCLE_1)
	s_lshl_b64 s[4:5], s[4:5], 3
	s_add_u32 s22, s10, s4
	s_addc_u32 s23, s11, s5
.LBB183_2:
	s_load_b64 s[34:35], s[8:9], 0x0
	s_delay_alu instid0(VALU_DEP_1)
	s_and_not1_b32 vcc_lo, exec_lo, s13
	s_cbranch_vccnz .LBB183_4
; %bb.3:
	s_mul_i32 s4, s12, s17
	s_mul_hi_u32 s5, s12, s16
	s_delay_alu instid0(SALU_CYCLE_1) | instskip(SKIP_1) | instid1(SALU_CYCLE_1)
	s_add_i32 s5, s5, s4
	s_mul_i32 s4, s12, s16
	s_lshl_b64 s[4:5], s[4:5], 3
	s_delay_alu instid0(SALU_CYCLE_1)
	s_add_u32 s18, s6, s4
	s_addc_u32 s19, s7, s5
.LBB183_4:
	s_waitcnt lgkmcnt(0)
	v_cmp_eq_f64_e64 s4, s[34:35], 0
	v_cmp_neq_f64_e64 s42, s[34:35], 0
	s_load_b128 s[8:11], s[0:1], 0x60
	s_mov_b64 s[40:41], 0
	s_delay_alu instid0(VALU_DEP_2)
	s_and_b32 vcc_lo, exec_lo, s4
	s_cbranch_vccnz .LBB183_6
; %bb.5:
	s_waitcnt lgkmcnt(0)
	s_mul_i32 s4, s12, s9
	s_mul_hi_u32 s5, s12, s8
	s_delay_alu instid0(SALU_CYCLE_1) | instskip(SKIP_1) | instid1(SALU_CYCLE_1)
	s_add_i32 s5, s5, s4
	s_mul_i32 s4, s12, s8
	s_lshl_b64 s[4:5], s[4:5], 3
	s_delay_alu instid0(SALU_CYCLE_1)
	s_add_u32 s40, s2, s4
	s_addc_u32 s41, s3, s5
.LBB183_6:
	s_clause 0x1
	s_load_b128 s[36:39], s[0:1], 0x0
	s_load_b32 s13, s[0:1], 0x20
	s_mov_b32 s2, 0
	v_bfe_u32 v83, v0, 10, 10
	s_mov_b32 s3, s2
	s_delay_alu instid0(SALU_CYCLE_1) | instskip(SKIP_2) | instid1(VALU_DEP_3)
	v_dual_mov_b32 v5, s3 :: v_dual_and_b32 v82, 0x3ff, v0
	v_mov_b32_e32 v4, s2
	v_cmp_eq_f64_e64 s15, s[20:21], 0
	v_lshl_add_u32 v6, v83, 2, v82
	s_delay_alu instid0(VALU_DEP_1) | instskip(SKIP_2) | instid1(VALU_DEP_1)
	v_lshrrev_b32_e32 v84, 6, v6
	s_waitcnt lgkmcnt(0)
	s_add_i32 s2, s36, -1
	v_cmp_le_i32_e32 vcc_lo, s38, v84
	s_ashr_i32 s3, s2, 31
	s_delay_alu instid0(SALU_CYCLE_1) | instskip(NEXT) | instid1(SALU_CYCLE_1)
	s_lshr_b32 s3, s3, 25
	s_add_i32 s2, s2, s3
	s_delay_alu instid0(SALU_CYCLE_1) | instskip(NEXT) | instid1(SALU_CYCLE_1)
	s_ashr_i32 s2, s2, 7
	s_add_i32 s3, s2, 1
	s_not_b32 s2, s2
	v_cvt_f32_u32_e32 v0, s3
	s_delay_alu instid0(VALU_DEP_1) | instskip(SKIP_2) | instid1(VALU_DEP_1)
	v_rcp_iflag_f32_e32 v0, v0
	s_waitcnt_depctr 0xfff
	v_mul_f32_e32 v0, 0x4f7ffffe, v0
	v_cvt_u32_f32_e32 v0, v0
	s_delay_alu instid0(VALU_DEP_1) | instskip(NEXT) | instid1(VALU_DEP_1)
	v_readfirstlane_b32 s4, v0
	s_mul_i32 s2, s2, s4
	s_delay_alu instid0(SALU_CYCLE_1) | instskip(NEXT) | instid1(SALU_CYCLE_1)
	s_mul_hi_u32 s2, s4, s2
	s_add_i32 s4, s4, s2
	s_delay_alu instid0(SALU_CYCLE_1) | instskip(NEXT) | instid1(SALU_CYCLE_1)
	s_mul_hi_u32 s2, s14, s4
	s_mul_i32 s4, s2, s3
	s_add_i32 s5, s2, 1
	s_sub_i32 s4, s14, s4
	s_delay_alu instid0(SALU_CYCLE_1)
	s_sub_i32 s6, s4, s3
	s_cmp_ge_u32 s4, s3
	s_cselect_b32 s2, s5, s2
	s_cselect_b32 s4, s6, s4
	s_add_i32 s5, s2, 1
	s_cmp_ge_u32 s4, s3
	s_cselect_b32 s4, s5, s2
	s_delay_alu instid0(SALU_CYCLE_1) | instskip(NEXT) | instid1(SALU_CYCLE_1)
	s_mul_i32 s2, s4, s3
	s_sub_i32 s2, s14, s2
	s_add_i32 s14, s38, -1
	s_lshl_b32 s8, s2, 7
	v_min_i32_e32 v2, s14, v84
	s_delay_alu instid0(VALU_DEP_1) | instskip(NEXT) | instid1(VALU_DEP_1)
	v_mad_i64_i32 v[0:1], null, s13, v2, 0
	v_lshlrev_b64 v[2:3], 3, v[0:1]
	v_mov_b32_e32 v0, 0
	v_dual_mov_b32 v1, 0 :: v_dual_and_b32 v78, 63, v6
	s_clause 0xe
	scratch_store_b64 off, v[4:5], off
	scratch_store_b64 off, v[4:5], off offset:8
	scratch_store_b64 off, v[4:5], off offset:16
	;; [unrolled: 1-line block ×14, first 2 shown]
	v_add_co_u32 v7, s3, s22, v2
	s_delay_alu instid0(VALU_DEP_1)
	v_add_co_ci_u32_e64 v8, s3, s23, v3, s3
	v_mov_b32_e32 v3, v1
	v_or_b32_e32 v68, s8, v78
	v_mov_b32_e32 v2, v0
	s_clause 0x5
	scratch_store_b64 off, v[4:5], off offset:120
	scratch_store_b64 off, v[4:5], off offset:128
	;; [unrolled: 1-line block ×6, first 2 shown]
	v_cmp_le_i32_e64 s2, s36, v68
	v_ashrrev_i32_e32 v69, 31, v68
	s_clause 0x10
	scratch_store_b64 off, v[4:5], off offset:168
	scratch_store_b64 off, v[4:5], off offset:176
	;; [unrolled: 1-line block ×17, first 2 shown]
	s_or_b32 s3, s2, vcc_lo
	s_clause 0x1
	scratch_store_b64 off, v[4:5], off offset:304
	scratch_store_b64 off, v[4:5], off offset:312
	s_or_b32 s3, s15, s3
	s_clause 0x3
	scratch_store_b64 off, v[4:5], off offset:320
	scratch_store_b64 off, v[4:5], off offset:328
	;; [unrolled: 1-line block ×4, first 2 shown]
	s_xor_b32 s3, s3, -1
	s_clause 0x13
	scratch_store_b64 off, v[4:5], off offset:352
	scratch_store_b64 off, v[4:5], off offset:360
	;; [unrolled: 1-line block ×20, first 2 shown]
	s_and_saveexec_b32 s5, s3
	s_cbranch_execz .LBB183_8
; %bb.7:
	v_lshlrev_b64 v[2:3], 3, v[68:69]
	s_delay_alu instid0(VALU_DEP_1) | instskip(NEXT) | instid1(VALU_DEP_1)
	v_add_co_u32 v2, s3, v7, v2
	v_add_co_ci_u32_e64 v3, s3, v8, v3, s3
	flat_load_b64 v[2:3], v[2:3]
	s_waitcnt vmcnt(0) lgkmcnt(0)
	v_mul_f64 v[2:3], s[20:21], v[2:3]
.LBB183_8:
	s_or_b32 exec_lo, exec_lo, s5
	v_or_b32_e32 v4, 64, v68
	s_delay_alu instid0(VALU_DEP_1) | instskip(SKIP_1) | instid1(VALU_DEP_2)
	v_cmp_le_i32_e64 s3, s36, v4
	v_dual_mov_b32 v5, v1 :: v_dual_mov_b32 v4, v0
	s_or_b32 s5, s3, vcc_lo
	s_delay_alu instid0(SALU_CYCLE_1) | instskip(NEXT) | instid1(SALU_CYCLE_1)
	s_or_b32 s5, s15, s5
	s_xor_b32 s6, s5, -1
	s_delay_alu instid0(SALU_CYCLE_1)
	s_and_saveexec_b32 s5, s6
	s_cbranch_execz .LBB183_10
; %bb.9:
	v_lshlrev_b64 v[4:5], 3, v[68:69]
	s_delay_alu instid0(VALU_DEP_1) | instskip(NEXT) | instid1(VALU_DEP_2)
	v_add_co_u32 v4, vcc_lo, v7, v4
	v_add_co_ci_u32_e32 v5, vcc_lo, v8, v5, vcc_lo
	flat_load_b64 v[4:5], v[4:5] offset:512
	s_waitcnt vmcnt(0) lgkmcnt(0)
	v_mul_f64 v[4:5], s[20:21], v[4:5]
.LBB183_10:
	s_or_b32 exec_lo, exec_lo, s5
	v_and_b32_e32 v85, 3, v82
	v_lshrrev_b32_e32 v8, 2, v6
	s_load_b32 s17, s[0:1], 0x38
	s_lshl_b32 s9, s4, 7
	s_delay_alu instid0(VALU_DEP_2) | instskip(NEXT) | instid1(VALU_DEP_2)
	v_min_i32_e32 v6, s14, v85
	v_add_nc_u32_e32 v79, s9, v8
	v_cmp_le_i32_e32 vcc_lo, s38, v85
	s_delay_alu instid0(VALU_DEP_3) | instskip(NEXT) | instid1(VALU_DEP_3)
	v_ashrrev_i32_e32 v7, 31, v6
	v_cmp_le_i32_e64 s4, s37, v79
	s_delay_alu instid0(VALU_DEP_2) | instskip(NEXT) | instid1(VALU_DEP_2)
	v_lshlrev_b64 v[6:7], 3, v[6:7]
	s_or_b32 s6, vcc_lo, s4
	s_delay_alu instid0(VALU_DEP_1) | instskip(NEXT) | instid1(VALU_DEP_1)
	v_add_co_u32 v9, s5, s18, v6
	v_add_co_ci_u32_e64 v10, s5, s19, v7, s5
	s_or_b32 s5, s15, s6
	s_delay_alu instid0(SALU_CYCLE_1) | instskip(NEXT) | instid1(SALU_CYCLE_1)
	s_xor_b32 s5, s5, -1
	s_and_saveexec_b32 s6, s5
	s_cbranch_execz .LBB183_12
; %bb.11:
	s_waitcnt lgkmcnt(0)
	v_mad_i64_i32 v[0:1], null, v79, s17, 0
	s_delay_alu instid0(VALU_DEP_1) | instskip(NEXT) | instid1(VALU_DEP_1)
	v_lshlrev_b64 v[0:1], 3, v[0:1]
	v_add_co_u32 v0, s5, v9, v0
	s_delay_alu instid0(VALU_DEP_1)
	v_add_co_ci_u32_e64 v1, s5, v10, v1, s5
	flat_load_b64 v[0:1], v[0:1]
	s_waitcnt vmcnt(0) lgkmcnt(0)
	v_mul_f64 v[0:1], s[20:21], v[0:1]
.LBB183_12:
	s_or_b32 exec_lo, exec_lo, s6
	v_add_nc_u32_e32 v80, 64, v79
	v_mov_b32_e32 v70, 0
	v_mov_b32_e32 v71, 0
	s_delay_alu instid0(VALU_DEP_2) | instskip(NEXT) | instid1(VALU_DEP_4)
	v_mov_b32_e32 v6, v70
	v_cmp_le_i32_e64 s5, s37, v80
	s_delay_alu instid0(VALU_DEP_3) | instskip(NEXT) | instid1(VALU_DEP_2)
	v_mov_b32_e32 v7, v71
	s_or_b32 s6, vcc_lo, s5
	s_delay_alu instid0(SALU_CYCLE_1) | instskip(NEXT) | instid1(SALU_CYCLE_1)
	s_or_b32 s6, s15, s6
	s_xor_b32 s7, s6, -1
	s_delay_alu instid0(SALU_CYCLE_1)
	s_and_saveexec_b32 s6, s7
	s_cbranch_execz .LBB183_14
; %bb.13:
	s_waitcnt lgkmcnt(0)
	v_mad_i64_i32 v[6:7], null, v80, s17, 0
	s_delay_alu instid0(VALU_DEP_1) | instskip(NEXT) | instid1(VALU_DEP_1)
	v_lshlrev_b64 v[6:7], 3, v[6:7]
	v_add_co_u32 v6, vcc_lo, v9, v6
	s_delay_alu instid0(VALU_DEP_2)
	v_add_co_ci_u32_e32 v7, vcc_lo, v10, v7, vcc_lo
	flat_load_b64 v[6:7], v[6:7]
	s_waitcnt vmcnt(0) lgkmcnt(0)
	v_mul_f64 v[6:7], s[20:21], v[6:7]
.LBB183_14:
	s_or_b32 exec_lo, exec_lo, s6
	v_add_nc_u32_e32 v11, 4, v84
	s_delay_alu instid0(VALU_DEP_1) | instskip(SKIP_1) | instid1(VALU_DEP_2)
	v_min_i32_e32 v12, s14, v11
	v_cmp_le_i32_e32 vcc_lo, s38, v11
	v_mad_i64_i32 v[9:10], null, s13, v12, 0
	s_or_b32 s7, s2, vcc_lo
	s_delay_alu instid0(VALU_DEP_1) | instskip(NEXT) | instid1(VALU_DEP_1)
	v_lshlrev_b64 v[9:10], 3, v[9:10]
	v_add_co_u32 v9, s6, s22, v9
	s_delay_alu instid0(VALU_DEP_1) | instskip(SKIP_1) | instid1(SALU_CYCLE_1)
	v_add_co_ci_u32_e64 v10, s6, s23, v10, s6
	s_or_b32 s6, s15, s7
	s_xor_b32 s6, s6, -1
	s_delay_alu instid0(SALU_CYCLE_1)
	s_and_saveexec_b32 s7, s6
	s_cbranch_execz .LBB183_16
; %bb.15:
	v_lshlrev_b64 v[11:12], 3, v[68:69]
	s_delay_alu instid0(VALU_DEP_1) | instskip(NEXT) | instid1(VALU_DEP_1)
	v_add_co_u32 v11, s6, v9, v11
	v_add_co_ci_u32_e64 v12, s6, v10, v12, s6
	flat_load_b64 v[11:12], v[11:12]
	s_waitcnt vmcnt(0) lgkmcnt(0)
	v_mul_f64 v[70:71], s[20:21], v[11:12]
.LBB183_16:
	s_or_b32 exec_lo, exec_lo, s7
	v_mov_b32_e32 v74, 0
	v_mov_b32_e32 v75, 0
	s_or_b32 s6, s3, vcc_lo
	s_delay_alu instid0(VALU_DEP_2) | instskip(SKIP_1) | instid1(VALU_DEP_2)
	v_mov_b32_e32 v72, v74
	s_or_b32 s6, s15, s6
	v_mov_b32_e32 v73, v75
	s_xor_b32 s7, s6, -1
	s_delay_alu instid0(SALU_CYCLE_1)
	s_and_saveexec_b32 s6, s7
	s_cbranch_execz .LBB183_18
; %bb.17:
	v_lshlrev_b64 v[11:12], 3, v[68:69]
	s_delay_alu instid0(VALU_DEP_1) | instskip(NEXT) | instid1(VALU_DEP_2)
	v_add_co_u32 v9, vcc_lo, v9, v11
	v_add_co_ci_u32_e32 v10, vcc_lo, v10, v12, vcc_lo
	flat_load_b64 v[9:10], v[9:10] offset:512
	s_waitcnt vmcnt(0) lgkmcnt(0)
	v_mul_f64 v[72:73], s[20:21], v[9:10]
.LBB183_18:
	s_or_b32 exec_lo, exec_lo, s6
	v_or_b32_e32 v11, 4, v85
	s_delay_alu instid0(VALU_DEP_1) | instskip(SKIP_1) | instid1(VALU_DEP_2)
	v_min_i32_e32 v9, s14, v11
	v_cmp_le_i32_e32 vcc_lo, s38, v11
	v_ashrrev_i32_e32 v10, 31, v9
	s_or_b32 s7, vcc_lo, s4
	s_delay_alu instid0(VALU_DEP_1) | instskip(NEXT) | instid1(VALU_DEP_1)
	v_lshlrev_b64 v[9:10], 3, v[9:10]
	v_add_co_u32 v9, s6, s18, v9
	s_delay_alu instid0(VALU_DEP_1) | instskip(SKIP_1) | instid1(SALU_CYCLE_1)
	v_add_co_ci_u32_e64 v10, s6, s19, v10, s6
	s_or_b32 s6, s15, s7
	s_xor_b32 s6, s6, -1
	s_delay_alu instid0(SALU_CYCLE_1)
	s_and_saveexec_b32 s7, s6
	s_cbranch_execz .LBB183_20
; %bb.19:
	s_waitcnt lgkmcnt(0)
	v_mad_i64_i32 v[11:12], null, v79, s17, 0
	s_delay_alu instid0(VALU_DEP_1) | instskip(NEXT) | instid1(VALU_DEP_1)
	v_lshlrev_b64 v[11:12], 3, v[11:12]
	v_add_co_u32 v11, s6, v9, v11
	s_delay_alu instid0(VALU_DEP_1)
	v_add_co_ci_u32_e64 v12, s6, v10, v12, s6
	flat_load_b64 v[11:12], v[11:12]
	s_waitcnt vmcnt(0) lgkmcnt(0)
	v_mul_f64 v[74:75], s[20:21], v[11:12]
.LBB183_20:
	s_or_b32 exec_lo, exec_lo, s7
	s_or_b32 s6, vcc_lo, s5
	v_mov_b32_e32 v76, 0
	v_mov_b32_e32 v77, 0
	s_or_b32 s6, s15, s6
	s_delay_alu instid0(SALU_CYCLE_1) | instskip(NEXT) | instid1(SALU_CYCLE_1)
	s_xor_b32 s7, s6, -1
	s_and_saveexec_b32 s6, s7
	s_cbranch_execz .LBB183_22
; %bb.21:
	s_waitcnt lgkmcnt(0)
	v_mad_i64_i32 v[11:12], null, v80, s17, 0
	s_delay_alu instid0(VALU_DEP_1) | instskip(NEXT) | instid1(VALU_DEP_1)
	v_lshlrev_b64 v[11:12], 3, v[11:12]
	v_add_co_u32 v9, vcc_lo, v9, v11
	s_delay_alu instid0(VALU_DEP_2)
	v_add_co_ci_u32_e32 v10, vcc_lo, v10, v12, vcc_lo
	flat_load_b64 v[9:10], v[9:10]
	s_waitcnt vmcnt(0) lgkmcnt(0)
	v_mul_f64 v[76:77], s[20:21], v[9:10]
.LBB183_22:
	s_or_b32 exec_lo, exec_lo, s6
	v_dual_mov_b32 v92, 8 :: v_dual_lshlrev_b32 v9, 3, v84
	v_dual_mov_b32 v91, 0 :: v_dual_lshlrev_b32 v10, 3, v85
	;; [unrolled: 1-line block ×3, first 2 shown]
	s_delay_alu instid0(VALU_DEP_3) | instskip(NEXT) | instid1(VALU_DEP_3)
	v_lshl_add_u32 v87, v78, 5, v9
	v_lshl_or_b32 v81, v8, 5, v10
	s_delay_alu instid0(VALU_DEP_3)
	v_dual_mov_b32 v95, 32 :: v_dual_add_nc_u32 v48, 0x800, v86
	v_dual_mov_b32 v97, 48 :: v_dual_lshlrev_b32 v88, 5, v83
	ds_store_2addr_stride64_b64 v87, v[2:3], v[4:5] offset1:4
	ds_store_2addr_stride64_b64 v81, v[0:1], v[6:7] offset0:16 offset1:20
	s_waitcnt lgkmcnt(0)
	s_waitcnt_vscnt null, 0x0
	s_barrier
	buffer_gl0_inv
	ds_load_2addr_b64 v[0:3], v86 offset1:16
	ds_load_2addr_b64 v[4:7], v86 offset0:32 offset1:48
	ds_load_2addr_b64 v[8:11], v86 offset0:64 offset1:80
	;; [unrolled: 1-line block ×4, first 2 shown]
	ds_load_2addr_b64 v[20:23], v48 offset1:16
	ds_load_2addr_b64 v[24:27], v48 offset0:32 offset1:48
	ds_load_2addr_b64 v[28:31], v48 offset0:64 offset1:80
	;; [unrolled: 1-line block ×10, first 2 shown]
	ds_load_2addr_stride64_b64 v[64:67], v88 offset0:16 offset1:20
	v_dual_mov_b32 v94, 24 :: v_dual_add_nc_u32 v89, 0x2000, v81
	v_dual_mov_b32 v99, 64 :: v_dual_add_nc_u32 v90, 0x2000, v88
	v_dual_mov_b32 v96, 40 :: v_dual_mov_b32 v101, 0x50
	v_dual_mov_b32 v98, 56 :: v_dual_mov_b32 v103, 0x60
	v_mov_b32_e32 v100, 0x48
	v_mov_b32_e32 v102, 0x58
	;; [unrolled: 1-line block ×21, first 2 shown]
	s_mov_b64 s[6:7], 0
	s_mov_b32 s16, -1
.LBB183_23:                             ; =>This Inner Loop Header: Depth=1
	scratch_load_b64 v[123:124], v91, off
	scratch_load_b64 v[125:126], v92, off
	;; [unrolled: 1-line block ×32, first 2 shown]
	s_cmp_eq_u32 s6, 1
	s_waitcnt lgkmcnt(16)
	v_max_f64 v[189:190], v[0:1], v[0:1]
	s_cselect_b32 vcc_lo, -1, 0
	v_max_f64 v[191:192], v[2:3], v[2:3]
	s_waitcnt lgkmcnt(0)
	v_dual_cndmask_b32 v188, v65, v67 :: v_dual_cndmask_b32 v187, v64, v66
	v_max_f64 v[193:194], v[4:5], v[4:5]
	v_max_f64 v[195:196], v[6:7], v[6:7]
	;; [unrolled: 1-line block ×31, first 2 shown]
	s_mov_b64 s[6:7], 1
	s_and_b32 vcc_lo, exec_lo, s16
	s_mov_b32 s16, 0
	v_min_f64 v[189:190], v[189:190], v[187:188]
	v_min_f64 v[191:192], v[191:192], v[187:188]
	;; [unrolled: 1-line block ×32, first 2 shown]
	s_waitcnt vmcnt(31)
	v_add_f64 v[123:124], v[123:124], v[189:190]
	s_waitcnt vmcnt(30)
	v_add_f64 v[125:126], v[191:192], v[125:126]
	s_waitcnt vmcnt(29)
	v_add_f64 v[127:128], v[193:194], v[127:128]
	s_waitcnt vmcnt(28)
	v_add_f64 v[129:130], v[195:196], v[129:130]
	s_waitcnt vmcnt(27)
	v_add_f64 v[131:132], v[197:198], v[131:132]
	s_waitcnt vmcnt(26)
	v_add_f64 v[133:134], v[199:200], v[133:134]
	s_waitcnt vmcnt(25)
	v_add_f64 v[135:136], v[201:202], v[135:136]
	s_waitcnt vmcnt(24)
	v_add_f64 v[137:138], v[203:204], v[137:138]
	s_waitcnt vmcnt(23)
	v_add_f64 v[139:140], v[205:206], v[139:140]
	s_waitcnt vmcnt(22)
	v_add_f64 v[141:142], v[207:208], v[141:142]
	s_waitcnt vmcnt(21)
	v_add_f64 v[143:144], v[209:210], v[143:144]
	s_waitcnt vmcnt(20)
	v_add_f64 v[145:146], v[211:212], v[145:146]
	s_waitcnt vmcnt(19)
	v_add_f64 v[147:148], v[213:214], v[147:148]
	s_waitcnt vmcnt(18)
	v_add_f64 v[149:150], v[215:216], v[149:150]
	s_waitcnt vmcnt(17)
	v_add_f64 v[151:152], v[217:218], v[151:152]
	s_waitcnt vmcnt(16)
	v_add_f64 v[153:154], v[219:220], v[153:154]
	s_waitcnt vmcnt(15)
	v_add_f64 v[155:156], v[221:222], v[155:156]
	s_waitcnt vmcnt(14)
	v_add_f64 v[157:158], v[223:224], v[157:158]
	s_waitcnt vmcnt(13)
	v_add_f64 v[159:160], v[225:226], v[159:160]
	s_waitcnt vmcnt(12)
	v_add_f64 v[161:162], v[227:228], v[161:162]
	s_waitcnt vmcnt(11)
	v_add_f64 v[163:164], v[229:230], v[163:164]
	s_waitcnt vmcnt(10)
	v_add_f64 v[165:166], v[231:232], v[165:166]
	s_waitcnt vmcnt(9)
	v_add_f64 v[167:168], v[233:234], v[167:168]
	s_waitcnt vmcnt(8)
	v_add_f64 v[169:170], v[235:236], v[169:170]
	s_waitcnt vmcnt(7)
	v_add_f64 v[171:172], v[237:238], v[171:172]
	s_waitcnt vmcnt(6)
	v_add_f64 v[173:174], v[239:240], v[173:174]
	s_waitcnt vmcnt(5)
	v_add_f64 v[175:176], v[241:242], v[175:176]
	s_waitcnt vmcnt(4)
	v_add_f64 v[177:178], v[243:244], v[177:178]
	s_waitcnt vmcnt(3)
	v_add_f64 v[179:180], v[245:246], v[179:180]
	s_waitcnt vmcnt(2)
	v_add_f64 v[181:182], v[247:248], v[181:182]
	s_waitcnt vmcnt(1)
	v_add_f64 v[183:184], v[249:250], v[183:184]
	s_waitcnt vmcnt(0)
	v_add_f64 v[185:186], v[187:188], v[185:186]
	scratch_store_b64 v91, v[123:124], off
	scratch_store_b64 v92, v[125:126], off
	;; [unrolled: 1-line block ×32, first 2 shown]
	v_mov_b32_e32 v91, 0x100
	v_mov_b32_e32 v92, 0x108
	v_mov_b32_e32 v93, 0x110
	v_mov_b32_e32 v94, 0x118
	v_mov_b32_e32 v95, 0x120
	v_mov_b32_e32 v96, 0x128
	v_mov_b32_e32 v97, 0x130
	v_mov_b32_e32 v98, 0x138
	v_mov_b32_e32 v99, 0x140
	v_mov_b32_e32 v100, 0x148
	v_mov_b32_e32 v101, 0x150
	v_mov_b32_e32 v102, 0x158
	v_mov_b32_e32 v103, 0x160
	v_mov_b32_e32 v104, 0x168
	v_mov_b32_e32 v105, 0x170
	v_mov_b32_e32 v106, 0x178
	v_mov_b32_e32 v107, 0x180
	v_mov_b32_e32 v108, 0x188
	v_mov_b32_e32 v109, 0x190
	v_mov_b32_e32 v110, 0x198
	v_mov_b32_e32 v111, 0x1a0
	v_mov_b32_e32 v112, 0x1a8
	v_mov_b32_e32 v113, 0x1b0
	v_mov_b32_e32 v114, 0x1b8
	v_mov_b32_e32 v115, 0x1c0
	v_mov_b32_e32 v116, 0x1c8
	v_mov_b32_e32 v117, 0x1d0
	v_mov_b32_e32 v118, 0x1d8
	v_mov_b32_e32 v119, 0x1e0
	v_mov_b32_e32 v120, 0x1e8
	v_mov_b32_e32 v121, 0x1f0
	v_mov_b32_e32 v122, 0x1f8
	s_cbranch_vccnz .LBB183_23
; %bb.24:
	v_dual_mov_b32 v91, 0 :: v_dual_add_nc_u32 v60, 0x800, v86
	ds_load_2addr_b64 v[0:3], v86 offset0:1 offset1:17
	ds_load_2addr_b64 v[4:7], v86 offset0:33 offset1:49
	;; [unrolled: 1-line block ×12, first 2 shown]
	v_dual_mov_b32 v93, 16 :: v_dual_add_nc_u32 v64, 8, v90
	ds_load_2addr_b64 v[48:51], v60 offset0:129 offset1:145
	ds_load_2addr_b64 v[52:55], v60 offset0:161 offset1:177
	ds_load_2addr_b64 v[56:59], v60 offset0:193 offset1:209
	ds_load_2addr_b64 v[60:63], v60 offset0:225 offset1:241
	ds_load_2addr_stride64_b64 v[64:67], v64 offset1:4
	v_dual_mov_b32 v92, 8 :: v_dual_mov_b32 v95, 32
	v_dual_mov_b32 v94, 24 :: v_dual_mov_b32 v97, 48
	;; [unrolled: 1-line block ×4, first 2 shown]
	v_mov_b32_e32 v100, 0x48
	v_mov_b32_e32 v102, 0x58
	;; [unrolled: 1-line block ×22, first 2 shown]
	s_mov_b64 s[6:7], 0
	s_mov_b32 s16, -1
.LBB183_25:                             ; =>This Inner Loop Header: Depth=1
	scratch_load_b64 v[123:124], v91, off
	scratch_load_b64 v[125:126], v92, off
	;; [unrolled: 1-line block ×32, first 2 shown]
	s_cmp_eq_u32 s6, 1
	s_waitcnt lgkmcnt(16)
	v_max_f64 v[189:190], v[0:1], v[0:1]
	s_cselect_b32 vcc_lo, -1, 0
	v_max_f64 v[191:192], v[2:3], v[2:3]
	s_waitcnt lgkmcnt(0)
	v_dual_cndmask_b32 v188, v65, v67 :: v_dual_cndmask_b32 v187, v64, v66
	v_max_f64 v[193:194], v[4:5], v[4:5]
	v_max_f64 v[195:196], v[6:7], v[6:7]
	v_max_f64 v[197:198], v[8:9], v[8:9]
	v_max_f64 v[199:200], v[10:11], v[10:11]
	v_max_f64 v[187:188], v[187:188], v[187:188]
	v_max_f64 v[201:202], v[12:13], v[12:13]
	v_max_f64 v[203:204], v[14:15], v[14:15]
	v_max_f64 v[205:206], v[16:17], v[16:17]
	v_max_f64 v[207:208], v[18:19], v[18:19]
	v_max_f64 v[209:210], v[20:21], v[20:21]
	v_max_f64 v[211:212], v[22:23], v[22:23]
	v_max_f64 v[213:214], v[24:25], v[24:25]
	v_max_f64 v[215:216], v[26:27], v[26:27]
	v_max_f64 v[217:218], v[28:29], v[28:29]
	v_max_f64 v[219:220], v[30:31], v[30:31]
	v_max_f64 v[221:222], v[32:33], v[32:33]
	v_max_f64 v[223:224], v[34:35], v[34:35]
	v_max_f64 v[225:226], v[36:37], v[36:37]
	v_max_f64 v[227:228], v[38:39], v[38:39]
	v_max_f64 v[229:230], v[40:41], v[40:41]
	v_max_f64 v[231:232], v[42:43], v[42:43]
	v_max_f64 v[233:234], v[44:45], v[44:45]
	v_max_f64 v[235:236], v[46:47], v[46:47]
	v_max_f64 v[237:238], v[48:49], v[48:49]
	v_max_f64 v[239:240], v[50:51], v[50:51]
	v_max_f64 v[241:242], v[52:53], v[52:53]
	v_max_f64 v[243:244], v[54:55], v[54:55]
	v_max_f64 v[245:246], v[56:57], v[56:57]
	v_max_f64 v[247:248], v[58:59], v[58:59]
	v_max_f64 v[249:250], v[60:61], v[60:61]
	v_max_f64 v[251:252], v[62:63], v[62:63]
	s_mov_b64 s[6:7], 1
	s_and_b32 vcc_lo, exec_lo, s16
	s_mov_b32 s16, 0
	v_min_f64 v[189:190], v[189:190], v[187:188]
	v_min_f64 v[191:192], v[191:192], v[187:188]
	;; [unrolled: 1-line block ×32, first 2 shown]
	s_waitcnt vmcnt(31)
	v_add_f64 v[123:124], v[123:124], v[189:190]
	s_waitcnt vmcnt(30)
	v_add_f64 v[125:126], v[191:192], v[125:126]
	;; [unrolled: 2-line block ×32, first 2 shown]
	scratch_store_b64 v91, v[123:124], off
	scratch_store_b64 v92, v[125:126], off
	;; [unrolled: 1-line block ×32, first 2 shown]
	v_mov_b32_e32 v91, 0x100
	v_mov_b32_e32 v92, 0x108
	;; [unrolled: 1-line block ×32, first 2 shown]
	s_cbranch_vccnz .LBB183_25
; %bb.26:
	v_dual_mov_b32 v91, 0 :: v_dual_add_nc_u32 v60, 0x800, v86
	ds_load_2addr_b64 v[0:3], v86 offset0:2 offset1:18
	ds_load_2addr_b64 v[4:7], v86 offset0:34 offset1:50
	;; [unrolled: 1-line block ×12, first 2 shown]
	v_dual_mov_b32 v93, 16 :: v_dual_add_nc_u32 v64, 16, v90
	ds_load_2addr_b64 v[48:51], v60 offset0:130 offset1:146
	ds_load_2addr_b64 v[52:55], v60 offset0:162 offset1:178
	ds_load_2addr_b64 v[56:59], v60 offset0:194 offset1:210
	ds_load_2addr_b64 v[60:63], v60 offset0:226 offset1:242
	ds_load_2addr_stride64_b64 v[64:67], v64 offset1:4
	v_dual_mov_b32 v92, 8 :: v_dual_mov_b32 v95, 32
	v_dual_mov_b32 v94, 24 :: v_dual_mov_b32 v97, 48
	;; [unrolled: 1-line block ×4, first 2 shown]
	v_mov_b32_e32 v100, 0x48
	v_mov_b32_e32 v102, 0x58
	;; [unrolled: 1-line block ×22, first 2 shown]
	s_mov_b64 s[6:7], 0
	s_mov_b32 s16, -1
.LBB183_27:                             ; =>This Inner Loop Header: Depth=1
	scratch_load_b64 v[123:124], v91, off
	scratch_load_b64 v[125:126], v92, off
	;; [unrolled: 1-line block ×32, first 2 shown]
	s_cmp_eq_u32 s6, 1
	s_waitcnt lgkmcnt(16)
	v_max_f64 v[189:190], v[0:1], v[0:1]
	s_cselect_b32 vcc_lo, -1, 0
	v_max_f64 v[191:192], v[2:3], v[2:3]
	s_waitcnt lgkmcnt(0)
	v_dual_cndmask_b32 v188, v65, v67 :: v_dual_cndmask_b32 v187, v64, v66
	v_max_f64 v[193:194], v[4:5], v[4:5]
	v_max_f64 v[195:196], v[6:7], v[6:7]
	;; [unrolled: 1-line block ×31, first 2 shown]
	s_mov_b64 s[6:7], 1
	s_and_b32 vcc_lo, exec_lo, s16
	s_mov_b32 s16, 0
	v_min_f64 v[189:190], v[189:190], v[187:188]
	v_min_f64 v[191:192], v[191:192], v[187:188]
	;; [unrolled: 1-line block ×32, first 2 shown]
	s_waitcnt vmcnt(31)
	v_add_f64 v[123:124], v[123:124], v[189:190]
	s_waitcnt vmcnt(30)
	v_add_f64 v[125:126], v[191:192], v[125:126]
	;; [unrolled: 2-line block ×32, first 2 shown]
	scratch_store_b64 v91, v[123:124], off
	scratch_store_b64 v92, v[125:126], off
	;; [unrolled: 1-line block ×32, first 2 shown]
	v_mov_b32_e32 v91, 0x100
	v_mov_b32_e32 v92, 0x108
	;; [unrolled: 1-line block ×32, first 2 shown]
	s_cbranch_vccnz .LBB183_27
; %bb.28:
	v_dual_mov_b32 v91, 0 :: v_dual_add_nc_u32 v60, 0x800, v86
	ds_load_2addr_b64 v[0:3], v86 offset0:3 offset1:19
	ds_load_2addr_b64 v[4:7], v86 offset0:35 offset1:51
	;; [unrolled: 1-line block ×12, first 2 shown]
	v_dual_mov_b32 v93, 16 :: v_dual_add_nc_u32 v64, 24, v90
	ds_load_2addr_b64 v[48:51], v60 offset0:131 offset1:147
	ds_load_2addr_b64 v[52:55], v60 offset0:163 offset1:179
	;; [unrolled: 1-line block ×4, first 2 shown]
	ds_load_2addr_stride64_b64 v[64:67], v64 offset1:4
	v_dual_mov_b32 v92, 8 :: v_dual_mov_b32 v95, 32
	v_dual_mov_b32 v94, 24 :: v_dual_mov_b32 v97, 48
	;; [unrolled: 1-line block ×4, first 2 shown]
	v_mov_b32_e32 v100, 0x48
	v_mov_b32_e32 v102, 0x58
	;; [unrolled: 1-line block ×22, first 2 shown]
	s_mov_b64 s[6:7], 0
	s_mov_b32 s16, -1
.LBB183_29:                             ; =>This Inner Loop Header: Depth=1
	scratch_load_b64 v[123:124], v91, off
	scratch_load_b64 v[125:126], v92, off
	;; [unrolled: 1-line block ×32, first 2 shown]
	s_cmp_eq_u32 s6, 1
	s_waitcnt lgkmcnt(16)
	v_max_f64 v[189:190], v[0:1], v[0:1]
	s_cselect_b32 vcc_lo, -1, 0
	v_max_f64 v[191:192], v[2:3], v[2:3]
	s_waitcnt lgkmcnt(0)
	v_dual_cndmask_b32 v188, v65, v67 :: v_dual_cndmask_b32 v187, v64, v66
	v_max_f64 v[193:194], v[4:5], v[4:5]
	v_max_f64 v[195:196], v[6:7], v[6:7]
	;; [unrolled: 1-line block ×31, first 2 shown]
	s_mov_b64 s[6:7], 1
	s_and_b32 vcc_lo, exec_lo, s16
	s_mov_b32 s16, 0
	v_min_f64 v[189:190], v[189:190], v[187:188]
	v_min_f64 v[191:192], v[191:192], v[187:188]
	;; [unrolled: 1-line block ×32, first 2 shown]
	s_waitcnt vmcnt(31)
	v_add_f64 v[123:124], v[123:124], v[189:190]
	s_waitcnt vmcnt(30)
	v_add_f64 v[125:126], v[191:192], v[125:126]
	;; [unrolled: 2-line block ×32, first 2 shown]
	scratch_store_b64 v91, v[123:124], off
	scratch_store_b64 v92, v[125:126], off
	scratch_store_b64 v93, v[127:128], off
	scratch_store_b64 v94, v[129:130], off
	scratch_store_b64 v95, v[131:132], off
	scratch_store_b64 v96, v[133:134], off
	scratch_store_b64 v97, v[135:136], off
	scratch_store_b64 v98, v[137:138], off
	scratch_store_b64 v99, v[139:140], off
	scratch_store_b64 v100, v[141:142], off
	scratch_store_b64 v101, v[143:144], off
	scratch_store_b64 v102, v[145:146], off
	scratch_store_b64 v103, v[147:148], off
	scratch_store_b64 v104, v[149:150], off
	scratch_store_b64 v105, v[151:152], off
	scratch_store_b64 v106, v[153:154], off
	scratch_store_b64 v107, v[155:156], off
	scratch_store_b64 v108, v[157:158], off
	scratch_store_b64 v109, v[159:160], off
	scratch_store_b64 v110, v[161:162], off
	scratch_store_b64 v111, v[163:164], off
	scratch_store_b64 v112, v[165:166], off
	scratch_store_b64 v113, v[167:168], off
	scratch_store_b64 v114, v[169:170], off
	scratch_store_b64 v115, v[171:172], off
	scratch_store_b64 v116, v[173:174], off
	scratch_store_b64 v117, v[175:176], off
	scratch_store_b64 v118, v[177:178], off
	scratch_store_b64 v119, v[179:180], off
	scratch_store_b64 v120, v[181:182], off
	scratch_store_b64 v121, v[183:184], off
	scratch_store_b64 v122, v[185:186], off
	v_mov_b32_e32 v91, 0x100
	v_mov_b32_e32 v92, 0x108
	;; [unrolled: 1-line block ×32, first 2 shown]
	s_cbranch_vccnz .LBB183_29
; %bb.30:
	v_lshlrev_b32_e32 v0, 5, v78
	s_mov_b32 s16, 8
	s_cmp_gt_i32 s38, 8
	ds_store_2addr_stride64_b64 v81, v[74:75], v[76:77] offset0:24 offset1:28
	v_lshl_add_u32 v0, v84, 3, v0
	ds_store_2addr_stride64_b64 v0, v[70:71], v[72:73] offset0:8 offset1:12
	s_waitcnt lgkmcnt(0)
	s_waitcnt_vscnt null, 0x0
	s_barrier
	buffer_gl0_inv
	s_cbranch_scc0 .LBB183_65
; %bb.31:
	v_mad_i64_i32 v[1:2], null, v79, s17, 0
	v_mad_i64_i32 v[3:4], null, v80, s17, 0
	v_lshl_add_u32 v93, v82, 5, 0x1000
	v_lshlrev_b64 v[68:69], 3, v[68:69]
	v_or_b32_e32 v91, 0x1000, v0
	v_add_nc_u32_e32 v92, 0x3000, v81
	v_lshlrev_b64 v[70:71], 3, v[1:2]
	v_lshl_add_u32 v94, v83, 5, 0x3000
	v_lshlrev_b64 v[72:73], 3, v[3:4]
	v_add_nc_u32_e32 v95, 0x800, v93
	s_add_i32 s17, s38, -8
	s_mov_b32 s24, 0
.LBB183_32:                             ; =>This Loop Header: Depth=1
                                        ;     Child Loop BB183_41 Depth 2
                                        ;     Child Loop BB183_43 Depth 2
	;; [unrolled: 1-line block ×8, first 2 shown]
	v_add_nc_u32_e32 v2, s16, v84
	v_mov_b32_e32 v74, 0
	v_mov_b32_e32 v75, 0
	s_delay_alu instid0(VALU_DEP_3) | instskip(SKIP_1) | instid1(VALU_DEP_3)
	v_min_i32_e32 v3, s14, v2
	v_cmp_le_i32_e32 vcc_lo, s38, v2
	v_dual_mov_b32 v77, v75 :: v_dual_mov_b32 v76, v74
	s_delay_alu instid0(VALU_DEP_3) | instskip(SKIP_1) | instid1(VALU_DEP_1)
	v_mad_i64_i32 v[0:1], null, v3, s13, 0
	s_or_b32 s7, s2, vcc_lo
	v_lshlrev_b64 v[0:1], 3, v[0:1]
	s_delay_alu instid0(VALU_DEP_1) | instskip(NEXT) | instid1(VALU_DEP_1)
	v_add_co_u32 v0, s6, s22, v0
	v_add_co_ci_u32_e64 v1, s6, s23, v1, s6
	s_or_b32 s6, s15, s7
	s_delay_alu instid0(SALU_CYCLE_1) | instskip(NEXT) | instid1(SALU_CYCLE_1)
	s_xor_b32 s6, s6, -1
	s_and_saveexec_b32 s7, s6
	s_cbranch_execz .LBB183_34
; %bb.33:                               ;   in Loop: Header=BB183_32 Depth=1
	v_add_co_u32 v2, s6, v0, v68
	s_delay_alu instid0(VALU_DEP_1)
	v_add_co_ci_u32_e64 v3, s6, v1, v69, s6
	flat_load_b64 v[2:3], v[2:3]
	s_waitcnt vmcnt(0) lgkmcnt(0)
	v_mul_f64 v[76:77], s[20:21], v[2:3]
.LBB183_34:                             ;   in Loop: Header=BB183_32 Depth=1
	s_or_b32 exec_lo, exec_lo, s7
	s_or_b32 s6, s3, vcc_lo
	s_delay_alu instid0(SALU_CYCLE_1) | instskip(NEXT) | instid1(SALU_CYCLE_1)
	s_or_b32 s6, s15, s6
	s_xor_b32 s7, s6, -1
	s_delay_alu instid0(SALU_CYCLE_1)
	s_and_saveexec_b32 s6, s7
	s_cbranch_execz .LBB183_36
; %bb.35:                               ;   in Loop: Header=BB183_32 Depth=1
	v_add_co_u32 v0, vcc_lo, v0, v68
	v_add_co_ci_u32_e32 v1, vcc_lo, v1, v69, vcc_lo
	flat_load_b64 v[0:1], v[0:1] offset:512
	s_waitcnt vmcnt(0) lgkmcnt(0)
	v_mul_f64 v[74:75], s[20:21], v[0:1]
.LBB183_36:                             ;   in Loop: Header=BB183_32 Depth=1
	s_or_b32 exec_lo, exec_lo, s6
	v_or_b32_e32 v96, s16, v85
	v_mov_b32_e32 v78, 0
	v_mov_b32_e32 v79, 0
	s_delay_alu instid0(VALU_DEP_3) | instskip(SKIP_1) | instid1(VALU_DEP_3)
	v_min_i32_e32 v0, s14, v96
	v_cmp_le_i32_e32 vcc_lo, s38, v96
	v_dual_mov_b32 v81, v79 :: v_dual_mov_b32 v80, v78
	s_delay_alu instid0(VALU_DEP_3) | instskip(SKIP_1) | instid1(VALU_DEP_1)
	v_ashrrev_i32_e32 v1, 31, v0
	s_or_b32 s7, s4, vcc_lo
	v_lshlrev_b64 v[0:1], 3, v[0:1]
	s_delay_alu instid0(VALU_DEP_1) | instskip(NEXT) | instid1(VALU_DEP_1)
	v_add_co_u32 v0, s6, s18, v0
	v_add_co_ci_u32_e64 v1, s6, s19, v1, s6
	s_or_b32 s6, s15, s7
	s_delay_alu instid0(SALU_CYCLE_1) | instskip(NEXT) | instid1(SALU_CYCLE_1)
	s_xor_b32 s6, s6, -1
	s_and_saveexec_b32 s7, s6
	s_cbranch_execz .LBB183_38
; %bb.37:                               ;   in Loop: Header=BB183_32 Depth=1
	v_add_co_u32 v2, s6, v0, v70
	s_delay_alu instid0(VALU_DEP_1)
	v_add_co_ci_u32_e64 v3, s6, v1, v71, s6
	flat_load_b64 v[2:3], v[2:3]
	s_waitcnt vmcnt(0) lgkmcnt(0)
	v_mul_f64 v[80:81], s[20:21], v[2:3]
.LBB183_38:                             ;   in Loop: Header=BB183_32 Depth=1
	s_or_b32 exec_lo, exec_lo, s7
	s_or_b32 s6, s5, vcc_lo
	s_delay_alu instid0(SALU_CYCLE_1) | instskip(NEXT) | instid1(SALU_CYCLE_1)
	s_or_b32 s6, s15, s6
	s_xor_b32 s7, s6, -1
	s_delay_alu instid0(SALU_CYCLE_1)
	s_and_saveexec_b32 s6, s7
	s_cbranch_execz .LBB183_40
; %bb.39:                               ;   in Loop: Header=BB183_32 Depth=1
	v_add_co_u32 v0, vcc_lo, v0, v72
	v_add_co_ci_u32_e32 v1, vcc_lo, v1, v73, vcc_lo
	flat_load_b64 v[0:1], v[0:1]
	s_waitcnt vmcnt(0) lgkmcnt(0)
	v_mul_f64 v[78:79], s[20:21], v[0:1]
.LBB183_40:                             ;   in Loop: Header=BB183_32 Depth=1
	s_or_b32 exec_lo, exec_lo, s6
	ds_load_2addr_b64 v[0:3], v93 offset1:16
	ds_load_2addr_b64 v[4:7], v93 offset0:32 offset1:48
	ds_load_2addr_b64 v[8:11], v93 offset0:64 offset1:80
	;; [unrolled: 1-line block ×7, first 2 shown]
	ds_load_2addr_b64 v[32:35], v95 offset1:16
	ds_load_2addr_b64 v[36:39], v95 offset0:32 offset1:48
	ds_load_2addr_b64 v[40:43], v95 offset0:64 offset1:80
	ds_load_2addr_b64 v[44:47], v95 offset0:96 offset1:112
	ds_load_2addr_b64 v[48:51], v95 offset0:128 offset1:144
	ds_load_2addr_b64 v[52:55], v95 offset0:160 offset1:176
	ds_load_2addr_b64 v[56:59], v95 offset0:192 offset1:208
	ds_load_2addr_b64 v[60:63], v95 offset0:224 offset1:240
	ds_load_2addr_stride64_b64 v[64:67], v94 offset1:4
	v_dual_mov_b32 v128, 0 :: v_dual_mov_b32 v127, 8
	v_dual_mov_b32 v126, 16 :: v_dual_mov_b32 v125, 24
	;; [unrolled: 1-line block ×5, first 2 shown]
	v_mov_b32_e32 v118, 0x50
	v_mov_b32_e32 v117, 0x58
	;; [unrolled: 1-line block ×22, first 2 shown]
	s_mov_b64 s[6:7], 0
	s_mov_b32 s25, -1
.LBB183_41:                             ;   Parent Loop BB183_32 Depth=1
                                        ; =>  This Inner Loop Header: Depth=2
	scratch_load_b64 v[133:134], v128, off
	s_cmp_eq_u32 s6, 1
	s_waitcnt lgkmcnt(16)
	v_max_f64 v[131:132], v[0:1], v[0:1]
	s_cselect_b32 vcc_lo, -1, 0
	s_mov_b64 s[6:7], 1
	s_waitcnt lgkmcnt(0)
	v_dual_cndmask_b32 v130, v65, v67 :: v_dual_cndmask_b32 v129, v64, v66
	s_and_b32 vcc_lo, exec_lo, s25
	s_mov_b32 s25, 0
	s_delay_alu instid0(VALU_DEP_1) | instskip(NEXT) | instid1(VALU_DEP_1)
	v_max_f64 v[129:130], v[129:130], v[129:130]
	v_min_f64 v[131:132], v[131:132], v[129:130]
	s_waitcnt vmcnt(0)
	s_delay_alu instid0(VALU_DEP_1) | instskip(SKIP_3) | instid1(VALU_DEP_1)
	v_add_f64 v[131:132], v[133:134], v[131:132]
	scratch_load_b64 v[133:134], v127, off
	scratch_store_b64 v128, v[131:132], off
	v_max_f64 v[131:132], v[2:3], v[2:3]
	v_min_f64 v[131:132], v[131:132], v[129:130]
	s_waitcnt vmcnt(0)
	s_delay_alu instid0(VALU_DEP_1) | instskip(SKIP_3) | instid1(VALU_DEP_1)
	v_add_f64 v[131:132], v[131:132], v[133:134]
	scratch_store_b64 v127, v[131:132], off
	scratch_load_b64 v[131:132], v126, off
	v_max_f64 v[127:128], v[4:5], v[4:5]
	v_min_f64 v[127:128], v[127:128], v[129:130]
	s_waitcnt vmcnt(0)
	s_delay_alu instid0(VALU_DEP_1) | instskip(SKIP_3) | instid1(VALU_DEP_1)
	v_add_f64 v[127:128], v[127:128], v[131:132]
	scratch_load_b64 v[131:132], v125, off
	scratch_store_b64 v126, v[127:128], off
	v_max_f64 v[126:127], v[6:7], v[6:7]
	v_min_f64 v[126:127], v[126:127], v[129:130]
	s_waitcnt vmcnt(0)
	s_delay_alu instid0(VALU_DEP_1) | instskip(SKIP_3) | instid1(VALU_DEP_1)
	v_add_f64 v[126:127], v[126:127], v[131:132]
	scratch_store_b64 v125, v[126:127], off
	scratch_load_b64 v[127:128], v124, off
	v_max_f64 v[125:126], v[8:9], v[8:9]
	v_min_f64 v[125:126], v[125:126], v[129:130]
	s_waitcnt vmcnt(0)
	s_delay_alu instid0(VALU_DEP_1) | instskip(SKIP_4) | instid1(VALU_DEP_1)
	v_add_f64 v[125:126], v[125:126], v[127:128]
	v_mov_b32_e32 v128, 0x100
	scratch_store_b64 v124, v[125:126], off
	scratch_load_b64 v[126:127], v123, off
	v_max_f64 v[124:125], v[10:11], v[10:11]
	v_min_f64 v[124:125], v[124:125], v[129:130]
	s_waitcnt vmcnt(0)
	s_delay_alu instid0(VALU_DEP_1) | instskip(SKIP_4) | instid1(VALU_DEP_1)
	v_add_f64 v[124:125], v[124:125], v[126:127]
	v_mov_b32_e32 v127, 0x108
	;; [unrolled: 8-line block ×27, first 2 shown]
	scratch_store_b64 v98, v[99:100], off
	scratch_load_b64 v[100:101], v97, off
	v_max_f64 v[98:99], v[62:63], v[62:63]
	v_min_f64 v[98:99], v[98:99], v[129:130]
	s_waitcnt vmcnt(0)
	s_delay_alu instid0(VALU_DEP_1)
	v_add_f64 v[98:99], v[98:99], v[100:101]
	v_mov_b32_e32 v101, 0x1d8
	v_mov_b32_e32 v100, 0x1e0
	scratch_store_b64 v97, v[98:99], off
	v_mov_b32_e32 v99, 0x1e8
	v_mov_b32_e32 v98, 0x1f0
	;; [unrolled: 1-line block ×3, first 2 shown]
	s_cbranch_vccnz .LBB183_41
; %bb.42:                               ;   in Loop: Header=BB183_32 Depth=1
	ds_load_2addr_b64 v[0:3], v93 offset0:1 offset1:17
	ds_load_2addr_b64 v[4:7], v93 offset0:33 offset1:49
	;; [unrolled: 1-line block ×12, first 2 shown]
	v_dual_mov_b32 v127, 8 :: v_dual_add_nc_u32 v64, 8, v94
	ds_load_2addr_b64 v[48:51], v95 offset0:129 offset1:145
	ds_load_2addr_b64 v[52:55], v95 offset0:161 offset1:177
	;; [unrolled: 1-line block ×4, first 2 shown]
	ds_load_2addr_stride64_b64 v[64:67], v64 offset1:4
	v_dual_mov_b32 v128, 0 :: v_dual_mov_b32 v125, 24
	v_dual_mov_b32 v126, 16 :: v_dual_mov_b32 v123, 40
	;; [unrolled: 1-line block ×5, first 2 shown]
	v_mov_b32_e32 v118, 0x50
	v_mov_b32_e32 v116, 0x60
	;; [unrolled: 1-line block ×21, first 2 shown]
	s_mov_b64 s[6:7], 0
	s_mov_b32 s25, -1
.LBB183_43:                             ;   Parent Loop BB183_32 Depth=1
                                        ; =>  This Inner Loop Header: Depth=2
	scratch_load_b64 v[133:134], v128, off
	s_cmp_eq_u32 s6, 1
	s_waitcnt lgkmcnt(16)
	v_max_f64 v[131:132], v[0:1], v[0:1]
	s_cselect_b32 vcc_lo, -1, 0
	s_mov_b64 s[6:7], 1
	s_waitcnt lgkmcnt(0)
	v_dual_cndmask_b32 v130, v65, v67 :: v_dual_cndmask_b32 v129, v64, v66
	s_and_b32 vcc_lo, exec_lo, s25
	s_mov_b32 s25, 0
	s_delay_alu instid0(VALU_DEP_1) | instskip(NEXT) | instid1(VALU_DEP_1)
	v_max_f64 v[129:130], v[129:130], v[129:130]
	v_min_f64 v[131:132], v[131:132], v[129:130]
	s_waitcnt vmcnt(0)
	s_delay_alu instid0(VALU_DEP_1) | instskip(SKIP_3) | instid1(VALU_DEP_1)
	v_add_f64 v[131:132], v[133:134], v[131:132]
	scratch_load_b64 v[133:134], v127, off
	scratch_store_b64 v128, v[131:132], off
	v_max_f64 v[131:132], v[2:3], v[2:3]
	v_min_f64 v[131:132], v[131:132], v[129:130]
	s_waitcnt vmcnt(0)
	s_delay_alu instid0(VALU_DEP_1) | instskip(SKIP_3) | instid1(VALU_DEP_1)
	v_add_f64 v[131:132], v[131:132], v[133:134]
	scratch_store_b64 v127, v[131:132], off
	scratch_load_b64 v[131:132], v126, off
	v_max_f64 v[127:128], v[4:5], v[4:5]
	v_min_f64 v[127:128], v[127:128], v[129:130]
	s_waitcnt vmcnt(0)
	s_delay_alu instid0(VALU_DEP_1) | instskip(SKIP_3) | instid1(VALU_DEP_1)
	v_add_f64 v[127:128], v[127:128], v[131:132]
	scratch_load_b64 v[131:132], v125, off
	scratch_store_b64 v126, v[127:128], off
	v_max_f64 v[126:127], v[6:7], v[6:7]
	v_min_f64 v[126:127], v[126:127], v[129:130]
	s_waitcnt vmcnt(0)
	s_delay_alu instid0(VALU_DEP_1) | instskip(SKIP_3) | instid1(VALU_DEP_1)
	v_add_f64 v[126:127], v[126:127], v[131:132]
	scratch_store_b64 v125, v[126:127], off
	scratch_load_b64 v[127:128], v124, off
	v_max_f64 v[125:126], v[8:9], v[8:9]
	v_min_f64 v[125:126], v[125:126], v[129:130]
	s_waitcnt vmcnt(0)
	s_delay_alu instid0(VALU_DEP_1) | instskip(SKIP_4) | instid1(VALU_DEP_1)
	v_add_f64 v[125:126], v[125:126], v[127:128]
	v_mov_b32_e32 v128, 0x100
	scratch_store_b64 v124, v[125:126], off
	scratch_load_b64 v[126:127], v123, off
	v_max_f64 v[124:125], v[10:11], v[10:11]
	v_min_f64 v[124:125], v[124:125], v[129:130]
	s_waitcnt vmcnt(0)
	s_delay_alu instid0(VALU_DEP_1) | instskip(SKIP_4) | instid1(VALU_DEP_1)
	v_add_f64 v[124:125], v[124:125], v[126:127]
	v_mov_b32_e32 v127, 0x108
	;; [unrolled: 8-line block ×27, first 2 shown]
	scratch_store_b64 v98, v[99:100], off
	scratch_load_b64 v[100:101], v97, off
	v_max_f64 v[98:99], v[62:63], v[62:63]
	v_min_f64 v[98:99], v[98:99], v[129:130]
	s_waitcnt vmcnt(0)
	s_delay_alu instid0(VALU_DEP_1)
	v_add_f64 v[98:99], v[98:99], v[100:101]
	v_mov_b32_e32 v101, 0x1d8
	v_mov_b32_e32 v100, 0x1e0
	scratch_store_b64 v97, v[98:99], off
	v_mov_b32_e32 v99, 0x1e8
	v_mov_b32_e32 v98, 0x1f0
	;; [unrolled: 1-line block ×3, first 2 shown]
	s_cbranch_vccnz .LBB183_43
; %bb.44:                               ;   in Loop: Header=BB183_32 Depth=1
	ds_load_2addr_b64 v[0:3], v93 offset0:2 offset1:18
	ds_load_2addr_b64 v[4:7], v93 offset0:34 offset1:50
	;; [unrolled: 1-line block ×12, first 2 shown]
	v_dual_mov_b32 v127, 8 :: v_dual_add_nc_u32 v64, 16, v94
	ds_load_2addr_b64 v[48:51], v95 offset0:130 offset1:146
	ds_load_2addr_b64 v[52:55], v95 offset0:162 offset1:178
	;; [unrolled: 1-line block ×4, first 2 shown]
	ds_load_2addr_stride64_b64 v[64:67], v64 offset1:4
	v_dual_mov_b32 v128, 0 :: v_dual_mov_b32 v125, 24
	v_dual_mov_b32 v126, 16 :: v_dual_mov_b32 v123, 40
	;; [unrolled: 1-line block ×5, first 2 shown]
	v_mov_b32_e32 v118, 0x50
	v_mov_b32_e32 v116, 0x60
	;; [unrolled: 1-line block ×21, first 2 shown]
	s_mov_b64 s[6:7], 0
	s_mov_b32 s25, -1
.LBB183_45:                             ;   Parent Loop BB183_32 Depth=1
                                        ; =>  This Inner Loop Header: Depth=2
	scratch_load_b64 v[133:134], v128, off
	s_cmp_eq_u32 s6, 1
	s_waitcnt lgkmcnt(16)
	v_max_f64 v[131:132], v[0:1], v[0:1]
	s_cselect_b32 vcc_lo, -1, 0
	s_mov_b64 s[6:7], 1
	s_waitcnt lgkmcnt(0)
	v_dual_cndmask_b32 v130, v65, v67 :: v_dual_cndmask_b32 v129, v64, v66
	s_and_b32 vcc_lo, exec_lo, s25
	s_mov_b32 s25, 0
	s_delay_alu instid0(VALU_DEP_1) | instskip(NEXT) | instid1(VALU_DEP_1)
	v_max_f64 v[129:130], v[129:130], v[129:130]
	v_min_f64 v[131:132], v[131:132], v[129:130]
	s_waitcnt vmcnt(0)
	s_delay_alu instid0(VALU_DEP_1) | instskip(SKIP_3) | instid1(VALU_DEP_1)
	v_add_f64 v[131:132], v[133:134], v[131:132]
	scratch_load_b64 v[133:134], v127, off
	scratch_store_b64 v128, v[131:132], off
	v_max_f64 v[131:132], v[2:3], v[2:3]
	v_min_f64 v[131:132], v[131:132], v[129:130]
	s_waitcnt vmcnt(0)
	s_delay_alu instid0(VALU_DEP_1) | instskip(SKIP_3) | instid1(VALU_DEP_1)
	v_add_f64 v[131:132], v[131:132], v[133:134]
	scratch_store_b64 v127, v[131:132], off
	scratch_load_b64 v[131:132], v126, off
	v_max_f64 v[127:128], v[4:5], v[4:5]
	v_min_f64 v[127:128], v[127:128], v[129:130]
	s_waitcnt vmcnt(0)
	s_delay_alu instid0(VALU_DEP_1) | instskip(SKIP_3) | instid1(VALU_DEP_1)
	v_add_f64 v[127:128], v[127:128], v[131:132]
	scratch_load_b64 v[131:132], v125, off
	scratch_store_b64 v126, v[127:128], off
	v_max_f64 v[126:127], v[6:7], v[6:7]
	v_min_f64 v[126:127], v[126:127], v[129:130]
	s_waitcnt vmcnt(0)
	s_delay_alu instid0(VALU_DEP_1) | instskip(SKIP_3) | instid1(VALU_DEP_1)
	v_add_f64 v[126:127], v[126:127], v[131:132]
	scratch_store_b64 v125, v[126:127], off
	scratch_load_b64 v[127:128], v124, off
	v_max_f64 v[125:126], v[8:9], v[8:9]
	v_min_f64 v[125:126], v[125:126], v[129:130]
	s_waitcnt vmcnt(0)
	s_delay_alu instid0(VALU_DEP_1) | instskip(SKIP_4) | instid1(VALU_DEP_1)
	v_add_f64 v[125:126], v[125:126], v[127:128]
	v_mov_b32_e32 v128, 0x100
	scratch_store_b64 v124, v[125:126], off
	scratch_load_b64 v[126:127], v123, off
	v_max_f64 v[124:125], v[10:11], v[10:11]
	v_min_f64 v[124:125], v[124:125], v[129:130]
	s_waitcnt vmcnt(0)
	s_delay_alu instid0(VALU_DEP_1) | instskip(SKIP_4) | instid1(VALU_DEP_1)
	v_add_f64 v[124:125], v[124:125], v[126:127]
	v_mov_b32_e32 v127, 0x108
	;; [unrolled: 8-line block ×27, first 2 shown]
	scratch_store_b64 v98, v[99:100], off
	scratch_load_b64 v[100:101], v97, off
	v_max_f64 v[98:99], v[62:63], v[62:63]
	v_min_f64 v[98:99], v[98:99], v[129:130]
	s_waitcnt vmcnt(0)
	s_delay_alu instid0(VALU_DEP_1)
	v_add_f64 v[98:99], v[98:99], v[100:101]
	v_mov_b32_e32 v101, 0x1d8
	v_mov_b32_e32 v100, 0x1e0
	scratch_store_b64 v97, v[98:99], off
	v_mov_b32_e32 v99, 0x1e8
	v_mov_b32_e32 v98, 0x1f0
	;; [unrolled: 1-line block ×3, first 2 shown]
	s_cbranch_vccnz .LBB183_45
; %bb.46:                               ;   in Loop: Header=BB183_32 Depth=1
	ds_load_2addr_b64 v[0:3], v93 offset0:3 offset1:19
	ds_load_2addr_b64 v[4:7], v93 offset0:35 offset1:51
	;; [unrolled: 1-line block ×12, first 2 shown]
	v_dual_mov_b32 v127, 8 :: v_dual_add_nc_u32 v64, 24, v94
	ds_load_2addr_b64 v[48:51], v95 offset0:131 offset1:147
	ds_load_2addr_b64 v[52:55], v95 offset0:163 offset1:179
	;; [unrolled: 1-line block ×4, first 2 shown]
	ds_load_2addr_stride64_b64 v[64:67], v64 offset1:4
	v_dual_mov_b32 v128, 0 :: v_dual_mov_b32 v125, 24
	v_dual_mov_b32 v126, 16 :: v_dual_mov_b32 v123, 40
	v_dual_mov_b32 v124, 32 :: v_dual_mov_b32 v121, 56
	v_dual_mov_b32 v122, 48 :: v_dual_mov_b32 v119, 0x48
	v_dual_mov_b32 v120, 64 :: v_dual_mov_b32 v117, 0x58
	v_mov_b32_e32 v118, 0x50
	v_mov_b32_e32 v116, 0x60
	;; [unrolled: 1-line block ×21, first 2 shown]
	s_mov_b64 s[6:7], 0
	s_mov_b32 s25, -1
.LBB183_47:                             ;   Parent Loop BB183_32 Depth=1
                                        ; =>  This Inner Loop Header: Depth=2
	scratch_load_b64 v[133:134], v128, off
	s_cmp_eq_u32 s6, 1
	s_waitcnt lgkmcnt(16)
	v_max_f64 v[131:132], v[0:1], v[0:1]
	s_cselect_b32 vcc_lo, -1, 0
	s_mov_b64 s[6:7], 1
	s_waitcnt lgkmcnt(0)
	v_dual_cndmask_b32 v130, v65, v67 :: v_dual_cndmask_b32 v129, v64, v66
	s_and_b32 vcc_lo, exec_lo, s25
	s_mov_b32 s25, 0
	s_delay_alu instid0(VALU_DEP_1) | instskip(NEXT) | instid1(VALU_DEP_1)
	v_max_f64 v[129:130], v[129:130], v[129:130]
	v_min_f64 v[131:132], v[131:132], v[129:130]
	s_waitcnt vmcnt(0)
	s_delay_alu instid0(VALU_DEP_1) | instskip(SKIP_3) | instid1(VALU_DEP_1)
	v_add_f64 v[131:132], v[133:134], v[131:132]
	scratch_load_b64 v[133:134], v127, off
	scratch_store_b64 v128, v[131:132], off
	v_max_f64 v[131:132], v[2:3], v[2:3]
	v_min_f64 v[131:132], v[131:132], v[129:130]
	s_waitcnt vmcnt(0)
	s_delay_alu instid0(VALU_DEP_1) | instskip(SKIP_3) | instid1(VALU_DEP_1)
	v_add_f64 v[131:132], v[131:132], v[133:134]
	scratch_store_b64 v127, v[131:132], off
	scratch_load_b64 v[131:132], v126, off
	v_max_f64 v[127:128], v[4:5], v[4:5]
	v_min_f64 v[127:128], v[127:128], v[129:130]
	s_waitcnt vmcnt(0)
	s_delay_alu instid0(VALU_DEP_1) | instskip(SKIP_3) | instid1(VALU_DEP_1)
	v_add_f64 v[127:128], v[127:128], v[131:132]
	scratch_load_b64 v[131:132], v125, off
	scratch_store_b64 v126, v[127:128], off
	v_max_f64 v[126:127], v[6:7], v[6:7]
	v_min_f64 v[126:127], v[126:127], v[129:130]
	s_waitcnt vmcnt(0)
	s_delay_alu instid0(VALU_DEP_1) | instskip(SKIP_3) | instid1(VALU_DEP_1)
	v_add_f64 v[126:127], v[126:127], v[131:132]
	scratch_store_b64 v125, v[126:127], off
	scratch_load_b64 v[127:128], v124, off
	v_max_f64 v[125:126], v[8:9], v[8:9]
	v_min_f64 v[125:126], v[125:126], v[129:130]
	s_waitcnt vmcnt(0)
	s_delay_alu instid0(VALU_DEP_1) | instskip(SKIP_4) | instid1(VALU_DEP_1)
	v_add_f64 v[125:126], v[125:126], v[127:128]
	v_mov_b32_e32 v128, 0x100
	scratch_store_b64 v124, v[125:126], off
	scratch_load_b64 v[126:127], v123, off
	v_max_f64 v[124:125], v[10:11], v[10:11]
	v_min_f64 v[124:125], v[124:125], v[129:130]
	s_waitcnt vmcnt(0)
	s_delay_alu instid0(VALU_DEP_1) | instskip(SKIP_4) | instid1(VALU_DEP_1)
	v_add_f64 v[124:125], v[124:125], v[126:127]
	v_mov_b32_e32 v127, 0x108
	;; [unrolled: 8-line block ×27, first 2 shown]
	scratch_store_b64 v98, v[99:100], off
	scratch_load_b64 v[100:101], v97, off
	v_max_f64 v[98:99], v[62:63], v[62:63]
	v_min_f64 v[98:99], v[98:99], v[129:130]
	s_waitcnt vmcnt(0)
	s_delay_alu instid0(VALU_DEP_1)
	v_add_f64 v[98:99], v[98:99], v[100:101]
	v_mov_b32_e32 v101, 0x1d8
	v_mov_b32_e32 v100, 0x1e0
	scratch_store_b64 v97, v[98:99], off
	v_mov_b32_e32 v99, 0x1e8
	v_mov_b32_e32 v98, 0x1f0
	;; [unrolled: 1-line block ×3, first 2 shown]
	s_cbranch_vccnz .LBB183_47
; %bb.48:                               ;   in Loop: Header=BB183_32 Depth=1
	v_add3_u32 v2, v84, s16, 4
	ds_store_2addr_stride64_b64 v87, v[76:77], v[74:75] offset1:4
	v_mov_b32_e32 v74, 0
	v_mov_b32_e32 v75, 0
	ds_store_2addr_stride64_b64 v89, v[80:81], v[78:79] offset1:4
	v_min_i32_e32 v3, s14, v2
	v_cmp_le_i32_e32 vcc_lo, s38, v2
	s_waitcnt lgkmcnt(0)
	s_waitcnt_vscnt null, 0x0
	v_dual_mov_b32 v77, v75 :: v_dual_mov_b32 v76, v74
	v_mad_i64_i32 v[0:1], null, v3, s13, 0
	s_or_b32 s7, s2, vcc_lo
	s_barrier
	buffer_gl0_inv
	v_lshlrev_b64 v[0:1], 3, v[0:1]
	s_delay_alu instid0(VALU_DEP_1) | instskip(NEXT) | instid1(VALU_DEP_1)
	v_add_co_u32 v0, s6, s22, v0
	v_add_co_ci_u32_e64 v1, s6, s23, v1, s6
	s_or_b32 s6, s15, s7
	s_delay_alu instid0(SALU_CYCLE_1) | instskip(NEXT) | instid1(SALU_CYCLE_1)
	s_xor_b32 s6, s6, -1
	s_and_saveexec_b32 s7, s6
	s_delay_alu instid0(SALU_CYCLE_1)
	s_xor_b32 s7, exec_lo, s7
	s_cbranch_execz .LBB183_50
; %bb.49:                               ;   in Loop: Header=BB183_32 Depth=1
	v_add_co_u32 v2, s6, v0, v68
	s_delay_alu instid0(VALU_DEP_1)
	v_add_co_ci_u32_e64 v3, s6, v1, v69, s6
	flat_load_b64 v[2:3], v[2:3]
	s_waitcnt vmcnt(0) lgkmcnt(0)
	v_mul_f64 v[76:77], s[20:21], v[2:3]
.LBB183_50:                             ;   in Loop: Header=BB183_32 Depth=1
	s_or_b32 exec_lo, exec_lo, s7
	s_or_b32 s6, s3, vcc_lo
	s_delay_alu instid0(SALU_CYCLE_1) | instskip(NEXT) | instid1(SALU_CYCLE_1)
	s_or_b32 s6, s15, s6
	s_xor_b32 s7, s6, -1
	s_delay_alu instid0(SALU_CYCLE_1)
	s_and_saveexec_b32 s6, s7
	s_cbranch_execz .LBB183_52
; %bb.51:                               ;   in Loop: Header=BB183_32 Depth=1
	v_add_co_u32 v0, vcc_lo, v0, v68
	v_add_co_ci_u32_e32 v1, vcc_lo, v1, v69, vcc_lo
	flat_load_b64 v[0:1], v[0:1] offset:512
	s_waitcnt vmcnt(0) lgkmcnt(0)
	v_mul_f64 v[74:75], s[20:21], v[0:1]
.LBB183_52:                             ;   in Loop: Header=BB183_32 Depth=1
	s_or_b32 exec_lo, exec_lo, s6
	v_or_b32_e32 v2, 4, v96
	v_mov_b32_e32 v78, 0
	v_mov_b32_e32 v79, 0
	s_delay_alu instid0(VALU_DEP_3) | instskip(SKIP_1) | instid1(VALU_DEP_3)
	v_min_i32_e32 v0, s14, v2
	v_cmp_le_i32_e32 vcc_lo, s38, v2
	v_dual_mov_b32 v81, v79 :: v_dual_mov_b32 v80, v78
	s_delay_alu instid0(VALU_DEP_3) | instskip(SKIP_1) | instid1(VALU_DEP_1)
	v_ashrrev_i32_e32 v1, 31, v0
	s_or_b32 s7, s4, vcc_lo
	v_lshlrev_b64 v[0:1], 3, v[0:1]
	s_delay_alu instid0(VALU_DEP_1) | instskip(NEXT) | instid1(VALU_DEP_1)
	v_add_co_u32 v0, s6, s18, v0
	v_add_co_ci_u32_e64 v1, s6, s19, v1, s6
	s_or_b32 s6, s15, s7
	s_delay_alu instid0(SALU_CYCLE_1) | instskip(NEXT) | instid1(SALU_CYCLE_1)
	s_xor_b32 s6, s6, -1
	s_and_saveexec_b32 s7, s6
	s_cbranch_execz .LBB183_54
; %bb.53:                               ;   in Loop: Header=BB183_32 Depth=1
	v_add_co_u32 v2, s6, v0, v70
	s_delay_alu instid0(VALU_DEP_1)
	v_add_co_ci_u32_e64 v3, s6, v1, v71, s6
	flat_load_b64 v[2:3], v[2:3]
	s_waitcnt vmcnt(0) lgkmcnt(0)
	v_mul_f64 v[80:81], s[20:21], v[2:3]
.LBB183_54:                             ;   in Loop: Header=BB183_32 Depth=1
	s_or_b32 exec_lo, exec_lo, s7
	s_or_b32 s6, s5, vcc_lo
	s_delay_alu instid0(SALU_CYCLE_1) | instskip(NEXT) | instid1(SALU_CYCLE_1)
	s_or_b32 s6, s15, s6
	s_xor_b32 s7, s6, -1
	s_delay_alu instid0(SALU_CYCLE_1)
	s_and_saveexec_b32 s6, s7
	s_cbranch_execz .LBB183_56
; %bb.55:                               ;   in Loop: Header=BB183_32 Depth=1
	v_add_co_u32 v0, vcc_lo, v0, v72
	v_add_co_ci_u32_e32 v1, vcc_lo, v1, v73, vcc_lo
	flat_load_b64 v[0:1], v[0:1]
	s_waitcnt vmcnt(0) lgkmcnt(0)
	v_mul_f64 v[78:79], s[20:21], v[0:1]
.LBB183_56:                             ;   in Loop: Header=BB183_32 Depth=1
	s_or_b32 exec_lo, exec_lo, s6
	v_dual_mov_b32 v127, 8 :: v_dual_add_nc_u32 v96, 0x800, v86
	ds_load_2addr_b64 v[0:3], v86 offset1:16
	ds_load_2addr_b64 v[4:7], v86 offset0:32 offset1:48
	ds_load_2addr_b64 v[8:11], v86 offset0:64 offset1:80
	;; [unrolled: 1-line block ×7, first 2 shown]
	ds_load_2addr_b64 v[32:35], v96 offset1:16
	ds_load_2addr_b64 v[36:39], v96 offset0:32 offset1:48
	ds_load_2addr_b64 v[40:43], v96 offset0:64 offset1:80
	;; [unrolled: 1-line block ×7, first 2 shown]
	ds_load_2addr_stride64_b64 v[64:67], v90 offset1:4
	v_dual_mov_b32 v128, 0 :: v_dual_mov_b32 v125, 24
	v_dual_mov_b32 v126, 16 :: v_dual_mov_b32 v123, 40
	;; [unrolled: 1-line block ×5, first 2 shown]
	v_mov_b32_e32 v118, 0x50
	v_mov_b32_e32 v116, 0x60
	v_mov_b32_e32 v115, 0x68
	v_mov_b32_e32 v114, 0x70
	v_mov_b32_e32 v113, 0x78
	v_mov_b32_e32 v112, 0x80
	v_mov_b32_e32 v111, 0x88
	v_mov_b32_e32 v110, 0x90
	v_mov_b32_e32 v109, 0x98
	v_mov_b32_e32 v108, 0xa0
	v_mov_b32_e32 v107, 0xa8
	v_mov_b32_e32 v106, 0xb0
	v_mov_b32_e32 v105, 0xb8
	v_mov_b32_e32 v104, 0xc0
	v_mov_b32_e32 v103, 0xc8
	v_mov_b32_e32 v102, 0xd0
	v_mov_b32_e32 v101, 0xd8
	v_mov_b32_e32 v100, 0xe0
	v_mov_b32_e32 v99, 0xe8
	v_mov_b32_e32 v98, 0xf0
	v_mov_b32_e32 v97, 0xf8
	s_mov_b64 s[6:7], 0
	s_mov_b32 s25, -1
.LBB183_57:                             ;   Parent Loop BB183_32 Depth=1
                                        ; =>  This Inner Loop Header: Depth=2
	scratch_load_b64 v[133:134], v128, off
	s_cmp_eq_u32 s6, 1
	s_waitcnt lgkmcnt(16)
	v_max_f64 v[131:132], v[0:1], v[0:1]
	s_cselect_b32 vcc_lo, -1, 0
	s_mov_b64 s[6:7], 1
	s_waitcnt lgkmcnt(0)
	v_dual_cndmask_b32 v130, v65, v67 :: v_dual_cndmask_b32 v129, v64, v66
	s_and_b32 vcc_lo, exec_lo, s25
	s_mov_b32 s25, 0
	s_delay_alu instid0(VALU_DEP_1) | instskip(NEXT) | instid1(VALU_DEP_1)
	v_max_f64 v[129:130], v[129:130], v[129:130]
	v_min_f64 v[131:132], v[131:132], v[129:130]
	s_waitcnt vmcnt(0)
	s_delay_alu instid0(VALU_DEP_1) | instskip(SKIP_3) | instid1(VALU_DEP_1)
	v_add_f64 v[131:132], v[133:134], v[131:132]
	scratch_load_b64 v[133:134], v127, off
	scratch_store_b64 v128, v[131:132], off
	v_max_f64 v[131:132], v[2:3], v[2:3]
	v_min_f64 v[131:132], v[131:132], v[129:130]
	s_waitcnt vmcnt(0)
	s_delay_alu instid0(VALU_DEP_1) | instskip(SKIP_3) | instid1(VALU_DEP_1)
	v_add_f64 v[131:132], v[131:132], v[133:134]
	scratch_store_b64 v127, v[131:132], off
	scratch_load_b64 v[131:132], v126, off
	v_max_f64 v[127:128], v[4:5], v[4:5]
	v_min_f64 v[127:128], v[127:128], v[129:130]
	s_waitcnt vmcnt(0)
	s_delay_alu instid0(VALU_DEP_1) | instskip(SKIP_3) | instid1(VALU_DEP_1)
	v_add_f64 v[127:128], v[127:128], v[131:132]
	scratch_load_b64 v[131:132], v125, off
	scratch_store_b64 v126, v[127:128], off
	v_max_f64 v[126:127], v[6:7], v[6:7]
	v_min_f64 v[126:127], v[126:127], v[129:130]
	s_waitcnt vmcnt(0)
	s_delay_alu instid0(VALU_DEP_1) | instskip(SKIP_3) | instid1(VALU_DEP_1)
	v_add_f64 v[126:127], v[126:127], v[131:132]
	scratch_store_b64 v125, v[126:127], off
	scratch_load_b64 v[127:128], v124, off
	v_max_f64 v[125:126], v[8:9], v[8:9]
	v_min_f64 v[125:126], v[125:126], v[129:130]
	s_waitcnt vmcnt(0)
	s_delay_alu instid0(VALU_DEP_1) | instskip(SKIP_4) | instid1(VALU_DEP_1)
	v_add_f64 v[125:126], v[125:126], v[127:128]
	v_mov_b32_e32 v128, 0x100
	scratch_store_b64 v124, v[125:126], off
	scratch_load_b64 v[126:127], v123, off
	v_max_f64 v[124:125], v[10:11], v[10:11]
	v_min_f64 v[124:125], v[124:125], v[129:130]
	s_waitcnt vmcnt(0)
	s_delay_alu instid0(VALU_DEP_1) | instskip(SKIP_4) | instid1(VALU_DEP_1)
	v_add_f64 v[124:125], v[124:125], v[126:127]
	v_mov_b32_e32 v127, 0x108
	;; [unrolled: 8-line block ×27, first 2 shown]
	scratch_store_b64 v98, v[99:100], off
	scratch_load_b64 v[100:101], v97, off
	v_max_f64 v[98:99], v[62:63], v[62:63]
	v_min_f64 v[98:99], v[98:99], v[129:130]
	s_waitcnt vmcnt(0)
	s_delay_alu instid0(VALU_DEP_1)
	v_add_f64 v[98:99], v[98:99], v[100:101]
	v_mov_b32_e32 v101, 0x1d8
	v_mov_b32_e32 v100, 0x1e0
	scratch_store_b64 v97, v[98:99], off
	v_mov_b32_e32 v99, 0x1e8
	v_mov_b32_e32 v98, 0x1f0
	v_mov_b32_e32 v97, 0x1f8
	s_cbranch_vccnz .LBB183_57
; %bb.58:                               ;   in Loop: Header=BB183_32 Depth=1
	ds_load_2addr_b64 v[0:3], v86 offset0:1 offset1:17
	ds_load_2addr_b64 v[4:7], v86 offset0:33 offset1:49
	;; [unrolled: 1-line block ×12, first 2 shown]
	v_dual_mov_b32 v127, 8 :: v_dual_add_nc_u32 v64, 8, v90
	ds_load_2addr_b64 v[48:51], v96 offset0:129 offset1:145
	ds_load_2addr_b64 v[52:55], v96 offset0:161 offset1:177
	;; [unrolled: 1-line block ×4, first 2 shown]
	ds_load_2addr_stride64_b64 v[64:67], v64 offset1:4
	v_dual_mov_b32 v128, 0 :: v_dual_mov_b32 v125, 24
	v_dual_mov_b32 v126, 16 :: v_dual_mov_b32 v123, 40
	;; [unrolled: 1-line block ×5, first 2 shown]
	v_mov_b32_e32 v118, 0x50
	v_mov_b32_e32 v116, 0x60
	;; [unrolled: 1-line block ×21, first 2 shown]
	s_mov_b64 s[6:7], 0
	s_mov_b32 s25, -1
.LBB183_59:                             ;   Parent Loop BB183_32 Depth=1
                                        ; =>  This Inner Loop Header: Depth=2
	scratch_load_b64 v[133:134], v128, off
	s_cmp_eq_u32 s6, 1
	s_waitcnt lgkmcnt(16)
	v_max_f64 v[131:132], v[0:1], v[0:1]
	s_cselect_b32 vcc_lo, -1, 0
	s_mov_b64 s[6:7], 1
	s_waitcnt lgkmcnt(0)
	v_dual_cndmask_b32 v130, v65, v67 :: v_dual_cndmask_b32 v129, v64, v66
	s_and_b32 vcc_lo, exec_lo, s25
	s_mov_b32 s25, 0
	s_delay_alu instid0(VALU_DEP_1) | instskip(NEXT) | instid1(VALU_DEP_1)
	v_max_f64 v[129:130], v[129:130], v[129:130]
	v_min_f64 v[131:132], v[131:132], v[129:130]
	s_waitcnt vmcnt(0)
	s_delay_alu instid0(VALU_DEP_1) | instskip(SKIP_3) | instid1(VALU_DEP_1)
	v_add_f64 v[131:132], v[133:134], v[131:132]
	scratch_load_b64 v[133:134], v127, off
	scratch_store_b64 v128, v[131:132], off
	v_max_f64 v[131:132], v[2:3], v[2:3]
	v_min_f64 v[131:132], v[131:132], v[129:130]
	s_waitcnt vmcnt(0)
	s_delay_alu instid0(VALU_DEP_1) | instskip(SKIP_3) | instid1(VALU_DEP_1)
	v_add_f64 v[131:132], v[131:132], v[133:134]
	scratch_store_b64 v127, v[131:132], off
	scratch_load_b64 v[131:132], v126, off
	v_max_f64 v[127:128], v[4:5], v[4:5]
	v_min_f64 v[127:128], v[127:128], v[129:130]
	s_waitcnt vmcnt(0)
	s_delay_alu instid0(VALU_DEP_1) | instskip(SKIP_3) | instid1(VALU_DEP_1)
	v_add_f64 v[127:128], v[127:128], v[131:132]
	scratch_load_b64 v[131:132], v125, off
	scratch_store_b64 v126, v[127:128], off
	v_max_f64 v[126:127], v[6:7], v[6:7]
	v_min_f64 v[126:127], v[126:127], v[129:130]
	s_waitcnt vmcnt(0)
	s_delay_alu instid0(VALU_DEP_1) | instskip(SKIP_3) | instid1(VALU_DEP_1)
	v_add_f64 v[126:127], v[126:127], v[131:132]
	scratch_store_b64 v125, v[126:127], off
	scratch_load_b64 v[127:128], v124, off
	v_max_f64 v[125:126], v[8:9], v[8:9]
	v_min_f64 v[125:126], v[125:126], v[129:130]
	s_waitcnt vmcnt(0)
	s_delay_alu instid0(VALU_DEP_1) | instskip(SKIP_4) | instid1(VALU_DEP_1)
	v_add_f64 v[125:126], v[125:126], v[127:128]
	v_mov_b32_e32 v128, 0x100
	scratch_store_b64 v124, v[125:126], off
	scratch_load_b64 v[126:127], v123, off
	v_max_f64 v[124:125], v[10:11], v[10:11]
	v_min_f64 v[124:125], v[124:125], v[129:130]
	s_waitcnt vmcnt(0)
	s_delay_alu instid0(VALU_DEP_1) | instskip(SKIP_4) | instid1(VALU_DEP_1)
	v_add_f64 v[124:125], v[124:125], v[126:127]
	v_mov_b32_e32 v127, 0x108
	;; [unrolled: 8-line block ×27, first 2 shown]
	scratch_store_b64 v98, v[99:100], off
	scratch_load_b64 v[100:101], v97, off
	v_max_f64 v[98:99], v[62:63], v[62:63]
	v_min_f64 v[98:99], v[98:99], v[129:130]
	s_waitcnt vmcnt(0)
	s_delay_alu instid0(VALU_DEP_1)
	v_add_f64 v[98:99], v[98:99], v[100:101]
	v_mov_b32_e32 v101, 0x1d8
	v_mov_b32_e32 v100, 0x1e0
	scratch_store_b64 v97, v[98:99], off
	v_mov_b32_e32 v99, 0x1e8
	v_mov_b32_e32 v98, 0x1f0
	;; [unrolled: 1-line block ×3, first 2 shown]
	s_cbranch_vccnz .LBB183_59
; %bb.60:                               ;   in Loop: Header=BB183_32 Depth=1
	ds_load_2addr_b64 v[0:3], v86 offset0:2 offset1:18
	ds_load_2addr_b64 v[4:7], v86 offset0:34 offset1:50
	;; [unrolled: 1-line block ×12, first 2 shown]
	v_dual_mov_b32 v127, 8 :: v_dual_add_nc_u32 v64, 16, v90
	ds_load_2addr_b64 v[48:51], v96 offset0:130 offset1:146
	ds_load_2addr_b64 v[52:55], v96 offset0:162 offset1:178
	;; [unrolled: 1-line block ×4, first 2 shown]
	ds_load_2addr_stride64_b64 v[64:67], v64 offset1:4
	v_dual_mov_b32 v128, 0 :: v_dual_mov_b32 v125, 24
	v_dual_mov_b32 v126, 16 :: v_dual_mov_b32 v123, 40
	;; [unrolled: 1-line block ×5, first 2 shown]
	v_mov_b32_e32 v118, 0x50
	v_mov_b32_e32 v116, 0x60
	;; [unrolled: 1-line block ×21, first 2 shown]
	s_mov_b64 s[6:7], 0
	s_mov_b32 s25, -1
.LBB183_61:                             ;   Parent Loop BB183_32 Depth=1
                                        ; =>  This Inner Loop Header: Depth=2
	scratch_load_b64 v[133:134], v128, off
	s_cmp_eq_u32 s6, 1
	s_waitcnt lgkmcnt(16)
	v_max_f64 v[131:132], v[0:1], v[0:1]
	s_cselect_b32 vcc_lo, -1, 0
	s_mov_b64 s[6:7], 1
	s_waitcnt lgkmcnt(0)
	v_dual_cndmask_b32 v130, v65, v67 :: v_dual_cndmask_b32 v129, v64, v66
	s_and_b32 vcc_lo, exec_lo, s25
	s_mov_b32 s25, 0
	s_delay_alu instid0(VALU_DEP_1) | instskip(NEXT) | instid1(VALU_DEP_1)
	v_max_f64 v[129:130], v[129:130], v[129:130]
	v_min_f64 v[131:132], v[131:132], v[129:130]
	s_waitcnt vmcnt(0)
	s_delay_alu instid0(VALU_DEP_1) | instskip(SKIP_3) | instid1(VALU_DEP_1)
	v_add_f64 v[131:132], v[133:134], v[131:132]
	scratch_load_b64 v[133:134], v127, off
	scratch_store_b64 v128, v[131:132], off
	v_max_f64 v[131:132], v[2:3], v[2:3]
	v_min_f64 v[131:132], v[131:132], v[129:130]
	s_waitcnt vmcnt(0)
	s_delay_alu instid0(VALU_DEP_1) | instskip(SKIP_3) | instid1(VALU_DEP_1)
	v_add_f64 v[131:132], v[131:132], v[133:134]
	scratch_store_b64 v127, v[131:132], off
	scratch_load_b64 v[131:132], v126, off
	v_max_f64 v[127:128], v[4:5], v[4:5]
	v_min_f64 v[127:128], v[127:128], v[129:130]
	s_waitcnt vmcnt(0)
	s_delay_alu instid0(VALU_DEP_1) | instskip(SKIP_3) | instid1(VALU_DEP_1)
	v_add_f64 v[127:128], v[127:128], v[131:132]
	scratch_load_b64 v[131:132], v125, off
	scratch_store_b64 v126, v[127:128], off
	v_max_f64 v[126:127], v[6:7], v[6:7]
	v_min_f64 v[126:127], v[126:127], v[129:130]
	s_waitcnt vmcnt(0)
	s_delay_alu instid0(VALU_DEP_1) | instskip(SKIP_3) | instid1(VALU_DEP_1)
	v_add_f64 v[126:127], v[126:127], v[131:132]
	scratch_store_b64 v125, v[126:127], off
	scratch_load_b64 v[127:128], v124, off
	v_max_f64 v[125:126], v[8:9], v[8:9]
	v_min_f64 v[125:126], v[125:126], v[129:130]
	s_waitcnt vmcnt(0)
	s_delay_alu instid0(VALU_DEP_1) | instskip(SKIP_4) | instid1(VALU_DEP_1)
	v_add_f64 v[125:126], v[125:126], v[127:128]
	v_mov_b32_e32 v128, 0x100
	scratch_store_b64 v124, v[125:126], off
	scratch_load_b64 v[126:127], v123, off
	v_max_f64 v[124:125], v[10:11], v[10:11]
	v_min_f64 v[124:125], v[124:125], v[129:130]
	s_waitcnt vmcnt(0)
	s_delay_alu instid0(VALU_DEP_1) | instskip(SKIP_4) | instid1(VALU_DEP_1)
	v_add_f64 v[124:125], v[124:125], v[126:127]
	v_mov_b32_e32 v127, 0x108
	;; [unrolled: 8-line block ×27, first 2 shown]
	scratch_store_b64 v98, v[99:100], off
	scratch_load_b64 v[100:101], v97, off
	v_max_f64 v[98:99], v[62:63], v[62:63]
	v_min_f64 v[98:99], v[98:99], v[129:130]
	s_waitcnt vmcnt(0)
	s_delay_alu instid0(VALU_DEP_1)
	v_add_f64 v[98:99], v[98:99], v[100:101]
	v_mov_b32_e32 v101, 0x1d8
	v_mov_b32_e32 v100, 0x1e0
	scratch_store_b64 v97, v[98:99], off
	v_mov_b32_e32 v99, 0x1e8
	v_mov_b32_e32 v98, 0x1f0
	;; [unrolled: 1-line block ×3, first 2 shown]
	s_cbranch_vccnz .LBB183_61
; %bb.62:                               ;   in Loop: Header=BB183_32 Depth=1
	ds_load_2addr_b64 v[0:3], v86 offset0:3 offset1:19
	ds_load_2addr_b64 v[4:7], v86 offset0:35 offset1:51
	;; [unrolled: 1-line block ×12, first 2 shown]
	v_dual_mov_b32 v127, 0 :: v_dual_add_nc_u32 v64, 24, v90
	ds_load_2addr_b64 v[48:51], v96 offset0:131 offset1:147
	ds_load_2addr_b64 v[52:55], v96 offset0:163 offset1:179
	;; [unrolled: 1-line block ×4, first 2 shown]
	ds_load_2addr_stride64_b64 v[64:67], v64 offset1:4
	v_dual_mov_b32 v126, 8 :: v_dual_mov_b32 v125, 16
	v_dual_mov_b32 v124, 24 :: v_dual_mov_b32 v123, 32
	;; [unrolled: 1-line block ×4, first 2 shown]
	v_mov_b32_e32 v118, 0x48
	v_mov_b32_e32 v117, 0x50
	;; [unrolled: 1-line block ×23, first 2 shown]
	s_mov_b64 s[6:7], 0
	s_mov_b32 s25, -1
.LBB183_63:                             ;   Parent Loop BB183_32 Depth=1
                                        ; =>  This Inner Loop Header: Depth=2
	scratch_load_b64 v[132:133], v127, off
	s_cmp_eq_u32 s6, 1
	s_waitcnt lgkmcnt(16)
	v_max_f64 v[130:131], v[0:1], v[0:1]
	s_cselect_b32 vcc_lo, -1, 0
	s_mov_b64 s[6:7], 1
	s_waitcnt lgkmcnt(0)
	v_dual_cndmask_b32 v129, v65, v67 :: v_dual_cndmask_b32 v128, v64, v66
	s_and_b32 vcc_lo, exec_lo, s25
	s_mov_b32 s25, 0
	s_delay_alu instid0(VALU_DEP_1) | instskip(NEXT) | instid1(VALU_DEP_1)
	v_max_f64 v[128:129], v[128:129], v[128:129]
	v_min_f64 v[130:131], v[130:131], v[128:129]
	s_waitcnt vmcnt(0)
	s_delay_alu instid0(VALU_DEP_1) | instskip(SKIP_3) | instid1(VALU_DEP_1)
	v_add_f64 v[130:131], v[132:133], v[130:131]
	scratch_load_b64 v[132:133], v126, off
	scratch_store_b64 v127, v[130:131], off
	v_max_f64 v[130:131], v[2:3], v[2:3]
	v_min_f64 v[130:131], v[130:131], v[128:129]
	s_waitcnt vmcnt(0)
	s_delay_alu instid0(VALU_DEP_1) | instskip(SKIP_3) | instid1(VALU_DEP_1)
	v_add_f64 v[130:131], v[130:131], v[132:133]
	scratch_store_b64 v126, v[130:131], off
	scratch_load_b64 v[130:131], v125, off
	v_max_f64 v[126:127], v[4:5], v[4:5]
	v_min_f64 v[126:127], v[126:127], v[128:129]
	s_waitcnt vmcnt(0)
	s_delay_alu instid0(VALU_DEP_1) | instskip(SKIP_3) | instid1(VALU_DEP_1)
	v_add_f64 v[126:127], v[126:127], v[130:131]
	scratch_load_b64 v[130:131], v124, off
	scratch_store_b64 v125, v[126:127], off
	v_max_f64 v[125:126], v[6:7], v[6:7]
	v_min_f64 v[125:126], v[125:126], v[128:129]
	s_waitcnt vmcnt(0)
	s_delay_alu instid0(VALU_DEP_1) | instskip(SKIP_3) | instid1(VALU_DEP_1)
	v_add_f64 v[125:126], v[125:126], v[130:131]
	scratch_store_b64 v124, v[125:126], off
	scratch_load_b64 v[126:127], v123, off
	v_max_f64 v[124:125], v[8:9], v[8:9]
	v_min_f64 v[124:125], v[124:125], v[128:129]
	s_waitcnt vmcnt(0)
	s_delay_alu instid0(VALU_DEP_1) | instskip(SKIP_4) | instid1(VALU_DEP_1)
	v_add_f64 v[124:125], v[124:125], v[126:127]
	v_mov_b32_e32 v127, 0x100
	scratch_store_b64 v123, v[124:125], off
	scratch_load_b64 v[125:126], v122, off
	v_max_f64 v[123:124], v[10:11], v[10:11]
	v_min_f64 v[123:124], v[123:124], v[128:129]
	s_waitcnt vmcnt(0)
	s_delay_alu instid0(VALU_DEP_1) | instskip(SKIP_4) | instid1(VALU_DEP_1)
	v_add_f64 v[123:124], v[123:124], v[125:126]
	v_mov_b32_e32 v126, 0x108
	;; [unrolled: 8-line block ×27, first 2 shown]
	scratch_store_b64 v97, v[98:99], off
	scratch_load_b64 v[99:100], v96, off
	v_max_f64 v[97:98], v[62:63], v[62:63]
	v_min_f64 v[97:98], v[97:98], v[128:129]
	s_waitcnt vmcnt(0)
	s_delay_alu instid0(VALU_DEP_1)
	v_add_f64 v[97:98], v[97:98], v[99:100]
	v_mov_b32_e32 v100, 0x1d8
	v_mov_b32_e32 v99, 0x1e0
	scratch_store_b64 v96, v[97:98], off
	v_mov_b32_e32 v98, 0x1e8
	v_mov_b32_e32 v97, 0x1f0
	v_mov_b32_e32 v96, 0x1f8
	s_cbranch_vccnz .LBB183_63
; %bb.64:                               ;   in Loop: Header=BB183_32 Depth=1
	s_add_i32 s24, s24, 8
	s_add_i32 s16, s16, 8
	s_cmp_ge_i32 s24, s17
	ds_store_2addr_stride64_b64 v91, v[76:77], v[74:75] offset1:4
	ds_store_2addr_stride64_b64 v92, v[80:81], v[78:79] offset1:4
	s_waitcnt lgkmcnt(0)
	s_waitcnt_vscnt null, 0x0
	s_barrier
	buffer_gl0_inv
	s_cbranch_scc0 .LBB183_32
.LBB183_65:
	v_dual_mov_b32 v71, 8 :: v_dual_add_nc_u32 v28, 0x1000, v86
	v_dual_mov_b32 v75, 40 :: v_dual_add_nc_u32 v60, 0x1800, v86
	;; [unrolled: 1-line block ×3, first 2 shown]
	ds_load_2addr_b64 v[0:3], v28 offset1:16
	ds_load_2addr_b64 v[4:7], v28 offset0:32 offset1:48
	ds_load_2addr_b64 v[8:11], v28 offset0:64 offset1:80
	ds_load_2addr_b64 v[12:15], v28 offset0:96 offset1:112
	ds_load_2addr_b64 v[16:19], v28 offset0:128 offset1:144
	ds_load_2addr_b64 v[20:23], v28 offset0:160 offset1:176
	ds_load_2addr_b64 v[24:27], v28 offset0:192 offset1:208
	ds_load_2addr_b64 v[28:31], v28 offset0:224 offset1:240
	ds_load_2addr_b64 v[32:35], v60 offset1:16
	ds_load_2addr_b64 v[36:39], v60 offset0:32 offset1:48
	ds_load_2addr_b64 v[40:43], v60 offset0:64 offset1:80
	;; [unrolled: 1-line block ×7, first 2 shown]
	ds_load_2addr_stride64_b64 v[64:67], v88 offset0:24 offset1:28
	v_dual_mov_b32 v70, 0 :: v_dual_add_nc_u32 v69, 0x3000, v88
	v_dual_mov_b32 v72, 16 :: v_dual_mov_b32 v77, 56
	v_dual_mov_b32 v74, 32 :: v_dual_mov_b32 v79, 0x48
	;; [unrolled: 1-line block ×4, first 2 shown]
	v_mov_b32_e32 v80, 0x50
	v_mov_b32_e32 v84, 0x60
	;; [unrolled: 1-line block ×20, first 2 shown]
	s_mov_b64 s[2:3], 0
	s_mov_b32 s4, -1
.LBB183_66:                             ; =>This Inner Loop Header: Depth=1
	scratch_load_b64 v[104:105], v70, off
	scratch_load_b64 v[106:107], v71, off
	;; [unrolled: 1-line block ×32, first 2 shown]
	s_cmp_eq_u32 s2, 1
	s_waitcnt lgkmcnt(16)
	v_max_f64 v[170:171], v[0:1], v[0:1]
	s_cselect_b32 vcc_lo, -1, 0
	v_max_f64 v[172:173], v[2:3], v[2:3]
	s_waitcnt lgkmcnt(0)
	v_dual_cndmask_b32 v169, v65, v67 :: v_dual_cndmask_b32 v168, v64, v66
	v_max_f64 v[174:175], v[4:5], v[4:5]
	v_max_f64 v[176:177], v[6:7], v[6:7]
	;; [unrolled: 1-line block ×31, first 2 shown]
	s_mov_b64 s[2:3], 1
	s_and_b32 vcc_lo, exec_lo, s4
	s_mov_b32 s4, 0
	v_min_f64 v[170:171], v[170:171], v[168:169]
	v_min_f64 v[172:173], v[172:173], v[168:169]
	;; [unrolled: 1-line block ×32, first 2 shown]
	s_waitcnt vmcnt(31)
	v_add_f64 v[104:105], v[104:105], v[170:171]
	s_waitcnt vmcnt(30)
	v_add_f64 v[106:107], v[172:173], v[106:107]
	;; [unrolled: 2-line block ×32, first 2 shown]
	scratch_store_b64 v70, v[104:105], off
	scratch_store_b64 v71, v[106:107], off
	;; [unrolled: 1-line block ×32, first 2 shown]
	v_mov_b32_e32 v70, 0x100
	v_mov_b32_e32 v71, 0x108
	;; [unrolled: 1-line block ×32, first 2 shown]
	s_cbranch_vccnz .LBB183_66
; %bb.67:
	v_dual_mov_b32 v71, 8 :: v_dual_add_nc_u32 v60, 0x800, v68
	ds_load_2addr_b64 v[0:3], v68 offset0:1 offset1:17
	ds_load_2addr_b64 v[4:7], v68 offset0:33 offset1:49
	;; [unrolled: 1-line block ×12, first 2 shown]
	v_dual_mov_b32 v73, 24 :: v_dual_add_nc_u32 v64, 8, v69
	ds_load_2addr_b64 v[48:51], v60 offset0:129 offset1:145
	ds_load_2addr_b64 v[52:55], v60 offset0:161 offset1:177
	;; [unrolled: 1-line block ×4, first 2 shown]
	ds_load_2addr_stride64_b64 v[64:67], v64 offset1:4
	v_dual_mov_b32 v70, 0 :: v_dual_mov_b32 v75, 40
	v_dual_mov_b32 v72, 16 :: v_dual_mov_b32 v77, 56
	;; [unrolled: 1-line block ×5, first 2 shown]
	v_mov_b32_e32 v80, 0x50
	v_mov_b32_e32 v84, 0x60
	;; [unrolled: 1-line block ×20, first 2 shown]
	s_mov_b64 s[2:3], 0
	s_mov_b32 s4, -1
.LBB183_68:                             ; =>This Inner Loop Header: Depth=1
	scratch_load_b64 v[104:105], v70, off
	scratch_load_b64 v[106:107], v71, off
	;; [unrolled: 1-line block ×32, first 2 shown]
	s_cmp_eq_u32 s2, 1
	s_waitcnt lgkmcnt(16)
	v_max_f64 v[170:171], v[0:1], v[0:1]
	s_cselect_b32 vcc_lo, -1, 0
	v_max_f64 v[172:173], v[2:3], v[2:3]
	s_waitcnt lgkmcnt(0)
	v_dual_cndmask_b32 v169, v65, v67 :: v_dual_cndmask_b32 v168, v64, v66
	v_max_f64 v[174:175], v[4:5], v[4:5]
	v_max_f64 v[176:177], v[6:7], v[6:7]
	;; [unrolled: 1-line block ×31, first 2 shown]
	s_mov_b64 s[2:3], 1
	s_and_b32 vcc_lo, exec_lo, s4
	s_mov_b32 s4, 0
	v_min_f64 v[170:171], v[170:171], v[168:169]
	v_min_f64 v[172:173], v[172:173], v[168:169]
	;; [unrolled: 1-line block ×32, first 2 shown]
	s_waitcnt vmcnt(31)
	v_add_f64 v[104:105], v[104:105], v[170:171]
	s_waitcnt vmcnt(30)
	v_add_f64 v[106:107], v[172:173], v[106:107]
	s_waitcnt vmcnt(29)
	v_add_f64 v[108:109], v[174:175], v[108:109]
	s_waitcnt vmcnt(28)
	v_add_f64 v[110:111], v[176:177], v[110:111]
	s_waitcnt vmcnt(27)
	v_add_f64 v[112:113], v[178:179], v[112:113]
	s_waitcnt vmcnt(26)
	v_add_f64 v[114:115], v[180:181], v[114:115]
	s_waitcnt vmcnt(25)
	v_add_f64 v[116:117], v[182:183], v[116:117]
	s_waitcnt vmcnt(24)
	v_add_f64 v[118:119], v[184:185], v[118:119]
	s_waitcnt vmcnt(23)
	v_add_f64 v[120:121], v[186:187], v[120:121]
	s_waitcnt vmcnt(22)
	v_add_f64 v[122:123], v[188:189], v[122:123]
	s_waitcnt vmcnt(21)
	v_add_f64 v[124:125], v[190:191], v[124:125]
	s_waitcnt vmcnt(20)
	v_add_f64 v[126:127], v[192:193], v[126:127]
	s_waitcnt vmcnt(19)
	v_add_f64 v[128:129], v[194:195], v[128:129]
	s_waitcnt vmcnt(18)
	v_add_f64 v[130:131], v[196:197], v[130:131]
	s_waitcnt vmcnt(17)
	v_add_f64 v[132:133], v[198:199], v[132:133]
	s_waitcnt vmcnt(16)
	v_add_f64 v[134:135], v[200:201], v[134:135]
	s_waitcnt vmcnt(15)
	v_add_f64 v[136:137], v[202:203], v[136:137]
	s_waitcnt vmcnt(14)
	v_add_f64 v[138:139], v[204:205], v[138:139]
	s_waitcnt vmcnt(13)
	v_add_f64 v[140:141], v[206:207], v[140:141]
	s_waitcnt vmcnt(12)
	v_add_f64 v[142:143], v[208:209], v[142:143]
	s_waitcnt vmcnt(11)
	v_add_f64 v[144:145], v[210:211], v[144:145]
	s_waitcnt vmcnt(10)
	v_add_f64 v[146:147], v[212:213], v[146:147]
	s_waitcnt vmcnt(9)
	v_add_f64 v[148:149], v[214:215], v[148:149]
	s_waitcnt vmcnt(8)
	v_add_f64 v[150:151], v[216:217], v[150:151]
	s_waitcnt vmcnt(7)
	v_add_f64 v[152:153], v[218:219], v[152:153]
	s_waitcnt vmcnt(6)
	v_add_f64 v[154:155], v[220:221], v[154:155]
	s_waitcnt vmcnt(5)
	v_add_f64 v[156:157], v[222:223], v[156:157]
	s_waitcnt vmcnt(4)
	v_add_f64 v[158:159], v[224:225], v[158:159]
	s_waitcnt vmcnt(3)
	v_add_f64 v[160:161], v[226:227], v[160:161]
	s_waitcnt vmcnt(2)
	v_add_f64 v[162:163], v[228:229], v[162:163]
	s_waitcnt vmcnt(1)
	v_add_f64 v[164:165], v[230:231], v[164:165]
	s_waitcnt vmcnt(0)
	v_add_f64 v[166:167], v[168:169], v[166:167]
	scratch_store_b64 v70, v[104:105], off
	scratch_store_b64 v71, v[106:107], off
	;; [unrolled: 1-line block ×32, first 2 shown]
	v_mov_b32_e32 v70, 0x100
	v_mov_b32_e32 v71, 0x108
	;; [unrolled: 1-line block ×32, first 2 shown]
	s_cbranch_vccnz .LBB183_68
; %bb.69:
	v_dual_mov_b32 v71, 8 :: v_dual_add_nc_u32 v60, 0x800, v68
	ds_load_2addr_b64 v[0:3], v68 offset0:2 offset1:18
	ds_load_2addr_b64 v[4:7], v68 offset0:34 offset1:50
	;; [unrolled: 1-line block ×12, first 2 shown]
	v_dual_mov_b32 v73, 24 :: v_dual_add_nc_u32 v64, 16, v69
	ds_load_2addr_b64 v[48:51], v60 offset0:130 offset1:146
	ds_load_2addr_b64 v[52:55], v60 offset0:162 offset1:178
	;; [unrolled: 1-line block ×4, first 2 shown]
	ds_load_2addr_stride64_b64 v[64:67], v64 offset1:4
	v_dual_mov_b32 v70, 0 :: v_dual_mov_b32 v75, 40
	v_dual_mov_b32 v72, 16 :: v_dual_mov_b32 v77, 56
	;; [unrolled: 1-line block ×5, first 2 shown]
	v_mov_b32_e32 v80, 0x50
	v_mov_b32_e32 v84, 0x60
	;; [unrolled: 1-line block ×20, first 2 shown]
	s_mov_b64 s[2:3], 0
	s_mov_b32 s4, -1
.LBB183_70:                             ; =>This Inner Loop Header: Depth=1
	scratch_load_b64 v[104:105], v70, off
	scratch_load_b64 v[106:107], v71, off
	;; [unrolled: 1-line block ×32, first 2 shown]
	s_cmp_eq_u32 s2, 1
	s_waitcnt lgkmcnt(16)
	v_max_f64 v[170:171], v[0:1], v[0:1]
	s_cselect_b32 vcc_lo, -1, 0
	v_max_f64 v[172:173], v[2:3], v[2:3]
	s_waitcnt lgkmcnt(0)
	v_dual_cndmask_b32 v169, v65, v67 :: v_dual_cndmask_b32 v168, v64, v66
	v_max_f64 v[174:175], v[4:5], v[4:5]
	v_max_f64 v[176:177], v[6:7], v[6:7]
	;; [unrolled: 1-line block ×31, first 2 shown]
	s_mov_b64 s[2:3], 1
	s_and_b32 vcc_lo, exec_lo, s4
	s_mov_b32 s4, 0
	v_min_f64 v[170:171], v[170:171], v[168:169]
	v_min_f64 v[172:173], v[172:173], v[168:169]
	;; [unrolled: 1-line block ×32, first 2 shown]
	s_waitcnt vmcnt(31)
	v_add_f64 v[104:105], v[104:105], v[170:171]
	s_waitcnt vmcnt(30)
	v_add_f64 v[106:107], v[172:173], v[106:107]
	;; [unrolled: 2-line block ×32, first 2 shown]
	scratch_store_b64 v70, v[104:105], off
	scratch_store_b64 v71, v[106:107], off
	;; [unrolled: 1-line block ×32, first 2 shown]
	v_mov_b32_e32 v70, 0x100
	v_mov_b32_e32 v71, 0x108
	;; [unrolled: 1-line block ×32, first 2 shown]
	s_cbranch_vccnz .LBB183_70
; %bb.71:
	v_add_nc_u32_e32 v60, 0x800, v68
	ds_load_2addr_b64 v[0:3], v68 offset0:3 offset1:19
	ds_load_2addr_b64 v[4:7], v68 offset0:35 offset1:51
	;; [unrolled: 1-line block ×4, first 2 shown]
	v_dual_mov_b32 v71, 24 :: v_dual_add_nc_u32 v64, 24, v69
	v_mov_b32_e32 v69, 8
	ds_load_2addr_b64 v[16:19], v68 offset0:131 offset1:147
	ds_load_2addr_b64 v[20:23], v68 offset0:163 offset1:179
	;; [unrolled: 1-line block ×12, first 2 shown]
	ds_load_2addr_stride64_b64 v[64:67], v64 offset1:4
	v_dual_mov_b32 v68, 0 :: v_dual_mov_b32 v73, 40
	v_dual_mov_b32 v70, 16 :: v_dual_mov_b32 v75, 56
	;; [unrolled: 1-line block ×5, first 2 shown]
	v_mov_b32_e32 v78, 0x50
	v_mov_b32_e32 v80, 0x60
	;; [unrolled: 1-line block ×20, first 2 shown]
	s_mov_b64 s[2:3], 0
	s_mov_b32 s4, -1
.LBB183_72:                             ; =>This Inner Loop Header: Depth=1
	scratch_load_b64 v[102:103], v68, off
	scratch_load_b64 v[104:105], v69, off
	;; [unrolled: 1-line block ×32, first 2 shown]
	s_cmp_eq_u32 s2, 1
	s_waitcnt lgkmcnt(16)
	v_max_f64 v[168:169], v[0:1], v[0:1]
	s_cselect_b32 vcc_lo, -1, 0
	v_max_f64 v[170:171], v[2:3], v[2:3]
	s_waitcnt lgkmcnt(0)
	v_dual_cndmask_b32 v167, v65, v67 :: v_dual_cndmask_b32 v166, v64, v66
	v_max_f64 v[172:173], v[4:5], v[4:5]
	v_max_f64 v[174:175], v[6:7], v[6:7]
	;; [unrolled: 1-line block ×31, first 2 shown]
	s_mov_b64 s[2:3], 1
	s_and_b32 vcc_lo, exec_lo, s4
	s_mov_b32 s4, 0
	v_min_f64 v[168:169], v[168:169], v[166:167]
	v_min_f64 v[170:171], v[170:171], v[166:167]
	;; [unrolled: 1-line block ×32, first 2 shown]
	s_waitcnt vmcnt(31)
	v_add_f64 v[102:103], v[102:103], v[168:169]
	s_waitcnt vmcnt(30)
	v_add_f64 v[104:105], v[170:171], v[104:105]
	;; [unrolled: 2-line block ×32, first 2 shown]
	scratch_store_b64 v68, v[102:103], off
	scratch_store_b64 v69, v[104:105], off
	;; [unrolled: 1-line block ×32, first 2 shown]
	v_mov_b32_e32 v68, 0x100
	v_mov_b32_e32 v69, 0x108
	;; [unrolled: 1-line block ×32, first 2 shown]
	s_cbranch_vccnz .LBB183_72
; %bb.73:
	s_clause 0x2
	s_load_b64 s[2:3], s[0:1], 0x78
	s_load_b32 s39, s[0:1], 0x58
	s_load_b32 s38, s[0:1], 0x70
	v_add_nc_u32_e32 v71, s9, v83
	v_add_nc_u32_e32 v0, s8, v82
	v_cndmask_b32_e64 v70, 0, 1, s42
	s_delay_alu instid0(VALU_DEP_3)
	v_cmp_gt_i32_e64 s8, s37, v71
	s_waitcnt lgkmcnt(0)
	s_mul_i32 s0, s12, s3
	v_mad_i64_i32 v[1:2], null, v71, s39, 0
	v_mad_i64_i32 v[3:4], null, v71, s38, 0
	s_mul_hi_u32 s1, s12, s2
	s_mul_i32 s2, s12, s2
	s_add_i32 s3, s1, s0
	v_cmp_gt_i32_e64 s0, s36, v0
	s_delay_alu instid0(VALU_DEP_3) | instskip(SKIP_1) | instid1(VALU_DEP_3)
	v_lshlrev_b64 v[5:6], 3, v[1:2]
	s_lshl_b64 s[2:3], s[2:3], 3
	v_lshlrev_b64 v[2:3], 3, v[3:4]
	s_add_u32 s43, s10, s2
	s_addc_u32 s44, s11, s3
	v_ashrrev_i32_e32 v1, 31, v0
	v_add_co_u32 v68, vcc_lo, s40, v5
	v_add_co_ci_u32_e32 v69, vcc_lo, s41, v6, vcc_lo
	v_add_co_u32 v72, vcc_lo, s43, v2
	v_add_co_ci_u32_e32 v73, vcc_lo, s44, v3, vcc_lo
	s_and_b32 s1, s8, s0
	s_delay_alu instid0(SALU_CYCLE_1) | instskip(NEXT) | instid1(SALU_CYCLE_1)
	s_and_saveexec_b32 s2, s1
	s_xor_b32 s1, exec_lo, s2
	s_cbranch_execz .LBB183_78
; %bb.74:
	scratch_load_b64 v[2:3], off, off
	v_lshlrev_b64 v[4:5], 3, v[0:1]
	s_and_not1_b32 vcc_lo, exec_lo, s42
	s_cbranch_vccnz .LBB183_76
; %bb.75:
	s_delay_alu instid0(VALU_DEP_1) | instskip(NEXT) | instid1(VALU_DEP_2)
	v_add_co_u32 v6, vcc_lo, v68, v4
	v_add_co_ci_u32_e32 v7, vcc_lo, v69, v5, vcc_lo
	flat_load_b64 v[6:7], v[6:7]
	s_waitcnt vmcnt(0) lgkmcnt(0)
	v_mul_f64 v[6:7], s[34:35], v[6:7]
	s_branch .LBB183_77
.LBB183_76:
	v_mov_b32_e32 v6, 0
	v_mov_b32_e32 v7, 0
.LBB183_77:
	s_waitcnt vmcnt(0)
	s_delay_alu instid0(VALU_DEP_1)
	v_add_f64 v[2:3], v[2:3], v[6:7]
	v_add_co_u32 v4, vcc_lo, v72, v4
	v_add_co_ci_u32_e32 v5, vcc_lo, v73, v5, vcc_lo
	global_store_b64 v[4:5], v[2:3], off
.LBB183_78:
	s_or_b32 exec_lo, exec_lo, s1
	v_add_nc_u32_e32 v2, 4, v0
	s_delay_alu instid0(VALU_DEP_1) | instskip(SKIP_1) | instid1(VALU_DEP_2)
	v_cmp_gt_i32_e64 s1, s36, v2
	v_ashrrev_i32_e32 v3, 31, v2
	s_and_b32 s3, s8, s1
	s_delay_alu instid0(SALU_CYCLE_1)
	s_and_saveexec_b32 s2, s3
	s_cbranch_execz .LBB183_83
; %bb.79:
	scratch_load_b64 v[4:5], off, off offset:8
	v_lshlrev_b64 v[6:7], 3, v[2:3]
	s_and_not1_b32 vcc_lo, exec_lo, s42
	s_cbranch_vccnz .LBB183_81
; %bb.80:
	s_delay_alu instid0(VALU_DEP_1) | instskip(NEXT) | instid1(VALU_DEP_2)
	v_add_co_u32 v8, vcc_lo, v68, v6
	v_add_co_ci_u32_e32 v9, vcc_lo, v69, v7, vcc_lo
	flat_load_b64 v[8:9], v[8:9]
	s_waitcnt vmcnt(0) lgkmcnt(0)
	v_mul_f64 v[8:9], s[34:35], v[8:9]
	s_branch .LBB183_82
.LBB183_81:
	v_mov_b32_e32 v8, 0
	v_mov_b32_e32 v9, 0
.LBB183_82:
	s_waitcnt vmcnt(0)
	s_delay_alu instid0(VALU_DEP_1)
	v_add_f64 v[4:5], v[4:5], v[8:9]
	v_add_co_u32 v6, vcc_lo, v72, v6
	v_add_co_ci_u32_e32 v7, vcc_lo, v73, v7, vcc_lo
	global_store_b64 v[6:7], v[4:5], off
.LBB183_83:
	s_or_b32 exec_lo, exec_lo, s2
	v_add_nc_u32_e32 v4, 8, v0
	s_delay_alu instid0(VALU_DEP_1) | instskip(SKIP_1) | instid1(VALU_DEP_2)
	v_cmp_gt_i32_e64 s2, s36, v4
	v_ashrrev_i32_e32 v5, 31, v4
	s_and_b32 s4, s8, s2
	s_delay_alu instid0(SALU_CYCLE_1)
	s_and_saveexec_b32 s3, s4
	s_cbranch_execz .LBB183_88
; %bb.84:
	scratch_load_b64 v[6:7], off, off offset:16
	v_lshlrev_b64 v[8:9], 3, v[4:5]
	s_and_not1_b32 vcc_lo, exec_lo, s42
	s_cbranch_vccnz .LBB183_86
; %bb.85:
	s_delay_alu instid0(VALU_DEP_1) | instskip(NEXT) | instid1(VALU_DEP_2)
	v_add_co_u32 v10, vcc_lo, v68, v8
	v_add_co_ci_u32_e32 v11, vcc_lo, v69, v9, vcc_lo
	flat_load_b64 v[10:11], v[10:11]
	s_waitcnt vmcnt(0) lgkmcnt(0)
	v_mul_f64 v[10:11], s[34:35], v[10:11]
	s_branch .LBB183_87
.LBB183_86:
	v_mov_b32_e32 v10, 0
	v_mov_b32_e32 v11, 0
.LBB183_87:
	s_waitcnt vmcnt(0)
	s_delay_alu instid0(VALU_DEP_1)
	v_add_f64 v[6:7], v[6:7], v[10:11]
	v_add_co_u32 v8, vcc_lo, v72, v8
	v_add_co_ci_u32_e32 v9, vcc_lo, v73, v9, vcc_lo
	global_store_b64 v[8:9], v[6:7], off
.LBB183_88:
	;; [unrolled: 33-line block ×31, first 2 shown]
	s_or_b32 exec_lo, exec_lo, s8
	v_add_nc_u32_e32 v68, 64, v71
	s_delay_alu instid0(VALU_DEP_1) | instskip(SKIP_2) | instid1(VALU_DEP_3)
	v_mad_i64_i32 v[64:65], null, v68, s39, 0
	v_mad_i64_i32 v[66:67], null, v68, s38, 0
	v_cmp_gt_i32_e64 s8, s37, v68
	v_lshlrev_b64 v[64:65], 3, v[64:65]
	s_delay_alu instid0(VALU_DEP_2) | instskip(NEXT) | instid1(VALU_DEP_3)
	s_and_b32 s0, s8, s0
	v_lshlrev_b64 v[66:67], 3, v[66:67]
	s_delay_alu instid0(VALU_DEP_2) | instskip(NEXT) | instid1(VALU_DEP_3)
	v_add_co_u32 v71, vcc_lo, s40, v64
	v_add_co_ci_u32_e32 v72, vcc_lo, s41, v65, vcc_lo
	s_delay_alu instid0(VALU_DEP_3) | instskip(NEXT) | instid1(VALU_DEP_4)
	v_add_co_u32 v68, vcc_lo, s43, v66
	v_add_co_ci_u32_e32 v69, vcc_lo, s44, v67, vcc_lo
	s_and_saveexec_b32 s36, s0
	s_delay_alu instid0(SALU_CYCLE_1)
	s_xor_b32 s0, exec_lo, s36
	s_cbranch_execnz .LBB183_266
; %bb.234:
	s_or_b32 exec_lo, exec_lo, s0
	s_and_b32 s1, s8, s1
	s_delay_alu instid0(SALU_CYCLE_1)
	s_and_saveexec_b32 s0, s1
	s_cbranch_execnz .LBB183_270
.LBB183_235:
	s_or_b32 exec_lo, exec_lo, s0
	s_and_b32 s1, s8, s2
	s_delay_alu instid0(SALU_CYCLE_1)
	s_and_saveexec_b32 s0, s1
	s_cbranch_execnz .LBB183_274
.LBB183_236:
	s_or_b32 exec_lo, exec_lo, s0
	s_and_b32 s1, s8, s3
	s_delay_alu instid0(SALU_CYCLE_1)
	s_and_saveexec_b32 s0, s1
	s_cbranch_execnz .LBB183_278
.LBB183_237:
	s_or_b32 exec_lo, exec_lo, s0
	s_and_b32 s1, s8, s4
	s_delay_alu instid0(SALU_CYCLE_1)
	s_and_saveexec_b32 s0, s1
	s_cbranch_execnz .LBB183_282
.LBB183_238:
	s_or_b32 exec_lo, exec_lo, s0
	s_and_b32 s1, s8, s5
	s_delay_alu instid0(SALU_CYCLE_1)
	s_and_saveexec_b32 s0, s1
	s_cbranch_execnz .LBB183_286
.LBB183_239:
	s_or_b32 exec_lo, exec_lo, s0
	s_and_b32 s1, s8, s6
	s_delay_alu instid0(SALU_CYCLE_1)
	s_and_saveexec_b32 s0, s1
	s_cbranch_execnz .LBB183_290
.LBB183_240:
	s_or_b32 exec_lo, exec_lo, s0
	s_and_b32 s1, s8, s7
	s_delay_alu instid0(SALU_CYCLE_1)
	s_and_saveexec_b32 s0, s1
	s_cbranch_execnz .LBB183_294
.LBB183_241:
	s_or_b32 exec_lo, exec_lo, s0
	s_and_b32 s1, s8, s9
	s_delay_alu instid0(SALU_CYCLE_1)
	s_and_saveexec_b32 s0, s1
	s_cbranch_execnz .LBB183_298
.LBB183_242:
	s_or_b32 exec_lo, exec_lo, s0
	s_and_b32 s1, s8, s10
	s_delay_alu instid0(SALU_CYCLE_1)
	s_and_saveexec_b32 s0, s1
	s_cbranch_execnz .LBB183_302
.LBB183_243:
	s_or_b32 exec_lo, exec_lo, s0
	s_and_b32 s1, s8, s11
	s_delay_alu instid0(SALU_CYCLE_1)
	s_and_saveexec_b32 s0, s1
	s_cbranch_execnz .LBB183_306
.LBB183_244:
	s_or_b32 exec_lo, exec_lo, s0
	s_and_b32 s1, s8, s12
	s_delay_alu instid0(SALU_CYCLE_1)
	s_and_saveexec_b32 s0, s1
	s_cbranch_execnz .LBB183_310
.LBB183_245:
	s_or_b32 exec_lo, exec_lo, s0
	s_and_b32 s1, s8, s13
	s_delay_alu instid0(SALU_CYCLE_1)
	s_and_saveexec_b32 s0, s1
	s_cbranch_execnz .LBB183_314
.LBB183_246:
	s_or_b32 exec_lo, exec_lo, s0
	s_and_b32 s1, s8, s14
	s_delay_alu instid0(SALU_CYCLE_1)
	s_and_saveexec_b32 s0, s1
	s_cbranch_execnz .LBB183_318
.LBB183_247:
	s_or_b32 exec_lo, exec_lo, s0
	s_and_b32 s1, s8, s15
	s_delay_alu instid0(SALU_CYCLE_1)
	s_and_saveexec_b32 s0, s1
	s_cbranch_execnz .LBB183_322
.LBB183_248:
	s_or_b32 exec_lo, exec_lo, s0
	s_and_b32 s1, s8, s16
	s_delay_alu instid0(SALU_CYCLE_1)
	s_and_saveexec_b32 s0, s1
	s_cbranch_execnz .LBB183_326
.LBB183_249:
	s_or_b32 exec_lo, exec_lo, s0
	s_and_b32 s1, s8, s17
	s_delay_alu instid0(SALU_CYCLE_1)
	s_and_saveexec_b32 s0, s1
	s_cbranch_execnz .LBB183_330
.LBB183_250:
	s_or_b32 exec_lo, exec_lo, s0
	s_and_b32 s1, s8, s18
	s_delay_alu instid0(SALU_CYCLE_1)
	s_and_saveexec_b32 s0, s1
	s_cbranch_execnz .LBB183_334
.LBB183_251:
	s_or_b32 exec_lo, exec_lo, s0
	s_and_b32 s1, s8, s19
	s_delay_alu instid0(SALU_CYCLE_1)
	s_and_saveexec_b32 s0, s1
	s_cbranch_execnz .LBB183_338
.LBB183_252:
	s_or_b32 exec_lo, exec_lo, s0
	s_and_b32 s1, s8, s20
	s_delay_alu instid0(SALU_CYCLE_1)
	s_and_saveexec_b32 s0, s1
	s_cbranch_execnz .LBB183_342
.LBB183_253:
	s_or_b32 exec_lo, exec_lo, s0
	s_and_b32 s1, s8, s21
	s_delay_alu instid0(SALU_CYCLE_1)
	s_and_saveexec_b32 s0, s1
	s_cbranch_execnz .LBB183_346
.LBB183_254:
	s_or_b32 exec_lo, exec_lo, s0
	s_and_b32 s1, s8, s22
	s_delay_alu instid0(SALU_CYCLE_1)
	s_and_saveexec_b32 s0, s1
	s_cbranch_execnz .LBB183_350
.LBB183_255:
	s_or_b32 exec_lo, exec_lo, s0
	s_and_b32 s1, s8, s23
	s_delay_alu instid0(SALU_CYCLE_1)
	s_and_saveexec_b32 s0, s1
	s_cbranch_execnz .LBB183_354
.LBB183_256:
	s_or_b32 exec_lo, exec_lo, s0
	s_and_b32 s1, s8, s24
	s_delay_alu instid0(SALU_CYCLE_1)
	s_and_saveexec_b32 s0, s1
	s_cbranch_execnz .LBB183_358
.LBB183_257:
	s_or_b32 exec_lo, exec_lo, s0
	s_and_b32 s1, s8, s25
	s_delay_alu instid0(SALU_CYCLE_1)
	s_and_saveexec_b32 s0, s1
	s_cbranch_execnz .LBB183_362
.LBB183_258:
	s_or_b32 exec_lo, exec_lo, s0
	s_and_b32 s1, s8, s26
	s_delay_alu instid0(SALU_CYCLE_1)
	s_and_saveexec_b32 s0, s1
	s_cbranch_execnz .LBB183_366
.LBB183_259:
	s_or_b32 exec_lo, exec_lo, s0
	s_and_b32 s1, s8, s27
	s_delay_alu instid0(SALU_CYCLE_1)
	s_and_saveexec_b32 s0, s1
	s_cbranch_execnz .LBB183_370
.LBB183_260:
	s_or_b32 exec_lo, exec_lo, s0
	s_and_b32 s1, s8, s28
	s_delay_alu instid0(SALU_CYCLE_1)
	s_and_saveexec_b32 s0, s1
	s_cbranch_execnz .LBB183_374
.LBB183_261:
	s_or_b32 exec_lo, exec_lo, s0
	s_and_b32 s1, s8, s29
	s_delay_alu instid0(SALU_CYCLE_1)
	s_and_saveexec_b32 s0, s1
	s_cbranch_execnz .LBB183_378
.LBB183_262:
	s_or_b32 exec_lo, exec_lo, s0
	s_and_b32 s1, s8, s30
	s_delay_alu instid0(SALU_CYCLE_1)
	s_and_saveexec_b32 s0, s1
	s_cbranch_execnz .LBB183_382
.LBB183_263:
	s_or_b32 exec_lo, exec_lo, s0
	s_and_b32 s1, s8, s31
	s_delay_alu instid0(SALU_CYCLE_1)
	s_and_saveexec_b32 s0, s1
	s_cbranch_execnz .LBB183_386
.LBB183_264:
	s_or_b32 exec_lo, exec_lo, s0
	s_and_b32 s0, s8, s33
	s_delay_alu instid0(SALU_CYCLE_1)
	s_and_saveexec_b32 s1, s0
	s_cbranch_execnz .LBB183_390
.LBB183_265:
	s_endpgm
.LBB183_266:
	scratch_load_b64 v[64:65], off, off offset:256
	v_lshlrev_b64 v[0:1], 3, v[0:1]
	s_and_not1_b32 vcc_lo, exec_lo, s42
	s_cbranch_vccnz .LBB183_268
; %bb.267:
	s_delay_alu instid0(VALU_DEP_1) | instskip(NEXT) | instid1(VALU_DEP_2)
	v_add_co_u32 v66, vcc_lo, v71, v0
	v_add_co_ci_u32_e32 v67, vcc_lo, v72, v1, vcc_lo
	flat_load_b64 v[66:67], v[66:67]
	s_waitcnt vmcnt(0) lgkmcnt(0)
	v_mul_f64 v[66:67], s[34:35], v[66:67]
	s_branch .LBB183_269
.LBB183_268:
	v_mov_b32_e32 v66, 0
	v_mov_b32_e32 v67, 0
.LBB183_269:
	s_waitcnt vmcnt(0)
	s_delay_alu instid0(VALU_DEP_1)
	v_add_f64 v[64:65], v[64:65], v[66:67]
	v_add_co_u32 v0, vcc_lo, v68, v0
	v_add_co_ci_u32_e32 v1, vcc_lo, v69, v1, vcc_lo
	global_store_b64 v[0:1], v[64:65], off
	s_or_b32 exec_lo, exec_lo, s0
	s_and_b32 s1, s8, s1
	s_delay_alu instid0(SALU_CYCLE_1)
	s_and_saveexec_b32 s0, s1
	s_cbranch_execz .LBB183_235
.LBB183_270:
	scratch_load_b64 v[0:1], off, off offset:264
	v_cmp_ne_u32_e32 vcc_lo, 1, v70
	v_lshlrev_b64 v[2:3], 3, v[2:3]
	s_cbranch_vccnz .LBB183_272
; %bb.271:
	s_delay_alu instid0(VALU_DEP_1) | instskip(NEXT) | instid1(VALU_DEP_2)
	v_add_co_u32 v64, vcc_lo, v71, v2
	v_add_co_ci_u32_e32 v65, vcc_lo, v72, v3, vcc_lo
	flat_load_b64 v[64:65], v[64:65]
	s_waitcnt vmcnt(0) lgkmcnt(0)
	v_mul_f64 v[64:65], s[34:35], v[64:65]
	s_branch .LBB183_273
.LBB183_272:
	v_mov_b32_e32 v64, 0
	v_mov_b32_e32 v65, 0
.LBB183_273:
	s_waitcnt vmcnt(0)
	s_delay_alu instid0(VALU_DEP_1)
	v_add_f64 v[0:1], v[0:1], v[64:65]
	v_add_co_u32 v2, vcc_lo, v68, v2
	v_add_co_ci_u32_e32 v3, vcc_lo, v69, v3, vcc_lo
	global_store_b64 v[2:3], v[0:1], off
	s_or_b32 exec_lo, exec_lo, s0
	s_and_b32 s1, s8, s2
	s_delay_alu instid0(SALU_CYCLE_1)
	s_and_saveexec_b32 s0, s1
	s_cbranch_execz .LBB183_236
.LBB183_274:
	scratch_load_b64 v[0:1], off, off offset:272
	v_cmp_ne_u32_e32 vcc_lo, 1, v70
	v_lshlrev_b64 v[2:3], 3, v[4:5]
	s_cbranch_vccnz .LBB183_276
; %bb.275:
	s_delay_alu instid0(VALU_DEP_1) | instskip(NEXT) | instid1(VALU_DEP_2)
	v_add_co_u32 v4, vcc_lo, v71, v2
	v_add_co_ci_u32_e32 v5, vcc_lo, v72, v3, vcc_lo
	flat_load_b64 v[4:5], v[4:5]
	s_waitcnt vmcnt(0) lgkmcnt(0)
	v_mul_f64 v[4:5], s[34:35], v[4:5]
	s_branch .LBB183_277
.LBB183_276:
	v_mov_b32_e32 v4, 0
	v_mov_b32_e32 v5, 0
.LBB183_277:
	s_waitcnt vmcnt(0)
	s_delay_alu instid0(VALU_DEP_1)
	v_add_f64 v[0:1], v[0:1], v[4:5]
	v_add_co_u32 v2, vcc_lo, v68, v2
	v_add_co_ci_u32_e32 v3, vcc_lo, v69, v3, vcc_lo
	global_store_b64 v[2:3], v[0:1], off
	s_or_b32 exec_lo, exec_lo, s0
	s_and_b32 s1, s8, s3
	s_delay_alu instid0(SALU_CYCLE_1)
	s_and_saveexec_b32 s0, s1
	s_cbranch_execz .LBB183_237
.LBB183_278:
	scratch_load_b64 v[0:1], off, off offset:280
	v_cmp_ne_u32_e32 vcc_lo, 1, v70
	v_lshlrev_b64 v[2:3], 3, v[6:7]
	s_cbranch_vccnz .LBB183_280
; %bb.279:
	s_delay_alu instid0(VALU_DEP_1) | instskip(NEXT) | instid1(VALU_DEP_2)
	v_add_co_u32 v4, vcc_lo, v71, v2
	v_add_co_ci_u32_e32 v5, vcc_lo, v72, v3, vcc_lo
	flat_load_b64 v[4:5], v[4:5]
	s_waitcnt vmcnt(0) lgkmcnt(0)
	v_mul_f64 v[4:5], s[34:35], v[4:5]
	s_branch .LBB183_281
.LBB183_280:
	v_mov_b32_e32 v4, 0
	v_mov_b32_e32 v5, 0
.LBB183_281:
	s_waitcnt vmcnt(0)
	s_delay_alu instid0(VALU_DEP_1)
	v_add_f64 v[0:1], v[0:1], v[4:5]
	v_add_co_u32 v2, vcc_lo, v68, v2
	v_add_co_ci_u32_e32 v3, vcc_lo, v69, v3, vcc_lo
	global_store_b64 v[2:3], v[0:1], off
	s_or_b32 exec_lo, exec_lo, s0
	s_and_b32 s1, s8, s4
	s_delay_alu instid0(SALU_CYCLE_1)
	s_and_saveexec_b32 s0, s1
	s_cbranch_execz .LBB183_238
.LBB183_282:
	scratch_load_b64 v[0:1], off, off offset:288
	v_cmp_ne_u32_e32 vcc_lo, 1, v70
	v_lshlrev_b64 v[2:3], 3, v[8:9]
	s_cbranch_vccnz .LBB183_284
; %bb.283:
	s_delay_alu instid0(VALU_DEP_1) | instskip(NEXT) | instid1(VALU_DEP_2)
	v_add_co_u32 v4, vcc_lo, v71, v2
	v_add_co_ci_u32_e32 v5, vcc_lo, v72, v3, vcc_lo
	flat_load_b64 v[4:5], v[4:5]
	s_waitcnt vmcnt(0) lgkmcnt(0)
	v_mul_f64 v[4:5], s[34:35], v[4:5]
	s_branch .LBB183_285
.LBB183_284:
	v_mov_b32_e32 v4, 0
	v_mov_b32_e32 v5, 0
.LBB183_285:
	s_waitcnt vmcnt(0)
	s_delay_alu instid0(VALU_DEP_1)
	v_add_f64 v[0:1], v[0:1], v[4:5]
	v_add_co_u32 v2, vcc_lo, v68, v2
	v_add_co_ci_u32_e32 v3, vcc_lo, v69, v3, vcc_lo
	global_store_b64 v[2:3], v[0:1], off
	s_or_b32 exec_lo, exec_lo, s0
	s_and_b32 s1, s8, s5
	s_delay_alu instid0(SALU_CYCLE_1)
	s_and_saveexec_b32 s0, s1
	s_cbranch_execz .LBB183_239
.LBB183_286:
	scratch_load_b64 v[0:1], off, off offset:296
	v_cmp_ne_u32_e32 vcc_lo, 1, v70
	v_lshlrev_b64 v[2:3], 3, v[10:11]
	s_cbranch_vccnz .LBB183_288
; %bb.287:
	s_delay_alu instid0(VALU_DEP_1) | instskip(NEXT) | instid1(VALU_DEP_2)
	v_add_co_u32 v4, vcc_lo, v71, v2
	v_add_co_ci_u32_e32 v5, vcc_lo, v72, v3, vcc_lo
	flat_load_b64 v[4:5], v[4:5]
	s_waitcnt vmcnt(0) lgkmcnt(0)
	v_mul_f64 v[4:5], s[34:35], v[4:5]
	s_branch .LBB183_289
.LBB183_288:
	v_mov_b32_e32 v4, 0
	v_mov_b32_e32 v5, 0
.LBB183_289:
	s_waitcnt vmcnt(0)
	s_delay_alu instid0(VALU_DEP_1)
	v_add_f64 v[0:1], v[0:1], v[4:5]
	v_add_co_u32 v2, vcc_lo, v68, v2
	v_add_co_ci_u32_e32 v3, vcc_lo, v69, v3, vcc_lo
	global_store_b64 v[2:3], v[0:1], off
	s_or_b32 exec_lo, exec_lo, s0
	s_and_b32 s1, s8, s6
	s_delay_alu instid0(SALU_CYCLE_1)
	s_and_saveexec_b32 s0, s1
	s_cbranch_execz .LBB183_240
.LBB183_290:
	scratch_load_b64 v[0:1], off, off offset:304
	v_cmp_ne_u32_e32 vcc_lo, 1, v70
	v_lshlrev_b64 v[2:3], 3, v[12:13]
	s_cbranch_vccnz .LBB183_292
; %bb.291:
	s_delay_alu instid0(VALU_DEP_1) | instskip(NEXT) | instid1(VALU_DEP_2)
	v_add_co_u32 v4, vcc_lo, v71, v2
	v_add_co_ci_u32_e32 v5, vcc_lo, v72, v3, vcc_lo
	flat_load_b64 v[4:5], v[4:5]
	s_waitcnt vmcnt(0) lgkmcnt(0)
	v_mul_f64 v[4:5], s[34:35], v[4:5]
	s_branch .LBB183_293
.LBB183_292:
	v_mov_b32_e32 v4, 0
	v_mov_b32_e32 v5, 0
.LBB183_293:
	s_waitcnt vmcnt(0)
	s_delay_alu instid0(VALU_DEP_1)
	v_add_f64 v[0:1], v[0:1], v[4:5]
	v_add_co_u32 v2, vcc_lo, v68, v2
	v_add_co_ci_u32_e32 v3, vcc_lo, v69, v3, vcc_lo
	global_store_b64 v[2:3], v[0:1], off
	s_or_b32 exec_lo, exec_lo, s0
	s_and_b32 s1, s8, s7
	s_delay_alu instid0(SALU_CYCLE_1)
	s_and_saveexec_b32 s0, s1
	s_cbranch_execz .LBB183_241
.LBB183_294:
	scratch_load_b64 v[0:1], off, off offset:312
	v_cmp_ne_u32_e32 vcc_lo, 1, v70
	v_lshlrev_b64 v[2:3], 3, v[14:15]
	s_cbranch_vccnz .LBB183_296
; %bb.295:
	s_delay_alu instid0(VALU_DEP_1) | instskip(NEXT) | instid1(VALU_DEP_2)
	v_add_co_u32 v4, vcc_lo, v71, v2
	v_add_co_ci_u32_e32 v5, vcc_lo, v72, v3, vcc_lo
	flat_load_b64 v[4:5], v[4:5]
	s_waitcnt vmcnt(0) lgkmcnt(0)
	v_mul_f64 v[4:5], s[34:35], v[4:5]
	s_branch .LBB183_297
.LBB183_296:
	v_mov_b32_e32 v4, 0
	v_mov_b32_e32 v5, 0
.LBB183_297:
	s_waitcnt vmcnt(0)
	s_delay_alu instid0(VALU_DEP_1)
	v_add_f64 v[0:1], v[0:1], v[4:5]
	v_add_co_u32 v2, vcc_lo, v68, v2
	v_add_co_ci_u32_e32 v3, vcc_lo, v69, v3, vcc_lo
	global_store_b64 v[2:3], v[0:1], off
	s_or_b32 exec_lo, exec_lo, s0
	s_and_b32 s1, s8, s9
	s_delay_alu instid0(SALU_CYCLE_1)
	s_and_saveexec_b32 s0, s1
	s_cbranch_execz .LBB183_242
.LBB183_298:
	scratch_load_b64 v[0:1], off, off offset:320
	v_cmp_ne_u32_e32 vcc_lo, 1, v70
	v_lshlrev_b64 v[2:3], 3, v[16:17]
	s_cbranch_vccnz .LBB183_300
; %bb.299:
	s_delay_alu instid0(VALU_DEP_1) | instskip(NEXT) | instid1(VALU_DEP_2)
	v_add_co_u32 v4, vcc_lo, v71, v2
	v_add_co_ci_u32_e32 v5, vcc_lo, v72, v3, vcc_lo
	flat_load_b64 v[4:5], v[4:5]
	s_waitcnt vmcnt(0) lgkmcnt(0)
	v_mul_f64 v[4:5], s[34:35], v[4:5]
	s_branch .LBB183_301
.LBB183_300:
	v_mov_b32_e32 v4, 0
	v_mov_b32_e32 v5, 0
.LBB183_301:
	s_waitcnt vmcnt(0)
	s_delay_alu instid0(VALU_DEP_1)
	v_add_f64 v[0:1], v[0:1], v[4:5]
	v_add_co_u32 v2, vcc_lo, v68, v2
	v_add_co_ci_u32_e32 v3, vcc_lo, v69, v3, vcc_lo
	global_store_b64 v[2:3], v[0:1], off
	s_or_b32 exec_lo, exec_lo, s0
	s_and_b32 s1, s8, s10
	s_delay_alu instid0(SALU_CYCLE_1)
	s_and_saveexec_b32 s0, s1
	s_cbranch_execz .LBB183_243
.LBB183_302:
	scratch_load_b64 v[0:1], off, off offset:328
	v_cmp_ne_u32_e32 vcc_lo, 1, v70
	v_lshlrev_b64 v[2:3], 3, v[18:19]
	s_cbranch_vccnz .LBB183_304
; %bb.303:
	s_delay_alu instid0(VALU_DEP_1) | instskip(NEXT) | instid1(VALU_DEP_2)
	v_add_co_u32 v4, vcc_lo, v71, v2
	v_add_co_ci_u32_e32 v5, vcc_lo, v72, v3, vcc_lo
	flat_load_b64 v[4:5], v[4:5]
	s_waitcnt vmcnt(0) lgkmcnt(0)
	v_mul_f64 v[4:5], s[34:35], v[4:5]
	s_branch .LBB183_305
.LBB183_304:
	v_mov_b32_e32 v4, 0
	v_mov_b32_e32 v5, 0
.LBB183_305:
	s_waitcnt vmcnt(0)
	s_delay_alu instid0(VALU_DEP_1)
	v_add_f64 v[0:1], v[0:1], v[4:5]
	v_add_co_u32 v2, vcc_lo, v68, v2
	v_add_co_ci_u32_e32 v3, vcc_lo, v69, v3, vcc_lo
	global_store_b64 v[2:3], v[0:1], off
	s_or_b32 exec_lo, exec_lo, s0
	s_and_b32 s1, s8, s11
	s_delay_alu instid0(SALU_CYCLE_1)
	s_and_saveexec_b32 s0, s1
	s_cbranch_execz .LBB183_244
.LBB183_306:
	scratch_load_b64 v[0:1], off, off offset:336
	v_cmp_ne_u32_e32 vcc_lo, 1, v70
	v_lshlrev_b64 v[2:3], 3, v[20:21]
	s_cbranch_vccnz .LBB183_308
; %bb.307:
	s_delay_alu instid0(VALU_DEP_1) | instskip(NEXT) | instid1(VALU_DEP_2)
	v_add_co_u32 v4, vcc_lo, v71, v2
	v_add_co_ci_u32_e32 v5, vcc_lo, v72, v3, vcc_lo
	flat_load_b64 v[4:5], v[4:5]
	s_waitcnt vmcnt(0) lgkmcnt(0)
	v_mul_f64 v[4:5], s[34:35], v[4:5]
	s_branch .LBB183_309
.LBB183_308:
	v_mov_b32_e32 v4, 0
	v_mov_b32_e32 v5, 0
.LBB183_309:
	s_waitcnt vmcnt(0)
	s_delay_alu instid0(VALU_DEP_1)
	v_add_f64 v[0:1], v[0:1], v[4:5]
	v_add_co_u32 v2, vcc_lo, v68, v2
	v_add_co_ci_u32_e32 v3, vcc_lo, v69, v3, vcc_lo
	global_store_b64 v[2:3], v[0:1], off
	s_or_b32 exec_lo, exec_lo, s0
	s_and_b32 s1, s8, s12
	s_delay_alu instid0(SALU_CYCLE_1)
	s_and_saveexec_b32 s0, s1
	s_cbranch_execz .LBB183_245
.LBB183_310:
	scratch_load_b64 v[0:1], off, off offset:344
	v_cmp_ne_u32_e32 vcc_lo, 1, v70
	v_lshlrev_b64 v[2:3], 3, v[22:23]
	s_cbranch_vccnz .LBB183_312
; %bb.311:
	s_delay_alu instid0(VALU_DEP_1) | instskip(NEXT) | instid1(VALU_DEP_2)
	v_add_co_u32 v4, vcc_lo, v71, v2
	v_add_co_ci_u32_e32 v5, vcc_lo, v72, v3, vcc_lo
	flat_load_b64 v[4:5], v[4:5]
	s_waitcnt vmcnt(0) lgkmcnt(0)
	v_mul_f64 v[4:5], s[34:35], v[4:5]
	s_branch .LBB183_313
.LBB183_312:
	v_mov_b32_e32 v4, 0
	v_mov_b32_e32 v5, 0
.LBB183_313:
	s_waitcnt vmcnt(0)
	s_delay_alu instid0(VALU_DEP_1)
	v_add_f64 v[0:1], v[0:1], v[4:5]
	v_add_co_u32 v2, vcc_lo, v68, v2
	v_add_co_ci_u32_e32 v3, vcc_lo, v69, v3, vcc_lo
	global_store_b64 v[2:3], v[0:1], off
	s_or_b32 exec_lo, exec_lo, s0
	s_and_b32 s1, s8, s13
	s_delay_alu instid0(SALU_CYCLE_1)
	s_and_saveexec_b32 s0, s1
	s_cbranch_execz .LBB183_246
.LBB183_314:
	scratch_load_b64 v[0:1], off, off offset:352
	v_cmp_ne_u32_e32 vcc_lo, 1, v70
	v_lshlrev_b64 v[2:3], 3, v[24:25]
	s_cbranch_vccnz .LBB183_316
; %bb.315:
	s_delay_alu instid0(VALU_DEP_1) | instskip(NEXT) | instid1(VALU_DEP_2)
	v_add_co_u32 v4, vcc_lo, v71, v2
	v_add_co_ci_u32_e32 v5, vcc_lo, v72, v3, vcc_lo
	flat_load_b64 v[4:5], v[4:5]
	s_waitcnt vmcnt(0) lgkmcnt(0)
	v_mul_f64 v[4:5], s[34:35], v[4:5]
	s_branch .LBB183_317
.LBB183_316:
	v_mov_b32_e32 v4, 0
	v_mov_b32_e32 v5, 0
.LBB183_317:
	s_waitcnt vmcnt(0)
	s_delay_alu instid0(VALU_DEP_1)
	v_add_f64 v[0:1], v[0:1], v[4:5]
	v_add_co_u32 v2, vcc_lo, v68, v2
	v_add_co_ci_u32_e32 v3, vcc_lo, v69, v3, vcc_lo
	global_store_b64 v[2:3], v[0:1], off
	s_or_b32 exec_lo, exec_lo, s0
	s_and_b32 s1, s8, s14
	s_delay_alu instid0(SALU_CYCLE_1)
	s_and_saveexec_b32 s0, s1
	s_cbranch_execz .LBB183_247
.LBB183_318:
	scratch_load_b64 v[0:1], off, off offset:360
	v_cmp_ne_u32_e32 vcc_lo, 1, v70
	v_lshlrev_b64 v[2:3], 3, v[26:27]
	s_cbranch_vccnz .LBB183_320
; %bb.319:
	s_delay_alu instid0(VALU_DEP_1) | instskip(NEXT) | instid1(VALU_DEP_2)
	v_add_co_u32 v4, vcc_lo, v71, v2
	v_add_co_ci_u32_e32 v5, vcc_lo, v72, v3, vcc_lo
	flat_load_b64 v[4:5], v[4:5]
	s_waitcnt vmcnt(0) lgkmcnt(0)
	v_mul_f64 v[4:5], s[34:35], v[4:5]
	s_branch .LBB183_321
.LBB183_320:
	v_mov_b32_e32 v4, 0
	v_mov_b32_e32 v5, 0
.LBB183_321:
	s_waitcnt vmcnt(0)
	s_delay_alu instid0(VALU_DEP_1)
	v_add_f64 v[0:1], v[0:1], v[4:5]
	v_add_co_u32 v2, vcc_lo, v68, v2
	v_add_co_ci_u32_e32 v3, vcc_lo, v69, v3, vcc_lo
	global_store_b64 v[2:3], v[0:1], off
	s_or_b32 exec_lo, exec_lo, s0
	s_and_b32 s1, s8, s15
	s_delay_alu instid0(SALU_CYCLE_1)
	s_and_saveexec_b32 s0, s1
	s_cbranch_execz .LBB183_248
.LBB183_322:
	scratch_load_b64 v[0:1], off, off offset:368
	v_cmp_ne_u32_e32 vcc_lo, 1, v70
	v_lshlrev_b64 v[2:3], 3, v[28:29]
	s_cbranch_vccnz .LBB183_324
; %bb.323:
	s_delay_alu instid0(VALU_DEP_1) | instskip(NEXT) | instid1(VALU_DEP_2)
	v_add_co_u32 v4, vcc_lo, v71, v2
	v_add_co_ci_u32_e32 v5, vcc_lo, v72, v3, vcc_lo
	flat_load_b64 v[4:5], v[4:5]
	s_waitcnt vmcnt(0) lgkmcnt(0)
	v_mul_f64 v[4:5], s[34:35], v[4:5]
	s_branch .LBB183_325
.LBB183_324:
	v_mov_b32_e32 v4, 0
	v_mov_b32_e32 v5, 0
.LBB183_325:
	s_waitcnt vmcnt(0)
	s_delay_alu instid0(VALU_DEP_1)
	v_add_f64 v[0:1], v[0:1], v[4:5]
	v_add_co_u32 v2, vcc_lo, v68, v2
	v_add_co_ci_u32_e32 v3, vcc_lo, v69, v3, vcc_lo
	global_store_b64 v[2:3], v[0:1], off
	s_or_b32 exec_lo, exec_lo, s0
	s_and_b32 s1, s8, s16
	s_delay_alu instid0(SALU_CYCLE_1)
	s_and_saveexec_b32 s0, s1
	s_cbranch_execz .LBB183_249
.LBB183_326:
	scratch_load_b64 v[0:1], off, off offset:376
	v_cmp_ne_u32_e32 vcc_lo, 1, v70
	v_lshlrev_b64 v[2:3], 3, v[30:31]
	s_cbranch_vccnz .LBB183_328
; %bb.327:
	s_delay_alu instid0(VALU_DEP_1) | instskip(NEXT) | instid1(VALU_DEP_2)
	v_add_co_u32 v4, vcc_lo, v71, v2
	v_add_co_ci_u32_e32 v5, vcc_lo, v72, v3, vcc_lo
	flat_load_b64 v[4:5], v[4:5]
	s_waitcnt vmcnt(0) lgkmcnt(0)
	v_mul_f64 v[4:5], s[34:35], v[4:5]
	s_branch .LBB183_329
.LBB183_328:
	v_mov_b32_e32 v4, 0
	v_mov_b32_e32 v5, 0
.LBB183_329:
	s_waitcnt vmcnt(0)
	s_delay_alu instid0(VALU_DEP_1)
	v_add_f64 v[0:1], v[0:1], v[4:5]
	v_add_co_u32 v2, vcc_lo, v68, v2
	v_add_co_ci_u32_e32 v3, vcc_lo, v69, v3, vcc_lo
	global_store_b64 v[2:3], v[0:1], off
	s_or_b32 exec_lo, exec_lo, s0
	s_and_b32 s1, s8, s17
	s_delay_alu instid0(SALU_CYCLE_1)
	s_and_saveexec_b32 s0, s1
	s_cbranch_execz .LBB183_250
.LBB183_330:
	scratch_load_b64 v[0:1], off, off offset:384
	v_cmp_ne_u32_e32 vcc_lo, 1, v70
	v_lshlrev_b64 v[2:3], 3, v[32:33]
	s_cbranch_vccnz .LBB183_332
; %bb.331:
	s_delay_alu instid0(VALU_DEP_1) | instskip(NEXT) | instid1(VALU_DEP_2)
	v_add_co_u32 v4, vcc_lo, v71, v2
	v_add_co_ci_u32_e32 v5, vcc_lo, v72, v3, vcc_lo
	flat_load_b64 v[4:5], v[4:5]
	s_waitcnt vmcnt(0) lgkmcnt(0)
	v_mul_f64 v[4:5], s[34:35], v[4:5]
	s_branch .LBB183_333
.LBB183_332:
	v_mov_b32_e32 v4, 0
	v_mov_b32_e32 v5, 0
.LBB183_333:
	s_waitcnt vmcnt(0)
	s_delay_alu instid0(VALU_DEP_1)
	v_add_f64 v[0:1], v[0:1], v[4:5]
	v_add_co_u32 v2, vcc_lo, v68, v2
	v_add_co_ci_u32_e32 v3, vcc_lo, v69, v3, vcc_lo
	global_store_b64 v[2:3], v[0:1], off
	s_or_b32 exec_lo, exec_lo, s0
	s_and_b32 s1, s8, s18
	s_delay_alu instid0(SALU_CYCLE_1)
	s_and_saveexec_b32 s0, s1
	s_cbranch_execz .LBB183_251
.LBB183_334:
	scratch_load_b64 v[0:1], off, off offset:392
	v_cmp_ne_u32_e32 vcc_lo, 1, v70
	v_lshlrev_b64 v[2:3], 3, v[34:35]
	s_cbranch_vccnz .LBB183_336
; %bb.335:
	s_delay_alu instid0(VALU_DEP_1) | instskip(NEXT) | instid1(VALU_DEP_2)
	v_add_co_u32 v4, vcc_lo, v71, v2
	v_add_co_ci_u32_e32 v5, vcc_lo, v72, v3, vcc_lo
	flat_load_b64 v[4:5], v[4:5]
	s_waitcnt vmcnt(0) lgkmcnt(0)
	v_mul_f64 v[4:5], s[34:35], v[4:5]
	s_branch .LBB183_337
.LBB183_336:
	v_mov_b32_e32 v4, 0
	v_mov_b32_e32 v5, 0
.LBB183_337:
	s_waitcnt vmcnt(0)
	s_delay_alu instid0(VALU_DEP_1)
	v_add_f64 v[0:1], v[0:1], v[4:5]
	v_add_co_u32 v2, vcc_lo, v68, v2
	v_add_co_ci_u32_e32 v3, vcc_lo, v69, v3, vcc_lo
	global_store_b64 v[2:3], v[0:1], off
	s_or_b32 exec_lo, exec_lo, s0
	s_and_b32 s1, s8, s19
	s_delay_alu instid0(SALU_CYCLE_1)
	s_and_saveexec_b32 s0, s1
	s_cbranch_execz .LBB183_252
.LBB183_338:
	scratch_load_b64 v[0:1], off, off offset:400
	v_cmp_ne_u32_e32 vcc_lo, 1, v70
	v_lshlrev_b64 v[2:3], 3, v[36:37]
	s_cbranch_vccnz .LBB183_340
; %bb.339:
	s_delay_alu instid0(VALU_DEP_1) | instskip(NEXT) | instid1(VALU_DEP_2)
	v_add_co_u32 v4, vcc_lo, v71, v2
	v_add_co_ci_u32_e32 v5, vcc_lo, v72, v3, vcc_lo
	flat_load_b64 v[4:5], v[4:5]
	s_waitcnt vmcnt(0) lgkmcnt(0)
	v_mul_f64 v[4:5], s[34:35], v[4:5]
	s_branch .LBB183_341
.LBB183_340:
	v_mov_b32_e32 v4, 0
	v_mov_b32_e32 v5, 0
.LBB183_341:
	s_waitcnt vmcnt(0)
	s_delay_alu instid0(VALU_DEP_1)
	v_add_f64 v[0:1], v[0:1], v[4:5]
	v_add_co_u32 v2, vcc_lo, v68, v2
	v_add_co_ci_u32_e32 v3, vcc_lo, v69, v3, vcc_lo
	global_store_b64 v[2:3], v[0:1], off
	s_or_b32 exec_lo, exec_lo, s0
	s_and_b32 s1, s8, s20
	s_delay_alu instid0(SALU_CYCLE_1)
	s_and_saveexec_b32 s0, s1
	s_cbranch_execz .LBB183_253
.LBB183_342:
	scratch_load_b64 v[0:1], off, off offset:408
	v_cmp_ne_u32_e32 vcc_lo, 1, v70
	v_lshlrev_b64 v[2:3], 3, v[38:39]
	s_cbranch_vccnz .LBB183_344
; %bb.343:
	s_delay_alu instid0(VALU_DEP_1) | instskip(NEXT) | instid1(VALU_DEP_2)
	v_add_co_u32 v4, vcc_lo, v71, v2
	v_add_co_ci_u32_e32 v5, vcc_lo, v72, v3, vcc_lo
	flat_load_b64 v[4:5], v[4:5]
	s_waitcnt vmcnt(0) lgkmcnt(0)
	v_mul_f64 v[4:5], s[34:35], v[4:5]
	s_branch .LBB183_345
.LBB183_344:
	v_mov_b32_e32 v4, 0
	v_mov_b32_e32 v5, 0
.LBB183_345:
	s_waitcnt vmcnt(0)
	s_delay_alu instid0(VALU_DEP_1)
	v_add_f64 v[0:1], v[0:1], v[4:5]
	v_add_co_u32 v2, vcc_lo, v68, v2
	v_add_co_ci_u32_e32 v3, vcc_lo, v69, v3, vcc_lo
	global_store_b64 v[2:3], v[0:1], off
	s_or_b32 exec_lo, exec_lo, s0
	s_and_b32 s1, s8, s21
	s_delay_alu instid0(SALU_CYCLE_1)
	s_and_saveexec_b32 s0, s1
	s_cbranch_execz .LBB183_254
.LBB183_346:
	scratch_load_b64 v[0:1], off, off offset:416
	v_cmp_ne_u32_e32 vcc_lo, 1, v70
	v_lshlrev_b64 v[2:3], 3, v[40:41]
	s_cbranch_vccnz .LBB183_348
; %bb.347:
	s_delay_alu instid0(VALU_DEP_1) | instskip(NEXT) | instid1(VALU_DEP_2)
	v_add_co_u32 v4, vcc_lo, v71, v2
	v_add_co_ci_u32_e32 v5, vcc_lo, v72, v3, vcc_lo
	flat_load_b64 v[4:5], v[4:5]
	s_waitcnt vmcnt(0) lgkmcnt(0)
	v_mul_f64 v[4:5], s[34:35], v[4:5]
	s_branch .LBB183_349
.LBB183_348:
	v_mov_b32_e32 v4, 0
	v_mov_b32_e32 v5, 0
.LBB183_349:
	s_waitcnt vmcnt(0)
	s_delay_alu instid0(VALU_DEP_1)
	v_add_f64 v[0:1], v[0:1], v[4:5]
	v_add_co_u32 v2, vcc_lo, v68, v2
	v_add_co_ci_u32_e32 v3, vcc_lo, v69, v3, vcc_lo
	global_store_b64 v[2:3], v[0:1], off
	s_or_b32 exec_lo, exec_lo, s0
	s_and_b32 s1, s8, s22
	s_delay_alu instid0(SALU_CYCLE_1)
	s_and_saveexec_b32 s0, s1
	s_cbranch_execz .LBB183_255
.LBB183_350:
	scratch_load_b64 v[0:1], off, off offset:424
	v_cmp_ne_u32_e32 vcc_lo, 1, v70
	v_lshlrev_b64 v[2:3], 3, v[42:43]
	s_cbranch_vccnz .LBB183_352
; %bb.351:
	s_delay_alu instid0(VALU_DEP_1) | instskip(NEXT) | instid1(VALU_DEP_2)
	v_add_co_u32 v4, vcc_lo, v71, v2
	v_add_co_ci_u32_e32 v5, vcc_lo, v72, v3, vcc_lo
	flat_load_b64 v[4:5], v[4:5]
	s_waitcnt vmcnt(0) lgkmcnt(0)
	v_mul_f64 v[4:5], s[34:35], v[4:5]
	s_branch .LBB183_353
.LBB183_352:
	v_mov_b32_e32 v4, 0
	v_mov_b32_e32 v5, 0
.LBB183_353:
	s_waitcnt vmcnt(0)
	s_delay_alu instid0(VALU_DEP_1)
	v_add_f64 v[0:1], v[0:1], v[4:5]
	v_add_co_u32 v2, vcc_lo, v68, v2
	v_add_co_ci_u32_e32 v3, vcc_lo, v69, v3, vcc_lo
	global_store_b64 v[2:3], v[0:1], off
	s_or_b32 exec_lo, exec_lo, s0
	s_and_b32 s1, s8, s23
	s_delay_alu instid0(SALU_CYCLE_1)
	s_and_saveexec_b32 s0, s1
	s_cbranch_execz .LBB183_256
.LBB183_354:
	scratch_load_b64 v[0:1], off, off offset:432
	v_cmp_ne_u32_e32 vcc_lo, 1, v70
	v_lshlrev_b64 v[2:3], 3, v[44:45]
	s_cbranch_vccnz .LBB183_356
; %bb.355:
	s_delay_alu instid0(VALU_DEP_1) | instskip(NEXT) | instid1(VALU_DEP_2)
	v_add_co_u32 v4, vcc_lo, v71, v2
	v_add_co_ci_u32_e32 v5, vcc_lo, v72, v3, vcc_lo
	flat_load_b64 v[4:5], v[4:5]
	s_waitcnt vmcnt(0) lgkmcnt(0)
	v_mul_f64 v[4:5], s[34:35], v[4:5]
	s_branch .LBB183_357
.LBB183_356:
	v_mov_b32_e32 v4, 0
	v_mov_b32_e32 v5, 0
.LBB183_357:
	s_waitcnt vmcnt(0)
	s_delay_alu instid0(VALU_DEP_1)
	v_add_f64 v[0:1], v[0:1], v[4:5]
	v_add_co_u32 v2, vcc_lo, v68, v2
	v_add_co_ci_u32_e32 v3, vcc_lo, v69, v3, vcc_lo
	global_store_b64 v[2:3], v[0:1], off
	s_or_b32 exec_lo, exec_lo, s0
	s_and_b32 s1, s8, s24
	s_delay_alu instid0(SALU_CYCLE_1)
	s_and_saveexec_b32 s0, s1
	s_cbranch_execz .LBB183_257
.LBB183_358:
	scratch_load_b64 v[0:1], off, off offset:440
	v_cmp_ne_u32_e32 vcc_lo, 1, v70
	v_lshlrev_b64 v[2:3], 3, v[46:47]
	s_cbranch_vccnz .LBB183_360
; %bb.359:
	s_delay_alu instid0(VALU_DEP_1) | instskip(NEXT) | instid1(VALU_DEP_2)
	v_add_co_u32 v4, vcc_lo, v71, v2
	v_add_co_ci_u32_e32 v5, vcc_lo, v72, v3, vcc_lo
	flat_load_b64 v[4:5], v[4:5]
	s_waitcnt vmcnt(0) lgkmcnt(0)
	v_mul_f64 v[4:5], s[34:35], v[4:5]
	s_branch .LBB183_361
.LBB183_360:
	v_mov_b32_e32 v4, 0
	v_mov_b32_e32 v5, 0
.LBB183_361:
	s_waitcnt vmcnt(0)
	s_delay_alu instid0(VALU_DEP_1)
	v_add_f64 v[0:1], v[0:1], v[4:5]
	v_add_co_u32 v2, vcc_lo, v68, v2
	v_add_co_ci_u32_e32 v3, vcc_lo, v69, v3, vcc_lo
	global_store_b64 v[2:3], v[0:1], off
	s_or_b32 exec_lo, exec_lo, s0
	s_and_b32 s1, s8, s25
	s_delay_alu instid0(SALU_CYCLE_1)
	s_and_saveexec_b32 s0, s1
	s_cbranch_execz .LBB183_258
.LBB183_362:
	scratch_load_b64 v[0:1], off, off offset:448
	v_cmp_ne_u32_e32 vcc_lo, 1, v70
	v_lshlrev_b64 v[2:3], 3, v[48:49]
	s_cbranch_vccnz .LBB183_364
; %bb.363:
	s_delay_alu instid0(VALU_DEP_1) | instskip(NEXT) | instid1(VALU_DEP_2)
	v_add_co_u32 v4, vcc_lo, v71, v2
	v_add_co_ci_u32_e32 v5, vcc_lo, v72, v3, vcc_lo
	flat_load_b64 v[4:5], v[4:5]
	s_waitcnt vmcnt(0) lgkmcnt(0)
	v_mul_f64 v[4:5], s[34:35], v[4:5]
	s_branch .LBB183_365
.LBB183_364:
	v_mov_b32_e32 v4, 0
	v_mov_b32_e32 v5, 0
.LBB183_365:
	s_waitcnt vmcnt(0)
	s_delay_alu instid0(VALU_DEP_1)
	v_add_f64 v[0:1], v[0:1], v[4:5]
	v_add_co_u32 v2, vcc_lo, v68, v2
	v_add_co_ci_u32_e32 v3, vcc_lo, v69, v3, vcc_lo
	global_store_b64 v[2:3], v[0:1], off
	s_or_b32 exec_lo, exec_lo, s0
	s_and_b32 s1, s8, s26
	s_delay_alu instid0(SALU_CYCLE_1)
	s_and_saveexec_b32 s0, s1
	s_cbranch_execz .LBB183_259
.LBB183_366:
	scratch_load_b64 v[0:1], off, off offset:456
	v_cmp_ne_u32_e32 vcc_lo, 1, v70
	v_lshlrev_b64 v[2:3], 3, v[50:51]
	s_cbranch_vccnz .LBB183_368
; %bb.367:
	s_delay_alu instid0(VALU_DEP_1) | instskip(NEXT) | instid1(VALU_DEP_2)
	v_add_co_u32 v4, vcc_lo, v71, v2
	v_add_co_ci_u32_e32 v5, vcc_lo, v72, v3, vcc_lo
	flat_load_b64 v[4:5], v[4:5]
	s_waitcnt vmcnt(0) lgkmcnt(0)
	v_mul_f64 v[4:5], s[34:35], v[4:5]
	s_branch .LBB183_369
.LBB183_368:
	v_mov_b32_e32 v4, 0
	v_mov_b32_e32 v5, 0
.LBB183_369:
	s_waitcnt vmcnt(0)
	s_delay_alu instid0(VALU_DEP_1)
	v_add_f64 v[0:1], v[0:1], v[4:5]
	v_add_co_u32 v2, vcc_lo, v68, v2
	v_add_co_ci_u32_e32 v3, vcc_lo, v69, v3, vcc_lo
	global_store_b64 v[2:3], v[0:1], off
	s_or_b32 exec_lo, exec_lo, s0
	s_and_b32 s1, s8, s27
	s_delay_alu instid0(SALU_CYCLE_1)
	s_and_saveexec_b32 s0, s1
	s_cbranch_execz .LBB183_260
.LBB183_370:
	scratch_load_b64 v[0:1], off, off offset:464
	v_cmp_ne_u32_e32 vcc_lo, 1, v70
	v_lshlrev_b64 v[2:3], 3, v[52:53]
	s_cbranch_vccnz .LBB183_372
; %bb.371:
	s_delay_alu instid0(VALU_DEP_1) | instskip(NEXT) | instid1(VALU_DEP_2)
	v_add_co_u32 v4, vcc_lo, v71, v2
	v_add_co_ci_u32_e32 v5, vcc_lo, v72, v3, vcc_lo
	flat_load_b64 v[4:5], v[4:5]
	s_waitcnt vmcnt(0) lgkmcnt(0)
	v_mul_f64 v[4:5], s[34:35], v[4:5]
	s_branch .LBB183_373
.LBB183_372:
	v_mov_b32_e32 v4, 0
	v_mov_b32_e32 v5, 0
.LBB183_373:
	s_waitcnt vmcnt(0)
	s_delay_alu instid0(VALU_DEP_1)
	v_add_f64 v[0:1], v[0:1], v[4:5]
	v_add_co_u32 v2, vcc_lo, v68, v2
	v_add_co_ci_u32_e32 v3, vcc_lo, v69, v3, vcc_lo
	global_store_b64 v[2:3], v[0:1], off
	s_or_b32 exec_lo, exec_lo, s0
	s_and_b32 s1, s8, s28
	s_delay_alu instid0(SALU_CYCLE_1)
	s_and_saveexec_b32 s0, s1
	s_cbranch_execz .LBB183_261
.LBB183_374:
	scratch_load_b64 v[0:1], off, off offset:472
	v_cmp_ne_u32_e32 vcc_lo, 1, v70
	v_lshlrev_b64 v[2:3], 3, v[54:55]
	s_cbranch_vccnz .LBB183_376
; %bb.375:
	s_delay_alu instid0(VALU_DEP_1) | instskip(NEXT) | instid1(VALU_DEP_2)
	v_add_co_u32 v4, vcc_lo, v71, v2
	v_add_co_ci_u32_e32 v5, vcc_lo, v72, v3, vcc_lo
	flat_load_b64 v[4:5], v[4:5]
	s_waitcnt vmcnt(0) lgkmcnt(0)
	v_mul_f64 v[4:5], s[34:35], v[4:5]
	s_branch .LBB183_377
.LBB183_376:
	v_mov_b32_e32 v4, 0
	v_mov_b32_e32 v5, 0
.LBB183_377:
	s_waitcnt vmcnt(0)
	s_delay_alu instid0(VALU_DEP_1)
	v_add_f64 v[0:1], v[0:1], v[4:5]
	v_add_co_u32 v2, vcc_lo, v68, v2
	v_add_co_ci_u32_e32 v3, vcc_lo, v69, v3, vcc_lo
	global_store_b64 v[2:3], v[0:1], off
	s_or_b32 exec_lo, exec_lo, s0
	s_and_b32 s1, s8, s29
	s_delay_alu instid0(SALU_CYCLE_1)
	s_and_saveexec_b32 s0, s1
	s_cbranch_execz .LBB183_262
.LBB183_378:
	scratch_load_b64 v[0:1], off, off offset:480
	v_cmp_ne_u32_e32 vcc_lo, 1, v70
	v_lshlrev_b64 v[2:3], 3, v[56:57]
	s_cbranch_vccnz .LBB183_380
; %bb.379:
	s_delay_alu instid0(VALU_DEP_1) | instskip(NEXT) | instid1(VALU_DEP_2)
	v_add_co_u32 v4, vcc_lo, v71, v2
	v_add_co_ci_u32_e32 v5, vcc_lo, v72, v3, vcc_lo
	flat_load_b64 v[4:5], v[4:5]
	s_waitcnt vmcnt(0) lgkmcnt(0)
	v_mul_f64 v[4:5], s[34:35], v[4:5]
	s_branch .LBB183_381
.LBB183_380:
	v_mov_b32_e32 v4, 0
	v_mov_b32_e32 v5, 0
.LBB183_381:
	s_waitcnt vmcnt(0)
	s_delay_alu instid0(VALU_DEP_1)
	v_add_f64 v[0:1], v[0:1], v[4:5]
	v_add_co_u32 v2, vcc_lo, v68, v2
	v_add_co_ci_u32_e32 v3, vcc_lo, v69, v3, vcc_lo
	global_store_b64 v[2:3], v[0:1], off
	s_or_b32 exec_lo, exec_lo, s0
	s_and_b32 s1, s8, s30
	s_delay_alu instid0(SALU_CYCLE_1)
	s_and_saveexec_b32 s0, s1
	s_cbranch_execz .LBB183_263
.LBB183_382:
	scratch_load_b64 v[0:1], off, off offset:488
	v_cmp_ne_u32_e32 vcc_lo, 1, v70
	v_lshlrev_b64 v[2:3], 3, v[58:59]
	s_cbranch_vccnz .LBB183_384
; %bb.383:
	s_delay_alu instid0(VALU_DEP_1) | instskip(NEXT) | instid1(VALU_DEP_2)
	v_add_co_u32 v4, vcc_lo, v71, v2
	v_add_co_ci_u32_e32 v5, vcc_lo, v72, v3, vcc_lo
	flat_load_b64 v[4:5], v[4:5]
	s_waitcnt vmcnt(0) lgkmcnt(0)
	v_mul_f64 v[4:5], s[34:35], v[4:5]
	s_branch .LBB183_385
.LBB183_384:
	v_mov_b32_e32 v4, 0
	v_mov_b32_e32 v5, 0
.LBB183_385:
	s_waitcnt vmcnt(0)
	s_delay_alu instid0(VALU_DEP_1)
	v_add_f64 v[0:1], v[0:1], v[4:5]
	v_add_co_u32 v2, vcc_lo, v68, v2
	v_add_co_ci_u32_e32 v3, vcc_lo, v69, v3, vcc_lo
	global_store_b64 v[2:3], v[0:1], off
	s_or_b32 exec_lo, exec_lo, s0
	s_and_b32 s1, s8, s31
	s_delay_alu instid0(SALU_CYCLE_1)
	s_and_saveexec_b32 s0, s1
	s_cbranch_execz .LBB183_264
.LBB183_386:
	scratch_load_b64 v[0:1], off, off offset:496
	v_cmp_ne_u32_e32 vcc_lo, 1, v70
	v_lshlrev_b64 v[2:3], 3, v[60:61]
	s_cbranch_vccnz .LBB183_388
; %bb.387:
	s_delay_alu instid0(VALU_DEP_1) | instskip(NEXT) | instid1(VALU_DEP_2)
	v_add_co_u32 v4, vcc_lo, v71, v2
	v_add_co_ci_u32_e32 v5, vcc_lo, v72, v3, vcc_lo
	flat_load_b64 v[4:5], v[4:5]
	s_waitcnt vmcnt(0) lgkmcnt(0)
	v_mul_f64 v[4:5], s[34:35], v[4:5]
	s_branch .LBB183_389
.LBB183_388:
	v_mov_b32_e32 v4, 0
	v_mov_b32_e32 v5, 0
.LBB183_389:
	s_waitcnt vmcnt(0)
	s_delay_alu instid0(VALU_DEP_1)
	v_add_f64 v[0:1], v[0:1], v[4:5]
	v_add_co_u32 v2, vcc_lo, v68, v2
	v_add_co_ci_u32_e32 v3, vcc_lo, v69, v3, vcc_lo
	global_store_b64 v[2:3], v[0:1], off
	s_or_b32 exec_lo, exec_lo, s0
	s_and_b32 s0, s8, s33
	s_delay_alu instid0(SALU_CYCLE_1)
	s_and_saveexec_b32 s1, s0
	s_cbranch_execz .LBB183_265
.LBB183_390:
	scratch_load_b64 v[0:1], off, off offset:504
	v_cmp_ne_u32_e32 vcc_lo, 1, v70
	v_lshlrev_b64 v[2:3], 3, v[62:63]
	s_cbranch_vccnz .LBB183_392
; %bb.391:
	s_delay_alu instid0(VALU_DEP_1) | instskip(NEXT) | instid1(VALU_DEP_2)
	v_add_co_u32 v4, vcc_lo, v71, v2
	v_add_co_ci_u32_e32 v5, vcc_lo, v72, v3, vcc_lo
	flat_load_b64 v[4:5], v[4:5]
	s_waitcnt vmcnt(0) lgkmcnt(0)
	v_mul_f64 v[4:5], s[34:35], v[4:5]
	s_branch .LBB183_393
.LBB183_392:
	v_mov_b32_e32 v4, 0
	v_mov_b32_e32 v5, 0
.LBB183_393:
	s_waitcnt vmcnt(0)
	s_delay_alu instid0(VALU_DEP_1)
	v_add_f64 v[0:1], v[0:1], v[4:5]
	v_add_co_u32 v2, vcc_lo, v68, v2
	v_add_co_ci_u32_e32 v3, vcc_lo, v69, v3, vcc_lo
	global_store_b64 v[2:3], v[0:1], off
	s_endpgm
	.section	.rodata,"a",@progbits
	.p2align	6, 0x0
	.amdhsa_kernel _ZN12_GLOBAL__N_120geam_min_plus_kernelIdddLi4ELi64ELi128ELi128ELi4ELi64ELi4ELi4ELi64ELc78ELc78ELb0ELb1ELb0EPKdS1_dEEviiiT16_PT17_ilS5_ilS3_S5_ilPT18_ili26rocblas_geam_ex_operation_
		.amdhsa_group_segment_fixed_size 16384
		.amdhsa_private_segment_fixed_size 528
		.amdhsa_kernarg_size 136
		.amdhsa_user_sgpr_count 14
		.amdhsa_user_sgpr_dispatch_ptr 0
		.amdhsa_user_sgpr_queue_ptr 0
		.amdhsa_user_sgpr_kernarg_segment_ptr 1
		.amdhsa_user_sgpr_dispatch_id 0
		.amdhsa_user_sgpr_private_segment_size 0
		.amdhsa_wavefront_size32 1
		.amdhsa_uses_dynamic_stack 0
		.amdhsa_enable_private_segment 1
		.amdhsa_system_sgpr_workgroup_id_x 1
		.amdhsa_system_sgpr_workgroup_id_y 0
		.amdhsa_system_sgpr_workgroup_id_z 1
		.amdhsa_system_sgpr_workgroup_info 0
		.amdhsa_system_vgpr_workitem_id 1
		.amdhsa_next_free_vgpr 253
		.amdhsa_next_free_sgpr 46
		.amdhsa_reserve_vcc 1
		.amdhsa_float_round_mode_32 0
		.amdhsa_float_round_mode_16_64 0
		.amdhsa_float_denorm_mode_32 3
		.amdhsa_float_denorm_mode_16_64 3
		.amdhsa_dx10_clamp 1
		.amdhsa_ieee_mode 1
		.amdhsa_fp16_overflow 0
		.amdhsa_workgroup_processor_mode 1
		.amdhsa_memory_ordered 1
		.amdhsa_forward_progress 0
		.amdhsa_shared_vgpr_count 0
		.amdhsa_exception_fp_ieee_invalid_op 0
		.amdhsa_exception_fp_denorm_src 0
		.amdhsa_exception_fp_ieee_div_zero 0
		.amdhsa_exception_fp_ieee_overflow 0
		.amdhsa_exception_fp_ieee_underflow 0
		.amdhsa_exception_fp_ieee_inexact 0
		.amdhsa_exception_int_div_zero 0
	.end_amdhsa_kernel
	.section	.text._ZN12_GLOBAL__N_120geam_min_plus_kernelIdddLi4ELi64ELi128ELi128ELi4ELi64ELi4ELi4ELi64ELc78ELc78ELb0ELb1ELb0EPKdS1_dEEviiiT16_PT17_ilS5_ilS3_S5_ilPT18_ili26rocblas_geam_ex_operation_,"axG",@progbits,_ZN12_GLOBAL__N_120geam_min_plus_kernelIdddLi4ELi64ELi128ELi128ELi4ELi64ELi4ELi4ELi64ELc78ELc78ELb0ELb1ELb0EPKdS1_dEEviiiT16_PT17_ilS5_ilS3_S5_ilPT18_ili26rocblas_geam_ex_operation_,comdat
.Lfunc_end183:
	.size	_ZN12_GLOBAL__N_120geam_min_plus_kernelIdddLi4ELi64ELi128ELi128ELi4ELi64ELi4ELi4ELi64ELc78ELc78ELb0ELb1ELb0EPKdS1_dEEviiiT16_PT17_ilS5_ilS3_S5_ilPT18_ili26rocblas_geam_ex_operation_, .Lfunc_end183-_ZN12_GLOBAL__N_120geam_min_plus_kernelIdddLi4ELi64ELi128ELi128ELi4ELi64ELi4ELi4ELi64ELc78ELc78ELb0ELb1ELb0EPKdS1_dEEviiiT16_PT17_ilS5_ilS3_S5_ilPT18_ili26rocblas_geam_ex_operation_
                                        ; -- End function
	.section	.AMDGPU.csdata,"",@progbits
; Kernel info:
; codeLenInByte = 47412
; NumSgprs: 48
; NumVgprs: 253
; ScratchSize: 528
; MemoryBound: 1
; FloatMode: 240
; IeeeMode: 1
; LDSByteSize: 16384 bytes/workgroup (compile time only)
; SGPRBlocks: 5
; VGPRBlocks: 31
; NumSGPRsForWavesPerEU: 48
; NumVGPRsForWavesPerEU: 253
; Occupancy: 5
; WaveLimiterHint : 1
; COMPUTE_PGM_RSRC2:SCRATCH_EN: 1
; COMPUTE_PGM_RSRC2:USER_SGPR: 14
; COMPUTE_PGM_RSRC2:TRAP_HANDLER: 0
; COMPUTE_PGM_RSRC2:TGID_X_EN: 1
; COMPUTE_PGM_RSRC2:TGID_Y_EN: 0
; COMPUTE_PGM_RSRC2:TGID_Z_EN: 1
; COMPUTE_PGM_RSRC2:TIDIG_COMP_CNT: 1
	.section	.text._ZN12_GLOBAL__N_120geam_min_plus_kernelIdddLi4ELi64ELi128ELi128ELi4ELi64ELi4ELi4ELi64ELc78ELc78ELb1ELb1ELb0EdKddEEviiiT16_PT17_ilS4_ilS2_S4_ilPT18_ili26rocblas_geam_ex_operation_,"axG",@progbits,_ZN12_GLOBAL__N_120geam_min_plus_kernelIdddLi4ELi64ELi128ELi128ELi4ELi64ELi4ELi4ELi64ELc78ELc78ELb1ELb1ELb0EdKddEEviiiT16_PT17_ilS4_ilS2_S4_ilPT18_ili26rocblas_geam_ex_operation_,comdat
	.globl	_ZN12_GLOBAL__N_120geam_min_plus_kernelIdddLi4ELi64ELi128ELi128ELi4ELi64ELi4ELi4ELi64ELc78ELc78ELb1ELb1ELb0EdKddEEviiiT16_PT17_ilS4_ilS2_S4_ilPT18_ili26rocblas_geam_ex_operation_ ; -- Begin function _ZN12_GLOBAL__N_120geam_min_plus_kernelIdddLi4ELi64ELi128ELi128ELi4ELi64ELi4ELi4ELi64ELc78ELc78ELb1ELb1ELb0EdKddEEviiiT16_PT17_ilS4_ilS2_S4_ilPT18_ili26rocblas_geam_ex_operation_
	.p2align	8
	.type	_ZN12_GLOBAL__N_120geam_min_plus_kernelIdddLi4ELi64ELi128ELi128ELi4ELi64ELi4ELi4ELi64ELc78ELc78ELb1ELb1ELb0EdKddEEviiiT16_PT17_ilS4_ilS2_S4_ilPT18_ili26rocblas_geam_ex_operation_,@function
_ZN12_GLOBAL__N_120geam_min_plus_kernelIdddLi4ELi64ELi128ELi128ELi4ELi64ELi4ELi4ELi64ELc78ELc78ELb1ELb1ELb0EdKddEEviiiT16_PT17_ilS4_ilS2_S4_ilPT18_ili26rocblas_geam_ex_operation_: ; @_ZN12_GLOBAL__N_120geam_min_plus_kernelIdddLi4ELi64ELi128ELi128ELi4ELi64ELi4ELi4ELi64ELc78ELc78ELb1ELb1ELb0EdKddEEviiiT16_PT17_ilS4_ilS2_S4_ilPT18_ili26rocblas_geam_ex_operation_
; %bb.0:
	s_clause 0x1
	s_load_b128 s[8:11], s[0:1], 0x10
	s_load_b128 s[4:7], s[0:1], 0x28
	s_mov_b64 s[12:13], 0
	s_waitcnt lgkmcnt(0)
	v_cmp_eq_f64_e64 s8, s[8:9], 0
	s_delay_alu instid0(VALU_DEP_1)
	s_and_b32 vcc_lo, exec_lo, s8
	s_cbranch_vccnz .LBB184_2
; %bb.1:
	s_mul_i32 s2, s15, s5
	s_mul_hi_u32 s3, s15, s4
	s_delay_alu instid0(SALU_CYCLE_1) | instskip(SKIP_1) | instid1(SALU_CYCLE_1)
	s_add_i32 s3, s3, s2
	s_mul_i32 s2, s15, s4
	s_lshl_b64 s[2:3], s[2:3], 3
	s_delay_alu instid0(SALU_CYCLE_1)
	s_add_u32 s12, s10, s2
	s_addc_u32 s13, s11, s3
.LBB184_2:
	s_clause 0x1
	s_load_b128 s[36:39], s[0:1], 0x40
	s_load_b64 s[2:3], s[0:1], 0x50
	s_and_not1_b32 vcc_lo, exec_lo, s8
	s_cbranch_vccnz .LBB184_4
; %bb.3:
	s_mov_b32 s18, 0
	s_mov_b64 s[16:17], 0
	s_cbranch_execz .LBB184_5
	s_branch .LBB184_6
.LBB184_4:
	s_mov_b32 s18, -1
                                        ; implicit-def: $sgpr16_sgpr17
.LBB184_5:
	s_waitcnt lgkmcnt(0)
	s_mul_i32 s4, s15, s37
	s_mul_hi_u32 s5, s15, s36
	s_mov_b32 s18, 0
	s_add_i32 s5, s5, s4
	s_mul_i32 s4, s15, s36
	s_delay_alu instid0(SALU_CYCLE_1) | instskip(NEXT) | instid1(SALU_CYCLE_1)
	s_lshl_b64 s[4:5], s[4:5], 3
	s_add_u32 s16, s6, s4
	s_addc_u32 s17, s7, s5
.LBB184_6:
	s_waitcnt lgkmcnt(0)
	v_cmp_eq_f64_e64 s4, s[38:39], 0
	v_cmp_neq_f64_e64 s36, s[38:39], 0
	s_load_b128 s[8:11], s[0:1], 0x60
	s_mov_b64 s[34:35], 0
	s_delay_alu instid0(VALU_DEP_2)
	s_and_b32 vcc_lo, exec_lo, s4
	s_cbranch_vccnz .LBB184_8
; %bb.7:
	s_waitcnt lgkmcnt(0)
	s_mul_i32 s4, s15, s9
	s_mul_hi_u32 s5, s15, s8
	s_mul_i32 s6, s18, s8
	s_add_i32 s4, s5, s4
	s_delay_alu instid0(SALU_CYCLE_1) | instskip(SKIP_1) | instid1(SALU_CYCLE_1)
	s_add_i32 s5, s4, s6
	s_mul_i32 s4, s15, s8
	s_lshl_b64 s[4:5], s[4:5], 3
	s_delay_alu instid0(SALU_CYCLE_1)
	s_add_u32 s34, s2, s4
	s_addc_u32 s35, s3, s5
.LBB184_8:
	s_clause 0x1
	s_load_b128 s[40:43], s[0:1], 0x0
	s_load_b32 s19, s[0:1], 0x20
	s_mov_b32 s2, 0
	v_bfe_u32 v85, v0, 10, 10
	s_mov_b32 s3, s2
	v_and_b32_e32 v84, 0x3ff, v0
	v_dual_mov_b32 v8, s3 :: v_dual_mov_b32 v7, s2
	s_delay_alu instid0(VALU_DEP_2) | instskip(NEXT) | instid1(VALU_DEP_1)
	v_lshl_add_u32 v4, v85, 2, v84
	v_lshrrev_b32_e32 v86, 6, v4
	s_waitcnt lgkmcnt(0)
	s_add_i32 s2, s40, -1
	s_delay_alu instid0(VALU_DEP_1) | instskip(SKIP_1) | instid1(SALU_CYCLE_1)
	v_cmp_le_i32_e32 vcc_lo, s42, v86
	s_ashr_i32 s3, s2, 31
	s_lshr_b32 s3, s3, 25
	s_delay_alu instid0(SALU_CYCLE_1) | instskip(NEXT) | instid1(SALU_CYCLE_1)
	s_add_i32 s2, s2, s3
	s_ashr_i32 s2, s2, 7
	s_delay_alu instid0(SALU_CYCLE_1) | instskip(SKIP_2) | instid1(VALU_DEP_1)
	s_add_i32 s3, s2, 1
	s_not_b32 s2, s2
	v_cvt_f32_u32_e32 v0, s3
	v_rcp_iflag_f32_e32 v0, v0
	s_waitcnt_depctr 0xfff
	v_mul_f32_e32 v0, 0x4f7ffffe, v0
	s_delay_alu instid0(VALU_DEP_1) | instskip(NEXT) | instid1(VALU_DEP_1)
	v_cvt_u32_f32_e32 v0, v0
	v_readfirstlane_b32 s4, v0
	v_mad_i64_i32 v[0:1], null, s19, v86, 0
	s_delay_alu instid0(VALU_DEP_2) | instskip(NEXT) | instid1(SALU_CYCLE_1)
	s_mul_i32 s2, s2, s4
	s_mul_hi_u32 s2, s4, s2
	s_delay_alu instid0(VALU_DEP_1)
	v_lshlrev_b64 v[2:3], 3, v[0:1]
	s_add_i32 s4, s4, s2
	v_mov_b32_e32 v0, 0
	v_mov_b32_e32 v1, 0
	s_mul_hi_u32 s2, s14, s4
	v_and_b32_e32 v78, 63, v4
	s_mul_i32 s4, s2, s3
	s_add_i32 s5, s2, 1
	s_sub_i32 s4, s14, s4
	s_clause 0xb
	scratch_store_b64 off, v[7:8], off
	scratch_store_b64 off, v[7:8], off offset:8
	scratch_store_b64 off, v[7:8], off offset:16
	;; [unrolled: 1-line block ×11, first 2 shown]
	s_sub_i32 s6, s4, s3
	s_cmp_ge_u32 s4, s3
	s_clause 0x3
	scratch_store_b64 off, v[7:8], off offset:96
	scratch_store_b64 off, v[7:8], off offset:104
	;; [unrolled: 1-line block ×4, first 2 shown]
	s_cselect_b32 s2, s5, s2
	s_cselect_b32 s4, s6, s4
	s_add_i32 s5, s2, 1
	s_cmp_ge_u32 s4, s3
	s_clause 0x1
	scratch_store_b64 off, v[7:8], off offset:128
	scratch_store_b64 off, v[7:8], off offset:136
	s_cselect_b32 s4, s5, s2
	s_clause 0x3
	scratch_store_b64 off, v[7:8], off offset:144
	scratch_store_b64 off, v[7:8], off offset:152
	;; [unrolled: 1-line block ×4, first 2 shown]
	s_mul_i32 s2, s4, s3
	v_add_co_u32 v5, s3, s12, v2
	s_sub_i32 s2, s14, s2
	v_add_co_ci_u32_e64 v6, s3, s13, v3, s3
	s_lshl_b32 s8, s2, 7
	v_mov_b32_e32 v3, v1
	v_or_b32_e32 v68, s8, v78
	v_mov_b32_e32 v2, v0
	s_clause 0x10
	scratch_store_b64 off, v[7:8], off offset:176
	scratch_store_b64 off, v[7:8], off offset:184
	;; [unrolled: 1-line block ×17, first 2 shown]
	v_cmp_le_i32_e64 s2, s40, v68
	v_ashrrev_i32_e32 v69, 31, v68
	s_clause 0x5
	scratch_store_b64 off, v[7:8], off offset:312
	scratch_store_b64 off, v[7:8], off offset:320
	;; [unrolled: 1-line block ×6, first 2 shown]
	s_or_b32 s3, s2, vcc_lo
	s_clause 0x3
	scratch_store_b64 off, v[7:8], off offset:360
	scratch_store_b64 off, v[7:8], off offset:368
	;; [unrolled: 1-line block ×4, first 2 shown]
	s_xor_b32 s3, s3, -1
	s_clause 0xe
	scratch_store_b64 off, v[7:8], off offset:392
	scratch_store_b64 off, v[7:8], off offset:400
	;; [unrolled: 1-line block ×15, first 2 shown]
	s_and_saveexec_b32 s5, s3
	s_cbranch_execz .LBB184_10
; %bb.9:
	v_lshlrev_b64 v[2:3], 3, v[68:69]
	s_delay_alu instid0(VALU_DEP_1) | instskip(NEXT) | instid1(VALU_DEP_1)
	v_add_co_u32 v2, s3, v5, v2
	v_add_co_ci_u32_e64 v3, s3, v6, v3, s3
	flat_load_b64 v[2:3], v[2:3]
.LBB184_10:
	s_or_b32 exec_lo, exec_lo, s5
	v_or_b32_e32 v7, 64, v68
	s_ashr_i32 s14, s19, 31
	s_delay_alu instid0(VALU_DEP_1) | instskip(NEXT) | instid1(VALU_DEP_1)
	v_cmp_le_i32_e64 s3, s40, v7
	s_or_b32 s5, s3, vcc_lo
	s_delay_alu instid0(SALU_CYCLE_1) | instskip(NEXT) | instid1(SALU_CYCLE_1)
	s_xor_b32 s6, s5, -1
	s_and_saveexec_b32 s5, s6
	s_cbranch_execz .LBB184_12
; %bb.11:
	v_lshlrev_b64 v[0:1], 3, v[68:69]
	s_delay_alu instid0(VALU_DEP_1) | instskip(NEXT) | instid1(VALU_DEP_2)
	v_add_co_u32 v0, vcc_lo, v5, v0
	v_add_co_ci_u32_e32 v1, vcc_lo, v6, v1, vcc_lo
	flat_load_b64 v[0:1], v[0:1] offset:512
.LBB184_12:
	s_or_b32 exec_lo, exec_lo, s5
	s_load_b32 s21, s[0:1], 0x38
	v_lshrrev_b32_e32 v8, 2, v4
	v_dual_mov_b32 v4, 0 :: v_dual_and_b32 v87, 3, v84
	s_lshl_b32 s9, s4, 7
	v_mov_b32_e32 v5, 0
	s_delay_alu instid0(VALU_DEP_3) | instskip(NEXT) | instid1(VALU_DEP_3)
	v_add_nc_u32_e32 v79, s9, v8
	v_lshlrev_b32_e32 v9, 3, v87
	v_cmp_le_i32_e32 vcc_lo, s42, v87
	s_delay_alu instid0(VALU_DEP_4) | instskip(NEXT) | instid1(VALU_DEP_4)
	v_dual_mov_b32 v7, v5 :: v_dual_mov_b32 v6, v4
	v_cmp_le_i32_e64 s4, s41, v79
	s_delay_alu instid0(VALU_DEP_4) | instskip(NEXT) | instid1(VALU_DEP_1)
	v_add_co_u32 v10, s5, s16, v9
	v_add_co_ci_u32_e64 v11, null, s17, 0, s5
	s_delay_alu instid0(VALU_DEP_3) | instskip(NEXT) | instid1(SALU_CYCLE_1)
	s_or_b32 s5, vcc_lo, s4
	s_xor_b32 s5, s5, -1
	s_delay_alu instid0(SALU_CYCLE_1)
	s_and_saveexec_b32 s6, s5
	s_cbranch_execz .LBB184_14
; %bb.13:
	s_waitcnt lgkmcnt(0)
	v_mad_i64_i32 v[6:7], null, v79, s21, 0
	s_delay_alu instid0(VALU_DEP_1) | instskip(NEXT) | instid1(VALU_DEP_1)
	v_lshlrev_b64 v[6:7], 3, v[6:7]
	v_add_co_u32 v6, s5, v10, v6
	s_delay_alu instid0(VALU_DEP_1)
	v_add_co_ci_u32_e64 v7, s5, v11, v7, s5
	flat_load_b64 v[6:7], v[6:7]
.LBB184_14:
	s_or_b32 exec_lo, exec_lo, s6
	v_add_nc_u32_e32 v80, 64, v79
	s_delay_alu instid0(VALU_DEP_1) | instskip(NEXT) | instid1(VALU_DEP_1)
	v_cmp_le_i32_e64 s5, s41, v80
	s_or_b32 s6, vcc_lo, s5
	s_delay_alu instid0(SALU_CYCLE_1) | instskip(NEXT) | instid1(SALU_CYCLE_1)
	s_xor_b32 s7, s6, -1
	s_and_saveexec_b32 s6, s7
	s_cbranch_execz .LBB184_16
; %bb.15:
	s_waitcnt lgkmcnt(0)
	v_mad_i64_i32 v[4:5], null, v80, s21, 0
	s_delay_alu instid0(VALU_DEP_1) | instskip(NEXT) | instid1(VALU_DEP_1)
	v_lshlrev_b64 v[4:5], 3, v[4:5]
	v_add_co_u32 v4, vcc_lo, v10, v4
	s_delay_alu instid0(VALU_DEP_2)
	v_add_co_ci_u32_e32 v5, vcc_lo, v11, v5, vcc_lo
	flat_load_b64 v[4:5], v[4:5]
.LBB184_16:
	s_or_b32 exec_lo, exec_lo, s6
	v_add_nc_u32_e32 v14, 4, v86
	v_mov_b32_e32 v70, 0
	v_mov_b32_e32 v71, 0
	s_delay_alu instid0(VALU_DEP_3) | instskip(SKIP_1) | instid1(VALU_DEP_3)
	v_mad_i64_i32 v[12:13], null, s19, v14, 0
	v_cmp_le_i32_e32 vcc_lo, s42, v14
	v_dual_mov_b32 v73, v71 :: v_dual_mov_b32 v72, v70
	s_delay_alu instid0(VALU_DEP_3) | instskip(NEXT) | instid1(VALU_DEP_1)
	v_lshlrev_b64 v[12:13], 3, v[12:13]
	v_add_co_u32 v12, s6, s12, v12
	s_delay_alu instid0(VALU_DEP_1) | instskip(SKIP_1) | instid1(SALU_CYCLE_1)
	v_add_co_ci_u32_e64 v13, s6, s13, v13, s6
	s_or_b32 s6, s2, vcc_lo
	s_xor_b32 s6, s6, -1
	s_delay_alu instid0(SALU_CYCLE_1)
	s_and_saveexec_b32 s7, s6
	s_cbranch_execz .LBB184_18
; %bb.17:
	v_lshlrev_b64 v[14:15], 3, v[68:69]
	s_delay_alu instid0(VALU_DEP_1) | instskip(NEXT) | instid1(VALU_DEP_1)
	v_add_co_u32 v14, s6, v12, v14
	v_add_co_ci_u32_e64 v15, s6, v13, v15, s6
	flat_load_b64 v[72:73], v[14:15]
.LBB184_18:
	s_or_b32 exec_lo, exec_lo, s7
	s_or_b32 s6, s3, vcc_lo
	s_delay_alu instid0(SALU_CYCLE_1) | instskip(NEXT) | instid1(SALU_CYCLE_1)
	s_xor_b32 s7, s6, -1
	s_and_saveexec_b32 s6, s7
	s_cbranch_execz .LBB184_20
; %bb.19:
	v_lshlrev_b64 v[14:15], 3, v[68:69]
	s_delay_alu instid0(VALU_DEP_1) | instskip(NEXT) | instid1(VALU_DEP_2)
	v_add_co_u32 v12, vcc_lo, v12, v14
	v_add_co_ci_u32_e32 v13, vcc_lo, v13, v15, vcc_lo
	flat_load_b64 v[70:71], v[12:13] offset:512
.LBB184_20:
	s_or_b32 exec_lo, exec_lo, s6
	v_or_b32_e32 v12, 4, v87
	v_mov_b32_e32 v74, 0
	v_mov_b32_e32 v75, 0
	s_delay_alu instid0(VALU_DEP_3) | instskip(NEXT) | instid1(VALU_DEP_2)
	v_cmp_le_i32_e32 vcc_lo, s42, v12
	v_dual_mov_b32 v77, v75 :: v_dual_mov_b32 v76, v74
	s_or_b32 s6, vcc_lo, s4
	s_delay_alu instid0(SALU_CYCLE_1) | instskip(NEXT) | instid1(SALU_CYCLE_1)
	s_xor_b32 s6, s6, -1
	s_and_saveexec_b32 s7, s6
	s_cbranch_execz .LBB184_22
; %bb.21:
	s_waitcnt lgkmcnt(0)
	v_mad_i64_i32 v[12:13], null, v79, s21, 0
	s_delay_alu instid0(VALU_DEP_1) | instskip(NEXT) | instid1(VALU_DEP_1)
	v_lshlrev_b64 v[12:13], 3, v[12:13]
	v_add_co_u32 v12, s6, v10, v12
	s_delay_alu instid0(VALU_DEP_1)
	v_add_co_ci_u32_e64 v13, s6, v11, v13, s6
	flat_load_b64 v[76:77], v[12:13] offset:32
.LBB184_22:
	s_or_b32 exec_lo, exec_lo, s7
	s_or_b32 s6, vcc_lo, s5
	s_delay_alu instid0(SALU_CYCLE_1) | instskip(NEXT) | instid1(SALU_CYCLE_1)
	s_xor_b32 s7, s6, -1
	s_and_saveexec_b32 s6, s7
	s_cbranch_execz .LBB184_24
; %bb.23:
	s_waitcnt lgkmcnt(0)
	v_mad_i64_i32 v[12:13], null, v80, s21, 0
	s_delay_alu instid0(VALU_DEP_1) | instskip(NEXT) | instid1(VALU_DEP_1)
	v_lshlrev_b64 v[12:13], 3, v[12:13]
	v_add_co_u32 v10, vcc_lo, v10, v12
	s_delay_alu instid0(VALU_DEP_2)
	v_add_co_ci_u32_e32 v11, vcc_lo, v11, v13, vcc_lo
	flat_load_b64 v[74:75], v[10:11] offset:32
.LBB184_24:
	s_or_b32 exec_lo, exec_lo, s6
	v_dual_mov_b32 v83, 8 :: v_dual_lshlrev_b32 v10, 3, v86
	v_dual_mov_b32 v93, 16 :: v_dual_lshlrev_b32 v88, 5, v84
	v_lshl_or_b32 v81, v8, 5, v9
	s_delay_alu instid0(VALU_DEP_3) | instskip(NEXT) | instid1(VALU_DEP_3)
	v_lshl_add_u32 v89, v78, 5, v10
	v_dual_mov_b32 v97, 48 :: v_dual_add_nc_u32 v48, 0x800, v88
	v_dual_mov_b32 v82, 0 :: v_dual_lshlrev_b32 v91, 5, v85
	s_waitcnt vmcnt(0) lgkmcnt(0)
	ds_store_2addr_stride64_b64 v81, v[6:7], v[4:5] offset0:16 offset1:20
	ds_store_2addr_stride64_b64 v89, v[2:3], v[0:1] offset1:4
	s_waitcnt lgkmcnt(0)
	s_waitcnt_vscnt null, 0x0
	s_barrier
	buffer_gl0_inv
	ds_load_2addr_b64 v[0:3], v88 offset1:16
	ds_load_2addr_b64 v[4:7], v88 offset0:32 offset1:48
	ds_load_2addr_b64 v[8:11], v88 offset0:64 offset1:80
	;; [unrolled: 1-line block ×4, first 2 shown]
	ds_load_2addr_b64 v[20:23], v48 offset1:16
	ds_load_2addr_b64 v[24:27], v48 offset0:32 offset1:48
	ds_load_2addr_b64 v[28:31], v48 offset0:64 offset1:80
	;; [unrolled: 1-line block ×10, first 2 shown]
	ds_load_2addr_stride64_b64 v[64:67], v91 offset0:16 offset1:20
	v_dual_mov_b32 v95, 32 :: v_dual_add_nc_u32 v90, 0x2000, v81
	v_dual_mov_b32 v99, 64 :: v_dual_add_nc_u32 v92, 0x2000, v91
	v_dual_mov_b32 v94, 24 :: v_dual_mov_b32 v101, 0x50
	v_dual_mov_b32 v96, 40 :: v_dual_mov_b32 v103, 0x60
	;; [unrolled: 1-line block ×3, first 2 shown]
	v_mov_b32_e32 v100, 0x48
	v_mov_b32_e32 v102, 0x58
	;; [unrolled: 1-line block ×20, first 2 shown]
	s_mov_b64 s[6:7], 0
	s_mov_b32 s20, -1
.LBB184_25:                             ; =>This Inner Loop Header: Depth=1
	scratch_load_b64 v[123:124], v82, off
	scratch_load_b64 v[125:126], v83, off
	;; [unrolled: 1-line block ×32, first 2 shown]
	s_cmp_eq_u32 s6, 1
	s_waitcnt lgkmcnt(16)
	v_max_f64 v[189:190], v[0:1], v[0:1]
	s_cselect_b32 vcc_lo, -1, 0
	v_max_f64 v[191:192], v[2:3], v[2:3]
	s_waitcnt lgkmcnt(0)
	v_dual_cndmask_b32 v188, v65, v67 :: v_dual_cndmask_b32 v187, v64, v66
	v_max_f64 v[193:194], v[4:5], v[4:5]
	v_max_f64 v[195:196], v[6:7], v[6:7]
	;; [unrolled: 1-line block ×31, first 2 shown]
	s_mov_b64 s[6:7], 1
	s_and_b32 vcc_lo, exec_lo, s20
	s_mov_b32 s20, 0
	v_min_f64 v[189:190], v[189:190], v[187:188]
	v_min_f64 v[191:192], v[191:192], v[187:188]
	;; [unrolled: 1-line block ×32, first 2 shown]
	s_waitcnt vmcnt(31)
	v_add_f64 v[123:124], v[123:124], v[189:190]
	s_waitcnt vmcnt(30)
	v_add_f64 v[125:126], v[191:192], v[125:126]
	;; [unrolled: 2-line block ×32, first 2 shown]
	scratch_store_b64 v82, v[123:124], off
	scratch_store_b64 v83, v[125:126], off
	;; [unrolled: 1-line block ×32, first 2 shown]
	v_mov_b32_e32 v82, 0x100
	v_mov_b32_e32 v83, 0x108
	;; [unrolled: 1-line block ×32, first 2 shown]
	s_cbranch_vccnz .LBB184_25
; %bb.26:
	v_dual_mov_b32 v83, 8 :: v_dual_add_nc_u32 v60, 0x800, v88
	ds_load_2addr_b64 v[0:3], v88 offset0:1 offset1:17
	ds_load_2addr_b64 v[4:7], v88 offset0:33 offset1:49
	;; [unrolled: 1-line block ×12, first 2 shown]
	v_dual_mov_b32 v93, 16 :: v_dual_add_nc_u32 v64, 8, v92
	ds_load_2addr_b64 v[48:51], v60 offset0:129 offset1:145
	ds_load_2addr_b64 v[52:55], v60 offset0:161 offset1:177
	;; [unrolled: 1-line block ×4, first 2 shown]
	ds_load_2addr_stride64_b64 v[64:67], v64 offset1:4
	v_dual_mov_b32 v82, 0 :: v_dual_mov_b32 v95, 32
	v_dual_mov_b32 v94, 24 :: v_dual_mov_b32 v97, 48
	;; [unrolled: 1-line block ×4, first 2 shown]
	v_mov_b32_e32 v100, 0x48
	v_mov_b32_e32 v102, 0x58
	;; [unrolled: 1-line block ×22, first 2 shown]
	s_mov_b64 s[6:7], 0
	s_mov_b32 s20, -1
.LBB184_27:                             ; =>This Inner Loop Header: Depth=1
	scratch_load_b64 v[123:124], v82, off
	scratch_load_b64 v[125:126], v83, off
	;; [unrolled: 1-line block ×32, first 2 shown]
	s_cmp_eq_u32 s6, 1
	s_waitcnt lgkmcnt(16)
	v_max_f64 v[189:190], v[0:1], v[0:1]
	s_cselect_b32 vcc_lo, -1, 0
	v_max_f64 v[191:192], v[2:3], v[2:3]
	s_waitcnt lgkmcnt(0)
	v_dual_cndmask_b32 v188, v65, v67 :: v_dual_cndmask_b32 v187, v64, v66
	v_max_f64 v[193:194], v[4:5], v[4:5]
	v_max_f64 v[195:196], v[6:7], v[6:7]
	;; [unrolled: 1-line block ×31, first 2 shown]
	s_mov_b64 s[6:7], 1
	s_and_b32 vcc_lo, exec_lo, s20
	s_mov_b32 s20, 0
	v_min_f64 v[189:190], v[189:190], v[187:188]
	v_min_f64 v[191:192], v[191:192], v[187:188]
	;; [unrolled: 1-line block ×32, first 2 shown]
	s_waitcnt vmcnt(31)
	v_add_f64 v[123:124], v[123:124], v[189:190]
	s_waitcnt vmcnt(30)
	v_add_f64 v[125:126], v[191:192], v[125:126]
	;; [unrolled: 2-line block ×32, first 2 shown]
	scratch_store_b64 v82, v[123:124], off
	scratch_store_b64 v83, v[125:126], off
	;; [unrolled: 1-line block ×32, first 2 shown]
	v_mov_b32_e32 v82, 0x100
	v_mov_b32_e32 v83, 0x108
	;; [unrolled: 1-line block ×32, first 2 shown]
	s_cbranch_vccnz .LBB184_27
; %bb.28:
	v_dual_mov_b32 v83, 8 :: v_dual_add_nc_u32 v60, 0x800, v88
	ds_load_2addr_b64 v[0:3], v88 offset0:2 offset1:18
	ds_load_2addr_b64 v[4:7], v88 offset0:34 offset1:50
	;; [unrolled: 1-line block ×12, first 2 shown]
	v_dual_mov_b32 v93, 16 :: v_dual_add_nc_u32 v64, 16, v92
	ds_load_2addr_b64 v[48:51], v60 offset0:130 offset1:146
	ds_load_2addr_b64 v[52:55], v60 offset0:162 offset1:178
	;; [unrolled: 1-line block ×4, first 2 shown]
	ds_load_2addr_stride64_b64 v[64:67], v64 offset1:4
	v_dual_mov_b32 v82, 0 :: v_dual_mov_b32 v95, 32
	v_dual_mov_b32 v94, 24 :: v_dual_mov_b32 v97, 48
	;; [unrolled: 1-line block ×4, first 2 shown]
	v_mov_b32_e32 v100, 0x48
	v_mov_b32_e32 v102, 0x58
	v_mov_b32_e32 v103, 0x60
	v_mov_b32_e32 v104, 0x68
	v_mov_b32_e32 v105, 0x70
	v_mov_b32_e32 v106, 0x78
	v_mov_b32_e32 v107, 0x80
	v_mov_b32_e32 v108, 0x88
	v_mov_b32_e32 v109, 0x90
	v_mov_b32_e32 v110, 0x98
	v_mov_b32_e32 v111, 0xa0
	v_mov_b32_e32 v112, 0xa8
	v_mov_b32_e32 v113, 0xb0
	v_mov_b32_e32 v114, 0xb8
	v_mov_b32_e32 v115, 0xc0
	v_mov_b32_e32 v116, 0xc8
	v_mov_b32_e32 v117, 0xd0
	v_mov_b32_e32 v118, 0xd8
	v_mov_b32_e32 v119, 0xe0
	v_mov_b32_e32 v120, 0xe8
	v_mov_b32_e32 v121, 0xf0
	v_mov_b32_e32 v122, 0xf8
	s_mov_b64 s[6:7], 0
	s_mov_b32 s20, -1
.LBB184_29:                             ; =>This Inner Loop Header: Depth=1
	scratch_load_b64 v[123:124], v82, off
	scratch_load_b64 v[125:126], v83, off
	;; [unrolled: 1-line block ×32, first 2 shown]
	s_cmp_eq_u32 s6, 1
	s_waitcnt lgkmcnt(16)
	v_max_f64 v[189:190], v[0:1], v[0:1]
	s_cselect_b32 vcc_lo, -1, 0
	v_max_f64 v[191:192], v[2:3], v[2:3]
	s_waitcnt lgkmcnt(0)
	v_dual_cndmask_b32 v188, v65, v67 :: v_dual_cndmask_b32 v187, v64, v66
	v_max_f64 v[193:194], v[4:5], v[4:5]
	v_max_f64 v[195:196], v[6:7], v[6:7]
	;; [unrolled: 1-line block ×31, first 2 shown]
	s_mov_b64 s[6:7], 1
	s_and_b32 vcc_lo, exec_lo, s20
	s_mov_b32 s20, 0
	v_min_f64 v[189:190], v[189:190], v[187:188]
	v_min_f64 v[191:192], v[191:192], v[187:188]
	;; [unrolled: 1-line block ×32, first 2 shown]
	s_waitcnt vmcnt(31)
	v_add_f64 v[123:124], v[123:124], v[189:190]
	s_waitcnt vmcnt(30)
	v_add_f64 v[125:126], v[191:192], v[125:126]
	;; [unrolled: 2-line block ×32, first 2 shown]
	scratch_store_b64 v82, v[123:124], off
	scratch_store_b64 v83, v[125:126], off
	;; [unrolled: 1-line block ×32, first 2 shown]
	v_mov_b32_e32 v82, 0x100
	v_mov_b32_e32 v83, 0x108
	;; [unrolled: 1-line block ×32, first 2 shown]
	s_cbranch_vccnz .LBB184_29
; %bb.30:
	v_dual_mov_b32 v83, 8 :: v_dual_add_nc_u32 v60, 0x800, v88
	ds_load_2addr_b64 v[0:3], v88 offset0:3 offset1:19
	ds_load_2addr_b64 v[4:7], v88 offset0:35 offset1:51
	;; [unrolled: 1-line block ×12, first 2 shown]
	v_dual_mov_b32 v93, 16 :: v_dual_add_nc_u32 v64, 24, v92
	ds_load_2addr_b64 v[48:51], v60 offset0:131 offset1:147
	ds_load_2addr_b64 v[52:55], v60 offset0:163 offset1:179
	;; [unrolled: 1-line block ×4, first 2 shown]
	ds_load_2addr_stride64_b64 v[64:67], v64 offset1:4
	v_dual_mov_b32 v82, 0 :: v_dual_mov_b32 v95, 32
	v_dual_mov_b32 v94, 24 :: v_dual_mov_b32 v97, 48
	;; [unrolled: 1-line block ×4, first 2 shown]
	v_mov_b32_e32 v100, 0x48
	v_mov_b32_e32 v102, 0x58
	;; [unrolled: 1-line block ×22, first 2 shown]
	s_mov_b64 s[6:7], 0
	s_mov_b32 s20, -1
.LBB184_31:                             ; =>This Inner Loop Header: Depth=1
	scratch_load_b64 v[123:124], v82, off
	scratch_load_b64 v[125:126], v83, off
	;; [unrolled: 1-line block ×32, first 2 shown]
	s_cmp_eq_u32 s6, 1
	s_waitcnt lgkmcnt(16)
	v_max_f64 v[189:190], v[0:1], v[0:1]
	s_cselect_b32 vcc_lo, -1, 0
	v_max_f64 v[191:192], v[2:3], v[2:3]
	s_waitcnt lgkmcnt(0)
	v_dual_cndmask_b32 v188, v65, v67 :: v_dual_cndmask_b32 v187, v64, v66
	v_max_f64 v[193:194], v[4:5], v[4:5]
	v_max_f64 v[195:196], v[6:7], v[6:7]
	;; [unrolled: 1-line block ×31, first 2 shown]
	s_mov_b64 s[6:7], 1
	s_and_b32 vcc_lo, exec_lo, s20
	s_mov_b32 s20, 0
	v_min_f64 v[189:190], v[189:190], v[187:188]
	v_min_f64 v[191:192], v[191:192], v[187:188]
	;; [unrolled: 1-line block ×32, first 2 shown]
	s_waitcnt vmcnt(31)
	v_add_f64 v[123:124], v[123:124], v[189:190]
	s_waitcnt vmcnt(30)
	v_add_f64 v[125:126], v[191:192], v[125:126]
	;; [unrolled: 2-line block ×32, first 2 shown]
	scratch_store_b64 v82, v[123:124], off
	scratch_store_b64 v83, v[125:126], off
	;; [unrolled: 1-line block ×32, first 2 shown]
	v_mov_b32_e32 v82, 0x100
	v_mov_b32_e32 v83, 0x108
	v_mov_b32_e32 v93, 0x110
	v_mov_b32_e32 v94, 0x118
	v_mov_b32_e32 v95, 0x120
	v_mov_b32_e32 v96, 0x128
	v_mov_b32_e32 v97, 0x130
	v_mov_b32_e32 v98, 0x138
	v_mov_b32_e32 v99, 0x140
	v_mov_b32_e32 v100, 0x148
	v_mov_b32_e32 v101, 0x150
	v_mov_b32_e32 v102, 0x158
	v_mov_b32_e32 v103, 0x160
	v_mov_b32_e32 v104, 0x168
	v_mov_b32_e32 v105, 0x170
	v_mov_b32_e32 v106, 0x178
	v_mov_b32_e32 v107, 0x180
	v_mov_b32_e32 v108, 0x188
	v_mov_b32_e32 v109, 0x190
	v_mov_b32_e32 v110, 0x198
	v_mov_b32_e32 v111, 0x1a0
	v_mov_b32_e32 v112, 0x1a8
	v_mov_b32_e32 v113, 0x1b0
	v_mov_b32_e32 v114, 0x1b8
	v_mov_b32_e32 v115, 0x1c0
	v_mov_b32_e32 v116, 0x1c8
	v_mov_b32_e32 v117, 0x1d0
	v_mov_b32_e32 v118, 0x1d8
	v_mov_b32_e32 v119, 0x1e0
	v_mov_b32_e32 v120, 0x1e8
	v_mov_b32_e32 v121, 0x1f0
	v_mov_b32_e32 v122, 0x1f8
	s_cbranch_vccnz .LBB184_31
; %bb.32:
	v_lshlrev_b32_e32 v0, 5, v78
	s_mov_b32 s20, 8
	s_cmp_gt_i32 s42, 8
	ds_store_2addr_stride64_b64 v81, v[76:77], v[74:75] offset0:24 offset1:28
	v_lshl_add_u32 v0, v86, 3, v0
	ds_store_2addr_stride64_b64 v0, v[72:73], v[70:71] offset0:8 offset1:12
	s_waitcnt lgkmcnt(0)
	s_waitcnt_vscnt null, 0x0
	s_barrier
	buffer_gl0_inv
	s_cbranch_scc0 .LBB184_67
; %bb.33:
	v_mad_i64_i32 v[1:2], null, v79, s21, 0
	v_mad_i64_i32 v[3:4], null, v80, s21, 0
	v_lshl_add_u32 v95, v84, 5, 0x1000
	v_lshlrev_b64 v[68:69], 3, v[68:69]
	v_or_b32_e32 v93, 0x1000, v0
	v_dual_mov_b32 v71, 0 :: v_dual_add_nc_u32 v94, 0x3000, v81
	v_lshlrev_b64 v[72:73], 3, v[1:2]
	v_lshlrev_b64 v[74:75], 3, v[3:4]
	v_lshl_add_u32 v96, v85, 5, 0x3000
	v_add_nc_u32_e32 v97, 0x800, v95
	s_add_i32 s21, s42, -8
	s_mov_b32 s22, 0
.LBB184_34:                             ; =>This Loop Header: Depth=1
                                        ;     Child Loop BB184_43 Depth 2
                                        ;     Child Loop BB184_45 Depth 2
	;; [unrolled: 1-line block ×8, first 2 shown]
	v_add_nc_u32_e32 v4, s20, v86
	v_mov_b32_e32 v76, 0
	v_mov_b32_e32 v77, 0
	s_delay_alu instid0(VALU_DEP_3) | instskip(NEXT) | instid1(VALU_DEP_2)
	v_mad_u64_u32 v[0:1], null, v4, s19, 0
	v_dual_mov_b32 v79, v77 :: v_dual_mov_b32 v78, v76
	s_delay_alu instid0(VALU_DEP_2) | instskip(NEXT) | instid1(VALU_DEP_1)
	v_mad_u64_u32 v[2:3], null, v4, s14, v[1:2]
	v_mov_b32_e32 v1, v2
	v_cmp_le_i32_e32 vcc_lo, s42, v4
	s_delay_alu instid0(VALU_DEP_2) | instskip(NEXT) | instid1(VALU_DEP_1)
	v_lshlrev_b64 v[0:1], 3, v[0:1]
	v_add_co_u32 v0, s6, s12, v0
	s_delay_alu instid0(VALU_DEP_1) | instskip(SKIP_1) | instid1(SALU_CYCLE_1)
	v_add_co_ci_u32_e64 v1, s6, s13, v1, s6
	s_or_b32 s6, s2, vcc_lo
	s_xor_b32 s6, s6, -1
	s_delay_alu instid0(SALU_CYCLE_1)
	s_and_saveexec_b32 s7, s6
	s_cbranch_execz .LBB184_36
; %bb.35:                               ;   in Loop: Header=BB184_34 Depth=1
	v_add_co_u32 v2, s6, v0, v68
	s_delay_alu instid0(VALU_DEP_1)
	v_add_co_ci_u32_e64 v3, s6, v1, v69, s6
	flat_load_b64 v[78:79], v[2:3]
.LBB184_36:                             ;   in Loop: Header=BB184_34 Depth=1
	s_or_b32 exec_lo, exec_lo, s7
	s_or_b32 s6, s3, vcc_lo
	s_delay_alu instid0(SALU_CYCLE_1) | instskip(NEXT) | instid1(SALU_CYCLE_1)
	s_xor_b32 s7, s6, -1
	s_and_saveexec_b32 s6, s7
	s_cbranch_execz .LBB184_38
; %bb.37:                               ;   in Loop: Header=BB184_34 Depth=1
	v_add_co_u32 v0, vcc_lo, v0, v68
	v_add_co_ci_u32_e32 v1, vcc_lo, v1, v69, vcc_lo
	flat_load_b64 v[76:77], v[0:1] offset:512
.LBB184_38:                             ;   in Loop: Header=BB184_34 Depth=1
	s_or_b32 exec_lo, exec_lo, s6
	v_or_b32_e32 v70, s20, v87
	v_mov_b32_e32 v80, 0
	v_mov_b32_e32 v81, 0
	s_delay_alu instid0(VALU_DEP_3) | instskip(SKIP_1) | instid1(VALU_DEP_3)
	v_lshlrev_b64 v[0:1], 3, v[70:71]
	v_cmp_le_i32_e32 vcc_lo, s42, v70
	v_dual_mov_b32 v83, v81 :: v_dual_mov_b32 v82, v80
	s_delay_alu instid0(VALU_DEP_3) | instskip(NEXT) | instid1(VALU_DEP_1)
	v_add_co_u32 v98, s6, s16, v0
	v_add_co_ci_u32_e64 v99, s6, s17, v1, s6
	s_or_b32 s6, s4, vcc_lo
	s_delay_alu instid0(SALU_CYCLE_1) | instskip(NEXT) | instid1(SALU_CYCLE_1)
	s_xor_b32 s6, s6, -1
	s_and_saveexec_b32 s7, s6
	s_cbranch_execz .LBB184_40
; %bb.39:                               ;   in Loop: Header=BB184_34 Depth=1
	v_add_co_u32 v0, s6, v98, v72
	s_delay_alu instid0(VALU_DEP_1)
	v_add_co_ci_u32_e64 v1, s6, v99, v73, s6
	flat_load_b64 v[82:83], v[0:1]
.LBB184_40:                             ;   in Loop: Header=BB184_34 Depth=1
	s_or_b32 exec_lo, exec_lo, s7
	s_or_b32 s6, s5, vcc_lo
	s_delay_alu instid0(SALU_CYCLE_1) | instskip(NEXT) | instid1(SALU_CYCLE_1)
	s_xor_b32 s7, s6, -1
	s_and_saveexec_b32 s6, s7
	s_cbranch_execz .LBB184_42
; %bb.41:                               ;   in Loop: Header=BB184_34 Depth=1
	v_add_co_u32 v0, vcc_lo, v98, v74
	v_add_co_ci_u32_e32 v1, vcc_lo, v99, v75, vcc_lo
	flat_load_b64 v[80:81], v[0:1]
.LBB184_42:                             ;   in Loop: Header=BB184_34 Depth=1
	s_or_b32 exec_lo, exec_lo, s6
	ds_load_2addr_b64 v[0:3], v95 offset1:16
	ds_load_2addr_b64 v[4:7], v95 offset0:32 offset1:48
	ds_load_2addr_b64 v[8:11], v95 offset0:64 offset1:80
	;; [unrolled: 1-line block ×7, first 2 shown]
	ds_load_2addr_b64 v[32:35], v97 offset1:16
	ds_load_2addr_b64 v[36:39], v97 offset0:32 offset1:48
	ds_load_2addr_b64 v[40:43], v97 offset0:64 offset1:80
	;; [unrolled: 1-line block ×7, first 2 shown]
	ds_load_2addr_stride64_b64 v[64:67], v96 offset1:4
	v_dual_mov_b32 v131, 0 :: v_dual_mov_b32 v130, 8
	v_dual_mov_b32 v129, 16 :: v_dual_mov_b32 v128, 24
	;; [unrolled: 1-line block ×5, first 2 shown]
	v_mov_b32_e32 v121, 0x50
	v_mov_b32_e32 v120, 0x58
	;; [unrolled: 1-line block ×22, first 2 shown]
	s_mov_b64 s[6:7], 0
	s_mov_b32 s23, -1
.LBB184_43:                             ;   Parent Loop BB184_34 Depth=1
                                        ; =>  This Inner Loop Header: Depth=2
	scratch_load_b64 v[136:137], v131, off
	s_cmp_eq_u32 s6, 1
	s_waitcnt lgkmcnt(16)
	v_max_f64 v[134:135], v[0:1], v[0:1]
	s_cselect_b32 vcc_lo, -1, 0
	s_mov_b64 s[6:7], 1
	s_waitcnt lgkmcnt(0)
	v_dual_cndmask_b32 v133, v65, v67 :: v_dual_cndmask_b32 v132, v64, v66
	s_and_b32 vcc_lo, exec_lo, s23
	s_mov_b32 s23, 0
	s_delay_alu instid0(VALU_DEP_1) | instskip(NEXT) | instid1(VALU_DEP_1)
	v_max_f64 v[132:133], v[132:133], v[132:133]
	v_min_f64 v[134:135], v[134:135], v[132:133]
	s_waitcnt vmcnt(0)
	s_delay_alu instid0(VALU_DEP_1) | instskip(SKIP_3) | instid1(VALU_DEP_1)
	v_add_f64 v[134:135], v[136:137], v[134:135]
	scratch_load_b64 v[136:137], v130, off
	scratch_store_b64 v131, v[134:135], off
	v_max_f64 v[134:135], v[2:3], v[2:3]
	v_min_f64 v[134:135], v[134:135], v[132:133]
	s_waitcnt vmcnt(0)
	s_delay_alu instid0(VALU_DEP_1) | instskip(SKIP_3) | instid1(VALU_DEP_1)
	v_add_f64 v[134:135], v[134:135], v[136:137]
	scratch_store_b64 v130, v[134:135], off
	scratch_load_b64 v[134:135], v129, off
	v_max_f64 v[130:131], v[4:5], v[4:5]
	v_min_f64 v[130:131], v[130:131], v[132:133]
	s_waitcnt vmcnt(0)
	s_delay_alu instid0(VALU_DEP_1) | instskip(SKIP_3) | instid1(VALU_DEP_1)
	v_add_f64 v[130:131], v[130:131], v[134:135]
	scratch_load_b64 v[134:135], v128, off
	scratch_store_b64 v129, v[130:131], off
	v_max_f64 v[129:130], v[6:7], v[6:7]
	v_min_f64 v[129:130], v[129:130], v[132:133]
	s_waitcnt vmcnt(0)
	s_delay_alu instid0(VALU_DEP_1) | instskip(SKIP_3) | instid1(VALU_DEP_1)
	v_add_f64 v[129:130], v[129:130], v[134:135]
	scratch_store_b64 v128, v[129:130], off
	scratch_load_b64 v[130:131], v127, off
	v_max_f64 v[128:129], v[8:9], v[8:9]
	v_min_f64 v[128:129], v[128:129], v[132:133]
	s_waitcnt vmcnt(0)
	s_delay_alu instid0(VALU_DEP_1) | instskip(SKIP_4) | instid1(VALU_DEP_1)
	v_add_f64 v[128:129], v[128:129], v[130:131]
	v_mov_b32_e32 v131, 0x100
	scratch_store_b64 v127, v[128:129], off
	scratch_load_b64 v[129:130], v126, off
	v_max_f64 v[127:128], v[10:11], v[10:11]
	v_min_f64 v[127:128], v[127:128], v[132:133]
	s_waitcnt vmcnt(0)
	s_delay_alu instid0(VALU_DEP_1) | instskip(SKIP_4) | instid1(VALU_DEP_1)
	v_add_f64 v[127:128], v[127:128], v[129:130]
	v_mov_b32_e32 v130, 0x108
	scratch_store_b64 v126, v[127:128], off
	scratch_load_b64 v[128:129], v125, off
	v_max_f64 v[126:127], v[12:13], v[12:13]
	v_min_f64 v[126:127], v[126:127], v[132:133]
	s_waitcnt vmcnt(0)
	s_delay_alu instid0(VALU_DEP_1) | instskip(SKIP_4) | instid1(VALU_DEP_1)
	v_add_f64 v[126:127], v[126:127], v[128:129]
	v_mov_b32_e32 v129, 0x110
	scratch_store_b64 v125, v[126:127], off
	scratch_load_b64 v[127:128], v124, off
	v_max_f64 v[125:126], v[14:15], v[14:15]
	v_min_f64 v[125:126], v[125:126], v[132:133]
	s_waitcnt vmcnt(0)
	s_delay_alu instid0(VALU_DEP_1) | instskip(SKIP_4) | instid1(VALU_DEP_1)
	v_add_f64 v[125:126], v[125:126], v[127:128]
	v_mov_b32_e32 v128, 0x118
	scratch_store_b64 v124, v[125:126], off
	scratch_load_b64 v[126:127], v123, off
	v_max_f64 v[124:125], v[16:17], v[16:17]
	v_min_f64 v[124:125], v[124:125], v[132:133]
	s_waitcnt vmcnt(0)
	s_delay_alu instid0(VALU_DEP_1) | instskip(SKIP_4) | instid1(VALU_DEP_1)
	v_add_f64 v[124:125], v[124:125], v[126:127]
	v_mov_b32_e32 v127, 0x120
	scratch_store_b64 v123, v[124:125], off
	scratch_load_b64 v[125:126], v122, off
	v_max_f64 v[123:124], v[18:19], v[18:19]
	v_min_f64 v[123:124], v[123:124], v[132:133]
	s_waitcnt vmcnt(0)
	s_delay_alu instid0(VALU_DEP_1) | instskip(SKIP_4) | instid1(VALU_DEP_1)
	v_add_f64 v[123:124], v[123:124], v[125:126]
	v_mov_b32_e32 v126, 0x128
	scratch_store_b64 v122, v[123:124], off
	scratch_load_b64 v[124:125], v121, off
	v_max_f64 v[122:123], v[20:21], v[20:21]
	v_min_f64 v[122:123], v[122:123], v[132:133]
	s_waitcnt vmcnt(0)
	s_delay_alu instid0(VALU_DEP_1) | instskip(SKIP_4) | instid1(VALU_DEP_1)
	v_add_f64 v[122:123], v[122:123], v[124:125]
	v_mov_b32_e32 v125, 0x130
	scratch_store_b64 v121, v[122:123], off
	scratch_load_b64 v[123:124], v120, off
	v_max_f64 v[121:122], v[22:23], v[22:23]
	v_min_f64 v[121:122], v[121:122], v[132:133]
	s_waitcnt vmcnt(0)
	s_delay_alu instid0(VALU_DEP_1) | instskip(SKIP_4) | instid1(VALU_DEP_1)
	v_add_f64 v[121:122], v[121:122], v[123:124]
	v_mov_b32_e32 v124, 0x138
	scratch_store_b64 v120, v[121:122], off
	scratch_load_b64 v[122:123], v119, off
	v_max_f64 v[120:121], v[24:25], v[24:25]
	v_min_f64 v[120:121], v[120:121], v[132:133]
	s_waitcnt vmcnt(0)
	s_delay_alu instid0(VALU_DEP_1) | instskip(SKIP_4) | instid1(VALU_DEP_1)
	v_add_f64 v[120:121], v[120:121], v[122:123]
	v_mov_b32_e32 v123, 0x140
	scratch_store_b64 v119, v[120:121], off
	scratch_load_b64 v[121:122], v118, off
	v_max_f64 v[119:120], v[26:27], v[26:27]
	v_min_f64 v[119:120], v[119:120], v[132:133]
	s_waitcnt vmcnt(0)
	s_delay_alu instid0(VALU_DEP_1) | instskip(SKIP_4) | instid1(VALU_DEP_1)
	v_add_f64 v[119:120], v[119:120], v[121:122]
	v_mov_b32_e32 v122, 0x148
	scratch_store_b64 v118, v[119:120], off
	scratch_load_b64 v[120:121], v117, off
	v_max_f64 v[118:119], v[28:29], v[28:29]
	v_min_f64 v[118:119], v[118:119], v[132:133]
	s_waitcnt vmcnt(0)
	s_delay_alu instid0(VALU_DEP_1) | instskip(SKIP_4) | instid1(VALU_DEP_1)
	v_add_f64 v[118:119], v[118:119], v[120:121]
	v_mov_b32_e32 v121, 0x150
	scratch_store_b64 v117, v[118:119], off
	scratch_load_b64 v[119:120], v116, off
	v_max_f64 v[117:118], v[30:31], v[30:31]
	v_min_f64 v[117:118], v[117:118], v[132:133]
	s_waitcnt vmcnt(0)
	s_delay_alu instid0(VALU_DEP_1) | instskip(SKIP_4) | instid1(VALU_DEP_1)
	v_add_f64 v[117:118], v[117:118], v[119:120]
	v_mov_b32_e32 v120, 0x158
	scratch_store_b64 v116, v[117:118], off
	scratch_load_b64 v[118:119], v115, off
	v_max_f64 v[116:117], v[32:33], v[32:33]
	v_min_f64 v[116:117], v[116:117], v[132:133]
	s_waitcnt vmcnt(0)
	s_delay_alu instid0(VALU_DEP_1) | instskip(SKIP_4) | instid1(VALU_DEP_1)
	v_add_f64 v[116:117], v[116:117], v[118:119]
	v_mov_b32_e32 v119, 0x160
	scratch_store_b64 v115, v[116:117], off
	scratch_load_b64 v[117:118], v114, off
	v_max_f64 v[115:116], v[34:35], v[34:35]
	v_min_f64 v[115:116], v[115:116], v[132:133]
	s_waitcnt vmcnt(0)
	s_delay_alu instid0(VALU_DEP_1) | instskip(SKIP_4) | instid1(VALU_DEP_1)
	v_add_f64 v[115:116], v[115:116], v[117:118]
	v_mov_b32_e32 v118, 0x168
	scratch_store_b64 v114, v[115:116], off
	scratch_load_b64 v[116:117], v113, off
	v_max_f64 v[114:115], v[36:37], v[36:37]
	v_min_f64 v[114:115], v[114:115], v[132:133]
	s_waitcnt vmcnt(0)
	s_delay_alu instid0(VALU_DEP_1) | instskip(SKIP_4) | instid1(VALU_DEP_1)
	v_add_f64 v[114:115], v[114:115], v[116:117]
	v_mov_b32_e32 v117, 0x170
	scratch_store_b64 v113, v[114:115], off
	scratch_load_b64 v[115:116], v112, off
	v_max_f64 v[113:114], v[38:39], v[38:39]
	v_min_f64 v[113:114], v[113:114], v[132:133]
	s_waitcnt vmcnt(0)
	s_delay_alu instid0(VALU_DEP_1) | instskip(SKIP_4) | instid1(VALU_DEP_1)
	v_add_f64 v[113:114], v[113:114], v[115:116]
	v_mov_b32_e32 v116, 0x178
	scratch_store_b64 v112, v[113:114], off
	scratch_load_b64 v[114:115], v111, off
	v_max_f64 v[112:113], v[40:41], v[40:41]
	v_min_f64 v[112:113], v[112:113], v[132:133]
	s_waitcnt vmcnt(0)
	s_delay_alu instid0(VALU_DEP_1) | instskip(SKIP_4) | instid1(VALU_DEP_1)
	v_add_f64 v[112:113], v[112:113], v[114:115]
	v_mov_b32_e32 v115, 0x180
	scratch_store_b64 v111, v[112:113], off
	scratch_load_b64 v[113:114], v110, off
	v_max_f64 v[111:112], v[42:43], v[42:43]
	v_min_f64 v[111:112], v[111:112], v[132:133]
	s_waitcnt vmcnt(0)
	s_delay_alu instid0(VALU_DEP_1) | instskip(SKIP_4) | instid1(VALU_DEP_1)
	v_add_f64 v[111:112], v[111:112], v[113:114]
	v_mov_b32_e32 v114, 0x188
	scratch_store_b64 v110, v[111:112], off
	scratch_load_b64 v[112:113], v109, off
	v_max_f64 v[110:111], v[44:45], v[44:45]
	v_min_f64 v[110:111], v[110:111], v[132:133]
	s_waitcnt vmcnt(0)
	s_delay_alu instid0(VALU_DEP_1) | instskip(SKIP_4) | instid1(VALU_DEP_1)
	v_add_f64 v[110:111], v[110:111], v[112:113]
	v_mov_b32_e32 v113, 0x190
	scratch_store_b64 v109, v[110:111], off
	scratch_load_b64 v[111:112], v108, off
	v_max_f64 v[109:110], v[46:47], v[46:47]
	v_min_f64 v[109:110], v[109:110], v[132:133]
	s_waitcnt vmcnt(0)
	s_delay_alu instid0(VALU_DEP_1) | instskip(SKIP_4) | instid1(VALU_DEP_1)
	v_add_f64 v[109:110], v[109:110], v[111:112]
	v_mov_b32_e32 v112, 0x198
	scratch_store_b64 v108, v[109:110], off
	scratch_load_b64 v[110:111], v107, off
	v_max_f64 v[108:109], v[48:49], v[48:49]
	v_min_f64 v[108:109], v[108:109], v[132:133]
	s_waitcnt vmcnt(0)
	s_delay_alu instid0(VALU_DEP_1) | instskip(SKIP_4) | instid1(VALU_DEP_1)
	v_add_f64 v[108:109], v[108:109], v[110:111]
	v_mov_b32_e32 v111, 0x1a0
	scratch_store_b64 v107, v[108:109], off
	scratch_load_b64 v[109:110], v106, off
	v_max_f64 v[107:108], v[50:51], v[50:51]
	v_min_f64 v[107:108], v[107:108], v[132:133]
	s_waitcnt vmcnt(0)
	s_delay_alu instid0(VALU_DEP_1) | instskip(SKIP_4) | instid1(VALU_DEP_1)
	v_add_f64 v[107:108], v[107:108], v[109:110]
	v_mov_b32_e32 v110, 0x1a8
	scratch_store_b64 v106, v[107:108], off
	scratch_load_b64 v[108:109], v105, off
	v_max_f64 v[106:107], v[52:53], v[52:53]
	v_min_f64 v[106:107], v[106:107], v[132:133]
	s_waitcnt vmcnt(0)
	s_delay_alu instid0(VALU_DEP_1) | instskip(SKIP_4) | instid1(VALU_DEP_1)
	v_add_f64 v[106:107], v[106:107], v[108:109]
	v_mov_b32_e32 v109, 0x1b0
	scratch_store_b64 v105, v[106:107], off
	scratch_load_b64 v[107:108], v104, off
	v_max_f64 v[105:106], v[54:55], v[54:55]
	v_min_f64 v[105:106], v[105:106], v[132:133]
	s_waitcnt vmcnt(0)
	s_delay_alu instid0(VALU_DEP_1) | instskip(SKIP_4) | instid1(VALU_DEP_1)
	v_add_f64 v[105:106], v[105:106], v[107:108]
	v_mov_b32_e32 v108, 0x1b8
	scratch_store_b64 v104, v[105:106], off
	scratch_load_b64 v[106:107], v103, off
	v_max_f64 v[104:105], v[56:57], v[56:57]
	v_min_f64 v[104:105], v[104:105], v[132:133]
	s_waitcnt vmcnt(0)
	s_delay_alu instid0(VALU_DEP_1) | instskip(SKIP_4) | instid1(VALU_DEP_1)
	v_add_f64 v[104:105], v[104:105], v[106:107]
	v_mov_b32_e32 v107, 0x1c0
	scratch_store_b64 v103, v[104:105], off
	scratch_load_b64 v[105:106], v102, off
	v_max_f64 v[103:104], v[58:59], v[58:59]
	v_min_f64 v[103:104], v[103:104], v[132:133]
	s_waitcnt vmcnt(0)
	s_delay_alu instid0(VALU_DEP_1) | instskip(SKIP_4) | instid1(VALU_DEP_1)
	v_add_f64 v[103:104], v[103:104], v[105:106]
	v_mov_b32_e32 v106, 0x1c8
	scratch_store_b64 v102, v[103:104], off
	scratch_load_b64 v[104:105], v101, off
	v_max_f64 v[102:103], v[60:61], v[60:61]
	v_min_f64 v[102:103], v[102:103], v[132:133]
	s_waitcnt vmcnt(0)
	s_delay_alu instid0(VALU_DEP_1) | instskip(SKIP_4) | instid1(VALU_DEP_1)
	v_add_f64 v[102:103], v[102:103], v[104:105]
	v_mov_b32_e32 v105, 0x1d0
	scratch_store_b64 v101, v[102:103], off
	scratch_load_b64 v[103:104], v100, off
	v_max_f64 v[101:102], v[62:63], v[62:63]
	v_min_f64 v[101:102], v[101:102], v[132:133]
	s_waitcnt vmcnt(0)
	s_delay_alu instid0(VALU_DEP_1)
	v_add_f64 v[101:102], v[101:102], v[103:104]
	v_mov_b32_e32 v104, 0x1d8
	v_mov_b32_e32 v103, 0x1e0
	scratch_store_b64 v100, v[101:102], off
	v_mov_b32_e32 v102, 0x1e8
	v_mov_b32_e32 v101, 0x1f0
	;; [unrolled: 1-line block ×3, first 2 shown]
	s_cbranch_vccnz .LBB184_43
; %bb.44:                               ;   in Loop: Header=BB184_34 Depth=1
	ds_load_2addr_b64 v[0:3], v95 offset0:1 offset1:17
	ds_load_2addr_b64 v[4:7], v95 offset0:33 offset1:49
	;; [unrolled: 1-line block ×12, first 2 shown]
	v_dual_mov_b32 v131, 0 :: v_dual_add_nc_u32 v64, 8, v96
	ds_load_2addr_b64 v[48:51], v97 offset0:129 offset1:145
	ds_load_2addr_b64 v[52:55], v97 offset0:161 offset1:177
	;; [unrolled: 1-line block ×4, first 2 shown]
	ds_load_2addr_stride64_b64 v[64:67], v64 offset1:4
	v_dual_mov_b32 v130, 8 :: v_dual_mov_b32 v129, 16
	v_dual_mov_b32 v128, 24 :: v_dual_mov_b32 v127, 32
	;; [unrolled: 1-line block ×4, first 2 shown]
	v_mov_b32_e32 v122, 0x48
	v_mov_b32_e32 v121, 0x50
	;; [unrolled: 1-line block ×23, first 2 shown]
	s_mov_b64 s[6:7], 0
	s_mov_b32 s23, -1
.LBB184_45:                             ;   Parent Loop BB184_34 Depth=1
                                        ; =>  This Inner Loop Header: Depth=2
	scratch_load_b64 v[136:137], v131, off
	s_cmp_eq_u32 s6, 1
	s_waitcnt lgkmcnt(16)
	v_max_f64 v[134:135], v[0:1], v[0:1]
	s_cselect_b32 vcc_lo, -1, 0
	s_mov_b64 s[6:7], 1
	s_waitcnt lgkmcnt(0)
	v_dual_cndmask_b32 v133, v65, v67 :: v_dual_cndmask_b32 v132, v64, v66
	s_and_b32 vcc_lo, exec_lo, s23
	s_mov_b32 s23, 0
	s_delay_alu instid0(VALU_DEP_1) | instskip(NEXT) | instid1(VALU_DEP_1)
	v_max_f64 v[132:133], v[132:133], v[132:133]
	v_min_f64 v[134:135], v[134:135], v[132:133]
	s_waitcnt vmcnt(0)
	s_delay_alu instid0(VALU_DEP_1) | instskip(SKIP_3) | instid1(VALU_DEP_1)
	v_add_f64 v[134:135], v[136:137], v[134:135]
	scratch_load_b64 v[136:137], v130, off
	scratch_store_b64 v131, v[134:135], off
	v_max_f64 v[134:135], v[2:3], v[2:3]
	v_min_f64 v[134:135], v[134:135], v[132:133]
	s_waitcnt vmcnt(0)
	s_delay_alu instid0(VALU_DEP_1) | instskip(SKIP_3) | instid1(VALU_DEP_1)
	v_add_f64 v[134:135], v[134:135], v[136:137]
	scratch_store_b64 v130, v[134:135], off
	scratch_load_b64 v[134:135], v129, off
	v_max_f64 v[130:131], v[4:5], v[4:5]
	v_min_f64 v[130:131], v[130:131], v[132:133]
	s_waitcnt vmcnt(0)
	s_delay_alu instid0(VALU_DEP_1) | instskip(SKIP_3) | instid1(VALU_DEP_1)
	v_add_f64 v[130:131], v[130:131], v[134:135]
	scratch_load_b64 v[134:135], v128, off
	scratch_store_b64 v129, v[130:131], off
	v_max_f64 v[129:130], v[6:7], v[6:7]
	v_min_f64 v[129:130], v[129:130], v[132:133]
	s_waitcnt vmcnt(0)
	s_delay_alu instid0(VALU_DEP_1) | instskip(SKIP_3) | instid1(VALU_DEP_1)
	v_add_f64 v[129:130], v[129:130], v[134:135]
	scratch_store_b64 v128, v[129:130], off
	scratch_load_b64 v[130:131], v127, off
	v_max_f64 v[128:129], v[8:9], v[8:9]
	v_min_f64 v[128:129], v[128:129], v[132:133]
	s_waitcnt vmcnt(0)
	s_delay_alu instid0(VALU_DEP_1) | instskip(SKIP_4) | instid1(VALU_DEP_1)
	v_add_f64 v[128:129], v[128:129], v[130:131]
	v_mov_b32_e32 v131, 0x100
	scratch_store_b64 v127, v[128:129], off
	scratch_load_b64 v[129:130], v126, off
	v_max_f64 v[127:128], v[10:11], v[10:11]
	v_min_f64 v[127:128], v[127:128], v[132:133]
	s_waitcnt vmcnt(0)
	s_delay_alu instid0(VALU_DEP_1) | instskip(SKIP_4) | instid1(VALU_DEP_1)
	v_add_f64 v[127:128], v[127:128], v[129:130]
	v_mov_b32_e32 v130, 0x108
	;; [unrolled: 8-line block ×27, first 2 shown]
	scratch_store_b64 v101, v[102:103], off
	scratch_load_b64 v[103:104], v100, off
	v_max_f64 v[101:102], v[62:63], v[62:63]
	v_min_f64 v[101:102], v[101:102], v[132:133]
	s_waitcnt vmcnt(0)
	s_delay_alu instid0(VALU_DEP_1)
	v_add_f64 v[101:102], v[101:102], v[103:104]
	v_mov_b32_e32 v104, 0x1d8
	v_mov_b32_e32 v103, 0x1e0
	scratch_store_b64 v100, v[101:102], off
	v_mov_b32_e32 v102, 0x1e8
	v_mov_b32_e32 v101, 0x1f0
	;; [unrolled: 1-line block ×3, first 2 shown]
	s_cbranch_vccnz .LBB184_45
; %bb.46:                               ;   in Loop: Header=BB184_34 Depth=1
	ds_load_2addr_b64 v[0:3], v95 offset0:2 offset1:18
	ds_load_2addr_b64 v[4:7], v95 offset0:34 offset1:50
	;; [unrolled: 1-line block ×12, first 2 shown]
	v_dual_mov_b32 v131, 0 :: v_dual_add_nc_u32 v64, 16, v96
	ds_load_2addr_b64 v[48:51], v97 offset0:130 offset1:146
	ds_load_2addr_b64 v[52:55], v97 offset0:162 offset1:178
	;; [unrolled: 1-line block ×4, first 2 shown]
	ds_load_2addr_stride64_b64 v[64:67], v64 offset1:4
	v_dual_mov_b32 v130, 8 :: v_dual_mov_b32 v129, 16
	v_dual_mov_b32 v128, 24 :: v_dual_mov_b32 v127, 32
	;; [unrolled: 1-line block ×4, first 2 shown]
	v_mov_b32_e32 v122, 0x48
	v_mov_b32_e32 v121, 0x50
	;; [unrolled: 1-line block ×23, first 2 shown]
	s_mov_b64 s[6:7], 0
	s_mov_b32 s23, -1
.LBB184_47:                             ;   Parent Loop BB184_34 Depth=1
                                        ; =>  This Inner Loop Header: Depth=2
	scratch_load_b64 v[136:137], v131, off
	s_cmp_eq_u32 s6, 1
	s_waitcnt lgkmcnt(16)
	v_max_f64 v[134:135], v[0:1], v[0:1]
	s_cselect_b32 vcc_lo, -1, 0
	s_mov_b64 s[6:7], 1
	s_waitcnt lgkmcnt(0)
	v_dual_cndmask_b32 v133, v65, v67 :: v_dual_cndmask_b32 v132, v64, v66
	s_and_b32 vcc_lo, exec_lo, s23
	s_mov_b32 s23, 0
	s_delay_alu instid0(VALU_DEP_1) | instskip(NEXT) | instid1(VALU_DEP_1)
	v_max_f64 v[132:133], v[132:133], v[132:133]
	v_min_f64 v[134:135], v[134:135], v[132:133]
	s_waitcnt vmcnt(0)
	s_delay_alu instid0(VALU_DEP_1) | instskip(SKIP_3) | instid1(VALU_DEP_1)
	v_add_f64 v[134:135], v[136:137], v[134:135]
	scratch_load_b64 v[136:137], v130, off
	scratch_store_b64 v131, v[134:135], off
	v_max_f64 v[134:135], v[2:3], v[2:3]
	v_min_f64 v[134:135], v[134:135], v[132:133]
	s_waitcnt vmcnt(0)
	s_delay_alu instid0(VALU_DEP_1) | instskip(SKIP_3) | instid1(VALU_DEP_1)
	v_add_f64 v[134:135], v[134:135], v[136:137]
	scratch_store_b64 v130, v[134:135], off
	scratch_load_b64 v[134:135], v129, off
	v_max_f64 v[130:131], v[4:5], v[4:5]
	v_min_f64 v[130:131], v[130:131], v[132:133]
	s_waitcnt vmcnt(0)
	s_delay_alu instid0(VALU_DEP_1) | instskip(SKIP_3) | instid1(VALU_DEP_1)
	v_add_f64 v[130:131], v[130:131], v[134:135]
	scratch_load_b64 v[134:135], v128, off
	scratch_store_b64 v129, v[130:131], off
	v_max_f64 v[129:130], v[6:7], v[6:7]
	v_min_f64 v[129:130], v[129:130], v[132:133]
	s_waitcnt vmcnt(0)
	s_delay_alu instid0(VALU_DEP_1) | instskip(SKIP_3) | instid1(VALU_DEP_1)
	v_add_f64 v[129:130], v[129:130], v[134:135]
	scratch_store_b64 v128, v[129:130], off
	scratch_load_b64 v[130:131], v127, off
	v_max_f64 v[128:129], v[8:9], v[8:9]
	v_min_f64 v[128:129], v[128:129], v[132:133]
	s_waitcnt vmcnt(0)
	s_delay_alu instid0(VALU_DEP_1) | instskip(SKIP_4) | instid1(VALU_DEP_1)
	v_add_f64 v[128:129], v[128:129], v[130:131]
	v_mov_b32_e32 v131, 0x100
	scratch_store_b64 v127, v[128:129], off
	scratch_load_b64 v[129:130], v126, off
	v_max_f64 v[127:128], v[10:11], v[10:11]
	v_min_f64 v[127:128], v[127:128], v[132:133]
	s_waitcnt vmcnt(0)
	s_delay_alu instid0(VALU_DEP_1) | instskip(SKIP_4) | instid1(VALU_DEP_1)
	v_add_f64 v[127:128], v[127:128], v[129:130]
	v_mov_b32_e32 v130, 0x108
	;; [unrolled: 8-line block ×27, first 2 shown]
	scratch_store_b64 v101, v[102:103], off
	scratch_load_b64 v[103:104], v100, off
	v_max_f64 v[101:102], v[62:63], v[62:63]
	v_min_f64 v[101:102], v[101:102], v[132:133]
	s_waitcnt vmcnt(0)
	s_delay_alu instid0(VALU_DEP_1)
	v_add_f64 v[101:102], v[101:102], v[103:104]
	v_mov_b32_e32 v104, 0x1d8
	v_mov_b32_e32 v103, 0x1e0
	scratch_store_b64 v100, v[101:102], off
	v_mov_b32_e32 v102, 0x1e8
	v_mov_b32_e32 v101, 0x1f0
	;; [unrolled: 1-line block ×3, first 2 shown]
	s_cbranch_vccnz .LBB184_47
; %bb.48:                               ;   in Loop: Header=BB184_34 Depth=1
	ds_load_2addr_b64 v[0:3], v95 offset0:3 offset1:19
	ds_load_2addr_b64 v[4:7], v95 offset0:35 offset1:51
	;; [unrolled: 1-line block ×12, first 2 shown]
	v_dual_mov_b32 v131, 0 :: v_dual_add_nc_u32 v64, 24, v96
	ds_load_2addr_b64 v[48:51], v97 offset0:131 offset1:147
	ds_load_2addr_b64 v[52:55], v97 offset0:163 offset1:179
	;; [unrolled: 1-line block ×4, first 2 shown]
	ds_load_2addr_stride64_b64 v[64:67], v64 offset1:4
	v_dual_mov_b32 v130, 8 :: v_dual_mov_b32 v129, 16
	v_dual_mov_b32 v128, 24 :: v_dual_mov_b32 v127, 32
	v_dual_mov_b32 v126, 40 :: v_dual_mov_b32 v125, 48
	v_dual_mov_b32 v124, 56 :: v_dual_mov_b32 v123, 64
	v_mov_b32_e32 v122, 0x48
	v_mov_b32_e32 v121, 0x50
	;; [unrolled: 1-line block ×23, first 2 shown]
	s_mov_b64 s[6:7], 0
	s_mov_b32 s23, -1
.LBB184_49:                             ;   Parent Loop BB184_34 Depth=1
                                        ; =>  This Inner Loop Header: Depth=2
	scratch_load_b64 v[136:137], v131, off
	s_cmp_eq_u32 s6, 1
	s_waitcnt lgkmcnt(16)
	v_max_f64 v[134:135], v[0:1], v[0:1]
	s_cselect_b32 vcc_lo, -1, 0
	s_mov_b64 s[6:7], 1
	s_waitcnt lgkmcnt(0)
	v_dual_cndmask_b32 v133, v65, v67 :: v_dual_cndmask_b32 v132, v64, v66
	s_and_b32 vcc_lo, exec_lo, s23
	s_mov_b32 s23, 0
	s_delay_alu instid0(VALU_DEP_1) | instskip(NEXT) | instid1(VALU_DEP_1)
	v_max_f64 v[132:133], v[132:133], v[132:133]
	v_min_f64 v[134:135], v[134:135], v[132:133]
	s_waitcnt vmcnt(0)
	s_delay_alu instid0(VALU_DEP_1) | instskip(SKIP_3) | instid1(VALU_DEP_1)
	v_add_f64 v[134:135], v[136:137], v[134:135]
	scratch_load_b64 v[136:137], v130, off
	scratch_store_b64 v131, v[134:135], off
	v_max_f64 v[134:135], v[2:3], v[2:3]
	v_min_f64 v[134:135], v[134:135], v[132:133]
	s_waitcnt vmcnt(0)
	s_delay_alu instid0(VALU_DEP_1) | instskip(SKIP_3) | instid1(VALU_DEP_1)
	v_add_f64 v[134:135], v[134:135], v[136:137]
	scratch_store_b64 v130, v[134:135], off
	scratch_load_b64 v[134:135], v129, off
	v_max_f64 v[130:131], v[4:5], v[4:5]
	v_min_f64 v[130:131], v[130:131], v[132:133]
	s_waitcnt vmcnt(0)
	s_delay_alu instid0(VALU_DEP_1) | instskip(SKIP_3) | instid1(VALU_DEP_1)
	v_add_f64 v[130:131], v[130:131], v[134:135]
	scratch_load_b64 v[134:135], v128, off
	scratch_store_b64 v129, v[130:131], off
	v_max_f64 v[129:130], v[6:7], v[6:7]
	v_min_f64 v[129:130], v[129:130], v[132:133]
	s_waitcnt vmcnt(0)
	s_delay_alu instid0(VALU_DEP_1) | instskip(SKIP_3) | instid1(VALU_DEP_1)
	v_add_f64 v[129:130], v[129:130], v[134:135]
	scratch_store_b64 v128, v[129:130], off
	scratch_load_b64 v[130:131], v127, off
	v_max_f64 v[128:129], v[8:9], v[8:9]
	v_min_f64 v[128:129], v[128:129], v[132:133]
	s_waitcnt vmcnt(0)
	s_delay_alu instid0(VALU_DEP_1) | instskip(SKIP_4) | instid1(VALU_DEP_1)
	v_add_f64 v[128:129], v[128:129], v[130:131]
	v_mov_b32_e32 v131, 0x100
	scratch_store_b64 v127, v[128:129], off
	scratch_load_b64 v[129:130], v126, off
	v_max_f64 v[127:128], v[10:11], v[10:11]
	v_min_f64 v[127:128], v[127:128], v[132:133]
	s_waitcnt vmcnt(0)
	s_delay_alu instid0(VALU_DEP_1) | instskip(SKIP_4) | instid1(VALU_DEP_1)
	v_add_f64 v[127:128], v[127:128], v[129:130]
	v_mov_b32_e32 v130, 0x108
	;; [unrolled: 8-line block ×27, first 2 shown]
	scratch_store_b64 v101, v[102:103], off
	scratch_load_b64 v[103:104], v100, off
	v_max_f64 v[101:102], v[62:63], v[62:63]
	v_min_f64 v[101:102], v[101:102], v[132:133]
	s_waitcnt vmcnt(0)
	s_delay_alu instid0(VALU_DEP_1)
	v_add_f64 v[101:102], v[101:102], v[103:104]
	v_mov_b32_e32 v104, 0x1d8
	v_mov_b32_e32 v103, 0x1e0
	scratch_store_b64 v100, v[101:102], off
	v_mov_b32_e32 v102, 0x1e8
	v_mov_b32_e32 v101, 0x1f0
	;; [unrolled: 1-line block ×3, first 2 shown]
	s_cbranch_vccnz .LBB184_49
; %bb.50:                               ;   in Loop: Header=BB184_34 Depth=1
	v_add3_u32 v4, v86, s20, 4
	ds_store_2addr_stride64_b64 v89, v[78:79], v[76:77] offset1:4
	ds_store_2addr_stride64_b64 v90, v[82:83], v[80:81] offset1:4
	s_waitcnt lgkmcnt(0)
	s_waitcnt_vscnt null, 0x0
	s_barrier
	v_mad_u64_u32 v[0:1], null, v4, s19, 0
	v_cmp_le_i32_e32 vcc_lo, s42, v4
	buffer_gl0_inv
	v_mov_b32_e32 v76, 0
	v_mov_b32_e32 v77, 0
	v_mad_u64_u32 v[2:3], null, v4, s14, v[1:2]
	s_delay_alu instid0(VALU_DEP_2) | instskip(NEXT) | instid1(VALU_DEP_2)
	v_dual_mov_b32 v79, v77 :: v_dual_mov_b32 v78, v76
	v_mov_b32_e32 v1, v2
	s_delay_alu instid0(VALU_DEP_1) | instskip(NEXT) | instid1(VALU_DEP_1)
	v_lshlrev_b64 v[0:1], 3, v[0:1]
	v_add_co_u32 v0, s6, s12, v0
	s_delay_alu instid0(VALU_DEP_1) | instskip(SKIP_1) | instid1(SALU_CYCLE_1)
	v_add_co_ci_u32_e64 v1, s6, s13, v1, s6
	s_or_b32 s6, s2, vcc_lo
	s_xor_b32 s6, s6, -1
	s_delay_alu instid0(SALU_CYCLE_1) | instskip(NEXT) | instid1(SALU_CYCLE_1)
	s_and_saveexec_b32 s7, s6
	s_xor_b32 s7, exec_lo, s7
	s_cbranch_execz .LBB184_52
; %bb.51:                               ;   in Loop: Header=BB184_34 Depth=1
	v_add_co_u32 v2, s6, v0, v68
	s_delay_alu instid0(VALU_DEP_1)
	v_add_co_ci_u32_e64 v3, s6, v1, v69, s6
	flat_load_b64 v[78:79], v[2:3]
.LBB184_52:                             ;   in Loop: Header=BB184_34 Depth=1
	s_or_b32 exec_lo, exec_lo, s7
	s_or_b32 s6, s3, vcc_lo
	s_delay_alu instid0(SALU_CYCLE_1) | instskip(NEXT) | instid1(SALU_CYCLE_1)
	s_xor_b32 s7, s6, -1
	s_and_saveexec_b32 s6, s7
	s_cbranch_execz .LBB184_54
; %bb.53:                               ;   in Loop: Header=BB184_34 Depth=1
	v_add_co_u32 v0, vcc_lo, v0, v68
	v_add_co_ci_u32_e32 v1, vcc_lo, v1, v69, vcc_lo
	flat_load_b64 v[76:77], v[0:1] offset:512
.LBB184_54:                             ;   in Loop: Header=BB184_34 Depth=1
	s_or_b32 exec_lo, exec_lo, s6
	v_or_b32_e32 v0, 4, v70
	v_mov_b32_e32 v80, 0
	v_mov_b32_e32 v81, 0
	s_delay_alu instid0(VALU_DEP_3) | instskip(NEXT) | instid1(VALU_DEP_2)
	v_cmp_le_i32_e32 vcc_lo, s42, v0
	v_dual_mov_b32 v83, v81 :: v_dual_mov_b32 v82, v80
	s_or_b32 s6, s4, vcc_lo
	s_delay_alu instid0(SALU_CYCLE_1) | instskip(NEXT) | instid1(SALU_CYCLE_1)
	s_xor_b32 s6, s6, -1
	s_and_saveexec_b32 s7, s6
	s_cbranch_execz .LBB184_56
; %bb.55:                               ;   in Loop: Header=BB184_34 Depth=1
	v_add_co_u32 v0, s6, v98, v72
	s_delay_alu instid0(VALU_DEP_1)
	v_add_co_ci_u32_e64 v1, s6, v99, v73, s6
	flat_load_b64 v[82:83], v[0:1] offset:32
.LBB184_56:                             ;   in Loop: Header=BB184_34 Depth=1
	s_or_b32 exec_lo, exec_lo, s7
	s_or_b32 s6, s5, vcc_lo
	s_delay_alu instid0(SALU_CYCLE_1) | instskip(NEXT) | instid1(SALU_CYCLE_1)
	s_xor_b32 s7, s6, -1
	s_and_saveexec_b32 s6, s7
	s_cbranch_execz .LBB184_58
; %bb.57:                               ;   in Loop: Header=BB184_34 Depth=1
	v_add_co_u32 v0, vcc_lo, v98, v74
	v_add_co_ci_u32_e32 v1, vcc_lo, v99, v75, vcc_lo
	flat_load_b64 v[80:81], v[0:1] offset:32
.LBB184_58:                             ;   in Loop: Header=BB184_34 Depth=1
	s_or_b32 exec_lo, exec_lo, s6
	v_dual_mov_b32 v129, 0 :: v_dual_add_nc_u32 v70, 0x800, v88
	ds_load_2addr_b64 v[0:3], v88 offset1:16
	ds_load_2addr_b64 v[4:7], v88 offset0:32 offset1:48
	ds_load_2addr_b64 v[8:11], v88 offset0:64 offset1:80
	;; [unrolled: 1-line block ×7, first 2 shown]
	ds_load_2addr_b64 v[32:35], v70 offset1:16
	ds_load_2addr_b64 v[36:39], v70 offset0:32 offset1:48
	ds_load_2addr_b64 v[40:43], v70 offset0:64 offset1:80
	ds_load_2addr_b64 v[44:47], v70 offset0:96 offset1:112
	ds_load_2addr_b64 v[48:51], v70 offset0:128 offset1:144
	ds_load_2addr_b64 v[52:55], v70 offset0:160 offset1:176
	ds_load_2addr_b64 v[56:59], v70 offset0:192 offset1:208
	ds_load_2addr_b64 v[60:63], v70 offset0:224 offset1:240
	ds_load_2addr_stride64_b64 v[64:67], v92 offset1:4
	v_dual_mov_b32 v128, 8 :: v_dual_mov_b32 v127, 16
	v_dual_mov_b32 v126, 24 :: v_dual_mov_b32 v125, 32
	;; [unrolled: 1-line block ×4, first 2 shown]
	v_mov_b32_e32 v120, 0x48
	v_mov_b32_e32 v119, 0x50
	v_mov_b32_e32 v118, 0x58
	v_mov_b32_e32 v117, 0x60
	v_mov_b32_e32 v116, 0x68
	v_mov_b32_e32 v115, 0x70
	v_mov_b32_e32 v114, 0x78
	v_mov_b32_e32 v113, 0x80
	v_mov_b32_e32 v112, 0x88
	v_mov_b32_e32 v111, 0x90
	v_mov_b32_e32 v110, 0x98
	v_mov_b32_e32 v109, 0xa0
	v_mov_b32_e32 v108, 0xa8
	v_mov_b32_e32 v107, 0xb0
	v_mov_b32_e32 v106, 0xb8
	v_mov_b32_e32 v105, 0xc0
	v_mov_b32_e32 v104, 0xc8
	v_mov_b32_e32 v103, 0xd0
	v_mov_b32_e32 v102, 0xd8
	v_mov_b32_e32 v101, 0xe0
	v_mov_b32_e32 v100, 0xe8
	v_mov_b32_e32 v99, 0xf0
	v_mov_b32_e32 v98, 0xf8
	s_mov_b64 s[6:7], 0
	s_mov_b32 s23, -1
.LBB184_59:                             ;   Parent Loop BB184_34 Depth=1
                                        ; =>  This Inner Loop Header: Depth=2
	scratch_load_b64 v[134:135], v129, off
	s_cmp_eq_u32 s6, 1
	s_waitcnt lgkmcnt(16)
	v_max_f64 v[132:133], v[0:1], v[0:1]
	s_cselect_b32 vcc_lo, -1, 0
	s_mov_b64 s[6:7], 1
	s_waitcnt lgkmcnt(0)
	v_dual_cndmask_b32 v131, v65, v67 :: v_dual_cndmask_b32 v130, v64, v66
	s_and_b32 vcc_lo, exec_lo, s23
	s_mov_b32 s23, 0
	s_delay_alu instid0(VALU_DEP_1) | instskip(NEXT) | instid1(VALU_DEP_1)
	v_max_f64 v[130:131], v[130:131], v[130:131]
	v_min_f64 v[132:133], v[132:133], v[130:131]
	s_waitcnt vmcnt(0)
	s_delay_alu instid0(VALU_DEP_1) | instskip(SKIP_3) | instid1(VALU_DEP_1)
	v_add_f64 v[132:133], v[134:135], v[132:133]
	scratch_load_b64 v[134:135], v128, off
	scratch_store_b64 v129, v[132:133], off
	v_max_f64 v[132:133], v[2:3], v[2:3]
	v_min_f64 v[132:133], v[132:133], v[130:131]
	s_waitcnt vmcnt(0)
	s_delay_alu instid0(VALU_DEP_1) | instskip(SKIP_3) | instid1(VALU_DEP_1)
	v_add_f64 v[132:133], v[132:133], v[134:135]
	scratch_store_b64 v128, v[132:133], off
	scratch_load_b64 v[132:133], v127, off
	v_max_f64 v[128:129], v[4:5], v[4:5]
	v_min_f64 v[128:129], v[128:129], v[130:131]
	s_waitcnt vmcnt(0)
	s_delay_alu instid0(VALU_DEP_1) | instskip(SKIP_3) | instid1(VALU_DEP_1)
	v_add_f64 v[128:129], v[128:129], v[132:133]
	scratch_load_b64 v[132:133], v126, off
	scratch_store_b64 v127, v[128:129], off
	v_max_f64 v[127:128], v[6:7], v[6:7]
	v_min_f64 v[127:128], v[127:128], v[130:131]
	s_waitcnt vmcnt(0)
	s_delay_alu instid0(VALU_DEP_1) | instskip(SKIP_3) | instid1(VALU_DEP_1)
	v_add_f64 v[127:128], v[127:128], v[132:133]
	scratch_store_b64 v126, v[127:128], off
	scratch_load_b64 v[128:129], v125, off
	v_max_f64 v[126:127], v[8:9], v[8:9]
	v_min_f64 v[126:127], v[126:127], v[130:131]
	s_waitcnt vmcnt(0)
	s_delay_alu instid0(VALU_DEP_1) | instskip(SKIP_4) | instid1(VALU_DEP_1)
	v_add_f64 v[126:127], v[126:127], v[128:129]
	v_mov_b32_e32 v129, 0x100
	scratch_store_b64 v125, v[126:127], off
	scratch_load_b64 v[127:128], v124, off
	v_max_f64 v[125:126], v[10:11], v[10:11]
	v_min_f64 v[125:126], v[125:126], v[130:131]
	s_waitcnt vmcnt(0)
	s_delay_alu instid0(VALU_DEP_1) | instskip(SKIP_4) | instid1(VALU_DEP_1)
	v_add_f64 v[125:126], v[125:126], v[127:128]
	v_mov_b32_e32 v128, 0x108
	;; [unrolled: 8-line block ×27, first 2 shown]
	scratch_store_b64 v99, v[100:101], off
	scratch_load_b64 v[101:102], v98, off
	v_max_f64 v[99:100], v[62:63], v[62:63]
	v_min_f64 v[99:100], v[99:100], v[130:131]
	s_waitcnt vmcnt(0)
	s_delay_alu instid0(VALU_DEP_1)
	v_add_f64 v[99:100], v[99:100], v[101:102]
	v_mov_b32_e32 v102, 0x1d8
	v_mov_b32_e32 v101, 0x1e0
	scratch_store_b64 v98, v[99:100], off
	v_mov_b32_e32 v100, 0x1e8
	v_mov_b32_e32 v99, 0x1f0
	;; [unrolled: 1-line block ×3, first 2 shown]
	s_cbranch_vccnz .LBB184_59
; %bb.60:                               ;   in Loop: Header=BB184_34 Depth=1
	ds_load_2addr_b64 v[0:3], v88 offset0:1 offset1:17
	ds_load_2addr_b64 v[4:7], v88 offset0:33 offset1:49
	;; [unrolled: 1-line block ×12, first 2 shown]
	v_dual_mov_b32 v129, 0 :: v_dual_add_nc_u32 v64, 8, v92
	ds_load_2addr_b64 v[48:51], v70 offset0:129 offset1:145
	ds_load_2addr_b64 v[52:55], v70 offset0:161 offset1:177
	;; [unrolled: 1-line block ×4, first 2 shown]
	ds_load_2addr_stride64_b64 v[64:67], v64 offset1:4
	v_dual_mov_b32 v128, 8 :: v_dual_mov_b32 v127, 16
	v_dual_mov_b32 v126, 24 :: v_dual_mov_b32 v125, 32
	v_dual_mov_b32 v124, 40 :: v_dual_mov_b32 v123, 48
	v_dual_mov_b32 v122, 56 :: v_dual_mov_b32 v121, 64
	v_mov_b32_e32 v120, 0x48
	v_mov_b32_e32 v119, 0x50
	;; [unrolled: 1-line block ×23, first 2 shown]
	s_mov_b64 s[6:7], 0
	s_mov_b32 s23, -1
.LBB184_61:                             ;   Parent Loop BB184_34 Depth=1
                                        ; =>  This Inner Loop Header: Depth=2
	scratch_load_b64 v[134:135], v129, off
	s_cmp_eq_u32 s6, 1
	s_waitcnt lgkmcnt(16)
	v_max_f64 v[132:133], v[0:1], v[0:1]
	s_cselect_b32 vcc_lo, -1, 0
	s_mov_b64 s[6:7], 1
	s_waitcnt lgkmcnt(0)
	v_dual_cndmask_b32 v131, v65, v67 :: v_dual_cndmask_b32 v130, v64, v66
	s_and_b32 vcc_lo, exec_lo, s23
	s_mov_b32 s23, 0
	s_delay_alu instid0(VALU_DEP_1) | instskip(NEXT) | instid1(VALU_DEP_1)
	v_max_f64 v[130:131], v[130:131], v[130:131]
	v_min_f64 v[132:133], v[132:133], v[130:131]
	s_waitcnt vmcnt(0)
	s_delay_alu instid0(VALU_DEP_1) | instskip(SKIP_3) | instid1(VALU_DEP_1)
	v_add_f64 v[132:133], v[134:135], v[132:133]
	scratch_load_b64 v[134:135], v128, off
	scratch_store_b64 v129, v[132:133], off
	v_max_f64 v[132:133], v[2:3], v[2:3]
	v_min_f64 v[132:133], v[132:133], v[130:131]
	s_waitcnt vmcnt(0)
	s_delay_alu instid0(VALU_DEP_1) | instskip(SKIP_3) | instid1(VALU_DEP_1)
	v_add_f64 v[132:133], v[132:133], v[134:135]
	scratch_store_b64 v128, v[132:133], off
	scratch_load_b64 v[132:133], v127, off
	v_max_f64 v[128:129], v[4:5], v[4:5]
	v_min_f64 v[128:129], v[128:129], v[130:131]
	s_waitcnt vmcnt(0)
	s_delay_alu instid0(VALU_DEP_1) | instskip(SKIP_3) | instid1(VALU_DEP_1)
	v_add_f64 v[128:129], v[128:129], v[132:133]
	scratch_load_b64 v[132:133], v126, off
	scratch_store_b64 v127, v[128:129], off
	v_max_f64 v[127:128], v[6:7], v[6:7]
	v_min_f64 v[127:128], v[127:128], v[130:131]
	s_waitcnt vmcnt(0)
	s_delay_alu instid0(VALU_DEP_1) | instskip(SKIP_3) | instid1(VALU_DEP_1)
	v_add_f64 v[127:128], v[127:128], v[132:133]
	scratch_store_b64 v126, v[127:128], off
	scratch_load_b64 v[128:129], v125, off
	v_max_f64 v[126:127], v[8:9], v[8:9]
	v_min_f64 v[126:127], v[126:127], v[130:131]
	s_waitcnt vmcnt(0)
	s_delay_alu instid0(VALU_DEP_1) | instskip(SKIP_4) | instid1(VALU_DEP_1)
	v_add_f64 v[126:127], v[126:127], v[128:129]
	v_mov_b32_e32 v129, 0x100
	scratch_store_b64 v125, v[126:127], off
	scratch_load_b64 v[127:128], v124, off
	v_max_f64 v[125:126], v[10:11], v[10:11]
	v_min_f64 v[125:126], v[125:126], v[130:131]
	s_waitcnt vmcnt(0)
	s_delay_alu instid0(VALU_DEP_1) | instskip(SKIP_4) | instid1(VALU_DEP_1)
	v_add_f64 v[125:126], v[125:126], v[127:128]
	v_mov_b32_e32 v128, 0x108
	;; [unrolled: 8-line block ×27, first 2 shown]
	scratch_store_b64 v99, v[100:101], off
	scratch_load_b64 v[101:102], v98, off
	v_max_f64 v[99:100], v[62:63], v[62:63]
	v_min_f64 v[99:100], v[99:100], v[130:131]
	s_waitcnt vmcnt(0)
	s_delay_alu instid0(VALU_DEP_1)
	v_add_f64 v[99:100], v[99:100], v[101:102]
	v_mov_b32_e32 v102, 0x1d8
	v_mov_b32_e32 v101, 0x1e0
	scratch_store_b64 v98, v[99:100], off
	v_mov_b32_e32 v100, 0x1e8
	v_mov_b32_e32 v99, 0x1f0
	v_mov_b32_e32 v98, 0x1f8
	s_cbranch_vccnz .LBB184_61
; %bb.62:                               ;   in Loop: Header=BB184_34 Depth=1
	ds_load_2addr_b64 v[0:3], v88 offset0:2 offset1:18
	ds_load_2addr_b64 v[4:7], v88 offset0:34 offset1:50
	;; [unrolled: 1-line block ×12, first 2 shown]
	v_dual_mov_b32 v129, 0 :: v_dual_add_nc_u32 v64, 16, v92
	ds_load_2addr_b64 v[48:51], v70 offset0:130 offset1:146
	ds_load_2addr_b64 v[52:55], v70 offset0:162 offset1:178
	;; [unrolled: 1-line block ×4, first 2 shown]
	ds_load_2addr_stride64_b64 v[64:67], v64 offset1:4
	v_dual_mov_b32 v128, 8 :: v_dual_mov_b32 v127, 16
	v_dual_mov_b32 v126, 24 :: v_dual_mov_b32 v125, 32
	;; [unrolled: 1-line block ×4, first 2 shown]
	v_mov_b32_e32 v120, 0x48
	v_mov_b32_e32 v119, 0x50
	;; [unrolled: 1-line block ×23, first 2 shown]
	s_mov_b64 s[6:7], 0
	s_mov_b32 s23, -1
.LBB184_63:                             ;   Parent Loop BB184_34 Depth=1
                                        ; =>  This Inner Loop Header: Depth=2
	scratch_load_b64 v[134:135], v129, off
	s_cmp_eq_u32 s6, 1
	s_waitcnt lgkmcnt(16)
	v_max_f64 v[132:133], v[0:1], v[0:1]
	s_cselect_b32 vcc_lo, -1, 0
	s_mov_b64 s[6:7], 1
	s_waitcnt lgkmcnt(0)
	v_dual_cndmask_b32 v131, v65, v67 :: v_dual_cndmask_b32 v130, v64, v66
	s_and_b32 vcc_lo, exec_lo, s23
	s_mov_b32 s23, 0
	s_delay_alu instid0(VALU_DEP_1) | instskip(NEXT) | instid1(VALU_DEP_1)
	v_max_f64 v[130:131], v[130:131], v[130:131]
	v_min_f64 v[132:133], v[132:133], v[130:131]
	s_waitcnt vmcnt(0)
	s_delay_alu instid0(VALU_DEP_1) | instskip(SKIP_3) | instid1(VALU_DEP_1)
	v_add_f64 v[132:133], v[134:135], v[132:133]
	scratch_load_b64 v[134:135], v128, off
	scratch_store_b64 v129, v[132:133], off
	v_max_f64 v[132:133], v[2:3], v[2:3]
	v_min_f64 v[132:133], v[132:133], v[130:131]
	s_waitcnt vmcnt(0)
	s_delay_alu instid0(VALU_DEP_1) | instskip(SKIP_3) | instid1(VALU_DEP_1)
	v_add_f64 v[132:133], v[132:133], v[134:135]
	scratch_store_b64 v128, v[132:133], off
	scratch_load_b64 v[132:133], v127, off
	v_max_f64 v[128:129], v[4:5], v[4:5]
	v_min_f64 v[128:129], v[128:129], v[130:131]
	s_waitcnt vmcnt(0)
	s_delay_alu instid0(VALU_DEP_1) | instskip(SKIP_3) | instid1(VALU_DEP_1)
	v_add_f64 v[128:129], v[128:129], v[132:133]
	scratch_load_b64 v[132:133], v126, off
	scratch_store_b64 v127, v[128:129], off
	v_max_f64 v[127:128], v[6:7], v[6:7]
	v_min_f64 v[127:128], v[127:128], v[130:131]
	s_waitcnt vmcnt(0)
	s_delay_alu instid0(VALU_DEP_1) | instskip(SKIP_3) | instid1(VALU_DEP_1)
	v_add_f64 v[127:128], v[127:128], v[132:133]
	scratch_store_b64 v126, v[127:128], off
	scratch_load_b64 v[128:129], v125, off
	v_max_f64 v[126:127], v[8:9], v[8:9]
	v_min_f64 v[126:127], v[126:127], v[130:131]
	s_waitcnt vmcnt(0)
	s_delay_alu instid0(VALU_DEP_1) | instskip(SKIP_4) | instid1(VALU_DEP_1)
	v_add_f64 v[126:127], v[126:127], v[128:129]
	v_mov_b32_e32 v129, 0x100
	scratch_store_b64 v125, v[126:127], off
	scratch_load_b64 v[127:128], v124, off
	v_max_f64 v[125:126], v[10:11], v[10:11]
	v_min_f64 v[125:126], v[125:126], v[130:131]
	s_waitcnt vmcnt(0)
	s_delay_alu instid0(VALU_DEP_1) | instskip(SKIP_4) | instid1(VALU_DEP_1)
	v_add_f64 v[125:126], v[125:126], v[127:128]
	v_mov_b32_e32 v128, 0x108
	scratch_store_b64 v124, v[125:126], off
	scratch_load_b64 v[126:127], v123, off
	v_max_f64 v[124:125], v[12:13], v[12:13]
	v_min_f64 v[124:125], v[124:125], v[130:131]
	s_waitcnt vmcnt(0)
	s_delay_alu instid0(VALU_DEP_1) | instskip(SKIP_4) | instid1(VALU_DEP_1)
	v_add_f64 v[124:125], v[124:125], v[126:127]
	v_mov_b32_e32 v127, 0x110
	scratch_store_b64 v123, v[124:125], off
	scratch_load_b64 v[125:126], v122, off
	v_max_f64 v[123:124], v[14:15], v[14:15]
	v_min_f64 v[123:124], v[123:124], v[130:131]
	s_waitcnt vmcnt(0)
	s_delay_alu instid0(VALU_DEP_1) | instskip(SKIP_4) | instid1(VALU_DEP_1)
	v_add_f64 v[123:124], v[123:124], v[125:126]
	v_mov_b32_e32 v126, 0x118
	scratch_store_b64 v122, v[123:124], off
	scratch_load_b64 v[124:125], v121, off
	v_max_f64 v[122:123], v[16:17], v[16:17]
	v_min_f64 v[122:123], v[122:123], v[130:131]
	s_waitcnt vmcnt(0)
	s_delay_alu instid0(VALU_DEP_1) | instskip(SKIP_4) | instid1(VALU_DEP_1)
	v_add_f64 v[122:123], v[122:123], v[124:125]
	v_mov_b32_e32 v125, 0x120
	scratch_store_b64 v121, v[122:123], off
	scratch_load_b64 v[123:124], v120, off
	v_max_f64 v[121:122], v[18:19], v[18:19]
	v_min_f64 v[121:122], v[121:122], v[130:131]
	s_waitcnt vmcnt(0)
	s_delay_alu instid0(VALU_DEP_1) | instskip(SKIP_4) | instid1(VALU_DEP_1)
	v_add_f64 v[121:122], v[121:122], v[123:124]
	v_mov_b32_e32 v124, 0x128
	scratch_store_b64 v120, v[121:122], off
	scratch_load_b64 v[122:123], v119, off
	v_max_f64 v[120:121], v[20:21], v[20:21]
	v_min_f64 v[120:121], v[120:121], v[130:131]
	s_waitcnt vmcnt(0)
	s_delay_alu instid0(VALU_DEP_1) | instskip(SKIP_4) | instid1(VALU_DEP_1)
	v_add_f64 v[120:121], v[120:121], v[122:123]
	v_mov_b32_e32 v123, 0x130
	scratch_store_b64 v119, v[120:121], off
	scratch_load_b64 v[121:122], v118, off
	v_max_f64 v[119:120], v[22:23], v[22:23]
	v_min_f64 v[119:120], v[119:120], v[130:131]
	s_waitcnt vmcnt(0)
	s_delay_alu instid0(VALU_DEP_1) | instskip(SKIP_4) | instid1(VALU_DEP_1)
	v_add_f64 v[119:120], v[119:120], v[121:122]
	v_mov_b32_e32 v122, 0x138
	scratch_store_b64 v118, v[119:120], off
	scratch_load_b64 v[120:121], v117, off
	v_max_f64 v[118:119], v[24:25], v[24:25]
	v_min_f64 v[118:119], v[118:119], v[130:131]
	s_waitcnt vmcnt(0)
	s_delay_alu instid0(VALU_DEP_1) | instskip(SKIP_4) | instid1(VALU_DEP_1)
	v_add_f64 v[118:119], v[118:119], v[120:121]
	v_mov_b32_e32 v121, 0x140
	scratch_store_b64 v117, v[118:119], off
	scratch_load_b64 v[119:120], v116, off
	v_max_f64 v[117:118], v[26:27], v[26:27]
	v_min_f64 v[117:118], v[117:118], v[130:131]
	s_waitcnt vmcnt(0)
	s_delay_alu instid0(VALU_DEP_1) | instskip(SKIP_4) | instid1(VALU_DEP_1)
	v_add_f64 v[117:118], v[117:118], v[119:120]
	v_mov_b32_e32 v120, 0x148
	scratch_store_b64 v116, v[117:118], off
	scratch_load_b64 v[118:119], v115, off
	v_max_f64 v[116:117], v[28:29], v[28:29]
	v_min_f64 v[116:117], v[116:117], v[130:131]
	s_waitcnt vmcnt(0)
	s_delay_alu instid0(VALU_DEP_1) | instskip(SKIP_4) | instid1(VALU_DEP_1)
	v_add_f64 v[116:117], v[116:117], v[118:119]
	v_mov_b32_e32 v119, 0x150
	scratch_store_b64 v115, v[116:117], off
	scratch_load_b64 v[117:118], v114, off
	v_max_f64 v[115:116], v[30:31], v[30:31]
	v_min_f64 v[115:116], v[115:116], v[130:131]
	s_waitcnt vmcnt(0)
	s_delay_alu instid0(VALU_DEP_1) | instskip(SKIP_4) | instid1(VALU_DEP_1)
	v_add_f64 v[115:116], v[115:116], v[117:118]
	v_mov_b32_e32 v118, 0x158
	scratch_store_b64 v114, v[115:116], off
	scratch_load_b64 v[116:117], v113, off
	v_max_f64 v[114:115], v[32:33], v[32:33]
	v_min_f64 v[114:115], v[114:115], v[130:131]
	s_waitcnt vmcnt(0)
	s_delay_alu instid0(VALU_DEP_1) | instskip(SKIP_4) | instid1(VALU_DEP_1)
	v_add_f64 v[114:115], v[114:115], v[116:117]
	v_mov_b32_e32 v117, 0x160
	scratch_store_b64 v113, v[114:115], off
	scratch_load_b64 v[115:116], v112, off
	v_max_f64 v[113:114], v[34:35], v[34:35]
	v_min_f64 v[113:114], v[113:114], v[130:131]
	s_waitcnt vmcnt(0)
	s_delay_alu instid0(VALU_DEP_1) | instskip(SKIP_4) | instid1(VALU_DEP_1)
	v_add_f64 v[113:114], v[113:114], v[115:116]
	v_mov_b32_e32 v116, 0x168
	scratch_store_b64 v112, v[113:114], off
	scratch_load_b64 v[114:115], v111, off
	v_max_f64 v[112:113], v[36:37], v[36:37]
	v_min_f64 v[112:113], v[112:113], v[130:131]
	s_waitcnt vmcnt(0)
	s_delay_alu instid0(VALU_DEP_1) | instskip(SKIP_4) | instid1(VALU_DEP_1)
	v_add_f64 v[112:113], v[112:113], v[114:115]
	v_mov_b32_e32 v115, 0x170
	scratch_store_b64 v111, v[112:113], off
	scratch_load_b64 v[113:114], v110, off
	v_max_f64 v[111:112], v[38:39], v[38:39]
	v_min_f64 v[111:112], v[111:112], v[130:131]
	s_waitcnt vmcnt(0)
	s_delay_alu instid0(VALU_DEP_1) | instskip(SKIP_4) | instid1(VALU_DEP_1)
	v_add_f64 v[111:112], v[111:112], v[113:114]
	v_mov_b32_e32 v114, 0x178
	scratch_store_b64 v110, v[111:112], off
	scratch_load_b64 v[112:113], v109, off
	v_max_f64 v[110:111], v[40:41], v[40:41]
	v_min_f64 v[110:111], v[110:111], v[130:131]
	s_waitcnt vmcnt(0)
	s_delay_alu instid0(VALU_DEP_1) | instskip(SKIP_4) | instid1(VALU_DEP_1)
	v_add_f64 v[110:111], v[110:111], v[112:113]
	v_mov_b32_e32 v113, 0x180
	scratch_store_b64 v109, v[110:111], off
	scratch_load_b64 v[111:112], v108, off
	v_max_f64 v[109:110], v[42:43], v[42:43]
	v_min_f64 v[109:110], v[109:110], v[130:131]
	s_waitcnt vmcnt(0)
	s_delay_alu instid0(VALU_DEP_1) | instskip(SKIP_4) | instid1(VALU_DEP_1)
	v_add_f64 v[109:110], v[109:110], v[111:112]
	v_mov_b32_e32 v112, 0x188
	scratch_store_b64 v108, v[109:110], off
	scratch_load_b64 v[110:111], v107, off
	v_max_f64 v[108:109], v[44:45], v[44:45]
	v_min_f64 v[108:109], v[108:109], v[130:131]
	s_waitcnt vmcnt(0)
	s_delay_alu instid0(VALU_DEP_1) | instskip(SKIP_4) | instid1(VALU_DEP_1)
	v_add_f64 v[108:109], v[108:109], v[110:111]
	v_mov_b32_e32 v111, 0x190
	scratch_store_b64 v107, v[108:109], off
	scratch_load_b64 v[109:110], v106, off
	v_max_f64 v[107:108], v[46:47], v[46:47]
	v_min_f64 v[107:108], v[107:108], v[130:131]
	s_waitcnt vmcnt(0)
	s_delay_alu instid0(VALU_DEP_1) | instskip(SKIP_4) | instid1(VALU_DEP_1)
	v_add_f64 v[107:108], v[107:108], v[109:110]
	v_mov_b32_e32 v110, 0x198
	scratch_store_b64 v106, v[107:108], off
	scratch_load_b64 v[108:109], v105, off
	v_max_f64 v[106:107], v[48:49], v[48:49]
	v_min_f64 v[106:107], v[106:107], v[130:131]
	s_waitcnt vmcnt(0)
	s_delay_alu instid0(VALU_DEP_1) | instskip(SKIP_4) | instid1(VALU_DEP_1)
	v_add_f64 v[106:107], v[106:107], v[108:109]
	v_mov_b32_e32 v109, 0x1a0
	scratch_store_b64 v105, v[106:107], off
	scratch_load_b64 v[107:108], v104, off
	v_max_f64 v[105:106], v[50:51], v[50:51]
	v_min_f64 v[105:106], v[105:106], v[130:131]
	s_waitcnt vmcnt(0)
	s_delay_alu instid0(VALU_DEP_1) | instskip(SKIP_4) | instid1(VALU_DEP_1)
	v_add_f64 v[105:106], v[105:106], v[107:108]
	v_mov_b32_e32 v108, 0x1a8
	scratch_store_b64 v104, v[105:106], off
	scratch_load_b64 v[106:107], v103, off
	v_max_f64 v[104:105], v[52:53], v[52:53]
	v_min_f64 v[104:105], v[104:105], v[130:131]
	s_waitcnt vmcnt(0)
	s_delay_alu instid0(VALU_DEP_1) | instskip(SKIP_4) | instid1(VALU_DEP_1)
	v_add_f64 v[104:105], v[104:105], v[106:107]
	v_mov_b32_e32 v107, 0x1b0
	scratch_store_b64 v103, v[104:105], off
	scratch_load_b64 v[105:106], v102, off
	v_max_f64 v[103:104], v[54:55], v[54:55]
	v_min_f64 v[103:104], v[103:104], v[130:131]
	s_waitcnt vmcnt(0)
	s_delay_alu instid0(VALU_DEP_1) | instskip(SKIP_4) | instid1(VALU_DEP_1)
	v_add_f64 v[103:104], v[103:104], v[105:106]
	v_mov_b32_e32 v106, 0x1b8
	scratch_store_b64 v102, v[103:104], off
	scratch_load_b64 v[104:105], v101, off
	v_max_f64 v[102:103], v[56:57], v[56:57]
	v_min_f64 v[102:103], v[102:103], v[130:131]
	s_waitcnt vmcnt(0)
	s_delay_alu instid0(VALU_DEP_1) | instskip(SKIP_4) | instid1(VALU_DEP_1)
	v_add_f64 v[102:103], v[102:103], v[104:105]
	v_mov_b32_e32 v105, 0x1c0
	scratch_store_b64 v101, v[102:103], off
	scratch_load_b64 v[103:104], v100, off
	v_max_f64 v[101:102], v[58:59], v[58:59]
	v_min_f64 v[101:102], v[101:102], v[130:131]
	s_waitcnt vmcnt(0)
	s_delay_alu instid0(VALU_DEP_1) | instskip(SKIP_4) | instid1(VALU_DEP_1)
	v_add_f64 v[101:102], v[101:102], v[103:104]
	v_mov_b32_e32 v104, 0x1c8
	scratch_store_b64 v100, v[101:102], off
	scratch_load_b64 v[102:103], v99, off
	v_max_f64 v[100:101], v[60:61], v[60:61]
	v_min_f64 v[100:101], v[100:101], v[130:131]
	s_waitcnt vmcnt(0)
	s_delay_alu instid0(VALU_DEP_1) | instskip(SKIP_4) | instid1(VALU_DEP_1)
	v_add_f64 v[100:101], v[100:101], v[102:103]
	v_mov_b32_e32 v103, 0x1d0
	scratch_store_b64 v99, v[100:101], off
	scratch_load_b64 v[101:102], v98, off
	v_max_f64 v[99:100], v[62:63], v[62:63]
	v_min_f64 v[99:100], v[99:100], v[130:131]
	s_waitcnt vmcnt(0)
	s_delay_alu instid0(VALU_DEP_1)
	v_add_f64 v[99:100], v[99:100], v[101:102]
	v_mov_b32_e32 v102, 0x1d8
	v_mov_b32_e32 v101, 0x1e0
	scratch_store_b64 v98, v[99:100], off
	v_mov_b32_e32 v100, 0x1e8
	v_mov_b32_e32 v99, 0x1f0
	;; [unrolled: 1-line block ×3, first 2 shown]
	s_cbranch_vccnz .LBB184_63
; %bb.64:                               ;   in Loop: Header=BB184_34 Depth=1
	ds_load_2addr_b64 v[0:3], v88 offset0:3 offset1:19
	ds_load_2addr_b64 v[4:7], v88 offset0:35 offset1:51
	;; [unrolled: 1-line block ×12, first 2 shown]
	v_dual_mov_b32 v127, 8 :: v_dual_add_nc_u32 v64, 24, v92
	ds_load_2addr_b64 v[48:51], v70 offset0:131 offset1:147
	ds_load_2addr_b64 v[52:55], v70 offset0:163 offset1:179
	;; [unrolled: 1-line block ×4, first 2 shown]
	ds_load_2addr_stride64_b64 v[64:67], v64 offset1:4
	v_dual_mov_b32 v128, 0 :: v_dual_mov_b32 v125, 24
	v_dual_mov_b32 v126, 16 :: v_dual_mov_b32 v123, 40
	;; [unrolled: 1-line block ×5, first 2 shown]
	v_mov_b32_e32 v118, 0x50
	v_mov_b32_e32 v116, 0x60
	;; [unrolled: 1-line block ×21, first 2 shown]
	s_mov_b64 s[6:7], 0
	s_mov_b32 s23, -1
.LBB184_65:                             ;   Parent Loop BB184_34 Depth=1
                                        ; =>  This Inner Loop Header: Depth=2
	scratch_load_b64 v[133:134], v128, off
	s_cmp_eq_u32 s6, 1
	s_waitcnt lgkmcnt(16)
	v_max_f64 v[131:132], v[0:1], v[0:1]
	s_cselect_b32 vcc_lo, -1, 0
	s_mov_b64 s[6:7], 1
	s_waitcnt lgkmcnt(0)
	v_dual_cndmask_b32 v130, v65, v67 :: v_dual_cndmask_b32 v129, v64, v66
	s_and_b32 vcc_lo, exec_lo, s23
	s_mov_b32 s23, 0
	s_delay_alu instid0(VALU_DEP_1) | instskip(NEXT) | instid1(VALU_DEP_1)
	v_max_f64 v[129:130], v[129:130], v[129:130]
	v_min_f64 v[131:132], v[131:132], v[129:130]
	s_waitcnt vmcnt(0)
	s_delay_alu instid0(VALU_DEP_1) | instskip(SKIP_3) | instid1(VALU_DEP_1)
	v_add_f64 v[131:132], v[133:134], v[131:132]
	scratch_load_b64 v[133:134], v127, off
	scratch_store_b64 v128, v[131:132], off
	v_max_f64 v[131:132], v[2:3], v[2:3]
	v_min_f64 v[131:132], v[131:132], v[129:130]
	s_waitcnt vmcnt(0)
	s_delay_alu instid0(VALU_DEP_1) | instskip(SKIP_3) | instid1(VALU_DEP_1)
	v_add_f64 v[131:132], v[131:132], v[133:134]
	scratch_store_b64 v127, v[131:132], off
	scratch_load_b64 v[131:132], v126, off
	v_max_f64 v[127:128], v[4:5], v[4:5]
	v_min_f64 v[127:128], v[127:128], v[129:130]
	s_waitcnt vmcnt(0)
	s_delay_alu instid0(VALU_DEP_1) | instskip(SKIP_3) | instid1(VALU_DEP_1)
	v_add_f64 v[127:128], v[127:128], v[131:132]
	scratch_load_b64 v[131:132], v125, off
	scratch_store_b64 v126, v[127:128], off
	v_max_f64 v[126:127], v[6:7], v[6:7]
	v_min_f64 v[126:127], v[126:127], v[129:130]
	s_waitcnt vmcnt(0)
	s_delay_alu instid0(VALU_DEP_1) | instskip(SKIP_3) | instid1(VALU_DEP_1)
	v_add_f64 v[126:127], v[126:127], v[131:132]
	scratch_store_b64 v125, v[126:127], off
	scratch_load_b64 v[127:128], v124, off
	v_max_f64 v[125:126], v[8:9], v[8:9]
	v_min_f64 v[125:126], v[125:126], v[129:130]
	s_waitcnt vmcnt(0)
	s_delay_alu instid0(VALU_DEP_1) | instskip(SKIP_4) | instid1(VALU_DEP_1)
	v_add_f64 v[125:126], v[125:126], v[127:128]
	v_mov_b32_e32 v128, 0x100
	scratch_store_b64 v124, v[125:126], off
	scratch_load_b64 v[126:127], v123, off
	v_max_f64 v[124:125], v[10:11], v[10:11]
	v_min_f64 v[124:125], v[124:125], v[129:130]
	s_waitcnt vmcnt(0)
	s_delay_alu instid0(VALU_DEP_1) | instskip(SKIP_4) | instid1(VALU_DEP_1)
	v_add_f64 v[124:125], v[124:125], v[126:127]
	v_mov_b32_e32 v127, 0x108
	;; [unrolled: 8-line block ×27, first 2 shown]
	scratch_store_b64 v98, v[99:100], off
	scratch_load_b64 v[100:101], v70, off
	v_max_f64 v[98:99], v[62:63], v[62:63]
	v_min_f64 v[98:99], v[98:99], v[129:130]
	s_waitcnt vmcnt(0)
	s_delay_alu instid0(VALU_DEP_1)
	v_add_f64 v[98:99], v[98:99], v[100:101]
	v_mov_b32_e32 v101, 0x1d8
	v_mov_b32_e32 v100, 0x1e0
	scratch_store_b64 v70, v[98:99], off
	v_mov_b32_e32 v99, 0x1e8
	v_mov_b32_e32 v98, 0x1f0
	;; [unrolled: 1-line block ×3, first 2 shown]
	s_cbranch_vccnz .LBB184_65
; %bb.66:                               ;   in Loop: Header=BB184_34 Depth=1
	s_add_i32 s22, s22, 8
	s_add_i32 s20, s20, 8
	s_cmp_ge_i32 s22, s21
	ds_store_2addr_stride64_b64 v93, v[78:79], v[76:77] offset1:4
	ds_store_2addr_stride64_b64 v94, v[82:83], v[80:81] offset1:4
	s_waitcnt lgkmcnt(0)
	s_waitcnt_vscnt null, 0x0
	s_barrier
	buffer_gl0_inv
	s_cbranch_scc0 .LBB184_34
.LBB184_67:
	v_dual_mov_b32 v71, 8 :: v_dual_add_nc_u32 v28, 0x1000, v88
	v_dual_mov_b32 v75, 40 :: v_dual_add_nc_u32 v60, 0x1800, v88
	;; [unrolled: 1-line block ×3, first 2 shown]
	ds_load_2addr_b64 v[0:3], v28 offset1:16
	ds_load_2addr_b64 v[4:7], v28 offset0:32 offset1:48
	ds_load_2addr_b64 v[8:11], v28 offset0:64 offset1:80
	;; [unrolled: 1-line block ×7, first 2 shown]
	ds_load_2addr_b64 v[32:35], v60 offset1:16
	ds_load_2addr_b64 v[36:39], v60 offset0:32 offset1:48
	ds_load_2addr_b64 v[40:43], v60 offset0:64 offset1:80
	;; [unrolled: 1-line block ×7, first 2 shown]
	ds_load_2addr_stride64_b64 v[64:67], v91 offset0:24 offset1:28
	v_dual_mov_b32 v70, 0 :: v_dual_add_nc_u32 v69, 0x3000, v91
	v_dual_mov_b32 v72, 16 :: v_dual_mov_b32 v77, 56
	v_dual_mov_b32 v74, 32 :: v_dual_mov_b32 v79, 0x48
	;; [unrolled: 1-line block ×4, first 2 shown]
	v_mov_b32_e32 v80, 0x50
	v_mov_b32_e32 v82, 0x60
	;; [unrolled: 1-line block ×20, first 2 shown]
	s_mov_b64 s[2:3], 0
	s_mov_b32 s4, -1
.LBB184_68:                             ; =>This Inner Loop Header: Depth=1
	scratch_load_b64 v[104:105], v70, off
	scratch_load_b64 v[106:107], v71, off
	;; [unrolled: 1-line block ×32, first 2 shown]
	s_cmp_eq_u32 s2, 1
	s_waitcnt lgkmcnt(16)
	v_max_f64 v[170:171], v[0:1], v[0:1]
	s_cselect_b32 vcc_lo, -1, 0
	v_max_f64 v[172:173], v[2:3], v[2:3]
	s_waitcnt lgkmcnt(0)
	v_dual_cndmask_b32 v169, v65, v67 :: v_dual_cndmask_b32 v168, v64, v66
	v_max_f64 v[174:175], v[4:5], v[4:5]
	v_max_f64 v[176:177], v[6:7], v[6:7]
	;; [unrolled: 1-line block ×31, first 2 shown]
	s_mov_b64 s[2:3], 1
	s_and_b32 vcc_lo, exec_lo, s4
	s_mov_b32 s4, 0
	v_min_f64 v[170:171], v[170:171], v[168:169]
	v_min_f64 v[172:173], v[172:173], v[168:169]
	;; [unrolled: 1-line block ×32, first 2 shown]
	s_waitcnt vmcnt(31)
	v_add_f64 v[104:105], v[104:105], v[170:171]
	s_waitcnt vmcnt(30)
	v_add_f64 v[106:107], v[172:173], v[106:107]
	;; [unrolled: 2-line block ×32, first 2 shown]
	scratch_store_b64 v70, v[104:105], off
	scratch_store_b64 v71, v[106:107], off
	;; [unrolled: 1-line block ×32, first 2 shown]
	v_mov_b32_e32 v70, 0x100
	v_mov_b32_e32 v71, 0x108
	;; [unrolled: 1-line block ×32, first 2 shown]
	s_cbranch_vccnz .LBB184_68
; %bb.69:
	v_dual_mov_b32 v71, 8 :: v_dual_add_nc_u32 v60, 0x800, v68
	ds_load_2addr_b64 v[0:3], v68 offset0:1 offset1:17
	ds_load_2addr_b64 v[4:7], v68 offset0:33 offset1:49
	;; [unrolled: 1-line block ×12, first 2 shown]
	v_dual_mov_b32 v73, 24 :: v_dual_add_nc_u32 v64, 8, v69
	ds_load_2addr_b64 v[48:51], v60 offset0:129 offset1:145
	ds_load_2addr_b64 v[52:55], v60 offset0:161 offset1:177
	ds_load_2addr_b64 v[56:59], v60 offset0:193 offset1:209
	ds_load_2addr_b64 v[60:63], v60 offset0:225 offset1:241
	ds_load_2addr_stride64_b64 v[64:67], v64 offset1:4
	v_dual_mov_b32 v70, 0 :: v_dual_mov_b32 v75, 40
	v_dual_mov_b32 v72, 16 :: v_dual_mov_b32 v77, 56
	;; [unrolled: 1-line block ×5, first 2 shown]
	v_mov_b32_e32 v80, 0x50
	v_mov_b32_e32 v82, 0x60
	;; [unrolled: 1-line block ×20, first 2 shown]
	s_mov_b64 s[2:3], 0
	s_mov_b32 s4, -1
.LBB184_70:                             ; =>This Inner Loop Header: Depth=1
	scratch_load_b64 v[104:105], v70, off
	scratch_load_b64 v[106:107], v71, off
	;; [unrolled: 1-line block ×32, first 2 shown]
	s_cmp_eq_u32 s2, 1
	s_waitcnt lgkmcnt(16)
	v_max_f64 v[170:171], v[0:1], v[0:1]
	s_cselect_b32 vcc_lo, -1, 0
	v_max_f64 v[172:173], v[2:3], v[2:3]
	s_waitcnt lgkmcnt(0)
	v_dual_cndmask_b32 v169, v65, v67 :: v_dual_cndmask_b32 v168, v64, v66
	v_max_f64 v[174:175], v[4:5], v[4:5]
	v_max_f64 v[176:177], v[6:7], v[6:7]
	;; [unrolled: 1-line block ×31, first 2 shown]
	s_mov_b64 s[2:3], 1
	s_and_b32 vcc_lo, exec_lo, s4
	s_mov_b32 s4, 0
	v_min_f64 v[170:171], v[170:171], v[168:169]
	v_min_f64 v[172:173], v[172:173], v[168:169]
	v_min_f64 v[174:175], v[174:175], v[168:169]
	v_min_f64 v[176:177], v[176:177], v[168:169]
	v_min_f64 v[178:179], v[178:179], v[168:169]
	v_min_f64 v[180:181], v[180:181], v[168:169]
	v_min_f64 v[182:183], v[182:183], v[168:169]
	v_min_f64 v[184:185], v[184:185], v[168:169]
	v_min_f64 v[186:187], v[186:187], v[168:169]
	v_min_f64 v[188:189], v[188:189], v[168:169]
	v_min_f64 v[190:191], v[190:191], v[168:169]
	v_min_f64 v[192:193], v[192:193], v[168:169]
	v_min_f64 v[194:195], v[194:195], v[168:169]
	v_min_f64 v[196:197], v[196:197], v[168:169]
	v_min_f64 v[198:199], v[198:199], v[168:169]
	v_min_f64 v[200:201], v[200:201], v[168:169]
	v_min_f64 v[202:203], v[202:203], v[168:169]
	v_min_f64 v[204:205], v[204:205], v[168:169]
	v_min_f64 v[206:207], v[206:207], v[168:169]
	v_min_f64 v[208:209], v[208:209], v[168:169]
	v_min_f64 v[210:211], v[210:211], v[168:169]
	v_min_f64 v[212:213], v[212:213], v[168:169]
	v_min_f64 v[214:215], v[214:215], v[168:169]
	v_min_f64 v[216:217], v[216:217], v[168:169]
	v_min_f64 v[218:219], v[218:219], v[168:169]
	v_min_f64 v[220:221], v[220:221], v[168:169]
	v_min_f64 v[222:223], v[222:223], v[168:169]
	v_min_f64 v[224:225], v[224:225], v[168:169]
	v_min_f64 v[226:227], v[226:227], v[168:169]
	v_min_f64 v[228:229], v[228:229], v[168:169]
	v_min_f64 v[230:231], v[230:231], v[168:169]
	v_min_f64 v[168:169], v[232:233], v[168:169]
	s_waitcnt vmcnt(31)
	v_add_f64 v[104:105], v[104:105], v[170:171]
	s_waitcnt vmcnt(30)
	v_add_f64 v[106:107], v[172:173], v[106:107]
	s_waitcnt vmcnt(29)
	v_add_f64 v[108:109], v[174:175], v[108:109]
	s_waitcnt vmcnt(28)
	v_add_f64 v[110:111], v[176:177], v[110:111]
	s_waitcnt vmcnt(27)
	v_add_f64 v[112:113], v[178:179], v[112:113]
	s_waitcnt vmcnt(26)
	v_add_f64 v[114:115], v[180:181], v[114:115]
	s_waitcnt vmcnt(25)
	v_add_f64 v[116:117], v[182:183], v[116:117]
	s_waitcnt vmcnt(24)
	v_add_f64 v[118:119], v[184:185], v[118:119]
	s_waitcnt vmcnt(23)
	v_add_f64 v[120:121], v[186:187], v[120:121]
	s_waitcnt vmcnt(22)
	v_add_f64 v[122:123], v[188:189], v[122:123]
	s_waitcnt vmcnt(21)
	v_add_f64 v[124:125], v[190:191], v[124:125]
	s_waitcnt vmcnt(20)
	v_add_f64 v[126:127], v[192:193], v[126:127]
	s_waitcnt vmcnt(19)
	v_add_f64 v[128:129], v[194:195], v[128:129]
	s_waitcnt vmcnt(18)
	v_add_f64 v[130:131], v[196:197], v[130:131]
	s_waitcnt vmcnt(17)
	v_add_f64 v[132:133], v[198:199], v[132:133]
	s_waitcnt vmcnt(16)
	v_add_f64 v[134:135], v[200:201], v[134:135]
	s_waitcnt vmcnt(15)
	v_add_f64 v[136:137], v[202:203], v[136:137]
	s_waitcnt vmcnt(14)
	v_add_f64 v[138:139], v[204:205], v[138:139]
	s_waitcnt vmcnt(13)
	v_add_f64 v[140:141], v[206:207], v[140:141]
	s_waitcnt vmcnt(12)
	v_add_f64 v[142:143], v[208:209], v[142:143]
	s_waitcnt vmcnt(11)
	v_add_f64 v[144:145], v[210:211], v[144:145]
	s_waitcnt vmcnt(10)
	v_add_f64 v[146:147], v[212:213], v[146:147]
	s_waitcnt vmcnt(9)
	v_add_f64 v[148:149], v[214:215], v[148:149]
	s_waitcnt vmcnt(8)
	v_add_f64 v[150:151], v[216:217], v[150:151]
	s_waitcnt vmcnt(7)
	v_add_f64 v[152:153], v[218:219], v[152:153]
	s_waitcnt vmcnt(6)
	v_add_f64 v[154:155], v[220:221], v[154:155]
	s_waitcnt vmcnt(5)
	v_add_f64 v[156:157], v[222:223], v[156:157]
	s_waitcnt vmcnt(4)
	v_add_f64 v[158:159], v[224:225], v[158:159]
	s_waitcnt vmcnt(3)
	v_add_f64 v[160:161], v[226:227], v[160:161]
	s_waitcnt vmcnt(2)
	v_add_f64 v[162:163], v[228:229], v[162:163]
	s_waitcnt vmcnt(1)
	v_add_f64 v[164:165], v[230:231], v[164:165]
	s_waitcnt vmcnt(0)
	v_add_f64 v[166:167], v[168:169], v[166:167]
	scratch_store_b64 v70, v[104:105], off
	scratch_store_b64 v71, v[106:107], off
	;; [unrolled: 1-line block ×32, first 2 shown]
	v_mov_b32_e32 v70, 0x100
	v_mov_b32_e32 v71, 0x108
	v_mov_b32_e32 v72, 0x110
	v_mov_b32_e32 v73, 0x118
	v_mov_b32_e32 v74, 0x120
	v_mov_b32_e32 v75, 0x128
	v_mov_b32_e32 v76, 0x130
	v_mov_b32_e32 v77, 0x138
	v_mov_b32_e32 v78, 0x140
	v_mov_b32_e32 v79, 0x148
	v_mov_b32_e32 v80, 0x150
	v_mov_b32_e32 v81, 0x158
	v_mov_b32_e32 v82, 0x160
	v_mov_b32_e32 v83, 0x168
	v_mov_b32_e32 v86, 0x170
	v_mov_b32_e32 v87, 0x178
	v_mov_b32_e32 v88, 0x180
	v_mov_b32_e32 v89, 0x188
	v_mov_b32_e32 v90, 0x190
	v_mov_b32_e32 v91, 0x198
	v_mov_b32_e32 v92, 0x1a0
	v_mov_b32_e32 v93, 0x1a8
	v_mov_b32_e32 v94, 0x1b0
	v_mov_b32_e32 v95, 0x1b8
	v_mov_b32_e32 v96, 0x1c0
	v_mov_b32_e32 v97, 0x1c8
	v_mov_b32_e32 v98, 0x1d0
	v_mov_b32_e32 v99, 0x1d8
	v_mov_b32_e32 v100, 0x1e0
	v_mov_b32_e32 v101, 0x1e8
	v_mov_b32_e32 v102, 0x1f0
	v_mov_b32_e32 v103, 0x1f8
	s_cbranch_vccnz .LBB184_70
; %bb.71:
	v_dual_mov_b32 v71, 8 :: v_dual_add_nc_u32 v60, 0x800, v68
	ds_load_2addr_b64 v[0:3], v68 offset0:2 offset1:18
	ds_load_2addr_b64 v[4:7], v68 offset0:34 offset1:50
	ds_load_2addr_b64 v[8:11], v68 offset0:66 offset1:82
	ds_load_2addr_b64 v[12:15], v68 offset0:98 offset1:114
	ds_load_2addr_b64 v[16:19], v68 offset0:130 offset1:146
	ds_load_2addr_b64 v[20:23], v68 offset0:162 offset1:178
	ds_load_2addr_b64 v[24:27], v68 offset0:194 offset1:210
	ds_load_2addr_b64 v[28:31], v68 offset0:226 offset1:242
	ds_load_2addr_b64 v[32:35], v60 offset0:2 offset1:18
	ds_load_2addr_b64 v[36:39], v60 offset0:34 offset1:50
	ds_load_2addr_b64 v[40:43], v60 offset0:66 offset1:82
	ds_load_2addr_b64 v[44:47], v60 offset0:98 offset1:114
	v_dual_mov_b32 v73, 24 :: v_dual_add_nc_u32 v64, 16, v69
	ds_load_2addr_b64 v[48:51], v60 offset0:130 offset1:146
	ds_load_2addr_b64 v[52:55], v60 offset0:162 offset1:178
	;; [unrolled: 1-line block ×4, first 2 shown]
	ds_load_2addr_stride64_b64 v[64:67], v64 offset1:4
	v_dual_mov_b32 v70, 0 :: v_dual_mov_b32 v75, 40
	v_dual_mov_b32 v72, 16 :: v_dual_mov_b32 v77, 56
	;; [unrolled: 1-line block ×5, first 2 shown]
	v_mov_b32_e32 v80, 0x50
	v_mov_b32_e32 v82, 0x60
	;; [unrolled: 1-line block ×20, first 2 shown]
	s_mov_b64 s[2:3], 0
	s_mov_b32 s4, -1
.LBB184_72:                             ; =>This Inner Loop Header: Depth=1
	scratch_load_b64 v[104:105], v70, off
	scratch_load_b64 v[106:107], v71, off
	;; [unrolled: 1-line block ×32, first 2 shown]
	s_cmp_eq_u32 s2, 1
	s_waitcnt lgkmcnt(16)
	v_max_f64 v[170:171], v[0:1], v[0:1]
	s_cselect_b32 vcc_lo, -1, 0
	v_max_f64 v[172:173], v[2:3], v[2:3]
	s_waitcnt lgkmcnt(0)
	v_dual_cndmask_b32 v169, v65, v67 :: v_dual_cndmask_b32 v168, v64, v66
	v_max_f64 v[174:175], v[4:5], v[4:5]
	v_max_f64 v[176:177], v[6:7], v[6:7]
	;; [unrolled: 1-line block ×31, first 2 shown]
	s_mov_b64 s[2:3], 1
	s_and_b32 vcc_lo, exec_lo, s4
	s_mov_b32 s4, 0
	v_min_f64 v[170:171], v[170:171], v[168:169]
	v_min_f64 v[172:173], v[172:173], v[168:169]
	;; [unrolled: 1-line block ×32, first 2 shown]
	s_waitcnt vmcnt(31)
	v_add_f64 v[104:105], v[104:105], v[170:171]
	s_waitcnt vmcnt(30)
	v_add_f64 v[106:107], v[172:173], v[106:107]
	;; [unrolled: 2-line block ×32, first 2 shown]
	scratch_store_b64 v70, v[104:105], off
	scratch_store_b64 v71, v[106:107], off
	;; [unrolled: 1-line block ×32, first 2 shown]
	v_mov_b32_e32 v70, 0x100
	v_mov_b32_e32 v71, 0x108
	v_mov_b32_e32 v72, 0x110
	v_mov_b32_e32 v73, 0x118
	v_mov_b32_e32 v74, 0x120
	v_mov_b32_e32 v75, 0x128
	v_mov_b32_e32 v76, 0x130
	v_mov_b32_e32 v77, 0x138
	v_mov_b32_e32 v78, 0x140
	v_mov_b32_e32 v79, 0x148
	v_mov_b32_e32 v80, 0x150
	v_mov_b32_e32 v81, 0x158
	v_mov_b32_e32 v82, 0x160
	v_mov_b32_e32 v83, 0x168
	v_mov_b32_e32 v86, 0x170
	v_mov_b32_e32 v87, 0x178
	v_mov_b32_e32 v88, 0x180
	v_mov_b32_e32 v89, 0x188
	v_mov_b32_e32 v90, 0x190
	v_mov_b32_e32 v91, 0x198
	v_mov_b32_e32 v92, 0x1a0
	v_mov_b32_e32 v93, 0x1a8
	v_mov_b32_e32 v94, 0x1b0
	v_mov_b32_e32 v95, 0x1b8
	v_mov_b32_e32 v96, 0x1c0
	v_mov_b32_e32 v97, 0x1c8
	v_mov_b32_e32 v98, 0x1d0
	v_mov_b32_e32 v99, 0x1d8
	v_mov_b32_e32 v100, 0x1e0
	v_mov_b32_e32 v101, 0x1e8
	v_mov_b32_e32 v102, 0x1f0
	v_mov_b32_e32 v103, 0x1f8
	s_cbranch_vccnz .LBB184_72
; %bb.73:
	v_add_nc_u32_e32 v60, 0x800, v68
	ds_load_2addr_b64 v[0:3], v68 offset0:3 offset1:19
	ds_load_2addr_b64 v[4:7], v68 offset0:35 offset1:51
	;; [unrolled: 1-line block ×4, first 2 shown]
	v_dual_mov_b32 v71, 24 :: v_dual_add_nc_u32 v64, 24, v69
	v_mov_b32_e32 v69, 8
	ds_load_2addr_b64 v[16:19], v68 offset0:131 offset1:147
	ds_load_2addr_b64 v[20:23], v68 offset0:163 offset1:179
	;; [unrolled: 1-line block ×12, first 2 shown]
	ds_load_2addr_stride64_b64 v[64:67], v64 offset1:4
	v_dual_mov_b32 v68, 0 :: v_dual_mov_b32 v73, 40
	v_dual_mov_b32 v70, 16 :: v_dual_mov_b32 v75, 56
	;; [unrolled: 1-line block ×5, first 2 shown]
	v_mov_b32_e32 v78, 0x50
	v_mov_b32_e32 v80, 0x60
	;; [unrolled: 1-line block ×20, first 2 shown]
	s_mov_b64 s[2:3], 0
	s_mov_b32 s4, -1
.LBB184_74:                             ; =>This Inner Loop Header: Depth=1
	scratch_load_b64 v[102:103], v68, off
	scratch_load_b64 v[104:105], v69, off
	;; [unrolled: 1-line block ×32, first 2 shown]
	s_cmp_eq_u32 s2, 1
	s_waitcnt lgkmcnt(16)
	v_max_f64 v[168:169], v[0:1], v[0:1]
	s_cselect_b32 vcc_lo, -1, 0
	v_max_f64 v[170:171], v[2:3], v[2:3]
	s_waitcnt lgkmcnt(0)
	v_dual_cndmask_b32 v167, v65, v67 :: v_dual_cndmask_b32 v166, v64, v66
	v_max_f64 v[172:173], v[4:5], v[4:5]
	v_max_f64 v[174:175], v[6:7], v[6:7]
	;; [unrolled: 1-line block ×31, first 2 shown]
	s_mov_b64 s[2:3], 1
	s_and_b32 vcc_lo, exec_lo, s4
	s_mov_b32 s4, 0
	v_min_f64 v[168:169], v[168:169], v[166:167]
	v_min_f64 v[170:171], v[170:171], v[166:167]
	;; [unrolled: 1-line block ×32, first 2 shown]
	s_waitcnt vmcnt(31)
	v_add_f64 v[102:103], v[102:103], v[168:169]
	s_waitcnt vmcnt(30)
	v_add_f64 v[104:105], v[170:171], v[104:105]
	s_waitcnt vmcnt(29)
	v_add_f64 v[106:107], v[172:173], v[106:107]
	s_waitcnt vmcnt(28)
	v_add_f64 v[108:109], v[174:175], v[108:109]
	s_waitcnt vmcnt(27)
	v_add_f64 v[110:111], v[176:177], v[110:111]
	s_waitcnt vmcnt(26)
	v_add_f64 v[112:113], v[178:179], v[112:113]
	s_waitcnt vmcnt(25)
	v_add_f64 v[114:115], v[180:181], v[114:115]
	s_waitcnt vmcnt(24)
	v_add_f64 v[116:117], v[182:183], v[116:117]
	s_waitcnt vmcnt(23)
	v_add_f64 v[118:119], v[184:185], v[118:119]
	s_waitcnt vmcnt(22)
	v_add_f64 v[120:121], v[186:187], v[120:121]
	s_waitcnt vmcnt(21)
	v_add_f64 v[122:123], v[188:189], v[122:123]
	s_waitcnt vmcnt(20)
	v_add_f64 v[124:125], v[190:191], v[124:125]
	s_waitcnt vmcnt(19)
	v_add_f64 v[126:127], v[192:193], v[126:127]
	s_waitcnt vmcnt(18)
	v_add_f64 v[128:129], v[194:195], v[128:129]
	s_waitcnt vmcnt(17)
	v_add_f64 v[130:131], v[196:197], v[130:131]
	s_waitcnt vmcnt(16)
	v_add_f64 v[132:133], v[198:199], v[132:133]
	s_waitcnt vmcnt(15)
	v_add_f64 v[134:135], v[200:201], v[134:135]
	s_waitcnt vmcnt(14)
	v_add_f64 v[136:137], v[202:203], v[136:137]
	s_waitcnt vmcnt(13)
	v_add_f64 v[138:139], v[204:205], v[138:139]
	s_waitcnt vmcnt(12)
	v_add_f64 v[140:141], v[206:207], v[140:141]
	s_waitcnt vmcnt(11)
	v_add_f64 v[142:143], v[208:209], v[142:143]
	s_waitcnt vmcnt(10)
	v_add_f64 v[144:145], v[210:211], v[144:145]
	s_waitcnt vmcnt(9)
	v_add_f64 v[146:147], v[212:213], v[146:147]
	s_waitcnt vmcnt(8)
	v_add_f64 v[148:149], v[214:215], v[148:149]
	s_waitcnt vmcnt(7)
	v_add_f64 v[150:151], v[216:217], v[150:151]
	s_waitcnt vmcnt(6)
	v_add_f64 v[152:153], v[218:219], v[152:153]
	s_waitcnt vmcnt(5)
	v_add_f64 v[154:155], v[220:221], v[154:155]
	s_waitcnt vmcnt(4)
	v_add_f64 v[156:157], v[222:223], v[156:157]
	s_waitcnt vmcnt(3)
	v_add_f64 v[158:159], v[224:225], v[158:159]
	s_waitcnt vmcnt(2)
	v_add_f64 v[160:161], v[226:227], v[160:161]
	s_waitcnt vmcnt(1)
	v_add_f64 v[162:163], v[228:229], v[162:163]
	s_waitcnt vmcnt(0)
	v_add_f64 v[164:165], v[166:167], v[164:165]
	scratch_store_b64 v68, v[102:103], off
	scratch_store_b64 v69, v[104:105], off
	;; [unrolled: 1-line block ×32, first 2 shown]
	v_mov_b32_e32 v68, 0x100
	v_mov_b32_e32 v69, 0x108
	;; [unrolled: 1-line block ×32, first 2 shown]
	s_cbranch_vccnz .LBB184_74
; %bb.75:
	s_clause 0x2
	s_load_b64 s[2:3], s[0:1], 0x78
	s_load_b32 s42, s[0:1], 0x58
	s_load_b32 s37, s[0:1], 0x70
	v_add_nc_u32_e32 v71, s9, v85
	v_add_nc_u32_e32 v0, s8, v84
	v_cndmask_b32_e64 v70, 0, 1, s36
	s_delay_alu instid0(VALU_DEP_3)
	v_cmp_gt_i32_e64 s8, s41, v71
	s_waitcnt lgkmcnt(0)
	s_mul_i32 s0, s15, s3
	v_mad_i64_i32 v[1:2], null, v71, s42, 0
	v_mad_i64_i32 v[3:4], null, v71, s37, 0
	s_mul_hi_u32 s1, s15, s2
	s_mul_i32 s3, s18, s2
	s_add_i32 s0, s1, s0
	s_mul_i32 s2, s15, s2
	s_delay_alu instid0(VALU_DEP_2) | instskip(SKIP_1) | instid1(VALU_DEP_2)
	v_lshlrev_b64 v[5:6], 3, v[1:2]
	s_add_i32 s3, s0, s3
	v_lshlrev_b64 v[2:3], 3, v[3:4]
	s_lshl_b64 s[2:3], s[2:3], 3
	v_cmp_gt_i32_e64 s0, s40, v0
	s_add_u32 s43, s10, s2
	v_add_co_u32 v68, vcc_lo, s34, v5
	v_add_co_ci_u32_e32 v69, vcc_lo, s35, v6, vcc_lo
	s_addc_u32 s44, s11, s3
	v_add_co_u32 v72, vcc_lo, s43, v2
	v_ashrrev_i32_e32 v1, 31, v0
	v_add_co_ci_u32_e32 v73, vcc_lo, s44, v3, vcc_lo
	s_and_b32 s1, s8, s0
	s_delay_alu instid0(SALU_CYCLE_1) | instskip(NEXT) | instid1(SALU_CYCLE_1)
	s_and_saveexec_b32 s2, s1
	s_xor_b32 s1, exec_lo, s2
	s_cbranch_execz .LBB184_80
; %bb.76:
	scratch_load_b64 v[2:3], off, off
	v_lshlrev_b64 v[4:5], 3, v[0:1]
	s_and_not1_b32 vcc_lo, exec_lo, s36
	s_cbranch_vccnz .LBB184_78
; %bb.77:
	s_delay_alu instid0(VALU_DEP_1) | instskip(NEXT) | instid1(VALU_DEP_2)
	v_add_co_u32 v6, vcc_lo, v68, v4
	v_add_co_ci_u32_e32 v7, vcc_lo, v69, v5, vcc_lo
	flat_load_b64 v[6:7], v[6:7]
	s_waitcnt vmcnt(0) lgkmcnt(0)
	v_mul_f64 v[6:7], v[6:7], s[38:39]
	s_branch .LBB184_79
.LBB184_78:
	v_mov_b32_e32 v6, 0
	v_mov_b32_e32 v7, 0
.LBB184_79:
	s_waitcnt vmcnt(0)
	s_delay_alu instid0(VALU_DEP_1)
	v_add_f64 v[2:3], v[2:3], v[6:7]
	v_add_co_u32 v4, vcc_lo, v72, v4
	v_add_co_ci_u32_e32 v5, vcc_lo, v73, v5, vcc_lo
	global_store_b64 v[4:5], v[2:3], off
.LBB184_80:
	s_or_b32 exec_lo, exec_lo, s1
	v_add_nc_u32_e32 v2, 4, v0
	s_delay_alu instid0(VALU_DEP_1) | instskip(SKIP_1) | instid1(VALU_DEP_2)
	v_cmp_gt_i32_e64 s1, s40, v2
	v_ashrrev_i32_e32 v3, 31, v2
	s_and_b32 s3, s8, s1
	s_delay_alu instid0(SALU_CYCLE_1)
	s_and_saveexec_b32 s2, s3
	s_cbranch_execz .LBB184_85
; %bb.81:
	scratch_load_b64 v[4:5], off, off offset:8
	v_lshlrev_b64 v[6:7], 3, v[2:3]
	s_and_not1_b32 vcc_lo, exec_lo, s36
	s_cbranch_vccnz .LBB184_83
; %bb.82:
	s_delay_alu instid0(VALU_DEP_1) | instskip(NEXT) | instid1(VALU_DEP_2)
	v_add_co_u32 v8, vcc_lo, v68, v6
	v_add_co_ci_u32_e32 v9, vcc_lo, v69, v7, vcc_lo
	flat_load_b64 v[8:9], v[8:9]
	s_waitcnt vmcnt(0) lgkmcnt(0)
	v_mul_f64 v[8:9], v[8:9], s[38:39]
	s_branch .LBB184_84
.LBB184_83:
	v_mov_b32_e32 v8, 0
	v_mov_b32_e32 v9, 0
.LBB184_84:
	s_waitcnt vmcnt(0)
	s_delay_alu instid0(VALU_DEP_1)
	v_add_f64 v[4:5], v[4:5], v[8:9]
	v_add_co_u32 v6, vcc_lo, v72, v6
	v_add_co_ci_u32_e32 v7, vcc_lo, v73, v7, vcc_lo
	global_store_b64 v[6:7], v[4:5], off
.LBB184_85:
	s_or_b32 exec_lo, exec_lo, s2
	v_add_nc_u32_e32 v4, 8, v0
	s_delay_alu instid0(VALU_DEP_1) | instskip(SKIP_1) | instid1(VALU_DEP_2)
	v_cmp_gt_i32_e64 s2, s40, v4
	v_ashrrev_i32_e32 v5, 31, v4
	s_and_b32 s4, s8, s2
	s_delay_alu instid0(SALU_CYCLE_1)
	s_and_saveexec_b32 s3, s4
	s_cbranch_execz .LBB184_90
; %bb.86:
	scratch_load_b64 v[6:7], off, off offset:16
	v_lshlrev_b64 v[8:9], 3, v[4:5]
	s_and_not1_b32 vcc_lo, exec_lo, s36
	s_cbranch_vccnz .LBB184_88
; %bb.87:
	s_delay_alu instid0(VALU_DEP_1) | instskip(NEXT) | instid1(VALU_DEP_2)
	v_add_co_u32 v10, vcc_lo, v68, v8
	v_add_co_ci_u32_e32 v11, vcc_lo, v69, v9, vcc_lo
	flat_load_b64 v[10:11], v[10:11]
	s_waitcnt vmcnt(0) lgkmcnt(0)
	v_mul_f64 v[10:11], v[10:11], s[38:39]
	s_branch .LBB184_89
.LBB184_88:
	v_mov_b32_e32 v10, 0
	v_mov_b32_e32 v11, 0
.LBB184_89:
	s_waitcnt vmcnt(0)
	s_delay_alu instid0(VALU_DEP_1)
	v_add_f64 v[6:7], v[6:7], v[10:11]
	v_add_co_u32 v8, vcc_lo, v72, v8
	v_add_co_ci_u32_e32 v9, vcc_lo, v73, v9, vcc_lo
	global_store_b64 v[8:9], v[6:7], off
.LBB184_90:
	;; [unrolled: 33-line block ×31, first 2 shown]
	s_or_b32 exec_lo, exec_lo, s8
	v_add_nc_u32_e32 v68, 64, v71
	s_delay_alu instid0(VALU_DEP_1) | instskip(SKIP_2) | instid1(VALU_DEP_3)
	v_mad_i64_i32 v[64:65], null, v68, s42, 0
	v_mad_i64_i32 v[66:67], null, v68, s37, 0
	v_cmp_gt_i32_e64 s8, s41, v68
	v_lshlrev_b64 v[64:65], 3, v[64:65]
	s_delay_alu instid0(VALU_DEP_2) | instskip(NEXT) | instid1(VALU_DEP_3)
	s_and_b32 s0, s8, s0
	v_lshlrev_b64 v[66:67], 3, v[66:67]
	s_delay_alu instid0(VALU_DEP_2) | instskip(NEXT) | instid1(VALU_DEP_3)
	v_add_co_u32 v71, vcc_lo, s34, v64
	v_add_co_ci_u32_e32 v72, vcc_lo, s35, v65, vcc_lo
	s_delay_alu instid0(VALU_DEP_3) | instskip(NEXT) | instid1(VALU_DEP_4)
	v_add_co_u32 v68, vcc_lo, s43, v66
	v_add_co_ci_u32_e32 v69, vcc_lo, s44, v67, vcc_lo
	s_and_saveexec_b32 s34, s0
	s_delay_alu instid0(SALU_CYCLE_1)
	s_xor_b32 s0, exec_lo, s34
	s_cbranch_execnz .LBB184_268
; %bb.236:
	s_or_b32 exec_lo, exec_lo, s0
	s_and_b32 s1, s8, s1
	s_delay_alu instid0(SALU_CYCLE_1)
	s_and_saveexec_b32 s0, s1
	s_cbranch_execnz .LBB184_272
.LBB184_237:
	s_or_b32 exec_lo, exec_lo, s0
	s_and_b32 s1, s8, s2
	s_delay_alu instid0(SALU_CYCLE_1)
	s_and_saveexec_b32 s0, s1
	s_cbranch_execnz .LBB184_276
.LBB184_238:
	s_or_b32 exec_lo, exec_lo, s0
	s_and_b32 s1, s8, s3
	s_delay_alu instid0(SALU_CYCLE_1)
	s_and_saveexec_b32 s0, s1
	s_cbranch_execnz .LBB184_280
.LBB184_239:
	s_or_b32 exec_lo, exec_lo, s0
	s_and_b32 s1, s8, s4
	s_delay_alu instid0(SALU_CYCLE_1)
	s_and_saveexec_b32 s0, s1
	s_cbranch_execnz .LBB184_284
.LBB184_240:
	s_or_b32 exec_lo, exec_lo, s0
	s_and_b32 s1, s8, s5
	s_delay_alu instid0(SALU_CYCLE_1)
	s_and_saveexec_b32 s0, s1
	s_cbranch_execnz .LBB184_288
.LBB184_241:
	s_or_b32 exec_lo, exec_lo, s0
	s_and_b32 s1, s8, s6
	s_delay_alu instid0(SALU_CYCLE_1)
	s_and_saveexec_b32 s0, s1
	s_cbranch_execnz .LBB184_292
.LBB184_242:
	s_or_b32 exec_lo, exec_lo, s0
	s_and_b32 s1, s8, s7
	s_delay_alu instid0(SALU_CYCLE_1)
	s_and_saveexec_b32 s0, s1
	s_cbranch_execnz .LBB184_296
.LBB184_243:
	s_or_b32 exec_lo, exec_lo, s0
	s_and_b32 s1, s8, s9
	s_delay_alu instid0(SALU_CYCLE_1)
	s_and_saveexec_b32 s0, s1
	s_cbranch_execnz .LBB184_300
.LBB184_244:
	s_or_b32 exec_lo, exec_lo, s0
	s_and_b32 s1, s8, s10
	s_delay_alu instid0(SALU_CYCLE_1)
	s_and_saveexec_b32 s0, s1
	s_cbranch_execnz .LBB184_304
.LBB184_245:
	s_or_b32 exec_lo, exec_lo, s0
	s_and_b32 s1, s8, s11
	s_delay_alu instid0(SALU_CYCLE_1)
	s_and_saveexec_b32 s0, s1
	s_cbranch_execnz .LBB184_308
.LBB184_246:
	s_or_b32 exec_lo, exec_lo, s0
	s_and_b32 s1, s8, s12
	s_delay_alu instid0(SALU_CYCLE_1)
	s_and_saveexec_b32 s0, s1
	s_cbranch_execnz .LBB184_312
.LBB184_247:
	s_or_b32 exec_lo, exec_lo, s0
	s_and_b32 s1, s8, s13
	s_delay_alu instid0(SALU_CYCLE_1)
	s_and_saveexec_b32 s0, s1
	s_cbranch_execnz .LBB184_316
.LBB184_248:
	s_or_b32 exec_lo, exec_lo, s0
	s_and_b32 s1, s8, s14
	s_delay_alu instid0(SALU_CYCLE_1)
	s_and_saveexec_b32 s0, s1
	s_cbranch_execnz .LBB184_320
.LBB184_249:
	s_or_b32 exec_lo, exec_lo, s0
	s_and_b32 s1, s8, s15
	s_delay_alu instid0(SALU_CYCLE_1)
	s_and_saveexec_b32 s0, s1
	s_cbranch_execnz .LBB184_324
.LBB184_250:
	s_or_b32 exec_lo, exec_lo, s0
	s_and_b32 s1, s8, s16
	s_delay_alu instid0(SALU_CYCLE_1)
	s_and_saveexec_b32 s0, s1
	s_cbranch_execnz .LBB184_328
.LBB184_251:
	s_or_b32 exec_lo, exec_lo, s0
	s_and_b32 s1, s8, s17
	s_delay_alu instid0(SALU_CYCLE_1)
	s_and_saveexec_b32 s0, s1
	s_cbranch_execnz .LBB184_332
.LBB184_252:
	s_or_b32 exec_lo, exec_lo, s0
	s_and_b32 s1, s8, s18
	s_delay_alu instid0(SALU_CYCLE_1)
	s_and_saveexec_b32 s0, s1
	s_cbranch_execnz .LBB184_336
.LBB184_253:
	s_or_b32 exec_lo, exec_lo, s0
	s_and_b32 s1, s8, s19
	s_delay_alu instid0(SALU_CYCLE_1)
	s_and_saveexec_b32 s0, s1
	s_cbranch_execnz .LBB184_340
.LBB184_254:
	s_or_b32 exec_lo, exec_lo, s0
	s_and_b32 s1, s8, s20
	s_delay_alu instid0(SALU_CYCLE_1)
	s_and_saveexec_b32 s0, s1
	s_cbranch_execnz .LBB184_344
.LBB184_255:
	s_or_b32 exec_lo, exec_lo, s0
	s_and_b32 s1, s8, s21
	s_delay_alu instid0(SALU_CYCLE_1)
	s_and_saveexec_b32 s0, s1
	s_cbranch_execnz .LBB184_348
.LBB184_256:
	s_or_b32 exec_lo, exec_lo, s0
	s_and_b32 s1, s8, s22
	s_delay_alu instid0(SALU_CYCLE_1)
	s_and_saveexec_b32 s0, s1
	s_cbranch_execnz .LBB184_352
.LBB184_257:
	s_or_b32 exec_lo, exec_lo, s0
	s_and_b32 s1, s8, s23
	s_delay_alu instid0(SALU_CYCLE_1)
	s_and_saveexec_b32 s0, s1
	s_cbranch_execnz .LBB184_356
.LBB184_258:
	s_or_b32 exec_lo, exec_lo, s0
	s_and_b32 s1, s8, s24
	s_delay_alu instid0(SALU_CYCLE_1)
	s_and_saveexec_b32 s0, s1
	s_cbranch_execnz .LBB184_360
.LBB184_259:
	s_or_b32 exec_lo, exec_lo, s0
	s_and_b32 s1, s8, s25
	s_delay_alu instid0(SALU_CYCLE_1)
	s_and_saveexec_b32 s0, s1
	s_cbranch_execnz .LBB184_364
.LBB184_260:
	s_or_b32 exec_lo, exec_lo, s0
	s_and_b32 s1, s8, s26
	s_delay_alu instid0(SALU_CYCLE_1)
	s_and_saveexec_b32 s0, s1
	s_cbranch_execnz .LBB184_368
.LBB184_261:
	s_or_b32 exec_lo, exec_lo, s0
	s_and_b32 s1, s8, s27
	s_delay_alu instid0(SALU_CYCLE_1)
	s_and_saveexec_b32 s0, s1
	s_cbranch_execnz .LBB184_372
.LBB184_262:
	s_or_b32 exec_lo, exec_lo, s0
	s_and_b32 s1, s8, s28
	s_delay_alu instid0(SALU_CYCLE_1)
	s_and_saveexec_b32 s0, s1
	s_cbranch_execnz .LBB184_376
.LBB184_263:
	s_or_b32 exec_lo, exec_lo, s0
	s_and_b32 s1, s8, s29
	s_delay_alu instid0(SALU_CYCLE_1)
	s_and_saveexec_b32 s0, s1
	s_cbranch_execnz .LBB184_380
.LBB184_264:
	s_or_b32 exec_lo, exec_lo, s0
	s_and_b32 s1, s8, s30
	s_delay_alu instid0(SALU_CYCLE_1)
	s_and_saveexec_b32 s0, s1
	s_cbranch_execnz .LBB184_384
.LBB184_265:
	s_or_b32 exec_lo, exec_lo, s0
	s_and_b32 s1, s8, s31
	s_delay_alu instid0(SALU_CYCLE_1)
	s_and_saveexec_b32 s0, s1
	s_cbranch_execnz .LBB184_388
.LBB184_266:
	s_or_b32 exec_lo, exec_lo, s0
	s_and_b32 s0, s8, s33
	s_delay_alu instid0(SALU_CYCLE_1)
	s_and_saveexec_b32 s1, s0
	s_cbranch_execnz .LBB184_392
.LBB184_267:
	s_endpgm
.LBB184_268:
	scratch_load_b64 v[64:65], off, off offset:256
	v_lshlrev_b64 v[0:1], 3, v[0:1]
	s_and_not1_b32 vcc_lo, exec_lo, s36
	s_cbranch_vccnz .LBB184_270
; %bb.269:
	s_delay_alu instid0(VALU_DEP_1) | instskip(NEXT) | instid1(VALU_DEP_2)
	v_add_co_u32 v66, vcc_lo, v71, v0
	v_add_co_ci_u32_e32 v67, vcc_lo, v72, v1, vcc_lo
	flat_load_b64 v[66:67], v[66:67]
	s_waitcnt vmcnt(0) lgkmcnt(0)
	v_mul_f64 v[66:67], v[66:67], s[38:39]
	s_branch .LBB184_271
.LBB184_270:
	v_mov_b32_e32 v66, 0
	v_mov_b32_e32 v67, 0
.LBB184_271:
	s_waitcnt vmcnt(0)
	s_delay_alu instid0(VALU_DEP_1)
	v_add_f64 v[64:65], v[64:65], v[66:67]
	v_add_co_u32 v0, vcc_lo, v68, v0
	v_add_co_ci_u32_e32 v1, vcc_lo, v69, v1, vcc_lo
	global_store_b64 v[0:1], v[64:65], off
	s_or_b32 exec_lo, exec_lo, s0
	s_and_b32 s1, s8, s1
	s_delay_alu instid0(SALU_CYCLE_1)
	s_and_saveexec_b32 s0, s1
	s_cbranch_execz .LBB184_237
.LBB184_272:
	scratch_load_b64 v[0:1], off, off offset:264
	v_cmp_ne_u32_e32 vcc_lo, 1, v70
	v_lshlrev_b64 v[2:3], 3, v[2:3]
	s_cbranch_vccnz .LBB184_274
; %bb.273:
	s_delay_alu instid0(VALU_DEP_1) | instskip(NEXT) | instid1(VALU_DEP_2)
	v_add_co_u32 v64, vcc_lo, v71, v2
	v_add_co_ci_u32_e32 v65, vcc_lo, v72, v3, vcc_lo
	flat_load_b64 v[64:65], v[64:65]
	s_waitcnt vmcnt(0) lgkmcnt(0)
	v_mul_f64 v[64:65], v[64:65], s[38:39]
	s_branch .LBB184_275
.LBB184_274:
	v_mov_b32_e32 v64, 0
	v_mov_b32_e32 v65, 0
.LBB184_275:
	s_waitcnt vmcnt(0)
	s_delay_alu instid0(VALU_DEP_1)
	v_add_f64 v[0:1], v[0:1], v[64:65]
	v_add_co_u32 v2, vcc_lo, v68, v2
	v_add_co_ci_u32_e32 v3, vcc_lo, v69, v3, vcc_lo
	global_store_b64 v[2:3], v[0:1], off
	s_or_b32 exec_lo, exec_lo, s0
	s_and_b32 s1, s8, s2
	s_delay_alu instid0(SALU_CYCLE_1)
	s_and_saveexec_b32 s0, s1
	s_cbranch_execz .LBB184_238
.LBB184_276:
	scratch_load_b64 v[0:1], off, off offset:272
	v_cmp_ne_u32_e32 vcc_lo, 1, v70
	v_lshlrev_b64 v[2:3], 3, v[4:5]
	s_cbranch_vccnz .LBB184_278
; %bb.277:
	s_delay_alu instid0(VALU_DEP_1) | instskip(NEXT) | instid1(VALU_DEP_2)
	v_add_co_u32 v4, vcc_lo, v71, v2
	v_add_co_ci_u32_e32 v5, vcc_lo, v72, v3, vcc_lo
	flat_load_b64 v[4:5], v[4:5]
	s_waitcnt vmcnt(0) lgkmcnt(0)
	v_mul_f64 v[4:5], v[4:5], s[38:39]
	s_branch .LBB184_279
.LBB184_278:
	v_mov_b32_e32 v4, 0
	v_mov_b32_e32 v5, 0
.LBB184_279:
	s_waitcnt vmcnt(0)
	s_delay_alu instid0(VALU_DEP_1)
	v_add_f64 v[0:1], v[0:1], v[4:5]
	v_add_co_u32 v2, vcc_lo, v68, v2
	v_add_co_ci_u32_e32 v3, vcc_lo, v69, v3, vcc_lo
	global_store_b64 v[2:3], v[0:1], off
	s_or_b32 exec_lo, exec_lo, s0
	s_and_b32 s1, s8, s3
	s_delay_alu instid0(SALU_CYCLE_1)
	s_and_saveexec_b32 s0, s1
	s_cbranch_execz .LBB184_239
.LBB184_280:
	scratch_load_b64 v[0:1], off, off offset:280
	v_cmp_ne_u32_e32 vcc_lo, 1, v70
	v_lshlrev_b64 v[2:3], 3, v[6:7]
	s_cbranch_vccnz .LBB184_282
; %bb.281:
	s_delay_alu instid0(VALU_DEP_1) | instskip(NEXT) | instid1(VALU_DEP_2)
	v_add_co_u32 v4, vcc_lo, v71, v2
	v_add_co_ci_u32_e32 v5, vcc_lo, v72, v3, vcc_lo
	flat_load_b64 v[4:5], v[4:5]
	s_waitcnt vmcnt(0) lgkmcnt(0)
	v_mul_f64 v[4:5], v[4:5], s[38:39]
	s_branch .LBB184_283
.LBB184_282:
	v_mov_b32_e32 v4, 0
	v_mov_b32_e32 v5, 0
.LBB184_283:
	s_waitcnt vmcnt(0)
	s_delay_alu instid0(VALU_DEP_1)
	v_add_f64 v[0:1], v[0:1], v[4:5]
	v_add_co_u32 v2, vcc_lo, v68, v2
	v_add_co_ci_u32_e32 v3, vcc_lo, v69, v3, vcc_lo
	global_store_b64 v[2:3], v[0:1], off
	s_or_b32 exec_lo, exec_lo, s0
	s_and_b32 s1, s8, s4
	s_delay_alu instid0(SALU_CYCLE_1)
	s_and_saveexec_b32 s0, s1
	s_cbranch_execz .LBB184_240
.LBB184_284:
	scratch_load_b64 v[0:1], off, off offset:288
	v_cmp_ne_u32_e32 vcc_lo, 1, v70
	v_lshlrev_b64 v[2:3], 3, v[8:9]
	s_cbranch_vccnz .LBB184_286
; %bb.285:
	s_delay_alu instid0(VALU_DEP_1) | instskip(NEXT) | instid1(VALU_DEP_2)
	v_add_co_u32 v4, vcc_lo, v71, v2
	v_add_co_ci_u32_e32 v5, vcc_lo, v72, v3, vcc_lo
	flat_load_b64 v[4:5], v[4:5]
	s_waitcnt vmcnt(0) lgkmcnt(0)
	v_mul_f64 v[4:5], v[4:5], s[38:39]
	s_branch .LBB184_287
.LBB184_286:
	v_mov_b32_e32 v4, 0
	v_mov_b32_e32 v5, 0
.LBB184_287:
	s_waitcnt vmcnt(0)
	s_delay_alu instid0(VALU_DEP_1)
	v_add_f64 v[0:1], v[0:1], v[4:5]
	v_add_co_u32 v2, vcc_lo, v68, v2
	v_add_co_ci_u32_e32 v3, vcc_lo, v69, v3, vcc_lo
	global_store_b64 v[2:3], v[0:1], off
	s_or_b32 exec_lo, exec_lo, s0
	s_and_b32 s1, s8, s5
	s_delay_alu instid0(SALU_CYCLE_1)
	s_and_saveexec_b32 s0, s1
	s_cbranch_execz .LBB184_241
.LBB184_288:
	scratch_load_b64 v[0:1], off, off offset:296
	v_cmp_ne_u32_e32 vcc_lo, 1, v70
	v_lshlrev_b64 v[2:3], 3, v[10:11]
	s_cbranch_vccnz .LBB184_290
; %bb.289:
	s_delay_alu instid0(VALU_DEP_1) | instskip(NEXT) | instid1(VALU_DEP_2)
	v_add_co_u32 v4, vcc_lo, v71, v2
	v_add_co_ci_u32_e32 v5, vcc_lo, v72, v3, vcc_lo
	flat_load_b64 v[4:5], v[4:5]
	s_waitcnt vmcnt(0) lgkmcnt(0)
	v_mul_f64 v[4:5], v[4:5], s[38:39]
	s_branch .LBB184_291
.LBB184_290:
	v_mov_b32_e32 v4, 0
	v_mov_b32_e32 v5, 0
.LBB184_291:
	s_waitcnt vmcnt(0)
	s_delay_alu instid0(VALU_DEP_1)
	v_add_f64 v[0:1], v[0:1], v[4:5]
	v_add_co_u32 v2, vcc_lo, v68, v2
	v_add_co_ci_u32_e32 v3, vcc_lo, v69, v3, vcc_lo
	global_store_b64 v[2:3], v[0:1], off
	s_or_b32 exec_lo, exec_lo, s0
	s_and_b32 s1, s8, s6
	s_delay_alu instid0(SALU_CYCLE_1)
	s_and_saveexec_b32 s0, s1
	s_cbranch_execz .LBB184_242
.LBB184_292:
	scratch_load_b64 v[0:1], off, off offset:304
	v_cmp_ne_u32_e32 vcc_lo, 1, v70
	v_lshlrev_b64 v[2:3], 3, v[12:13]
	s_cbranch_vccnz .LBB184_294
; %bb.293:
	s_delay_alu instid0(VALU_DEP_1) | instskip(NEXT) | instid1(VALU_DEP_2)
	v_add_co_u32 v4, vcc_lo, v71, v2
	v_add_co_ci_u32_e32 v5, vcc_lo, v72, v3, vcc_lo
	flat_load_b64 v[4:5], v[4:5]
	s_waitcnt vmcnt(0) lgkmcnt(0)
	v_mul_f64 v[4:5], v[4:5], s[38:39]
	s_branch .LBB184_295
.LBB184_294:
	v_mov_b32_e32 v4, 0
	v_mov_b32_e32 v5, 0
.LBB184_295:
	s_waitcnt vmcnt(0)
	s_delay_alu instid0(VALU_DEP_1)
	v_add_f64 v[0:1], v[0:1], v[4:5]
	v_add_co_u32 v2, vcc_lo, v68, v2
	v_add_co_ci_u32_e32 v3, vcc_lo, v69, v3, vcc_lo
	global_store_b64 v[2:3], v[0:1], off
	s_or_b32 exec_lo, exec_lo, s0
	s_and_b32 s1, s8, s7
	s_delay_alu instid0(SALU_CYCLE_1)
	s_and_saveexec_b32 s0, s1
	s_cbranch_execz .LBB184_243
.LBB184_296:
	scratch_load_b64 v[0:1], off, off offset:312
	v_cmp_ne_u32_e32 vcc_lo, 1, v70
	v_lshlrev_b64 v[2:3], 3, v[14:15]
	s_cbranch_vccnz .LBB184_298
; %bb.297:
	s_delay_alu instid0(VALU_DEP_1) | instskip(NEXT) | instid1(VALU_DEP_2)
	v_add_co_u32 v4, vcc_lo, v71, v2
	v_add_co_ci_u32_e32 v5, vcc_lo, v72, v3, vcc_lo
	flat_load_b64 v[4:5], v[4:5]
	s_waitcnt vmcnt(0) lgkmcnt(0)
	v_mul_f64 v[4:5], v[4:5], s[38:39]
	s_branch .LBB184_299
.LBB184_298:
	v_mov_b32_e32 v4, 0
	v_mov_b32_e32 v5, 0
.LBB184_299:
	s_waitcnt vmcnt(0)
	s_delay_alu instid0(VALU_DEP_1)
	v_add_f64 v[0:1], v[0:1], v[4:5]
	v_add_co_u32 v2, vcc_lo, v68, v2
	v_add_co_ci_u32_e32 v3, vcc_lo, v69, v3, vcc_lo
	global_store_b64 v[2:3], v[0:1], off
	s_or_b32 exec_lo, exec_lo, s0
	s_and_b32 s1, s8, s9
	s_delay_alu instid0(SALU_CYCLE_1)
	s_and_saveexec_b32 s0, s1
	s_cbranch_execz .LBB184_244
.LBB184_300:
	scratch_load_b64 v[0:1], off, off offset:320
	v_cmp_ne_u32_e32 vcc_lo, 1, v70
	v_lshlrev_b64 v[2:3], 3, v[16:17]
	s_cbranch_vccnz .LBB184_302
; %bb.301:
	s_delay_alu instid0(VALU_DEP_1) | instskip(NEXT) | instid1(VALU_DEP_2)
	v_add_co_u32 v4, vcc_lo, v71, v2
	v_add_co_ci_u32_e32 v5, vcc_lo, v72, v3, vcc_lo
	flat_load_b64 v[4:5], v[4:5]
	s_waitcnt vmcnt(0) lgkmcnt(0)
	v_mul_f64 v[4:5], v[4:5], s[38:39]
	s_branch .LBB184_303
.LBB184_302:
	v_mov_b32_e32 v4, 0
	v_mov_b32_e32 v5, 0
.LBB184_303:
	s_waitcnt vmcnt(0)
	s_delay_alu instid0(VALU_DEP_1)
	v_add_f64 v[0:1], v[0:1], v[4:5]
	v_add_co_u32 v2, vcc_lo, v68, v2
	v_add_co_ci_u32_e32 v3, vcc_lo, v69, v3, vcc_lo
	global_store_b64 v[2:3], v[0:1], off
	s_or_b32 exec_lo, exec_lo, s0
	s_and_b32 s1, s8, s10
	s_delay_alu instid0(SALU_CYCLE_1)
	s_and_saveexec_b32 s0, s1
	s_cbranch_execz .LBB184_245
.LBB184_304:
	scratch_load_b64 v[0:1], off, off offset:328
	v_cmp_ne_u32_e32 vcc_lo, 1, v70
	v_lshlrev_b64 v[2:3], 3, v[18:19]
	s_cbranch_vccnz .LBB184_306
; %bb.305:
	s_delay_alu instid0(VALU_DEP_1) | instskip(NEXT) | instid1(VALU_DEP_2)
	v_add_co_u32 v4, vcc_lo, v71, v2
	v_add_co_ci_u32_e32 v5, vcc_lo, v72, v3, vcc_lo
	flat_load_b64 v[4:5], v[4:5]
	s_waitcnt vmcnt(0) lgkmcnt(0)
	v_mul_f64 v[4:5], v[4:5], s[38:39]
	s_branch .LBB184_307
.LBB184_306:
	v_mov_b32_e32 v4, 0
	v_mov_b32_e32 v5, 0
.LBB184_307:
	s_waitcnt vmcnt(0)
	s_delay_alu instid0(VALU_DEP_1)
	v_add_f64 v[0:1], v[0:1], v[4:5]
	v_add_co_u32 v2, vcc_lo, v68, v2
	v_add_co_ci_u32_e32 v3, vcc_lo, v69, v3, vcc_lo
	global_store_b64 v[2:3], v[0:1], off
	s_or_b32 exec_lo, exec_lo, s0
	s_and_b32 s1, s8, s11
	s_delay_alu instid0(SALU_CYCLE_1)
	s_and_saveexec_b32 s0, s1
	s_cbranch_execz .LBB184_246
.LBB184_308:
	scratch_load_b64 v[0:1], off, off offset:336
	v_cmp_ne_u32_e32 vcc_lo, 1, v70
	v_lshlrev_b64 v[2:3], 3, v[20:21]
	s_cbranch_vccnz .LBB184_310
; %bb.309:
	s_delay_alu instid0(VALU_DEP_1) | instskip(NEXT) | instid1(VALU_DEP_2)
	v_add_co_u32 v4, vcc_lo, v71, v2
	v_add_co_ci_u32_e32 v5, vcc_lo, v72, v3, vcc_lo
	flat_load_b64 v[4:5], v[4:5]
	s_waitcnt vmcnt(0) lgkmcnt(0)
	v_mul_f64 v[4:5], v[4:5], s[38:39]
	s_branch .LBB184_311
.LBB184_310:
	v_mov_b32_e32 v4, 0
	v_mov_b32_e32 v5, 0
.LBB184_311:
	s_waitcnt vmcnt(0)
	s_delay_alu instid0(VALU_DEP_1)
	v_add_f64 v[0:1], v[0:1], v[4:5]
	v_add_co_u32 v2, vcc_lo, v68, v2
	v_add_co_ci_u32_e32 v3, vcc_lo, v69, v3, vcc_lo
	global_store_b64 v[2:3], v[0:1], off
	s_or_b32 exec_lo, exec_lo, s0
	s_and_b32 s1, s8, s12
	s_delay_alu instid0(SALU_CYCLE_1)
	s_and_saveexec_b32 s0, s1
	s_cbranch_execz .LBB184_247
.LBB184_312:
	scratch_load_b64 v[0:1], off, off offset:344
	v_cmp_ne_u32_e32 vcc_lo, 1, v70
	v_lshlrev_b64 v[2:3], 3, v[22:23]
	s_cbranch_vccnz .LBB184_314
; %bb.313:
	s_delay_alu instid0(VALU_DEP_1) | instskip(NEXT) | instid1(VALU_DEP_2)
	v_add_co_u32 v4, vcc_lo, v71, v2
	v_add_co_ci_u32_e32 v5, vcc_lo, v72, v3, vcc_lo
	flat_load_b64 v[4:5], v[4:5]
	s_waitcnt vmcnt(0) lgkmcnt(0)
	v_mul_f64 v[4:5], v[4:5], s[38:39]
	s_branch .LBB184_315
.LBB184_314:
	v_mov_b32_e32 v4, 0
	v_mov_b32_e32 v5, 0
.LBB184_315:
	s_waitcnt vmcnt(0)
	s_delay_alu instid0(VALU_DEP_1)
	v_add_f64 v[0:1], v[0:1], v[4:5]
	v_add_co_u32 v2, vcc_lo, v68, v2
	v_add_co_ci_u32_e32 v3, vcc_lo, v69, v3, vcc_lo
	global_store_b64 v[2:3], v[0:1], off
	s_or_b32 exec_lo, exec_lo, s0
	s_and_b32 s1, s8, s13
	s_delay_alu instid0(SALU_CYCLE_1)
	s_and_saveexec_b32 s0, s1
	s_cbranch_execz .LBB184_248
.LBB184_316:
	scratch_load_b64 v[0:1], off, off offset:352
	v_cmp_ne_u32_e32 vcc_lo, 1, v70
	v_lshlrev_b64 v[2:3], 3, v[24:25]
	s_cbranch_vccnz .LBB184_318
; %bb.317:
	s_delay_alu instid0(VALU_DEP_1) | instskip(NEXT) | instid1(VALU_DEP_2)
	v_add_co_u32 v4, vcc_lo, v71, v2
	v_add_co_ci_u32_e32 v5, vcc_lo, v72, v3, vcc_lo
	flat_load_b64 v[4:5], v[4:5]
	s_waitcnt vmcnt(0) lgkmcnt(0)
	v_mul_f64 v[4:5], v[4:5], s[38:39]
	s_branch .LBB184_319
.LBB184_318:
	v_mov_b32_e32 v4, 0
	v_mov_b32_e32 v5, 0
.LBB184_319:
	s_waitcnt vmcnt(0)
	s_delay_alu instid0(VALU_DEP_1)
	v_add_f64 v[0:1], v[0:1], v[4:5]
	v_add_co_u32 v2, vcc_lo, v68, v2
	v_add_co_ci_u32_e32 v3, vcc_lo, v69, v3, vcc_lo
	global_store_b64 v[2:3], v[0:1], off
	s_or_b32 exec_lo, exec_lo, s0
	s_and_b32 s1, s8, s14
	s_delay_alu instid0(SALU_CYCLE_1)
	s_and_saveexec_b32 s0, s1
	s_cbranch_execz .LBB184_249
.LBB184_320:
	scratch_load_b64 v[0:1], off, off offset:360
	v_cmp_ne_u32_e32 vcc_lo, 1, v70
	v_lshlrev_b64 v[2:3], 3, v[26:27]
	s_cbranch_vccnz .LBB184_322
; %bb.321:
	s_delay_alu instid0(VALU_DEP_1) | instskip(NEXT) | instid1(VALU_DEP_2)
	v_add_co_u32 v4, vcc_lo, v71, v2
	v_add_co_ci_u32_e32 v5, vcc_lo, v72, v3, vcc_lo
	flat_load_b64 v[4:5], v[4:5]
	s_waitcnt vmcnt(0) lgkmcnt(0)
	v_mul_f64 v[4:5], v[4:5], s[38:39]
	s_branch .LBB184_323
.LBB184_322:
	v_mov_b32_e32 v4, 0
	v_mov_b32_e32 v5, 0
.LBB184_323:
	s_waitcnt vmcnt(0)
	s_delay_alu instid0(VALU_DEP_1)
	v_add_f64 v[0:1], v[0:1], v[4:5]
	v_add_co_u32 v2, vcc_lo, v68, v2
	v_add_co_ci_u32_e32 v3, vcc_lo, v69, v3, vcc_lo
	global_store_b64 v[2:3], v[0:1], off
	s_or_b32 exec_lo, exec_lo, s0
	s_and_b32 s1, s8, s15
	s_delay_alu instid0(SALU_CYCLE_1)
	s_and_saveexec_b32 s0, s1
	s_cbranch_execz .LBB184_250
.LBB184_324:
	scratch_load_b64 v[0:1], off, off offset:368
	v_cmp_ne_u32_e32 vcc_lo, 1, v70
	v_lshlrev_b64 v[2:3], 3, v[28:29]
	s_cbranch_vccnz .LBB184_326
; %bb.325:
	s_delay_alu instid0(VALU_DEP_1) | instskip(NEXT) | instid1(VALU_DEP_2)
	v_add_co_u32 v4, vcc_lo, v71, v2
	v_add_co_ci_u32_e32 v5, vcc_lo, v72, v3, vcc_lo
	flat_load_b64 v[4:5], v[4:5]
	s_waitcnt vmcnt(0) lgkmcnt(0)
	v_mul_f64 v[4:5], v[4:5], s[38:39]
	s_branch .LBB184_327
.LBB184_326:
	v_mov_b32_e32 v4, 0
	v_mov_b32_e32 v5, 0
.LBB184_327:
	s_waitcnt vmcnt(0)
	s_delay_alu instid0(VALU_DEP_1)
	v_add_f64 v[0:1], v[0:1], v[4:5]
	v_add_co_u32 v2, vcc_lo, v68, v2
	v_add_co_ci_u32_e32 v3, vcc_lo, v69, v3, vcc_lo
	global_store_b64 v[2:3], v[0:1], off
	s_or_b32 exec_lo, exec_lo, s0
	s_and_b32 s1, s8, s16
	s_delay_alu instid0(SALU_CYCLE_1)
	s_and_saveexec_b32 s0, s1
	s_cbranch_execz .LBB184_251
.LBB184_328:
	scratch_load_b64 v[0:1], off, off offset:376
	v_cmp_ne_u32_e32 vcc_lo, 1, v70
	v_lshlrev_b64 v[2:3], 3, v[30:31]
	s_cbranch_vccnz .LBB184_330
; %bb.329:
	s_delay_alu instid0(VALU_DEP_1) | instskip(NEXT) | instid1(VALU_DEP_2)
	v_add_co_u32 v4, vcc_lo, v71, v2
	v_add_co_ci_u32_e32 v5, vcc_lo, v72, v3, vcc_lo
	flat_load_b64 v[4:5], v[4:5]
	s_waitcnt vmcnt(0) lgkmcnt(0)
	v_mul_f64 v[4:5], v[4:5], s[38:39]
	s_branch .LBB184_331
.LBB184_330:
	v_mov_b32_e32 v4, 0
	v_mov_b32_e32 v5, 0
.LBB184_331:
	s_waitcnt vmcnt(0)
	s_delay_alu instid0(VALU_DEP_1)
	v_add_f64 v[0:1], v[0:1], v[4:5]
	v_add_co_u32 v2, vcc_lo, v68, v2
	v_add_co_ci_u32_e32 v3, vcc_lo, v69, v3, vcc_lo
	global_store_b64 v[2:3], v[0:1], off
	s_or_b32 exec_lo, exec_lo, s0
	s_and_b32 s1, s8, s17
	s_delay_alu instid0(SALU_CYCLE_1)
	s_and_saveexec_b32 s0, s1
	s_cbranch_execz .LBB184_252
.LBB184_332:
	scratch_load_b64 v[0:1], off, off offset:384
	v_cmp_ne_u32_e32 vcc_lo, 1, v70
	v_lshlrev_b64 v[2:3], 3, v[32:33]
	s_cbranch_vccnz .LBB184_334
; %bb.333:
	s_delay_alu instid0(VALU_DEP_1) | instskip(NEXT) | instid1(VALU_DEP_2)
	v_add_co_u32 v4, vcc_lo, v71, v2
	v_add_co_ci_u32_e32 v5, vcc_lo, v72, v3, vcc_lo
	flat_load_b64 v[4:5], v[4:5]
	s_waitcnt vmcnt(0) lgkmcnt(0)
	v_mul_f64 v[4:5], v[4:5], s[38:39]
	s_branch .LBB184_335
.LBB184_334:
	v_mov_b32_e32 v4, 0
	v_mov_b32_e32 v5, 0
.LBB184_335:
	s_waitcnt vmcnt(0)
	s_delay_alu instid0(VALU_DEP_1)
	v_add_f64 v[0:1], v[0:1], v[4:5]
	v_add_co_u32 v2, vcc_lo, v68, v2
	v_add_co_ci_u32_e32 v3, vcc_lo, v69, v3, vcc_lo
	global_store_b64 v[2:3], v[0:1], off
	s_or_b32 exec_lo, exec_lo, s0
	s_and_b32 s1, s8, s18
	s_delay_alu instid0(SALU_CYCLE_1)
	s_and_saveexec_b32 s0, s1
	s_cbranch_execz .LBB184_253
.LBB184_336:
	scratch_load_b64 v[0:1], off, off offset:392
	v_cmp_ne_u32_e32 vcc_lo, 1, v70
	v_lshlrev_b64 v[2:3], 3, v[34:35]
	s_cbranch_vccnz .LBB184_338
; %bb.337:
	s_delay_alu instid0(VALU_DEP_1) | instskip(NEXT) | instid1(VALU_DEP_2)
	v_add_co_u32 v4, vcc_lo, v71, v2
	v_add_co_ci_u32_e32 v5, vcc_lo, v72, v3, vcc_lo
	flat_load_b64 v[4:5], v[4:5]
	s_waitcnt vmcnt(0) lgkmcnt(0)
	v_mul_f64 v[4:5], v[4:5], s[38:39]
	s_branch .LBB184_339
.LBB184_338:
	v_mov_b32_e32 v4, 0
	v_mov_b32_e32 v5, 0
.LBB184_339:
	s_waitcnt vmcnt(0)
	s_delay_alu instid0(VALU_DEP_1)
	v_add_f64 v[0:1], v[0:1], v[4:5]
	v_add_co_u32 v2, vcc_lo, v68, v2
	v_add_co_ci_u32_e32 v3, vcc_lo, v69, v3, vcc_lo
	global_store_b64 v[2:3], v[0:1], off
	s_or_b32 exec_lo, exec_lo, s0
	s_and_b32 s1, s8, s19
	s_delay_alu instid0(SALU_CYCLE_1)
	s_and_saveexec_b32 s0, s1
	s_cbranch_execz .LBB184_254
.LBB184_340:
	scratch_load_b64 v[0:1], off, off offset:400
	v_cmp_ne_u32_e32 vcc_lo, 1, v70
	v_lshlrev_b64 v[2:3], 3, v[36:37]
	s_cbranch_vccnz .LBB184_342
; %bb.341:
	s_delay_alu instid0(VALU_DEP_1) | instskip(NEXT) | instid1(VALU_DEP_2)
	v_add_co_u32 v4, vcc_lo, v71, v2
	v_add_co_ci_u32_e32 v5, vcc_lo, v72, v3, vcc_lo
	flat_load_b64 v[4:5], v[4:5]
	s_waitcnt vmcnt(0) lgkmcnt(0)
	v_mul_f64 v[4:5], v[4:5], s[38:39]
	s_branch .LBB184_343
.LBB184_342:
	v_mov_b32_e32 v4, 0
	v_mov_b32_e32 v5, 0
.LBB184_343:
	s_waitcnt vmcnt(0)
	s_delay_alu instid0(VALU_DEP_1)
	v_add_f64 v[0:1], v[0:1], v[4:5]
	v_add_co_u32 v2, vcc_lo, v68, v2
	v_add_co_ci_u32_e32 v3, vcc_lo, v69, v3, vcc_lo
	global_store_b64 v[2:3], v[0:1], off
	s_or_b32 exec_lo, exec_lo, s0
	s_and_b32 s1, s8, s20
	s_delay_alu instid0(SALU_CYCLE_1)
	s_and_saveexec_b32 s0, s1
	s_cbranch_execz .LBB184_255
.LBB184_344:
	scratch_load_b64 v[0:1], off, off offset:408
	v_cmp_ne_u32_e32 vcc_lo, 1, v70
	v_lshlrev_b64 v[2:3], 3, v[38:39]
	s_cbranch_vccnz .LBB184_346
; %bb.345:
	s_delay_alu instid0(VALU_DEP_1) | instskip(NEXT) | instid1(VALU_DEP_2)
	v_add_co_u32 v4, vcc_lo, v71, v2
	v_add_co_ci_u32_e32 v5, vcc_lo, v72, v3, vcc_lo
	flat_load_b64 v[4:5], v[4:5]
	s_waitcnt vmcnt(0) lgkmcnt(0)
	v_mul_f64 v[4:5], v[4:5], s[38:39]
	s_branch .LBB184_347
.LBB184_346:
	v_mov_b32_e32 v4, 0
	v_mov_b32_e32 v5, 0
.LBB184_347:
	s_waitcnt vmcnt(0)
	s_delay_alu instid0(VALU_DEP_1)
	v_add_f64 v[0:1], v[0:1], v[4:5]
	v_add_co_u32 v2, vcc_lo, v68, v2
	v_add_co_ci_u32_e32 v3, vcc_lo, v69, v3, vcc_lo
	global_store_b64 v[2:3], v[0:1], off
	s_or_b32 exec_lo, exec_lo, s0
	s_and_b32 s1, s8, s21
	s_delay_alu instid0(SALU_CYCLE_1)
	s_and_saveexec_b32 s0, s1
	s_cbranch_execz .LBB184_256
.LBB184_348:
	scratch_load_b64 v[0:1], off, off offset:416
	v_cmp_ne_u32_e32 vcc_lo, 1, v70
	v_lshlrev_b64 v[2:3], 3, v[40:41]
	s_cbranch_vccnz .LBB184_350
; %bb.349:
	s_delay_alu instid0(VALU_DEP_1) | instskip(NEXT) | instid1(VALU_DEP_2)
	v_add_co_u32 v4, vcc_lo, v71, v2
	v_add_co_ci_u32_e32 v5, vcc_lo, v72, v3, vcc_lo
	flat_load_b64 v[4:5], v[4:5]
	s_waitcnt vmcnt(0) lgkmcnt(0)
	v_mul_f64 v[4:5], v[4:5], s[38:39]
	s_branch .LBB184_351
.LBB184_350:
	v_mov_b32_e32 v4, 0
	v_mov_b32_e32 v5, 0
.LBB184_351:
	s_waitcnt vmcnt(0)
	s_delay_alu instid0(VALU_DEP_1)
	v_add_f64 v[0:1], v[0:1], v[4:5]
	v_add_co_u32 v2, vcc_lo, v68, v2
	v_add_co_ci_u32_e32 v3, vcc_lo, v69, v3, vcc_lo
	global_store_b64 v[2:3], v[0:1], off
	s_or_b32 exec_lo, exec_lo, s0
	s_and_b32 s1, s8, s22
	s_delay_alu instid0(SALU_CYCLE_1)
	s_and_saveexec_b32 s0, s1
	s_cbranch_execz .LBB184_257
.LBB184_352:
	scratch_load_b64 v[0:1], off, off offset:424
	v_cmp_ne_u32_e32 vcc_lo, 1, v70
	v_lshlrev_b64 v[2:3], 3, v[42:43]
	s_cbranch_vccnz .LBB184_354
; %bb.353:
	s_delay_alu instid0(VALU_DEP_1) | instskip(NEXT) | instid1(VALU_DEP_2)
	v_add_co_u32 v4, vcc_lo, v71, v2
	v_add_co_ci_u32_e32 v5, vcc_lo, v72, v3, vcc_lo
	flat_load_b64 v[4:5], v[4:5]
	s_waitcnt vmcnt(0) lgkmcnt(0)
	v_mul_f64 v[4:5], v[4:5], s[38:39]
	s_branch .LBB184_355
.LBB184_354:
	v_mov_b32_e32 v4, 0
	v_mov_b32_e32 v5, 0
.LBB184_355:
	s_waitcnt vmcnt(0)
	s_delay_alu instid0(VALU_DEP_1)
	v_add_f64 v[0:1], v[0:1], v[4:5]
	v_add_co_u32 v2, vcc_lo, v68, v2
	v_add_co_ci_u32_e32 v3, vcc_lo, v69, v3, vcc_lo
	global_store_b64 v[2:3], v[0:1], off
	s_or_b32 exec_lo, exec_lo, s0
	s_and_b32 s1, s8, s23
	s_delay_alu instid0(SALU_CYCLE_1)
	s_and_saveexec_b32 s0, s1
	s_cbranch_execz .LBB184_258
.LBB184_356:
	scratch_load_b64 v[0:1], off, off offset:432
	v_cmp_ne_u32_e32 vcc_lo, 1, v70
	v_lshlrev_b64 v[2:3], 3, v[44:45]
	s_cbranch_vccnz .LBB184_358
; %bb.357:
	s_delay_alu instid0(VALU_DEP_1) | instskip(NEXT) | instid1(VALU_DEP_2)
	v_add_co_u32 v4, vcc_lo, v71, v2
	v_add_co_ci_u32_e32 v5, vcc_lo, v72, v3, vcc_lo
	flat_load_b64 v[4:5], v[4:5]
	s_waitcnt vmcnt(0) lgkmcnt(0)
	v_mul_f64 v[4:5], v[4:5], s[38:39]
	s_branch .LBB184_359
.LBB184_358:
	v_mov_b32_e32 v4, 0
	v_mov_b32_e32 v5, 0
.LBB184_359:
	s_waitcnt vmcnt(0)
	s_delay_alu instid0(VALU_DEP_1)
	v_add_f64 v[0:1], v[0:1], v[4:5]
	v_add_co_u32 v2, vcc_lo, v68, v2
	v_add_co_ci_u32_e32 v3, vcc_lo, v69, v3, vcc_lo
	global_store_b64 v[2:3], v[0:1], off
	s_or_b32 exec_lo, exec_lo, s0
	s_and_b32 s1, s8, s24
	s_delay_alu instid0(SALU_CYCLE_1)
	s_and_saveexec_b32 s0, s1
	s_cbranch_execz .LBB184_259
.LBB184_360:
	scratch_load_b64 v[0:1], off, off offset:440
	v_cmp_ne_u32_e32 vcc_lo, 1, v70
	v_lshlrev_b64 v[2:3], 3, v[46:47]
	s_cbranch_vccnz .LBB184_362
; %bb.361:
	s_delay_alu instid0(VALU_DEP_1) | instskip(NEXT) | instid1(VALU_DEP_2)
	v_add_co_u32 v4, vcc_lo, v71, v2
	v_add_co_ci_u32_e32 v5, vcc_lo, v72, v3, vcc_lo
	flat_load_b64 v[4:5], v[4:5]
	s_waitcnt vmcnt(0) lgkmcnt(0)
	v_mul_f64 v[4:5], v[4:5], s[38:39]
	s_branch .LBB184_363
.LBB184_362:
	v_mov_b32_e32 v4, 0
	v_mov_b32_e32 v5, 0
.LBB184_363:
	s_waitcnt vmcnt(0)
	s_delay_alu instid0(VALU_DEP_1)
	v_add_f64 v[0:1], v[0:1], v[4:5]
	v_add_co_u32 v2, vcc_lo, v68, v2
	v_add_co_ci_u32_e32 v3, vcc_lo, v69, v3, vcc_lo
	global_store_b64 v[2:3], v[0:1], off
	s_or_b32 exec_lo, exec_lo, s0
	s_and_b32 s1, s8, s25
	s_delay_alu instid0(SALU_CYCLE_1)
	s_and_saveexec_b32 s0, s1
	s_cbranch_execz .LBB184_260
.LBB184_364:
	scratch_load_b64 v[0:1], off, off offset:448
	v_cmp_ne_u32_e32 vcc_lo, 1, v70
	v_lshlrev_b64 v[2:3], 3, v[48:49]
	s_cbranch_vccnz .LBB184_366
; %bb.365:
	s_delay_alu instid0(VALU_DEP_1) | instskip(NEXT) | instid1(VALU_DEP_2)
	v_add_co_u32 v4, vcc_lo, v71, v2
	v_add_co_ci_u32_e32 v5, vcc_lo, v72, v3, vcc_lo
	flat_load_b64 v[4:5], v[4:5]
	s_waitcnt vmcnt(0) lgkmcnt(0)
	v_mul_f64 v[4:5], v[4:5], s[38:39]
	s_branch .LBB184_367
.LBB184_366:
	v_mov_b32_e32 v4, 0
	v_mov_b32_e32 v5, 0
.LBB184_367:
	s_waitcnt vmcnt(0)
	s_delay_alu instid0(VALU_DEP_1)
	v_add_f64 v[0:1], v[0:1], v[4:5]
	v_add_co_u32 v2, vcc_lo, v68, v2
	v_add_co_ci_u32_e32 v3, vcc_lo, v69, v3, vcc_lo
	global_store_b64 v[2:3], v[0:1], off
	s_or_b32 exec_lo, exec_lo, s0
	s_and_b32 s1, s8, s26
	s_delay_alu instid0(SALU_CYCLE_1)
	s_and_saveexec_b32 s0, s1
	s_cbranch_execz .LBB184_261
.LBB184_368:
	scratch_load_b64 v[0:1], off, off offset:456
	v_cmp_ne_u32_e32 vcc_lo, 1, v70
	v_lshlrev_b64 v[2:3], 3, v[50:51]
	s_cbranch_vccnz .LBB184_370
; %bb.369:
	s_delay_alu instid0(VALU_DEP_1) | instskip(NEXT) | instid1(VALU_DEP_2)
	v_add_co_u32 v4, vcc_lo, v71, v2
	v_add_co_ci_u32_e32 v5, vcc_lo, v72, v3, vcc_lo
	flat_load_b64 v[4:5], v[4:5]
	s_waitcnt vmcnt(0) lgkmcnt(0)
	v_mul_f64 v[4:5], v[4:5], s[38:39]
	s_branch .LBB184_371
.LBB184_370:
	v_mov_b32_e32 v4, 0
	v_mov_b32_e32 v5, 0
.LBB184_371:
	s_waitcnt vmcnt(0)
	s_delay_alu instid0(VALU_DEP_1)
	v_add_f64 v[0:1], v[0:1], v[4:5]
	v_add_co_u32 v2, vcc_lo, v68, v2
	v_add_co_ci_u32_e32 v3, vcc_lo, v69, v3, vcc_lo
	global_store_b64 v[2:3], v[0:1], off
	s_or_b32 exec_lo, exec_lo, s0
	s_and_b32 s1, s8, s27
	s_delay_alu instid0(SALU_CYCLE_1)
	s_and_saveexec_b32 s0, s1
	s_cbranch_execz .LBB184_262
.LBB184_372:
	scratch_load_b64 v[0:1], off, off offset:464
	v_cmp_ne_u32_e32 vcc_lo, 1, v70
	v_lshlrev_b64 v[2:3], 3, v[52:53]
	s_cbranch_vccnz .LBB184_374
; %bb.373:
	s_delay_alu instid0(VALU_DEP_1) | instskip(NEXT) | instid1(VALU_DEP_2)
	v_add_co_u32 v4, vcc_lo, v71, v2
	v_add_co_ci_u32_e32 v5, vcc_lo, v72, v3, vcc_lo
	flat_load_b64 v[4:5], v[4:5]
	s_waitcnt vmcnt(0) lgkmcnt(0)
	v_mul_f64 v[4:5], v[4:5], s[38:39]
	s_branch .LBB184_375
.LBB184_374:
	v_mov_b32_e32 v4, 0
	v_mov_b32_e32 v5, 0
.LBB184_375:
	s_waitcnt vmcnt(0)
	s_delay_alu instid0(VALU_DEP_1)
	v_add_f64 v[0:1], v[0:1], v[4:5]
	v_add_co_u32 v2, vcc_lo, v68, v2
	v_add_co_ci_u32_e32 v3, vcc_lo, v69, v3, vcc_lo
	global_store_b64 v[2:3], v[0:1], off
	s_or_b32 exec_lo, exec_lo, s0
	s_and_b32 s1, s8, s28
	s_delay_alu instid0(SALU_CYCLE_1)
	s_and_saveexec_b32 s0, s1
	s_cbranch_execz .LBB184_263
.LBB184_376:
	scratch_load_b64 v[0:1], off, off offset:472
	v_cmp_ne_u32_e32 vcc_lo, 1, v70
	v_lshlrev_b64 v[2:3], 3, v[54:55]
	s_cbranch_vccnz .LBB184_378
; %bb.377:
	s_delay_alu instid0(VALU_DEP_1) | instskip(NEXT) | instid1(VALU_DEP_2)
	v_add_co_u32 v4, vcc_lo, v71, v2
	v_add_co_ci_u32_e32 v5, vcc_lo, v72, v3, vcc_lo
	flat_load_b64 v[4:5], v[4:5]
	s_waitcnt vmcnt(0) lgkmcnt(0)
	v_mul_f64 v[4:5], v[4:5], s[38:39]
	s_branch .LBB184_379
.LBB184_378:
	v_mov_b32_e32 v4, 0
	v_mov_b32_e32 v5, 0
.LBB184_379:
	s_waitcnt vmcnt(0)
	s_delay_alu instid0(VALU_DEP_1)
	v_add_f64 v[0:1], v[0:1], v[4:5]
	v_add_co_u32 v2, vcc_lo, v68, v2
	v_add_co_ci_u32_e32 v3, vcc_lo, v69, v3, vcc_lo
	global_store_b64 v[2:3], v[0:1], off
	s_or_b32 exec_lo, exec_lo, s0
	s_and_b32 s1, s8, s29
	s_delay_alu instid0(SALU_CYCLE_1)
	s_and_saveexec_b32 s0, s1
	s_cbranch_execz .LBB184_264
.LBB184_380:
	scratch_load_b64 v[0:1], off, off offset:480
	v_cmp_ne_u32_e32 vcc_lo, 1, v70
	v_lshlrev_b64 v[2:3], 3, v[56:57]
	s_cbranch_vccnz .LBB184_382
; %bb.381:
	s_delay_alu instid0(VALU_DEP_1) | instskip(NEXT) | instid1(VALU_DEP_2)
	v_add_co_u32 v4, vcc_lo, v71, v2
	v_add_co_ci_u32_e32 v5, vcc_lo, v72, v3, vcc_lo
	flat_load_b64 v[4:5], v[4:5]
	s_waitcnt vmcnt(0) lgkmcnt(0)
	v_mul_f64 v[4:5], v[4:5], s[38:39]
	s_branch .LBB184_383
.LBB184_382:
	v_mov_b32_e32 v4, 0
	v_mov_b32_e32 v5, 0
.LBB184_383:
	s_waitcnt vmcnt(0)
	s_delay_alu instid0(VALU_DEP_1)
	v_add_f64 v[0:1], v[0:1], v[4:5]
	v_add_co_u32 v2, vcc_lo, v68, v2
	v_add_co_ci_u32_e32 v3, vcc_lo, v69, v3, vcc_lo
	global_store_b64 v[2:3], v[0:1], off
	s_or_b32 exec_lo, exec_lo, s0
	s_and_b32 s1, s8, s30
	s_delay_alu instid0(SALU_CYCLE_1)
	s_and_saveexec_b32 s0, s1
	s_cbranch_execz .LBB184_265
.LBB184_384:
	scratch_load_b64 v[0:1], off, off offset:488
	v_cmp_ne_u32_e32 vcc_lo, 1, v70
	v_lshlrev_b64 v[2:3], 3, v[58:59]
	s_cbranch_vccnz .LBB184_386
; %bb.385:
	s_delay_alu instid0(VALU_DEP_1) | instskip(NEXT) | instid1(VALU_DEP_2)
	v_add_co_u32 v4, vcc_lo, v71, v2
	v_add_co_ci_u32_e32 v5, vcc_lo, v72, v3, vcc_lo
	flat_load_b64 v[4:5], v[4:5]
	s_waitcnt vmcnt(0) lgkmcnt(0)
	v_mul_f64 v[4:5], v[4:5], s[38:39]
	s_branch .LBB184_387
.LBB184_386:
	v_mov_b32_e32 v4, 0
	v_mov_b32_e32 v5, 0
.LBB184_387:
	s_waitcnt vmcnt(0)
	s_delay_alu instid0(VALU_DEP_1)
	v_add_f64 v[0:1], v[0:1], v[4:5]
	v_add_co_u32 v2, vcc_lo, v68, v2
	v_add_co_ci_u32_e32 v3, vcc_lo, v69, v3, vcc_lo
	global_store_b64 v[2:3], v[0:1], off
	s_or_b32 exec_lo, exec_lo, s0
	s_and_b32 s1, s8, s31
	s_delay_alu instid0(SALU_CYCLE_1)
	s_and_saveexec_b32 s0, s1
	s_cbranch_execz .LBB184_266
.LBB184_388:
	scratch_load_b64 v[0:1], off, off offset:496
	v_cmp_ne_u32_e32 vcc_lo, 1, v70
	v_lshlrev_b64 v[2:3], 3, v[60:61]
	s_cbranch_vccnz .LBB184_390
; %bb.389:
	s_delay_alu instid0(VALU_DEP_1) | instskip(NEXT) | instid1(VALU_DEP_2)
	v_add_co_u32 v4, vcc_lo, v71, v2
	v_add_co_ci_u32_e32 v5, vcc_lo, v72, v3, vcc_lo
	flat_load_b64 v[4:5], v[4:5]
	s_waitcnt vmcnt(0) lgkmcnt(0)
	v_mul_f64 v[4:5], v[4:5], s[38:39]
	s_branch .LBB184_391
.LBB184_390:
	v_mov_b32_e32 v4, 0
	v_mov_b32_e32 v5, 0
.LBB184_391:
	s_waitcnt vmcnt(0)
	s_delay_alu instid0(VALU_DEP_1)
	v_add_f64 v[0:1], v[0:1], v[4:5]
	v_add_co_u32 v2, vcc_lo, v68, v2
	v_add_co_ci_u32_e32 v3, vcc_lo, v69, v3, vcc_lo
	global_store_b64 v[2:3], v[0:1], off
	s_or_b32 exec_lo, exec_lo, s0
	s_and_b32 s0, s8, s33
	s_delay_alu instid0(SALU_CYCLE_1)
	s_and_saveexec_b32 s1, s0
	s_cbranch_execz .LBB184_267
.LBB184_392:
	scratch_load_b64 v[0:1], off, off offset:504
	v_cmp_ne_u32_e32 vcc_lo, 1, v70
	v_lshlrev_b64 v[2:3], 3, v[62:63]
	s_cbranch_vccnz .LBB184_394
; %bb.393:
	s_delay_alu instid0(VALU_DEP_1) | instskip(NEXT) | instid1(VALU_DEP_2)
	v_add_co_u32 v4, vcc_lo, v71, v2
	v_add_co_ci_u32_e32 v5, vcc_lo, v72, v3, vcc_lo
	flat_load_b64 v[4:5], v[4:5]
	s_waitcnt vmcnt(0) lgkmcnt(0)
	v_mul_f64 v[4:5], v[4:5], s[38:39]
	s_branch .LBB184_395
.LBB184_394:
	v_mov_b32_e32 v4, 0
	v_mov_b32_e32 v5, 0
.LBB184_395:
	s_waitcnt vmcnt(0)
	s_delay_alu instid0(VALU_DEP_1)
	v_add_f64 v[0:1], v[0:1], v[4:5]
	v_add_co_u32 v2, vcc_lo, v68, v2
	v_add_co_ci_u32_e32 v3, vcc_lo, v69, v3, vcc_lo
	global_store_b64 v[2:3], v[0:1], off
	s_endpgm
	.section	.rodata,"a",@progbits
	.p2align	6, 0x0
	.amdhsa_kernel _ZN12_GLOBAL__N_120geam_min_plus_kernelIdddLi4ELi64ELi128ELi128ELi4ELi64ELi4ELi4ELi64ELc78ELc78ELb1ELb1ELb0EdKddEEviiiT16_PT17_ilS4_ilS2_S4_ilPT18_ili26rocblas_geam_ex_operation_
		.amdhsa_group_segment_fixed_size 16384
		.amdhsa_private_segment_fixed_size 528
		.amdhsa_kernarg_size 136
		.amdhsa_user_sgpr_count 14
		.amdhsa_user_sgpr_dispatch_ptr 0
		.amdhsa_user_sgpr_queue_ptr 0
		.amdhsa_user_sgpr_kernarg_segment_ptr 1
		.amdhsa_user_sgpr_dispatch_id 0
		.amdhsa_user_sgpr_private_segment_size 0
		.amdhsa_wavefront_size32 1
		.amdhsa_uses_dynamic_stack 0
		.amdhsa_enable_private_segment 1
		.amdhsa_system_sgpr_workgroup_id_x 1
		.amdhsa_system_sgpr_workgroup_id_y 0
		.amdhsa_system_sgpr_workgroup_id_z 1
		.amdhsa_system_sgpr_workgroup_info 0
		.amdhsa_system_vgpr_workitem_id 1
		.amdhsa_next_free_vgpr 253
		.amdhsa_next_free_sgpr 46
		.amdhsa_reserve_vcc 1
		.amdhsa_float_round_mode_32 0
		.amdhsa_float_round_mode_16_64 0
		.amdhsa_float_denorm_mode_32 3
		.amdhsa_float_denorm_mode_16_64 3
		.amdhsa_dx10_clamp 1
		.amdhsa_ieee_mode 1
		.amdhsa_fp16_overflow 0
		.amdhsa_workgroup_processor_mode 1
		.amdhsa_memory_ordered 1
		.amdhsa_forward_progress 0
		.amdhsa_shared_vgpr_count 0
		.amdhsa_exception_fp_ieee_invalid_op 0
		.amdhsa_exception_fp_denorm_src 0
		.amdhsa_exception_fp_ieee_div_zero 0
		.amdhsa_exception_fp_ieee_overflow 0
		.amdhsa_exception_fp_ieee_underflow 0
		.amdhsa_exception_fp_ieee_inexact 0
		.amdhsa_exception_int_div_zero 0
	.end_amdhsa_kernel
	.section	.text._ZN12_GLOBAL__N_120geam_min_plus_kernelIdddLi4ELi64ELi128ELi128ELi4ELi64ELi4ELi4ELi64ELc78ELc78ELb1ELb1ELb0EdKddEEviiiT16_PT17_ilS4_ilS2_S4_ilPT18_ili26rocblas_geam_ex_operation_,"axG",@progbits,_ZN12_GLOBAL__N_120geam_min_plus_kernelIdddLi4ELi64ELi128ELi128ELi4ELi64ELi4ELi4ELi64ELc78ELc78ELb1ELb1ELb0EdKddEEviiiT16_PT17_ilS4_ilS2_S4_ilPT18_ili26rocblas_geam_ex_operation_,comdat
.Lfunc_end184:
	.size	_ZN12_GLOBAL__N_120geam_min_plus_kernelIdddLi4ELi64ELi128ELi128ELi4ELi64ELi4ELi4ELi64ELc78ELc78ELb1ELb1ELb0EdKddEEviiiT16_PT17_ilS4_ilS2_S4_ilPT18_ili26rocblas_geam_ex_operation_, .Lfunc_end184-_ZN12_GLOBAL__N_120geam_min_plus_kernelIdddLi4ELi64ELi128ELi128ELi4ELi64ELi4ELi4ELi64ELc78ELc78ELb1ELb1ELb0EdKddEEviiiT16_PT17_ilS4_ilS2_S4_ilPT18_ili26rocblas_geam_ex_operation_
                                        ; -- End function
	.section	.AMDGPU.csdata,"",@progbits
; Kernel info:
; codeLenInByte = 46992
; NumSgprs: 48
; NumVgprs: 253
; ScratchSize: 528
; MemoryBound: 1
; FloatMode: 240
; IeeeMode: 1
; LDSByteSize: 16384 bytes/workgroup (compile time only)
; SGPRBlocks: 5
; VGPRBlocks: 31
; NumSGPRsForWavesPerEU: 48
; NumVGPRsForWavesPerEU: 253
; Occupancy: 5
; WaveLimiterHint : 1
; COMPUTE_PGM_RSRC2:SCRATCH_EN: 1
; COMPUTE_PGM_RSRC2:USER_SGPR: 14
; COMPUTE_PGM_RSRC2:TRAP_HANDLER: 0
; COMPUTE_PGM_RSRC2:TGID_X_EN: 1
; COMPUTE_PGM_RSRC2:TGID_Y_EN: 0
; COMPUTE_PGM_RSRC2:TGID_Z_EN: 1
; COMPUTE_PGM_RSRC2:TIDIG_COMP_CNT: 1
	.section	.text._ZN12_GLOBAL__N_120geam_min_plus_kernelIdddLi4ELi64ELi128ELi128ELi4ELi64ELi4ELi4ELi64ELc78ELc78ELb0ELb1ELb0EdKddEEviiiT16_PT17_ilS4_ilS2_S4_ilPT18_ili26rocblas_geam_ex_operation_,"axG",@progbits,_ZN12_GLOBAL__N_120geam_min_plus_kernelIdddLi4ELi64ELi128ELi128ELi4ELi64ELi4ELi4ELi64ELc78ELc78ELb0ELb1ELb0EdKddEEviiiT16_PT17_ilS4_ilS2_S4_ilPT18_ili26rocblas_geam_ex_operation_,comdat
	.globl	_ZN12_GLOBAL__N_120geam_min_plus_kernelIdddLi4ELi64ELi128ELi128ELi4ELi64ELi4ELi4ELi64ELc78ELc78ELb0ELb1ELb0EdKddEEviiiT16_PT17_ilS4_ilS2_S4_ilPT18_ili26rocblas_geam_ex_operation_ ; -- Begin function _ZN12_GLOBAL__N_120geam_min_plus_kernelIdddLi4ELi64ELi128ELi128ELi4ELi64ELi4ELi4ELi64ELc78ELc78ELb0ELb1ELb0EdKddEEviiiT16_PT17_ilS4_ilS2_S4_ilPT18_ili26rocblas_geam_ex_operation_
	.p2align	8
	.type	_ZN12_GLOBAL__N_120geam_min_plus_kernelIdddLi4ELi64ELi128ELi128ELi4ELi64ELi4ELi4ELi64ELc78ELc78ELb0ELb1ELb0EdKddEEviiiT16_PT17_ilS4_ilS2_S4_ilPT18_ili26rocblas_geam_ex_operation_,@function
_ZN12_GLOBAL__N_120geam_min_plus_kernelIdddLi4ELi64ELi128ELi128ELi4ELi64ELi4ELi4ELi64ELc78ELc78ELb0ELb1ELb0EdKddEEviiiT16_PT17_ilS4_ilS2_S4_ilPT18_ili26rocblas_geam_ex_operation_: ; @_ZN12_GLOBAL__N_120geam_min_plus_kernelIdddLi4ELi64ELi128ELi128ELi4ELi64ELi4ELi4ELi64ELc78ELc78ELb0ELb1ELb0EdKddEEviiiT16_PT17_ilS4_ilS2_S4_ilPT18_ili26rocblas_geam_ex_operation_
; %bb.0:
	s_clause 0x1
	s_load_b128 s[16:19], s[0:1], 0x10
	s_load_b128 s[4:7], s[0:1], 0x28
	s_mov_b64 s[12:13], 0
	s_waitcnt lgkmcnt(0)
	v_cmp_eq_f64_e64 s8, s[16:17], 0
	s_delay_alu instid0(VALU_DEP_1)
	s_and_b32 vcc_lo, exec_lo, s8
	s_cbranch_vccnz .LBB185_2
; %bb.1:
	s_mul_i32 s2, s15, s5
	s_mul_hi_u32 s3, s15, s4
	s_delay_alu instid0(SALU_CYCLE_1) | instskip(SKIP_1) | instid1(SALU_CYCLE_1)
	s_add_i32 s3, s3, s2
	s_mul_i32 s2, s15, s4
	s_lshl_b64 s[2:3], s[2:3], 3
	s_delay_alu instid0(SALU_CYCLE_1)
	s_add_u32 s12, s18, s2
	s_addc_u32 s13, s19, s3
.LBB185_2:
	s_clause 0x1
	s_load_b128 s[36:39], s[0:1], 0x40
	s_load_b64 s[2:3], s[0:1], 0x50
	s_and_not1_b32 vcc_lo, exec_lo, s8
	s_cbranch_vccnz .LBB185_4
; %bb.3:
	s_mov_b32 s20, 0
	s_mov_b64 s[18:19], 0
	s_cbranch_execz .LBB185_5
	s_branch .LBB185_6
.LBB185_4:
	s_mov_b32 s20, -1
                                        ; implicit-def: $sgpr18_sgpr19
.LBB185_5:
	s_waitcnt lgkmcnt(0)
	s_mul_i32 s4, s15, s37
	s_mul_hi_u32 s5, s15, s36
	s_mov_b32 s20, 0
	s_add_i32 s5, s5, s4
	s_mul_i32 s4, s15, s36
	s_delay_alu instid0(SALU_CYCLE_1) | instskip(NEXT) | instid1(SALU_CYCLE_1)
	s_lshl_b64 s[4:5], s[4:5], 3
	s_add_u32 s18, s6, s4
	s_addc_u32 s19, s7, s5
.LBB185_6:
	s_waitcnt lgkmcnt(0)
	v_cmp_eq_f64_e64 s4, s[38:39], 0
	v_cmp_neq_f64_e64 s36, s[38:39], 0
	s_load_b128 s[8:11], s[0:1], 0x60
	s_mov_b64 s[34:35], 0
	s_delay_alu instid0(VALU_DEP_2)
	s_and_b32 vcc_lo, exec_lo, s4
	s_cbranch_vccnz .LBB185_8
; %bb.7:
	s_waitcnt lgkmcnt(0)
	s_mul_i32 s4, s15, s9
	s_mul_hi_u32 s5, s15, s8
	s_mul_i32 s6, s20, s8
	s_add_i32 s4, s5, s4
	s_delay_alu instid0(SALU_CYCLE_1) | instskip(SKIP_1) | instid1(SALU_CYCLE_1)
	s_add_i32 s5, s4, s6
	s_mul_i32 s4, s15, s8
	s_lshl_b64 s[4:5], s[4:5], 3
	s_delay_alu instid0(SALU_CYCLE_1)
	s_add_u32 s34, s2, s4
	s_addc_u32 s35, s3, s5
.LBB185_8:
	s_clause 0x1
	s_load_b128 s[40:43], s[0:1], 0x0
	s_load_b32 s21, s[0:1], 0x20
	s_mov_b32 s2, 0
	v_bfe_u32 v83, v0, 10, 10
	s_mov_b32 s3, s2
	s_delay_alu instid0(SALU_CYCLE_1) | instskip(SKIP_2) | instid1(VALU_DEP_3)
	v_dual_mov_b32 v5, s3 :: v_dual_and_b32 v82, 0x3ff, v0
	v_mov_b32_e32 v4, s2
	v_cmp_eq_f64_e64 s22, s[16:17], 0
	v_lshl_add_u32 v6, v83, 2, v82
	s_delay_alu instid0(VALU_DEP_1) | instskip(SKIP_2) | instid1(VALU_DEP_1)
	v_lshrrev_b32_e32 v84, 6, v6
	s_waitcnt lgkmcnt(0)
	s_add_i32 s2, s40, -1
	v_cmp_le_i32_e32 vcc_lo, s42, v84
	s_ashr_i32 s3, s2, 31
	s_delay_alu instid0(SALU_CYCLE_1) | instskip(NEXT) | instid1(SALU_CYCLE_1)
	s_lshr_b32 s3, s3, 25
	s_add_i32 s2, s2, s3
	s_delay_alu instid0(SALU_CYCLE_1) | instskip(NEXT) | instid1(SALU_CYCLE_1)
	s_ashr_i32 s2, s2, 7
	s_add_i32 s3, s2, 1
	s_not_b32 s2, s2
	v_cvt_f32_u32_e32 v0, s3
	s_delay_alu instid0(VALU_DEP_1) | instskip(SKIP_2) | instid1(VALU_DEP_1)
	v_rcp_iflag_f32_e32 v0, v0
	s_waitcnt_depctr 0xfff
	v_mul_f32_e32 v0, 0x4f7ffffe, v0
	v_cvt_u32_f32_e32 v0, v0
	s_delay_alu instid0(VALU_DEP_1) | instskip(NEXT) | instid1(VALU_DEP_1)
	v_readfirstlane_b32 s4, v0
	s_mul_i32 s2, s2, s4
	s_delay_alu instid0(SALU_CYCLE_1) | instskip(NEXT) | instid1(SALU_CYCLE_1)
	s_mul_hi_u32 s2, s4, s2
	s_add_i32 s4, s4, s2
	s_delay_alu instid0(SALU_CYCLE_1) | instskip(NEXT) | instid1(SALU_CYCLE_1)
	s_mul_hi_u32 s2, s14, s4
	s_mul_i32 s4, s2, s3
	s_add_i32 s5, s2, 1
	s_sub_i32 s4, s14, s4
	s_delay_alu instid0(SALU_CYCLE_1)
	s_sub_i32 s6, s4, s3
	s_cmp_ge_u32 s4, s3
	s_cselect_b32 s2, s5, s2
	s_cselect_b32 s4, s6, s4
	s_add_i32 s5, s2, 1
	s_cmp_ge_u32 s4, s3
	s_cselect_b32 s4, s5, s2
	s_delay_alu instid0(SALU_CYCLE_1) | instskip(NEXT) | instid1(SALU_CYCLE_1)
	s_mul_i32 s2, s4, s3
	s_sub_i32 s2, s14, s2
	s_add_i32 s14, s42, -1
	s_lshl_b32 s8, s2, 7
	v_min_i32_e32 v2, s14, v84
	s_delay_alu instid0(VALU_DEP_1) | instskip(NEXT) | instid1(VALU_DEP_1)
	v_mad_i64_i32 v[0:1], null, s21, v2, 0
	v_lshlrev_b64 v[2:3], 3, v[0:1]
	v_mov_b32_e32 v0, 0
	v_dual_mov_b32 v1, 0 :: v_dual_and_b32 v78, 63, v6
	s_clause 0xe
	scratch_store_b64 off, v[4:5], off
	scratch_store_b64 off, v[4:5], off offset:8
	scratch_store_b64 off, v[4:5], off offset:16
	;; [unrolled: 1-line block ×14, first 2 shown]
	v_add_co_u32 v7, s3, s12, v2
	s_delay_alu instid0(VALU_DEP_1)
	v_add_co_ci_u32_e64 v8, s3, s13, v3, s3
	v_mov_b32_e32 v3, v1
	v_or_b32_e32 v68, s8, v78
	v_mov_b32_e32 v2, v0
	s_clause 0x5
	scratch_store_b64 off, v[4:5], off offset:120
	scratch_store_b64 off, v[4:5], off offset:128
	;; [unrolled: 1-line block ×6, first 2 shown]
	v_cmp_le_i32_e64 s2, s40, v68
	v_ashrrev_i32_e32 v69, 31, v68
	s_clause 0x10
	scratch_store_b64 off, v[4:5], off offset:168
	scratch_store_b64 off, v[4:5], off offset:176
	;; [unrolled: 1-line block ×17, first 2 shown]
	s_or_b32 s3, s2, vcc_lo
	s_clause 0x1
	scratch_store_b64 off, v[4:5], off offset:304
	scratch_store_b64 off, v[4:5], off offset:312
	s_or_b32 s3, s22, s3
	s_clause 0x3
	scratch_store_b64 off, v[4:5], off offset:320
	scratch_store_b64 off, v[4:5], off offset:328
	;; [unrolled: 1-line block ×4, first 2 shown]
	s_xor_b32 s3, s3, -1
	s_clause 0x13
	scratch_store_b64 off, v[4:5], off offset:352
	scratch_store_b64 off, v[4:5], off offset:360
	;; [unrolled: 1-line block ×20, first 2 shown]
	s_and_saveexec_b32 s5, s3
	s_cbranch_execz .LBB185_10
; %bb.9:
	v_lshlrev_b64 v[2:3], 3, v[68:69]
	s_delay_alu instid0(VALU_DEP_1) | instskip(NEXT) | instid1(VALU_DEP_1)
	v_add_co_u32 v2, s3, v7, v2
	v_add_co_ci_u32_e64 v3, s3, v8, v3, s3
	flat_load_b64 v[2:3], v[2:3]
	s_waitcnt vmcnt(0) lgkmcnt(0)
	v_mul_f64 v[2:3], v[2:3], s[16:17]
.LBB185_10:
	s_or_b32 exec_lo, exec_lo, s5
	v_or_b32_e32 v4, 64, v68
	s_delay_alu instid0(VALU_DEP_1) | instskip(SKIP_1) | instid1(VALU_DEP_2)
	v_cmp_le_i32_e64 s3, s40, v4
	v_dual_mov_b32 v5, v1 :: v_dual_mov_b32 v4, v0
	s_or_b32 s5, s3, vcc_lo
	s_delay_alu instid0(SALU_CYCLE_1) | instskip(NEXT) | instid1(SALU_CYCLE_1)
	s_or_b32 s5, s22, s5
	s_xor_b32 s6, s5, -1
	s_delay_alu instid0(SALU_CYCLE_1)
	s_and_saveexec_b32 s5, s6
	s_cbranch_execz .LBB185_12
; %bb.11:
	v_lshlrev_b64 v[4:5], 3, v[68:69]
	s_delay_alu instid0(VALU_DEP_1) | instskip(NEXT) | instid1(VALU_DEP_2)
	v_add_co_u32 v4, vcc_lo, v7, v4
	v_add_co_ci_u32_e32 v5, vcc_lo, v8, v5, vcc_lo
	flat_load_b64 v[4:5], v[4:5] offset:512
	s_waitcnt vmcnt(0) lgkmcnt(0)
	v_mul_f64 v[4:5], v[4:5], s[16:17]
.LBB185_12:
	s_or_b32 exec_lo, exec_lo, s5
	v_and_b32_e32 v85, 3, v82
	v_lshrrev_b32_e32 v8, 2, v6
	s_load_b32 s24, s[0:1], 0x38
	s_lshl_b32 s9, s4, 7
	s_delay_alu instid0(VALU_DEP_2) | instskip(NEXT) | instid1(VALU_DEP_2)
	v_min_i32_e32 v6, s14, v85
	v_add_nc_u32_e32 v79, s9, v8
	v_cmp_le_i32_e32 vcc_lo, s42, v85
	s_delay_alu instid0(VALU_DEP_3) | instskip(NEXT) | instid1(VALU_DEP_3)
	v_ashrrev_i32_e32 v7, 31, v6
	v_cmp_le_i32_e64 s4, s41, v79
	s_delay_alu instid0(VALU_DEP_2) | instskip(NEXT) | instid1(VALU_DEP_2)
	v_lshlrev_b64 v[6:7], 3, v[6:7]
	s_or_b32 s6, vcc_lo, s4
	s_delay_alu instid0(VALU_DEP_1) | instskip(NEXT) | instid1(VALU_DEP_1)
	v_add_co_u32 v9, s5, s18, v6
	v_add_co_ci_u32_e64 v10, s5, s19, v7, s5
	s_or_b32 s5, s22, s6
	s_delay_alu instid0(SALU_CYCLE_1) | instskip(NEXT) | instid1(SALU_CYCLE_1)
	s_xor_b32 s5, s5, -1
	s_and_saveexec_b32 s6, s5
	s_cbranch_execz .LBB185_14
; %bb.13:
	s_waitcnt lgkmcnt(0)
	v_mad_i64_i32 v[0:1], null, v79, s24, 0
	s_delay_alu instid0(VALU_DEP_1) | instskip(NEXT) | instid1(VALU_DEP_1)
	v_lshlrev_b64 v[0:1], 3, v[0:1]
	v_add_co_u32 v0, s5, v9, v0
	s_delay_alu instid0(VALU_DEP_1)
	v_add_co_ci_u32_e64 v1, s5, v10, v1, s5
	flat_load_b64 v[0:1], v[0:1]
	s_waitcnt vmcnt(0) lgkmcnt(0)
	v_mul_f64 v[0:1], v[0:1], s[16:17]
.LBB185_14:
	s_or_b32 exec_lo, exec_lo, s6
	v_add_nc_u32_e32 v80, 64, v79
	v_mov_b32_e32 v70, 0
	v_mov_b32_e32 v71, 0
	s_delay_alu instid0(VALU_DEP_2) | instskip(NEXT) | instid1(VALU_DEP_4)
	v_mov_b32_e32 v6, v70
	v_cmp_le_i32_e64 s5, s41, v80
	s_delay_alu instid0(VALU_DEP_3) | instskip(NEXT) | instid1(VALU_DEP_2)
	v_mov_b32_e32 v7, v71
	s_or_b32 s6, vcc_lo, s5
	s_delay_alu instid0(SALU_CYCLE_1) | instskip(NEXT) | instid1(SALU_CYCLE_1)
	s_or_b32 s6, s22, s6
	s_xor_b32 s7, s6, -1
	s_delay_alu instid0(SALU_CYCLE_1)
	s_and_saveexec_b32 s6, s7
	s_cbranch_execz .LBB185_16
; %bb.15:
	s_waitcnt lgkmcnt(0)
	v_mad_i64_i32 v[6:7], null, v80, s24, 0
	s_delay_alu instid0(VALU_DEP_1) | instskip(NEXT) | instid1(VALU_DEP_1)
	v_lshlrev_b64 v[6:7], 3, v[6:7]
	v_add_co_u32 v6, vcc_lo, v9, v6
	s_delay_alu instid0(VALU_DEP_2)
	v_add_co_ci_u32_e32 v7, vcc_lo, v10, v7, vcc_lo
	flat_load_b64 v[6:7], v[6:7]
	s_waitcnt vmcnt(0) lgkmcnt(0)
	v_mul_f64 v[6:7], v[6:7], s[16:17]
.LBB185_16:
	s_or_b32 exec_lo, exec_lo, s6
	v_add_nc_u32_e32 v11, 4, v84
	s_delay_alu instid0(VALU_DEP_1) | instskip(SKIP_1) | instid1(VALU_DEP_2)
	v_min_i32_e32 v12, s14, v11
	v_cmp_le_i32_e32 vcc_lo, s42, v11
	v_mad_i64_i32 v[9:10], null, s21, v12, 0
	s_or_b32 s7, s2, vcc_lo
	s_delay_alu instid0(VALU_DEP_1) | instskip(NEXT) | instid1(VALU_DEP_1)
	v_lshlrev_b64 v[9:10], 3, v[9:10]
	v_add_co_u32 v9, s6, s12, v9
	s_delay_alu instid0(VALU_DEP_1) | instskip(SKIP_1) | instid1(SALU_CYCLE_1)
	v_add_co_ci_u32_e64 v10, s6, s13, v10, s6
	s_or_b32 s6, s22, s7
	s_xor_b32 s6, s6, -1
	s_delay_alu instid0(SALU_CYCLE_1)
	s_and_saveexec_b32 s7, s6
	s_cbranch_execz .LBB185_18
; %bb.17:
	v_lshlrev_b64 v[11:12], 3, v[68:69]
	s_delay_alu instid0(VALU_DEP_1) | instskip(NEXT) | instid1(VALU_DEP_1)
	v_add_co_u32 v11, s6, v9, v11
	v_add_co_ci_u32_e64 v12, s6, v10, v12, s6
	flat_load_b64 v[11:12], v[11:12]
	s_waitcnt vmcnt(0) lgkmcnt(0)
	v_mul_f64 v[70:71], v[11:12], s[16:17]
.LBB185_18:
	s_or_b32 exec_lo, exec_lo, s7
	v_mov_b32_e32 v74, 0
	v_mov_b32_e32 v75, 0
	s_or_b32 s6, s3, vcc_lo
	s_delay_alu instid0(VALU_DEP_2) | instskip(SKIP_1) | instid1(VALU_DEP_2)
	v_mov_b32_e32 v72, v74
	s_or_b32 s6, s22, s6
	v_mov_b32_e32 v73, v75
	s_xor_b32 s7, s6, -1
	s_delay_alu instid0(SALU_CYCLE_1)
	s_and_saveexec_b32 s6, s7
	s_cbranch_execz .LBB185_20
; %bb.19:
	v_lshlrev_b64 v[11:12], 3, v[68:69]
	s_delay_alu instid0(VALU_DEP_1) | instskip(NEXT) | instid1(VALU_DEP_2)
	v_add_co_u32 v9, vcc_lo, v9, v11
	v_add_co_ci_u32_e32 v10, vcc_lo, v10, v12, vcc_lo
	flat_load_b64 v[9:10], v[9:10] offset:512
	s_waitcnt vmcnt(0) lgkmcnt(0)
	v_mul_f64 v[72:73], v[9:10], s[16:17]
.LBB185_20:
	s_or_b32 exec_lo, exec_lo, s6
	v_or_b32_e32 v11, 4, v85
	s_delay_alu instid0(VALU_DEP_1) | instskip(SKIP_1) | instid1(VALU_DEP_2)
	v_min_i32_e32 v9, s14, v11
	v_cmp_le_i32_e32 vcc_lo, s42, v11
	v_ashrrev_i32_e32 v10, 31, v9
	s_or_b32 s7, vcc_lo, s4
	s_delay_alu instid0(VALU_DEP_1) | instskip(NEXT) | instid1(VALU_DEP_1)
	v_lshlrev_b64 v[9:10], 3, v[9:10]
	v_add_co_u32 v9, s6, s18, v9
	s_delay_alu instid0(VALU_DEP_1) | instskip(SKIP_1) | instid1(SALU_CYCLE_1)
	v_add_co_ci_u32_e64 v10, s6, s19, v10, s6
	s_or_b32 s6, s22, s7
	s_xor_b32 s6, s6, -1
	s_delay_alu instid0(SALU_CYCLE_1)
	s_and_saveexec_b32 s7, s6
	s_cbranch_execz .LBB185_22
; %bb.21:
	s_waitcnt lgkmcnt(0)
	v_mad_i64_i32 v[11:12], null, v79, s24, 0
	s_delay_alu instid0(VALU_DEP_1) | instskip(NEXT) | instid1(VALU_DEP_1)
	v_lshlrev_b64 v[11:12], 3, v[11:12]
	v_add_co_u32 v11, s6, v9, v11
	s_delay_alu instid0(VALU_DEP_1)
	v_add_co_ci_u32_e64 v12, s6, v10, v12, s6
	flat_load_b64 v[11:12], v[11:12]
	s_waitcnt vmcnt(0) lgkmcnt(0)
	v_mul_f64 v[74:75], v[11:12], s[16:17]
.LBB185_22:
	s_or_b32 exec_lo, exec_lo, s7
	s_or_b32 s6, vcc_lo, s5
	v_mov_b32_e32 v76, 0
	v_mov_b32_e32 v77, 0
	s_or_b32 s6, s22, s6
	s_delay_alu instid0(SALU_CYCLE_1) | instskip(NEXT) | instid1(SALU_CYCLE_1)
	s_xor_b32 s7, s6, -1
	s_and_saveexec_b32 s6, s7
	s_cbranch_execz .LBB185_24
; %bb.23:
	s_waitcnt lgkmcnt(0)
	v_mad_i64_i32 v[11:12], null, v80, s24, 0
	s_delay_alu instid0(VALU_DEP_1) | instskip(NEXT) | instid1(VALU_DEP_1)
	v_lshlrev_b64 v[11:12], 3, v[11:12]
	v_add_co_u32 v9, vcc_lo, v9, v11
	s_delay_alu instid0(VALU_DEP_2)
	v_add_co_ci_u32_e32 v10, vcc_lo, v10, v12, vcc_lo
	flat_load_b64 v[9:10], v[9:10]
	s_waitcnt vmcnt(0) lgkmcnt(0)
	v_mul_f64 v[76:77], v[9:10], s[16:17]
.LBB185_24:
	s_or_b32 exec_lo, exec_lo, s6
	v_dual_mov_b32 v92, 8 :: v_dual_lshlrev_b32 v9, 3, v84
	v_dual_mov_b32 v91, 0 :: v_dual_lshlrev_b32 v10, 3, v85
	;; [unrolled: 1-line block ×3, first 2 shown]
	s_delay_alu instid0(VALU_DEP_3) | instskip(NEXT) | instid1(VALU_DEP_3)
	v_lshl_add_u32 v87, v78, 5, v9
	v_lshl_or_b32 v81, v8, 5, v10
	s_delay_alu instid0(VALU_DEP_3)
	v_dual_mov_b32 v95, 32 :: v_dual_add_nc_u32 v48, 0x800, v86
	v_dual_mov_b32 v97, 48 :: v_dual_lshlrev_b32 v88, 5, v83
	ds_store_2addr_stride64_b64 v87, v[2:3], v[4:5] offset1:4
	ds_store_2addr_stride64_b64 v81, v[0:1], v[6:7] offset0:16 offset1:20
	s_waitcnt lgkmcnt(0)
	s_waitcnt_vscnt null, 0x0
	s_barrier
	buffer_gl0_inv
	ds_load_2addr_b64 v[0:3], v86 offset1:16
	ds_load_2addr_b64 v[4:7], v86 offset0:32 offset1:48
	ds_load_2addr_b64 v[8:11], v86 offset0:64 offset1:80
	;; [unrolled: 1-line block ×4, first 2 shown]
	ds_load_2addr_b64 v[20:23], v48 offset1:16
	ds_load_2addr_b64 v[24:27], v48 offset0:32 offset1:48
	ds_load_2addr_b64 v[28:31], v48 offset0:64 offset1:80
	ds_load_2addr_b64 v[32:35], v48 offset0:96 offset1:112
	ds_load_2addr_b64 v[36:39], v48 offset0:128 offset1:144
	ds_load_2addr_b64 v[40:43], v48 offset0:160 offset1:176
	ds_load_2addr_b64 v[44:47], v48 offset0:192 offset1:208
	ds_load_2addr_b64 v[48:51], v48 offset0:224 offset1:240
	ds_load_2addr_b64 v[52:55], v86 offset0:160 offset1:176
	ds_load_2addr_b64 v[56:59], v86 offset0:192 offset1:208
	ds_load_2addr_b64 v[60:63], v86 offset0:224 offset1:240
	ds_load_2addr_stride64_b64 v[64:67], v88 offset0:16 offset1:20
	v_dual_mov_b32 v94, 24 :: v_dual_add_nc_u32 v89, 0x2000, v81
	v_dual_mov_b32 v99, 64 :: v_dual_add_nc_u32 v90, 0x2000, v88
	v_dual_mov_b32 v96, 40 :: v_dual_mov_b32 v101, 0x50
	v_dual_mov_b32 v98, 56 :: v_dual_mov_b32 v103, 0x60
	v_mov_b32_e32 v100, 0x48
	v_mov_b32_e32 v102, 0x58
	;; [unrolled: 1-line block ×21, first 2 shown]
	s_mov_b64 s[6:7], 0
	s_mov_b32 s23, -1
.LBB185_25:                             ; =>This Inner Loop Header: Depth=1
	scratch_load_b64 v[123:124], v91, off
	scratch_load_b64 v[125:126], v92, off
	;; [unrolled: 1-line block ×32, first 2 shown]
	s_cmp_eq_u32 s6, 1
	s_waitcnt lgkmcnt(16)
	v_max_f64 v[189:190], v[0:1], v[0:1]
	s_cselect_b32 vcc_lo, -1, 0
	v_max_f64 v[191:192], v[2:3], v[2:3]
	s_waitcnt lgkmcnt(0)
	v_dual_cndmask_b32 v188, v65, v67 :: v_dual_cndmask_b32 v187, v64, v66
	v_max_f64 v[193:194], v[4:5], v[4:5]
	v_max_f64 v[195:196], v[6:7], v[6:7]
	;; [unrolled: 1-line block ×31, first 2 shown]
	s_mov_b64 s[6:7], 1
	s_and_b32 vcc_lo, exec_lo, s23
	s_mov_b32 s23, 0
	v_min_f64 v[189:190], v[189:190], v[187:188]
	v_min_f64 v[191:192], v[191:192], v[187:188]
	;; [unrolled: 1-line block ×32, first 2 shown]
	s_waitcnt vmcnt(31)
	v_add_f64 v[123:124], v[123:124], v[189:190]
	s_waitcnt vmcnt(30)
	v_add_f64 v[125:126], v[191:192], v[125:126]
	;; [unrolled: 2-line block ×32, first 2 shown]
	scratch_store_b64 v91, v[123:124], off
	scratch_store_b64 v92, v[125:126], off
	;; [unrolled: 1-line block ×32, first 2 shown]
	v_mov_b32_e32 v91, 0x100
	v_mov_b32_e32 v92, 0x108
	;; [unrolled: 1-line block ×32, first 2 shown]
	s_cbranch_vccnz .LBB185_25
; %bb.26:
	v_dual_mov_b32 v91, 0 :: v_dual_add_nc_u32 v60, 0x800, v86
	ds_load_2addr_b64 v[0:3], v86 offset0:1 offset1:17
	ds_load_2addr_b64 v[4:7], v86 offset0:33 offset1:49
	ds_load_2addr_b64 v[8:11], v86 offset0:65 offset1:81
	ds_load_2addr_b64 v[12:15], v86 offset0:97 offset1:113
	ds_load_2addr_b64 v[16:19], v86 offset0:129 offset1:145
	ds_load_2addr_b64 v[20:23], v86 offset0:161 offset1:177
	ds_load_2addr_b64 v[24:27], v86 offset0:193 offset1:209
	ds_load_2addr_b64 v[28:31], v86 offset0:225 offset1:241
	ds_load_2addr_b64 v[32:35], v60 offset0:1 offset1:17
	ds_load_2addr_b64 v[36:39], v60 offset0:33 offset1:49
	ds_load_2addr_b64 v[40:43], v60 offset0:65 offset1:81
	ds_load_2addr_b64 v[44:47], v60 offset0:97 offset1:113
	v_dual_mov_b32 v93, 16 :: v_dual_add_nc_u32 v64, 8, v90
	ds_load_2addr_b64 v[48:51], v60 offset0:129 offset1:145
	ds_load_2addr_b64 v[52:55], v60 offset0:161 offset1:177
	;; [unrolled: 1-line block ×4, first 2 shown]
	ds_load_2addr_stride64_b64 v[64:67], v64 offset1:4
	v_dual_mov_b32 v92, 8 :: v_dual_mov_b32 v95, 32
	v_dual_mov_b32 v94, 24 :: v_dual_mov_b32 v97, 48
	;; [unrolled: 1-line block ×4, first 2 shown]
	v_mov_b32_e32 v100, 0x48
	v_mov_b32_e32 v102, 0x58
	;; [unrolled: 1-line block ×22, first 2 shown]
	s_mov_b64 s[6:7], 0
	s_mov_b32 s23, -1
.LBB185_27:                             ; =>This Inner Loop Header: Depth=1
	scratch_load_b64 v[123:124], v91, off
	scratch_load_b64 v[125:126], v92, off
	scratch_load_b64 v[127:128], v93, off
	scratch_load_b64 v[129:130], v94, off
	scratch_load_b64 v[131:132], v95, off
	scratch_load_b64 v[133:134], v96, off
	scratch_load_b64 v[135:136], v97, off
	scratch_load_b64 v[137:138], v98, off
	scratch_load_b64 v[139:140], v99, off
	scratch_load_b64 v[141:142], v100, off
	scratch_load_b64 v[143:144], v101, off
	scratch_load_b64 v[145:146], v102, off
	scratch_load_b64 v[147:148], v103, off
	scratch_load_b64 v[149:150], v104, off
	scratch_load_b64 v[151:152], v105, off
	scratch_load_b64 v[153:154], v106, off
	scratch_load_b64 v[155:156], v107, off
	scratch_load_b64 v[157:158], v108, off
	scratch_load_b64 v[159:160], v109, off
	scratch_load_b64 v[161:162], v110, off
	scratch_load_b64 v[163:164], v111, off
	scratch_load_b64 v[165:166], v112, off
	scratch_load_b64 v[167:168], v113, off
	scratch_load_b64 v[169:170], v114, off
	scratch_load_b64 v[171:172], v115, off
	scratch_load_b64 v[173:174], v116, off
	scratch_load_b64 v[175:176], v117, off
	scratch_load_b64 v[177:178], v118, off
	scratch_load_b64 v[179:180], v119, off
	scratch_load_b64 v[181:182], v120, off
	scratch_load_b64 v[183:184], v121, off
	scratch_load_b64 v[185:186], v122, off
	s_cmp_eq_u32 s6, 1
	s_waitcnt lgkmcnt(16)
	v_max_f64 v[189:190], v[0:1], v[0:1]
	s_cselect_b32 vcc_lo, -1, 0
	v_max_f64 v[191:192], v[2:3], v[2:3]
	s_waitcnt lgkmcnt(0)
	v_dual_cndmask_b32 v188, v65, v67 :: v_dual_cndmask_b32 v187, v64, v66
	v_max_f64 v[193:194], v[4:5], v[4:5]
	v_max_f64 v[195:196], v[6:7], v[6:7]
	;; [unrolled: 1-line block ×31, first 2 shown]
	s_mov_b64 s[6:7], 1
	s_and_b32 vcc_lo, exec_lo, s23
	s_mov_b32 s23, 0
	v_min_f64 v[189:190], v[189:190], v[187:188]
	v_min_f64 v[191:192], v[191:192], v[187:188]
	;; [unrolled: 1-line block ×32, first 2 shown]
	s_waitcnt vmcnt(31)
	v_add_f64 v[123:124], v[123:124], v[189:190]
	s_waitcnt vmcnt(30)
	v_add_f64 v[125:126], v[191:192], v[125:126]
	;; [unrolled: 2-line block ×32, first 2 shown]
	scratch_store_b64 v91, v[123:124], off
	scratch_store_b64 v92, v[125:126], off
	;; [unrolled: 1-line block ×32, first 2 shown]
	v_mov_b32_e32 v91, 0x100
	v_mov_b32_e32 v92, 0x108
	;; [unrolled: 1-line block ×32, first 2 shown]
	s_cbranch_vccnz .LBB185_27
; %bb.28:
	v_dual_mov_b32 v91, 0 :: v_dual_add_nc_u32 v60, 0x800, v86
	ds_load_2addr_b64 v[0:3], v86 offset0:2 offset1:18
	ds_load_2addr_b64 v[4:7], v86 offset0:34 offset1:50
	ds_load_2addr_b64 v[8:11], v86 offset0:66 offset1:82
	ds_load_2addr_b64 v[12:15], v86 offset0:98 offset1:114
	ds_load_2addr_b64 v[16:19], v86 offset0:130 offset1:146
	ds_load_2addr_b64 v[20:23], v86 offset0:162 offset1:178
	ds_load_2addr_b64 v[24:27], v86 offset0:194 offset1:210
	ds_load_2addr_b64 v[28:31], v86 offset0:226 offset1:242
	ds_load_2addr_b64 v[32:35], v60 offset0:2 offset1:18
	ds_load_2addr_b64 v[36:39], v60 offset0:34 offset1:50
	ds_load_2addr_b64 v[40:43], v60 offset0:66 offset1:82
	ds_load_2addr_b64 v[44:47], v60 offset0:98 offset1:114
	v_dual_mov_b32 v93, 16 :: v_dual_add_nc_u32 v64, 16, v90
	ds_load_2addr_b64 v[48:51], v60 offset0:130 offset1:146
	ds_load_2addr_b64 v[52:55], v60 offset0:162 offset1:178
	;; [unrolled: 1-line block ×4, first 2 shown]
	ds_load_2addr_stride64_b64 v[64:67], v64 offset1:4
	v_dual_mov_b32 v92, 8 :: v_dual_mov_b32 v95, 32
	v_dual_mov_b32 v94, 24 :: v_dual_mov_b32 v97, 48
	;; [unrolled: 1-line block ×4, first 2 shown]
	v_mov_b32_e32 v100, 0x48
	v_mov_b32_e32 v102, 0x58
	v_mov_b32_e32 v103, 0x60
	v_mov_b32_e32 v104, 0x68
	v_mov_b32_e32 v105, 0x70
	v_mov_b32_e32 v106, 0x78
	v_mov_b32_e32 v107, 0x80
	v_mov_b32_e32 v108, 0x88
	v_mov_b32_e32 v109, 0x90
	v_mov_b32_e32 v110, 0x98
	v_mov_b32_e32 v111, 0xa0
	v_mov_b32_e32 v112, 0xa8
	v_mov_b32_e32 v113, 0xb0
	v_mov_b32_e32 v114, 0xb8
	v_mov_b32_e32 v115, 0xc0
	v_mov_b32_e32 v116, 0xc8
	v_mov_b32_e32 v117, 0xd0
	v_mov_b32_e32 v118, 0xd8
	v_mov_b32_e32 v119, 0xe0
	v_mov_b32_e32 v120, 0xe8
	v_mov_b32_e32 v121, 0xf0
	v_mov_b32_e32 v122, 0xf8
	s_mov_b64 s[6:7], 0
	s_mov_b32 s23, -1
.LBB185_29:                             ; =>This Inner Loop Header: Depth=1
	scratch_load_b64 v[123:124], v91, off
	scratch_load_b64 v[125:126], v92, off
	;; [unrolled: 1-line block ×32, first 2 shown]
	s_cmp_eq_u32 s6, 1
	s_waitcnt lgkmcnt(16)
	v_max_f64 v[189:190], v[0:1], v[0:1]
	s_cselect_b32 vcc_lo, -1, 0
	v_max_f64 v[191:192], v[2:3], v[2:3]
	s_waitcnt lgkmcnt(0)
	v_dual_cndmask_b32 v188, v65, v67 :: v_dual_cndmask_b32 v187, v64, v66
	v_max_f64 v[193:194], v[4:5], v[4:5]
	v_max_f64 v[195:196], v[6:7], v[6:7]
	;; [unrolled: 1-line block ×31, first 2 shown]
	s_mov_b64 s[6:7], 1
	s_and_b32 vcc_lo, exec_lo, s23
	s_mov_b32 s23, 0
	v_min_f64 v[189:190], v[189:190], v[187:188]
	v_min_f64 v[191:192], v[191:192], v[187:188]
	v_min_f64 v[193:194], v[193:194], v[187:188]
	v_min_f64 v[195:196], v[195:196], v[187:188]
	v_min_f64 v[197:198], v[197:198], v[187:188]
	v_min_f64 v[199:200], v[199:200], v[187:188]
	v_min_f64 v[201:202], v[201:202], v[187:188]
	v_min_f64 v[203:204], v[203:204], v[187:188]
	v_min_f64 v[205:206], v[205:206], v[187:188]
	v_min_f64 v[207:208], v[207:208], v[187:188]
	v_min_f64 v[209:210], v[209:210], v[187:188]
	v_min_f64 v[211:212], v[211:212], v[187:188]
	v_min_f64 v[213:214], v[213:214], v[187:188]
	v_min_f64 v[215:216], v[215:216], v[187:188]
	v_min_f64 v[217:218], v[217:218], v[187:188]
	v_min_f64 v[219:220], v[219:220], v[187:188]
	v_min_f64 v[221:222], v[221:222], v[187:188]
	v_min_f64 v[223:224], v[223:224], v[187:188]
	v_min_f64 v[225:226], v[225:226], v[187:188]
	v_min_f64 v[227:228], v[227:228], v[187:188]
	v_min_f64 v[229:230], v[229:230], v[187:188]
	v_min_f64 v[231:232], v[231:232], v[187:188]
	v_min_f64 v[233:234], v[233:234], v[187:188]
	v_min_f64 v[235:236], v[235:236], v[187:188]
	v_min_f64 v[237:238], v[237:238], v[187:188]
	v_min_f64 v[239:240], v[239:240], v[187:188]
	v_min_f64 v[241:242], v[241:242], v[187:188]
	v_min_f64 v[243:244], v[243:244], v[187:188]
	v_min_f64 v[245:246], v[245:246], v[187:188]
	v_min_f64 v[247:248], v[247:248], v[187:188]
	v_min_f64 v[249:250], v[249:250], v[187:188]
	v_min_f64 v[187:188], v[251:252], v[187:188]
	s_waitcnt vmcnt(31)
	v_add_f64 v[123:124], v[123:124], v[189:190]
	s_waitcnt vmcnt(30)
	v_add_f64 v[125:126], v[191:192], v[125:126]
	;; [unrolled: 2-line block ×32, first 2 shown]
	scratch_store_b64 v91, v[123:124], off
	scratch_store_b64 v92, v[125:126], off
	;; [unrolled: 1-line block ×32, first 2 shown]
	v_mov_b32_e32 v91, 0x100
	v_mov_b32_e32 v92, 0x108
	v_mov_b32_e32 v93, 0x110
	v_mov_b32_e32 v94, 0x118
	v_mov_b32_e32 v95, 0x120
	v_mov_b32_e32 v96, 0x128
	v_mov_b32_e32 v97, 0x130
	v_mov_b32_e32 v98, 0x138
	v_mov_b32_e32 v99, 0x140
	v_mov_b32_e32 v100, 0x148
	v_mov_b32_e32 v101, 0x150
	v_mov_b32_e32 v102, 0x158
	v_mov_b32_e32 v103, 0x160
	v_mov_b32_e32 v104, 0x168
	v_mov_b32_e32 v105, 0x170
	v_mov_b32_e32 v106, 0x178
	v_mov_b32_e32 v107, 0x180
	v_mov_b32_e32 v108, 0x188
	v_mov_b32_e32 v109, 0x190
	v_mov_b32_e32 v110, 0x198
	v_mov_b32_e32 v111, 0x1a0
	v_mov_b32_e32 v112, 0x1a8
	v_mov_b32_e32 v113, 0x1b0
	v_mov_b32_e32 v114, 0x1b8
	v_mov_b32_e32 v115, 0x1c0
	v_mov_b32_e32 v116, 0x1c8
	v_mov_b32_e32 v117, 0x1d0
	v_mov_b32_e32 v118, 0x1d8
	v_mov_b32_e32 v119, 0x1e0
	v_mov_b32_e32 v120, 0x1e8
	v_mov_b32_e32 v121, 0x1f0
	v_mov_b32_e32 v122, 0x1f8
	s_cbranch_vccnz .LBB185_29
; %bb.30:
	v_dual_mov_b32 v91, 0 :: v_dual_add_nc_u32 v60, 0x800, v86
	ds_load_2addr_b64 v[0:3], v86 offset0:3 offset1:19
	ds_load_2addr_b64 v[4:7], v86 offset0:35 offset1:51
	;; [unrolled: 1-line block ×12, first 2 shown]
	v_dual_mov_b32 v93, 16 :: v_dual_add_nc_u32 v64, 24, v90
	ds_load_2addr_b64 v[48:51], v60 offset0:131 offset1:147
	ds_load_2addr_b64 v[52:55], v60 offset0:163 offset1:179
	;; [unrolled: 1-line block ×4, first 2 shown]
	ds_load_2addr_stride64_b64 v[64:67], v64 offset1:4
	v_dual_mov_b32 v92, 8 :: v_dual_mov_b32 v95, 32
	v_dual_mov_b32 v94, 24 :: v_dual_mov_b32 v97, 48
	;; [unrolled: 1-line block ×4, first 2 shown]
	v_mov_b32_e32 v100, 0x48
	v_mov_b32_e32 v102, 0x58
	;; [unrolled: 1-line block ×22, first 2 shown]
	s_mov_b64 s[6:7], 0
	s_mov_b32 s23, -1
.LBB185_31:                             ; =>This Inner Loop Header: Depth=1
	scratch_load_b64 v[123:124], v91, off
	scratch_load_b64 v[125:126], v92, off
	;; [unrolled: 1-line block ×32, first 2 shown]
	s_cmp_eq_u32 s6, 1
	s_waitcnt lgkmcnt(16)
	v_max_f64 v[189:190], v[0:1], v[0:1]
	s_cselect_b32 vcc_lo, -1, 0
	v_max_f64 v[191:192], v[2:3], v[2:3]
	s_waitcnt lgkmcnt(0)
	v_dual_cndmask_b32 v188, v65, v67 :: v_dual_cndmask_b32 v187, v64, v66
	v_max_f64 v[193:194], v[4:5], v[4:5]
	v_max_f64 v[195:196], v[6:7], v[6:7]
	;; [unrolled: 1-line block ×31, first 2 shown]
	s_mov_b64 s[6:7], 1
	s_and_b32 vcc_lo, exec_lo, s23
	s_mov_b32 s23, 0
	v_min_f64 v[189:190], v[189:190], v[187:188]
	v_min_f64 v[191:192], v[191:192], v[187:188]
	;; [unrolled: 1-line block ×32, first 2 shown]
	s_waitcnt vmcnt(31)
	v_add_f64 v[123:124], v[123:124], v[189:190]
	s_waitcnt vmcnt(30)
	v_add_f64 v[125:126], v[191:192], v[125:126]
	;; [unrolled: 2-line block ×32, first 2 shown]
	scratch_store_b64 v91, v[123:124], off
	scratch_store_b64 v92, v[125:126], off
	;; [unrolled: 1-line block ×32, first 2 shown]
	v_mov_b32_e32 v91, 0x100
	v_mov_b32_e32 v92, 0x108
	;; [unrolled: 1-line block ×32, first 2 shown]
	s_cbranch_vccnz .LBB185_31
; %bb.32:
	v_lshlrev_b32_e32 v0, 5, v78
	s_mov_b32 s23, 8
	s_cmp_gt_i32 s42, 8
	ds_store_2addr_stride64_b64 v81, v[74:75], v[76:77] offset0:24 offset1:28
	v_lshl_add_u32 v0, v84, 3, v0
	ds_store_2addr_stride64_b64 v0, v[70:71], v[72:73] offset0:8 offset1:12
	s_waitcnt lgkmcnt(0)
	s_waitcnt_vscnt null, 0x0
	s_barrier
	buffer_gl0_inv
	s_cbranch_scc0 .LBB185_67
; %bb.33:
	v_mad_i64_i32 v[1:2], null, v79, s24, 0
	v_mad_i64_i32 v[3:4], null, v80, s24, 0
	v_lshl_add_u32 v93, v82, 5, 0x1000
	v_lshlrev_b64 v[68:69], 3, v[68:69]
	v_or_b32_e32 v91, 0x1000, v0
	v_add_nc_u32_e32 v92, 0x3000, v81
	v_lshlrev_b64 v[70:71], 3, v[1:2]
	v_lshl_add_u32 v94, v83, 5, 0x3000
	v_lshlrev_b64 v[72:73], 3, v[3:4]
	v_add_nc_u32_e32 v95, 0x800, v93
	s_add_i32 s24, s42, -8
	s_mov_b32 s25, 0
.LBB185_34:                             ; =>This Loop Header: Depth=1
                                        ;     Child Loop BB185_43 Depth 2
                                        ;     Child Loop BB185_45 Depth 2
	;; [unrolled: 1-line block ×8, first 2 shown]
	v_add_nc_u32_e32 v2, s23, v84
	v_mov_b32_e32 v74, 0
	v_mov_b32_e32 v75, 0
	s_delay_alu instid0(VALU_DEP_3) | instskip(SKIP_1) | instid1(VALU_DEP_3)
	v_min_i32_e32 v3, s14, v2
	v_cmp_le_i32_e32 vcc_lo, s42, v2
	v_dual_mov_b32 v77, v75 :: v_dual_mov_b32 v76, v74
	s_delay_alu instid0(VALU_DEP_3) | instskip(SKIP_1) | instid1(VALU_DEP_1)
	v_mad_i64_i32 v[0:1], null, v3, s21, 0
	s_or_b32 s7, s2, vcc_lo
	v_lshlrev_b64 v[0:1], 3, v[0:1]
	s_delay_alu instid0(VALU_DEP_1) | instskip(NEXT) | instid1(VALU_DEP_1)
	v_add_co_u32 v0, s6, s12, v0
	v_add_co_ci_u32_e64 v1, s6, s13, v1, s6
	s_or_b32 s6, s22, s7
	s_delay_alu instid0(SALU_CYCLE_1) | instskip(NEXT) | instid1(SALU_CYCLE_1)
	s_xor_b32 s6, s6, -1
	s_and_saveexec_b32 s7, s6
	s_cbranch_execz .LBB185_36
; %bb.35:                               ;   in Loop: Header=BB185_34 Depth=1
	v_add_co_u32 v2, s6, v0, v68
	s_delay_alu instid0(VALU_DEP_1)
	v_add_co_ci_u32_e64 v3, s6, v1, v69, s6
	flat_load_b64 v[2:3], v[2:3]
	s_waitcnt vmcnt(0) lgkmcnt(0)
	v_mul_f64 v[76:77], v[2:3], s[16:17]
.LBB185_36:                             ;   in Loop: Header=BB185_34 Depth=1
	s_or_b32 exec_lo, exec_lo, s7
	s_or_b32 s6, s3, vcc_lo
	s_delay_alu instid0(SALU_CYCLE_1) | instskip(NEXT) | instid1(SALU_CYCLE_1)
	s_or_b32 s6, s22, s6
	s_xor_b32 s7, s6, -1
	s_delay_alu instid0(SALU_CYCLE_1)
	s_and_saveexec_b32 s6, s7
	s_cbranch_execz .LBB185_38
; %bb.37:                               ;   in Loop: Header=BB185_34 Depth=1
	v_add_co_u32 v0, vcc_lo, v0, v68
	v_add_co_ci_u32_e32 v1, vcc_lo, v1, v69, vcc_lo
	flat_load_b64 v[0:1], v[0:1] offset:512
	s_waitcnt vmcnt(0) lgkmcnt(0)
	v_mul_f64 v[74:75], v[0:1], s[16:17]
.LBB185_38:                             ;   in Loop: Header=BB185_34 Depth=1
	s_or_b32 exec_lo, exec_lo, s6
	v_or_b32_e32 v96, s23, v85
	v_mov_b32_e32 v78, 0
	v_mov_b32_e32 v79, 0
	s_delay_alu instid0(VALU_DEP_3) | instskip(SKIP_1) | instid1(VALU_DEP_3)
	v_min_i32_e32 v0, s14, v96
	v_cmp_le_i32_e32 vcc_lo, s42, v96
	v_dual_mov_b32 v81, v79 :: v_dual_mov_b32 v80, v78
	s_delay_alu instid0(VALU_DEP_3) | instskip(SKIP_1) | instid1(VALU_DEP_1)
	v_ashrrev_i32_e32 v1, 31, v0
	s_or_b32 s7, s4, vcc_lo
	v_lshlrev_b64 v[0:1], 3, v[0:1]
	s_delay_alu instid0(VALU_DEP_1) | instskip(NEXT) | instid1(VALU_DEP_1)
	v_add_co_u32 v0, s6, s18, v0
	v_add_co_ci_u32_e64 v1, s6, s19, v1, s6
	s_or_b32 s6, s22, s7
	s_delay_alu instid0(SALU_CYCLE_1) | instskip(NEXT) | instid1(SALU_CYCLE_1)
	s_xor_b32 s6, s6, -1
	s_and_saveexec_b32 s7, s6
	s_cbranch_execz .LBB185_40
; %bb.39:                               ;   in Loop: Header=BB185_34 Depth=1
	v_add_co_u32 v2, s6, v0, v70
	s_delay_alu instid0(VALU_DEP_1)
	v_add_co_ci_u32_e64 v3, s6, v1, v71, s6
	flat_load_b64 v[2:3], v[2:3]
	s_waitcnt vmcnt(0) lgkmcnt(0)
	v_mul_f64 v[80:81], v[2:3], s[16:17]
.LBB185_40:                             ;   in Loop: Header=BB185_34 Depth=1
	s_or_b32 exec_lo, exec_lo, s7
	s_or_b32 s6, s5, vcc_lo
	s_delay_alu instid0(SALU_CYCLE_1) | instskip(NEXT) | instid1(SALU_CYCLE_1)
	s_or_b32 s6, s22, s6
	s_xor_b32 s7, s6, -1
	s_delay_alu instid0(SALU_CYCLE_1)
	s_and_saveexec_b32 s6, s7
	s_cbranch_execz .LBB185_42
; %bb.41:                               ;   in Loop: Header=BB185_34 Depth=1
	v_add_co_u32 v0, vcc_lo, v0, v72
	v_add_co_ci_u32_e32 v1, vcc_lo, v1, v73, vcc_lo
	flat_load_b64 v[0:1], v[0:1]
	s_waitcnt vmcnt(0) lgkmcnt(0)
	v_mul_f64 v[78:79], v[0:1], s[16:17]
.LBB185_42:                             ;   in Loop: Header=BB185_34 Depth=1
	s_or_b32 exec_lo, exec_lo, s6
	ds_load_2addr_b64 v[0:3], v93 offset1:16
	ds_load_2addr_b64 v[4:7], v93 offset0:32 offset1:48
	ds_load_2addr_b64 v[8:11], v93 offset0:64 offset1:80
	;; [unrolled: 1-line block ×7, first 2 shown]
	ds_load_2addr_b64 v[32:35], v95 offset1:16
	ds_load_2addr_b64 v[36:39], v95 offset0:32 offset1:48
	ds_load_2addr_b64 v[40:43], v95 offset0:64 offset1:80
	;; [unrolled: 1-line block ×7, first 2 shown]
	ds_load_2addr_stride64_b64 v[64:67], v94 offset1:4
	v_dual_mov_b32 v128, 0 :: v_dual_mov_b32 v127, 8
	v_dual_mov_b32 v126, 16 :: v_dual_mov_b32 v125, 24
	;; [unrolled: 1-line block ×5, first 2 shown]
	v_mov_b32_e32 v118, 0x50
	v_mov_b32_e32 v117, 0x58
	;; [unrolled: 1-line block ×22, first 2 shown]
	s_mov_b64 s[6:7], 0
	s_mov_b32 s26, -1
.LBB185_43:                             ;   Parent Loop BB185_34 Depth=1
                                        ; =>  This Inner Loop Header: Depth=2
	scratch_load_b64 v[133:134], v128, off
	s_cmp_eq_u32 s6, 1
	s_waitcnt lgkmcnt(16)
	v_max_f64 v[131:132], v[0:1], v[0:1]
	s_cselect_b32 vcc_lo, -1, 0
	s_mov_b64 s[6:7], 1
	s_waitcnt lgkmcnt(0)
	v_dual_cndmask_b32 v130, v65, v67 :: v_dual_cndmask_b32 v129, v64, v66
	s_and_b32 vcc_lo, exec_lo, s26
	s_mov_b32 s26, 0
	s_delay_alu instid0(VALU_DEP_1) | instskip(NEXT) | instid1(VALU_DEP_1)
	v_max_f64 v[129:130], v[129:130], v[129:130]
	v_min_f64 v[131:132], v[131:132], v[129:130]
	s_waitcnt vmcnt(0)
	s_delay_alu instid0(VALU_DEP_1) | instskip(SKIP_3) | instid1(VALU_DEP_1)
	v_add_f64 v[131:132], v[133:134], v[131:132]
	scratch_load_b64 v[133:134], v127, off
	scratch_store_b64 v128, v[131:132], off
	v_max_f64 v[131:132], v[2:3], v[2:3]
	v_min_f64 v[131:132], v[131:132], v[129:130]
	s_waitcnt vmcnt(0)
	s_delay_alu instid0(VALU_DEP_1) | instskip(SKIP_3) | instid1(VALU_DEP_1)
	v_add_f64 v[131:132], v[131:132], v[133:134]
	scratch_store_b64 v127, v[131:132], off
	scratch_load_b64 v[131:132], v126, off
	v_max_f64 v[127:128], v[4:5], v[4:5]
	v_min_f64 v[127:128], v[127:128], v[129:130]
	s_waitcnt vmcnt(0)
	s_delay_alu instid0(VALU_DEP_1) | instskip(SKIP_3) | instid1(VALU_DEP_1)
	v_add_f64 v[127:128], v[127:128], v[131:132]
	scratch_load_b64 v[131:132], v125, off
	scratch_store_b64 v126, v[127:128], off
	v_max_f64 v[126:127], v[6:7], v[6:7]
	v_min_f64 v[126:127], v[126:127], v[129:130]
	s_waitcnt vmcnt(0)
	s_delay_alu instid0(VALU_DEP_1) | instskip(SKIP_3) | instid1(VALU_DEP_1)
	v_add_f64 v[126:127], v[126:127], v[131:132]
	scratch_store_b64 v125, v[126:127], off
	scratch_load_b64 v[127:128], v124, off
	v_max_f64 v[125:126], v[8:9], v[8:9]
	v_min_f64 v[125:126], v[125:126], v[129:130]
	s_waitcnt vmcnt(0)
	s_delay_alu instid0(VALU_DEP_1) | instskip(SKIP_4) | instid1(VALU_DEP_1)
	v_add_f64 v[125:126], v[125:126], v[127:128]
	v_mov_b32_e32 v128, 0x100
	scratch_store_b64 v124, v[125:126], off
	scratch_load_b64 v[126:127], v123, off
	v_max_f64 v[124:125], v[10:11], v[10:11]
	v_min_f64 v[124:125], v[124:125], v[129:130]
	s_waitcnt vmcnt(0)
	s_delay_alu instid0(VALU_DEP_1) | instskip(SKIP_4) | instid1(VALU_DEP_1)
	v_add_f64 v[124:125], v[124:125], v[126:127]
	v_mov_b32_e32 v127, 0x108
	;; [unrolled: 8-line block ×27, first 2 shown]
	scratch_store_b64 v98, v[99:100], off
	scratch_load_b64 v[100:101], v97, off
	v_max_f64 v[98:99], v[62:63], v[62:63]
	v_min_f64 v[98:99], v[98:99], v[129:130]
	s_waitcnt vmcnt(0)
	s_delay_alu instid0(VALU_DEP_1)
	v_add_f64 v[98:99], v[98:99], v[100:101]
	v_mov_b32_e32 v101, 0x1d8
	v_mov_b32_e32 v100, 0x1e0
	scratch_store_b64 v97, v[98:99], off
	v_mov_b32_e32 v99, 0x1e8
	v_mov_b32_e32 v98, 0x1f0
	;; [unrolled: 1-line block ×3, first 2 shown]
	s_cbranch_vccnz .LBB185_43
; %bb.44:                               ;   in Loop: Header=BB185_34 Depth=1
	ds_load_2addr_b64 v[0:3], v93 offset0:1 offset1:17
	ds_load_2addr_b64 v[4:7], v93 offset0:33 offset1:49
	;; [unrolled: 1-line block ×12, first 2 shown]
	v_dual_mov_b32 v127, 8 :: v_dual_add_nc_u32 v64, 8, v94
	ds_load_2addr_b64 v[48:51], v95 offset0:129 offset1:145
	ds_load_2addr_b64 v[52:55], v95 offset0:161 offset1:177
	;; [unrolled: 1-line block ×4, first 2 shown]
	ds_load_2addr_stride64_b64 v[64:67], v64 offset1:4
	v_dual_mov_b32 v128, 0 :: v_dual_mov_b32 v125, 24
	v_dual_mov_b32 v126, 16 :: v_dual_mov_b32 v123, 40
	;; [unrolled: 1-line block ×5, first 2 shown]
	v_mov_b32_e32 v118, 0x50
	v_mov_b32_e32 v116, 0x60
	;; [unrolled: 1-line block ×21, first 2 shown]
	s_mov_b64 s[6:7], 0
	s_mov_b32 s26, -1
.LBB185_45:                             ;   Parent Loop BB185_34 Depth=1
                                        ; =>  This Inner Loop Header: Depth=2
	scratch_load_b64 v[133:134], v128, off
	s_cmp_eq_u32 s6, 1
	s_waitcnt lgkmcnt(16)
	v_max_f64 v[131:132], v[0:1], v[0:1]
	s_cselect_b32 vcc_lo, -1, 0
	s_mov_b64 s[6:7], 1
	s_waitcnt lgkmcnt(0)
	v_dual_cndmask_b32 v130, v65, v67 :: v_dual_cndmask_b32 v129, v64, v66
	s_and_b32 vcc_lo, exec_lo, s26
	s_mov_b32 s26, 0
	s_delay_alu instid0(VALU_DEP_1) | instskip(NEXT) | instid1(VALU_DEP_1)
	v_max_f64 v[129:130], v[129:130], v[129:130]
	v_min_f64 v[131:132], v[131:132], v[129:130]
	s_waitcnt vmcnt(0)
	s_delay_alu instid0(VALU_DEP_1) | instskip(SKIP_3) | instid1(VALU_DEP_1)
	v_add_f64 v[131:132], v[133:134], v[131:132]
	scratch_load_b64 v[133:134], v127, off
	scratch_store_b64 v128, v[131:132], off
	v_max_f64 v[131:132], v[2:3], v[2:3]
	v_min_f64 v[131:132], v[131:132], v[129:130]
	s_waitcnt vmcnt(0)
	s_delay_alu instid0(VALU_DEP_1) | instskip(SKIP_3) | instid1(VALU_DEP_1)
	v_add_f64 v[131:132], v[131:132], v[133:134]
	scratch_store_b64 v127, v[131:132], off
	scratch_load_b64 v[131:132], v126, off
	v_max_f64 v[127:128], v[4:5], v[4:5]
	v_min_f64 v[127:128], v[127:128], v[129:130]
	s_waitcnt vmcnt(0)
	s_delay_alu instid0(VALU_DEP_1) | instskip(SKIP_3) | instid1(VALU_DEP_1)
	v_add_f64 v[127:128], v[127:128], v[131:132]
	scratch_load_b64 v[131:132], v125, off
	scratch_store_b64 v126, v[127:128], off
	v_max_f64 v[126:127], v[6:7], v[6:7]
	v_min_f64 v[126:127], v[126:127], v[129:130]
	s_waitcnt vmcnt(0)
	s_delay_alu instid0(VALU_DEP_1) | instskip(SKIP_3) | instid1(VALU_DEP_1)
	v_add_f64 v[126:127], v[126:127], v[131:132]
	scratch_store_b64 v125, v[126:127], off
	scratch_load_b64 v[127:128], v124, off
	v_max_f64 v[125:126], v[8:9], v[8:9]
	v_min_f64 v[125:126], v[125:126], v[129:130]
	s_waitcnt vmcnt(0)
	s_delay_alu instid0(VALU_DEP_1) | instskip(SKIP_4) | instid1(VALU_DEP_1)
	v_add_f64 v[125:126], v[125:126], v[127:128]
	v_mov_b32_e32 v128, 0x100
	scratch_store_b64 v124, v[125:126], off
	scratch_load_b64 v[126:127], v123, off
	v_max_f64 v[124:125], v[10:11], v[10:11]
	v_min_f64 v[124:125], v[124:125], v[129:130]
	s_waitcnt vmcnt(0)
	s_delay_alu instid0(VALU_DEP_1) | instskip(SKIP_4) | instid1(VALU_DEP_1)
	v_add_f64 v[124:125], v[124:125], v[126:127]
	v_mov_b32_e32 v127, 0x108
	;; [unrolled: 8-line block ×27, first 2 shown]
	scratch_store_b64 v98, v[99:100], off
	scratch_load_b64 v[100:101], v97, off
	v_max_f64 v[98:99], v[62:63], v[62:63]
	v_min_f64 v[98:99], v[98:99], v[129:130]
	s_waitcnt vmcnt(0)
	s_delay_alu instid0(VALU_DEP_1)
	v_add_f64 v[98:99], v[98:99], v[100:101]
	v_mov_b32_e32 v101, 0x1d8
	v_mov_b32_e32 v100, 0x1e0
	scratch_store_b64 v97, v[98:99], off
	v_mov_b32_e32 v99, 0x1e8
	v_mov_b32_e32 v98, 0x1f0
	;; [unrolled: 1-line block ×3, first 2 shown]
	s_cbranch_vccnz .LBB185_45
; %bb.46:                               ;   in Loop: Header=BB185_34 Depth=1
	ds_load_2addr_b64 v[0:3], v93 offset0:2 offset1:18
	ds_load_2addr_b64 v[4:7], v93 offset0:34 offset1:50
	;; [unrolled: 1-line block ×12, first 2 shown]
	v_dual_mov_b32 v127, 8 :: v_dual_add_nc_u32 v64, 16, v94
	ds_load_2addr_b64 v[48:51], v95 offset0:130 offset1:146
	ds_load_2addr_b64 v[52:55], v95 offset0:162 offset1:178
	;; [unrolled: 1-line block ×4, first 2 shown]
	ds_load_2addr_stride64_b64 v[64:67], v64 offset1:4
	v_dual_mov_b32 v128, 0 :: v_dual_mov_b32 v125, 24
	v_dual_mov_b32 v126, 16 :: v_dual_mov_b32 v123, 40
	;; [unrolled: 1-line block ×5, first 2 shown]
	v_mov_b32_e32 v118, 0x50
	v_mov_b32_e32 v116, 0x60
	;; [unrolled: 1-line block ×21, first 2 shown]
	s_mov_b64 s[6:7], 0
	s_mov_b32 s26, -1
.LBB185_47:                             ;   Parent Loop BB185_34 Depth=1
                                        ; =>  This Inner Loop Header: Depth=2
	scratch_load_b64 v[133:134], v128, off
	s_cmp_eq_u32 s6, 1
	s_waitcnt lgkmcnt(16)
	v_max_f64 v[131:132], v[0:1], v[0:1]
	s_cselect_b32 vcc_lo, -1, 0
	s_mov_b64 s[6:7], 1
	s_waitcnt lgkmcnt(0)
	v_dual_cndmask_b32 v130, v65, v67 :: v_dual_cndmask_b32 v129, v64, v66
	s_and_b32 vcc_lo, exec_lo, s26
	s_mov_b32 s26, 0
	s_delay_alu instid0(VALU_DEP_1) | instskip(NEXT) | instid1(VALU_DEP_1)
	v_max_f64 v[129:130], v[129:130], v[129:130]
	v_min_f64 v[131:132], v[131:132], v[129:130]
	s_waitcnt vmcnt(0)
	s_delay_alu instid0(VALU_DEP_1) | instskip(SKIP_3) | instid1(VALU_DEP_1)
	v_add_f64 v[131:132], v[133:134], v[131:132]
	scratch_load_b64 v[133:134], v127, off
	scratch_store_b64 v128, v[131:132], off
	v_max_f64 v[131:132], v[2:3], v[2:3]
	v_min_f64 v[131:132], v[131:132], v[129:130]
	s_waitcnt vmcnt(0)
	s_delay_alu instid0(VALU_DEP_1) | instskip(SKIP_3) | instid1(VALU_DEP_1)
	v_add_f64 v[131:132], v[131:132], v[133:134]
	scratch_store_b64 v127, v[131:132], off
	scratch_load_b64 v[131:132], v126, off
	v_max_f64 v[127:128], v[4:5], v[4:5]
	v_min_f64 v[127:128], v[127:128], v[129:130]
	s_waitcnt vmcnt(0)
	s_delay_alu instid0(VALU_DEP_1) | instskip(SKIP_3) | instid1(VALU_DEP_1)
	v_add_f64 v[127:128], v[127:128], v[131:132]
	scratch_load_b64 v[131:132], v125, off
	scratch_store_b64 v126, v[127:128], off
	v_max_f64 v[126:127], v[6:7], v[6:7]
	v_min_f64 v[126:127], v[126:127], v[129:130]
	s_waitcnt vmcnt(0)
	s_delay_alu instid0(VALU_DEP_1) | instskip(SKIP_3) | instid1(VALU_DEP_1)
	v_add_f64 v[126:127], v[126:127], v[131:132]
	scratch_store_b64 v125, v[126:127], off
	scratch_load_b64 v[127:128], v124, off
	v_max_f64 v[125:126], v[8:9], v[8:9]
	v_min_f64 v[125:126], v[125:126], v[129:130]
	s_waitcnt vmcnt(0)
	s_delay_alu instid0(VALU_DEP_1) | instskip(SKIP_4) | instid1(VALU_DEP_1)
	v_add_f64 v[125:126], v[125:126], v[127:128]
	v_mov_b32_e32 v128, 0x100
	scratch_store_b64 v124, v[125:126], off
	scratch_load_b64 v[126:127], v123, off
	v_max_f64 v[124:125], v[10:11], v[10:11]
	v_min_f64 v[124:125], v[124:125], v[129:130]
	s_waitcnt vmcnt(0)
	s_delay_alu instid0(VALU_DEP_1) | instskip(SKIP_4) | instid1(VALU_DEP_1)
	v_add_f64 v[124:125], v[124:125], v[126:127]
	v_mov_b32_e32 v127, 0x108
	;; [unrolled: 8-line block ×27, first 2 shown]
	scratch_store_b64 v98, v[99:100], off
	scratch_load_b64 v[100:101], v97, off
	v_max_f64 v[98:99], v[62:63], v[62:63]
	v_min_f64 v[98:99], v[98:99], v[129:130]
	s_waitcnt vmcnt(0)
	s_delay_alu instid0(VALU_DEP_1)
	v_add_f64 v[98:99], v[98:99], v[100:101]
	v_mov_b32_e32 v101, 0x1d8
	v_mov_b32_e32 v100, 0x1e0
	scratch_store_b64 v97, v[98:99], off
	v_mov_b32_e32 v99, 0x1e8
	v_mov_b32_e32 v98, 0x1f0
	v_mov_b32_e32 v97, 0x1f8
	s_cbranch_vccnz .LBB185_47
; %bb.48:                               ;   in Loop: Header=BB185_34 Depth=1
	ds_load_2addr_b64 v[0:3], v93 offset0:3 offset1:19
	ds_load_2addr_b64 v[4:7], v93 offset0:35 offset1:51
	;; [unrolled: 1-line block ×12, first 2 shown]
	v_dual_mov_b32 v127, 8 :: v_dual_add_nc_u32 v64, 24, v94
	ds_load_2addr_b64 v[48:51], v95 offset0:131 offset1:147
	ds_load_2addr_b64 v[52:55], v95 offset0:163 offset1:179
	;; [unrolled: 1-line block ×4, first 2 shown]
	ds_load_2addr_stride64_b64 v[64:67], v64 offset1:4
	v_dual_mov_b32 v128, 0 :: v_dual_mov_b32 v125, 24
	v_dual_mov_b32 v126, 16 :: v_dual_mov_b32 v123, 40
	;; [unrolled: 1-line block ×5, first 2 shown]
	v_mov_b32_e32 v118, 0x50
	v_mov_b32_e32 v116, 0x60
	;; [unrolled: 1-line block ×21, first 2 shown]
	s_mov_b64 s[6:7], 0
	s_mov_b32 s26, -1
.LBB185_49:                             ;   Parent Loop BB185_34 Depth=1
                                        ; =>  This Inner Loop Header: Depth=2
	scratch_load_b64 v[133:134], v128, off
	s_cmp_eq_u32 s6, 1
	s_waitcnt lgkmcnt(16)
	v_max_f64 v[131:132], v[0:1], v[0:1]
	s_cselect_b32 vcc_lo, -1, 0
	s_mov_b64 s[6:7], 1
	s_waitcnt lgkmcnt(0)
	v_dual_cndmask_b32 v130, v65, v67 :: v_dual_cndmask_b32 v129, v64, v66
	s_and_b32 vcc_lo, exec_lo, s26
	s_mov_b32 s26, 0
	s_delay_alu instid0(VALU_DEP_1) | instskip(NEXT) | instid1(VALU_DEP_1)
	v_max_f64 v[129:130], v[129:130], v[129:130]
	v_min_f64 v[131:132], v[131:132], v[129:130]
	s_waitcnt vmcnt(0)
	s_delay_alu instid0(VALU_DEP_1) | instskip(SKIP_3) | instid1(VALU_DEP_1)
	v_add_f64 v[131:132], v[133:134], v[131:132]
	scratch_load_b64 v[133:134], v127, off
	scratch_store_b64 v128, v[131:132], off
	v_max_f64 v[131:132], v[2:3], v[2:3]
	v_min_f64 v[131:132], v[131:132], v[129:130]
	s_waitcnt vmcnt(0)
	s_delay_alu instid0(VALU_DEP_1) | instskip(SKIP_3) | instid1(VALU_DEP_1)
	v_add_f64 v[131:132], v[131:132], v[133:134]
	scratch_store_b64 v127, v[131:132], off
	scratch_load_b64 v[131:132], v126, off
	v_max_f64 v[127:128], v[4:5], v[4:5]
	v_min_f64 v[127:128], v[127:128], v[129:130]
	s_waitcnt vmcnt(0)
	s_delay_alu instid0(VALU_DEP_1) | instskip(SKIP_3) | instid1(VALU_DEP_1)
	v_add_f64 v[127:128], v[127:128], v[131:132]
	scratch_load_b64 v[131:132], v125, off
	scratch_store_b64 v126, v[127:128], off
	v_max_f64 v[126:127], v[6:7], v[6:7]
	v_min_f64 v[126:127], v[126:127], v[129:130]
	s_waitcnt vmcnt(0)
	s_delay_alu instid0(VALU_DEP_1) | instskip(SKIP_3) | instid1(VALU_DEP_1)
	v_add_f64 v[126:127], v[126:127], v[131:132]
	scratch_store_b64 v125, v[126:127], off
	scratch_load_b64 v[127:128], v124, off
	v_max_f64 v[125:126], v[8:9], v[8:9]
	v_min_f64 v[125:126], v[125:126], v[129:130]
	s_waitcnt vmcnt(0)
	s_delay_alu instid0(VALU_DEP_1) | instskip(SKIP_4) | instid1(VALU_DEP_1)
	v_add_f64 v[125:126], v[125:126], v[127:128]
	v_mov_b32_e32 v128, 0x100
	scratch_store_b64 v124, v[125:126], off
	scratch_load_b64 v[126:127], v123, off
	v_max_f64 v[124:125], v[10:11], v[10:11]
	v_min_f64 v[124:125], v[124:125], v[129:130]
	s_waitcnt vmcnt(0)
	s_delay_alu instid0(VALU_DEP_1) | instskip(SKIP_4) | instid1(VALU_DEP_1)
	v_add_f64 v[124:125], v[124:125], v[126:127]
	v_mov_b32_e32 v127, 0x108
	;; [unrolled: 8-line block ×27, first 2 shown]
	scratch_store_b64 v98, v[99:100], off
	scratch_load_b64 v[100:101], v97, off
	v_max_f64 v[98:99], v[62:63], v[62:63]
	v_min_f64 v[98:99], v[98:99], v[129:130]
	s_waitcnt vmcnt(0)
	s_delay_alu instid0(VALU_DEP_1)
	v_add_f64 v[98:99], v[98:99], v[100:101]
	v_mov_b32_e32 v101, 0x1d8
	v_mov_b32_e32 v100, 0x1e0
	scratch_store_b64 v97, v[98:99], off
	v_mov_b32_e32 v99, 0x1e8
	v_mov_b32_e32 v98, 0x1f0
	v_mov_b32_e32 v97, 0x1f8
	s_cbranch_vccnz .LBB185_49
; %bb.50:                               ;   in Loop: Header=BB185_34 Depth=1
	v_add3_u32 v2, v84, s23, 4
	ds_store_2addr_stride64_b64 v87, v[76:77], v[74:75] offset1:4
	v_mov_b32_e32 v74, 0
	v_mov_b32_e32 v75, 0
	ds_store_2addr_stride64_b64 v89, v[80:81], v[78:79] offset1:4
	v_min_i32_e32 v3, s14, v2
	v_cmp_le_i32_e32 vcc_lo, s42, v2
	s_waitcnt lgkmcnt(0)
	s_waitcnt_vscnt null, 0x0
	v_dual_mov_b32 v77, v75 :: v_dual_mov_b32 v76, v74
	v_mad_i64_i32 v[0:1], null, v3, s21, 0
	s_or_b32 s7, s2, vcc_lo
	s_barrier
	buffer_gl0_inv
	v_lshlrev_b64 v[0:1], 3, v[0:1]
	s_delay_alu instid0(VALU_DEP_1) | instskip(NEXT) | instid1(VALU_DEP_1)
	v_add_co_u32 v0, s6, s12, v0
	v_add_co_ci_u32_e64 v1, s6, s13, v1, s6
	s_or_b32 s6, s22, s7
	s_delay_alu instid0(SALU_CYCLE_1) | instskip(NEXT) | instid1(SALU_CYCLE_1)
	s_xor_b32 s6, s6, -1
	s_and_saveexec_b32 s7, s6
	s_delay_alu instid0(SALU_CYCLE_1)
	s_xor_b32 s7, exec_lo, s7
	s_cbranch_execz .LBB185_52
; %bb.51:                               ;   in Loop: Header=BB185_34 Depth=1
	v_add_co_u32 v2, s6, v0, v68
	s_delay_alu instid0(VALU_DEP_1)
	v_add_co_ci_u32_e64 v3, s6, v1, v69, s6
	flat_load_b64 v[2:3], v[2:3]
	s_waitcnt vmcnt(0) lgkmcnt(0)
	v_mul_f64 v[76:77], v[2:3], s[16:17]
.LBB185_52:                             ;   in Loop: Header=BB185_34 Depth=1
	s_or_b32 exec_lo, exec_lo, s7
	s_or_b32 s6, s3, vcc_lo
	s_delay_alu instid0(SALU_CYCLE_1) | instskip(NEXT) | instid1(SALU_CYCLE_1)
	s_or_b32 s6, s22, s6
	s_xor_b32 s7, s6, -1
	s_delay_alu instid0(SALU_CYCLE_1)
	s_and_saveexec_b32 s6, s7
	s_cbranch_execz .LBB185_54
; %bb.53:                               ;   in Loop: Header=BB185_34 Depth=1
	v_add_co_u32 v0, vcc_lo, v0, v68
	v_add_co_ci_u32_e32 v1, vcc_lo, v1, v69, vcc_lo
	flat_load_b64 v[0:1], v[0:1] offset:512
	s_waitcnt vmcnt(0) lgkmcnt(0)
	v_mul_f64 v[74:75], v[0:1], s[16:17]
.LBB185_54:                             ;   in Loop: Header=BB185_34 Depth=1
	s_or_b32 exec_lo, exec_lo, s6
	v_or_b32_e32 v2, 4, v96
	v_mov_b32_e32 v78, 0
	v_mov_b32_e32 v79, 0
	s_delay_alu instid0(VALU_DEP_3) | instskip(SKIP_1) | instid1(VALU_DEP_3)
	v_min_i32_e32 v0, s14, v2
	v_cmp_le_i32_e32 vcc_lo, s42, v2
	v_dual_mov_b32 v81, v79 :: v_dual_mov_b32 v80, v78
	s_delay_alu instid0(VALU_DEP_3) | instskip(SKIP_1) | instid1(VALU_DEP_1)
	v_ashrrev_i32_e32 v1, 31, v0
	s_or_b32 s7, s4, vcc_lo
	v_lshlrev_b64 v[0:1], 3, v[0:1]
	s_delay_alu instid0(VALU_DEP_1) | instskip(NEXT) | instid1(VALU_DEP_1)
	v_add_co_u32 v0, s6, s18, v0
	v_add_co_ci_u32_e64 v1, s6, s19, v1, s6
	s_or_b32 s6, s22, s7
	s_delay_alu instid0(SALU_CYCLE_1) | instskip(NEXT) | instid1(SALU_CYCLE_1)
	s_xor_b32 s6, s6, -1
	s_and_saveexec_b32 s7, s6
	s_cbranch_execz .LBB185_56
; %bb.55:                               ;   in Loop: Header=BB185_34 Depth=1
	v_add_co_u32 v2, s6, v0, v70
	s_delay_alu instid0(VALU_DEP_1)
	v_add_co_ci_u32_e64 v3, s6, v1, v71, s6
	flat_load_b64 v[2:3], v[2:3]
	s_waitcnt vmcnt(0) lgkmcnt(0)
	v_mul_f64 v[80:81], v[2:3], s[16:17]
.LBB185_56:                             ;   in Loop: Header=BB185_34 Depth=1
	s_or_b32 exec_lo, exec_lo, s7
	s_or_b32 s6, s5, vcc_lo
	s_delay_alu instid0(SALU_CYCLE_1) | instskip(NEXT) | instid1(SALU_CYCLE_1)
	s_or_b32 s6, s22, s6
	s_xor_b32 s7, s6, -1
	s_delay_alu instid0(SALU_CYCLE_1)
	s_and_saveexec_b32 s6, s7
	s_cbranch_execz .LBB185_58
; %bb.57:                               ;   in Loop: Header=BB185_34 Depth=1
	v_add_co_u32 v0, vcc_lo, v0, v72
	v_add_co_ci_u32_e32 v1, vcc_lo, v1, v73, vcc_lo
	flat_load_b64 v[0:1], v[0:1]
	s_waitcnt vmcnt(0) lgkmcnt(0)
	v_mul_f64 v[78:79], v[0:1], s[16:17]
.LBB185_58:                             ;   in Loop: Header=BB185_34 Depth=1
	s_or_b32 exec_lo, exec_lo, s6
	v_dual_mov_b32 v127, 8 :: v_dual_add_nc_u32 v96, 0x800, v86
	ds_load_2addr_b64 v[0:3], v86 offset1:16
	ds_load_2addr_b64 v[4:7], v86 offset0:32 offset1:48
	ds_load_2addr_b64 v[8:11], v86 offset0:64 offset1:80
	;; [unrolled: 1-line block ×7, first 2 shown]
	ds_load_2addr_b64 v[32:35], v96 offset1:16
	ds_load_2addr_b64 v[36:39], v96 offset0:32 offset1:48
	ds_load_2addr_b64 v[40:43], v96 offset0:64 offset1:80
	;; [unrolled: 1-line block ×7, first 2 shown]
	ds_load_2addr_stride64_b64 v[64:67], v90 offset1:4
	v_dual_mov_b32 v128, 0 :: v_dual_mov_b32 v125, 24
	v_dual_mov_b32 v126, 16 :: v_dual_mov_b32 v123, 40
	;; [unrolled: 1-line block ×5, first 2 shown]
	v_mov_b32_e32 v118, 0x50
	v_mov_b32_e32 v116, 0x60
	;; [unrolled: 1-line block ×21, first 2 shown]
	s_mov_b64 s[6:7], 0
	s_mov_b32 s26, -1
.LBB185_59:                             ;   Parent Loop BB185_34 Depth=1
                                        ; =>  This Inner Loop Header: Depth=2
	scratch_load_b64 v[133:134], v128, off
	s_cmp_eq_u32 s6, 1
	s_waitcnt lgkmcnt(16)
	v_max_f64 v[131:132], v[0:1], v[0:1]
	s_cselect_b32 vcc_lo, -1, 0
	s_mov_b64 s[6:7], 1
	s_waitcnt lgkmcnt(0)
	v_dual_cndmask_b32 v130, v65, v67 :: v_dual_cndmask_b32 v129, v64, v66
	s_and_b32 vcc_lo, exec_lo, s26
	s_mov_b32 s26, 0
	s_delay_alu instid0(VALU_DEP_1) | instskip(NEXT) | instid1(VALU_DEP_1)
	v_max_f64 v[129:130], v[129:130], v[129:130]
	v_min_f64 v[131:132], v[131:132], v[129:130]
	s_waitcnt vmcnt(0)
	s_delay_alu instid0(VALU_DEP_1) | instskip(SKIP_3) | instid1(VALU_DEP_1)
	v_add_f64 v[131:132], v[133:134], v[131:132]
	scratch_load_b64 v[133:134], v127, off
	scratch_store_b64 v128, v[131:132], off
	v_max_f64 v[131:132], v[2:3], v[2:3]
	v_min_f64 v[131:132], v[131:132], v[129:130]
	s_waitcnt vmcnt(0)
	s_delay_alu instid0(VALU_DEP_1) | instskip(SKIP_3) | instid1(VALU_DEP_1)
	v_add_f64 v[131:132], v[131:132], v[133:134]
	scratch_store_b64 v127, v[131:132], off
	scratch_load_b64 v[131:132], v126, off
	v_max_f64 v[127:128], v[4:5], v[4:5]
	v_min_f64 v[127:128], v[127:128], v[129:130]
	s_waitcnt vmcnt(0)
	s_delay_alu instid0(VALU_DEP_1) | instskip(SKIP_3) | instid1(VALU_DEP_1)
	v_add_f64 v[127:128], v[127:128], v[131:132]
	scratch_load_b64 v[131:132], v125, off
	scratch_store_b64 v126, v[127:128], off
	v_max_f64 v[126:127], v[6:7], v[6:7]
	v_min_f64 v[126:127], v[126:127], v[129:130]
	s_waitcnt vmcnt(0)
	s_delay_alu instid0(VALU_DEP_1) | instskip(SKIP_3) | instid1(VALU_DEP_1)
	v_add_f64 v[126:127], v[126:127], v[131:132]
	scratch_store_b64 v125, v[126:127], off
	scratch_load_b64 v[127:128], v124, off
	v_max_f64 v[125:126], v[8:9], v[8:9]
	v_min_f64 v[125:126], v[125:126], v[129:130]
	s_waitcnt vmcnt(0)
	s_delay_alu instid0(VALU_DEP_1) | instskip(SKIP_4) | instid1(VALU_DEP_1)
	v_add_f64 v[125:126], v[125:126], v[127:128]
	v_mov_b32_e32 v128, 0x100
	scratch_store_b64 v124, v[125:126], off
	scratch_load_b64 v[126:127], v123, off
	v_max_f64 v[124:125], v[10:11], v[10:11]
	v_min_f64 v[124:125], v[124:125], v[129:130]
	s_waitcnt vmcnt(0)
	s_delay_alu instid0(VALU_DEP_1) | instskip(SKIP_4) | instid1(VALU_DEP_1)
	v_add_f64 v[124:125], v[124:125], v[126:127]
	v_mov_b32_e32 v127, 0x108
	;; [unrolled: 8-line block ×27, first 2 shown]
	scratch_store_b64 v98, v[99:100], off
	scratch_load_b64 v[100:101], v97, off
	v_max_f64 v[98:99], v[62:63], v[62:63]
	v_min_f64 v[98:99], v[98:99], v[129:130]
	s_waitcnt vmcnt(0)
	s_delay_alu instid0(VALU_DEP_1)
	v_add_f64 v[98:99], v[98:99], v[100:101]
	v_mov_b32_e32 v101, 0x1d8
	v_mov_b32_e32 v100, 0x1e0
	scratch_store_b64 v97, v[98:99], off
	v_mov_b32_e32 v99, 0x1e8
	v_mov_b32_e32 v98, 0x1f0
	;; [unrolled: 1-line block ×3, first 2 shown]
	s_cbranch_vccnz .LBB185_59
; %bb.60:                               ;   in Loop: Header=BB185_34 Depth=1
	ds_load_2addr_b64 v[0:3], v86 offset0:1 offset1:17
	ds_load_2addr_b64 v[4:7], v86 offset0:33 offset1:49
	;; [unrolled: 1-line block ×12, first 2 shown]
	v_dual_mov_b32 v127, 8 :: v_dual_add_nc_u32 v64, 8, v90
	ds_load_2addr_b64 v[48:51], v96 offset0:129 offset1:145
	ds_load_2addr_b64 v[52:55], v96 offset0:161 offset1:177
	ds_load_2addr_b64 v[56:59], v96 offset0:193 offset1:209
	ds_load_2addr_b64 v[60:63], v96 offset0:225 offset1:241
	ds_load_2addr_stride64_b64 v[64:67], v64 offset1:4
	v_dual_mov_b32 v128, 0 :: v_dual_mov_b32 v125, 24
	v_dual_mov_b32 v126, 16 :: v_dual_mov_b32 v123, 40
	;; [unrolled: 1-line block ×5, first 2 shown]
	v_mov_b32_e32 v118, 0x50
	v_mov_b32_e32 v116, 0x60
	v_mov_b32_e32 v115, 0x68
	v_mov_b32_e32 v114, 0x70
	v_mov_b32_e32 v113, 0x78
	v_mov_b32_e32 v112, 0x80
	v_mov_b32_e32 v111, 0x88
	v_mov_b32_e32 v110, 0x90
	v_mov_b32_e32 v109, 0x98
	v_mov_b32_e32 v108, 0xa0
	v_mov_b32_e32 v107, 0xa8
	v_mov_b32_e32 v106, 0xb0
	v_mov_b32_e32 v105, 0xb8
	v_mov_b32_e32 v104, 0xc0
	v_mov_b32_e32 v103, 0xc8
	v_mov_b32_e32 v102, 0xd0
	v_mov_b32_e32 v101, 0xd8
	v_mov_b32_e32 v100, 0xe0
	v_mov_b32_e32 v99, 0xe8
	v_mov_b32_e32 v98, 0xf0
	v_mov_b32_e32 v97, 0xf8
	s_mov_b64 s[6:7], 0
	s_mov_b32 s26, -1
.LBB185_61:                             ;   Parent Loop BB185_34 Depth=1
                                        ; =>  This Inner Loop Header: Depth=2
	scratch_load_b64 v[133:134], v128, off
	s_cmp_eq_u32 s6, 1
	s_waitcnt lgkmcnt(16)
	v_max_f64 v[131:132], v[0:1], v[0:1]
	s_cselect_b32 vcc_lo, -1, 0
	s_mov_b64 s[6:7], 1
	s_waitcnt lgkmcnt(0)
	v_dual_cndmask_b32 v130, v65, v67 :: v_dual_cndmask_b32 v129, v64, v66
	s_and_b32 vcc_lo, exec_lo, s26
	s_mov_b32 s26, 0
	s_delay_alu instid0(VALU_DEP_1) | instskip(NEXT) | instid1(VALU_DEP_1)
	v_max_f64 v[129:130], v[129:130], v[129:130]
	v_min_f64 v[131:132], v[131:132], v[129:130]
	s_waitcnt vmcnt(0)
	s_delay_alu instid0(VALU_DEP_1) | instskip(SKIP_3) | instid1(VALU_DEP_1)
	v_add_f64 v[131:132], v[133:134], v[131:132]
	scratch_load_b64 v[133:134], v127, off
	scratch_store_b64 v128, v[131:132], off
	v_max_f64 v[131:132], v[2:3], v[2:3]
	v_min_f64 v[131:132], v[131:132], v[129:130]
	s_waitcnt vmcnt(0)
	s_delay_alu instid0(VALU_DEP_1) | instskip(SKIP_3) | instid1(VALU_DEP_1)
	v_add_f64 v[131:132], v[131:132], v[133:134]
	scratch_store_b64 v127, v[131:132], off
	scratch_load_b64 v[131:132], v126, off
	v_max_f64 v[127:128], v[4:5], v[4:5]
	v_min_f64 v[127:128], v[127:128], v[129:130]
	s_waitcnt vmcnt(0)
	s_delay_alu instid0(VALU_DEP_1) | instskip(SKIP_3) | instid1(VALU_DEP_1)
	v_add_f64 v[127:128], v[127:128], v[131:132]
	scratch_load_b64 v[131:132], v125, off
	scratch_store_b64 v126, v[127:128], off
	v_max_f64 v[126:127], v[6:7], v[6:7]
	v_min_f64 v[126:127], v[126:127], v[129:130]
	s_waitcnt vmcnt(0)
	s_delay_alu instid0(VALU_DEP_1) | instskip(SKIP_3) | instid1(VALU_DEP_1)
	v_add_f64 v[126:127], v[126:127], v[131:132]
	scratch_store_b64 v125, v[126:127], off
	scratch_load_b64 v[127:128], v124, off
	v_max_f64 v[125:126], v[8:9], v[8:9]
	v_min_f64 v[125:126], v[125:126], v[129:130]
	s_waitcnt vmcnt(0)
	s_delay_alu instid0(VALU_DEP_1) | instskip(SKIP_4) | instid1(VALU_DEP_1)
	v_add_f64 v[125:126], v[125:126], v[127:128]
	v_mov_b32_e32 v128, 0x100
	scratch_store_b64 v124, v[125:126], off
	scratch_load_b64 v[126:127], v123, off
	v_max_f64 v[124:125], v[10:11], v[10:11]
	v_min_f64 v[124:125], v[124:125], v[129:130]
	s_waitcnt vmcnt(0)
	s_delay_alu instid0(VALU_DEP_1) | instskip(SKIP_4) | instid1(VALU_DEP_1)
	v_add_f64 v[124:125], v[124:125], v[126:127]
	v_mov_b32_e32 v127, 0x108
	;; [unrolled: 8-line block ×27, first 2 shown]
	scratch_store_b64 v98, v[99:100], off
	scratch_load_b64 v[100:101], v97, off
	v_max_f64 v[98:99], v[62:63], v[62:63]
	v_min_f64 v[98:99], v[98:99], v[129:130]
	s_waitcnt vmcnt(0)
	s_delay_alu instid0(VALU_DEP_1)
	v_add_f64 v[98:99], v[98:99], v[100:101]
	v_mov_b32_e32 v101, 0x1d8
	v_mov_b32_e32 v100, 0x1e0
	scratch_store_b64 v97, v[98:99], off
	v_mov_b32_e32 v99, 0x1e8
	v_mov_b32_e32 v98, 0x1f0
	;; [unrolled: 1-line block ×3, first 2 shown]
	s_cbranch_vccnz .LBB185_61
; %bb.62:                               ;   in Loop: Header=BB185_34 Depth=1
	ds_load_2addr_b64 v[0:3], v86 offset0:2 offset1:18
	ds_load_2addr_b64 v[4:7], v86 offset0:34 offset1:50
	;; [unrolled: 1-line block ×12, first 2 shown]
	v_dual_mov_b32 v127, 8 :: v_dual_add_nc_u32 v64, 16, v90
	ds_load_2addr_b64 v[48:51], v96 offset0:130 offset1:146
	ds_load_2addr_b64 v[52:55], v96 offset0:162 offset1:178
	;; [unrolled: 1-line block ×4, first 2 shown]
	ds_load_2addr_stride64_b64 v[64:67], v64 offset1:4
	v_dual_mov_b32 v128, 0 :: v_dual_mov_b32 v125, 24
	v_dual_mov_b32 v126, 16 :: v_dual_mov_b32 v123, 40
	;; [unrolled: 1-line block ×5, first 2 shown]
	v_mov_b32_e32 v118, 0x50
	v_mov_b32_e32 v116, 0x60
	v_mov_b32_e32 v115, 0x68
	v_mov_b32_e32 v114, 0x70
	v_mov_b32_e32 v113, 0x78
	v_mov_b32_e32 v112, 0x80
	v_mov_b32_e32 v111, 0x88
	v_mov_b32_e32 v110, 0x90
	v_mov_b32_e32 v109, 0x98
	v_mov_b32_e32 v108, 0xa0
	v_mov_b32_e32 v107, 0xa8
	v_mov_b32_e32 v106, 0xb0
	v_mov_b32_e32 v105, 0xb8
	v_mov_b32_e32 v104, 0xc0
	v_mov_b32_e32 v103, 0xc8
	v_mov_b32_e32 v102, 0xd0
	v_mov_b32_e32 v101, 0xd8
	v_mov_b32_e32 v100, 0xe0
	v_mov_b32_e32 v99, 0xe8
	v_mov_b32_e32 v98, 0xf0
	v_mov_b32_e32 v97, 0xf8
	s_mov_b64 s[6:7], 0
	s_mov_b32 s26, -1
.LBB185_63:                             ;   Parent Loop BB185_34 Depth=1
                                        ; =>  This Inner Loop Header: Depth=2
	scratch_load_b64 v[133:134], v128, off
	s_cmp_eq_u32 s6, 1
	s_waitcnt lgkmcnt(16)
	v_max_f64 v[131:132], v[0:1], v[0:1]
	s_cselect_b32 vcc_lo, -1, 0
	s_mov_b64 s[6:7], 1
	s_waitcnt lgkmcnt(0)
	v_dual_cndmask_b32 v130, v65, v67 :: v_dual_cndmask_b32 v129, v64, v66
	s_and_b32 vcc_lo, exec_lo, s26
	s_mov_b32 s26, 0
	s_delay_alu instid0(VALU_DEP_1) | instskip(NEXT) | instid1(VALU_DEP_1)
	v_max_f64 v[129:130], v[129:130], v[129:130]
	v_min_f64 v[131:132], v[131:132], v[129:130]
	s_waitcnt vmcnt(0)
	s_delay_alu instid0(VALU_DEP_1) | instskip(SKIP_3) | instid1(VALU_DEP_1)
	v_add_f64 v[131:132], v[133:134], v[131:132]
	scratch_load_b64 v[133:134], v127, off
	scratch_store_b64 v128, v[131:132], off
	v_max_f64 v[131:132], v[2:3], v[2:3]
	v_min_f64 v[131:132], v[131:132], v[129:130]
	s_waitcnt vmcnt(0)
	s_delay_alu instid0(VALU_DEP_1) | instskip(SKIP_3) | instid1(VALU_DEP_1)
	v_add_f64 v[131:132], v[131:132], v[133:134]
	scratch_store_b64 v127, v[131:132], off
	scratch_load_b64 v[131:132], v126, off
	v_max_f64 v[127:128], v[4:5], v[4:5]
	v_min_f64 v[127:128], v[127:128], v[129:130]
	s_waitcnt vmcnt(0)
	s_delay_alu instid0(VALU_DEP_1) | instskip(SKIP_3) | instid1(VALU_DEP_1)
	v_add_f64 v[127:128], v[127:128], v[131:132]
	scratch_load_b64 v[131:132], v125, off
	scratch_store_b64 v126, v[127:128], off
	v_max_f64 v[126:127], v[6:7], v[6:7]
	v_min_f64 v[126:127], v[126:127], v[129:130]
	s_waitcnt vmcnt(0)
	s_delay_alu instid0(VALU_DEP_1) | instskip(SKIP_3) | instid1(VALU_DEP_1)
	v_add_f64 v[126:127], v[126:127], v[131:132]
	scratch_store_b64 v125, v[126:127], off
	scratch_load_b64 v[127:128], v124, off
	v_max_f64 v[125:126], v[8:9], v[8:9]
	v_min_f64 v[125:126], v[125:126], v[129:130]
	s_waitcnt vmcnt(0)
	s_delay_alu instid0(VALU_DEP_1) | instskip(SKIP_4) | instid1(VALU_DEP_1)
	v_add_f64 v[125:126], v[125:126], v[127:128]
	v_mov_b32_e32 v128, 0x100
	scratch_store_b64 v124, v[125:126], off
	scratch_load_b64 v[126:127], v123, off
	v_max_f64 v[124:125], v[10:11], v[10:11]
	v_min_f64 v[124:125], v[124:125], v[129:130]
	s_waitcnt vmcnt(0)
	s_delay_alu instid0(VALU_DEP_1) | instskip(SKIP_4) | instid1(VALU_DEP_1)
	v_add_f64 v[124:125], v[124:125], v[126:127]
	v_mov_b32_e32 v127, 0x108
	;; [unrolled: 8-line block ×27, first 2 shown]
	scratch_store_b64 v98, v[99:100], off
	scratch_load_b64 v[100:101], v97, off
	v_max_f64 v[98:99], v[62:63], v[62:63]
	v_min_f64 v[98:99], v[98:99], v[129:130]
	s_waitcnt vmcnt(0)
	s_delay_alu instid0(VALU_DEP_1)
	v_add_f64 v[98:99], v[98:99], v[100:101]
	v_mov_b32_e32 v101, 0x1d8
	v_mov_b32_e32 v100, 0x1e0
	scratch_store_b64 v97, v[98:99], off
	v_mov_b32_e32 v99, 0x1e8
	v_mov_b32_e32 v98, 0x1f0
	;; [unrolled: 1-line block ×3, first 2 shown]
	s_cbranch_vccnz .LBB185_63
; %bb.64:                               ;   in Loop: Header=BB185_34 Depth=1
	ds_load_2addr_b64 v[0:3], v86 offset0:3 offset1:19
	ds_load_2addr_b64 v[4:7], v86 offset0:35 offset1:51
	;; [unrolled: 1-line block ×12, first 2 shown]
	v_dual_mov_b32 v127, 0 :: v_dual_add_nc_u32 v64, 24, v90
	ds_load_2addr_b64 v[48:51], v96 offset0:131 offset1:147
	ds_load_2addr_b64 v[52:55], v96 offset0:163 offset1:179
	;; [unrolled: 1-line block ×4, first 2 shown]
	ds_load_2addr_stride64_b64 v[64:67], v64 offset1:4
	v_dual_mov_b32 v126, 8 :: v_dual_mov_b32 v125, 16
	v_dual_mov_b32 v124, 24 :: v_dual_mov_b32 v123, 32
	;; [unrolled: 1-line block ×4, first 2 shown]
	v_mov_b32_e32 v118, 0x48
	v_mov_b32_e32 v117, 0x50
	;; [unrolled: 1-line block ×23, first 2 shown]
	s_mov_b64 s[6:7], 0
	s_mov_b32 s26, -1
.LBB185_65:                             ;   Parent Loop BB185_34 Depth=1
                                        ; =>  This Inner Loop Header: Depth=2
	scratch_load_b64 v[132:133], v127, off
	s_cmp_eq_u32 s6, 1
	s_waitcnt lgkmcnt(16)
	v_max_f64 v[130:131], v[0:1], v[0:1]
	s_cselect_b32 vcc_lo, -1, 0
	s_mov_b64 s[6:7], 1
	s_waitcnt lgkmcnt(0)
	v_dual_cndmask_b32 v129, v65, v67 :: v_dual_cndmask_b32 v128, v64, v66
	s_and_b32 vcc_lo, exec_lo, s26
	s_mov_b32 s26, 0
	s_delay_alu instid0(VALU_DEP_1) | instskip(NEXT) | instid1(VALU_DEP_1)
	v_max_f64 v[128:129], v[128:129], v[128:129]
	v_min_f64 v[130:131], v[130:131], v[128:129]
	s_waitcnt vmcnt(0)
	s_delay_alu instid0(VALU_DEP_1) | instskip(SKIP_3) | instid1(VALU_DEP_1)
	v_add_f64 v[130:131], v[132:133], v[130:131]
	scratch_load_b64 v[132:133], v126, off
	scratch_store_b64 v127, v[130:131], off
	v_max_f64 v[130:131], v[2:3], v[2:3]
	v_min_f64 v[130:131], v[130:131], v[128:129]
	s_waitcnt vmcnt(0)
	s_delay_alu instid0(VALU_DEP_1) | instskip(SKIP_3) | instid1(VALU_DEP_1)
	v_add_f64 v[130:131], v[130:131], v[132:133]
	scratch_store_b64 v126, v[130:131], off
	scratch_load_b64 v[130:131], v125, off
	v_max_f64 v[126:127], v[4:5], v[4:5]
	v_min_f64 v[126:127], v[126:127], v[128:129]
	s_waitcnt vmcnt(0)
	s_delay_alu instid0(VALU_DEP_1) | instskip(SKIP_3) | instid1(VALU_DEP_1)
	v_add_f64 v[126:127], v[126:127], v[130:131]
	scratch_load_b64 v[130:131], v124, off
	scratch_store_b64 v125, v[126:127], off
	v_max_f64 v[125:126], v[6:7], v[6:7]
	v_min_f64 v[125:126], v[125:126], v[128:129]
	s_waitcnt vmcnt(0)
	s_delay_alu instid0(VALU_DEP_1) | instskip(SKIP_3) | instid1(VALU_DEP_1)
	v_add_f64 v[125:126], v[125:126], v[130:131]
	scratch_store_b64 v124, v[125:126], off
	scratch_load_b64 v[126:127], v123, off
	v_max_f64 v[124:125], v[8:9], v[8:9]
	v_min_f64 v[124:125], v[124:125], v[128:129]
	s_waitcnt vmcnt(0)
	s_delay_alu instid0(VALU_DEP_1) | instskip(SKIP_4) | instid1(VALU_DEP_1)
	v_add_f64 v[124:125], v[124:125], v[126:127]
	v_mov_b32_e32 v127, 0x100
	scratch_store_b64 v123, v[124:125], off
	scratch_load_b64 v[125:126], v122, off
	v_max_f64 v[123:124], v[10:11], v[10:11]
	v_min_f64 v[123:124], v[123:124], v[128:129]
	s_waitcnt vmcnt(0)
	s_delay_alu instid0(VALU_DEP_1) | instskip(SKIP_4) | instid1(VALU_DEP_1)
	v_add_f64 v[123:124], v[123:124], v[125:126]
	v_mov_b32_e32 v126, 0x108
	;; [unrolled: 8-line block ×27, first 2 shown]
	scratch_store_b64 v97, v[98:99], off
	scratch_load_b64 v[99:100], v96, off
	v_max_f64 v[97:98], v[62:63], v[62:63]
	v_min_f64 v[97:98], v[97:98], v[128:129]
	s_waitcnt vmcnt(0)
	s_delay_alu instid0(VALU_DEP_1)
	v_add_f64 v[97:98], v[97:98], v[99:100]
	v_mov_b32_e32 v100, 0x1d8
	v_mov_b32_e32 v99, 0x1e0
	scratch_store_b64 v96, v[97:98], off
	v_mov_b32_e32 v98, 0x1e8
	v_mov_b32_e32 v97, 0x1f0
	;; [unrolled: 1-line block ×3, first 2 shown]
	s_cbranch_vccnz .LBB185_65
; %bb.66:                               ;   in Loop: Header=BB185_34 Depth=1
	s_add_i32 s25, s25, 8
	s_add_i32 s23, s23, 8
	s_cmp_ge_i32 s25, s24
	ds_store_2addr_stride64_b64 v91, v[76:77], v[74:75] offset1:4
	ds_store_2addr_stride64_b64 v92, v[80:81], v[78:79] offset1:4
	s_waitcnt lgkmcnt(0)
	s_waitcnt_vscnt null, 0x0
	s_barrier
	buffer_gl0_inv
	s_cbranch_scc0 .LBB185_34
.LBB185_67:
	v_dual_mov_b32 v71, 8 :: v_dual_add_nc_u32 v28, 0x1000, v86
	v_dual_mov_b32 v75, 40 :: v_dual_add_nc_u32 v60, 0x1800, v86
	;; [unrolled: 1-line block ×3, first 2 shown]
	ds_load_2addr_b64 v[0:3], v28 offset1:16
	ds_load_2addr_b64 v[4:7], v28 offset0:32 offset1:48
	ds_load_2addr_b64 v[8:11], v28 offset0:64 offset1:80
	;; [unrolled: 1-line block ×7, first 2 shown]
	ds_load_2addr_b64 v[32:35], v60 offset1:16
	ds_load_2addr_b64 v[36:39], v60 offset0:32 offset1:48
	ds_load_2addr_b64 v[40:43], v60 offset0:64 offset1:80
	;; [unrolled: 1-line block ×7, first 2 shown]
	ds_load_2addr_stride64_b64 v[64:67], v88 offset0:24 offset1:28
	v_dual_mov_b32 v70, 0 :: v_dual_add_nc_u32 v69, 0x3000, v88
	v_dual_mov_b32 v72, 16 :: v_dual_mov_b32 v77, 56
	v_dual_mov_b32 v74, 32 :: v_dual_mov_b32 v79, 0x48
	;; [unrolled: 1-line block ×4, first 2 shown]
	v_mov_b32_e32 v80, 0x50
	v_mov_b32_e32 v84, 0x60
	;; [unrolled: 1-line block ×20, first 2 shown]
	s_mov_b64 s[2:3], 0
	s_mov_b32 s4, -1
.LBB185_68:                             ; =>This Inner Loop Header: Depth=1
	scratch_load_b64 v[104:105], v70, off
	scratch_load_b64 v[106:107], v71, off
	;; [unrolled: 1-line block ×32, first 2 shown]
	s_cmp_eq_u32 s2, 1
	s_waitcnt lgkmcnt(16)
	v_max_f64 v[170:171], v[0:1], v[0:1]
	s_cselect_b32 vcc_lo, -1, 0
	v_max_f64 v[172:173], v[2:3], v[2:3]
	s_waitcnt lgkmcnt(0)
	v_dual_cndmask_b32 v169, v65, v67 :: v_dual_cndmask_b32 v168, v64, v66
	v_max_f64 v[174:175], v[4:5], v[4:5]
	v_max_f64 v[176:177], v[6:7], v[6:7]
	;; [unrolled: 1-line block ×31, first 2 shown]
	s_mov_b64 s[2:3], 1
	s_and_b32 vcc_lo, exec_lo, s4
	s_mov_b32 s4, 0
	v_min_f64 v[170:171], v[170:171], v[168:169]
	v_min_f64 v[172:173], v[172:173], v[168:169]
	;; [unrolled: 1-line block ×32, first 2 shown]
	s_waitcnt vmcnt(31)
	v_add_f64 v[104:105], v[104:105], v[170:171]
	s_waitcnt vmcnt(30)
	v_add_f64 v[106:107], v[172:173], v[106:107]
	;; [unrolled: 2-line block ×32, first 2 shown]
	scratch_store_b64 v70, v[104:105], off
	scratch_store_b64 v71, v[106:107], off
	;; [unrolled: 1-line block ×32, first 2 shown]
	v_mov_b32_e32 v70, 0x100
	v_mov_b32_e32 v71, 0x108
	;; [unrolled: 1-line block ×32, first 2 shown]
	s_cbranch_vccnz .LBB185_68
; %bb.69:
	v_dual_mov_b32 v71, 8 :: v_dual_add_nc_u32 v60, 0x800, v68
	ds_load_2addr_b64 v[0:3], v68 offset0:1 offset1:17
	ds_load_2addr_b64 v[4:7], v68 offset0:33 offset1:49
	;; [unrolled: 1-line block ×12, first 2 shown]
	v_dual_mov_b32 v73, 24 :: v_dual_add_nc_u32 v64, 8, v69
	ds_load_2addr_b64 v[48:51], v60 offset0:129 offset1:145
	ds_load_2addr_b64 v[52:55], v60 offset0:161 offset1:177
	;; [unrolled: 1-line block ×4, first 2 shown]
	ds_load_2addr_stride64_b64 v[64:67], v64 offset1:4
	v_dual_mov_b32 v70, 0 :: v_dual_mov_b32 v75, 40
	v_dual_mov_b32 v72, 16 :: v_dual_mov_b32 v77, 56
	;; [unrolled: 1-line block ×5, first 2 shown]
	v_mov_b32_e32 v80, 0x50
	v_mov_b32_e32 v84, 0x60
	;; [unrolled: 1-line block ×20, first 2 shown]
	s_mov_b64 s[2:3], 0
	s_mov_b32 s4, -1
.LBB185_70:                             ; =>This Inner Loop Header: Depth=1
	scratch_load_b64 v[104:105], v70, off
	scratch_load_b64 v[106:107], v71, off
	;; [unrolled: 1-line block ×32, first 2 shown]
	s_cmp_eq_u32 s2, 1
	s_waitcnt lgkmcnt(16)
	v_max_f64 v[170:171], v[0:1], v[0:1]
	s_cselect_b32 vcc_lo, -1, 0
	v_max_f64 v[172:173], v[2:3], v[2:3]
	s_waitcnt lgkmcnt(0)
	v_dual_cndmask_b32 v169, v65, v67 :: v_dual_cndmask_b32 v168, v64, v66
	v_max_f64 v[174:175], v[4:5], v[4:5]
	v_max_f64 v[176:177], v[6:7], v[6:7]
	;; [unrolled: 1-line block ×31, first 2 shown]
	s_mov_b64 s[2:3], 1
	s_and_b32 vcc_lo, exec_lo, s4
	s_mov_b32 s4, 0
	v_min_f64 v[170:171], v[170:171], v[168:169]
	v_min_f64 v[172:173], v[172:173], v[168:169]
	;; [unrolled: 1-line block ×32, first 2 shown]
	s_waitcnt vmcnt(31)
	v_add_f64 v[104:105], v[104:105], v[170:171]
	s_waitcnt vmcnt(30)
	v_add_f64 v[106:107], v[172:173], v[106:107]
	;; [unrolled: 2-line block ×32, first 2 shown]
	scratch_store_b64 v70, v[104:105], off
	scratch_store_b64 v71, v[106:107], off
	;; [unrolled: 1-line block ×32, first 2 shown]
	v_mov_b32_e32 v70, 0x100
	v_mov_b32_e32 v71, 0x108
	;; [unrolled: 1-line block ×32, first 2 shown]
	s_cbranch_vccnz .LBB185_70
; %bb.71:
	v_dual_mov_b32 v71, 8 :: v_dual_add_nc_u32 v60, 0x800, v68
	ds_load_2addr_b64 v[0:3], v68 offset0:2 offset1:18
	ds_load_2addr_b64 v[4:7], v68 offset0:34 offset1:50
	;; [unrolled: 1-line block ×12, first 2 shown]
	v_dual_mov_b32 v73, 24 :: v_dual_add_nc_u32 v64, 16, v69
	ds_load_2addr_b64 v[48:51], v60 offset0:130 offset1:146
	ds_load_2addr_b64 v[52:55], v60 offset0:162 offset1:178
	;; [unrolled: 1-line block ×4, first 2 shown]
	ds_load_2addr_stride64_b64 v[64:67], v64 offset1:4
	v_dual_mov_b32 v70, 0 :: v_dual_mov_b32 v75, 40
	v_dual_mov_b32 v72, 16 :: v_dual_mov_b32 v77, 56
	;; [unrolled: 1-line block ×5, first 2 shown]
	v_mov_b32_e32 v80, 0x50
	v_mov_b32_e32 v84, 0x60
	;; [unrolled: 1-line block ×20, first 2 shown]
	s_mov_b64 s[2:3], 0
	s_mov_b32 s4, -1
.LBB185_72:                             ; =>This Inner Loop Header: Depth=1
	scratch_load_b64 v[104:105], v70, off
	scratch_load_b64 v[106:107], v71, off
	;; [unrolled: 1-line block ×32, first 2 shown]
	s_cmp_eq_u32 s2, 1
	s_waitcnt lgkmcnt(16)
	v_max_f64 v[170:171], v[0:1], v[0:1]
	s_cselect_b32 vcc_lo, -1, 0
	v_max_f64 v[172:173], v[2:3], v[2:3]
	s_waitcnt lgkmcnt(0)
	v_dual_cndmask_b32 v169, v65, v67 :: v_dual_cndmask_b32 v168, v64, v66
	v_max_f64 v[174:175], v[4:5], v[4:5]
	v_max_f64 v[176:177], v[6:7], v[6:7]
	;; [unrolled: 1-line block ×31, first 2 shown]
	s_mov_b64 s[2:3], 1
	s_and_b32 vcc_lo, exec_lo, s4
	s_mov_b32 s4, 0
	v_min_f64 v[170:171], v[170:171], v[168:169]
	v_min_f64 v[172:173], v[172:173], v[168:169]
	;; [unrolled: 1-line block ×32, first 2 shown]
	s_waitcnt vmcnt(31)
	v_add_f64 v[104:105], v[104:105], v[170:171]
	s_waitcnt vmcnt(30)
	v_add_f64 v[106:107], v[172:173], v[106:107]
	;; [unrolled: 2-line block ×32, first 2 shown]
	scratch_store_b64 v70, v[104:105], off
	scratch_store_b64 v71, v[106:107], off
	;; [unrolled: 1-line block ×32, first 2 shown]
	v_mov_b32_e32 v70, 0x100
	v_mov_b32_e32 v71, 0x108
	;; [unrolled: 1-line block ×32, first 2 shown]
	s_cbranch_vccnz .LBB185_72
; %bb.73:
	v_add_nc_u32_e32 v60, 0x800, v68
	ds_load_2addr_b64 v[0:3], v68 offset0:3 offset1:19
	ds_load_2addr_b64 v[4:7], v68 offset0:35 offset1:51
	;; [unrolled: 1-line block ×4, first 2 shown]
	v_dual_mov_b32 v71, 24 :: v_dual_add_nc_u32 v64, 24, v69
	v_mov_b32_e32 v69, 8
	ds_load_2addr_b64 v[16:19], v68 offset0:131 offset1:147
	ds_load_2addr_b64 v[20:23], v68 offset0:163 offset1:179
	;; [unrolled: 1-line block ×12, first 2 shown]
	ds_load_2addr_stride64_b64 v[64:67], v64 offset1:4
	v_dual_mov_b32 v68, 0 :: v_dual_mov_b32 v73, 40
	v_dual_mov_b32 v70, 16 :: v_dual_mov_b32 v75, 56
	;; [unrolled: 1-line block ×5, first 2 shown]
	v_mov_b32_e32 v78, 0x50
	v_mov_b32_e32 v80, 0x60
	;; [unrolled: 1-line block ×20, first 2 shown]
	s_mov_b64 s[2:3], 0
	s_mov_b32 s4, -1
.LBB185_74:                             ; =>This Inner Loop Header: Depth=1
	scratch_load_b64 v[102:103], v68, off
	scratch_load_b64 v[104:105], v69, off
	;; [unrolled: 1-line block ×32, first 2 shown]
	s_cmp_eq_u32 s2, 1
	s_waitcnt lgkmcnt(16)
	v_max_f64 v[168:169], v[0:1], v[0:1]
	s_cselect_b32 vcc_lo, -1, 0
	v_max_f64 v[170:171], v[2:3], v[2:3]
	s_waitcnt lgkmcnt(0)
	v_dual_cndmask_b32 v167, v65, v67 :: v_dual_cndmask_b32 v166, v64, v66
	v_max_f64 v[172:173], v[4:5], v[4:5]
	v_max_f64 v[174:175], v[6:7], v[6:7]
	;; [unrolled: 1-line block ×31, first 2 shown]
	s_mov_b64 s[2:3], 1
	s_and_b32 vcc_lo, exec_lo, s4
	s_mov_b32 s4, 0
	v_min_f64 v[168:169], v[168:169], v[166:167]
	v_min_f64 v[170:171], v[170:171], v[166:167]
	;; [unrolled: 1-line block ×32, first 2 shown]
	s_waitcnt vmcnt(31)
	v_add_f64 v[102:103], v[102:103], v[168:169]
	s_waitcnt vmcnt(30)
	v_add_f64 v[104:105], v[170:171], v[104:105]
	;; [unrolled: 2-line block ×32, first 2 shown]
	scratch_store_b64 v68, v[102:103], off
	scratch_store_b64 v69, v[104:105], off
	;; [unrolled: 1-line block ×32, first 2 shown]
	v_mov_b32_e32 v68, 0x100
	v_mov_b32_e32 v69, 0x108
	;; [unrolled: 1-line block ×32, first 2 shown]
	s_cbranch_vccnz .LBB185_74
; %bb.75:
	s_clause 0x2
	s_load_b64 s[2:3], s[0:1], 0x78
	s_load_b32 s42, s[0:1], 0x58
	s_load_b32 s37, s[0:1], 0x70
	v_add_nc_u32_e32 v71, s9, v83
	v_add_nc_u32_e32 v0, s8, v82
	v_cndmask_b32_e64 v70, 0, 1, s36
	s_delay_alu instid0(VALU_DEP_3)
	v_cmp_gt_i32_e64 s8, s41, v71
	s_waitcnt lgkmcnt(0)
	s_mul_i32 s0, s15, s3
	v_mad_i64_i32 v[1:2], null, v71, s42, 0
	v_mad_i64_i32 v[3:4], null, v71, s37, 0
	s_mul_hi_u32 s1, s15, s2
	s_mul_i32 s3, s20, s2
	s_add_i32 s0, s1, s0
	s_mul_i32 s2, s15, s2
	s_delay_alu instid0(VALU_DEP_2) | instskip(SKIP_1) | instid1(VALU_DEP_2)
	v_lshlrev_b64 v[5:6], 3, v[1:2]
	s_add_i32 s3, s0, s3
	v_lshlrev_b64 v[2:3], 3, v[3:4]
	s_lshl_b64 s[2:3], s[2:3], 3
	v_cmp_gt_i32_e64 s0, s40, v0
	s_add_u32 s43, s10, s2
	v_add_co_u32 v68, vcc_lo, s34, v5
	v_add_co_ci_u32_e32 v69, vcc_lo, s35, v6, vcc_lo
	s_addc_u32 s44, s11, s3
	v_add_co_u32 v72, vcc_lo, s43, v2
	v_ashrrev_i32_e32 v1, 31, v0
	v_add_co_ci_u32_e32 v73, vcc_lo, s44, v3, vcc_lo
	s_and_b32 s1, s8, s0
	s_delay_alu instid0(SALU_CYCLE_1) | instskip(NEXT) | instid1(SALU_CYCLE_1)
	s_and_saveexec_b32 s2, s1
	s_xor_b32 s1, exec_lo, s2
	s_cbranch_execz .LBB185_80
; %bb.76:
	scratch_load_b64 v[2:3], off, off
	v_lshlrev_b64 v[4:5], 3, v[0:1]
	s_and_not1_b32 vcc_lo, exec_lo, s36
	s_cbranch_vccnz .LBB185_78
; %bb.77:
	s_delay_alu instid0(VALU_DEP_1) | instskip(NEXT) | instid1(VALU_DEP_2)
	v_add_co_u32 v6, vcc_lo, v68, v4
	v_add_co_ci_u32_e32 v7, vcc_lo, v69, v5, vcc_lo
	flat_load_b64 v[6:7], v[6:7]
	s_waitcnt vmcnt(0) lgkmcnt(0)
	v_mul_f64 v[6:7], v[6:7], s[38:39]
	s_branch .LBB185_79
.LBB185_78:
	v_mov_b32_e32 v6, 0
	v_mov_b32_e32 v7, 0
.LBB185_79:
	s_waitcnt vmcnt(0)
	s_delay_alu instid0(VALU_DEP_1)
	v_add_f64 v[2:3], v[2:3], v[6:7]
	v_add_co_u32 v4, vcc_lo, v72, v4
	v_add_co_ci_u32_e32 v5, vcc_lo, v73, v5, vcc_lo
	global_store_b64 v[4:5], v[2:3], off
.LBB185_80:
	s_or_b32 exec_lo, exec_lo, s1
	v_add_nc_u32_e32 v2, 4, v0
	s_delay_alu instid0(VALU_DEP_1) | instskip(SKIP_1) | instid1(VALU_DEP_2)
	v_cmp_gt_i32_e64 s1, s40, v2
	v_ashrrev_i32_e32 v3, 31, v2
	s_and_b32 s3, s8, s1
	s_delay_alu instid0(SALU_CYCLE_1)
	s_and_saveexec_b32 s2, s3
	s_cbranch_execz .LBB185_85
; %bb.81:
	scratch_load_b64 v[4:5], off, off offset:8
	v_lshlrev_b64 v[6:7], 3, v[2:3]
	s_and_not1_b32 vcc_lo, exec_lo, s36
	s_cbranch_vccnz .LBB185_83
; %bb.82:
	s_delay_alu instid0(VALU_DEP_1) | instskip(NEXT) | instid1(VALU_DEP_2)
	v_add_co_u32 v8, vcc_lo, v68, v6
	v_add_co_ci_u32_e32 v9, vcc_lo, v69, v7, vcc_lo
	flat_load_b64 v[8:9], v[8:9]
	s_waitcnt vmcnt(0) lgkmcnt(0)
	v_mul_f64 v[8:9], v[8:9], s[38:39]
	s_branch .LBB185_84
.LBB185_83:
	v_mov_b32_e32 v8, 0
	v_mov_b32_e32 v9, 0
.LBB185_84:
	s_waitcnt vmcnt(0)
	s_delay_alu instid0(VALU_DEP_1)
	v_add_f64 v[4:5], v[4:5], v[8:9]
	v_add_co_u32 v6, vcc_lo, v72, v6
	v_add_co_ci_u32_e32 v7, vcc_lo, v73, v7, vcc_lo
	global_store_b64 v[6:7], v[4:5], off
.LBB185_85:
	s_or_b32 exec_lo, exec_lo, s2
	v_add_nc_u32_e32 v4, 8, v0
	s_delay_alu instid0(VALU_DEP_1) | instskip(SKIP_1) | instid1(VALU_DEP_2)
	v_cmp_gt_i32_e64 s2, s40, v4
	v_ashrrev_i32_e32 v5, 31, v4
	s_and_b32 s4, s8, s2
	s_delay_alu instid0(SALU_CYCLE_1)
	s_and_saveexec_b32 s3, s4
	s_cbranch_execz .LBB185_90
; %bb.86:
	scratch_load_b64 v[6:7], off, off offset:16
	v_lshlrev_b64 v[8:9], 3, v[4:5]
	s_and_not1_b32 vcc_lo, exec_lo, s36
	s_cbranch_vccnz .LBB185_88
; %bb.87:
	s_delay_alu instid0(VALU_DEP_1) | instskip(NEXT) | instid1(VALU_DEP_2)
	v_add_co_u32 v10, vcc_lo, v68, v8
	v_add_co_ci_u32_e32 v11, vcc_lo, v69, v9, vcc_lo
	flat_load_b64 v[10:11], v[10:11]
	s_waitcnt vmcnt(0) lgkmcnt(0)
	v_mul_f64 v[10:11], v[10:11], s[38:39]
	s_branch .LBB185_89
.LBB185_88:
	v_mov_b32_e32 v10, 0
	v_mov_b32_e32 v11, 0
.LBB185_89:
	s_waitcnt vmcnt(0)
	s_delay_alu instid0(VALU_DEP_1)
	v_add_f64 v[6:7], v[6:7], v[10:11]
	v_add_co_u32 v8, vcc_lo, v72, v8
	v_add_co_ci_u32_e32 v9, vcc_lo, v73, v9, vcc_lo
	global_store_b64 v[8:9], v[6:7], off
.LBB185_90:
	;; [unrolled: 33-line block ×31, first 2 shown]
	s_or_b32 exec_lo, exec_lo, s8
	v_add_nc_u32_e32 v68, 64, v71
	s_delay_alu instid0(VALU_DEP_1) | instskip(SKIP_2) | instid1(VALU_DEP_3)
	v_mad_i64_i32 v[64:65], null, v68, s42, 0
	v_mad_i64_i32 v[66:67], null, v68, s37, 0
	v_cmp_gt_i32_e64 s8, s41, v68
	v_lshlrev_b64 v[64:65], 3, v[64:65]
	s_delay_alu instid0(VALU_DEP_2) | instskip(NEXT) | instid1(VALU_DEP_3)
	s_and_b32 s0, s8, s0
	v_lshlrev_b64 v[66:67], 3, v[66:67]
	s_delay_alu instid0(VALU_DEP_2) | instskip(NEXT) | instid1(VALU_DEP_3)
	v_add_co_u32 v71, vcc_lo, s34, v64
	v_add_co_ci_u32_e32 v72, vcc_lo, s35, v65, vcc_lo
	s_delay_alu instid0(VALU_DEP_3) | instskip(NEXT) | instid1(VALU_DEP_4)
	v_add_co_u32 v68, vcc_lo, s43, v66
	v_add_co_ci_u32_e32 v69, vcc_lo, s44, v67, vcc_lo
	s_and_saveexec_b32 s34, s0
	s_delay_alu instid0(SALU_CYCLE_1)
	s_xor_b32 s0, exec_lo, s34
	s_cbranch_execnz .LBB185_268
; %bb.236:
	s_or_b32 exec_lo, exec_lo, s0
	s_and_b32 s1, s8, s1
	s_delay_alu instid0(SALU_CYCLE_1)
	s_and_saveexec_b32 s0, s1
	s_cbranch_execnz .LBB185_272
.LBB185_237:
	s_or_b32 exec_lo, exec_lo, s0
	s_and_b32 s1, s8, s2
	s_delay_alu instid0(SALU_CYCLE_1)
	s_and_saveexec_b32 s0, s1
	s_cbranch_execnz .LBB185_276
.LBB185_238:
	s_or_b32 exec_lo, exec_lo, s0
	s_and_b32 s1, s8, s3
	s_delay_alu instid0(SALU_CYCLE_1)
	s_and_saveexec_b32 s0, s1
	s_cbranch_execnz .LBB185_280
.LBB185_239:
	s_or_b32 exec_lo, exec_lo, s0
	s_and_b32 s1, s8, s4
	s_delay_alu instid0(SALU_CYCLE_1)
	s_and_saveexec_b32 s0, s1
	s_cbranch_execnz .LBB185_284
.LBB185_240:
	s_or_b32 exec_lo, exec_lo, s0
	s_and_b32 s1, s8, s5
	s_delay_alu instid0(SALU_CYCLE_1)
	s_and_saveexec_b32 s0, s1
	s_cbranch_execnz .LBB185_288
.LBB185_241:
	s_or_b32 exec_lo, exec_lo, s0
	s_and_b32 s1, s8, s6
	s_delay_alu instid0(SALU_CYCLE_1)
	s_and_saveexec_b32 s0, s1
	s_cbranch_execnz .LBB185_292
.LBB185_242:
	s_or_b32 exec_lo, exec_lo, s0
	s_and_b32 s1, s8, s7
	s_delay_alu instid0(SALU_CYCLE_1)
	s_and_saveexec_b32 s0, s1
	s_cbranch_execnz .LBB185_296
.LBB185_243:
	s_or_b32 exec_lo, exec_lo, s0
	s_and_b32 s1, s8, s9
	s_delay_alu instid0(SALU_CYCLE_1)
	s_and_saveexec_b32 s0, s1
	s_cbranch_execnz .LBB185_300
.LBB185_244:
	s_or_b32 exec_lo, exec_lo, s0
	s_and_b32 s1, s8, s10
	s_delay_alu instid0(SALU_CYCLE_1)
	s_and_saveexec_b32 s0, s1
	s_cbranch_execnz .LBB185_304
.LBB185_245:
	s_or_b32 exec_lo, exec_lo, s0
	s_and_b32 s1, s8, s11
	s_delay_alu instid0(SALU_CYCLE_1)
	s_and_saveexec_b32 s0, s1
	s_cbranch_execnz .LBB185_308
.LBB185_246:
	s_or_b32 exec_lo, exec_lo, s0
	s_and_b32 s1, s8, s12
	s_delay_alu instid0(SALU_CYCLE_1)
	s_and_saveexec_b32 s0, s1
	s_cbranch_execnz .LBB185_312
.LBB185_247:
	s_or_b32 exec_lo, exec_lo, s0
	s_and_b32 s1, s8, s13
	s_delay_alu instid0(SALU_CYCLE_1)
	s_and_saveexec_b32 s0, s1
	s_cbranch_execnz .LBB185_316
.LBB185_248:
	s_or_b32 exec_lo, exec_lo, s0
	s_and_b32 s1, s8, s14
	s_delay_alu instid0(SALU_CYCLE_1)
	s_and_saveexec_b32 s0, s1
	s_cbranch_execnz .LBB185_320
.LBB185_249:
	s_or_b32 exec_lo, exec_lo, s0
	s_and_b32 s1, s8, s15
	s_delay_alu instid0(SALU_CYCLE_1)
	s_and_saveexec_b32 s0, s1
	s_cbranch_execnz .LBB185_324
.LBB185_250:
	s_or_b32 exec_lo, exec_lo, s0
	s_and_b32 s1, s8, s16
	s_delay_alu instid0(SALU_CYCLE_1)
	s_and_saveexec_b32 s0, s1
	s_cbranch_execnz .LBB185_328
.LBB185_251:
	s_or_b32 exec_lo, exec_lo, s0
	s_and_b32 s1, s8, s17
	s_delay_alu instid0(SALU_CYCLE_1)
	s_and_saveexec_b32 s0, s1
	s_cbranch_execnz .LBB185_332
.LBB185_252:
	s_or_b32 exec_lo, exec_lo, s0
	s_and_b32 s1, s8, s18
	s_delay_alu instid0(SALU_CYCLE_1)
	s_and_saveexec_b32 s0, s1
	s_cbranch_execnz .LBB185_336
.LBB185_253:
	s_or_b32 exec_lo, exec_lo, s0
	s_and_b32 s1, s8, s19
	s_delay_alu instid0(SALU_CYCLE_1)
	s_and_saveexec_b32 s0, s1
	s_cbranch_execnz .LBB185_340
.LBB185_254:
	s_or_b32 exec_lo, exec_lo, s0
	s_and_b32 s1, s8, s20
	s_delay_alu instid0(SALU_CYCLE_1)
	s_and_saveexec_b32 s0, s1
	s_cbranch_execnz .LBB185_344
.LBB185_255:
	s_or_b32 exec_lo, exec_lo, s0
	s_and_b32 s1, s8, s21
	s_delay_alu instid0(SALU_CYCLE_1)
	s_and_saveexec_b32 s0, s1
	s_cbranch_execnz .LBB185_348
.LBB185_256:
	s_or_b32 exec_lo, exec_lo, s0
	s_and_b32 s1, s8, s22
	s_delay_alu instid0(SALU_CYCLE_1)
	s_and_saveexec_b32 s0, s1
	s_cbranch_execnz .LBB185_352
.LBB185_257:
	s_or_b32 exec_lo, exec_lo, s0
	s_and_b32 s1, s8, s23
	s_delay_alu instid0(SALU_CYCLE_1)
	s_and_saveexec_b32 s0, s1
	s_cbranch_execnz .LBB185_356
.LBB185_258:
	s_or_b32 exec_lo, exec_lo, s0
	s_and_b32 s1, s8, s24
	s_delay_alu instid0(SALU_CYCLE_1)
	s_and_saveexec_b32 s0, s1
	s_cbranch_execnz .LBB185_360
.LBB185_259:
	s_or_b32 exec_lo, exec_lo, s0
	s_and_b32 s1, s8, s25
	s_delay_alu instid0(SALU_CYCLE_1)
	s_and_saveexec_b32 s0, s1
	s_cbranch_execnz .LBB185_364
.LBB185_260:
	s_or_b32 exec_lo, exec_lo, s0
	s_and_b32 s1, s8, s26
	s_delay_alu instid0(SALU_CYCLE_1)
	s_and_saveexec_b32 s0, s1
	s_cbranch_execnz .LBB185_368
.LBB185_261:
	s_or_b32 exec_lo, exec_lo, s0
	s_and_b32 s1, s8, s27
	s_delay_alu instid0(SALU_CYCLE_1)
	s_and_saveexec_b32 s0, s1
	s_cbranch_execnz .LBB185_372
.LBB185_262:
	s_or_b32 exec_lo, exec_lo, s0
	s_and_b32 s1, s8, s28
	s_delay_alu instid0(SALU_CYCLE_1)
	s_and_saveexec_b32 s0, s1
	s_cbranch_execnz .LBB185_376
.LBB185_263:
	s_or_b32 exec_lo, exec_lo, s0
	s_and_b32 s1, s8, s29
	s_delay_alu instid0(SALU_CYCLE_1)
	s_and_saveexec_b32 s0, s1
	s_cbranch_execnz .LBB185_380
.LBB185_264:
	s_or_b32 exec_lo, exec_lo, s0
	s_and_b32 s1, s8, s30
	s_delay_alu instid0(SALU_CYCLE_1)
	s_and_saveexec_b32 s0, s1
	s_cbranch_execnz .LBB185_384
.LBB185_265:
	s_or_b32 exec_lo, exec_lo, s0
	s_and_b32 s1, s8, s31
	s_delay_alu instid0(SALU_CYCLE_1)
	s_and_saveexec_b32 s0, s1
	s_cbranch_execnz .LBB185_388
.LBB185_266:
	s_or_b32 exec_lo, exec_lo, s0
	s_and_b32 s0, s8, s33
	s_delay_alu instid0(SALU_CYCLE_1)
	s_and_saveexec_b32 s1, s0
	s_cbranch_execnz .LBB185_392
.LBB185_267:
	s_endpgm
.LBB185_268:
	scratch_load_b64 v[64:65], off, off offset:256
	v_lshlrev_b64 v[0:1], 3, v[0:1]
	s_and_not1_b32 vcc_lo, exec_lo, s36
	s_cbranch_vccnz .LBB185_270
; %bb.269:
	s_delay_alu instid0(VALU_DEP_1) | instskip(NEXT) | instid1(VALU_DEP_2)
	v_add_co_u32 v66, vcc_lo, v71, v0
	v_add_co_ci_u32_e32 v67, vcc_lo, v72, v1, vcc_lo
	flat_load_b64 v[66:67], v[66:67]
	s_waitcnt vmcnt(0) lgkmcnt(0)
	v_mul_f64 v[66:67], v[66:67], s[38:39]
	s_branch .LBB185_271
.LBB185_270:
	v_mov_b32_e32 v66, 0
	v_mov_b32_e32 v67, 0
.LBB185_271:
	s_waitcnt vmcnt(0)
	s_delay_alu instid0(VALU_DEP_1)
	v_add_f64 v[64:65], v[64:65], v[66:67]
	v_add_co_u32 v0, vcc_lo, v68, v0
	v_add_co_ci_u32_e32 v1, vcc_lo, v69, v1, vcc_lo
	global_store_b64 v[0:1], v[64:65], off
	s_or_b32 exec_lo, exec_lo, s0
	s_and_b32 s1, s8, s1
	s_delay_alu instid0(SALU_CYCLE_1)
	s_and_saveexec_b32 s0, s1
	s_cbranch_execz .LBB185_237
.LBB185_272:
	scratch_load_b64 v[0:1], off, off offset:264
	v_cmp_ne_u32_e32 vcc_lo, 1, v70
	v_lshlrev_b64 v[2:3], 3, v[2:3]
	s_cbranch_vccnz .LBB185_274
; %bb.273:
	s_delay_alu instid0(VALU_DEP_1) | instskip(NEXT) | instid1(VALU_DEP_2)
	v_add_co_u32 v64, vcc_lo, v71, v2
	v_add_co_ci_u32_e32 v65, vcc_lo, v72, v3, vcc_lo
	flat_load_b64 v[64:65], v[64:65]
	s_waitcnt vmcnt(0) lgkmcnt(0)
	v_mul_f64 v[64:65], v[64:65], s[38:39]
	s_branch .LBB185_275
.LBB185_274:
	v_mov_b32_e32 v64, 0
	v_mov_b32_e32 v65, 0
.LBB185_275:
	s_waitcnt vmcnt(0)
	s_delay_alu instid0(VALU_DEP_1)
	v_add_f64 v[0:1], v[0:1], v[64:65]
	v_add_co_u32 v2, vcc_lo, v68, v2
	v_add_co_ci_u32_e32 v3, vcc_lo, v69, v3, vcc_lo
	global_store_b64 v[2:3], v[0:1], off
	s_or_b32 exec_lo, exec_lo, s0
	s_and_b32 s1, s8, s2
	s_delay_alu instid0(SALU_CYCLE_1)
	s_and_saveexec_b32 s0, s1
	s_cbranch_execz .LBB185_238
.LBB185_276:
	scratch_load_b64 v[0:1], off, off offset:272
	v_cmp_ne_u32_e32 vcc_lo, 1, v70
	v_lshlrev_b64 v[2:3], 3, v[4:5]
	s_cbranch_vccnz .LBB185_278
; %bb.277:
	s_delay_alu instid0(VALU_DEP_1) | instskip(NEXT) | instid1(VALU_DEP_2)
	v_add_co_u32 v4, vcc_lo, v71, v2
	v_add_co_ci_u32_e32 v5, vcc_lo, v72, v3, vcc_lo
	flat_load_b64 v[4:5], v[4:5]
	s_waitcnt vmcnt(0) lgkmcnt(0)
	v_mul_f64 v[4:5], v[4:5], s[38:39]
	s_branch .LBB185_279
.LBB185_278:
	v_mov_b32_e32 v4, 0
	v_mov_b32_e32 v5, 0
.LBB185_279:
	s_waitcnt vmcnt(0)
	s_delay_alu instid0(VALU_DEP_1)
	v_add_f64 v[0:1], v[0:1], v[4:5]
	v_add_co_u32 v2, vcc_lo, v68, v2
	v_add_co_ci_u32_e32 v3, vcc_lo, v69, v3, vcc_lo
	global_store_b64 v[2:3], v[0:1], off
	s_or_b32 exec_lo, exec_lo, s0
	s_and_b32 s1, s8, s3
	s_delay_alu instid0(SALU_CYCLE_1)
	s_and_saveexec_b32 s0, s1
	s_cbranch_execz .LBB185_239
.LBB185_280:
	scratch_load_b64 v[0:1], off, off offset:280
	v_cmp_ne_u32_e32 vcc_lo, 1, v70
	v_lshlrev_b64 v[2:3], 3, v[6:7]
	s_cbranch_vccnz .LBB185_282
; %bb.281:
	s_delay_alu instid0(VALU_DEP_1) | instskip(NEXT) | instid1(VALU_DEP_2)
	v_add_co_u32 v4, vcc_lo, v71, v2
	v_add_co_ci_u32_e32 v5, vcc_lo, v72, v3, vcc_lo
	flat_load_b64 v[4:5], v[4:5]
	s_waitcnt vmcnt(0) lgkmcnt(0)
	v_mul_f64 v[4:5], v[4:5], s[38:39]
	s_branch .LBB185_283
.LBB185_282:
	v_mov_b32_e32 v4, 0
	v_mov_b32_e32 v5, 0
.LBB185_283:
	s_waitcnt vmcnt(0)
	s_delay_alu instid0(VALU_DEP_1)
	v_add_f64 v[0:1], v[0:1], v[4:5]
	v_add_co_u32 v2, vcc_lo, v68, v2
	v_add_co_ci_u32_e32 v3, vcc_lo, v69, v3, vcc_lo
	global_store_b64 v[2:3], v[0:1], off
	s_or_b32 exec_lo, exec_lo, s0
	s_and_b32 s1, s8, s4
	s_delay_alu instid0(SALU_CYCLE_1)
	s_and_saveexec_b32 s0, s1
	s_cbranch_execz .LBB185_240
.LBB185_284:
	scratch_load_b64 v[0:1], off, off offset:288
	v_cmp_ne_u32_e32 vcc_lo, 1, v70
	v_lshlrev_b64 v[2:3], 3, v[8:9]
	s_cbranch_vccnz .LBB185_286
; %bb.285:
	s_delay_alu instid0(VALU_DEP_1) | instskip(NEXT) | instid1(VALU_DEP_2)
	v_add_co_u32 v4, vcc_lo, v71, v2
	v_add_co_ci_u32_e32 v5, vcc_lo, v72, v3, vcc_lo
	flat_load_b64 v[4:5], v[4:5]
	s_waitcnt vmcnt(0) lgkmcnt(0)
	v_mul_f64 v[4:5], v[4:5], s[38:39]
	s_branch .LBB185_287
.LBB185_286:
	v_mov_b32_e32 v4, 0
	v_mov_b32_e32 v5, 0
.LBB185_287:
	s_waitcnt vmcnt(0)
	s_delay_alu instid0(VALU_DEP_1)
	v_add_f64 v[0:1], v[0:1], v[4:5]
	v_add_co_u32 v2, vcc_lo, v68, v2
	v_add_co_ci_u32_e32 v3, vcc_lo, v69, v3, vcc_lo
	global_store_b64 v[2:3], v[0:1], off
	s_or_b32 exec_lo, exec_lo, s0
	s_and_b32 s1, s8, s5
	s_delay_alu instid0(SALU_CYCLE_1)
	s_and_saveexec_b32 s0, s1
	s_cbranch_execz .LBB185_241
.LBB185_288:
	scratch_load_b64 v[0:1], off, off offset:296
	v_cmp_ne_u32_e32 vcc_lo, 1, v70
	v_lshlrev_b64 v[2:3], 3, v[10:11]
	s_cbranch_vccnz .LBB185_290
; %bb.289:
	s_delay_alu instid0(VALU_DEP_1) | instskip(NEXT) | instid1(VALU_DEP_2)
	v_add_co_u32 v4, vcc_lo, v71, v2
	v_add_co_ci_u32_e32 v5, vcc_lo, v72, v3, vcc_lo
	flat_load_b64 v[4:5], v[4:5]
	s_waitcnt vmcnt(0) lgkmcnt(0)
	v_mul_f64 v[4:5], v[4:5], s[38:39]
	s_branch .LBB185_291
.LBB185_290:
	v_mov_b32_e32 v4, 0
	v_mov_b32_e32 v5, 0
.LBB185_291:
	s_waitcnt vmcnt(0)
	s_delay_alu instid0(VALU_DEP_1)
	v_add_f64 v[0:1], v[0:1], v[4:5]
	v_add_co_u32 v2, vcc_lo, v68, v2
	v_add_co_ci_u32_e32 v3, vcc_lo, v69, v3, vcc_lo
	global_store_b64 v[2:3], v[0:1], off
	s_or_b32 exec_lo, exec_lo, s0
	s_and_b32 s1, s8, s6
	s_delay_alu instid0(SALU_CYCLE_1)
	s_and_saveexec_b32 s0, s1
	s_cbranch_execz .LBB185_242
.LBB185_292:
	scratch_load_b64 v[0:1], off, off offset:304
	v_cmp_ne_u32_e32 vcc_lo, 1, v70
	v_lshlrev_b64 v[2:3], 3, v[12:13]
	s_cbranch_vccnz .LBB185_294
; %bb.293:
	s_delay_alu instid0(VALU_DEP_1) | instskip(NEXT) | instid1(VALU_DEP_2)
	v_add_co_u32 v4, vcc_lo, v71, v2
	v_add_co_ci_u32_e32 v5, vcc_lo, v72, v3, vcc_lo
	flat_load_b64 v[4:5], v[4:5]
	s_waitcnt vmcnt(0) lgkmcnt(0)
	v_mul_f64 v[4:5], v[4:5], s[38:39]
	s_branch .LBB185_295
.LBB185_294:
	v_mov_b32_e32 v4, 0
	v_mov_b32_e32 v5, 0
.LBB185_295:
	s_waitcnt vmcnt(0)
	s_delay_alu instid0(VALU_DEP_1)
	v_add_f64 v[0:1], v[0:1], v[4:5]
	v_add_co_u32 v2, vcc_lo, v68, v2
	v_add_co_ci_u32_e32 v3, vcc_lo, v69, v3, vcc_lo
	global_store_b64 v[2:3], v[0:1], off
	s_or_b32 exec_lo, exec_lo, s0
	s_and_b32 s1, s8, s7
	s_delay_alu instid0(SALU_CYCLE_1)
	s_and_saveexec_b32 s0, s1
	s_cbranch_execz .LBB185_243
.LBB185_296:
	scratch_load_b64 v[0:1], off, off offset:312
	v_cmp_ne_u32_e32 vcc_lo, 1, v70
	v_lshlrev_b64 v[2:3], 3, v[14:15]
	s_cbranch_vccnz .LBB185_298
; %bb.297:
	s_delay_alu instid0(VALU_DEP_1) | instskip(NEXT) | instid1(VALU_DEP_2)
	v_add_co_u32 v4, vcc_lo, v71, v2
	v_add_co_ci_u32_e32 v5, vcc_lo, v72, v3, vcc_lo
	flat_load_b64 v[4:5], v[4:5]
	s_waitcnt vmcnt(0) lgkmcnt(0)
	v_mul_f64 v[4:5], v[4:5], s[38:39]
	s_branch .LBB185_299
.LBB185_298:
	v_mov_b32_e32 v4, 0
	v_mov_b32_e32 v5, 0
.LBB185_299:
	s_waitcnt vmcnt(0)
	s_delay_alu instid0(VALU_DEP_1)
	v_add_f64 v[0:1], v[0:1], v[4:5]
	v_add_co_u32 v2, vcc_lo, v68, v2
	v_add_co_ci_u32_e32 v3, vcc_lo, v69, v3, vcc_lo
	global_store_b64 v[2:3], v[0:1], off
	s_or_b32 exec_lo, exec_lo, s0
	s_and_b32 s1, s8, s9
	s_delay_alu instid0(SALU_CYCLE_1)
	s_and_saveexec_b32 s0, s1
	s_cbranch_execz .LBB185_244
.LBB185_300:
	scratch_load_b64 v[0:1], off, off offset:320
	v_cmp_ne_u32_e32 vcc_lo, 1, v70
	v_lshlrev_b64 v[2:3], 3, v[16:17]
	s_cbranch_vccnz .LBB185_302
; %bb.301:
	s_delay_alu instid0(VALU_DEP_1) | instskip(NEXT) | instid1(VALU_DEP_2)
	v_add_co_u32 v4, vcc_lo, v71, v2
	v_add_co_ci_u32_e32 v5, vcc_lo, v72, v3, vcc_lo
	flat_load_b64 v[4:5], v[4:5]
	s_waitcnt vmcnt(0) lgkmcnt(0)
	v_mul_f64 v[4:5], v[4:5], s[38:39]
	s_branch .LBB185_303
.LBB185_302:
	v_mov_b32_e32 v4, 0
	v_mov_b32_e32 v5, 0
.LBB185_303:
	s_waitcnt vmcnt(0)
	s_delay_alu instid0(VALU_DEP_1)
	v_add_f64 v[0:1], v[0:1], v[4:5]
	v_add_co_u32 v2, vcc_lo, v68, v2
	v_add_co_ci_u32_e32 v3, vcc_lo, v69, v3, vcc_lo
	global_store_b64 v[2:3], v[0:1], off
	s_or_b32 exec_lo, exec_lo, s0
	s_and_b32 s1, s8, s10
	s_delay_alu instid0(SALU_CYCLE_1)
	s_and_saveexec_b32 s0, s1
	s_cbranch_execz .LBB185_245
.LBB185_304:
	scratch_load_b64 v[0:1], off, off offset:328
	v_cmp_ne_u32_e32 vcc_lo, 1, v70
	v_lshlrev_b64 v[2:3], 3, v[18:19]
	s_cbranch_vccnz .LBB185_306
; %bb.305:
	s_delay_alu instid0(VALU_DEP_1) | instskip(NEXT) | instid1(VALU_DEP_2)
	v_add_co_u32 v4, vcc_lo, v71, v2
	v_add_co_ci_u32_e32 v5, vcc_lo, v72, v3, vcc_lo
	flat_load_b64 v[4:5], v[4:5]
	s_waitcnt vmcnt(0) lgkmcnt(0)
	v_mul_f64 v[4:5], v[4:5], s[38:39]
	s_branch .LBB185_307
.LBB185_306:
	v_mov_b32_e32 v4, 0
	v_mov_b32_e32 v5, 0
.LBB185_307:
	s_waitcnt vmcnt(0)
	s_delay_alu instid0(VALU_DEP_1)
	v_add_f64 v[0:1], v[0:1], v[4:5]
	v_add_co_u32 v2, vcc_lo, v68, v2
	v_add_co_ci_u32_e32 v3, vcc_lo, v69, v3, vcc_lo
	global_store_b64 v[2:3], v[0:1], off
	s_or_b32 exec_lo, exec_lo, s0
	s_and_b32 s1, s8, s11
	s_delay_alu instid0(SALU_CYCLE_1)
	s_and_saveexec_b32 s0, s1
	s_cbranch_execz .LBB185_246
.LBB185_308:
	scratch_load_b64 v[0:1], off, off offset:336
	v_cmp_ne_u32_e32 vcc_lo, 1, v70
	v_lshlrev_b64 v[2:3], 3, v[20:21]
	s_cbranch_vccnz .LBB185_310
; %bb.309:
	s_delay_alu instid0(VALU_DEP_1) | instskip(NEXT) | instid1(VALU_DEP_2)
	v_add_co_u32 v4, vcc_lo, v71, v2
	v_add_co_ci_u32_e32 v5, vcc_lo, v72, v3, vcc_lo
	flat_load_b64 v[4:5], v[4:5]
	s_waitcnt vmcnt(0) lgkmcnt(0)
	v_mul_f64 v[4:5], v[4:5], s[38:39]
	s_branch .LBB185_311
.LBB185_310:
	v_mov_b32_e32 v4, 0
	v_mov_b32_e32 v5, 0
.LBB185_311:
	s_waitcnt vmcnt(0)
	s_delay_alu instid0(VALU_DEP_1)
	v_add_f64 v[0:1], v[0:1], v[4:5]
	v_add_co_u32 v2, vcc_lo, v68, v2
	v_add_co_ci_u32_e32 v3, vcc_lo, v69, v3, vcc_lo
	global_store_b64 v[2:3], v[0:1], off
	s_or_b32 exec_lo, exec_lo, s0
	s_and_b32 s1, s8, s12
	s_delay_alu instid0(SALU_CYCLE_1)
	s_and_saveexec_b32 s0, s1
	s_cbranch_execz .LBB185_247
.LBB185_312:
	scratch_load_b64 v[0:1], off, off offset:344
	v_cmp_ne_u32_e32 vcc_lo, 1, v70
	v_lshlrev_b64 v[2:3], 3, v[22:23]
	s_cbranch_vccnz .LBB185_314
; %bb.313:
	s_delay_alu instid0(VALU_DEP_1) | instskip(NEXT) | instid1(VALU_DEP_2)
	v_add_co_u32 v4, vcc_lo, v71, v2
	v_add_co_ci_u32_e32 v5, vcc_lo, v72, v3, vcc_lo
	flat_load_b64 v[4:5], v[4:5]
	s_waitcnt vmcnt(0) lgkmcnt(0)
	v_mul_f64 v[4:5], v[4:5], s[38:39]
	s_branch .LBB185_315
.LBB185_314:
	v_mov_b32_e32 v4, 0
	v_mov_b32_e32 v5, 0
.LBB185_315:
	s_waitcnt vmcnt(0)
	s_delay_alu instid0(VALU_DEP_1)
	v_add_f64 v[0:1], v[0:1], v[4:5]
	v_add_co_u32 v2, vcc_lo, v68, v2
	v_add_co_ci_u32_e32 v3, vcc_lo, v69, v3, vcc_lo
	global_store_b64 v[2:3], v[0:1], off
	s_or_b32 exec_lo, exec_lo, s0
	s_and_b32 s1, s8, s13
	s_delay_alu instid0(SALU_CYCLE_1)
	s_and_saveexec_b32 s0, s1
	s_cbranch_execz .LBB185_248
.LBB185_316:
	scratch_load_b64 v[0:1], off, off offset:352
	v_cmp_ne_u32_e32 vcc_lo, 1, v70
	v_lshlrev_b64 v[2:3], 3, v[24:25]
	s_cbranch_vccnz .LBB185_318
; %bb.317:
	s_delay_alu instid0(VALU_DEP_1) | instskip(NEXT) | instid1(VALU_DEP_2)
	v_add_co_u32 v4, vcc_lo, v71, v2
	v_add_co_ci_u32_e32 v5, vcc_lo, v72, v3, vcc_lo
	flat_load_b64 v[4:5], v[4:5]
	s_waitcnt vmcnt(0) lgkmcnt(0)
	v_mul_f64 v[4:5], v[4:5], s[38:39]
	s_branch .LBB185_319
.LBB185_318:
	v_mov_b32_e32 v4, 0
	v_mov_b32_e32 v5, 0
.LBB185_319:
	s_waitcnt vmcnt(0)
	s_delay_alu instid0(VALU_DEP_1)
	v_add_f64 v[0:1], v[0:1], v[4:5]
	v_add_co_u32 v2, vcc_lo, v68, v2
	v_add_co_ci_u32_e32 v3, vcc_lo, v69, v3, vcc_lo
	global_store_b64 v[2:3], v[0:1], off
	s_or_b32 exec_lo, exec_lo, s0
	s_and_b32 s1, s8, s14
	s_delay_alu instid0(SALU_CYCLE_1)
	s_and_saveexec_b32 s0, s1
	s_cbranch_execz .LBB185_249
.LBB185_320:
	scratch_load_b64 v[0:1], off, off offset:360
	v_cmp_ne_u32_e32 vcc_lo, 1, v70
	v_lshlrev_b64 v[2:3], 3, v[26:27]
	s_cbranch_vccnz .LBB185_322
; %bb.321:
	s_delay_alu instid0(VALU_DEP_1) | instskip(NEXT) | instid1(VALU_DEP_2)
	v_add_co_u32 v4, vcc_lo, v71, v2
	v_add_co_ci_u32_e32 v5, vcc_lo, v72, v3, vcc_lo
	flat_load_b64 v[4:5], v[4:5]
	s_waitcnt vmcnt(0) lgkmcnt(0)
	v_mul_f64 v[4:5], v[4:5], s[38:39]
	s_branch .LBB185_323
.LBB185_322:
	v_mov_b32_e32 v4, 0
	v_mov_b32_e32 v5, 0
.LBB185_323:
	s_waitcnt vmcnt(0)
	s_delay_alu instid0(VALU_DEP_1)
	v_add_f64 v[0:1], v[0:1], v[4:5]
	v_add_co_u32 v2, vcc_lo, v68, v2
	v_add_co_ci_u32_e32 v3, vcc_lo, v69, v3, vcc_lo
	global_store_b64 v[2:3], v[0:1], off
	s_or_b32 exec_lo, exec_lo, s0
	s_and_b32 s1, s8, s15
	s_delay_alu instid0(SALU_CYCLE_1)
	s_and_saveexec_b32 s0, s1
	s_cbranch_execz .LBB185_250
.LBB185_324:
	scratch_load_b64 v[0:1], off, off offset:368
	v_cmp_ne_u32_e32 vcc_lo, 1, v70
	v_lshlrev_b64 v[2:3], 3, v[28:29]
	s_cbranch_vccnz .LBB185_326
; %bb.325:
	s_delay_alu instid0(VALU_DEP_1) | instskip(NEXT) | instid1(VALU_DEP_2)
	v_add_co_u32 v4, vcc_lo, v71, v2
	v_add_co_ci_u32_e32 v5, vcc_lo, v72, v3, vcc_lo
	flat_load_b64 v[4:5], v[4:5]
	s_waitcnt vmcnt(0) lgkmcnt(0)
	v_mul_f64 v[4:5], v[4:5], s[38:39]
	s_branch .LBB185_327
.LBB185_326:
	v_mov_b32_e32 v4, 0
	v_mov_b32_e32 v5, 0
.LBB185_327:
	s_waitcnt vmcnt(0)
	s_delay_alu instid0(VALU_DEP_1)
	v_add_f64 v[0:1], v[0:1], v[4:5]
	v_add_co_u32 v2, vcc_lo, v68, v2
	v_add_co_ci_u32_e32 v3, vcc_lo, v69, v3, vcc_lo
	global_store_b64 v[2:3], v[0:1], off
	s_or_b32 exec_lo, exec_lo, s0
	s_and_b32 s1, s8, s16
	s_delay_alu instid0(SALU_CYCLE_1)
	s_and_saveexec_b32 s0, s1
	s_cbranch_execz .LBB185_251
.LBB185_328:
	scratch_load_b64 v[0:1], off, off offset:376
	v_cmp_ne_u32_e32 vcc_lo, 1, v70
	v_lshlrev_b64 v[2:3], 3, v[30:31]
	s_cbranch_vccnz .LBB185_330
; %bb.329:
	s_delay_alu instid0(VALU_DEP_1) | instskip(NEXT) | instid1(VALU_DEP_2)
	v_add_co_u32 v4, vcc_lo, v71, v2
	v_add_co_ci_u32_e32 v5, vcc_lo, v72, v3, vcc_lo
	flat_load_b64 v[4:5], v[4:5]
	s_waitcnt vmcnt(0) lgkmcnt(0)
	v_mul_f64 v[4:5], v[4:5], s[38:39]
	s_branch .LBB185_331
.LBB185_330:
	v_mov_b32_e32 v4, 0
	v_mov_b32_e32 v5, 0
.LBB185_331:
	s_waitcnt vmcnt(0)
	s_delay_alu instid0(VALU_DEP_1)
	v_add_f64 v[0:1], v[0:1], v[4:5]
	v_add_co_u32 v2, vcc_lo, v68, v2
	v_add_co_ci_u32_e32 v3, vcc_lo, v69, v3, vcc_lo
	global_store_b64 v[2:3], v[0:1], off
	s_or_b32 exec_lo, exec_lo, s0
	s_and_b32 s1, s8, s17
	s_delay_alu instid0(SALU_CYCLE_1)
	s_and_saveexec_b32 s0, s1
	s_cbranch_execz .LBB185_252
.LBB185_332:
	scratch_load_b64 v[0:1], off, off offset:384
	v_cmp_ne_u32_e32 vcc_lo, 1, v70
	v_lshlrev_b64 v[2:3], 3, v[32:33]
	s_cbranch_vccnz .LBB185_334
; %bb.333:
	s_delay_alu instid0(VALU_DEP_1) | instskip(NEXT) | instid1(VALU_DEP_2)
	v_add_co_u32 v4, vcc_lo, v71, v2
	v_add_co_ci_u32_e32 v5, vcc_lo, v72, v3, vcc_lo
	flat_load_b64 v[4:5], v[4:5]
	s_waitcnt vmcnt(0) lgkmcnt(0)
	v_mul_f64 v[4:5], v[4:5], s[38:39]
	s_branch .LBB185_335
.LBB185_334:
	v_mov_b32_e32 v4, 0
	v_mov_b32_e32 v5, 0
.LBB185_335:
	s_waitcnt vmcnt(0)
	s_delay_alu instid0(VALU_DEP_1)
	v_add_f64 v[0:1], v[0:1], v[4:5]
	v_add_co_u32 v2, vcc_lo, v68, v2
	v_add_co_ci_u32_e32 v3, vcc_lo, v69, v3, vcc_lo
	global_store_b64 v[2:3], v[0:1], off
	s_or_b32 exec_lo, exec_lo, s0
	s_and_b32 s1, s8, s18
	s_delay_alu instid0(SALU_CYCLE_1)
	s_and_saveexec_b32 s0, s1
	s_cbranch_execz .LBB185_253
.LBB185_336:
	scratch_load_b64 v[0:1], off, off offset:392
	v_cmp_ne_u32_e32 vcc_lo, 1, v70
	v_lshlrev_b64 v[2:3], 3, v[34:35]
	s_cbranch_vccnz .LBB185_338
; %bb.337:
	s_delay_alu instid0(VALU_DEP_1) | instskip(NEXT) | instid1(VALU_DEP_2)
	v_add_co_u32 v4, vcc_lo, v71, v2
	v_add_co_ci_u32_e32 v5, vcc_lo, v72, v3, vcc_lo
	flat_load_b64 v[4:5], v[4:5]
	s_waitcnt vmcnt(0) lgkmcnt(0)
	v_mul_f64 v[4:5], v[4:5], s[38:39]
	s_branch .LBB185_339
.LBB185_338:
	v_mov_b32_e32 v4, 0
	v_mov_b32_e32 v5, 0
.LBB185_339:
	s_waitcnt vmcnt(0)
	s_delay_alu instid0(VALU_DEP_1)
	v_add_f64 v[0:1], v[0:1], v[4:5]
	v_add_co_u32 v2, vcc_lo, v68, v2
	v_add_co_ci_u32_e32 v3, vcc_lo, v69, v3, vcc_lo
	global_store_b64 v[2:3], v[0:1], off
	s_or_b32 exec_lo, exec_lo, s0
	s_and_b32 s1, s8, s19
	s_delay_alu instid0(SALU_CYCLE_1)
	s_and_saveexec_b32 s0, s1
	s_cbranch_execz .LBB185_254
.LBB185_340:
	scratch_load_b64 v[0:1], off, off offset:400
	v_cmp_ne_u32_e32 vcc_lo, 1, v70
	v_lshlrev_b64 v[2:3], 3, v[36:37]
	s_cbranch_vccnz .LBB185_342
; %bb.341:
	s_delay_alu instid0(VALU_DEP_1) | instskip(NEXT) | instid1(VALU_DEP_2)
	v_add_co_u32 v4, vcc_lo, v71, v2
	v_add_co_ci_u32_e32 v5, vcc_lo, v72, v3, vcc_lo
	flat_load_b64 v[4:5], v[4:5]
	s_waitcnt vmcnt(0) lgkmcnt(0)
	v_mul_f64 v[4:5], v[4:5], s[38:39]
	s_branch .LBB185_343
.LBB185_342:
	v_mov_b32_e32 v4, 0
	v_mov_b32_e32 v5, 0
.LBB185_343:
	s_waitcnt vmcnt(0)
	s_delay_alu instid0(VALU_DEP_1)
	v_add_f64 v[0:1], v[0:1], v[4:5]
	v_add_co_u32 v2, vcc_lo, v68, v2
	v_add_co_ci_u32_e32 v3, vcc_lo, v69, v3, vcc_lo
	global_store_b64 v[2:3], v[0:1], off
	s_or_b32 exec_lo, exec_lo, s0
	s_and_b32 s1, s8, s20
	s_delay_alu instid0(SALU_CYCLE_1)
	s_and_saveexec_b32 s0, s1
	s_cbranch_execz .LBB185_255
.LBB185_344:
	scratch_load_b64 v[0:1], off, off offset:408
	v_cmp_ne_u32_e32 vcc_lo, 1, v70
	v_lshlrev_b64 v[2:3], 3, v[38:39]
	s_cbranch_vccnz .LBB185_346
; %bb.345:
	s_delay_alu instid0(VALU_DEP_1) | instskip(NEXT) | instid1(VALU_DEP_2)
	v_add_co_u32 v4, vcc_lo, v71, v2
	v_add_co_ci_u32_e32 v5, vcc_lo, v72, v3, vcc_lo
	flat_load_b64 v[4:5], v[4:5]
	s_waitcnt vmcnt(0) lgkmcnt(0)
	v_mul_f64 v[4:5], v[4:5], s[38:39]
	s_branch .LBB185_347
.LBB185_346:
	v_mov_b32_e32 v4, 0
	v_mov_b32_e32 v5, 0
.LBB185_347:
	s_waitcnt vmcnt(0)
	s_delay_alu instid0(VALU_DEP_1)
	v_add_f64 v[0:1], v[0:1], v[4:5]
	v_add_co_u32 v2, vcc_lo, v68, v2
	v_add_co_ci_u32_e32 v3, vcc_lo, v69, v3, vcc_lo
	global_store_b64 v[2:3], v[0:1], off
	s_or_b32 exec_lo, exec_lo, s0
	s_and_b32 s1, s8, s21
	s_delay_alu instid0(SALU_CYCLE_1)
	s_and_saveexec_b32 s0, s1
	s_cbranch_execz .LBB185_256
.LBB185_348:
	scratch_load_b64 v[0:1], off, off offset:416
	v_cmp_ne_u32_e32 vcc_lo, 1, v70
	v_lshlrev_b64 v[2:3], 3, v[40:41]
	s_cbranch_vccnz .LBB185_350
; %bb.349:
	s_delay_alu instid0(VALU_DEP_1) | instskip(NEXT) | instid1(VALU_DEP_2)
	v_add_co_u32 v4, vcc_lo, v71, v2
	v_add_co_ci_u32_e32 v5, vcc_lo, v72, v3, vcc_lo
	flat_load_b64 v[4:5], v[4:5]
	s_waitcnt vmcnt(0) lgkmcnt(0)
	v_mul_f64 v[4:5], v[4:5], s[38:39]
	s_branch .LBB185_351
.LBB185_350:
	v_mov_b32_e32 v4, 0
	v_mov_b32_e32 v5, 0
.LBB185_351:
	s_waitcnt vmcnt(0)
	s_delay_alu instid0(VALU_DEP_1)
	v_add_f64 v[0:1], v[0:1], v[4:5]
	v_add_co_u32 v2, vcc_lo, v68, v2
	v_add_co_ci_u32_e32 v3, vcc_lo, v69, v3, vcc_lo
	global_store_b64 v[2:3], v[0:1], off
	s_or_b32 exec_lo, exec_lo, s0
	s_and_b32 s1, s8, s22
	s_delay_alu instid0(SALU_CYCLE_1)
	s_and_saveexec_b32 s0, s1
	s_cbranch_execz .LBB185_257
.LBB185_352:
	scratch_load_b64 v[0:1], off, off offset:424
	v_cmp_ne_u32_e32 vcc_lo, 1, v70
	v_lshlrev_b64 v[2:3], 3, v[42:43]
	s_cbranch_vccnz .LBB185_354
; %bb.353:
	s_delay_alu instid0(VALU_DEP_1) | instskip(NEXT) | instid1(VALU_DEP_2)
	v_add_co_u32 v4, vcc_lo, v71, v2
	v_add_co_ci_u32_e32 v5, vcc_lo, v72, v3, vcc_lo
	flat_load_b64 v[4:5], v[4:5]
	s_waitcnt vmcnt(0) lgkmcnt(0)
	v_mul_f64 v[4:5], v[4:5], s[38:39]
	s_branch .LBB185_355
.LBB185_354:
	v_mov_b32_e32 v4, 0
	v_mov_b32_e32 v5, 0
.LBB185_355:
	s_waitcnt vmcnt(0)
	s_delay_alu instid0(VALU_DEP_1)
	v_add_f64 v[0:1], v[0:1], v[4:5]
	v_add_co_u32 v2, vcc_lo, v68, v2
	v_add_co_ci_u32_e32 v3, vcc_lo, v69, v3, vcc_lo
	global_store_b64 v[2:3], v[0:1], off
	s_or_b32 exec_lo, exec_lo, s0
	s_and_b32 s1, s8, s23
	s_delay_alu instid0(SALU_CYCLE_1)
	s_and_saveexec_b32 s0, s1
	s_cbranch_execz .LBB185_258
.LBB185_356:
	scratch_load_b64 v[0:1], off, off offset:432
	v_cmp_ne_u32_e32 vcc_lo, 1, v70
	v_lshlrev_b64 v[2:3], 3, v[44:45]
	s_cbranch_vccnz .LBB185_358
; %bb.357:
	s_delay_alu instid0(VALU_DEP_1) | instskip(NEXT) | instid1(VALU_DEP_2)
	v_add_co_u32 v4, vcc_lo, v71, v2
	v_add_co_ci_u32_e32 v5, vcc_lo, v72, v3, vcc_lo
	flat_load_b64 v[4:5], v[4:5]
	s_waitcnt vmcnt(0) lgkmcnt(0)
	v_mul_f64 v[4:5], v[4:5], s[38:39]
	s_branch .LBB185_359
.LBB185_358:
	v_mov_b32_e32 v4, 0
	v_mov_b32_e32 v5, 0
.LBB185_359:
	s_waitcnt vmcnt(0)
	s_delay_alu instid0(VALU_DEP_1)
	v_add_f64 v[0:1], v[0:1], v[4:5]
	v_add_co_u32 v2, vcc_lo, v68, v2
	v_add_co_ci_u32_e32 v3, vcc_lo, v69, v3, vcc_lo
	global_store_b64 v[2:3], v[0:1], off
	s_or_b32 exec_lo, exec_lo, s0
	s_and_b32 s1, s8, s24
	s_delay_alu instid0(SALU_CYCLE_1)
	s_and_saveexec_b32 s0, s1
	s_cbranch_execz .LBB185_259
.LBB185_360:
	scratch_load_b64 v[0:1], off, off offset:440
	v_cmp_ne_u32_e32 vcc_lo, 1, v70
	v_lshlrev_b64 v[2:3], 3, v[46:47]
	s_cbranch_vccnz .LBB185_362
; %bb.361:
	s_delay_alu instid0(VALU_DEP_1) | instskip(NEXT) | instid1(VALU_DEP_2)
	v_add_co_u32 v4, vcc_lo, v71, v2
	v_add_co_ci_u32_e32 v5, vcc_lo, v72, v3, vcc_lo
	flat_load_b64 v[4:5], v[4:5]
	s_waitcnt vmcnt(0) lgkmcnt(0)
	v_mul_f64 v[4:5], v[4:5], s[38:39]
	s_branch .LBB185_363
.LBB185_362:
	v_mov_b32_e32 v4, 0
	v_mov_b32_e32 v5, 0
.LBB185_363:
	s_waitcnt vmcnt(0)
	s_delay_alu instid0(VALU_DEP_1)
	v_add_f64 v[0:1], v[0:1], v[4:5]
	v_add_co_u32 v2, vcc_lo, v68, v2
	v_add_co_ci_u32_e32 v3, vcc_lo, v69, v3, vcc_lo
	global_store_b64 v[2:3], v[0:1], off
	s_or_b32 exec_lo, exec_lo, s0
	s_and_b32 s1, s8, s25
	s_delay_alu instid0(SALU_CYCLE_1)
	s_and_saveexec_b32 s0, s1
	s_cbranch_execz .LBB185_260
.LBB185_364:
	scratch_load_b64 v[0:1], off, off offset:448
	v_cmp_ne_u32_e32 vcc_lo, 1, v70
	v_lshlrev_b64 v[2:3], 3, v[48:49]
	s_cbranch_vccnz .LBB185_366
; %bb.365:
	s_delay_alu instid0(VALU_DEP_1) | instskip(NEXT) | instid1(VALU_DEP_2)
	v_add_co_u32 v4, vcc_lo, v71, v2
	v_add_co_ci_u32_e32 v5, vcc_lo, v72, v3, vcc_lo
	flat_load_b64 v[4:5], v[4:5]
	s_waitcnt vmcnt(0) lgkmcnt(0)
	v_mul_f64 v[4:5], v[4:5], s[38:39]
	s_branch .LBB185_367
.LBB185_366:
	v_mov_b32_e32 v4, 0
	v_mov_b32_e32 v5, 0
.LBB185_367:
	s_waitcnt vmcnt(0)
	s_delay_alu instid0(VALU_DEP_1)
	v_add_f64 v[0:1], v[0:1], v[4:5]
	v_add_co_u32 v2, vcc_lo, v68, v2
	v_add_co_ci_u32_e32 v3, vcc_lo, v69, v3, vcc_lo
	global_store_b64 v[2:3], v[0:1], off
	s_or_b32 exec_lo, exec_lo, s0
	s_and_b32 s1, s8, s26
	s_delay_alu instid0(SALU_CYCLE_1)
	s_and_saveexec_b32 s0, s1
	s_cbranch_execz .LBB185_261
.LBB185_368:
	scratch_load_b64 v[0:1], off, off offset:456
	v_cmp_ne_u32_e32 vcc_lo, 1, v70
	v_lshlrev_b64 v[2:3], 3, v[50:51]
	s_cbranch_vccnz .LBB185_370
; %bb.369:
	s_delay_alu instid0(VALU_DEP_1) | instskip(NEXT) | instid1(VALU_DEP_2)
	v_add_co_u32 v4, vcc_lo, v71, v2
	v_add_co_ci_u32_e32 v5, vcc_lo, v72, v3, vcc_lo
	flat_load_b64 v[4:5], v[4:5]
	s_waitcnt vmcnt(0) lgkmcnt(0)
	v_mul_f64 v[4:5], v[4:5], s[38:39]
	s_branch .LBB185_371
.LBB185_370:
	v_mov_b32_e32 v4, 0
	v_mov_b32_e32 v5, 0
.LBB185_371:
	s_waitcnt vmcnt(0)
	s_delay_alu instid0(VALU_DEP_1)
	v_add_f64 v[0:1], v[0:1], v[4:5]
	v_add_co_u32 v2, vcc_lo, v68, v2
	v_add_co_ci_u32_e32 v3, vcc_lo, v69, v3, vcc_lo
	global_store_b64 v[2:3], v[0:1], off
	s_or_b32 exec_lo, exec_lo, s0
	s_and_b32 s1, s8, s27
	s_delay_alu instid0(SALU_CYCLE_1)
	s_and_saveexec_b32 s0, s1
	s_cbranch_execz .LBB185_262
.LBB185_372:
	scratch_load_b64 v[0:1], off, off offset:464
	v_cmp_ne_u32_e32 vcc_lo, 1, v70
	v_lshlrev_b64 v[2:3], 3, v[52:53]
	s_cbranch_vccnz .LBB185_374
; %bb.373:
	s_delay_alu instid0(VALU_DEP_1) | instskip(NEXT) | instid1(VALU_DEP_2)
	v_add_co_u32 v4, vcc_lo, v71, v2
	v_add_co_ci_u32_e32 v5, vcc_lo, v72, v3, vcc_lo
	flat_load_b64 v[4:5], v[4:5]
	s_waitcnt vmcnt(0) lgkmcnt(0)
	v_mul_f64 v[4:5], v[4:5], s[38:39]
	s_branch .LBB185_375
.LBB185_374:
	v_mov_b32_e32 v4, 0
	v_mov_b32_e32 v5, 0
.LBB185_375:
	s_waitcnt vmcnt(0)
	s_delay_alu instid0(VALU_DEP_1)
	v_add_f64 v[0:1], v[0:1], v[4:5]
	v_add_co_u32 v2, vcc_lo, v68, v2
	v_add_co_ci_u32_e32 v3, vcc_lo, v69, v3, vcc_lo
	global_store_b64 v[2:3], v[0:1], off
	s_or_b32 exec_lo, exec_lo, s0
	s_and_b32 s1, s8, s28
	s_delay_alu instid0(SALU_CYCLE_1)
	s_and_saveexec_b32 s0, s1
	s_cbranch_execz .LBB185_263
.LBB185_376:
	scratch_load_b64 v[0:1], off, off offset:472
	v_cmp_ne_u32_e32 vcc_lo, 1, v70
	v_lshlrev_b64 v[2:3], 3, v[54:55]
	s_cbranch_vccnz .LBB185_378
; %bb.377:
	s_delay_alu instid0(VALU_DEP_1) | instskip(NEXT) | instid1(VALU_DEP_2)
	v_add_co_u32 v4, vcc_lo, v71, v2
	v_add_co_ci_u32_e32 v5, vcc_lo, v72, v3, vcc_lo
	flat_load_b64 v[4:5], v[4:5]
	s_waitcnt vmcnt(0) lgkmcnt(0)
	v_mul_f64 v[4:5], v[4:5], s[38:39]
	s_branch .LBB185_379
.LBB185_378:
	v_mov_b32_e32 v4, 0
	v_mov_b32_e32 v5, 0
.LBB185_379:
	s_waitcnt vmcnt(0)
	s_delay_alu instid0(VALU_DEP_1)
	v_add_f64 v[0:1], v[0:1], v[4:5]
	v_add_co_u32 v2, vcc_lo, v68, v2
	v_add_co_ci_u32_e32 v3, vcc_lo, v69, v3, vcc_lo
	global_store_b64 v[2:3], v[0:1], off
	s_or_b32 exec_lo, exec_lo, s0
	s_and_b32 s1, s8, s29
	s_delay_alu instid0(SALU_CYCLE_1)
	s_and_saveexec_b32 s0, s1
	s_cbranch_execz .LBB185_264
.LBB185_380:
	scratch_load_b64 v[0:1], off, off offset:480
	v_cmp_ne_u32_e32 vcc_lo, 1, v70
	v_lshlrev_b64 v[2:3], 3, v[56:57]
	s_cbranch_vccnz .LBB185_382
; %bb.381:
	s_delay_alu instid0(VALU_DEP_1) | instskip(NEXT) | instid1(VALU_DEP_2)
	v_add_co_u32 v4, vcc_lo, v71, v2
	v_add_co_ci_u32_e32 v5, vcc_lo, v72, v3, vcc_lo
	flat_load_b64 v[4:5], v[4:5]
	s_waitcnt vmcnt(0) lgkmcnt(0)
	v_mul_f64 v[4:5], v[4:5], s[38:39]
	s_branch .LBB185_383
.LBB185_382:
	v_mov_b32_e32 v4, 0
	v_mov_b32_e32 v5, 0
.LBB185_383:
	s_waitcnt vmcnt(0)
	s_delay_alu instid0(VALU_DEP_1)
	v_add_f64 v[0:1], v[0:1], v[4:5]
	v_add_co_u32 v2, vcc_lo, v68, v2
	v_add_co_ci_u32_e32 v3, vcc_lo, v69, v3, vcc_lo
	global_store_b64 v[2:3], v[0:1], off
	s_or_b32 exec_lo, exec_lo, s0
	s_and_b32 s1, s8, s30
	s_delay_alu instid0(SALU_CYCLE_1)
	s_and_saveexec_b32 s0, s1
	s_cbranch_execz .LBB185_265
.LBB185_384:
	scratch_load_b64 v[0:1], off, off offset:488
	v_cmp_ne_u32_e32 vcc_lo, 1, v70
	v_lshlrev_b64 v[2:3], 3, v[58:59]
	s_cbranch_vccnz .LBB185_386
; %bb.385:
	s_delay_alu instid0(VALU_DEP_1) | instskip(NEXT) | instid1(VALU_DEP_2)
	v_add_co_u32 v4, vcc_lo, v71, v2
	v_add_co_ci_u32_e32 v5, vcc_lo, v72, v3, vcc_lo
	flat_load_b64 v[4:5], v[4:5]
	s_waitcnt vmcnt(0) lgkmcnt(0)
	v_mul_f64 v[4:5], v[4:5], s[38:39]
	s_branch .LBB185_387
.LBB185_386:
	v_mov_b32_e32 v4, 0
	v_mov_b32_e32 v5, 0
.LBB185_387:
	s_waitcnt vmcnt(0)
	s_delay_alu instid0(VALU_DEP_1)
	v_add_f64 v[0:1], v[0:1], v[4:5]
	v_add_co_u32 v2, vcc_lo, v68, v2
	v_add_co_ci_u32_e32 v3, vcc_lo, v69, v3, vcc_lo
	global_store_b64 v[2:3], v[0:1], off
	s_or_b32 exec_lo, exec_lo, s0
	s_and_b32 s1, s8, s31
	s_delay_alu instid0(SALU_CYCLE_1)
	s_and_saveexec_b32 s0, s1
	s_cbranch_execz .LBB185_266
.LBB185_388:
	scratch_load_b64 v[0:1], off, off offset:496
	v_cmp_ne_u32_e32 vcc_lo, 1, v70
	v_lshlrev_b64 v[2:3], 3, v[60:61]
	s_cbranch_vccnz .LBB185_390
; %bb.389:
	s_delay_alu instid0(VALU_DEP_1) | instskip(NEXT) | instid1(VALU_DEP_2)
	v_add_co_u32 v4, vcc_lo, v71, v2
	v_add_co_ci_u32_e32 v5, vcc_lo, v72, v3, vcc_lo
	flat_load_b64 v[4:5], v[4:5]
	s_waitcnt vmcnt(0) lgkmcnt(0)
	v_mul_f64 v[4:5], v[4:5], s[38:39]
	s_branch .LBB185_391
.LBB185_390:
	v_mov_b32_e32 v4, 0
	v_mov_b32_e32 v5, 0
.LBB185_391:
	s_waitcnt vmcnt(0)
	s_delay_alu instid0(VALU_DEP_1)
	v_add_f64 v[0:1], v[0:1], v[4:5]
	v_add_co_u32 v2, vcc_lo, v68, v2
	v_add_co_ci_u32_e32 v3, vcc_lo, v69, v3, vcc_lo
	global_store_b64 v[2:3], v[0:1], off
	s_or_b32 exec_lo, exec_lo, s0
	s_and_b32 s0, s8, s33
	s_delay_alu instid0(SALU_CYCLE_1)
	s_and_saveexec_b32 s1, s0
	s_cbranch_execz .LBB185_267
.LBB185_392:
	scratch_load_b64 v[0:1], off, off offset:504
	v_cmp_ne_u32_e32 vcc_lo, 1, v70
	v_lshlrev_b64 v[2:3], 3, v[62:63]
	s_cbranch_vccnz .LBB185_394
; %bb.393:
	s_delay_alu instid0(VALU_DEP_1) | instskip(NEXT) | instid1(VALU_DEP_2)
	v_add_co_u32 v4, vcc_lo, v71, v2
	v_add_co_ci_u32_e32 v5, vcc_lo, v72, v3, vcc_lo
	flat_load_b64 v[4:5], v[4:5]
	s_waitcnt vmcnt(0) lgkmcnt(0)
	v_mul_f64 v[4:5], v[4:5], s[38:39]
	s_branch .LBB185_395
.LBB185_394:
	v_mov_b32_e32 v4, 0
	v_mov_b32_e32 v5, 0
.LBB185_395:
	s_waitcnt vmcnt(0)
	s_delay_alu instid0(VALU_DEP_1)
	v_add_f64 v[0:1], v[0:1], v[4:5]
	v_add_co_u32 v2, vcc_lo, v68, v2
	v_add_co_ci_u32_e32 v3, vcc_lo, v69, v3, vcc_lo
	global_store_b64 v[2:3], v[0:1], off
	s_endpgm
	.section	.rodata,"a",@progbits
	.p2align	6, 0x0
	.amdhsa_kernel _ZN12_GLOBAL__N_120geam_min_plus_kernelIdddLi4ELi64ELi128ELi128ELi4ELi64ELi4ELi4ELi64ELc78ELc78ELb0ELb1ELb0EdKddEEviiiT16_PT17_ilS4_ilS2_S4_ilPT18_ili26rocblas_geam_ex_operation_
		.amdhsa_group_segment_fixed_size 16384
		.amdhsa_private_segment_fixed_size 528
		.amdhsa_kernarg_size 136
		.amdhsa_user_sgpr_count 14
		.amdhsa_user_sgpr_dispatch_ptr 0
		.amdhsa_user_sgpr_queue_ptr 0
		.amdhsa_user_sgpr_kernarg_segment_ptr 1
		.amdhsa_user_sgpr_dispatch_id 0
		.amdhsa_user_sgpr_private_segment_size 0
		.amdhsa_wavefront_size32 1
		.amdhsa_uses_dynamic_stack 0
		.amdhsa_enable_private_segment 1
		.amdhsa_system_sgpr_workgroup_id_x 1
		.amdhsa_system_sgpr_workgroup_id_y 0
		.amdhsa_system_sgpr_workgroup_id_z 1
		.amdhsa_system_sgpr_workgroup_info 0
		.amdhsa_system_vgpr_workitem_id 1
		.amdhsa_next_free_vgpr 253
		.amdhsa_next_free_sgpr 46
		.amdhsa_reserve_vcc 1
		.amdhsa_float_round_mode_32 0
		.amdhsa_float_round_mode_16_64 0
		.amdhsa_float_denorm_mode_32 3
		.amdhsa_float_denorm_mode_16_64 3
		.amdhsa_dx10_clamp 1
		.amdhsa_ieee_mode 1
		.amdhsa_fp16_overflow 0
		.amdhsa_workgroup_processor_mode 1
		.amdhsa_memory_ordered 1
		.amdhsa_forward_progress 0
		.amdhsa_shared_vgpr_count 0
		.amdhsa_exception_fp_ieee_invalid_op 0
		.amdhsa_exception_fp_denorm_src 0
		.amdhsa_exception_fp_ieee_div_zero 0
		.amdhsa_exception_fp_ieee_overflow 0
		.amdhsa_exception_fp_ieee_underflow 0
		.amdhsa_exception_fp_ieee_inexact 0
		.amdhsa_exception_int_div_zero 0
	.end_amdhsa_kernel
	.section	.text._ZN12_GLOBAL__N_120geam_min_plus_kernelIdddLi4ELi64ELi128ELi128ELi4ELi64ELi4ELi4ELi64ELc78ELc78ELb0ELb1ELb0EdKddEEviiiT16_PT17_ilS4_ilS2_S4_ilPT18_ili26rocblas_geam_ex_operation_,"axG",@progbits,_ZN12_GLOBAL__N_120geam_min_plus_kernelIdddLi4ELi64ELi128ELi128ELi4ELi64ELi4ELi4ELi64ELc78ELc78ELb0ELb1ELb0EdKddEEviiiT16_PT17_ilS4_ilS2_S4_ilPT18_ili26rocblas_geam_ex_operation_,comdat
.Lfunc_end185:
	.size	_ZN12_GLOBAL__N_120geam_min_plus_kernelIdddLi4ELi64ELi128ELi128ELi4ELi64ELi4ELi4ELi64ELc78ELc78ELb0ELb1ELb0EdKddEEviiiT16_PT17_ilS4_ilS2_S4_ilPT18_ili26rocblas_geam_ex_operation_, .Lfunc_end185-_ZN12_GLOBAL__N_120geam_min_plus_kernelIdddLi4ELi64ELi128ELi128ELi4ELi64ELi4ELi4ELi64ELc78ELc78ELb0ELb1ELb0EdKddEEviiiT16_PT17_ilS4_ilS2_S4_ilPT18_ili26rocblas_geam_ex_operation_
                                        ; -- End function
	.section	.AMDGPU.csdata,"",@progbits
; Kernel info:
; codeLenInByte = 47388
; NumSgprs: 48
; NumVgprs: 253
; ScratchSize: 528
; MemoryBound: 1
; FloatMode: 240
; IeeeMode: 1
; LDSByteSize: 16384 bytes/workgroup (compile time only)
; SGPRBlocks: 5
; VGPRBlocks: 31
; NumSGPRsForWavesPerEU: 48
; NumVGPRsForWavesPerEU: 253
; Occupancy: 5
; WaveLimiterHint : 1
; COMPUTE_PGM_RSRC2:SCRATCH_EN: 1
; COMPUTE_PGM_RSRC2:USER_SGPR: 14
; COMPUTE_PGM_RSRC2:TRAP_HANDLER: 0
; COMPUTE_PGM_RSRC2:TGID_X_EN: 1
; COMPUTE_PGM_RSRC2:TGID_Y_EN: 0
; COMPUTE_PGM_RSRC2:TGID_Z_EN: 1
; COMPUTE_PGM_RSRC2:TIDIG_COMP_CNT: 1
	.section	.text._ZN12_GLOBAL__N_120geam_min_plus_kernelIdddLi4ELi64ELi128ELi128ELi4ELi4ELi64ELi4ELi64ELc84ELc78ELb0ELb0ELb0EPKdS1_dEEviiiT16_PT17_ilS5_ilS3_S5_ilPT18_ili26rocblas_geam_ex_operation_,"axG",@progbits,_ZN12_GLOBAL__N_120geam_min_plus_kernelIdddLi4ELi64ELi128ELi128ELi4ELi4ELi64ELi4ELi64ELc84ELc78ELb0ELb0ELb0EPKdS1_dEEviiiT16_PT17_ilS5_ilS3_S5_ilPT18_ili26rocblas_geam_ex_operation_,comdat
	.globl	_ZN12_GLOBAL__N_120geam_min_plus_kernelIdddLi4ELi64ELi128ELi128ELi4ELi4ELi64ELi4ELi64ELc84ELc78ELb0ELb0ELb0EPKdS1_dEEviiiT16_PT17_ilS5_ilS3_S5_ilPT18_ili26rocblas_geam_ex_operation_ ; -- Begin function _ZN12_GLOBAL__N_120geam_min_plus_kernelIdddLi4ELi64ELi128ELi128ELi4ELi4ELi64ELi4ELi64ELc84ELc78ELb0ELb0ELb0EPKdS1_dEEviiiT16_PT17_ilS5_ilS3_S5_ilPT18_ili26rocblas_geam_ex_operation_
	.p2align	8
	.type	_ZN12_GLOBAL__N_120geam_min_plus_kernelIdddLi4ELi64ELi128ELi128ELi4ELi4ELi64ELi4ELi64ELc84ELc78ELb0ELb0ELb0EPKdS1_dEEviiiT16_PT17_ilS5_ilS3_S5_ilPT18_ili26rocblas_geam_ex_operation_,@function
_ZN12_GLOBAL__N_120geam_min_plus_kernelIdddLi4ELi64ELi128ELi128ELi4ELi4ELi64ELi4ELi64ELc84ELc78ELb0ELb0ELb0EPKdS1_dEEviiiT16_PT17_ilS5_ilS3_S5_ilPT18_ili26rocblas_geam_ex_operation_: ; @_ZN12_GLOBAL__N_120geam_min_plus_kernelIdddLi4ELi64ELi128ELi128ELi4ELi4ELi64ELi4ELi64ELc84ELc78ELb0ELb0ELb0EPKdS1_dEEviiiT16_PT17_ilS5_ilS3_S5_ilPT18_ili26rocblas_geam_ex_operation_
; %bb.0:
	s_clause 0x1
	s_load_b128 s[8:11], s[0:1], 0x10
	s_load_b128 s[4:7], s[0:1], 0x28
	s_mov_b32 s12, s15
	s_mov_b32 s13, 0
	s_mov_b64 s[22:23], 0
	s_lshl_b64 s[2:3], s[12:13], 3
	s_waitcnt lgkmcnt(0)
	s_add_u32 s8, s8, s2
	s_addc_u32 s9, s9, s3
	s_load_b64 s[20:21], s[8:9], 0x0
	s_clause 0x1
	s_load_b128 s[16:19], s[0:1], 0x40
	s_load_b64 s[24:25], s[0:1], 0x50
	s_waitcnt lgkmcnt(0)
	s_add_u32 s2, s18, s2
	v_cmp_eq_f64_e64 s8, s[20:21], 0
	v_cmp_neq_f64_e64 s26, s[20:21], 0
	s_addc_u32 s3, s19, s3
	s_mov_b64 s[18:19], 0
	s_delay_alu instid0(VALU_DEP_2)
	s_and_b32 vcc_lo, exec_lo, s8
	s_cbranch_vccnz .LBB186_2
; %bb.1:
	s_mul_i32 s5, s12, s5
	s_mul_hi_u32 s8, s12, s4
	s_mul_i32 s4, s12, s4
	s_add_i32 s5, s8, s5
	s_delay_alu instid0(SALU_CYCLE_1) | instskip(NEXT) | instid1(SALU_CYCLE_1)
	s_lshl_b64 s[4:5], s[4:5], 3
	s_add_u32 s22, s10, s4
	s_addc_u32 s23, s11, s5
.LBB186_2:
	s_load_b64 s[8:9], s[2:3], 0x0
	s_delay_alu instid0(VALU_DEP_1) | instskip(SKIP_1) | instid1(VALU_DEP_1)
	v_cndmask_b32_e64 v1, 0, 1, s26
	s_and_not1_b32 vcc_lo, exec_lo, s26
	v_cmp_ne_u32_e64 s2, 1, v1
	s_cbranch_vccnz .LBB186_4
; %bb.3:
	s_mul_i32 s3, s12, s17
	s_mul_hi_u32 s4, s12, s16
	s_delay_alu instid0(SALU_CYCLE_1) | instskip(SKIP_1) | instid1(SALU_CYCLE_1)
	s_add_i32 s5, s4, s3
	s_mul_i32 s4, s12, s16
	s_lshl_b64 s[4:5], s[4:5], 3
	s_delay_alu instid0(SALU_CYCLE_1)
	s_add_u32 s18, s6, s4
	s_addc_u32 s19, s7, s5
.LBB186_4:
	s_waitcnt lgkmcnt(0)
	v_cmp_eq_f64_e64 s3, s[8:9], 0
	s_load_b128 s[4:7], s[0:1], 0x60
	s_mov_b64 s[10:11], 0
	s_delay_alu instid0(VALU_DEP_1)
	s_and_b32 vcc_lo, exec_lo, s3
	s_cbranch_vccnz .LBB186_6
; %bb.5:
	s_waitcnt lgkmcnt(0)
	s_mul_i32 s3, s12, s5
	s_mul_hi_u32 s5, s12, s4
	s_mul_i32 s4, s12, s4
	s_add_i32 s5, s5, s3
	s_delay_alu instid0(SALU_CYCLE_1) | instskip(NEXT) | instid1(SALU_CYCLE_1)
	s_lshl_b64 s[4:5], s[4:5], 3
	s_add_u32 s10, s24, s4
	s_addc_u32 s11, s25, s5
.LBB186_6:
	s_clause 0x1
	s_load_b32 s13, s[0:1], 0x0
	s_load_b32 s3, s[0:1], 0x20
	s_waitcnt lgkmcnt(0)
	s_mov_b32 s4, 0
	v_bfe_u32 v87, v0, 10, 10
	s_mov_b32 s5, s4
	v_dual_mov_b32 v1, s4 :: v_dual_and_b32 v86, 0x3ff, v0
	v_mov_b32_e32 v2, s5
	s_delay_alu instid0(VALU_DEP_2) | instskip(SKIP_1) | instid1(VALU_DEP_2)
	v_lshrrev_b32_e32 v0, 2, v86
	v_and_b32_e32 v88, 3, v86
	v_add_nc_u32_e32 v8, v0, v87
	s_delay_alu instid0(VALU_DEP_2) | instskip(SKIP_1) | instid1(SALU_CYCLE_1)
	v_lshlrev_b32_e32 v9, 3, v88
	s_add_i32 s4, s13, -1
	s_ashr_i32 s5, s4, 31
	s_delay_alu instid0(SALU_CYCLE_1) | instskip(NEXT) | instid1(SALU_CYCLE_1)
	s_lshr_b32 s5, s5, 25
	s_add_i32 s4, s4, s5
	s_delay_alu instid0(SALU_CYCLE_1) | instskip(NEXT) | instid1(SALU_CYCLE_1)
	s_ashr_i32 s4, s4, 7
	s_add_i32 s5, s4, 1
	s_not_b32 s4, s4
	v_cvt_f32_u32_e32 v3, s5
	s_delay_alu instid0(VALU_DEP_1)
	v_rcp_iflag_f32_e32 v3, v3
	s_waitcnt_depctr 0xfff
	v_mul_f32_e32 v3, 0x4f7ffffe, v3
	s_clause 0xe
	scratch_store_b64 off, v[1:2], off
	scratch_store_b64 off, v[1:2], off offset:8
	scratch_store_b64 off, v[1:2], off offset:16
	scratch_store_b64 off, v[1:2], off offset:24
	scratch_store_b64 off, v[1:2], off offset:32
	scratch_store_b64 off, v[1:2], off offset:40
	scratch_store_b64 off, v[1:2], off offset:48
	scratch_store_b64 off, v[1:2], off offset:56
	scratch_store_b64 off, v[1:2], off offset:64
	scratch_store_b64 off, v[1:2], off offset:72
	scratch_store_b64 off, v[1:2], off offset:80
	scratch_store_b64 off, v[1:2], off offset:88
	scratch_store_b64 off, v[1:2], off offset:96
	scratch_store_b64 off, v[1:2], off offset:104
	scratch_store_b64 off, v[1:2], off offset:112
	v_cvt_u32_f32_e32 v3, v3
	s_clause 0xe
	scratch_store_b64 off, v[1:2], off offset:120
	scratch_store_b64 off, v[1:2], off offset:128
	;; [unrolled: 1-line block ×15, first 2 shown]
	v_readfirstlane_b32 s13, v3
	s_clause 0xd
	scratch_store_b64 off, v[1:2], off offset:240
	scratch_store_b64 off, v[1:2], off offset:248
	;; [unrolled: 1-line block ×14, first 2 shown]
	s_mul_i32 s4, s4, s13
	s_clause 0x3
	scratch_store_b64 off, v[1:2], off offset:352
	scratch_store_b64 off, v[1:2], off offset:360
	;; [unrolled: 1-line block ×4, first 2 shown]
	s_mul_hi_u32 s4, s13, s4
	s_clause 0x1
	scratch_store_b64 off, v[1:2], off offset:384
	scratch_store_b64 off, v[1:2], off offset:392
	s_add_i32 s13, s13, s4
	s_clause 0x7
	scratch_store_b64 off, v[1:2], off offset:400
	scratch_store_b64 off, v[1:2], off offset:408
	;; [unrolled: 1-line block ×8, first 2 shown]
	s_mul_hi_u32 s4, s14, s13
	s_clause 0x2
	scratch_store_b64 off, v[1:2], off offset:464
	scratch_store_b64 off, v[1:2], off offset:472
	;; [unrolled: 1-line block ×3, first 2 shown]
	s_mul_i32 s13, s4, s5
	s_add_i32 s15, s4, 1
	s_sub_i32 s13, s14, s13
	scratch_store_b64 off, v[1:2], off offset:488
	s_sub_i32 s16, s13, s5
	s_cmp_ge_u32 s13, s5
	s_clause 0x1
	scratch_store_b64 off, v[1:2], off offset:496
	scratch_store_b64 off, v[1:2], off offset:504
	s_cselect_b32 s4, s15, s4
	s_cselect_b32 s13, s16, s13
	s_add_i32 s15, s4, 1
	s_cmp_ge_u32 s13, s5
	s_cselect_b32 s4, s15, s4
	s_and_b32 vcc_lo, exec_lo, s2
	s_mul_i32 s5, s4, s5
	s_delay_alu instid0(SALU_CYCLE_1) | instskip(NEXT) | instid1(SALU_CYCLE_1)
	s_sub_i32 s5, s14, s5
	s_lshl_b32 s13, s5, 7
	s_delay_alu instid0(SALU_CYCLE_1) | instskip(NEXT) | instid1(VALU_DEP_1)
	v_add_nc_u32_e32 v76, s13, v8
	v_add_nc_u32_e32 v77, 64, v76
	s_cbranch_vccnz .LBB186_8
; %bb.7:
	v_mad_i64_i32 v[0:1], null, v76, s3, 0
	s_delay_alu instid0(VALU_DEP_2) | instskip(SKIP_1) | instid1(VALU_DEP_1)
	v_mad_i64_i32 v[2:3], null, v77, s3, 0
	v_add_co_u32 v4, s5, s22, v9
	v_add_co_ci_u32_e64 v5, null, s23, 0, s5
	s_delay_alu instid0(VALU_DEP_4) | instskip(NEXT) | instid1(VALU_DEP_4)
	v_lshlrev_b64 v[0:1], 3, v[0:1]
	v_lshlrev_b64 v[2:3], 3, v[2:3]
	s_delay_alu instid0(VALU_DEP_2) | instskip(NEXT) | instid1(VALU_DEP_3)
	v_add_co_u32 v0, vcc_lo, v4, v0
	v_add_co_ci_u32_e32 v1, vcc_lo, v5, v1, vcc_lo
	s_delay_alu instid0(VALU_DEP_3) | instskip(NEXT) | instid1(VALU_DEP_4)
	v_add_co_u32 v2, vcc_lo, v4, v2
	v_add_co_ci_u32_e32 v3, vcc_lo, v5, v3, vcc_lo
	s_clause 0x1
	flat_load_b64 v[0:1], v[0:1]
	flat_load_b64 v[2:3], v[2:3]
	s_waitcnt vmcnt(1) lgkmcnt(1)
	v_mul_f64 v[0:1], s[20:21], v[0:1]
	s_waitcnt vmcnt(0) lgkmcnt(0)
	v_mul_f64 v[2:3], s[20:21], v[2:3]
	s_branch .LBB186_9
.LBB186_8:
	v_mov_b32_e32 v0, 0
	v_dual_mov_b32 v1, 0 :: v_dual_mov_b32 v2, 0
	v_mov_b32_e32 v3, 0
.LBB186_9:
	s_load_b32 s17, s[0:1], 0x38
	s_lshl_b32 s14, s4, 7
	s_and_b32 vcc_lo, exec_lo, s2
	v_add_nc_u32_e32 v79, s14, v8
	s_delay_alu instid0(VALU_DEP_1)
	v_add_nc_u32_e32 v78, 64, v79
	s_cbranch_vccnz .LBB186_13
; %bb.10:
	s_waitcnt lgkmcnt(0)
	v_mad_i64_i32 v[4:5], null, v79, s17, 0
	s_delay_alu instid0(VALU_DEP_2) | instskip(SKIP_1) | instid1(VALU_DEP_1)
	v_mad_i64_i32 v[6:7], null, v78, s17, 0
	v_add_co_u32 v10, s4, s18, v9
	v_add_co_ci_u32_e64 v11, null, s19, 0, s4
	s_delay_alu instid0(VALU_DEP_4) | instskip(NEXT) | instid1(VALU_DEP_4)
	v_lshlrev_b64 v[4:5], 3, v[4:5]
	v_lshlrev_b64 v[6:7], 3, v[6:7]
	s_delay_alu instid0(VALU_DEP_2) | instskip(NEXT) | instid1(VALU_DEP_3)
	v_add_co_u32 v4, vcc_lo, v10, v4
	v_add_co_ci_u32_e32 v5, vcc_lo, v11, v5, vcc_lo
	s_delay_alu instid0(VALU_DEP_3) | instskip(NEXT) | instid1(VALU_DEP_4)
	v_add_co_u32 v6, vcc_lo, v10, v6
	v_add_co_ci_u32_e32 v7, vcc_lo, v11, v7, vcc_lo
	s_clause 0x1
	flat_load_b64 v[4:5], v[4:5]
	flat_load_b64 v[6:7], v[6:7]
	s_waitcnt vmcnt(1) lgkmcnt(1)
	v_mul_f64 v[4:5], s[20:21], v[4:5]
	s_waitcnt vmcnt(0) lgkmcnt(0)
	v_mul_f64 v[6:7], s[20:21], v[6:7]
	s_and_b32 vcc_lo, exec_lo, s2
	s_cbranch_vccnz .LBB186_14
.LBB186_11:
	v_mad_i64_i32 v[10:11], null, v76, s3, 0
	v_mad_i64_i32 v[12:13], null, v77, s3, 0
	v_add_co_u32 v14, s4, s22, v9
	s_delay_alu instid0(VALU_DEP_1) | instskip(NEXT) | instid1(VALU_DEP_4)
	v_add_co_ci_u32_e64 v15, null, s23, 0, s4
	v_lshlrev_b64 v[10:11], 3, v[10:11]
	s_delay_alu instid0(VALU_DEP_4) | instskip(NEXT) | instid1(VALU_DEP_2)
	v_lshlrev_b64 v[12:13], 3, v[12:13]
	v_add_co_u32 v10, vcc_lo, v14, v10
	s_delay_alu instid0(VALU_DEP_3) | instskip(NEXT) | instid1(VALU_DEP_3)
	v_add_co_ci_u32_e32 v11, vcc_lo, v15, v11, vcc_lo
	v_add_co_u32 v12, vcc_lo, v14, v12
	s_delay_alu instid0(VALU_DEP_4)
	v_add_co_ci_u32_e32 v13, vcc_lo, v15, v13, vcc_lo
	s_clause 0x1
	flat_load_b64 v[10:11], v[10:11] offset:32
	flat_load_b64 v[12:13], v[12:13] offset:32
	s_waitcnt vmcnt(1) lgkmcnt(0)
	v_mul_f64 v[68:69], s[20:21], v[10:11]
	s_waitcnt vmcnt(0)
	v_mul_f64 v[70:71], s[20:21], v[12:13]
	s_and_b32 vcc_lo, exec_lo, s2
	s_mov_b64 s[4:5], 0
	s_cbranch_vccnz .LBB186_15
.LBB186_12:
	s_waitcnt lgkmcnt(0)
	v_mad_i64_i32 v[10:11], null, v79, s17, 0
	v_mad_i64_i32 v[12:13], null, v78, s17, 0
	v_add_co_u32 v14, s5, s18, v9
	s_delay_alu instid0(VALU_DEP_1) | instskip(NEXT) | instid1(VALU_DEP_4)
	v_add_co_ci_u32_e64 v15, null, s19, 0, s5
	v_lshlrev_b64 v[10:11], 3, v[10:11]
	s_delay_alu instid0(VALU_DEP_4) | instskip(NEXT) | instid1(VALU_DEP_2)
	v_lshlrev_b64 v[12:13], 3, v[12:13]
	v_add_co_u32 v10, vcc_lo, v14, v10
	s_delay_alu instid0(VALU_DEP_3) | instskip(NEXT) | instid1(VALU_DEP_3)
	v_add_co_ci_u32_e32 v11, vcc_lo, v15, v11, vcc_lo
	v_add_co_u32 v12, vcc_lo, v14, v12
	s_delay_alu instid0(VALU_DEP_4)
	v_add_co_ci_u32_e32 v13, vcc_lo, v15, v13, vcc_lo
	s_clause 0x1
	flat_load_b64 v[10:11], v[10:11] offset:32
	flat_load_b64 v[12:13], v[12:13] offset:32
	s_waitcnt vmcnt(1) lgkmcnt(1)
	v_mul_f64 v[72:73], s[20:21], v[10:11]
	s_waitcnt vmcnt(0) lgkmcnt(0)
	v_mul_f64 v[74:75], s[20:21], v[12:13]
	s_branch .LBB186_16
.LBB186_13:
	v_mov_b32_e32 v4, 0
	v_dual_mov_b32 v5, 0 :: v_dual_mov_b32 v6, 0
	v_mov_b32_e32 v7, 0
	s_and_b32 vcc_lo, exec_lo, s2
	s_cbranch_vccz .LBB186_11
.LBB186_14:
	v_mov_b32_e32 v68, 0
	v_dual_mov_b32 v69, 0 :: v_dual_mov_b32 v70, 0
	v_mov_b32_e32 v71, 0
	s_and_b32 vcc_lo, exec_lo, s2
	s_mov_b64 s[4:5], 0
	s_cbranch_vccz .LBB186_12
.LBB186_15:
	v_mov_b32_e32 v72, 0
	v_dual_mov_b32 v73, 0 :: v_dual_mov_b32 v74, 0
	v_mov_b32_e32 v75, 0
.LBB186_16:
	v_cmp_neq_f64_e64 s15, s[8:9], 0
	v_dual_mov_b32 v80, 0 :: v_dual_lshlrev_b32 v89, 5, v86
	v_lshl_or_b32 v90, v8, 5, v9
	v_dual_mov_b32 v82, 16 :: v_dual_lshlrev_b32 v91, 5, v87
	s_delay_alu instid0(VALU_DEP_3)
	v_dual_mov_b32 v83, 24 :: v_dual_add_nc_u32 v52, 0x800, v89
	ds_store_2addr_stride64_b64 v90, v[0:1], v[2:3] offset1:4
	ds_store_2addr_stride64_b64 v90, v[4:5], v[6:7] offset0:16 offset1:20
	s_waitcnt lgkmcnt(0)
	s_waitcnt_vscnt null, 0x0
	s_barrier
	buffer_gl0_inv
	ds_load_2addr_b64 v[0:3], v89 offset1:16
	ds_load_2addr_b64 v[4:7], v89 offset0:32 offset1:48
	ds_load_2addr_b64 v[8:11], v89 offset0:64 offset1:80
	ds_load_2addr_b64 v[12:15], v89 offset0:96 offset1:112
	ds_load_2addr_b64 v[16:19], v89 offset0:128 offset1:144
	ds_load_2addr_b64 v[20:23], v89 offset0:160 offset1:176
	ds_load_2addr_b64 v[24:27], v52 offset1:16
	ds_load_2addr_b64 v[28:31], v52 offset0:32 offset1:48
	ds_load_2addr_b64 v[32:35], v52 offset0:64 offset1:80
	;; [unrolled: 1-line block ×9, first 2 shown]
	ds_load_2addr_stride64_b64 v[64:67], v91 offset0:16 offset1:20
	v_dual_mov_b32 v81, 8 :: v_dual_add_nc_u32 v92, 0x2000, v90
	v_dual_mov_b32 v84, 32 :: v_dual_add_nc_u32 v93, 0x2000, v91
	v_dual_mov_b32 v85, 40 :: v_dual_mov_b32 v94, 48
	v_dual_mov_b32 v95, 56 :: v_dual_mov_b32 v96, 64
	v_mov_b32_e32 v97, 0x48
	v_mov_b32_e32 v98, 0x50
	;; [unrolled: 1-line block ×23, first 2 shown]
	s_mov_b32 s16, -1
.LBB186_17:                             ; =>This Inner Loop Header: Depth=1
	scratch_load_b64 v[120:121], v80, off
	scratch_load_b64 v[122:123], v81, off
	;; [unrolled: 1-line block ×32, first 2 shown]
	s_cmp_eq_u32 s4, 1
	s_waitcnt lgkmcnt(16)
	v_max_f64 v[186:187], v[0:1], v[0:1]
	s_cselect_b32 vcc_lo, -1, 0
	v_max_f64 v[188:189], v[2:3], v[2:3]
	s_waitcnt lgkmcnt(0)
	v_dual_cndmask_b32 v185, v65, v67 :: v_dual_cndmask_b32 v184, v64, v66
	v_max_f64 v[190:191], v[4:5], v[4:5]
	v_max_f64 v[192:193], v[6:7], v[6:7]
	;; [unrolled: 1-line block ×31, first 2 shown]
	s_mov_b64 s[4:5], 1
	s_and_b32 vcc_lo, exec_lo, s16
	s_mov_b32 s16, 0
	v_min_f64 v[186:187], v[186:187], v[184:185]
	v_min_f64 v[188:189], v[188:189], v[184:185]
	;; [unrolled: 1-line block ×32, first 2 shown]
	s_waitcnt vmcnt(31)
	v_add_f64 v[120:121], v[120:121], v[186:187]
	s_waitcnt vmcnt(30)
	v_add_f64 v[122:123], v[188:189], v[122:123]
	;; [unrolled: 2-line block ×32, first 2 shown]
	scratch_store_b64 v80, v[120:121], off
	scratch_store_b64 v81, v[122:123], off
	;; [unrolled: 1-line block ×32, first 2 shown]
	v_mov_b32_e32 v80, 0x100
	v_mov_b32_e32 v81, 0x108
	;; [unrolled: 1-line block ×32, first 2 shown]
	s_cbranch_vccnz .LBB186_17
; %bb.18:
	v_dual_mov_b32 v81, 8 :: v_dual_add_nc_u32 v60, 0x800, v89
	ds_load_2addr_b64 v[0:3], v89 offset0:1 offset1:17
	ds_load_2addr_b64 v[4:7], v89 offset0:33 offset1:49
	;; [unrolled: 1-line block ×12, first 2 shown]
	v_dual_mov_b32 v83, 24 :: v_dual_add_nc_u32 v64, 8, v93
	ds_load_2addr_b64 v[48:51], v60 offset0:129 offset1:145
	ds_load_2addr_b64 v[52:55], v60 offset0:161 offset1:177
	;; [unrolled: 1-line block ×4, first 2 shown]
	ds_load_2addr_stride64_b64 v[64:67], v64 offset1:4
	v_dual_mov_b32 v80, 0 :: v_dual_mov_b32 v85, 40
	v_dual_mov_b32 v82, 16 :: v_dual_mov_b32 v95, 56
	;; [unrolled: 1-line block ×5, first 2 shown]
	v_mov_b32_e32 v98, 0x50
	v_mov_b32_e32 v100, 0x60
	;; [unrolled: 1-line block ×20, first 2 shown]
	s_mov_b64 s[4:5], 0
	s_mov_b32 s16, -1
.LBB186_19:                             ; =>This Inner Loop Header: Depth=1
	scratch_load_b64 v[120:121], v80, off
	scratch_load_b64 v[122:123], v81, off
	scratch_load_b64 v[124:125], v82, off
	scratch_load_b64 v[126:127], v83, off
	scratch_load_b64 v[128:129], v84, off
	scratch_load_b64 v[130:131], v85, off
	scratch_load_b64 v[132:133], v94, off
	scratch_load_b64 v[134:135], v95, off
	scratch_load_b64 v[136:137], v96, off
	scratch_load_b64 v[138:139], v97, off
	scratch_load_b64 v[140:141], v98, off
	scratch_load_b64 v[142:143], v99, off
	scratch_load_b64 v[144:145], v100, off
	scratch_load_b64 v[146:147], v101, off
	scratch_load_b64 v[148:149], v102, off
	scratch_load_b64 v[150:151], v103, off
	scratch_load_b64 v[152:153], v104, off
	scratch_load_b64 v[154:155], v105, off
	scratch_load_b64 v[156:157], v106, off
	scratch_load_b64 v[158:159], v107, off
	scratch_load_b64 v[160:161], v108, off
	scratch_load_b64 v[162:163], v109, off
	scratch_load_b64 v[164:165], v110, off
	scratch_load_b64 v[166:167], v111, off
	scratch_load_b64 v[168:169], v112, off
	scratch_load_b64 v[170:171], v113, off
	scratch_load_b64 v[172:173], v114, off
	scratch_load_b64 v[174:175], v115, off
	scratch_load_b64 v[176:177], v116, off
	scratch_load_b64 v[178:179], v117, off
	scratch_load_b64 v[180:181], v118, off
	scratch_load_b64 v[182:183], v119, off
	s_cmp_eq_u32 s4, 1
	s_waitcnt lgkmcnt(16)
	v_max_f64 v[186:187], v[0:1], v[0:1]
	s_cselect_b32 vcc_lo, -1, 0
	v_max_f64 v[188:189], v[2:3], v[2:3]
	s_waitcnt lgkmcnt(0)
	v_dual_cndmask_b32 v185, v65, v67 :: v_dual_cndmask_b32 v184, v64, v66
	v_max_f64 v[190:191], v[4:5], v[4:5]
	v_max_f64 v[192:193], v[6:7], v[6:7]
	;; [unrolled: 1-line block ×31, first 2 shown]
	s_mov_b64 s[4:5], 1
	s_and_b32 vcc_lo, exec_lo, s16
	s_mov_b32 s16, 0
	v_min_f64 v[186:187], v[186:187], v[184:185]
	v_min_f64 v[188:189], v[188:189], v[184:185]
	;; [unrolled: 1-line block ×32, first 2 shown]
	s_waitcnt vmcnt(31)
	v_add_f64 v[120:121], v[120:121], v[186:187]
	s_waitcnt vmcnt(30)
	v_add_f64 v[122:123], v[188:189], v[122:123]
	;; [unrolled: 2-line block ×32, first 2 shown]
	scratch_store_b64 v80, v[120:121], off
	scratch_store_b64 v81, v[122:123], off
	;; [unrolled: 1-line block ×32, first 2 shown]
	v_mov_b32_e32 v80, 0x100
	v_mov_b32_e32 v81, 0x108
	;; [unrolled: 1-line block ×32, first 2 shown]
	s_cbranch_vccnz .LBB186_19
; %bb.20:
	v_dual_mov_b32 v81, 8 :: v_dual_add_nc_u32 v60, 0x800, v89
	ds_load_2addr_b64 v[0:3], v89 offset0:2 offset1:18
	ds_load_2addr_b64 v[4:7], v89 offset0:34 offset1:50
	;; [unrolled: 1-line block ×12, first 2 shown]
	v_dual_mov_b32 v83, 24 :: v_dual_add_nc_u32 v64, 16, v93
	ds_load_2addr_b64 v[48:51], v60 offset0:130 offset1:146
	ds_load_2addr_b64 v[52:55], v60 offset0:162 offset1:178
	;; [unrolled: 1-line block ×4, first 2 shown]
	ds_load_2addr_stride64_b64 v[64:67], v64 offset1:4
	v_dual_mov_b32 v80, 0 :: v_dual_mov_b32 v85, 40
	v_dual_mov_b32 v82, 16 :: v_dual_mov_b32 v95, 56
	;; [unrolled: 1-line block ×5, first 2 shown]
	v_mov_b32_e32 v98, 0x50
	v_mov_b32_e32 v100, 0x60
	;; [unrolled: 1-line block ×20, first 2 shown]
	s_mov_b64 s[4:5], 0
	s_mov_b32 s16, -1
.LBB186_21:                             ; =>This Inner Loop Header: Depth=1
	scratch_load_b64 v[120:121], v80, off
	scratch_load_b64 v[122:123], v81, off
	;; [unrolled: 1-line block ×32, first 2 shown]
	s_cmp_eq_u32 s4, 1
	s_waitcnt lgkmcnt(16)
	v_max_f64 v[186:187], v[0:1], v[0:1]
	s_cselect_b32 vcc_lo, -1, 0
	v_max_f64 v[188:189], v[2:3], v[2:3]
	s_waitcnt lgkmcnt(0)
	v_dual_cndmask_b32 v185, v65, v67 :: v_dual_cndmask_b32 v184, v64, v66
	v_max_f64 v[190:191], v[4:5], v[4:5]
	v_max_f64 v[192:193], v[6:7], v[6:7]
	v_max_f64 v[194:195], v[8:9], v[8:9]
	v_max_f64 v[196:197], v[10:11], v[10:11]
	v_max_f64 v[184:185], v[184:185], v[184:185]
	v_max_f64 v[198:199], v[12:13], v[12:13]
	v_max_f64 v[200:201], v[14:15], v[14:15]
	v_max_f64 v[202:203], v[16:17], v[16:17]
	v_max_f64 v[204:205], v[18:19], v[18:19]
	v_max_f64 v[206:207], v[20:21], v[20:21]
	v_max_f64 v[208:209], v[22:23], v[22:23]
	v_max_f64 v[210:211], v[24:25], v[24:25]
	v_max_f64 v[212:213], v[26:27], v[26:27]
	v_max_f64 v[214:215], v[28:29], v[28:29]
	v_max_f64 v[216:217], v[30:31], v[30:31]
	v_max_f64 v[218:219], v[32:33], v[32:33]
	v_max_f64 v[220:221], v[34:35], v[34:35]
	v_max_f64 v[222:223], v[36:37], v[36:37]
	v_max_f64 v[224:225], v[38:39], v[38:39]
	v_max_f64 v[226:227], v[40:41], v[40:41]
	v_max_f64 v[228:229], v[42:43], v[42:43]
	v_max_f64 v[230:231], v[44:45], v[44:45]
	v_max_f64 v[232:233], v[46:47], v[46:47]
	v_max_f64 v[234:235], v[48:49], v[48:49]
	v_max_f64 v[236:237], v[50:51], v[50:51]
	v_max_f64 v[238:239], v[52:53], v[52:53]
	v_max_f64 v[240:241], v[54:55], v[54:55]
	v_max_f64 v[242:243], v[56:57], v[56:57]
	v_max_f64 v[244:245], v[58:59], v[58:59]
	v_max_f64 v[246:247], v[60:61], v[60:61]
	v_max_f64 v[248:249], v[62:63], v[62:63]
	s_mov_b64 s[4:5], 1
	s_and_b32 vcc_lo, exec_lo, s16
	s_mov_b32 s16, 0
	v_min_f64 v[186:187], v[186:187], v[184:185]
	v_min_f64 v[188:189], v[188:189], v[184:185]
	;; [unrolled: 1-line block ×32, first 2 shown]
	s_waitcnt vmcnt(31)
	v_add_f64 v[120:121], v[120:121], v[186:187]
	s_waitcnt vmcnt(30)
	v_add_f64 v[122:123], v[188:189], v[122:123]
	;; [unrolled: 2-line block ×32, first 2 shown]
	scratch_store_b64 v80, v[120:121], off
	scratch_store_b64 v81, v[122:123], off
	;; [unrolled: 1-line block ×32, first 2 shown]
	v_mov_b32_e32 v80, 0x100
	v_mov_b32_e32 v81, 0x108
	v_mov_b32_e32 v82, 0x110
	v_mov_b32_e32 v83, 0x118
	v_mov_b32_e32 v84, 0x120
	v_mov_b32_e32 v85, 0x128
	v_mov_b32_e32 v94, 0x130
	v_mov_b32_e32 v95, 0x138
	v_mov_b32_e32 v96, 0x140
	v_mov_b32_e32 v97, 0x148
	v_mov_b32_e32 v98, 0x150
	v_mov_b32_e32 v99, 0x158
	v_mov_b32_e32 v100, 0x160
	v_mov_b32_e32 v101, 0x168
	v_mov_b32_e32 v102, 0x170
	v_mov_b32_e32 v103, 0x178
	v_mov_b32_e32 v104, 0x180
	v_mov_b32_e32 v105, 0x188
	v_mov_b32_e32 v106, 0x190
	v_mov_b32_e32 v107, 0x198
	v_mov_b32_e32 v108, 0x1a0
	v_mov_b32_e32 v109, 0x1a8
	v_mov_b32_e32 v110, 0x1b0
	v_mov_b32_e32 v111, 0x1b8
	v_mov_b32_e32 v112, 0x1c0
	v_mov_b32_e32 v113, 0x1c8
	v_mov_b32_e32 v114, 0x1d0
	v_mov_b32_e32 v115, 0x1d8
	v_mov_b32_e32 v116, 0x1e0
	v_mov_b32_e32 v117, 0x1e8
	v_mov_b32_e32 v118, 0x1f0
	v_mov_b32_e32 v119, 0x1f8
	s_cbranch_vccnz .LBB186_21
; %bb.22:
	v_dual_mov_b32 v81, 8 :: v_dual_add_nc_u32 v60, 0x800, v89
	ds_load_2addr_b64 v[0:3], v89 offset0:3 offset1:19
	ds_load_2addr_b64 v[4:7], v89 offset0:35 offset1:51
	;; [unrolled: 1-line block ×12, first 2 shown]
	v_dual_mov_b32 v83, 24 :: v_dual_add_nc_u32 v64, 24, v93
	ds_load_2addr_b64 v[48:51], v60 offset0:131 offset1:147
	ds_load_2addr_b64 v[52:55], v60 offset0:163 offset1:179
	;; [unrolled: 1-line block ×4, first 2 shown]
	ds_load_2addr_stride64_b64 v[64:67], v64 offset1:4
	v_dual_mov_b32 v80, 0 :: v_dual_mov_b32 v85, 40
	v_dual_mov_b32 v82, 16 :: v_dual_mov_b32 v95, 56
	v_dual_mov_b32 v84, 32 :: v_dual_mov_b32 v97, 0x48
	v_dual_mov_b32 v94, 48 :: v_dual_mov_b32 v99, 0x58
	v_dual_mov_b32 v96, 64 :: v_dual_mov_b32 v101, 0x68
	v_mov_b32_e32 v98, 0x50
	v_mov_b32_e32 v100, 0x60
	;; [unrolled: 1-line block ×20, first 2 shown]
	s_mov_b64 s[4:5], 0
	s_mov_b32 s16, -1
.LBB186_23:                             ; =>This Inner Loop Header: Depth=1
	scratch_load_b64 v[120:121], v80, off
	scratch_load_b64 v[122:123], v81, off
	scratch_load_b64 v[124:125], v82, off
	scratch_load_b64 v[126:127], v83, off
	scratch_load_b64 v[128:129], v84, off
	scratch_load_b64 v[130:131], v85, off
	scratch_load_b64 v[132:133], v94, off
	scratch_load_b64 v[134:135], v95, off
	scratch_load_b64 v[136:137], v96, off
	scratch_load_b64 v[138:139], v97, off
	scratch_load_b64 v[140:141], v98, off
	scratch_load_b64 v[142:143], v99, off
	scratch_load_b64 v[144:145], v100, off
	scratch_load_b64 v[146:147], v101, off
	scratch_load_b64 v[148:149], v102, off
	scratch_load_b64 v[150:151], v103, off
	scratch_load_b64 v[152:153], v104, off
	scratch_load_b64 v[154:155], v105, off
	scratch_load_b64 v[156:157], v106, off
	scratch_load_b64 v[158:159], v107, off
	scratch_load_b64 v[160:161], v108, off
	scratch_load_b64 v[162:163], v109, off
	scratch_load_b64 v[164:165], v110, off
	scratch_load_b64 v[166:167], v111, off
	scratch_load_b64 v[168:169], v112, off
	scratch_load_b64 v[170:171], v113, off
	scratch_load_b64 v[172:173], v114, off
	scratch_load_b64 v[174:175], v115, off
	scratch_load_b64 v[176:177], v116, off
	scratch_load_b64 v[178:179], v117, off
	scratch_load_b64 v[180:181], v118, off
	scratch_load_b64 v[182:183], v119, off
	s_cmp_eq_u32 s4, 1
	s_waitcnt lgkmcnt(16)
	v_max_f64 v[186:187], v[0:1], v[0:1]
	s_cselect_b32 vcc_lo, -1, 0
	v_max_f64 v[188:189], v[2:3], v[2:3]
	s_waitcnt lgkmcnt(0)
	v_dual_cndmask_b32 v185, v65, v67 :: v_dual_cndmask_b32 v184, v64, v66
	v_max_f64 v[190:191], v[4:5], v[4:5]
	v_max_f64 v[192:193], v[6:7], v[6:7]
	;; [unrolled: 1-line block ×31, first 2 shown]
	s_mov_b64 s[4:5], 1
	s_and_b32 vcc_lo, exec_lo, s16
	s_mov_b32 s16, 0
	v_min_f64 v[186:187], v[186:187], v[184:185]
	v_min_f64 v[188:189], v[188:189], v[184:185]
	;; [unrolled: 1-line block ×32, first 2 shown]
	s_waitcnt vmcnt(31)
	v_add_f64 v[120:121], v[120:121], v[186:187]
	s_waitcnt vmcnt(30)
	v_add_f64 v[122:123], v[188:189], v[122:123]
	;; [unrolled: 2-line block ×32, first 2 shown]
	scratch_store_b64 v80, v[120:121], off
	scratch_store_b64 v81, v[122:123], off
	;; [unrolled: 1-line block ×32, first 2 shown]
	v_mov_b32_e32 v80, 0x100
	v_mov_b32_e32 v81, 0x108
	;; [unrolled: 1-line block ×32, first 2 shown]
	s_cbranch_vccnz .LBB186_23
; %bb.24:
	s_load_b32 s4, s[0:1], 0x8
	s_mov_b32 s16, 8
	ds_store_2addr_stride64_b64 v90, v[68:69], v[70:71] offset0:8 offset1:12
	ds_store_2addr_stride64_b64 v90, v[72:73], v[74:75] offset0:24 offset1:28
	s_waitcnt lgkmcnt(0)
	s_waitcnt_vscnt null, 0x0
	s_barrier
	buffer_gl0_inv
	s_cmp_gt_i32 s4, 8
	s_cbranch_scc0 .LBB186_53
; %bb.25:
	v_mad_i64_i32 v[0:1], null, v76, s3, 0
	v_mad_i64_i32 v[2:3], null, v77, s3, 0
	;; [unrolled: 1-line block ×4, first 2 shown]
	v_lshl_add_u32 v96, v86, 5, 0x1000
	v_lshlrev_b64 v[70:71], 3, v[0:1]
	v_lshlrev_b64 v[72:73], 3, v[2:3]
	v_dual_mov_b32 v69, 0 :: v_dual_add_nc_u32 v94, 0x1000, v90
	v_lshlrev_b64 v[74:75], 3, v[4:5]
	v_lshlrev_b64 v[76:77], 3, v[6:7]
	v_add_nc_u32_e32 v95, 0x3000, v90
	v_lshl_add_u32 v97, v87, 5, 0x3000
	v_add_nc_u32_e32 v98, 0x800, v96
	s_add_i32 s17, s4, -8
	s_mov_b32 s24, 0
	s_and_b32 s3, exec_lo, s26
.LBB186_26:                             ; =>This Loop Header: Depth=1
                                        ;     Child Loop BB186_32 Depth 2
                                        ;     Child Loop BB186_34 Depth 2
	;; [unrolled: 1-line block ×8, first 2 shown]
	v_or_b32_e32 v68, s16, v88
	s_and_b32 vcc_lo, exec_lo, s2
	s_cbranch_vccnz .LBB186_29
; %bb.27:                               ;   in Loop: Header=BB186_26 Depth=1
	s_delay_alu instid0(VALU_DEP_1) | instskip(NEXT) | instid1(VALU_DEP_1)
	v_lshlrev_b64 v[0:1], 3, v[68:69]
	v_add_co_u32 v2, vcc_lo, s22, v0
	s_delay_alu instid0(VALU_DEP_2) | instskip(NEXT) | instid1(VALU_DEP_2)
	v_add_co_ci_u32_e32 v3, vcc_lo, s23, v1, vcc_lo
	v_add_co_u32 v0, vcc_lo, v2, v70
	s_delay_alu instid0(VALU_DEP_2)
	v_add_co_ci_u32_e32 v1, vcc_lo, v3, v71, vcc_lo
	v_add_co_u32 v2, vcc_lo, v2, v72
	v_add_co_ci_u32_e32 v3, vcc_lo, v3, v73, vcc_lo
	s_clause 0x1
	flat_load_b64 v[0:1], v[0:1]
	flat_load_b64 v[2:3], v[2:3]
	s_waitcnt vmcnt(1) lgkmcnt(1)
	v_mul_f64 v[78:79], s[20:21], v[0:1]
	s_waitcnt vmcnt(0) lgkmcnt(0)
	v_mul_f64 v[80:81], s[20:21], v[2:3]
	s_and_b32 vcc_lo, exec_lo, s2
	s_mov_b64 s[4:5], 0
	s_cbranch_vccnz .LBB186_30
.LBB186_28:                             ;   in Loop: Header=BB186_26 Depth=1
	v_lshlrev_b64 v[0:1], 3, v[68:69]
	s_delay_alu instid0(VALU_DEP_1) | instskip(NEXT) | instid1(VALU_DEP_2)
	v_add_co_u32 v2, vcc_lo, s18, v0
	v_add_co_ci_u32_e32 v3, vcc_lo, s19, v1, vcc_lo
	s_delay_alu instid0(VALU_DEP_2) | instskip(NEXT) | instid1(VALU_DEP_2)
	v_add_co_u32 v0, vcc_lo, v2, v74
	v_add_co_ci_u32_e32 v1, vcc_lo, v3, v75, vcc_lo
	v_add_co_u32 v2, vcc_lo, v2, v76
	v_add_co_ci_u32_e32 v3, vcc_lo, v3, v77, vcc_lo
	s_clause 0x1
	flat_load_b64 v[0:1], v[0:1]
	flat_load_b64 v[2:3], v[2:3]
	s_waitcnt vmcnt(1) lgkmcnt(1)
	v_mul_f64 v[82:83], s[20:21], v[0:1]
	s_waitcnt vmcnt(0) lgkmcnt(0)
	v_mul_f64 v[84:85], s[20:21], v[2:3]
	s_branch .LBB186_31
.LBB186_29:                             ;   in Loop: Header=BB186_26 Depth=1
	v_mov_b32_e32 v78, 0
	v_dual_mov_b32 v79, 0 :: v_dual_mov_b32 v80, 0
	v_mov_b32_e32 v81, 0
	s_and_b32 vcc_lo, exec_lo, s2
	s_mov_b64 s[4:5], 0
	s_cbranch_vccz .LBB186_28
.LBB186_30:                             ;   in Loop: Header=BB186_26 Depth=1
	v_mov_b32_e32 v82, 0
	v_dual_mov_b32 v83, 0 :: v_dual_mov_b32 v84, 0
	v_mov_b32_e32 v85, 0
.LBB186_31:                             ;   in Loop: Header=BB186_26 Depth=1
	ds_load_2addr_b64 v[0:3], v96 offset1:16
	ds_load_2addr_b64 v[4:7], v96 offset0:32 offset1:48
	ds_load_2addr_b64 v[8:11], v96 offset0:64 offset1:80
	;; [unrolled: 1-line block ×7, first 2 shown]
	ds_load_2addr_b64 v[32:35], v98 offset1:16
	ds_load_2addr_b64 v[36:39], v98 offset0:32 offset1:48
	ds_load_2addr_b64 v[40:43], v98 offset0:64 offset1:80
	;; [unrolled: 1-line block ×7, first 2 shown]
	ds_load_2addr_stride64_b64 v[64:67], v97 offset1:4
	v_dual_mov_b32 v130, 0 :: v_dual_mov_b32 v129, 8
	v_dual_mov_b32 v128, 16 :: v_dual_mov_b32 v127, 24
	;; [unrolled: 1-line block ×5, first 2 shown]
	v_mov_b32_e32 v120, 0x50
	v_mov_b32_e32 v119, 0x58
	;; [unrolled: 1-line block ×22, first 2 shown]
	s_mov_b32 s25, -1
.LBB186_32:                             ;   Parent Loop BB186_26 Depth=1
                                        ; =>  This Inner Loop Header: Depth=2
	scratch_load_b64 v[135:136], v130, off
	s_cmp_eq_u32 s4, 1
	s_waitcnt lgkmcnt(16)
	v_max_f64 v[133:134], v[0:1], v[0:1]
	s_cselect_b32 vcc_lo, -1, 0
	s_mov_b64 s[4:5], 1
	s_waitcnt lgkmcnt(0)
	v_dual_cndmask_b32 v132, v65, v67 :: v_dual_cndmask_b32 v131, v64, v66
	s_and_b32 vcc_lo, exec_lo, s25
	s_mov_b32 s25, 0
	s_delay_alu instid0(VALU_DEP_1) | instskip(NEXT) | instid1(VALU_DEP_1)
	v_max_f64 v[131:132], v[131:132], v[131:132]
	v_min_f64 v[133:134], v[133:134], v[131:132]
	s_waitcnt vmcnt(0)
	s_delay_alu instid0(VALU_DEP_1) | instskip(SKIP_3) | instid1(VALU_DEP_1)
	v_add_f64 v[133:134], v[135:136], v[133:134]
	scratch_load_b64 v[135:136], v129, off
	scratch_store_b64 v130, v[133:134], off
	v_max_f64 v[133:134], v[2:3], v[2:3]
	v_min_f64 v[133:134], v[133:134], v[131:132]
	s_waitcnt vmcnt(0)
	s_delay_alu instid0(VALU_DEP_1) | instskip(SKIP_3) | instid1(VALU_DEP_1)
	v_add_f64 v[133:134], v[133:134], v[135:136]
	scratch_store_b64 v129, v[133:134], off
	scratch_load_b64 v[133:134], v128, off
	v_max_f64 v[129:130], v[4:5], v[4:5]
	v_min_f64 v[129:130], v[129:130], v[131:132]
	s_waitcnt vmcnt(0)
	s_delay_alu instid0(VALU_DEP_1) | instskip(SKIP_3) | instid1(VALU_DEP_1)
	v_add_f64 v[129:130], v[129:130], v[133:134]
	scratch_load_b64 v[133:134], v127, off
	scratch_store_b64 v128, v[129:130], off
	v_max_f64 v[128:129], v[6:7], v[6:7]
	v_min_f64 v[128:129], v[128:129], v[131:132]
	s_waitcnt vmcnt(0)
	s_delay_alu instid0(VALU_DEP_1) | instskip(SKIP_3) | instid1(VALU_DEP_1)
	v_add_f64 v[128:129], v[128:129], v[133:134]
	scratch_store_b64 v127, v[128:129], off
	scratch_load_b64 v[129:130], v126, off
	v_max_f64 v[127:128], v[8:9], v[8:9]
	v_min_f64 v[127:128], v[127:128], v[131:132]
	s_waitcnt vmcnt(0)
	s_delay_alu instid0(VALU_DEP_1) | instskip(SKIP_4) | instid1(VALU_DEP_1)
	v_add_f64 v[127:128], v[127:128], v[129:130]
	v_mov_b32_e32 v130, 0x100
	scratch_store_b64 v126, v[127:128], off
	scratch_load_b64 v[128:129], v125, off
	v_max_f64 v[126:127], v[10:11], v[10:11]
	v_min_f64 v[126:127], v[126:127], v[131:132]
	s_waitcnt vmcnt(0)
	s_delay_alu instid0(VALU_DEP_1) | instskip(SKIP_4) | instid1(VALU_DEP_1)
	v_add_f64 v[126:127], v[126:127], v[128:129]
	v_mov_b32_e32 v129, 0x108
	;; [unrolled: 8-line block ×27, first 2 shown]
	scratch_store_b64 v100, v[101:102], off
	scratch_load_b64 v[102:103], v99, off
	v_max_f64 v[100:101], v[62:63], v[62:63]
	v_min_f64 v[100:101], v[100:101], v[131:132]
	s_waitcnt vmcnt(0)
	s_delay_alu instid0(VALU_DEP_1)
	v_add_f64 v[100:101], v[100:101], v[102:103]
	v_mov_b32_e32 v103, 0x1d8
	v_mov_b32_e32 v102, 0x1e0
	scratch_store_b64 v99, v[100:101], off
	v_mov_b32_e32 v101, 0x1e8
	v_mov_b32_e32 v100, 0x1f0
	;; [unrolled: 1-line block ×3, first 2 shown]
	s_cbranch_vccnz .LBB186_32
; %bb.33:                               ;   in Loop: Header=BB186_26 Depth=1
	ds_load_2addr_b64 v[0:3], v96 offset0:1 offset1:17
	ds_load_2addr_b64 v[4:7], v96 offset0:33 offset1:49
	;; [unrolled: 1-line block ×12, first 2 shown]
	v_dual_mov_b32 v129, 8 :: v_dual_add_nc_u32 v64, 8, v97
	ds_load_2addr_b64 v[48:51], v98 offset0:129 offset1:145
	ds_load_2addr_b64 v[52:55], v98 offset0:161 offset1:177
	;; [unrolled: 1-line block ×4, first 2 shown]
	ds_load_2addr_stride64_b64 v[64:67], v64 offset1:4
	v_dual_mov_b32 v130, 0 :: v_dual_mov_b32 v127, 24
	v_dual_mov_b32 v128, 16 :: v_dual_mov_b32 v125, 40
	;; [unrolled: 1-line block ×5, first 2 shown]
	v_mov_b32_e32 v120, 0x50
	v_mov_b32_e32 v118, 0x60
	;; [unrolled: 1-line block ×21, first 2 shown]
	s_mov_b64 s[4:5], 0
	s_mov_b32 s25, -1
.LBB186_34:                             ;   Parent Loop BB186_26 Depth=1
                                        ; =>  This Inner Loop Header: Depth=2
	scratch_load_b64 v[135:136], v130, off
	s_cmp_eq_u32 s4, 1
	s_waitcnt lgkmcnt(16)
	v_max_f64 v[133:134], v[0:1], v[0:1]
	s_cselect_b32 vcc_lo, -1, 0
	s_mov_b64 s[4:5], 1
	s_waitcnt lgkmcnt(0)
	v_dual_cndmask_b32 v132, v65, v67 :: v_dual_cndmask_b32 v131, v64, v66
	s_and_b32 vcc_lo, exec_lo, s25
	s_mov_b32 s25, 0
	s_delay_alu instid0(VALU_DEP_1) | instskip(NEXT) | instid1(VALU_DEP_1)
	v_max_f64 v[131:132], v[131:132], v[131:132]
	v_min_f64 v[133:134], v[133:134], v[131:132]
	s_waitcnt vmcnt(0)
	s_delay_alu instid0(VALU_DEP_1) | instskip(SKIP_3) | instid1(VALU_DEP_1)
	v_add_f64 v[133:134], v[135:136], v[133:134]
	scratch_load_b64 v[135:136], v129, off
	scratch_store_b64 v130, v[133:134], off
	v_max_f64 v[133:134], v[2:3], v[2:3]
	v_min_f64 v[133:134], v[133:134], v[131:132]
	s_waitcnt vmcnt(0)
	s_delay_alu instid0(VALU_DEP_1) | instskip(SKIP_3) | instid1(VALU_DEP_1)
	v_add_f64 v[133:134], v[133:134], v[135:136]
	scratch_store_b64 v129, v[133:134], off
	scratch_load_b64 v[133:134], v128, off
	v_max_f64 v[129:130], v[4:5], v[4:5]
	v_min_f64 v[129:130], v[129:130], v[131:132]
	s_waitcnt vmcnt(0)
	s_delay_alu instid0(VALU_DEP_1) | instskip(SKIP_3) | instid1(VALU_DEP_1)
	v_add_f64 v[129:130], v[129:130], v[133:134]
	scratch_load_b64 v[133:134], v127, off
	scratch_store_b64 v128, v[129:130], off
	v_max_f64 v[128:129], v[6:7], v[6:7]
	v_min_f64 v[128:129], v[128:129], v[131:132]
	s_waitcnt vmcnt(0)
	s_delay_alu instid0(VALU_DEP_1) | instskip(SKIP_3) | instid1(VALU_DEP_1)
	v_add_f64 v[128:129], v[128:129], v[133:134]
	scratch_store_b64 v127, v[128:129], off
	scratch_load_b64 v[129:130], v126, off
	v_max_f64 v[127:128], v[8:9], v[8:9]
	v_min_f64 v[127:128], v[127:128], v[131:132]
	s_waitcnt vmcnt(0)
	s_delay_alu instid0(VALU_DEP_1) | instskip(SKIP_4) | instid1(VALU_DEP_1)
	v_add_f64 v[127:128], v[127:128], v[129:130]
	v_mov_b32_e32 v130, 0x100
	scratch_store_b64 v126, v[127:128], off
	scratch_load_b64 v[128:129], v125, off
	v_max_f64 v[126:127], v[10:11], v[10:11]
	v_min_f64 v[126:127], v[126:127], v[131:132]
	s_waitcnt vmcnt(0)
	s_delay_alu instid0(VALU_DEP_1) | instskip(SKIP_4) | instid1(VALU_DEP_1)
	v_add_f64 v[126:127], v[126:127], v[128:129]
	v_mov_b32_e32 v129, 0x108
	;; [unrolled: 8-line block ×27, first 2 shown]
	scratch_store_b64 v100, v[101:102], off
	scratch_load_b64 v[102:103], v99, off
	v_max_f64 v[100:101], v[62:63], v[62:63]
	v_min_f64 v[100:101], v[100:101], v[131:132]
	s_waitcnt vmcnt(0)
	s_delay_alu instid0(VALU_DEP_1)
	v_add_f64 v[100:101], v[100:101], v[102:103]
	v_mov_b32_e32 v103, 0x1d8
	v_mov_b32_e32 v102, 0x1e0
	scratch_store_b64 v99, v[100:101], off
	v_mov_b32_e32 v101, 0x1e8
	v_mov_b32_e32 v100, 0x1f0
	;; [unrolled: 1-line block ×3, first 2 shown]
	s_cbranch_vccnz .LBB186_34
; %bb.35:                               ;   in Loop: Header=BB186_26 Depth=1
	ds_load_2addr_b64 v[0:3], v96 offset0:2 offset1:18
	ds_load_2addr_b64 v[4:7], v96 offset0:34 offset1:50
	;; [unrolled: 1-line block ×12, first 2 shown]
	v_dual_mov_b32 v129, 8 :: v_dual_add_nc_u32 v64, 16, v97
	ds_load_2addr_b64 v[48:51], v98 offset0:130 offset1:146
	ds_load_2addr_b64 v[52:55], v98 offset0:162 offset1:178
	;; [unrolled: 1-line block ×4, first 2 shown]
	ds_load_2addr_stride64_b64 v[64:67], v64 offset1:4
	v_dual_mov_b32 v130, 0 :: v_dual_mov_b32 v127, 24
	v_dual_mov_b32 v128, 16 :: v_dual_mov_b32 v125, 40
	;; [unrolled: 1-line block ×5, first 2 shown]
	v_mov_b32_e32 v120, 0x50
	v_mov_b32_e32 v118, 0x60
	;; [unrolled: 1-line block ×21, first 2 shown]
	s_mov_b64 s[4:5], 0
	s_mov_b32 s25, -1
.LBB186_36:                             ;   Parent Loop BB186_26 Depth=1
                                        ; =>  This Inner Loop Header: Depth=2
	scratch_load_b64 v[135:136], v130, off
	s_cmp_eq_u32 s4, 1
	s_waitcnt lgkmcnt(16)
	v_max_f64 v[133:134], v[0:1], v[0:1]
	s_cselect_b32 vcc_lo, -1, 0
	s_mov_b64 s[4:5], 1
	s_waitcnt lgkmcnt(0)
	v_dual_cndmask_b32 v132, v65, v67 :: v_dual_cndmask_b32 v131, v64, v66
	s_and_b32 vcc_lo, exec_lo, s25
	s_mov_b32 s25, 0
	s_delay_alu instid0(VALU_DEP_1) | instskip(NEXT) | instid1(VALU_DEP_1)
	v_max_f64 v[131:132], v[131:132], v[131:132]
	v_min_f64 v[133:134], v[133:134], v[131:132]
	s_waitcnt vmcnt(0)
	s_delay_alu instid0(VALU_DEP_1) | instskip(SKIP_3) | instid1(VALU_DEP_1)
	v_add_f64 v[133:134], v[135:136], v[133:134]
	scratch_load_b64 v[135:136], v129, off
	scratch_store_b64 v130, v[133:134], off
	v_max_f64 v[133:134], v[2:3], v[2:3]
	v_min_f64 v[133:134], v[133:134], v[131:132]
	s_waitcnt vmcnt(0)
	s_delay_alu instid0(VALU_DEP_1) | instskip(SKIP_3) | instid1(VALU_DEP_1)
	v_add_f64 v[133:134], v[133:134], v[135:136]
	scratch_store_b64 v129, v[133:134], off
	scratch_load_b64 v[133:134], v128, off
	v_max_f64 v[129:130], v[4:5], v[4:5]
	v_min_f64 v[129:130], v[129:130], v[131:132]
	s_waitcnt vmcnt(0)
	s_delay_alu instid0(VALU_DEP_1) | instskip(SKIP_3) | instid1(VALU_DEP_1)
	v_add_f64 v[129:130], v[129:130], v[133:134]
	scratch_load_b64 v[133:134], v127, off
	scratch_store_b64 v128, v[129:130], off
	v_max_f64 v[128:129], v[6:7], v[6:7]
	v_min_f64 v[128:129], v[128:129], v[131:132]
	s_waitcnt vmcnt(0)
	s_delay_alu instid0(VALU_DEP_1) | instskip(SKIP_3) | instid1(VALU_DEP_1)
	v_add_f64 v[128:129], v[128:129], v[133:134]
	scratch_store_b64 v127, v[128:129], off
	scratch_load_b64 v[129:130], v126, off
	v_max_f64 v[127:128], v[8:9], v[8:9]
	v_min_f64 v[127:128], v[127:128], v[131:132]
	s_waitcnt vmcnt(0)
	s_delay_alu instid0(VALU_DEP_1) | instskip(SKIP_4) | instid1(VALU_DEP_1)
	v_add_f64 v[127:128], v[127:128], v[129:130]
	v_mov_b32_e32 v130, 0x100
	scratch_store_b64 v126, v[127:128], off
	scratch_load_b64 v[128:129], v125, off
	v_max_f64 v[126:127], v[10:11], v[10:11]
	v_min_f64 v[126:127], v[126:127], v[131:132]
	s_waitcnt vmcnt(0)
	s_delay_alu instid0(VALU_DEP_1) | instskip(SKIP_4) | instid1(VALU_DEP_1)
	v_add_f64 v[126:127], v[126:127], v[128:129]
	v_mov_b32_e32 v129, 0x108
	;; [unrolled: 8-line block ×27, first 2 shown]
	scratch_store_b64 v100, v[101:102], off
	scratch_load_b64 v[102:103], v99, off
	v_max_f64 v[100:101], v[62:63], v[62:63]
	v_min_f64 v[100:101], v[100:101], v[131:132]
	s_waitcnt vmcnt(0)
	s_delay_alu instid0(VALU_DEP_1)
	v_add_f64 v[100:101], v[100:101], v[102:103]
	v_mov_b32_e32 v103, 0x1d8
	v_mov_b32_e32 v102, 0x1e0
	scratch_store_b64 v99, v[100:101], off
	v_mov_b32_e32 v101, 0x1e8
	v_mov_b32_e32 v100, 0x1f0
	;; [unrolled: 1-line block ×3, first 2 shown]
	s_cbranch_vccnz .LBB186_36
; %bb.37:                               ;   in Loop: Header=BB186_26 Depth=1
	ds_load_2addr_b64 v[0:3], v96 offset0:3 offset1:19
	ds_load_2addr_b64 v[4:7], v96 offset0:35 offset1:51
	ds_load_2addr_b64 v[8:11], v96 offset0:67 offset1:83
	ds_load_2addr_b64 v[12:15], v96 offset0:99 offset1:115
	ds_load_2addr_b64 v[16:19], v96 offset0:131 offset1:147
	ds_load_2addr_b64 v[20:23], v96 offset0:163 offset1:179
	ds_load_2addr_b64 v[24:27], v96 offset0:195 offset1:211
	ds_load_2addr_b64 v[28:31], v96 offset0:227 offset1:243
	ds_load_2addr_b64 v[32:35], v98 offset0:3 offset1:19
	ds_load_2addr_b64 v[36:39], v98 offset0:35 offset1:51
	ds_load_2addr_b64 v[40:43], v98 offset0:67 offset1:83
	ds_load_2addr_b64 v[44:47], v98 offset0:99 offset1:115
	v_dual_mov_b32 v129, 8 :: v_dual_add_nc_u32 v64, 24, v97
	ds_load_2addr_b64 v[48:51], v98 offset0:131 offset1:147
	ds_load_2addr_b64 v[52:55], v98 offset0:163 offset1:179
	;; [unrolled: 1-line block ×4, first 2 shown]
	ds_load_2addr_stride64_b64 v[64:67], v64 offset1:4
	v_dual_mov_b32 v130, 0 :: v_dual_mov_b32 v127, 24
	v_dual_mov_b32 v128, 16 :: v_dual_mov_b32 v125, 40
	;; [unrolled: 1-line block ×5, first 2 shown]
	v_mov_b32_e32 v120, 0x50
	v_mov_b32_e32 v118, 0x60
	;; [unrolled: 1-line block ×21, first 2 shown]
	s_mov_b64 s[4:5], 0
	s_mov_b32 s25, -1
.LBB186_38:                             ;   Parent Loop BB186_26 Depth=1
                                        ; =>  This Inner Loop Header: Depth=2
	scratch_load_b64 v[135:136], v130, off
	s_cmp_eq_u32 s4, 1
	s_waitcnt lgkmcnt(16)
	v_max_f64 v[133:134], v[0:1], v[0:1]
	s_cselect_b32 vcc_lo, -1, 0
	s_mov_b64 s[4:5], 1
	s_waitcnt lgkmcnt(0)
	v_dual_cndmask_b32 v132, v65, v67 :: v_dual_cndmask_b32 v131, v64, v66
	s_and_b32 vcc_lo, exec_lo, s25
	s_mov_b32 s25, 0
	s_delay_alu instid0(VALU_DEP_1) | instskip(NEXT) | instid1(VALU_DEP_1)
	v_max_f64 v[131:132], v[131:132], v[131:132]
	v_min_f64 v[133:134], v[133:134], v[131:132]
	s_waitcnt vmcnt(0)
	s_delay_alu instid0(VALU_DEP_1) | instskip(SKIP_3) | instid1(VALU_DEP_1)
	v_add_f64 v[133:134], v[135:136], v[133:134]
	scratch_load_b64 v[135:136], v129, off
	scratch_store_b64 v130, v[133:134], off
	v_max_f64 v[133:134], v[2:3], v[2:3]
	v_min_f64 v[133:134], v[133:134], v[131:132]
	s_waitcnt vmcnt(0)
	s_delay_alu instid0(VALU_DEP_1) | instskip(SKIP_3) | instid1(VALU_DEP_1)
	v_add_f64 v[133:134], v[133:134], v[135:136]
	scratch_store_b64 v129, v[133:134], off
	scratch_load_b64 v[133:134], v128, off
	v_max_f64 v[129:130], v[4:5], v[4:5]
	v_min_f64 v[129:130], v[129:130], v[131:132]
	s_waitcnt vmcnt(0)
	s_delay_alu instid0(VALU_DEP_1) | instskip(SKIP_3) | instid1(VALU_DEP_1)
	v_add_f64 v[129:130], v[129:130], v[133:134]
	scratch_load_b64 v[133:134], v127, off
	scratch_store_b64 v128, v[129:130], off
	v_max_f64 v[128:129], v[6:7], v[6:7]
	v_min_f64 v[128:129], v[128:129], v[131:132]
	s_waitcnt vmcnt(0)
	s_delay_alu instid0(VALU_DEP_1) | instskip(SKIP_3) | instid1(VALU_DEP_1)
	v_add_f64 v[128:129], v[128:129], v[133:134]
	scratch_store_b64 v127, v[128:129], off
	scratch_load_b64 v[129:130], v126, off
	v_max_f64 v[127:128], v[8:9], v[8:9]
	v_min_f64 v[127:128], v[127:128], v[131:132]
	s_waitcnt vmcnt(0)
	s_delay_alu instid0(VALU_DEP_1) | instskip(SKIP_4) | instid1(VALU_DEP_1)
	v_add_f64 v[127:128], v[127:128], v[129:130]
	v_mov_b32_e32 v130, 0x100
	scratch_store_b64 v126, v[127:128], off
	scratch_load_b64 v[128:129], v125, off
	v_max_f64 v[126:127], v[10:11], v[10:11]
	v_min_f64 v[126:127], v[126:127], v[131:132]
	s_waitcnt vmcnt(0)
	s_delay_alu instid0(VALU_DEP_1) | instskip(SKIP_4) | instid1(VALU_DEP_1)
	v_add_f64 v[126:127], v[126:127], v[128:129]
	v_mov_b32_e32 v129, 0x108
	;; [unrolled: 8-line block ×27, first 2 shown]
	scratch_store_b64 v100, v[101:102], off
	scratch_load_b64 v[102:103], v99, off
	v_max_f64 v[100:101], v[62:63], v[62:63]
	v_min_f64 v[100:101], v[100:101], v[131:132]
	s_waitcnt vmcnt(0)
	s_delay_alu instid0(VALU_DEP_1)
	v_add_f64 v[100:101], v[100:101], v[102:103]
	v_mov_b32_e32 v103, 0x1d8
	v_mov_b32_e32 v102, 0x1e0
	scratch_store_b64 v99, v[100:101], off
	v_mov_b32_e32 v101, 0x1e8
	v_mov_b32_e32 v100, 0x1f0
	;; [unrolled: 1-line block ×3, first 2 shown]
	s_cbranch_vccnz .LBB186_38
; %bb.39:                               ;   in Loop: Header=BB186_26 Depth=1
	s_mov_b32 vcc_lo, s3
	ds_store_2addr_stride64_b64 v90, v[78:79], v[80:81] offset1:4
	ds_store_2addr_stride64_b64 v92, v[82:83], v[84:85] offset1:4
	s_waitcnt lgkmcnt(0)
	s_waitcnt_vscnt null, 0x0
	s_barrier
	buffer_gl0_inv
	s_cbranch_vccz .LBB186_42
; %bb.40:                               ;   in Loop: Header=BB186_26 Depth=1
	v_lshlrev_b64 v[0:1], 3, v[68:69]
	s_delay_alu instid0(VALU_DEP_1) | instskip(NEXT) | instid1(VALU_DEP_2)
	v_add_co_u32 v2, vcc_lo, s22, v0
	v_add_co_ci_u32_e32 v3, vcc_lo, s23, v1, vcc_lo
	s_delay_alu instid0(VALU_DEP_2) | instskip(NEXT) | instid1(VALU_DEP_2)
	v_add_co_u32 v0, vcc_lo, v2, v70
	v_add_co_ci_u32_e32 v1, vcc_lo, v3, v71, vcc_lo
	v_add_co_u32 v2, vcc_lo, v2, v72
	v_add_co_ci_u32_e32 v3, vcc_lo, v3, v73, vcc_lo
	s_clause 0x1
	flat_load_b64 v[0:1], v[0:1] offset:32
	flat_load_b64 v[2:3], v[2:3] offset:32
	s_waitcnt vmcnt(1) lgkmcnt(1)
	v_mul_f64 v[78:79], s[20:21], v[0:1]
	s_waitcnt vmcnt(0) lgkmcnt(0)
	v_mul_f64 v[80:81], s[20:21], v[2:3]
	s_and_b32 vcc_lo, exec_lo, s2
	s_mov_b64 s[4:5], 0
	s_cbranch_vccnz .LBB186_43
.LBB186_41:                             ;   in Loop: Header=BB186_26 Depth=1
	v_lshlrev_b64 v[0:1], 3, v[68:69]
	s_delay_alu instid0(VALU_DEP_1) | instskip(NEXT) | instid1(VALU_DEP_2)
	v_add_co_u32 v2, vcc_lo, s18, v0
	v_add_co_ci_u32_e32 v3, vcc_lo, s19, v1, vcc_lo
	s_delay_alu instid0(VALU_DEP_2) | instskip(NEXT) | instid1(VALU_DEP_2)
	v_add_co_u32 v0, vcc_lo, v2, v74
	v_add_co_ci_u32_e32 v1, vcc_lo, v3, v75, vcc_lo
	v_add_co_u32 v2, vcc_lo, v2, v76
	v_add_co_ci_u32_e32 v3, vcc_lo, v3, v77, vcc_lo
	s_clause 0x1
	flat_load_b64 v[0:1], v[0:1] offset:32
	flat_load_b64 v[2:3], v[2:3] offset:32
	s_waitcnt vmcnt(1) lgkmcnt(1)
	v_mul_f64 v[82:83], s[20:21], v[0:1]
	s_waitcnt vmcnt(0) lgkmcnt(0)
	v_mul_f64 v[84:85], s[20:21], v[2:3]
	s_branch .LBB186_44
.LBB186_42:                             ;   in Loop: Header=BB186_26 Depth=1
	v_mov_b32_e32 v78, 0
	v_dual_mov_b32 v79, 0 :: v_dual_mov_b32 v80, 0
	v_mov_b32_e32 v81, 0
	s_and_b32 vcc_lo, exec_lo, s2
	s_mov_b64 s[4:5], 0
	s_cbranch_vccz .LBB186_41
.LBB186_43:                             ;   in Loop: Header=BB186_26 Depth=1
	v_mov_b32_e32 v82, 0
	v_dual_mov_b32 v83, 0 :: v_dual_mov_b32 v84, 0
	v_mov_b32_e32 v85, 0
.LBB186_44:                             ;   in Loop: Header=BB186_26 Depth=1
	v_dual_mov_b32 v129, 8 :: v_dual_add_nc_u32 v68, 0x800, v89
	ds_load_2addr_b64 v[0:3], v89 offset1:16
	ds_load_2addr_b64 v[4:7], v89 offset0:32 offset1:48
	ds_load_2addr_b64 v[8:11], v89 offset0:64 offset1:80
	;; [unrolled: 1-line block ×7, first 2 shown]
	ds_load_2addr_b64 v[32:35], v68 offset1:16
	ds_load_2addr_b64 v[36:39], v68 offset0:32 offset1:48
	ds_load_2addr_b64 v[40:43], v68 offset0:64 offset1:80
	;; [unrolled: 1-line block ×7, first 2 shown]
	ds_load_2addr_stride64_b64 v[64:67], v93 offset1:4
	v_dual_mov_b32 v130, 0 :: v_dual_mov_b32 v127, 24
	v_dual_mov_b32 v128, 16 :: v_dual_mov_b32 v125, 40
	;; [unrolled: 1-line block ×5, first 2 shown]
	v_mov_b32_e32 v120, 0x50
	v_mov_b32_e32 v118, 0x60
	;; [unrolled: 1-line block ×21, first 2 shown]
	s_mov_b32 s25, -1
.LBB186_45:                             ;   Parent Loop BB186_26 Depth=1
                                        ; =>  This Inner Loop Header: Depth=2
	scratch_load_b64 v[135:136], v130, off
	s_cmp_eq_u32 s4, 1
	s_waitcnt lgkmcnt(16)
	v_max_f64 v[133:134], v[0:1], v[0:1]
	s_cselect_b32 vcc_lo, -1, 0
	s_mov_b64 s[4:5], 1
	s_waitcnt lgkmcnt(0)
	v_dual_cndmask_b32 v132, v65, v67 :: v_dual_cndmask_b32 v131, v64, v66
	s_and_b32 vcc_lo, exec_lo, s25
	s_mov_b32 s25, 0
	s_delay_alu instid0(VALU_DEP_1) | instskip(NEXT) | instid1(VALU_DEP_1)
	v_max_f64 v[131:132], v[131:132], v[131:132]
	v_min_f64 v[133:134], v[133:134], v[131:132]
	s_waitcnt vmcnt(0)
	s_delay_alu instid0(VALU_DEP_1) | instskip(SKIP_3) | instid1(VALU_DEP_1)
	v_add_f64 v[133:134], v[135:136], v[133:134]
	scratch_load_b64 v[135:136], v129, off
	scratch_store_b64 v130, v[133:134], off
	v_max_f64 v[133:134], v[2:3], v[2:3]
	v_min_f64 v[133:134], v[133:134], v[131:132]
	s_waitcnt vmcnt(0)
	s_delay_alu instid0(VALU_DEP_1) | instskip(SKIP_3) | instid1(VALU_DEP_1)
	v_add_f64 v[133:134], v[133:134], v[135:136]
	scratch_store_b64 v129, v[133:134], off
	scratch_load_b64 v[133:134], v128, off
	v_max_f64 v[129:130], v[4:5], v[4:5]
	v_min_f64 v[129:130], v[129:130], v[131:132]
	s_waitcnt vmcnt(0)
	s_delay_alu instid0(VALU_DEP_1) | instskip(SKIP_3) | instid1(VALU_DEP_1)
	v_add_f64 v[129:130], v[129:130], v[133:134]
	scratch_load_b64 v[133:134], v127, off
	scratch_store_b64 v128, v[129:130], off
	v_max_f64 v[128:129], v[6:7], v[6:7]
	v_min_f64 v[128:129], v[128:129], v[131:132]
	s_waitcnt vmcnt(0)
	s_delay_alu instid0(VALU_DEP_1) | instskip(SKIP_3) | instid1(VALU_DEP_1)
	v_add_f64 v[128:129], v[128:129], v[133:134]
	scratch_store_b64 v127, v[128:129], off
	scratch_load_b64 v[129:130], v126, off
	v_max_f64 v[127:128], v[8:9], v[8:9]
	v_min_f64 v[127:128], v[127:128], v[131:132]
	s_waitcnt vmcnt(0)
	s_delay_alu instid0(VALU_DEP_1) | instskip(SKIP_4) | instid1(VALU_DEP_1)
	v_add_f64 v[127:128], v[127:128], v[129:130]
	v_mov_b32_e32 v130, 0x100
	scratch_store_b64 v126, v[127:128], off
	scratch_load_b64 v[128:129], v125, off
	v_max_f64 v[126:127], v[10:11], v[10:11]
	v_min_f64 v[126:127], v[126:127], v[131:132]
	s_waitcnt vmcnt(0)
	s_delay_alu instid0(VALU_DEP_1) | instskip(SKIP_4) | instid1(VALU_DEP_1)
	v_add_f64 v[126:127], v[126:127], v[128:129]
	v_mov_b32_e32 v129, 0x108
	;; [unrolled: 8-line block ×27, first 2 shown]
	scratch_store_b64 v100, v[101:102], off
	scratch_load_b64 v[102:103], v99, off
	v_max_f64 v[100:101], v[62:63], v[62:63]
	v_min_f64 v[100:101], v[100:101], v[131:132]
	s_waitcnt vmcnt(0)
	s_delay_alu instid0(VALU_DEP_1)
	v_add_f64 v[100:101], v[100:101], v[102:103]
	v_mov_b32_e32 v103, 0x1d8
	v_mov_b32_e32 v102, 0x1e0
	scratch_store_b64 v99, v[100:101], off
	v_mov_b32_e32 v101, 0x1e8
	v_mov_b32_e32 v100, 0x1f0
	v_mov_b32_e32 v99, 0x1f8
	s_cbranch_vccnz .LBB186_45
; %bb.46:                               ;   in Loop: Header=BB186_26 Depth=1
	ds_load_2addr_b64 v[0:3], v89 offset0:1 offset1:17
	ds_load_2addr_b64 v[4:7], v89 offset0:33 offset1:49
	;; [unrolled: 1-line block ×12, first 2 shown]
	v_dual_mov_b32 v129, 8 :: v_dual_add_nc_u32 v64, 8, v93
	ds_load_2addr_b64 v[48:51], v68 offset0:129 offset1:145
	ds_load_2addr_b64 v[52:55], v68 offset0:161 offset1:177
	ds_load_2addr_b64 v[56:59], v68 offset0:193 offset1:209
	ds_load_2addr_b64 v[60:63], v68 offset0:225 offset1:241
	ds_load_2addr_stride64_b64 v[64:67], v64 offset1:4
	v_dual_mov_b32 v130, 0 :: v_dual_mov_b32 v127, 24
	v_dual_mov_b32 v128, 16 :: v_dual_mov_b32 v125, 40
	v_dual_mov_b32 v126, 32 :: v_dual_mov_b32 v123, 56
	v_dual_mov_b32 v124, 48 :: v_dual_mov_b32 v121, 0x48
	v_dual_mov_b32 v122, 64 :: v_dual_mov_b32 v119, 0x58
	v_mov_b32_e32 v120, 0x50
	v_mov_b32_e32 v118, 0x60
	;; [unrolled: 1-line block ×21, first 2 shown]
	s_mov_b64 s[4:5], 0
	s_mov_b32 s25, -1
.LBB186_47:                             ;   Parent Loop BB186_26 Depth=1
                                        ; =>  This Inner Loop Header: Depth=2
	scratch_load_b64 v[135:136], v130, off
	s_cmp_eq_u32 s4, 1
	s_waitcnt lgkmcnt(16)
	v_max_f64 v[133:134], v[0:1], v[0:1]
	s_cselect_b32 vcc_lo, -1, 0
	s_mov_b64 s[4:5], 1
	s_waitcnt lgkmcnt(0)
	v_dual_cndmask_b32 v132, v65, v67 :: v_dual_cndmask_b32 v131, v64, v66
	s_and_b32 vcc_lo, exec_lo, s25
	s_mov_b32 s25, 0
	s_delay_alu instid0(VALU_DEP_1) | instskip(NEXT) | instid1(VALU_DEP_1)
	v_max_f64 v[131:132], v[131:132], v[131:132]
	v_min_f64 v[133:134], v[133:134], v[131:132]
	s_waitcnt vmcnt(0)
	s_delay_alu instid0(VALU_DEP_1) | instskip(SKIP_3) | instid1(VALU_DEP_1)
	v_add_f64 v[133:134], v[135:136], v[133:134]
	scratch_load_b64 v[135:136], v129, off
	scratch_store_b64 v130, v[133:134], off
	v_max_f64 v[133:134], v[2:3], v[2:3]
	v_min_f64 v[133:134], v[133:134], v[131:132]
	s_waitcnt vmcnt(0)
	s_delay_alu instid0(VALU_DEP_1) | instskip(SKIP_3) | instid1(VALU_DEP_1)
	v_add_f64 v[133:134], v[133:134], v[135:136]
	scratch_store_b64 v129, v[133:134], off
	scratch_load_b64 v[133:134], v128, off
	v_max_f64 v[129:130], v[4:5], v[4:5]
	v_min_f64 v[129:130], v[129:130], v[131:132]
	s_waitcnt vmcnt(0)
	s_delay_alu instid0(VALU_DEP_1) | instskip(SKIP_3) | instid1(VALU_DEP_1)
	v_add_f64 v[129:130], v[129:130], v[133:134]
	scratch_load_b64 v[133:134], v127, off
	scratch_store_b64 v128, v[129:130], off
	v_max_f64 v[128:129], v[6:7], v[6:7]
	v_min_f64 v[128:129], v[128:129], v[131:132]
	s_waitcnt vmcnt(0)
	s_delay_alu instid0(VALU_DEP_1) | instskip(SKIP_3) | instid1(VALU_DEP_1)
	v_add_f64 v[128:129], v[128:129], v[133:134]
	scratch_store_b64 v127, v[128:129], off
	scratch_load_b64 v[129:130], v126, off
	v_max_f64 v[127:128], v[8:9], v[8:9]
	v_min_f64 v[127:128], v[127:128], v[131:132]
	s_waitcnt vmcnt(0)
	s_delay_alu instid0(VALU_DEP_1) | instskip(SKIP_4) | instid1(VALU_DEP_1)
	v_add_f64 v[127:128], v[127:128], v[129:130]
	v_mov_b32_e32 v130, 0x100
	scratch_store_b64 v126, v[127:128], off
	scratch_load_b64 v[128:129], v125, off
	v_max_f64 v[126:127], v[10:11], v[10:11]
	v_min_f64 v[126:127], v[126:127], v[131:132]
	s_waitcnt vmcnt(0)
	s_delay_alu instid0(VALU_DEP_1) | instskip(SKIP_4) | instid1(VALU_DEP_1)
	v_add_f64 v[126:127], v[126:127], v[128:129]
	v_mov_b32_e32 v129, 0x108
	;; [unrolled: 8-line block ×27, first 2 shown]
	scratch_store_b64 v100, v[101:102], off
	scratch_load_b64 v[102:103], v99, off
	v_max_f64 v[100:101], v[62:63], v[62:63]
	v_min_f64 v[100:101], v[100:101], v[131:132]
	s_waitcnt vmcnt(0)
	s_delay_alu instid0(VALU_DEP_1)
	v_add_f64 v[100:101], v[100:101], v[102:103]
	v_mov_b32_e32 v103, 0x1d8
	v_mov_b32_e32 v102, 0x1e0
	scratch_store_b64 v99, v[100:101], off
	v_mov_b32_e32 v101, 0x1e8
	v_mov_b32_e32 v100, 0x1f0
	;; [unrolled: 1-line block ×3, first 2 shown]
	s_cbranch_vccnz .LBB186_47
; %bb.48:                               ;   in Loop: Header=BB186_26 Depth=1
	ds_load_2addr_b64 v[0:3], v89 offset0:2 offset1:18
	ds_load_2addr_b64 v[4:7], v89 offset0:34 offset1:50
	;; [unrolled: 1-line block ×12, first 2 shown]
	v_dual_mov_b32 v129, 8 :: v_dual_add_nc_u32 v64, 16, v93
	ds_load_2addr_b64 v[48:51], v68 offset0:130 offset1:146
	ds_load_2addr_b64 v[52:55], v68 offset0:162 offset1:178
	;; [unrolled: 1-line block ×4, first 2 shown]
	ds_load_2addr_stride64_b64 v[64:67], v64 offset1:4
	v_dual_mov_b32 v130, 0 :: v_dual_mov_b32 v127, 24
	v_dual_mov_b32 v128, 16 :: v_dual_mov_b32 v125, 40
	;; [unrolled: 1-line block ×5, first 2 shown]
	v_mov_b32_e32 v120, 0x50
	v_mov_b32_e32 v118, 0x60
	;; [unrolled: 1-line block ×21, first 2 shown]
	s_mov_b64 s[4:5], 0
	s_mov_b32 s25, -1
.LBB186_49:                             ;   Parent Loop BB186_26 Depth=1
                                        ; =>  This Inner Loop Header: Depth=2
	scratch_load_b64 v[135:136], v130, off
	s_cmp_eq_u32 s4, 1
	s_waitcnt lgkmcnt(16)
	v_max_f64 v[133:134], v[0:1], v[0:1]
	s_cselect_b32 vcc_lo, -1, 0
	s_mov_b64 s[4:5], 1
	s_waitcnt lgkmcnt(0)
	v_dual_cndmask_b32 v132, v65, v67 :: v_dual_cndmask_b32 v131, v64, v66
	s_and_b32 vcc_lo, exec_lo, s25
	s_mov_b32 s25, 0
	s_delay_alu instid0(VALU_DEP_1) | instskip(NEXT) | instid1(VALU_DEP_1)
	v_max_f64 v[131:132], v[131:132], v[131:132]
	v_min_f64 v[133:134], v[133:134], v[131:132]
	s_waitcnt vmcnt(0)
	s_delay_alu instid0(VALU_DEP_1) | instskip(SKIP_3) | instid1(VALU_DEP_1)
	v_add_f64 v[133:134], v[135:136], v[133:134]
	scratch_load_b64 v[135:136], v129, off
	scratch_store_b64 v130, v[133:134], off
	v_max_f64 v[133:134], v[2:3], v[2:3]
	v_min_f64 v[133:134], v[133:134], v[131:132]
	s_waitcnt vmcnt(0)
	s_delay_alu instid0(VALU_DEP_1) | instskip(SKIP_3) | instid1(VALU_DEP_1)
	v_add_f64 v[133:134], v[133:134], v[135:136]
	scratch_store_b64 v129, v[133:134], off
	scratch_load_b64 v[133:134], v128, off
	v_max_f64 v[129:130], v[4:5], v[4:5]
	v_min_f64 v[129:130], v[129:130], v[131:132]
	s_waitcnt vmcnt(0)
	s_delay_alu instid0(VALU_DEP_1) | instskip(SKIP_3) | instid1(VALU_DEP_1)
	v_add_f64 v[129:130], v[129:130], v[133:134]
	scratch_load_b64 v[133:134], v127, off
	scratch_store_b64 v128, v[129:130], off
	v_max_f64 v[128:129], v[6:7], v[6:7]
	v_min_f64 v[128:129], v[128:129], v[131:132]
	s_waitcnt vmcnt(0)
	s_delay_alu instid0(VALU_DEP_1) | instskip(SKIP_3) | instid1(VALU_DEP_1)
	v_add_f64 v[128:129], v[128:129], v[133:134]
	scratch_store_b64 v127, v[128:129], off
	scratch_load_b64 v[129:130], v126, off
	v_max_f64 v[127:128], v[8:9], v[8:9]
	v_min_f64 v[127:128], v[127:128], v[131:132]
	s_waitcnt vmcnt(0)
	s_delay_alu instid0(VALU_DEP_1) | instskip(SKIP_4) | instid1(VALU_DEP_1)
	v_add_f64 v[127:128], v[127:128], v[129:130]
	v_mov_b32_e32 v130, 0x100
	scratch_store_b64 v126, v[127:128], off
	scratch_load_b64 v[128:129], v125, off
	v_max_f64 v[126:127], v[10:11], v[10:11]
	v_min_f64 v[126:127], v[126:127], v[131:132]
	s_waitcnt vmcnt(0)
	s_delay_alu instid0(VALU_DEP_1) | instskip(SKIP_4) | instid1(VALU_DEP_1)
	v_add_f64 v[126:127], v[126:127], v[128:129]
	v_mov_b32_e32 v129, 0x108
	;; [unrolled: 8-line block ×27, first 2 shown]
	scratch_store_b64 v100, v[101:102], off
	scratch_load_b64 v[102:103], v99, off
	v_max_f64 v[100:101], v[62:63], v[62:63]
	v_min_f64 v[100:101], v[100:101], v[131:132]
	s_waitcnt vmcnt(0)
	s_delay_alu instid0(VALU_DEP_1)
	v_add_f64 v[100:101], v[100:101], v[102:103]
	v_mov_b32_e32 v103, 0x1d8
	v_mov_b32_e32 v102, 0x1e0
	scratch_store_b64 v99, v[100:101], off
	v_mov_b32_e32 v101, 0x1e8
	v_mov_b32_e32 v100, 0x1f0
	;; [unrolled: 1-line block ×3, first 2 shown]
	s_cbranch_vccnz .LBB186_49
; %bb.50:                               ;   in Loop: Header=BB186_26 Depth=1
	ds_load_2addr_b64 v[0:3], v89 offset0:3 offset1:19
	ds_load_2addr_b64 v[4:7], v89 offset0:35 offset1:51
	;; [unrolled: 1-line block ×12, first 2 shown]
	v_dual_mov_b32 v129, 0 :: v_dual_add_nc_u32 v64, 24, v93
	ds_load_2addr_b64 v[48:51], v68 offset0:131 offset1:147
	ds_load_2addr_b64 v[52:55], v68 offset0:163 offset1:179
	;; [unrolled: 1-line block ×4, first 2 shown]
	ds_load_2addr_stride64_b64 v[64:67], v64 offset1:4
	v_dual_mov_b32 v128, 8 :: v_dual_mov_b32 v127, 16
	v_dual_mov_b32 v126, 24 :: v_dual_mov_b32 v125, 32
	;; [unrolled: 1-line block ×4, first 2 shown]
	v_mov_b32_e32 v120, 0x48
	v_mov_b32_e32 v119, 0x50
	;; [unrolled: 1-line block ×23, first 2 shown]
	s_mov_b64 s[4:5], 0
	s_mov_b32 s25, -1
.LBB186_51:                             ;   Parent Loop BB186_26 Depth=1
                                        ; =>  This Inner Loop Header: Depth=2
	scratch_load_b64 v[134:135], v129, off
	s_cmp_eq_u32 s4, 1
	s_waitcnt lgkmcnt(16)
	v_max_f64 v[132:133], v[0:1], v[0:1]
	s_cselect_b32 vcc_lo, -1, 0
	s_mov_b64 s[4:5], 1
	s_waitcnt lgkmcnt(0)
	v_dual_cndmask_b32 v131, v65, v67 :: v_dual_cndmask_b32 v130, v64, v66
	s_and_b32 vcc_lo, exec_lo, s25
	s_mov_b32 s25, 0
	s_delay_alu instid0(VALU_DEP_1) | instskip(NEXT) | instid1(VALU_DEP_1)
	v_max_f64 v[130:131], v[130:131], v[130:131]
	v_min_f64 v[132:133], v[132:133], v[130:131]
	s_waitcnt vmcnt(0)
	s_delay_alu instid0(VALU_DEP_1) | instskip(SKIP_3) | instid1(VALU_DEP_1)
	v_add_f64 v[132:133], v[134:135], v[132:133]
	scratch_load_b64 v[134:135], v128, off
	scratch_store_b64 v129, v[132:133], off
	v_max_f64 v[132:133], v[2:3], v[2:3]
	v_min_f64 v[132:133], v[132:133], v[130:131]
	s_waitcnt vmcnt(0)
	s_delay_alu instid0(VALU_DEP_1) | instskip(SKIP_3) | instid1(VALU_DEP_1)
	v_add_f64 v[132:133], v[132:133], v[134:135]
	scratch_store_b64 v128, v[132:133], off
	scratch_load_b64 v[132:133], v127, off
	v_max_f64 v[128:129], v[4:5], v[4:5]
	v_min_f64 v[128:129], v[128:129], v[130:131]
	s_waitcnt vmcnt(0)
	s_delay_alu instid0(VALU_DEP_1) | instskip(SKIP_3) | instid1(VALU_DEP_1)
	v_add_f64 v[128:129], v[128:129], v[132:133]
	scratch_load_b64 v[132:133], v126, off
	scratch_store_b64 v127, v[128:129], off
	v_max_f64 v[127:128], v[6:7], v[6:7]
	v_min_f64 v[127:128], v[127:128], v[130:131]
	s_waitcnt vmcnt(0)
	s_delay_alu instid0(VALU_DEP_1) | instskip(SKIP_3) | instid1(VALU_DEP_1)
	v_add_f64 v[127:128], v[127:128], v[132:133]
	scratch_store_b64 v126, v[127:128], off
	scratch_load_b64 v[128:129], v125, off
	v_max_f64 v[126:127], v[8:9], v[8:9]
	v_min_f64 v[126:127], v[126:127], v[130:131]
	s_waitcnt vmcnt(0)
	s_delay_alu instid0(VALU_DEP_1) | instskip(SKIP_4) | instid1(VALU_DEP_1)
	v_add_f64 v[126:127], v[126:127], v[128:129]
	v_mov_b32_e32 v129, 0x100
	scratch_store_b64 v125, v[126:127], off
	scratch_load_b64 v[127:128], v124, off
	v_max_f64 v[125:126], v[10:11], v[10:11]
	v_min_f64 v[125:126], v[125:126], v[130:131]
	s_waitcnt vmcnt(0)
	s_delay_alu instid0(VALU_DEP_1) | instskip(SKIP_4) | instid1(VALU_DEP_1)
	v_add_f64 v[125:126], v[125:126], v[127:128]
	v_mov_b32_e32 v128, 0x108
	;; [unrolled: 8-line block ×27, first 2 shown]
	scratch_store_b64 v99, v[100:101], off
	scratch_load_b64 v[101:102], v68, off
	v_max_f64 v[99:100], v[62:63], v[62:63]
	v_min_f64 v[99:100], v[99:100], v[130:131]
	s_waitcnt vmcnt(0)
	s_delay_alu instid0(VALU_DEP_1)
	v_add_f64 v[99:100], v[99:100], v[101:102]
	v_mov_b32_e32 v102, 0x1d8
	v_mov_b32_e32 v101, 0x1e0
	scratch_store_b64 v68, v[99:100], off
	v_mov_b32_e32 v100, 0x1e8
	v_mov_b32_e32 v99, 0x1f0
	;; [unrolled: 1-line block ×3, first 2 shown]
	s_cbranch_vccnz .LBB186_51
; %bb.52:                               ;   in Loop: Header=BB186_26 Depth=1
	s_add_i32 s24, s24, 8
	s_add_i32 s16, s16, 8
	s_cmp_ge_i32 s24, s17
	ds_store_2addr_stride64_b64 v94, v[78:79], v[80:81] offset1:4
	ds_store_2addr_stride64_b64 v95, v[82:83], v[84:85] offset1:4
	s_waitcnt lgkmcnt(0)
	s_waitcnt_vscnt null, 0x0
	s_barrier
	buffer_gl0_inv
	s_cbranch_scc0 .LBB186_26
.LBB186_53:
	v_dual_mov_b32 v71, 8 :: v_dual_add_nc_u32 v28, 0x1000, v89
	v_dual_mov_b32 v75, 40 :: v_dual_add_nc_u32 v60, 0x1800, v89
	;; [unrolled: 1-line block ×3, first 2 shown]
	ds_load_2addr_b64 v[0:3], v28 offset1:16
	ds_load_2addr_b64 v[4:7], v28 offset0:32 offset1:48
	ds_load_2addr_b64 v[8:11], v28 offset0:64 offset1:80
	;; [unrolled: 1-line block ×7, first 2 shown]
	ds_load_2addr_b64 v[32:35], v60 offset1:16
	ds_load_2addr_b64 v[36:39], v60 offset0:32 offset1:48
	ds_load_2addr_b64 v[40:43], v60 offset0:64 offset1:80
	;; [unrolled: 1-line block ×7, first 2 shown]
	ds_load_2addr_stride64_b64 v[64:67], v91 offset0:24 offset1:28
	v_dual_mov_b32 v70, 0 :: v_dual_add_nc_u32 v69, 0x3000, v91
	v_dual_mov_b32 v72, 16 :: v_dual_mov_b32 v77, 56
	v_dual_mov_b32 v74, 32 :: v_dual_mov_b32 v79, 0x48
	;; [unrolled: 1-line block ×4, first 2 shown]
	v_mov_b32_e32 v80, 0x50
	v_mov_b32_e32 v82, 0x60
	;; [unrolled: 1-line block ×20, first 2 shown]
	s_mov_b64 s[2:3], 0
	s_mov_b32 s4, -1
.LBB186_54:                             ; =>This Inner Loop Header: Depth=1
	scratch_load_b64 v[104:105], v70, off
	scratch_load_b64 v[106:107], v71, off
	;; [unrolled: 1-line block ×32, first 2 shown]
	s_cmp_eq_u32 s2, 1
	s_waitcnt lgkmcnt(16)
	v_max_f64 v[170:171], v[0:1], v[0:1]
	s_cselect_b32 vcc_lo, -1, 0
	v_max_f64 v[172:173], v[2:3], v[2:3]
	s_waitcnt lgkmcnt(0)
	v_dual_cndmask_b32 v169, v65, v67 :: v_dual_cndmask_b32 v168, v64, v66
	v_max_f64 v[174:175], v[4:5], v[4:5]
	v_max_f64 v[176:177], v[6:7], v[6:7]
	;; [unrolled: 1-line block ×31, first 2 shown]
	s_mov_b64 s[2:3], 1
	s_and_b32 vcc_lo, exec_lo, s4
	s_mov_b32 s4, 0
	v_min_f64 v[170:171], v[170:171], v[168:169]
	v_min_f64 v[172:173], v[172:173], v[168:169]
	;; [unrolled: 1-line block ×32, first 2 shown]
	s_waitcnt vmcnt(31)
	v_add_f64 v[104:105], v[104:105], v[170:171]
	s_waitcnt vmcnt(30)
	v_add_f64 v[106:107], v[172:173], v[106:107]
	;; [unrolled: 2-line block ×32, first 2 shown]
	scratch_store_b64 v70, v[104:105], off
	scratch_store_b64 v71, v[106:107], off
	;; [unrolled: 1-line block ×32, first 2 shown]
	v_mov_b32_e32 v70, 0x100
	v_mov_b32_e32 v71, 0x108
	;; [unrolled: 1-line block ×32, first 2 shown]
	s_cbranch_vccnz .LBB186_54
; %bb.55:
	v_dual_mov_b32 v71, 8 :: v_dual_add_nc_u32 v60, 0x800, v68
	ds_load_2addr_b64 v[0:3], v68 offset0:1 offset1:17
	ds_load_2addr_b64 v[4:7], v68 offset0:33 offset1:49
	;; [unrolled: 1-line block ×12, first 2 shown]
	v_dual_mov_b32 v73, 24 :: v_dual_add_nc_u32 v64, 8, v69
	ds_load_2addr_b64 v[48:51], v60 offset0:129 offset1:145
	ds_load_2addr_b64 v[52:55], v60 offset0:161 offset1:177
	ds_load_2addr_b64 v[56:59], v60 offset0:193 offset1:209
	ds_load_2addr_b64 v[60:63], v60 offset0:225 offset1:241
	ds_load_2addr_stride64_b64 v[64:67], v64 offset1:4
	v_dual_mov_b32 v70, 0 :: v_dual_mov_b32 v75, 40
	v_dual_mov_b32 v72, 16 :: v_dual_mov_b32 v77, 56
	;; [unrolled: 1-line block ×5, first 2 shown]
	v_mov_b32_e32 v80, 0x50
	v_mov_b32_e32 v82, 0x60
	v_mov_b32_e32 v84, 0x70
	v_mov_b32_e32 v85, 0x78
	v_mov_b32_e32 v88, 0x80
	v_mov_b32_e32 v89, 0x88
	v_mov_b32_e32 v90, 0x90
	v_mov_b32_e32 v91, 0x98
	v_mov_b32_e32 v92, 0xa0
	v_mov_b32_e32 v93, 0xa8
	v_mov_b32_e32 v94, 0xb0
	v_mov_b32_e32 v95, 0xb8
	v_mov_b32_e32 v96, 0xc0
	v_mov_b32_e32 v97, 0xc8
	v_mov_b32_e32 v98, 0xd0
	v_mov_b32_e32 v99, 0xd8
	v_mov_b32_e32 v100, 0xe0
	v_mov_b32_e32 v101, 0xe8
	v_mov_b32_e32 v102, 0xf0
	v_mov_b32_e32 v103, 0xf8
	s_mov_b64 s[2:3], 0
	s_mov_b32 s4, -1
.LBB186_56:                             ; =>This Inner Loop Header: Depth=1
	scratch_load_b64 v[104:105], v70, off
	scratch_load_b64 v[106:107], v71, off
	;; [unrolled: 1-line block ×32, first 2 shown]
	s_cmp_eq_u32 s2, 1
	s_waitcnt lgkmcnt(16)
	v_max_f64 v[170:171], v[0:1], v[0:1]
	s_cselect_b32 vcc_lo, -1, 0
	v_max_f64 v[172:173], v[2:3], v[2:3]
	s_waitcnt lgkmcnt(0)
	v_dual_cndmask_b32 v169, v65, v67 :: v_dual_cndmask_b32 v168, v64, v66
	v_max_f64 v[174:175], v[4:5], v[4:5]
	v_max_f64 v[176:177], v[6:7], v[6:7]
	;; [unrolled: 1-line block ×31, first 2 shown]
	s_mov_b64 s[2:3], 1
	s_and_b32 vcc_lo, exec_lo, s4
	s_mov_b32 s4, 0
	v_min_f64 v[170:171], v[170:171], v[168:169]
	v_min_f64 v[172:173], v[172:173], v[168:169]
	;; [unrolled: 1-line block ×32, first 2 shown]
	s_waitcnt vmcnt(31)
	v_add_f64 v[104:105], v[104:105], v[170:171]
	s_waitcnt vmcnt(30)
	v_add_f64 v[106:107], v[172:173], v[106:107]
	;; [unrolled: 2-line block ×32, first 2 shown]
	scratch_store_b64 v70, v[104:105], off
	scratch_store_b64 v71, v[106:107], off
	;; [unrolled: 1-line block ×32, first 2 shown]
	v_mov_b32_e32 v70, 0x100
	v_mov_b32_e32 v71, 0x108
	;; [unrolled: 1-line block ×32, first 2 shown]
	s_cbranch_vccnz .LBB186_56
; %bb.57:
	v_dual_mov_b32 v71, 8 :: v_dual_add_nc_u32 v60, 0x800, v68
	ds_load_2addr_b64 v[0:3], v68 offset0:2 offset1:18
	ds_load_2addr_b64 v[4:7], v68 offset0:34 offset1:50
	;; [unrolled: 1-line block ×12, first 2 shown]
	v_dual_mov_b32 v73, 24 :: v_dual_add_nc_u32 v64, 16, v69
	ds_load_2addr_b64 v[48:51], v60 offset0:130 offset1:146
	ds_load_2addr_b64 v[52:55], v60 offset0:162 offset1:178
	ds_load_2addr_b64 v[56:59], v60 offset0:194 offset1:210
	ds_load_2addr_b64 v[60:63], v60 offset0:226 offset1:242
	ds_load_2addr_stride64_b64 v[64:67], v64 offset1:4
	v_dual_mov_b32 v70, 0 :: v_dual_mov_b32 v75, 40
	v_dual_mov_b32 v72, 16 :: v_dual_mov_b32 v77, 56
	;; [unrolled: 1-line block ×5, first 2 shown]
	v_mov_b32_e32 v80, 0x50
	v_mov_b32_e32 v82, 0x60
	v_mov_b32_e32 v84, 0x70
	v_mov_b32_e32 v85, 0x78
	v_mov_b32_e32 v88, 0x80
	v_mov_b32_e32 v89, 0x88
	v_mov_b32_e32 v90, 0x90
	v_mov_b32_e32 v91, 0x98
	v_mov_b32_e32 v92, 0xa0
	v_mov_b32_e32 v93, 0xa8
	v_mov_b32_e32 v94, 0xb0
	v_mov_b32_e32 v95, 0xb8
	v_mov_b32_e32 v96, 0xc0
	v_mov_b32_e32 v97, 0xc8
	v_mov_b32_e32 v98, 0xd0
	v_mov_b32_e32 v99, 0xd8
	v_mov_b32_e32 v100, 0xe0
	v_mov_b32_e32 v101, 0xe8
	v_mov_b32_e32 v102, 0xf0
	v_mov_b32_e32 v103, 0xf8
	s_mov_b64 s[2:3], 0
	s_mov_b32 s4, -1
.LBB186_58:                             ; =>This Inner Loop Header: Depth=1
	scratch_load_b64 v[104:105], v70, off
	scratch_load_b64 v[106:107], v71, off
	;; [unrolled: 1-line block ×32, first 2 shown]
	s_cmp_eq_u32 s2, 1
	s_waitcnt lgkmcnt(16)
	v_max_f64 v[170:171], v[0:1], v[0:1]
	s_cselect_b32 vcc_lo, -1, 0
	v_max_f64 v[172:173], v[2:3], v[2:3]
	s_waitcnt lgkmcnt(0)
	v_dual_cndmask_b32 v169, v65, v67 :: v_dual_cndmask_b32 v168, v64, v66
	v_max_f64 v[174:175], v[4:5], v[4:5]
	v_max_f64 v[176:177], v[6:7], v[6:7]
	;; [unrolled: 1-line block ×31, first 2 shown]
	s_mov_b64 s[2:3], 1
	s_and_b32 vcc_lo, exec_lo, s4
	s_mov_b32 s4, 0
	v_min_f64 v[170:171], v[170:171], v[168:169]
	v_min_f64 v[172:173], v[172:173], v[168:169]
	v_min_f64 v[174:175], v[174:175], v[168:169]
	v_min_f64 v[176:177], v[176:177], v[168:169]
	v_min_f64 v[178:179], v[178:179], v[168:169]
	v_min_f64 v[180:181], v[180:181], v[168:169]
	v_min_f64 v[182:183], v[182:183], v[168:169]
	v_min_f64 v[184:185], v[184:185], v[168:169]
	v_min_f64 v[186:187], v[186:187], v[168:169]
	v_min_f64 v[188:189], v[188:189], v[168:169]
	v_min_f64 v[190:191], v[190:191], v[168:169]
	v_min_f64 v[192:193], v[192:193], v[168:169]
	v_min_f64 v[194:195], v[194:195], v[168:169]
	v_min_f64 v[196:197], v[196:197], v[168:169]
	v_min_f64 v[198:199], v[198:199], v[168:169]
	v_min_f64 v[200:201], v[200:201], v[168:169]
	v_min_f64 v[202:203], v[202:203], v[168:169]
	v_min_f64 v[204:205], v[204:205], v[168:169]
	v_min_f64 v[206:207], v[206:207], v[168:169]
	v_min_f64 v[208:209], v[208:209], v[168:169]
	v_min_f64 v[210:211], v[210:211], v[168:169]
	v_min_f64 v[212:213], v[212:213], v[168:169]
	v_min_f64 v[214:215], v[214:215], v[168:169]
	v_min_f64 v[216:217], v[216:217], v[168:169]
	v_min_f64 v[218:219], v[218:219], v[168:169]
	v_min_f64 v[220:221], v[220:221], v[168:169]
	v_min_f64 v[222:223], v[222:223], v[168:169]
	v_min_f64 v[224:225], v[224:225], v[168:169]
	v_min_f64 v[226:227], v[226:227], v[168:169]
	v_min_f64 v[228:229], v[228:229], v[168:169]
	v_min_f64 v[230:231], v[230:231], v[168:169]
	v_min_f64 v[168:169], v[232:233], v[168:169]
	s_waitcnt vmcnt(31)
	v_add_f64 v[104:105], v[104:105], v[170:171]
	s_waitcnt vmcnt(30)
	v_add_f64 v[106:107], v[172:173], v[106:107]
	;; [unrolled: 2-line block ×32, first 2 shown]
	scratch_store_b64 v70, v[104:105], off
	scratch_store_b64 v71, v[106:107], off
	;; [unrolled: 1-line block ×32, first 2 shown]
	v_mov_b32_e32 v70, 0x100
	v_mov_b32_e32 v71, 0x108
	v_mov_b32_e32 v72, 0x110
	v_mov_b32_e32 v73, 0x118
	v_mov_b32_e32 v74, 0x120
	v_mov_b32_e32 v75, 0x128
	v_mov_b32_e32 v76, 0x130
	v_mov_b32_e32 v77, 0x138
	v_mov_b32_e32 v78, 0x140
	v_mov_b32_e32 v79, 0x148
	v_mov_b32_e32 v80, 0x150
	v_mov_b32_e32 v81, 0x158
	v_mov_b32_e32 v82, 0x160
	v_mov_b32_e32 v83, 0x168
	v_mov_b32_e32 v84, 0x170
	v_mov_b32_e32 v85, 0x178
	v_mov_b32_e32 v88, 0x180
	v_mov_b32_e32 v89, 0x188
	v_mov_b32_e32 v90, 0x190
	v_mov_b32_e32 v91, 0x198
	v_mov_b32_e32 v92, 0x1a0
	v_mov_b32_e32 v93, 0x1a8
	v_mov_b32_e32 v94, 0x1b0
	v_mov_b32_e32 v95, 0x1b8
	v_mov_b32_e32 v96, 0x1c0
	v_mov_b32_e32 v97, 0x1c8
	v_mov_b32_e32 v98, 0x1d0
	v_mov_b32_e32 v99, 0x1d8
	v_mov_b32_e32 v100, 0x1e0
	v_mov_b32_e32 v101, 0x1e8
	v_mov_b32_e32 v102, 0x1f0
	v_mov_b32_e32 v103, 0x1f8
	s_cbranch_vccnz .LBB186_58
; %bb.59:
	v_add_nc_u32_e32 v60, 0x800, v68
	ds_load_2addr_b64 v[0:3], v68 offset0:3 offset1:19
	ds_load_2addr_b64 v[4:7], v68 offset0:35 offset1:51
	ds_load_2addr_b64 v[8:11], v68 offset0:67 offset1:83
	ds_load_2addr_b64 v[12:15], v68 offset0:99 offset1:115
	v_dual_mov_b32 v71, 24 :: v_dual_add_nc_u32 v64, 24, v69
	v_mov_b32_e32 v69, 8
	ds_load_2addr_b64 v[16:19], v68 offset0:131 offset1:147
	ds_load_2addr_b64 v[20:23], v68 offset0:163 offset1:179
	;; [unrolled: 1-line block ×12, first 2 shown]
	ds_load_2addr_stride64_b64 v[64:67], v64 offset1:4
	v_dual_mov_b32 v68, 0 :: v_dual_mov_b32 v73, 40
	v_dual_mov_b32 v70, 16 :: v_dual_mov_b32 v75, 56
	;; [unrolled: 1-line block ×5, first 2 shown]
	v_mov_b32_e32 v78, 0x50
	v_mov_b32_e32 v80, 0x60
	;; [unrolled: 1-line block ×20, first 2 shown]
	s_mov_b64 s[2:3], 0
	s_mov_b32 s4, -1
.LBB186_60:                             ; =>This Inner Loop Header: Depth=1
	scratch_load_b64 v[102:103], v68, off
	scratch_load_b64 v[104:105], v69, off
	;; [unrolled: 1-line block ×32, first 2 shown]
	s_cmp_eq_u32 s2, 1
	s_waitcnt lgkmcnt(16)
	v_max_f64 v[168:169], v[0:1], v[0:1]
	s_cselect_b32 vcc_lo, -1, 0
	v_max_f64 v[170:171], v[2:3], v[2:3]
	s_waitcnt lgkmcnt(0)
	v_dual_cndmask_b32 v167, v65, v67 :: v_dual_cndmask_b32 v166, v64, v66
	v_max_f64 v[172:173], v[4:5], v[4:5]
	v_max_f64 v[174:175], v[6:7], v[6:7]
	;; [unrolled: 1-line block ×31, first 2 shown]
	s_mov_b64 s[2:3], 1
	s_and_b32 vcc_lo, exec_lo, s4
	s_mov_b32 s4, 0
	v_min_f64 v[168:169], v[168:169], v[166:167]
	v_min_f64 v[170:171], v[170:171], v[166:167]
	;; [unrolled: 1-line block ×32, first 2 shown]
	s_waitcnt vmcnt(31)
	v_add_f64 v[102:103], v[102:103], v[168:169]
	s_waitcnt vmcnt(30)
	v_add_f64 v[104:105], v[170:171], v[104:105]
	;; [unrolled: 2-line block ×32, first 2 shown]
	scratch_store_b64 v68, v[102:103], off
	scratch_store_b64 v69, v[104:105], off
	scratch_store_b64 v70, v[106:107], off
	scratch_store_b64 v71, v[108:109], off
	scratch_store_b64 v72, v[110:111], off
	scratch_store_b64 v73, v[112:113], off
	scratch_store_b64 v74, v[114:115], off
	scratch_store_b64 v75, v[116:117], off
	scratch_store_b64 v76, v[118:119], off
	scratch_store_b64 v77, v[120:121], off
	scratch_store_b64 v78, v[122:123], off
	scratch_store_b64 v79, v[124:125], off
	scratch_store_b64 v80, v[126:127], off
	scratch_store_b64 v81, v[128:129], off
	scratch_store_b64 v82, v[130:131], off
	scratch_store_b64 v83, v[132:133], off
	scratch_store_b64 v84, v[134:135], off
	scratch_store_b64 v85, v[136:137], off
	scratch_store_b64 v88, v[138:139], off
	scratch_store_b64 v89, v[140:141], off
	scratch_store_b64 v90, v[142:143], off
	scratch_store_b64 v91, v[144:145], off
	scratch_store_b64 v92, v[146:147], off
	scratch_store_b64 v93, v[148:149], off
	scratch_store_b64 v94, v[150:151], off
	scratch_store_b64 v95, v[152:153], off
	scratch_store_b64 v96, v[154:155], off
	scratch_store_b64 v97, v[156:157], off
	scratch_store_b64 v98, v[158:159], off
	scratch_store_b64 v99, v[160:161], off
	scratch_store_b64 v100, v[162:163], off
	scratch_store_b64 v101, v[164:165], off
	v_mov_b32_e32 v68, 0x100
	v_mov_b32_e32 v69, 0x108
	;; [unrolled: 1-line block ×32, first 2 shown]
	s_cbranch_vccnz .LBB186_60
; %bb.61:
	scratch_load_b64 v[2:3], off, off
	s_load_b32 s3, s[0:1], 0x58
	v_dual_mov_b32 v4, 0 :: v_dual_add_nc_u32 v71, s14, v87
	v_dual_mov_b32 v5, 0 :: v_dual_add_nc_u32 v12, s13, v86
	v_mov_b32_e32 v8, 0
	v_mov_b32_e32 v9, 0
	s_and_b32 s2, exec_lo, s15
	s_delay_alu instid0(VALU_DEP_3) | instskip(SKIP_2) | instid1(VALU_DEP_1)
	v_ashrrev_i32_e32 v13, 31, v12
	s_waitcnt lgkmcnt(0)
	v_mad_i64_i32 v[0:1], null, v71, s3, 0
	v_lshlrev_b64 v[0:1], 3, v[0:1]
	s_delay_alu instid0(VALU_DEP_1) | instskip(NEXT) | instid1(VALU_DEP_2)
	v_add_co_u32 v72, vcc_lo, s10, v0
	v_add_co_ci_u32_e32 v73, vcc_lo, s11, v1, vcc_lo
	v_lshlrev_b64 v[0:1], 3, v[12:13]
	s_mov_b32 vcc_lo, s2
	s_cbranch_vccz .LBB186_63
; %bb.62:
	s_delay_alu instid0(VALU_DEP_1) | instskip(NEXT) | instid1(VALU_DEP_2)
	v_add_co_u32 v6, vcc_lo, v72, v0
	v_add_co_ci_u32_e32 v7, vcc_lo, v73, v1, vcc_lo
	flat_load_b64 v[6:7], v[6:7]
	s_waitcnt vmcnt(0) lgkmcnt(0)
	v_mul_f64 v[8:9], s[8:9], v[6:7]
.LBB186_63:
	scratch_load_b64 v[6:7], off, off offset:8
	s_clause 0x1
	s_load_b32 s4, s[0:1], 0x70
	s_load_b64 s[0:1], s[0:1], 0x78
	s_waitcnt vmcnt(1)
	v_add_f64 v[8:9], v[2:3], v[8:9]
	v_add_nc_u32_e32 v10, 4, v12
	v_cndmask_b32_e64 v13, 0, 1, s15
	s_delay_alu instid0(VALU_DEP_2)
	v_ashrrev_i32_e32 v11, 31, v10
	s_waitcnt lgkmcnt(0)
	v_mad_i64_i32 v[2:3], null, v71, s4, 0
	s_mul_i32 s1, s12, s1
	s_mul_hi_u32 s5, s12, s0
	s_mul_i32 s0, s12, s0
	s_add_i32 s1, s5, s1
	s_delay_alu instid0(SALU_CYCLE_1) | instskip(NEXT) | instid1(VALU_DEP_1)
	s_lshl_b64 s[12:13], s[0:1], 3
	v_lshlrev_b64 v[2:3], 3, v[2:3]
	s_add_u32 s1, s6, s12
	s_addc_u32 s5, s7, s13
	v_cmp_ne_u32_e64 s0, 1, v13
	s_delay_alu instid0(VALU_DEP_2) | instskip(NEXT) | instid1(VALU_DEP_3)
	v_add_co_u32 v74, vcc_lo, s1, v2
	v_add_co_ci_u32_e32 v75, vcc_lo, s5, v3, vcc_lo
	v_lshlrev_b64 v[2:3], 3, v[10:11]
	s_delay_alu instid0(VALU_DEP_3) | instskip(NEXT) | instid1(VALU_DEP_3)
	v_add_co_u32 v13, vcc_lo, v74, v0
	v_add_co_ci_u32_e32 v14, vcc_lo, v75, v1, vcc_lo
	s_and_not1_b32 vcc_lo, exec_lo, s15
	global_store_b64 v[13:14], v[8:9], off
	s_cbranch_vccnz .LBB186_65
; %bb.64:
	v_add_co_u32 v4, vcc_lo, v72, v2
	v_add_co_ci_u32_e32 v5, vcc_lo, v73, v3, vcc_lo
	flat_load_b64 v[4:5], v[4:5]
	s_waitcnt vmcnt(0) lgkmcnt(0)
	v_mul_f64 v[4:5], s[8:9], v[4:5]
.LBB186_65:
	scratch_load_b64 v[10:11], off, off offset:16
	s_waitcnt vmcnt(1)
	v_add_f64 v[13:14], v[6:7], v[4:5]
	v_add_nc_u32_e32 v4, 8, v12
	v_mov_b32_e32 v8, 0
	v_mov_b32_e32 v9, 0
	v_add_co_u32 v15, vcc_lo, v74, v2
	s_delay_alu instid0(VALU_DEP_4) | instskip(SKIP_3) | instid1(VALU_DEP_4)
	v_ashrrev_i32_e32 v5, 31, v4
	v_mov_b32_e32 v6, 0
	v_mov_b32_e32 v7, 0
	v_add_co_ci_u32_e32 v16, vcc_lo, v75, v3, vcc_lo
	v_lshlrev_b64 v[4:5], 3, v[4:5]
	s_and_b32 vcc_lo, exec_lo, s0
	global_store_b64 v[15:16], v[13:14], off
	s_cbranch_vccnz .LBB186_67
; %bb.66:
	v_add_co_u32 v6, vcc_lo, v72, v4
	v_add_co_ci_u32_e32 v7, vcc_lo, v73, v5, vcc_lo
	flat_load_b64 v[6:7], v[6:7]
	s_waitcnt vmcnt(0) lgkmcnt(0)
	v_mul_f64 v[6:7], s[8:9], v[6:7]
.LBB186_67:
	scratch_load_b64 v[13:14], off, off offset:24
	s_waitcnt vmcnt(1)
	v_add_f64 v[10:11], v[10:11], v[6:7]
	v_add_nc_u32_e32 v6, 12, v12
	v_add_co_u32 v15, vcc_lo, v74, v4
	v_add_co_ci_u32_e32 v16, vcc_lo, v75, v5, vcc_lo
	s_delay_alu instid0(VALU_DEP_3) | instskip(SKIP_1) | instid1(VALU_DEP_1)
	v_ashrrev_i32_e32 v7, 31, v6
	s_and_b32 vcc_lo, exec_lo, s0
	v_lshlrev_b64 v[6:7], 3, v[6:7]
	global_store_b64 v[15:16], v[10:11], off
	s_cbranch_vccnz .LBB186_69
; %bb.68:
	v_add_co_u32 v8, vcc_lo, v72, v6
	v_add_co_ci_u32_e32 v9, vcc_lo, v73, v7, vcc_lo
	flat_load_b64 v[8:9], v[8:9]
	s_waitcnt vmcnt(0) lgkmcnt(0)
	v_mul_f64 v[8:9], s[8:9], v[8:9]
.LBB186_69:
	scratch_load_b64 v[10:11], off, off offset:32
	s_waitcnt vmcnt(1)
	v_add_f64 v[17:18], v[13:14], v[8:9]
	v_dual_mov_b32 v13, 0 :: v_dual_add_nc_u32 v8, 16, v12
	v_add_co_u32 v19, vcc_lo, v74, v6
	v_dual_mov_b32 v14, 0 :: v_dual_mov_b32 v15, 0
	s_delay_alu instid0(VALU_DEP_3) | instskip(SKIP_3) | instid1(VALU_DEP_3)
	v_ashrrev_i32_e32 v9, 31, v8
	v_add_co_ci_u32_e32 v20, vcc_lo, v75, v7, vcc_lo
	v_mov_b32_e32 v16, 0
	s_and_b32 vcc_lo, exec_lo, s0
	v_lshlrev_b64 v[8:9], 3, v[8:9]
	global_store_b64 v[19:20], v[17:18], off
	s_cbranch_vccnz .LBB186_71
; %bb.70:
	v_add_co_u32 v15, vcc_lo, v72, v8
	v_add_co_ci_u32_e32 v16, vcc_lo, v73, v9, vcc_lo
	flat_load_b64 v[15:16], v[15:16]
	s_waitcnt vmcnt(0) lgkmcnt(0)
	v_mul_f64 v[15:16], s[8:9], v[15:16]
.LBB186_71:
	scratch_load_b64 v[17:18], off, off offset:40
	s_waitcnt vmcnt(1)
	v_add_f64 v[15:16], v[10:11], v[15:16]
	v_add_nc_u32_e32 v10, 20, v12
	v_add_co_u32 v19, vcc_lo, v74, v8
	v_add_co_ci_u32_e32 v20, vcc_lo, v75, v9, vcc_lo
	s_delay_alu instid0(VALU_DEP_3) | instskip(SKIP_1) | instid1(VALU_DEP_1)
	v_ashrrev_i32_e32 v11, 31, v10
	s_and_b32 vcc_lo, exec_lo, s0
	v_lshlrev_b64 v[10:11], 3, v[10:11]
	global_store_b64 v[19:20], v[15:16], off
	s_cbranch_vccnz .LBB186_73
; %bb.72:
	v_add_co_u32 v13, vcc_lo, v72, v10
	v_add_co_ci_u32_e32 v14, vcc_lo, v73, v11, vcc_lo
	flat_load_b64 v[13:14], v[13:14]
	s_waitcnt vmcnt(0) lgkmcnt(0)
	v_mul_f64 v[13:14], s[8:9], v[13:14]
.LBB186_73:
	scratch_load_b64 v[15:16], off, off offset:48
	s_waitcnt vmcnt(1)
	v_add_f64 v[21:22], v[17:18], v[13:14]
	v_add_nc_u32_e32 v13, 24, v12
	v_mov_b32_e32 v17, 0
	v_mov_b32_e32 v18, 0
	v_add_co_u32 v23, vcc_lo, v74, v10
	s_delay_alu instid0(VALU_DEP_4) | instskip(SKIP_3) | instid1(VALU_DEP_4)
	v_ashrrev_i32_e32 v14, 31, v13
	v_mov_b32_e32 v19, 0
	v_mov_b32_e32 v20, 0
	v_add_co_ci_u32_e32 v24, vcc_lo, v75, v11, vcc_lo
	v_lshlrev_b64 v[13:14], 3, v[13:14]
	s_and_b32 vcc_lo, exec_lo, s0
	global_store_b64 v[23:24], v[21:22], off
	s_cbranch_vccnz .LBB186_75
; %bb.74:
	v_add_co_u32 v19, vcc_lo, v72, v13
	v_add_co_ci_u32_e32 v20, vcc_lo, v73, v14, vcc_lo
	flat_load_b64 v[19:20], v[19:20]
	s_waitcnt vmcnt(0) lgkmcnt(0)
	v_mul_f64 v[19:20], s[8:9], v[19:20]
.LBB186_75:
	scratch_load_b64 v[21:22], off, off offset:56
	s_waitcnt vmcnt(1)
	v_add_f64 v[19:20], v[15:16], v[19:20]
	v_add_nc_u32_e32 v15, 28, v12
	v_add_co_u32 v23, vcc_lo, v74, v13
	v_add_co_ci_u32_e32 v24, vcc_lo, v75, v14, vcc_lo
	s_delay_alu instid0(VALU_DEP_3) | instskip(SKIP_1) | instid1(VALU_DEP_1)
	v_ashrrev_i32_e32 v16, 31, v15
	s_and_b32 vcc_lo, exec_lo, s0
	v_lshlrev_b64 v[15:16], 3, v[15:16]
	global_store_b64 v[23:24], v[19:20], off
	s_cbranch_vccnz .LBB186_77
; %bb.76:
	v_add_co_u32 v17, vcc_lo, v72, v15
	v_add_co_ci_u32_e32 v18, vcc_lo, v73, v16, vcc_lo
	flat_load_b64 v[17:18], v[17:18]
	s_waitcnt vmcnt(0) lgkmcnt(0)
	v_mul_f64 v[17:18], s[8:9], v[17:18]
.LBB186_77:
	scratch_load_b64 v[19:20], off, off offset:64
	s_waitcnt vmcnt(1)
	v_add_f64 v[25:26], v[21:22], v[17:18]
	v_add_nc_u32_e32 v17, 32, v12
	v_mov_b32_e32 v21, 0
	v_mov_b32_e32 v22, 0
	v_add_co_u32 v27, vcc_lo, v74, v15
	s_delay_alu instid0(VALU_DEP_4) | instskip(SKIP_3) | instid1(VALU_DEP_4)
	v_ashrrev_i32_e32 v18, 31, v17
	v_mov_b32_e32 v23, 0
	v_mov_b32_e32 v24, 0
	v_add_co_ci_u32_e32 v28, vcc_lo, v75, v16, vcc_lo
	v_lshlrev_b64 v[17:18], 3, v[17:18]
	s_and_b32 vcc_lo, exec_lo, s0
	;; [unrolled: 42-line block ×13, first 2 shown]
	global_store_b64 v[76:77], v[67:68], off
	s_cbranch_vccnz .LBB186_123
; %bb.122:
	v_add_co_u32 v67, vcc_lo, v72, v61
	v_add_co_ci_u32_e32 v68, vcc_lo, v73, v62, vcc_lo
	flat_load_b64 v[67:68], v[67:68]
	s_waitcnt vmcnt(0) lgkmcnt(0)
	v_mul_f64 v[69:70], s[8:9], v[67:68]
.LBB186_123:
	scratch_load_b64 v[67:68], off, off offset:248
	s_waitcnt vmcnt(1)
	v_add_f64 v[69:70], v[63:64], v[69:70]
	v_add_nc_u32_e32 v63, 0x7c, v12
	v_add_co_u32 v76, vcc_lo, v74, v61
	v_add_co_ci_u32_e32 v77, vcc_lo, v75, v62, vcc_lo
	s_delay_alu instid0(VALU_DEP_3) | instskip(SKIP_1) | instid1(VALU_DEP_1)
	v_ashrrev_i32_e32 v64, 31, v63
	s_and_b32 vcc_lo, exec_lo, s0
	v_lshlrev_b64 v[63:64], 3, v[63:64]
	global_store_b64 v[76:77], v[69:70], off
	s_cbranch_vccnz .LBB186_125
; %bb.124:
	v_add_co_u32 v65, vcc_lo, v72, v63
	v_add_co_ci_u32_e32 v66, vcc_lo, v73, v64, vcc_lo
	flat_load_b64 v[65:66], v[65:66]
	s_waitcnt vmcnt(0) lgkmcnt(0)
	v_mul_f64 v[65:66], s[8:9], v[65:66]
.LBB186_125:
	scratch_load_b64 v[69:70], off, off offset:256
	s_waitcnt vmcnt(1)
	v_add_f64 v[67:68], v[67:68], v[65:66]
	v_add_nc_u32_e32 v76, 64, v71
	v_add_co_u32 v74, vcc_lo, v74, v63
	v_add_co_ci_u32_e32 v75, vcc_lo, v75, v64, vcc_lo
	s_delay_alu instid0(VALU_DEP_3) | instskip(SKIP_2) | instid1(VALU_DEP_3)
	v_mad_i64_i32 v[65:66], null, v76, s3, 0
	v_mov_b32_e32 v71, 0
	v_mov_b32_e32 v72, 0
	v_lshlrev_b64 v[77:78], 3, v[65:66]
	v_mov_b32_e32 v65, 0
	v_mov_b32_e32 v66, 0
	s_delay_alu instid0(VALU_DEP_3) | instskip(NEXT) | instid1(VALU_DEP_4)
	v_add_co_u32 v12, vcc_lo, s10, v77
	v_add_co_ci_u32_e32 v73, vcc_lo, s11, v78, vcc_lo
	s_mov_b32 vcc_lo, s2
	global_store_b64 v[74:75], v[67:68], off
	s_cbranch_vccz .LBB186_127
; %bb.126:
	v_add_co_u32 v67, vcc_lo, v12, v0
	v_add_co_ci_u32_e32 v68, vcc_lo, v73, v1, vcc_lo
	flat_load_b64 v[67:68], v[67:68]
	s_waitcnt vmcnt(0) lgkmcnt(0)
	v_mul_f64 v[71:72], s[8:9], v[67:68]
.LBB186_127:
	scratch_load_b64 v[67:68], off, off offset:264
	s_waitcnt vmcnt(1)
	v_add_f64 v[69:70], v[69:70], v[71:72]
	v_mad_i64_i32 v[71:72], null, v76, s4, 0
	s_delay_alu instid0(VALU_DEP_1) | instskip(NEXT) | instid1(VALU_DEP_1)
	v_lshlrev_b64 v[71:72], 3, v[71:72]
	v_add_co_u32 v71, vcc_lo, s1, v71
	s_delay_alu instid0(VALU_DEP_2) | instskip(NEXT) | instid1(VALU_DEP_2)
	v_add_co_ci_u32_e32 v72, vcc_lo, s5, v72, vcc_lo
	v_add_co_u32 v0, vcc_lo, v71, v0
	s_delay_alu instid0(VALU_DEP_2)
	v_add_co_ci_u32_e32 v1, vcc_lo, v72, v1, vcc_lo
	s_and_b32 vcc_lo, exec_lo, s0
	global_store_b64 v[0:1], v[69:70], off
	s_cbranch_vccnz .LBB186_129
; %bb.128:
	v_add_co_u32 v0, vcc_lo, v12, v2
	v_add_co_ci_u32_e32 v1, vcc_lo, v73, v3, vcc_lo
	flat_load_b64 v[0:1], v[0:1]
	s_waitcnt vmcnt(0) lgkmcnt(0)
	v_mul_f64 v[65:66], s[8:9], v[0:1]
.LBB186_129:
	scratch_load_b64 v[69:70], off, off offset:272
	s_waitcnt vmcnt(1)
	v_add_f64 v[65:66], v[67:68], v[65:66]
	v_add_co_u32 v67, vcc_lo, v71, v2
	v_mov_b32_e32 v0, 0
	v_add_co_ci_u32_e32 v68, vcc_lo, v72, v3, vcc_lo
	v_dual_mov_b32 v1, 0 :: v_dual_mov_b32 v2, 0
	v_mov_b32_e32 v3, 0
	s_and_b32 vcc_lo, exec_lo, s0
	global_store_b64 v[67:68], v[65:66], off
	s_cbranch_vccnz .LBB186_131
; %bb.130:
	v_add_co_u32 v2, vcc_lo, v12, v4
	v_add_co_ci_u32_e32 v3, vcc_lo, v73, v5, vcc_lo
	flat_load_b64 v[2:3], v[2:3]
	s_waitcnt vmcnt(0) lgkmcnt(0)
	v_mul_f64 v[2:3], s[8:9], v[2:3]
.LBB186_131:
	scratch_load_b64 v[65:66], off, off offset:280
	s_waitcnt vmcnt(1)
	v_add_f64 v[2:3], v[69:70], v[2:3]
	v_add_co_u32 v4, vcc_lo, v71, v4
	v_add_co_ci_u32_e32 v5, vcc_lo, v72, v5, vcc_lo
	s_and_b32 vcc_lo, exec_lo, s0
	global_store_b64 v[4:5], v[2:3], off
	s_cbranch_vccnz .LBB186_133
; %bb.132:
	v_add_co_u32 v0, vcc_lo, v12, v6
	v_add_co_ci_u32_e32 v1, vcc_lo, v73, v7, vcc_lo
	flat_load_b64 v[0:1], v[0:1]
	s_waitcnt vmcnt(0) lgkmcnt(0)
	v_mul_f64 v[0:1], s[8:9], v[0:1]
.LBB186_133:
	scratch_load_b64 v[2:3], off, off offset:288
	s_waitcnt vmcnt(1)
	v_add_f64 v[4:5], v[65:66], v[0:1]
	v_add_co_u32 v65, vcc_lo, v71, v6
	v_mov_b32_e32 v0, 0
	v_add_co_ci_u32_e32 v66, vcc_lo, v72, v7, vcc_lo
	v_dual_mov_b32 v1, 0 :: v_dual_mov_b32 v6, 0
	v_mov_b32_e32 v7, 0
	s_and_b32 vcc_lo, exec_lo, s0
	global_store_b64 v[65:66], v[4:5], off
	s_cbranch_vccnz .LBB186_135
; %bb.134:
	v_add_co_u32 v4, vcc_lo, v12, v8
	v_add_co_ci_u32_e32 v5, vcc_lo, v73, v9, vcc_lo
	flat_load_b64 v[4:5], v[4:5]
	s_waitcnt vmcnt(0) lgkmcnt(0)
	v_mul_f64 v[6:7], s[8:9], v[4:5]
.LBB186_135:
	scratch_load_b64 v[4:5], off, off offset:296
	s_waitcnt vmcnt(1)
	v_add_f64 v[2:3], v[2:3], v[6:7]
	v_add_co_u32 v6, vcc_lo, v71, v8
	v_add_co_ci_u32_e32 v7, vcc_lo, v72, v9, vcc_lo
	s_and_b32 vcc_lo, exec_lo, s0
	global_store_b64 v[6:7], v[2:3], off
	s_cbranch_vccnz .LBB186_137
; %bb.136:
	v_add_co_u32 v0, vcc_lo, v12, v10
	v_add_co_ci_u32_e32 v1, vcc_lo, v73, v11, vcc_lo
	flat_load_b64 v[0:1], v[0:1]
	s_waitcnt vmcnt(0) lgkmcnt(0)
	v_mul_f64 v[0:1], s[8:9], v[0:1]
.LBB186_137:
	scratch_load_b64 v[2:3], off, off offset:304
	s_waitcnt vmcnt(1)
	v_add_f64 v[4:5], v[4:5], v[0:1]
	v_add_co_u32 v8, vcc_lo, v71, v10
	v_mov_b32_e32 v0, 0
	v_dual_mov_b32 v1, 0 :: v_dual_mov_b32 v6, 0
	v_add_co_ci_u32_e32 v9, vcc_lo, v72, v11, vcc_lo
	v_mov_b32_e32 v7, 0
	s_and_b32 vcc_lo, exec_lo, s0
	global_store_b64 v[8:9], v[4:5], off
	s_cbranch_vccnz .LBB186_139
; %bb.138:
	v_add_co_u32 v4, vcc_lo, v12, v13
	v_add_co_ci_u32_e32 v5, vcc_lo, v73, v14, vcc_lo
	flat_load_b64 v[4:5], v[4:5]
	s_waitcnt vmcnt(0) lgkmcnt(0)
	v_mul_f64 v[6:7], s[8:9], v[4:5]
.LBB186_139:
	scratch_load_b64 v[4:5], off, off offset:312
	s_waitcnt vmcnt(1)
	v_add_f64 v[2:3], v[2:3], v[6:7]
	v_add_co_u32 v6, vcc_lo, v71, v13
	v_add_co_ci_u32_e32 v7, vcc_lo, v72, v14, vcc_lo
	s_and_b32 vcc_lo, exec_lo, s0
	global_store_b64 v[6:7], v[2:3], off
	s_cbranch_vccnz .LBB186_141
; %bb.140:
	v_add_co_u32 v0, vcc_lo, v12, v15
	v_add_co_ci_u32_e32 v1, vcc_lo, v73, v16, vcc_lo
	flat_load_b64 v[0:1], v[0:1]
	s_waitcnt vmcnt(0) lgkmcnt(0)
	v_mul_f64 v[0:1], s[8:9], v[0:1]
.LBB186_141:
	scratch_load_b64 v[2:3], off, off offset:320
	s_waitcnt vmcnt(1)
	v_add_f64 v[4:5], v[4:5], v[0:1]
	v_add_co_u32 v8, vcc_lo, v71, v15
	v_mov_b32_e32 v0, 0
	v_dual_mov_b32 v1, 0 :: v_dual_mov_b32 v6, 0
	v_add_co_ci_u32_e32 v9, vcc_lo, v72, v16, vcc_lo
	;; [unrolled: 33-line block ×13, first 2 shown]
	v_mov_b32_e32 v7, 0
	s_and_b32 vcc_lo, exec_lo, s0
	global_store_b64 v[8:9], v[4:5], off
	s_cbranch_vccnz .LBB186_187
; %bb.186:
	v_add_co_u32 v4, vcc_lo, v12, v61
	v_add_co_ci_u32_e32 v5, vcc_lo, v73, v62, vcc_lo
	flat_load_b64 v[4:5], v[4:5]
	s_waitcnt vmcnt(0) lgkmcnt(0)
	v_mul_f64 v[6:7], s[8:9], v[4:5]
.LBB186_187:
	scratch_load_b64 v[4:5], off, off offset:504
	s_waitcnt vmcnt(1)
	v_add_f64 v[2:3], v[2:3], v[6:7]
	v_add_co_u32 v6, vcc_lo, v71, v61
	v_add_co_ci_u32_e32 v7, vcc_lo, v72, v62, vcc_lo
	s_and_b32 vcc_lo, exec_lo, s0
	global_store_b64 v[6:7], v[2:3], off
	s_cbranch_vccnz .LBB186_189
; %bb.188:
	v_add_co_u32 v0, vcc_lo, v12, v63
	v_add_co_ci_u32_e32 v1, vcc_lo, v73, v64, vcc_lo
	flat_load_b64 v[0:1], v[0:1]
	s_waitcnt vmcnt(0) lgkmcnt(0)
	v_mul_f64 v[0:1], s[8:9], v[0:1]
.LBB186_189:
	s_waitcnt vmcnt(0)
	s_delay_alu instid0(VALU_DEP_1)
	v_add_f64 v[0:1], v[4:5], v[0:1]
	v_add_co_u32 v2, vcc_lo, v71, v63
	v_add_co_ci_u32_e32 v3, vcc_lo, v72, v64, vcc_lo
	global_store_b64 v[2:3], v[0:1], off
	s_endpgm
	.section	.rodata,"a",@progbits
	.p2align	6, 0x0
	.amdhsa_kernel _ZN12_GLOBAL__N_120geam_min_plus_kernelIdddLi4ELi64ELi128ELi128ELi4ELi4ELi64ELi4ELi64ELc84ELc78ELb0ELb0ELb0EPKdS1_dEEviiiT16_PT17_ilS5_ilS3_S5_ilPT18_ili26rocblas_geam_ex_operation_
		.amdhsa_group_segment_fixed_size 16384
		.amdhsa_private_segment_fixed_size 528
		.amdhsa_kernarg_size 136
		.amdhsa_user_sgpr_count 14
		.amdhsa_user_sgpr_dispatch_ptr 0
		.amdhsa_user_sgpr_queue_ptr 0
		.amdhsa_user_sgpr_kernarg_segment_ptr 1
		.amdhsa_user_sgpr_dispatch_id 0
		.amdhsa_user_sgpr_private_segment_size 0
		.amdhsa_wavefront_size32 1
		.amdhsa_uses_dynamic_stack 0
		.amdhsa_enable_private_segment 1
		.amdhsa_system_sgpr_workgroup_id_x 1
		.amdhsa_system_sgpr_workgroup_id_y 0
		.amdhsa_system_sgpr_workgroup_id_z 1
		.amdhsa_system_sgpr_workgroup_info 0
		.amdhsa_system_vgpr_workitem_id 1
		.amdhsa_next_free_vgpr 250
		.amdhsa_next_free_sgpr 27
		.amdhsa_reserve_vcc 1
		.amdhsa_float_round_mode_32 0
		.amdhsa_float_round_mode_16_64 0
		.amdhsa_float_denorm_mode_32 3
		.amdhsa_float_denorm_mode_16_64 3
		.amdhsa_dx10_clamp 1
		.amdhsa_ieee_mode 1
		.amdhsa_fp16_overflow 0
		.amdhsa_workgroup_processor_mode 1
		.amdhsa_memory_ordered 1
		.amdhsa_forward_progress 0
		.amdhsa_shared_vgpr_count 0
		.amdhsa_exception_fp_ieee_invalid_op 0
		.amdhsa_exception_fp_denorm_src 0
		.amdhsa_exception_fp_ieee_div_zero 0
		.amdhsa_exception_fp_ieee_overflow 0
		.amdhsa_exception_fp_ieee_underflow 0
		.amdhsa_exception_fp_ieee_inexact 0
		.amdhsa_exception_int_div_zero 0
	.end_amdhsa_kernel
	.section	.text._ZN12_GLOBAL__N_120geam_min_plus_kernelIdddLi4ELi64ELi128ELi128ELi4ELi4ELi64ELi4ELi64ELc84ELc78ELb0ELb0ELb0EPKdS1_dEEviiiT16_PT17_ilS5_ilS3_S5_ilPT18_ili26rocblas_geam_ex_operation_,"axG",@progbits,_ZN12_GLOBAL__N_120geam_min_plus_kernelIdddLi4ELi64ELi128ELi128ELi4ELi4ELi64ELi4ELi64ELc84ELc78ELb0ELb0ELb0EPKdS1_dEEviiiT16_PT17_ilS5_ilS3_S5_ilPT18_ili26rocblas_geam_ex_operation_,comdat
.Lfunc_end186:
	.size	_ZN12_GLOBAL__N_120geam_min_plus_kernelIdddLi4ELi64ELi128ELi128ELi4ELi4ELi64ELi4ELi64ELc84ELc78ELb0ELb0ELb0EPKdS1_dEEviiiT16_PT17_ilS5_ilS3_S5_ilPT18_ili26rocblas_geam_ex_operation_, .Lfunc_end186-_ZN12_GLOBAL__N_120geam_min_plus_kernelIdddLi4ELi64ELi128ELi128ELi4ELi4ELi64ELi4ELi64ELc84ELc78ELb0ELb0ELb0EPKdS1_dEEviiiT16_PT17_ilS5_ilS3_S5_ilPT18_ili26rocblas_geam_ex_operation_
                                        ; -- End function
	.section	.AMDGPU.csdata,"",@progbits
; Kernel info:
; codeLenInByte = 43628
; NumSgprs: 29
; NumVgprs: 250
; ScratchSize: 528
; MemoryBound: 1
; FloatMode: 240
; IeeeMode: 1
; LDSByteSize: 16384 bytes/workgroup (compile time only)
; SGPRBlocks: 3
; VGPRBlocks: 31
; NumSGPRsForWavesPerEU: 29
; NumVGPRsForWavesPerEU: 250
; Occupancy: 5
; WaveLimiterHint : 1
; COMPUTE_PGM_RSRC2:SCRATCH_EN: 1
; COMPUTE_PGM_RSRC2:USER_SGPR: 14
; COMPUTE_PGM_RSRC2:TRAP_HANDLER: 0
; COMPUTE_PGM_RSRC2:TGID_X_EN: 1
; COMPUTE_PGM_RSRC2:TGID_Y_EN: 0
; COMPUTE_PGM_RSRC2:TGID_Z_EN: 1
; COMPUTE_PGM_RSRC2:TIDIG_COMP_CNT: 1
	.section	.text._ZN12_GLOBAL__N_120geam_min_plus_kernelIdddLi4ELi64ELi128ELi128ELi4ELi4ELi64ELi4ELi64ELc84ELc78ELb1ELb0ELb0EdKddEEviiiT16_PT17_ilS4_ilS2_S4_ilPT18_ili26rocblas_geam_ex_operation_,"axG",@progbits,_ZN12_GLOBAL__N_120geam_min_plus_kernelIdddLi4ELi64ELi128ELi128ELi4ELi4ELi64ELi4ELi64ELc84ELc78ELb1ELb0ELb0EdKddEEviiiT16_PT17_ilS4_ilS2_S4_ilPT18_ili26rocblas_geam_ex_operation_,comdat
	.globl	_ZN12_GLOBAL__N_120geam_min_plus_kernelIdddLi4ELi64ELi128ELi128ELi4ELi4ELi64ELi4ELi64ELc84ELc78ELb1ELb0ELb0EdKddEEviiiT16_PT17_ilS4_ilS2_S4_ilPT18_ili26rocblas_geam_ex_operation_ ; -- Begin function _ZN12_GLOBAL__N_120geam_min_plus_kernelIdddLi4ELi64ELi128ELi128ELi4ELi4ELi64ELi4ELi64ELc84ELc78ELb1ELb0ELb0EdKddEEviiiT16_PT17_ilS4_ilS2_S4_ilPT18_ili26rocblas_geam_ex_operation_
	.p2align	8
	.type	_ZN12_GLOBAL__N_120geam_min_plus_kernelIdddLi4ELi64ELi128ELi128ELi4ELi4ELi64ELi4ELi64ELc84ELc78ELb1ELb0ELb0EdKddEEviiiT16_PT17_ilS4_ilS2_S4_ilPT18_ili26rocblas_geam_ex_operation_,@function
_ZN12_GLOBAL__N_120geam_min_plus_kernelIdddLi4ELi64ELi128ELi128ELi4ELi4ELi64ELi4ELi64ELc84ELc78ELb1ELb0ELb0EdKddEEviiiT16_PT17_ilS4_ilS2_S4_ilPT18_ili26rocblas_geam_ex_operation_: ; @_ZN12_GLOBAL__N_120geam_min_plus_kernelIdddLi4ELi64ELi128ELi128ELi4ELi4ELi64ELi4ELi64ELc84ELc78ELb1ELb0ELb0EdKddEEviiiT16_PT17_ilS4_ilS2_S4_ilPT18_ili26rocblas_geam_ex_operation_
; %bb.0:
	s_clause 0x1
	s_load_b128 s[4:7], s[0:1], 0x10
	s_load_b128 s[8:11], s[0:1], 0x28
	s_mov_b64 s[2:3], 0
	s_waitcnt lgkmcnt(0)
	v_cmp_eq_f64_e64 s12, s[4:5], 0
	s_delay_alu instid0(VALU_DEP_1)
	s_and_b32 vcc_lo, exec_lo, s12
	s_cbranch_vccnz .LBB187_2
; %bb.1:
	s_mul_i32 s2, s15, s9
	s_mul_hi_u32 s3, s15, s8
	s_delay_alu instid0(SALU_CYCLE_1) | instskip(SKIP_1) | instid1(SALU_CYCLE_1)
	s_add_i32 s3, s3, s2
	s_mul_i32 s2, s15, s8
	s_lshl_b64 s[2:3], s[2:3], 3
	s_delay_alu instid0(SALU_CYCLE_1)
	s_add_u32 s2, s6, s2
	s_addc_u32 s3, s7, s3
.LBB187_2:
	s_clause 0x1
	s_load_b128 s[4:7], s[0:1], 0x40
	s_load_b64 s[18:19], s[0:1], 0x50
	s_and_not1_b32 vcc_lo, exec_lo, s12
	s_cbranch_vccnz .LBB187_4
; %bb.3:
	s_mov_b32 s20, 0
	s_mov_b64 s[12:13], 0
	s_cbranch_execz .LBB187_5
	s_branch .LBB187_6
.LBB187_4:
	s_mov_b32 s20, -1
                                        ; implicit-def: $sgpr12_sgpr13
.LBB187_5:
	s_waitcnt lgkmcnt(0)
	s_mul_i32 s5, s15, s5
	s_mul_hi_u32 s8, s15, s4
	s_mul_i32 s4, s15, s4
	s_add_i32 s5, s8, s5
	s_mov_b32 s20, 0
	s_lshl_b64 s[4:5], s[4:5], 3
	s_delay_alu instid0(SALU_CYCLE_1)
	s_add_u32 s12, s10, s4
	s_addc_u32 s13, s11, s5
.LBB187_6:
	s_waitcnt lgkmcnt(0)
	v_cmp_eq_f64_e64 s4, s[6:7], 0
	s_load_b128 s[8:11], s[0:1], 0x60
	s_mov_b64 s[16:17], 0
	s_delay_alu instid0(VALU_DEP_1)
	s_and_b32 vcc_lo, exec_lo, s4
	s_mov_b64 s[4:5], 0
	s_cbranch_vccnz .LBB187_8
; %bb.7:
	s_waitcnt lgkmcnt(0)
	s_mul_i32 s4, s15, s9
	s_mul_hi_u32 s5, s15, s8
	s_mul_i32 s9, s20, s8
	s_add_i32 s4, s5, s4
	s_delay_alu instid0(SALU_CYCLE_1) | instskip(SKIP_1) | instid1(SALU_CYCLE_1)
	s_add_i32 s5, s4, s9
	s_mul_i32 s4, s15, s8
	s_lshl_b64 s[4:5], s[4:5], 3
	s_delay_alu instid0(SALU_CYCLE_1)
	s_add_u32 s4, s18, s4
	s_addc_u32 s5, s19, s5
.LBB187_8:
	s_load_b32 s17, s[0:1], 0x0
	s_waitcnt lgkmcnt(0)
	s_mov_b32 s8, 0
	v_bfe_u32 v95, v0, 10, 10
	s_mov_b32 s9, s8
	v_dual_mov_b32 v1, s8 :: v_dual_and_b32 v94, 0x3ff, v0
	v_mov_b32_e32 v105, 0x68
	v_dual_mov_b32 v85, 8 :: v_dual_mov_b32 v102, 0x50
	v_lshlrev_b32_e32 v97, 5, v95
	s_delay_alu instid0(VALU_DEP_4) | instskip(SKIP_3) | instid1(VALU_DEP_4)
	v_lshrrev_b32_e32 v0, 2, v94
	v_and_b32_e32 v96, 3, v94
	v_dual_mov_b32 v84, 0 :: v_dual_mov_b32 v89, 40
	v_lshlrev_b32_e32 v98, 5, v94
	v_add_nc_u32_e32 v17, v0, v95
	s_delay_alu instid0(VALU_DEP_4) | instskip(SKIP_1) | instid1(VALU_DEP_4)
	v_lshlrev_b32_e32 v18, 3, v96
	v_dual_mov_b32 v90, 48 :: v_dual_mov_b32 v93, 0x48
	v_add_nc_u32_e32 v32, 0x800, v98
	s_add_i32 s17, s17, -1
	s_delay_alu instid0(VALU_DEP_3)
	v_lshl_or_b32 v99, v17, 5, v18
	s_ashr_i32 s18, s17, 31
	v_dual_mov_b32 v92, 64 :: v_dual_mov_b32 v103, 0x58
	s_lshr_b32 s18, s18, 25
	v_mov_b32_e32 v104, 0x60
	s_add_i32 s17, s17, s18
	v_mov_b32_e32 v106, 0x70
	s_ashr_i32 s17, s17, 7
	v_mov_b32_e32 v107, 0x78
	s_add_i32 s18, s17, 1
	s_not_b32 s17, s17
	v_cvt_f32_u32_e32 v3, s18
	v_mov_b32_e32 v108, 0x80
	v_mov_b32_e32 v109, 0x88
	;; [unrolled: 1-line block ×4, first 2 shown]
	v_rcp_iflag_f32_e32 v3, v3
	v_mov_b32_e32 v2, s9
	s_clause 0x1
	s_load_b32 s8, s[0:1], 0x20
	s_load_b32 s9, s[0:1], 0x38
	v_mov_b32_e32 v112, 0xa0
	v_mov_b32_e32 v113, 0xa8
	;; [unrolled: 1-line block ×7, first 2 shown]
	v_mul_f32_e32 v3, 0x4f7ffffe, v3
	s_clause 0xd
	scratch_store_b64 off, v[1:2], off
	scratch_store_b64 off, v[1:2], off offset:8
	scratch_store_b64 off, v[1:2], off offset:16
	;; [unrolled: 1-line block ×13, first 2 shown]
	v_cvt_u32_f32_e32 v3, v3
	s_clause 0xe
	scratch_store_b64 off, v[1:2], off offset:112
	scratch_store_b64 off, v[1:2], off offset:120
	;; [unrolled: 1-line block ×15, first 2 shown]
	v_readfirstlane_b32 s19, v3
	s_clause 0xd
	scratch_store_b64 off, v[1:2], off offset:232
	scratch_store_b64 off, v[1:2], off offset:240
	;; [unrolled: 1-line block ×14, first 2 shown]
	s_mul_i32 s17, s17, s19
	s_clause 0x3
	scratch_store_b64 off, v[1:2], off offset:344
	scratch_store_b64 off, v[1:2], off offset:352
	;; [unrolled: 1-line block ×4, first 2 shown]
	s_mul_hi_u32 s17, s19, s17
	scratch_store_b64 off, v[1:2], off offset:376
	s_add_i32 s19, s19, s17
	s_clause 0xb
	scratch_store_b64 off, v[1:2], off offset:384
	scratch_store_b64 off, v[1:2], off offset:392
	;; [unrolled: 1-line block ×12, first 2 shown]
	s_mul_hi_u32 s17, s14, s19
	s_clause 0x1
	scratch_store_b64 off, v[1:2], off offset:480
	scratch_store_b64 off, v[1:2], off offset:488
	s_mul_i32 s19, s17, s18
	s_add_i32 s21, s17, 1
	s_sub_i32 s19, s14, s19
	s_clause 0x1
	scratch_store_b64 off, v[1:2], off offset:496
	scratch_store_b64 off, v[1:2], off offset:504
	s_sub_i32 s22, s19, s18
	s_cmp_ge_u32 s19, s18
	v_mov_b32_e32 v119, 0xd8
	s_cselect_b32 s17, s21, s17
	s_cselect_b32 s19, s22, s19
	s_add_i32 s21, s17, 1
	s_cmp_ge_u32 s19, s18
	v_mov_b32_e32 v87, 24
	s_cselect_b32 s17, s21, s17
	v_mov_b32_e32 v86, 16
	s_mul_i32 s18, s17, s18
	v_mov_b32_e32 v88, 32
	s_sub_i32 s14, s14, s18
	s_lshl_b32 s18, s17, 7
	s_lshl_b32 s14, s14, 7
	v_add_nc_u32_e32 v7, s18, v17
	v_add_nc_u32_e32 v0, s14, v17
	v_add_co_u32 v11, s17, s2, v18
	v_mov_b32_e32 v91, 56
	s_delay_alu instid0(VALU_DEP_4)
	v_add_nc_u32_e32 v9, 64, v7
	s_waitcnt lgkmcnt(0)
	v_mad_i64_i32 v[3:4], null, v0, s8, 0
	v_mad_i64_i32 v[5:6], null, v7, s9, 0
	v_add_nc_u32_e32 v0, 64, v0
	v_mad_i64_i32 v[7:8], null, v9, s9, 0
	v_add_co_ci_u32_e64 v12, null, s3, 0, s17
	v_lshlrev_b64 v[68:69], 3, v[3:4]
	s_delay_alu instid0(VALU_DEP_4) | instskip(SKIP_2) | instid1(VALU_DEP_4)
	v_mad_i64_i32 v[3:4], null, v0, s8, 0
	v_lshlrev_b64 v[72:73], 3, v[5:6]
	v_add_co_u32 v0, s8, s12, v18
	v_add_co_u32 v9, vcc_lo, v11, v68
	v_add_co_ci_u32_e64 v6, null, s13, 0, s8
	v_lshlrev_b64 v[74:75], 3, v[7:8]
	v_add_co_ci_u32_e32 v10, vcc_lo, v12, v69, vcc_lo
	v_lshlrev_b64 v[70:71], 3, v[3:4]
	v_add_co_u32 v3, vcc_lo, v0, v72
	v_add_co_ci_u32_e32 v4, vcc_lo, v6, v73, vcc_lo
	v_add_co_u32 v5, vcc_lo, v0, v74
	v_add_co_ci_u32_e32 v6, vcc_lo, v6, v75, vcc_lo
	;; [unrolled: 2-line block ×3, first 2 shown]
	flat_load_b64 v[0:1], v[9:10]
	s_clause 0x1
	flat_load_b64 v[11:12], v[3:4]
	flat_load_b64 v[13:14], v[5:6]
	;; [unrolled: 1-line block ×3, first 2 shown]
	s_clause 0x1
	flat_load_b64 v[76:77], v[5:6] offset:32
	flat_load_b64 v[78:79], v[3:4] offset:32
	s_clause 0x1
	flat_load_b64 v[80:81], v[7:8] offset:32
	flat_load_b64 v[82:83], v[9:10] offset:32
	v_cmp_neq_f64_e64 s19, s[6:7], 0
	v_mov_b32_e32 v120, 0xe0
	v_mov_b32_e32 v121, 0xe8
	;; [unrolled: 1-line block ×4, first 2 shown]
	v_add_nc_u32_e32 v100, 0x2000, v97
	v_add_nc_u32_e32 v101, 0x2000, v99
	s_mov_b32 s8, -1
	s_waitcnt vmcnt(5) lgkmcnt(5)
	ds_store_2addr_stride64_b64 v99, v[11:12], v[13:14] offset0:16 offset1:20
	s_waitcnt vmcnt(4) lgkmcnt(5)
	ds_store_2addr_stride64_b64 v99, v[0:1], v[15:16] offset1:4
	s_waitcnt vmcnt(0) lgkmcnt(0)
	s_waitcnt_vscnt null, 0x0
	s_barrier
	buffer_gl0_inv
	ds_load_2addr_b64 v[0:3], v98 offset1:16
	ds_load_2addr_b64 v[4:7], v32 offset1:16
	ds_load_2addr_b64 v[8:11], v32 offset0:32 offset1:48
	ds_load_2addr_b64 v[12:15], v32 offset0:64 offset1:80
	;; [unrolled: 1-line block ×14, first 2 shown]
	ds_load_2addr_stride64_b64 v[64:67], v97 offset0:16 offset1:20
.LBB187_9:                              ; =>This Inner Loop Header: Depth=1
	scratch_load_b64 v[124:125], v84, off
	scratch_load_b64 v[126:127], v85, off
	;; [unrolled: 1-line block ×32, first 2 shown]
	s_cmp_eq_u32 s16, 1
	s_waitcnt lgkmcnt(16)
	v_max_f64 v[190:191], v[0:1], v[0:1]
	s_cselect_b32 vcc_lo, -1, 0
	v_max_f64 v[192:193], v[2:3], v[2:3]
	s_waitcnt lgkmcnt(0)
	v_dual_cndmask_b32 v189, v65, v67 :: v_dual_cndmask_b32 v188, v64, v66
	v_max_f64 v[194:195], v[36:37], v[36:37]
	v_max_f64 v[196:197], v[38:39], v[38:39]
	;; [unrolled: 1-line block ×31, first 2 shown]
	s_mov_b64 s[16:17], 1
	s_and_b32 vcc_lo, exec_lo, s8
	s_mov_b32 s8, 0
	v_min_f64 v[190:191], v[190:191], v[188:189]
	v_min_f64 v[192:193], v[192:193], v[188:189]
	v_min_f64 v[194:195], v[194:195], v[188:189]
	v_min_f64 v[196:197], v[196:197], v[188:189]
	v_min_f64 v[198:199], v[198:199], v[188:189]
	v_min_f64 v[200:201], v[200:201], v[188:189]
	v_min_f64 v[202:203], v[202:203], v[188:189]
	v_min_f64 v[204:205], v[204:205], v[188:189]
	v_min_f64 v[206:207], v[206:207], v[188:189]
	v_min_f64 v[208:209], v[208:209], v[188:189]
	v_min_f64 v[210:211], v[210:211], v[188:189]
	v_min_f64 v[212:213], v[212:213], v[188:189]
	v_min_f64 v[214:215], v[214:215], v[188:189]
	v_min_f64 v[216:217], v[216:217], v[188:189]
	v_min_f64 v[218:219], v[218:219], v[188:189]
	v_min_f64 v[220:221], v[220:221], v[188:189]
	v_min_f64 v[222:223], v[222:223], v[188:189]
	v_min_f64 v[224:225], v[224:225], v[188:189]
	v_min_f64 v[226:227], v[226:227], v[188:189]
	v_min_f64 v[228:229], v[228:229], v[188:189]
	v_min_f64 v[230:231], v[230:231], v[188:189]
	v_min_f64 v[232:233], v[232:233], v[188:189]
	v_min_f64 v[234:235], v[234:235], v[188:189]
	v_min_f64 v[236:237], v[236:237], v[188:189]
	v_min_f64 v[238:239], v[238:239], v[188:189]
	v_min_f64 v[240:241], v[240:241], v[188:189]
	v_min_f64 v[242:243], v[242:243], v[188:189]
	v_min_f64 v[244:245], v[244:245], v[188:189]
	v_min_f64 v[246:247], v[246:247], v[188:189]
	v_min_f64 v[248:249], v[248:249], v[188:189]
	v_min_f64 v[250:251], v[250:251], v[188:189]
	v_min_f64 v[188:189], v[252:253], v[188:189]
	s_waitcnt vmcnt(31)
	v_add_f64 v[124:125], v[124:125], v[190:191]
	s_waitcnt vmcnt(30)
	v_add_f64 v[126:127], v[192:193], v[126:127]
	;; [unrolled: 2-line block ×32, first 2 shown]
	scratch_store_b64 v84, v[124:125], off
	scratch_store_b64 v85, v[126:127], off
	;; [unrolled: 1-line block ×32, first 2 shown]
	v_mov_b32_e32 v84, 0x100
	v_mov_b32_e32 v85, 0x108
	v_mov_b32_e32 v86, 0x110
	v_mov_b32_e32 v87, 0x118
	v_mov_b32_e32 v88, 0x120
	v_mov_b32_e32 v89, 0x128
	v_mov_b32_e32 v90, 0x130
	v_mov_b32_e32 v91, 0x138
	v_mov_b32_e32 v92, 0x140
	v_mov_b32_e32 v93, 0x148
	v_mov_b32_e32 v102, 0x150
	v_mov_b32_e32 v103, 0x158
	v_mov_b32_e32 v104, 0x160
	v_mov_b32_e32 v105, 0x168
	v_mov_b32_e32 v106, 0x170
	v_mov_b32_e32 v107, 0x178
	v_mov_b32_e32 v108, 0x180
	v_mov_b32_e32 v109, 0x188
	v_mov_b32_e32 v110, 0x190
	v_mov_b32_e32 v111, 0x198
	v_mov_b32_e32 v112, 0x1a0
	v_mov_b32_e32 v113, 0x1a8
	v_mov_b32_e32 v114, 0x1b0
	v_mov_b32_e32 v115, 0x1b8
	v_mov_b32_e32 v116, 0x1c0
	v_mov_b32_e32 v117, 0x1c8
	v_mov_b32_e32 v118, 0x1d0
	v_mov_b32_e32 v119, 0x1d8
	v_mov_b32_e32 v120, 0x1e0
	v_mov_b32_e32 v121, 0x1e8
	v_mov_b32_e32 v122, 0x1f0
	v_mov_b32_e32 v123, 0x1f8
	s_cbranch_vccnz .LBB187_9
; %bb.10:
	v_dual_mov_b32 v85, 8 :: v_dual_add_nc_u32 v60, 0x800, v98
	ds_load_2addr_b64 v[0:3], v98 offset0:1 offset1:17
	ds_load_2addr_b64 v[4:7], v98 offset0:33 offset1:49
	;; [unrolled: 1-line block ×12, first 2 shown]
	v_dual_mov_b32 v87, 24 :: v_dual_add_nc_u32 v64, 8, v100
	ds_load_2addr_b64 v[48:51], v60 offset0:129 offset1:145
	ds_load_2addr_b64 v[52:55], v60 offset0:161 offset1:177
	ds_load_2addr_b64 v[56:59], v60 offset0:193 offset1:209
	ds_load_2addr_b64 v[60:63], v60 offset0:225 offset1:241
	ds_load_2addr_stride64_b64 v[64:67], v64 offset1:4
	v_dual_mov_b32 v84, 0 :: v_dual_mov_b32 v89, 40
	v_dual_mov_b32 v86, 16 :: v_dual_mov_b32 v91, 56
	;; [unrolled: 1-line block ×5, first 2 shown]
	v_mov_b32_e32 v102, 0x50
	v_mov_b32_e32 v104, 0x60
	;; [unrolled: 1-line block ×20, first 2 shown]
	s_mov_b64 s[8:9], 0
	s_mov_b32 s16, -1
.LBB187_11:                             ; =>This Inner Loop Header: Depth=1
	scratch_load_b64 v[124:125], v84, off
	scratch_load_b64 v[126:127], v85, off
	;; [unrolled: 1-line block ×32, first 2 shown]
	s_cmp_eq_u32 s8, 1
	s_waitcnt lgkmcnt(16)
	v_max_f64 v[190:191], v[0:1], v[0:1]
	s_cselect_b32 vcc_lo, -1, 0
	v_max_f64 v[192:193], v[2:3], v[2:3]
	s_waitcnt lgkmcnt(0)
	v_dual_cndmask_b32 v189, v65, v67 :: v_dual_cndmask_b32 v188, v64, v66
	v_max_f64 v[194:195], v[4:5], v[4:5]
	v_max_f64 v[196:197], v[6:7], v[6:7]
	;; [unrolled: 1-line block ×31, first 2 shown]
	s_mov_b64 s[8:9], 1
	s_and_b32 vcc_lo, exec_lo, s16
	s_mov_b32 s16, 0
	v_min_f64 v[190:191], v[190:191], v[188:189]
	v_min_f64 v[192:193], v[192:193], v[188:189]
	;; [unrolled: 1-line block ×32, first 2 shown]
	s_waitcnt vmcnt(31)
	v_add_f64 v[124:125], v[124:125], v[190:191]
	s_waitcnt vmcnt(30)
	v_add_f64 v[126:127], v[192:193], v[126:127]
	;; [unrolled: 2-line block ×32, first 2 shown]
	scratch_store_b64 v84, v[124:125], off
	scratch_store_b64 v85, v[126:127], off
	;; [unrolled: 1-line block ×32, first 2 shown]
	v_mov_b32_e32 v84, 0x100
	v_mov_b32_e32 v85, 0x108
	;; [unrolled: 1-line block ×32, first 2 shown]
	s_cbranch_vccnz .LBB187_11
; %bb.12:
	v_dual_mov_b32 v85, 8 :: v_dual_add_nc_u32 v60, 0x800, v98
	ds_load_2addr_b64 v[0:3], v98 offset0:2 offset1:18
	ds_load_2addr_b64 v[4:7], v98 offset0:34 offset1:50
	;; [unrolled: 1-line block ×12, first 2 shown]
	v_dual_mov_b32 v87, 24 :: v_dual_add_nc_u32 v64, 16, v100
	ds_load_2addr_b64 v[48:51], v60 offset0:130 offset1:146
	ds_load_2addr_b64 v[52:55], v60 offset0:162 offset1:178
	;; [unrolled: 1-line block ×4, first 2 shown]
	ds_load_2addr_stride64_b64 v[64:67], v64 offset1:4
	v_dual_mov_b32 v84, 0 :: v_dual_mov_b32 v89, 40
	v_dual_mov_b32 v86, 16 :: v_dual_mov_b32 v91, 56
	;; [unrolled: 1-line block ×5, first 2 shown]
	v_mov_b32_e32 v102, 0x50
	v_mov_b32_e32 v104, 0x60
	;; [unrolled: 1-line block ×20, first 2 shown]
	s_mov_b64 s[8:9], 0
	s_mov_b32 s16, -1
.LBB187_13:                             ; =>This Inner Loop Header: Depth=1
	scratch_load_b64 v[124:125], v84, off
	scratch_load_b64 v[126:127], v85, off
	;; [unrolled: 1-line block ×32, first 2 shown]
	s_cmp_eq_u32 s8, 1
	s_waitcnt lgkmcnt(16)
	v_max_f64 v[190:191], v[0:1], v[0:1]
	s_cselect_b32 vcc_lo, -1, 0
	v_max_f64 v[192:193], v[2:3], v[2:3]
	s_waitcnt lgkmcnt(0)
	v_dual_cndmask_b32 v189, v65, v67 :: v_dual_cndmask_b32 v188, v64, v66
	v_max_f64 v[194:195], v[4:5], v[4:5]
	v_max_f64 v[196:197], v[6:7], v[6:7]
	;; [unrolled: 1-line block ×31, first 2 shown]
	s_mov_b64 s[8:9], 1
	s_and_b32 vcc_lo, exec_lo, s16
	s_mov_b32 s16, 0
	v_min_f64 v[190:191], v[190:191], v[188:189]
	v_min_f64 v[192:193], v[192:193], v[188:189]
	v_min_f64 v[194:195], v[194:195], v[188:189]
	v_min_f64 v[196:197], v[196:197], v[188:189]
	v_min_f64 v[198:199], v[198:199], v[188:189]
	v_min_f64 v[200:201], v[200:201], v[188:189]
	v_min_f64 v[202:203], v[202:203], v[188:189]
	v_min_f64 v[204:205], v[204:205], v[188:189]
	v_min_f64 v[206:207], v[206:207], v[188:189]
	v_min_f64 v[208:209], v[208:209], v[188:189]
	v_min_f64 v[210:211], v[210:211], v[188:189]
	v_min_f64 v[212:213], v[212:213], v[188:189]
	v_min_f64 v[214:215], v[214:215], v[188:189]
	v_min_f64 v[216:217], v[216:217], v[188:189]
	v_min_f64 v[218:219], v[218:219], v[188:189]
	v_min_f64 v[220:221], v[220:221], v[188:189]
	v_min_f64 v[222:223], v[222:223], v[188:189]
	v_min_f64 v[224:225], v[224:225], v[188:189]
	v_min_f64 v[226:227], v[226:227], v[188:189]
	v_min_f64 v[228:229], v[228:229], v[188:189]
	v_min_f64 v[230:231], v[230:231], v[188:189]
	v_min_f64 v[232:233], v[232:233], v[188:189]
	v_min_f64 v[234:235], v[234:235], v[188:189]
	v_min_f64 v[236:237], v[236:237], v[188:189]
	v_min_f64 v[238:239], v[238:239], v[188:189]
	v_min_f64 v[240:241], v[240:241], v[188:189]
	v_min_f64 v[242:243], v[242:243], v[188:189]
	v_min_f64 v[244:245], v[244:245], v[188:189]
	v_min_f64 v[246:247], v[246:247], v[188:189]
	v_min_f64 v[248:249], v[248:249], v[188:189]
	v_min_f64 v[250:251], v[250:251], v[188:189]
	v_min_f64 v[188:189], v[252:253], v[188:189]
	s_waitcnt vmcnt(31)
	v_add_f64 v[124:125], v[124:125], v[190:191]
	s_waitcnt vmcnt(30)
	v_add_f64 v[126:127], v[192:193], v[126:127]
	;; [unrolled: 2-line block ×32, first 2 shown]
	scratch_store_b64 v84, v[124:125], off
	scratch_store_b64 v85, v[126:127], off
	;; [unrolled: 1-line block ×32, first 2 shown]
	v_mov_b32_e32 v84, 0x100
	v_mov_b32_e32 v85, 0x108
	;; [unrolled: 1-line block ×32, first 2 shown]
	s_cbranch_vccnz .LBB187_13
; %bb.14:
	v_dual_mov_b32 v85, 8 :: v_dual_add_nc_u32 v60, 0x800, v98
	ds_load_2addr_b64 v[0:3], v98 offset0:3 offset1:19
	ds_load_2addr_b64 v[4:7], v98 offset0:35 offset1:51
	;; [unrolled: 1-line block ×12, first 2 shown]
	v_dual_mov_b32 v87, 24 :: v_dual_add_nc_u32 v64, 24, v100
	ds_load_2addr_b64 v[48:51], v60 offset0:131 offset1:147
	ds_load_2addr_b64 v[52:55], v60 offset0:163 offset1:179
	;; [unrolled: 1-line block ×4, first 2 shown]
	ds_load_2addr_stride64_b64 v[64:67], v64 offset1:4
	v_dual_mov_b32 v84, 0 :: v_dual_mov_b32 v89, 40
	v_dual_mov_b32 v86, 16 :: v_dual_mov_b32 v91, 56
	;; [unrolled: 1-line block ×5, first 2 shown]
	v_mov_b32_e32 v102, 0x50
	v_mov_b32_e32 v104, 0x60
	;; [unrolled: 1-line block ×20, first 2 shown]
	s_mov_b64 s[8:9], 0
	s_mov_b32 s16, -1
.LBB187_15:                             ; =>This Inner Loop Header: Depth=1
	scratch_load_b64 v[124:125], v84, off
	scratch_load_b64 v[126:127], v85, off
	;; [unrolled: 1-line block ×32, first 2 shown]
	s_cmp_eq_u32 s8, 1
	s_waitcnt lgkmcnt(16)
	v_max_f64 v[190:191], v[0:1], v[0:1]
	s_cselect_b32 vcc_lo, -1, 0
	v_max_f64 v[192:193], v[2:3], v[2:3]
	s_waitcnt lgkmcnt(0)
	v_dual_cndmask_b32 v189, v65, v67 :: v_dual_cndmask_b32 v188, v64, v66
	v_max_f64 v[194:195], v[4:5], v[4:5]
	v_max_f64 v[196:197], v[6:7], v[6:7]
	;; [unrolled: 1-line block ×31, first 2 shown]
	s_mov_b64 s[8:9], 1
	s_and_b32 vcc_lo, exec_lo, s16
	s_mov_b32 s16, 0
	v_min_f64 v[190:191], v[190:191], v[188:189]
	v_min_f64 v[192:193], v[192:193], v[188:189]
	;; [unrolled: 1-line block ×32, first 2 shown]
	s_waitcnt vmcnt(31)
	v_add_f64 v[124:125], v[124:125], v[190:191]
	s_waitcnt vmcnt(30)
	v_add_f64 v[126:127], v[192:193], v[126:127]
	;; [unrolled: 2-line block ×32, first 2 shown]
	scratch_store_b64 v84, v[124:125], off
	scratch_store_b64 v85, v[126:127], off
	;; [unrolled: 1-line block ×32, first 2 shown]
	v_mov_b32_e32 v84, 0x100
	v_mov_b32_e32 v85, 0x108
	;; [unrolled: 1-line block ×32, first 2 shown]
	s_cbranch_vccnz .LBB187_15
; %bb.16:
	s_load_b32 s17, s[0:1], 0x8
	s_mov_b32 s16, 8
	ds_store_2addr_stride64_b64 v99, v[82:83], v[80:81] offset0:8 offset1:12
	ds_store_2addr_stride64_b64 v99, v[78:79], v[76:77] offset0:24 offset1:28
	s_waitcnt lgkmcnt(0)
	s_waitcnt_vscnt null, 0x0
	s_barrier
	buffer_gl0_inv
	s_cmp_gt_i32 s17, 8
	s_cbranch_scc0 .LBB187_35
; %bb.17:
	v_lshl_add_u32 v102, v94, 5, 0x1000
	v_add_nc_u32_e32 v103, 0x1000, v99
	v_dual_mov_b32 v77, 0 :: v_dual_add_nc_u32 v104, 0x3000, v99
	v_lshl_add_u32 v105, v95, 5, 0x3000
	s_delay_alu instid0(VALU_DEP_4)
	v_add_nc_u32_e32 v106, 0x800, v102
	s_add_i32 s17, s17, -8
	s_mov_b32 s21, 0
.LBB187_18:                             ; =>This Loop Header: Depth=1
                                        ;     Child Loop BB187_19 Depth 2
                                        ;     Child Loop BB187_21 Depth 2
	;; [unrolled: 1-line block ×8, first 2 shown]
	v_or_b32_e32 v76, s16, v96
	v_dual_mov_b32 v137, 0 :: v_dual_mov_b32 v136, 8
	v_dual_mov_b32 v135, 16 :: v_dual_mov_b32 v134, 24
	s_delay_alu instid0(VALU_DEP_3) | instskip(SKIP_3) | instid1(VALU_DEP_4)
	v_lshlrev_b64 v[0:1], 3, v[76:77]
	v_dual_mov_b32 v133, 32 :: v_dual_mov_b32 v132, 40
	v_dual_mov_b32 v131, 48 :: v_dual_mov_b32 v130, 56
	;; [unrolled: 1-line block ×3, first 2 shown]
	v_add_co_u32 v2, vcc_lo, s2, v0
	v_add_co_ci_u32_e32 v3, vcc_lo, s3, v1, vcc_lo
	v_add_co_u32 v0, vcc_lo, s12, v0
	v_add_co_ci_u32_e32 v1, vcc_lo, s13, v1, vcc_lo
	s_delay_alu instid0(VALU_DEP_4) | instskip(NEXT) | instid1(VALU_DEP_4)
	v_add_co_u32 v78, vcc_lo, v2, v68
	v_add_co_ci_u32_e32 v79, vcc_lo, v3, v69, vcc_lo
	v_add_co_u32 v80, vcc_lo, v2, v70
	v_add_co_ci_u32_e32 v81, vcc_lo, v3, v71, vcc_lo
	;; [unrolled: 2-line block ×4, first 2 shown]
	s_clause 0x1
	flat_load_b64 v[86:87], v[78:79]
	flat_load_b64 v[88:89], v[80:81]
	s_clause 0x1
	flat_load_b64 v[90:91], v[82:83]
	flat_load_b64 v[92:93], v[84:85]
	ds_load_2addr_b64 v[0:3], v102 offset1:16
	ds_load_2addr_b64 v[4:7], v102 offset0:32 offset1:48
	ds_load_2addr_b64 v[8:11], v102 offset0:64 offset1:80
	;; [unrolled: 1-line block ×7, first 2 shown]
	ds_load_2addr_b64 v[32:35], v106 offset1:16
	ds_load_2addr_b64 v[36:39], v106 offset0:32 offset1:48
	ds_load_2addr_b64 v[40:43], v106 offset0:64 offset1:80
	;; [unrolled: 1-line block ×7, first 2 shown]
	ds_load_2addr_stride64_b64 v[64:67], v105 offset1:4
	v_mov_b32_e32 v127, 0x50
	v_mov_b32_e32 v126, 0x58
	;; [unrolled: 1-line block ×22, first 2 shown]
	s_mov_b64 s[8:9], 0
	s_mov_b32 s22, -1
.LBB187_19:                             ;   Parent Loop BB187_18 Depth=1
                                        ; =>  This Inner Loop Header: Depth=2
	scratch_load_b64 v[142:143], v137, off
	s_cmp_eq_u32 s8, 1
	s_waitcnt lgkmcnt(16)
	v_max_f64 v[140:141], v[0:1], v[0:1]
	s_cselect_b32 vcc_lo, -1, 0
	s_mov_b64 s[8:9], 1
	s_waitcnt lgkmcnt(0)
	v_dual_cndmask_b32 v139, v65, v67 :: v_dual_cndmask_b32 v138, v64, v66
	s_and_b32 vcc_lo, exec_lo, s22
	s_mov_b32 s22, 0
	s_delay_alu instid0(VALU_DEP_1) | instskip(NEXT) | instid1(VALU_DEP_1)
	v_max_f64 v[138:139], v[138:139], v[138:139]
	v_min_f64 v[140:141], v[140:141], v[138:139]
	s_waitcnt vmcnt(0)
	s_delay_alu instid0(VALU_DEP_1) | instskip(SKIP_3) | instid1(VALU_DEP_1)
	v_add_f64 v[140:141], v[142:143], v[140:141]
	scratch_load_b64 v[142:143], v136, off
	scratch_store_b64 v137, v[140:141], off
	v_max_f64 v[140:141], v[2:3], v[2:3]
	v_min_f64 v[140:141], v[140:141], v[138:139]
	s_waitcnt vmcnt(0)
	s_delay_alu instid0(VALU_DEP_1) | instskip(SKIP_3) | instid1(VALU_DEP_1)
	v_add_f64 v[140:141], v[140:141], v[142:143]
	scratch_store_b64 v136, v[140:141], off
	scratch_load_b64 v[140:141], v135, off
	v_max_f64 v[136:137], v[4:5], v[4:5]
	v_min_f64 v[136:137], v[136:137], v[138:139]
	s_waitcnt vmcnt(0)
	s_delay_alu instid0(VALU_DEP_1) | instskip(SKIP_3) | instid1(VALU_DEP_1)
	v_add_f64 v[136:137], v[136:137], v[140:141]
	scratch_load_b64 v[140:141], v134, off
	scratch_store_b64 v135, v[136:137], off
	v_max_f64 v[135:136], v[6:7], v[6:7]
	v_min_f64 v[135:136], v[135:136], v[138:139]
	s_waitcnt vmcnt(0)
	s_delay_alu instid0(VALU_DEP_1) | instskip(SKIP_3) | instid1(VALU_DEP_1)
	v_add_f64 v[135:136], v[135:136], v[140:141]
	scratch_store_b64 v134, v[135:136], off
	scratch_load_b64 v[136:137], v133, off
	v_max_f64 v[134:135], v[8:9], v[8:9]
	v_min_f64 v[134:135], v[134:135], v[138:139]
	s_waitcnt vmcnt(0)
	s_delay_alu instid0(VALU_DEP_1) | instskip(SKIP_4) | instid1(VALU_DEP_1)
	v_add_f64 v[134:135], v[134:135], v[136:137]
	v_mov_b32_e32 v137, 0x100
	scratch_store_b64 v133, v[134:135], off
	scratch_load_b64 v[135:136], v132, off
	v_max_f64 v[133:134], v[10:11], v[10:11]
	v_min_f64 v[133:134], v[133:134], v[138:139]
	s_waitcnt vmcnt(0)
	s_delay_alu instid0(VALU_DEP_1) | instskip(SKIP_4) | instid1(VALU_DEP_1)
	v_add_f64 v[133:134], v[133:134], v[135:136]
	v_mov_b32_e32 v136, 0x108
	;; [unrolled: 8-line block ×27, first 2 shown]
	scratch_store_b64 v107, v[108:109], off
	scratch_load_b64 v[109:110], v76, off
	v_max_f64 v[107:108], v[62:63], v[62:63]
	v_min_f64 v[107:108], v[107:108], v[138:139]
	s_waitcnt vmcnt(0)
	s_delay_alu instid0(VALU_DEP_1)
	v_add_f64 v[107:108], v[107:108], v[109:110]
	v_mov_b32_e32 v110, 0x1d8
	v_mov_b32_e32 v109, 0x1e0
	scratch_store_b64 v76, v[107:108], off
	v_mov_b32_e32 v108, 0x1e8
	v_mov_b32_e32 v107, 0x1f0
	;; [unrolled: 1-line block ×3, first 2 shown]
	s_cbranch_vccnz .LBB187_19
; %bb.20:                               ;   in Loop: Header=BB187_18 Depth=1
	ds_load_2addr_b64 v[0:3], v102 offset0:1 offset1:17
	ds_load_2addr_b64 v[4:7], v102 offset0:33 offset1:49
	;; [unrolled: 1-line block ×12, first 2 shown]
	v_dual_mov_b32 v137, 0 :: v_dual_add_nc_u32 v64, 8, v105
	ds_load_2addr_b64 v[48:51], v106 offset0:129 offset1:145
	ds_load_2addr_b64 v[52:55], v106 offset0:161 offset1:177
	;; [unrolled: 1-line block ×4, first 2 shown]
	ds_load_2addr_stride64_b64 v[64:67], v64 offset1:4
	v_dual_mov_b32 v136, 8 :: v_dual_mov_b32 v135, 16
	v_dual_mov_b32 v134, 24 :: v_dual_mov_b32 v133, 32
	;; [unrolled: 1-line block ×4, first 2 shown]
	v_mov_b32_e32 v128, 0x48
	v_mov_b32_e32 v127, 0x50
	v_mov_b32_e32 v126, 0x58
	v_mov_b32_e32 v125, 0x60
	v_mov_b32_e32 v124, 0x68
	v_mov_b32_e32 v123, 0x70
	v_mov_b32_e32 v122, 0x78
	v_mov_b32_e32 v121, 0x80
	v_mov_b32_e32 v120, 0x88
	v_mov_b32_e32 v119, 0x90
	v_mov_b32_e32 v118, 0x98
	v_mov_b32_e32 v117, 0xa0
	v_mov_b32_e32 v116, 0xa8
	v_mov_b32_e32 v115, 0xb0
	v_mov_b32_e32 v114, 0xb8
	v_mov_b32_e32 v113, 0xc0
	v_mov_b32_e32 v112, 0xc8
	v_mov_b32_e32 v111, 0xd0
	v_mov_b32_e32 v110, 0xd8
	v_mov_b32_e32 v109, 0xe0
	v_mov_b32_e32 v108, 0xe8
	v_mov_b32_e32 v107, 0xf0
	v_mov_b32_e32 v76, 0xf8
	s_mov_b64 s[8:9], 0
	s_mov_b32 s22, -1
.LBB187_21:                             ;   Parent Loop BB187_18 Depth=1
                                        ; =>  This Inner Loop Header: Depth=2
	scratch_load_b64 v[142:143], v137, off
	s_cmp_eq_u32 s8, 1
	s_waitcnt lgkmcnt(16)
	v_max_f64 v[140:141], v[0:1], v[0:1]
	s_cselect_b32 vcc_lo, -1, 0
	s_mov_b64 s[8:9], 1
	s_waitcnt lgkmcnt(0)
	v_dual_cndmask_b32 v139, v65, v67 :: v_dual_cndmask_b32 v138, v64, v66
	s_and_b32 vcc_lo, exec_lo, s22
	s_mov_b32 s22, 0
	s_delay_alu instid0(VALU_DEP_1) | instskip(NEXT) | instid1(VALU_DEP_1)
	v_max_f64 v[138:139], v[138:139], v[138:139]
	v_min_f64 v[140:141], v[140:141], v[138:139]
	s_waitcnt vmcnt(0)
	s_delay_alu instid0(VALU_DEP_1) | instskip(SKIP_3) | instid1(VALU_DEP_1)
	v_add_f64 v[140:141], v[142:143], v[140:141]
	scratch_load_b64 v[142:143], v136, off
	scratch_store_b64 v137, v[140:141], off
	v_max_f64 v[140:141], v[2:3], v[2:3]
	v_min_f64 v[140:141], v[140:141], v[138:139]
	s_waitcnt vmcnt(0)
	s_delay_alu instid0(VALU_DEP_1) | instskip(SKIP_3) | instid1(VALU_DEP_1)
	v_add_f64 v[140:141], v[140:141], v[142:143]
	scratch_store_b64 v136, v[140:141], off
	scratch_load_b64 v[140:141], v135, off
	v_max_f64 v[136:137], v[4:5], v[4:5]
	v_min_f64 v[136:137], v[136:137], v[138:139]
	s_waitcnt vmcnt(0)
	s_delay_alu instid0(VALU_DEP_1) | instskip(SKIP_3) | instid1(VALU_DEP_1)
	v_add_f64 v[136:137], v[136:137], v[140:141]
	scratch_load_b64 v[140:141], v134, off
	scratch_store_b64 v135, v[136:137], off
	v_max_f64 v[135:136], v[6:7], v[6:7]
	v_min_f64 v[135:136], v[135:136], v[138:139]
	s_waitcnt vmcnt(0)
	s_delay_alu instid0(VALU_DEP_1) | instskip(SKIP_3) | instid1(VALU_DEP_1)
	v_add_f64 v[135:136], v[135:136], v[140:141]
	scratch_store_b64 v134, v[135:136], off
	scratch_load_b64 v[136:137], v133, off
	v_max_f64 v[134:135], v[8:9], v[8:9]
	v_min_f64 v[134:135], v[134:135], v[138:139]
	s_waitcnt vmcnt(0)
	s_delay_alu instid0(VALU_DEP_1) | instskip(SKIP_4) | instid1(VALU_DEP_1)
	v_add_f64 v[134:135], v[134:135], v[136:137]
	v_mov_b32_e32 v137, 0x100
	scratch_store_b64 v133, v[134:135], off
	scratch_load_b64 v[135:136], v132, off
	v_max_f64 v[133:134], v[10:11], v[10:11]
	v_min_f64 v[133:134], v[133:134], v[138:139]
	s_waitcnt vmcnt(0)
	s_delay_alu instid0(VALU_DEP_1) | instskip(SKIP_4) | instid1(VALU_DEP_1)
	v_add_f64 v[133:134], v[133:134], v[135:136]
	v_mov_b32_e32 v136, 0x108
	;; [unrolled: 8-line block ×27, first 2 shown]
	scratch_store_b64 v107, v[108:109], off
	scratch_load_b64 v[109:110], v76, off
	v_max_f64 v[107:108], v[62:63], v[62:63]
	v_min_f64 v[107:108], v[107:108], v[138:139]
	s_waitcnt vmcnt(0)
	s_delay_alu instid0(VALU_DEP_1)
	v_add_f64 v[107:108], v[107:108], v[109:110]
	v_mov_b32_e32 v110, 0x1d8
	v_mov_b32_e32 v109, 0x1e0
	scratch_store_b64 v76, v[107:108], off
	v_mov_b32_e32 v108, 0x1e8
	v_mov_b32_e32 v107, 0x1f0
	;; [unrolled: 1-line block ×3, first 2 shown]
	s_cbranch_vccnz .LBB187_21
; %bb.22:                               ;   in Loop: Header=BB187_18 Depth=1
	ds_load_2addr_b64 v[0:3], v102 offset0:2 offset1:18
	ds_load_2addr_b64 v[4:7], v102 offset0:34 offset1:50
	;; [unrolled: 1-line block ×12, first 2 shown]
	v_dual_mov_b32 v137, 0 :: v_dual_add_nc_u32 v64, 16, v105
	ds_load_2addr_b64 v[48:51], v106 offset0:130 offset1:146
	ds_load_2addr_b64 v[52:55], v106 offset0:162 offset1:178
	;; [unrolled: 1-line block ×4, first 2 shown]
	ds_load_2addr_stride64_b64 v[64:67], v64 offset1:4
	v_dual_mov_b32 v136, 8 :: v_dual_mov_b32 v135, 16
	v_dual_mov_b32 v134, 24 :: v_dual_mov_b32 v133, 32
	;; [unrolled: 1-line block ×4, first 2 shown]
	v_mov_b32_e32 v128, 0x48
	v_mov_b32_e32 v127, 0x50
	;; [unrolled: 1-line block ×23, first 2 shown]
	s_mov_b64 s[8:9], 0
	s_mov_b32 s22, -1
.LBB187_23:                             ;   Parent Loop BB187_18 Depth=1
                                        ; =>  This Inner Loop Header: Depth=2
	scratch_load_b64 v[142:143], v137, off
	s_cmp_eq_u32 s8, 1
	s_waitcnt lgkmcnt(16)
	v_max_f64 v[140:141], v[0:1], v[0:1]
	s_cselect_b32 vcc_lo, -1, 0
	s_mov_b64 s[8:9], 1
	s_waitcnt lgkmcnt(0)
	v_dual_cndmask_b32 v139, v65, v67 :: v_dual_cndmask_b32 v138, v64, v66
	s_and_b32 vcc_lo, exec_lo, s22
	s_mov_b32 s22, 0
	s_delay_alu instid0(VALU_DEP_1) | instskip(NEXT) | instid1(VALU_DEP_1)
	v_max_f64 v[138:139], v[138:139], v[138:139]
	v_min_f64 v[140:141], v[140:141], v[138:139]
	s_waitcnt vmcnt(0)
	s_delay_alu instid0(VALU_DEP_1) | instskip(SKIP_3) | instid1(VALU_DEP_1)
	v_add_f64 v[140:141], v[142:143], v[140:141]
	scratch_load_b64 v[142:143], v136, off
	scratch_store_b64 v137, v[140:141], off
	v_max_f64 v[140:141], v[2:3], v[2:3]
	v_min_f64 v[140:141], v[140:141], v[138:139]
	s_waitcnt vmcnt(0)
	s_delay_alu instid0(VALU_DEP_1) | instskip(SKIP_3) | instid1(VALU_DEP_1)
	v_add_f64 v[140:141], v[140:141], v[142:143]
	scratch_store_b64 v136, v[140:141], off
	scratch_load_b64 v[140:141], v135, off
	v_max_f64 v[136:137], v[4:5], v[4:5]
	v_min_f64 v[136:137], v[136:137], v[138:139]
	s_waitcnt vmcnt(0)
	s_delay_alu instid0(VALU_DEP_1) | instskip(SKIP_3) | instid1(VALU_DEP_1)
	v_add_f64 v[136:137], v[136:137], v[140:141]
	scratch_load_b64 v[140:141], v134, off
	scratch_store_b64 v135, v[136:137], off
	v_max_f64 v[135:136], v[6:7], v[6:7]
	v_min_f64 v[135:136], v[135:136], v[138:139]
	s_waitcnt vmcnt(0)
	s_delay_alu instid0(VALU_DEP_1) | instskip(SKIP_3) | instid1(VALU_DEP_1)
	v_add_f64 v[135:136], v[135:136], v[140:141]
	scratch_store_b64 v134, v[135:136], off
	scratch_load_b64 v[136:137], v133, off
	v_max_f64 v[134:135], v[8:9], v[8:9]
	v_min_f64 v[134:135], v[134:135], v[138:139]
	s_waitcnt vmcnt(0)
	s_delay_alu instid0(VALU_DEP_1) | instskip(SKIP_4) | instid1(VALU_DEP_1)
	v_add_f64 v[134:135], v[134:135], v[136:137]
	v_mov_b32_e32 v137, 0x100
	scratch_store_b64 v133, v[134:135], off
	scratch_load_b64 v[135:136], v132, off
	v_max_f64 v[133:134], v[10:11], v[10:11]
	v_min_f64 v[133:134], v[133:134], v[138:139]
	s_waitcnt vmcnt(0)
	s_delay_alu instid0(VALU_DEP_1) | instskip(SKIP_4) | instid1(VALU_DEP_1)
	v_add_f64 v[133:134], v[133:134], v[135:136]
	v_mov_b32_e32 v136, 0x108
	;; [unrolled: 8-line block ×27, first 2 shown]
	scratch_store_b64 v107, v[108:109], off
	scratch_load_b64 v[109:110], v76, off
	v_max_f64 v[107:108], v[62:63], v[62:63]
	v_min_f64 v[107:108], v[107:108], v[138:139]
	s_waitcnt vmcnt(0)
	s_delay_alu instid0(VALU_DEP_1)
	v_add_f64 v[107:108], v[107:108], v[109:110]
	v_mov_b32_e32 v110, 0x1d8
	v_mov_b32_e32 v109, 0x1e0
	scratch_store_b64 v76, v[107:108], off
	v_mov_b32_e32 v108, 0x1e8
	v_mov_b32_e32 v107, 0x1f0
	v_mov_b32_e32 v76, 0x1f8
	s_cbranch_vccnz .LBB187_23
; %bb.24:                               ;   in Loop: Header=BB187_18 Depth=1
	ds_load_2addr_b64 v[0:3], v102 offset0:3 offset1:19
	ds_load_2addr_b64 v[4:7], v102 offset0:35 offset1:51
	;; [unrolled: 1-line block ×12, first 2 shown]
	v_dual_mov_b32 v137, 0 :: v_dual_add_nc_u32 v64, 24, v105
	ds_load_2addr_b64 v[48:51], v106 offset0:131 offset1:147
	ds_load_2addr_b64 v[52:55], v106 offset0:163 offset1:179
	;; [unrolled: 1-line block ×4, first 2 shown]
	ds_load_2addr_stride64_b64 v[64:67], v64 offset1:4
	v_dual_mov_b32 v136, 8 :: v_dual_mov_b32 v135, 16
	v_dual_mov_b32 v134, 24 :: v_dual_mov_b32 v133, 32
	;; [unrolled: 1-line block ×4, first 2 shown]
	v_mov_b32_e32 v128, 0x48
	v_mov_b32_e32 v127, 0x50
	;; [unrolled: 1-line block ×23, first 2 shown]
	s_mov_b64 s[8:9], 0
	s_mov_b32 s22, -1
.LBB187_25:                             ;   Parent Loop BB187_18 Depth=1
                                        ; =>  This Inner Loop Header: Depth=2
	scratch_load_b64 v[142:143], v137, off
	s_cmp_eq_u32 s8, 1
	s_waitcnt lgkmcnt(16)
	v_max_f64 v[140:141], v[0:1], v[0:1]
	s_cselect_b32 vcc_lo, -1, 0
	s_mov_b64 s[8:9], 1
	s_waitcnt lgkmcnt(0)
	v_dual_cndmask_b32 v139, v65, v67 :: v_dual_cndmask_b32 v138, v64, v66
	s_and_b32 vcc_lo, exec_lo, s22
	s_mov_b32 s22, 0
	s_delay_alu instid0(VALU_DEP_1) | instskip(NEXT) | instid1(VALU_DEP_1)
	v_max_f64 v[138:139], v[138:139], v[138:139]
	v_min_f64 v[140:141], v[140:141], v[138:139]
	s_waitcnt vmcnt(0)
	s_delay_alu instid0(VALU_DEP_1) | instskip(SKIP_3) | instid1(VALU_DEP_1)
	v_add_f64 v[140:141], v[142:143], v[140:141]
	scratch_load_b64 v[142:143], v136, off
	scratch_store_b64 v137, v[140:141], off
	v_max_f64 v[140:141], v[2:3], v[2:3]
	v_min_f64 v[140:141], v[140:141], v[138:139]
	s_waitcnt vmcnt(0)
	s_delay_alu instid0(VALU_DEP_1) | instskip(SKIP_3) | instid1(VALU_DEP_1)
	v_add_f64 v[140:141], v[140:141], v[142:143]
	scratch_store_b64 v136, v[140:141], off
	scratch_load_b64 v[140:141], v135, off
	v_max_f64 v[136:137], v[4:5], v[4:5]
	v_min_f64 v[136:137], v[136:137], v[138:139]
	s_waitcnt vmcnt(0)
	s_delay_alu instid0(VALU_DEP_1) | instskip(SKIP_3) | instid1(VALU_DEP_1)
	v_add_f64 v[136:137], v[136:137], v[140:141]
	scratch_load_b64 v[140:141], v134, off
	scratch_store_b64 v135, v[136:137], off
	v_max_f64 v[135:136], v[6:7], v[6:7]
	v_min_f64 v[135:136], v[135:136], v[138:139]
	s_waitcnt vmcnt(0)
	s_delay_alu instid0(VALU_DEP_1) | instskip(SKIP_3) | instid1(VALU_DEP_1)
	v_add_f64 v[135:136], v[135:136], v[140:141]
	scratch_store_b64 v134, v[135:136], off
	scratch_load_b64 v[136:137], v133, off
	v_max_f64 v[134:135], v[8:9], v[8:9]
	v_min_f64 v[134:135], v[134:135], v[138:139]
	s_waitcnt vmcnt(0)
	s_delay_alu instid0(VALU_DEP_1) | instskip(SKIP_4) | instid1(VALU_DEP_1)
	v_add_f64 v[134:135], v[134:135], v[136:137]
	v_mov_b32_e32 v137, 0x100
	scratch_store_b64 v133, v[134:135], off
	scratch_load_b64 v[135:136], v132, off
	v_max_f64 v[133:134], v[10:11], v[10:11]
	v_min_f64 v[133:134], v[133:134], v[138:139]
	s_waitcnt vmcnt(0)
	s_delay_alu instid0(VALU_DEP_1) | instskip(SKIP_4) | instid1(VALU_DEP_1)
	v_add_f64 v[133:134], v[133:134], v[135:136]
	v_mov_b32_e32 v136, 0x108
	;; [unrolled: 8-line block ×27, first 2 shown]
	scratch_store_b64 v107, v[108:109], off
	scratch_load_b64 v[109:110], v76, off
	v_max_f64 v[107:108], v[62:63], v[62:63]
	v_min_f64 v[107:108], v[107:108], v[138:139]
	s_waitcnt vmcnt(0)
	s_delay_alu instid0(VALU_DEP_1)
	v_add_f64 v[107:108], v[107:108], v[109:110]
	v_mov_b32_e32 v110, 0x1d8
	v_mov_b32_e32 v109, 0x1e0
	scratch_store_b64 v76, v[107:108], off
	v_mov_b32_e32 v108, 0x1e8
	v_mov_b32_e32 v107, 0x1f0
	;; [unrolled: 1-line block ×3, first 2 shown]
	s_cbranch_vccnz .LBB187_25
; %bb.26:                               ;   in Loop: Header=BB187_18 Depth=1
	ds_store_2addr_stride64_b64 v99, v[86:87], v[88:89] offset1:4
	ds_store_2addr_stride64_b64 v101, v[90:91], v[92:93] offset1:4
	s_waitcnt lgkmcnt(0)
	s_waitcnt_vscnt null, 0x0
	s_barrier
	buffer_gl0_inv
	s_clause 0x1
	flat_load_b64 v[78:79], v[78:79] offset:32
	flat_load_b64 v[80:81], v[80:81] offset:32
	s_clause 0x1
	flat_load_b64 v[82:83], v[82:83] offset:32
	flat_load_b64 v[84:85], v[84:85] offset:32
	v_dual_mov_b32 v129, 8 :: v_dual_add_nc_u32 v76, 0x800, v98
	ds_load_2addr_b64 v[0:3], v98 offset1:16
	ds_load_2addr_b64 v[4:7], v98 offset0:32 offset1:48
	ds_load_2addr_b64 v[8:11], v98 offset0:64 offset1:80
	ds_load_2addr_b64 v[12:15], v98 offset0:96 offset1:112
	ds_load_2addr_b64 v[16:19], v98 offset0:128 offset1:144
	ds_load_2addr_b64 v[20:23], v98 offset0:160 offset1:176
	ds_load_2addr_b64 v[24:27], v98 offset0:192 offset1:208
	ds_load_2addr_b64 v[28:31], v98 offset0:224 offset1:240
	ds_load_2addr_b64 v[32:35], v76 offset1:16
	ds_load_2addr_b64 v[36:39], v76 offset0:32 offset1:48
	ds_load_2addr_b64 v[40:43], v76 offset0:64 offset1:80
	;; [unrolled: 1-line block ×7, first 2 shown]
	ds_load_2addr_stride64_b64 v[64:67], v100 offset1:4
	v_dual_mov_b32 v130, 0 :: v_dual_mov_b32 v127, 24
	v_dual_mov_b32 v128, 16 :: v_dual_mov_b32 v125, 40
	;; [unrolled: 1-line block ×5, first 2 shown]
	v_mov_b32_e32 v120, 0x50
	v_mov_b32_e32 v118, 0x60
	;; [unrolled: 1-line block ×21, first 2 shown]
	s_mov_b64 s[8:9], 0
	s_mov_b32 s22, -1
.LBB187_27:                             ;   Parent Loop BB187_18 Depth=1
                                        ; =>  This Inner Loop Header: Depth=2
	scratch_load_b64 v[135:136], v130, off
	s_cmp_eq_u32 s8, 1
	s_waitcnt lgkmcnt(16)
	v_max_f64 v[133:134], v[0:1], v[0:1]
	s_cselect_b32 vcc_lo, -1, 0
	s_mov_b64 s[8:9], 1
	s_waitcnt lgkmcnt(0)
	v_dual_cndmask_b32 v132, v65, v67 :: v_dual_cndmask_b32 v131, v64, v66
	s_and_b32 vcc_lo, exec_lo, s22
	s_mov_b32 s22, 0
	s_delay_alu instid0(VALU_DEP_1) | instskip(NEXT) | instid1(VALU_DEP_1)
	v_max_f64 v[131:132], v[131:132], v[131:132]
	v_min_f64 v[133:134], v[133:134], v[131:132]
	s_waitcnt vmcnt(0)
	s_delay_alu instid0(VALU_DEP_1) | instskip(SKIP_3) | instid1(VALU_DEP_1)
	v_add_f64 v[133:134], v[135:136], v[133:134]
	scratch_load_b64 v[135:136], v129, off
	scratch_store_b64 v130, v[133:134], off
	v_max_f64 v[133:134], v[2:3], v[2:3]
	v_min_f64 v[133:134], v[133:134], v[131:132]
	s_waitcnt vmcnt(0)
	s_delay_alu instid0(VALU_DEP_1) | instskip(SKIP_3) | instid1(VALU_DEP_1)
	v_add_f64 v[133:134], v[133:134], v[135:136]
	scratch_store_b64 v129, v[133:134], off
	scratch_load_b64 v[133:134], v128, off
	v_max_f64 v[129:130], v[4:5], v[4:5]
	v_min_f64 v[129:130], v[129:130], v[131:132]
	s_waitcnt vmcnt(0)
	s_delay_alu instid0(VALU_DEP_1) | instskip(SKIP_3) | instid1(VALU_DEP_1)
	v_add_f64 v[129:130], v[129:130], v[133:134]
	scratch_load_b64 v[133:134], v127, off
	scratch_store_b64 v128, v[129:130], off
	v_max_f64 v[128:129], v[6:7], v[6:7]
	v_min_f64 v[128:129], v[128:129], v[131:132]
	s_waitcnt vmcnt(0)
	s_delay_alu instid0(VALU_DEP_1) | instskip(SKIP_3) | instid1(VALU_DEP_1)
	v_add_f64 v[128:129], v[128:129], v[133:134]
	scratch_store_b64 v127, v[128:129], off
	scratch_load_b64 v[129:130], v126, off
	v_max_f64 v[127:128], v[8:9], v[8:9]
	v_min_f64 v[127:128], v[127:128], v[131:132]
	s_waitcnt vmcnt(0)
	s_delay_alu instid0(VALU_DEP_1) | instskip(SKIP_4) | instid1(VALU_DEP_1)
	v_add_f64 v[127:128], v[127:128], v[129:130]
	v_mov_b32_e32 v130, 0x100
	scratch_store_b64 v126, v[127:128], off
	scratch_load_b64 v[128:129], v125, off
	v_max_f64 v[126:127], v[10:11], v[10:11]
	v_min_f64 v[126:127], v[126:127], v[131:132]
	s_waitcnt vmcnt(0)
	s_delay_alu instid0(VALU_DEP_1) | instskip(SKIP_4) | instid1(VALU_DEP_1)
	v_add_f64 v[126:127], v[126:127], v[128:129]
	v_mov_b32_e32 v129, 0x108
	;; [unrolled: 8-line block ×20, first 2 shown]
	scratch_store_b64 v107, v[108:109], off
	scratch_load_b64 v[109:110], v93, off
	v_max_f64 v[107:108], v[48:49], v[48:49]
	v_min_f64 v[107:108], v[107:108], v[131:132]
	s_waitcnt vmcnt(0)
	s_delay_alu instid0(VALU_DEP_1) | instskip(SKIP_3) | instid1(VALU_DEP_1)
	v_add_f64 v[107:108], v[107:108], v[109:110]
	scratch_load_b64 v[109:110], v92, off
	scratch_store_b64 v93, v[107:108], off
	v_max_f64 v[107:108], v[50:51], v[50:51]
	v_min_f64 v[107:108], v[107:108], v[131:132]
	s_waitcnt vmcnt(0)
	s_delay_alu instid0(VALU_DEP_1)
	v_add_f64 v[107:108], v[107:108], v[109:110]
	v_mov_b32_e32 v110, 0x1a0
	v_mov_b32_e32 v109, 0x1a8
	scratch_store_b64 v92, v[107:108], off
	scratch_load_b64 v[107:108], v91, off
	v_max_f64 v[92:93], v[52:53], v[52:53]
	s_delay_alu instid0(VALU_DEP_1) | instskip(SKIP_1) | instid1(VALU_DEP_1)
	v_min_f64 v[92:93], v[92:93], v[131:132]
	s_waitcnt vmcnt(0)
	v_add_f64 v[92:93], v[92:93], v[107:108]
	scratch_load_b64 v[107:108], v90, off
	scratch_store_b64 v91, v[92:93], off
	v_max_f64 v[91:92], v[54:55], v[54:55]
	s_delay_alu instid0(VALU_DEP_1) | instskip(SKIP_1) | instid1(VALU_DEP_1)
	v_min_f64 v[91:92], v[91:92], v[131:132]
	s_waitcnt vmcnt(0)
	v_add_f64 v[91:92], v[91:92], v[107:108]
	v_mov_b32_e32 v108, 0x1b0
	v_mov_b32_e32 v107, 0x1b8
	scratch_store_b64 v90, v[91:92], off
	scratch_load_b64 v[92:93], v89, off
	v_max_f64 v[90:91], v[56:57], v[56:57]
	s_delay_alu instid0(VALU_DEP_1) | instskip(SKIP_1) | instid1(VALU_DEP_1)
	v_min_f64 v[90:91], v[90:91], v[131:132]
	s_waitcnt vmcnt(0)
	v_add_f64 v[90:91], v[90:91], v[92:93]
	v_mov_b32_e32 v93, 0x1c0
	scratch_store_b64 v89, v[90:91], off
	scratch_load_b64 v[91:92], v88, off
	v_max_f64 v[89:90], v[58:59], v[58:59]
	s_delay_alu instid0(VALU_DEP_1) | instskip(SKIP_1) | instid1(VALU_DEP_1)
	v_min_f64 v[89:90], v[89:90], v[131:132]
	s_waitcnt vmcnt(0)
	v_add_f64 v[89:90], v[89:90], v[91:92]
	;; [unrolled: 8-line block ×4, first 2 shown]
	v_mov_b32_e32 v90, 0x1d8
	v_mov_b32_e32 v89, 0x1e0
	scratch_store_b64 v86, v[87:88], off
	v_mov_b32_e32 v88, 0x1e8
	v_mov_b32_e32 v87, 0x1f0
	;; [unrolled: 1-line block ×3, first 2 shown]
	s_cbranch_vccnz .LBB187_27
; %bb.28:                               ;   in Loop: Header=BB187_18 Depth=1
	ds_load_2addr_b64 v[0:3], v98 offset0:1 offset1:17
	ds_load_2addr_b64 v[4:7], v98 offset0:33 offset1:49
	;; [unrolled: 1-line block ×12, first 2 shown]
	v_dual_mov_b32 v129, 8 :: v_dual_add_nc_u32 v64, 8, v100
	ds_load_2addr_b64 v[48:51], v76 offset0:129 offset1:145
	ds_load_2addr_b64 v[52:55], v76 offset0:161 offset1:177
	;; [unrolled: 1-line block ×4, first 2 shown]
	ds_load_2addr_stride64_b64 v[64:67], v64 offset1:4
	v_dual_mov_b32 v130, 0 :: v_dual_mov_b32 v127, 24
	v_dual_mov_b32 v128, 16 :: v_dual_mov_b32 v125, 40
	;; [unrolled: 1-line block ×5, first 2 shown]
	v_mov_b32_e32 v120, 0x50
	v_mov_b32_e32 v118, 0x60
	;; [unrolled: 1-line block ×21, first 2 shown]
	s_mov_b64 s[8:9], 0
	s_mov_b32 s22, -1
.LBB187_29:                             ;   Parent Loop BB187_18 Depth=1
                                        ; =>  This Inner Loop Header: Depth=2
	scratch_load_b64 v[135:136], v130, off
	s_cmp_eq_u32 s8, 1
	s_waitcnt lgkmcnt(16)
	v_max_f64 v[133:134], v[0:1], v[0:1]
	s_cselect_b32 vcc_lo, -1, 0
	s_mov_b64 s[8:9], 1
	s_waitcnt lgkmcnt(0)
	v_dual_cndmask_b32 v132, v65, v67 :: v_dual_cndmask_b32 v131, v64, v66
	s_and_b32 vcc_lo, exec_lo, s22
	s_mov_b32 s22, 0
	s_delay_alu instid0(VALU_DEP_1) | instskip(NEXT) | instid1(VALU_DEP_1)
	v_max_f64 v[131:132], v[131:132], v[131:132]
	v_min_f64 v[133:134], v[133:134], v[131:132]
	s_waitcnt vmcnt(0)
	s_delay_alu instid0(VALU_DEP_1) | instskip(SKIP_3) | instid1(VALU_DEP_1)
	v_add_f64 v[133:134], v[135:136], v[133:134]
	scratch_load_b64 v[135:136], v129, off
	scratch_store_b64 v130, v[133:134], off
	v_max_f64 v[133:134], v[2:3], v[2:3]
	v_min_f64 v[133:134], v[133:134], v[131:132]
	s_waitcnt vmcnt(0)
	s_delay_alu instid0(VALU_DEP_1) | instskip(SKIP_3) | instid1(VALU_DEP_1)
	v_add_f64 v[133:134], v[133:134], v[135:136]
	scratch_store_b64 v129, v[133:134], off
	scratch_load_b64 v[133:134], v128, off
	v_max_f64 v[129:130], v[4:5], v[4:5]
	v_min_f64 v[129:130], v[129:130], v[131:132]
	s_waitcnt vmcnt(0)
	s_delay_alu instid0(VALU_DEP_1) | instskip(SKIP_3) | instid1(VALU_DEP_1)
	v_add_f64 v[129:130], v[129:130], v[133:134]
	scratch_load_b64 v[133:134], v127, off
	scratch_store_b64 v128, v[129:130], off
	v_max_f64 v[128:129], v[6:7], v[6:7]
	v_min_f64 v[128:129], v[128:129], v[131:132]
	s_waitcnt vmcnt(0)
	s_delay_alu instid0(VALU_DEP_1) | instskip(SKIP_3) | instid1(VALU_DEP_1)
	v_add_f64 v[128:129], v[128:129], v[133:134]
	scratch_store_b64 v127, v[128:129], off
	scratch_load_b64 v[129:130], v126, off
	v_max_f64 v[127:128], v[8:9], v[8:9]
	v_min_f64 v[127:128], v[127:128], v[131:132]
	s_waitcnt vmcnt(0)
	s_delay_alu instid0(VALU_DEP_1) | instskip(SKIP_4) | instid1(VALU_DEP_1)
	v_add_f64 v[127:128], v[127:128], v[129:130]
	v_mov_b32_e32 v130, 0x100
	scratch_store_b64 v126, v[127:128], off
	scratch_load_b64 v[128:129], v125, off
	v_max_f64 v[126:127], v[10:11], v[10:11]
	v_min_f64 v[126:127], v[126:127], v[131:132]
	s_waitcnt vmcnt(0)
	s_delay_alu instid0(VALU_DEP_1) | instskip(SKIP_4) | instid1(VALU_DEP_1)
	v_add_f64 v[126:127], v[126:127], v[128:129]
	v_mov_b32_e32 v129, 0x108
	;; [unrolled: 8-line block ×20, first 2 shown]
	scratch_store_b64 v107, v[108:109], off
	scratch_load_b64 v[109:110], v93, off
	v_max_f64 v[107:108], v[48:49], v[48:49]
	v_min_f64 v[107:108], v[107:108], v[131:132]
	s_waitcnt vmcnt(0)
	s_delay_alu instid0(VALU_DEP_1) | instskip(SKIP_3) | instid1(VALU_DEP_1)
	v_add_f64 v[107:108], v[107:108], v[109:110]
	scratch_load_b64 v[109:110], v92, off
	scratch_store_b64 v93, v[107:108], off
	v_max_f64 v[107:108], v[50:51], v[50:51]
	v_min_f64 v[107:108], v[107:108], v[131:132]
	s_waitcnt vmcnt(0)
	s_delay_alu instid0(VALU_DEP_1)
	v_add_f64 v[107:108], v[107:108], v[109:110]
	v_mov_b32_e32 v110, 0x1a0
	v_mov_b32_e32 v109, 0x1a8
	scratch_store_b64 v92, v[107:108], off
	scratch_load_b64 v[107:108], v91, off
	v_max_f64 v[92:93], v[52:53], v[52:53]
	s_delay_alu instid0(VALU_DEP_1) | instskip(SKIP_1) | instid1(VALU_DEP_1)
	v_min_f64 v[92:93], v[92:93], v[131:132]
	s_waitcnt vmcnt(0)
	v_add_f64 v[92:93], v[92:93], v[107:108]
	scratch_load_b64 v[107:108], v90, off
	scratch_store_b64 v91, v[92:93], off
	v_max_f64 v[91:92], v[54:55], v[54:55]
	s_delay_alu instid0(VALU_DEP_1) | instskip(SKIP_1) | instid1(VALU_DEP_1)
	v_min_f64 v[91:92], v[91:92], v[131:132]
	s_waitcnt vmcnt(0)
	v_add_f64 v[91:92], v[91:92], v[107:108]
	v_mov_b32_e32 v108, 0x1b0
	v_mov_b32_e32 v107, 0x1b8
	scratch_store_b64 v90, v[91:92], off
	scratch_load_b64 v[92:93], v89, off
	v_max_f64 v[90:91], v[56:57], v[56:57]
	s_delay_alu instid0(VALU_DEP_1) | instskip(SKIP_1) | instid1(VALU_DEP_1)
	v_min_f64 v[90:91], v[90:91], v[131:132]
	s_waitcnt vmcnt(0)
	v_add_f64 v[90:91], v[90:91], v[92:93]
	v_mov_b32_e32 v93, 0x1c0
	scratch_store_b64 v89, v[90:91], off
	scratch_load_b64 v[91:92], v88, off
	v_max_f64 v[89:90], v[58:59], v[58:59]
	s_delay_alu instid0(VALU_DEP_1) | instskip(SKIP_1) | instid1(VALU_DEP_1)
	v_min_f64 v[89:90], v[89:90], v[131:132]
	s_waitcnt vmcnt(0)
	v_add_f64 v[89:90], v[89:90], v[91:92]
	;; [unrolled: 8-line block ×4, first 2 shown]
	v_mov_b32_e32 v90, 0x1d8
	v_mov_b32_e32 v89, 0x1e0
	scratch_store_b64 v86, v[87:88], off
	v_mov_b32_e32 v88, 0x1e8
	v_mov_b32_e32 v87, 0x1f0
	;; [unrolled: 1-line block ×3, first 2 shown]
	s_cbranch_vccnz .LBB187_29
; %bb.30:                               ;   in Loop: Header=BB187_18 Depth=1
	ds_load_2addr_b64 v[0:3], v98 offset0:2 offset1:18
	ds_load_2addr_b64 v[4:7], v98 offset0:34 offset1:50
	;; [unrolled: 1-line block ×12, first 2 shown]
	v_dual_mov_b32 v129, 8 :: v_dual_add_nc_u32 v64, 16, v100
	ds_load_2addr_b64 v[48:51], v76 offset0:130 offset1:146
	ds_load_2addr_b64 v[52:55], v76 offset0:162 offset1:178
	;; [unrolled: 1-line block ×4, first 2 shown]
	ds_load_2addr_stride64_b64 v[64:67], v64 offset1:4
	v_dual_mov_b32 v130, 0 :: v_dual_mov_b32 v127, 24
	v_dual_mov_b32 v128, 16 :: v_dual_mov_b32 v125, 40
	;; [unrolled: 1-line block ×5, first 2 shown]
	v_mov_b32_e32 v120, 0x50
	v_mov_b32_e32 v118, 0x60
	;; [unrolled: 1-line block ×21, first 2 shown]
	s_mov_b64 s[8:9], 0
	s_mov_b32 s22, -1
.LBB187_31:                             ;   Parent Loop BB187_18 Depth=1
                                        ; =>  This Inner Loop Header: Depth=2
	scratch_load_b64 v[135:136], v130, off
	s_cmp_eq_u32 s8, 1
	s_waitcnt lgkmcnt(16)
	v_max_f64 v[133:134], v[0:1], v[0:1]
	s_cselect_b32 vcc_lo, -1, 0
	s_mov_b64 s[8:9], 1
	s_waitcnt lgkmcnt(0)
	v_dual_cndmask_b32 v132, v65, v67 :: v_dual_cndmask_b32 v131, v64, v66
	s_and_b32 vcc_lo, exec_lo, s22
	s_mov_b32 s22, 0
	s_delay_alu instid0(VALU_DEP_1) | instskip(NEXT) | instid1(VALU_DEP_1)
	v_max_f64 v[131:132], v[131:132], v[131:132]
	v_min_f64 v[133:134], v[133:134], v[131:132]
	s_waitcnt vmcnt(0)
	s_delay_alu instid0(VALU_DEP_1) | instskip(SKIP_3) | instid1(VALU_DEP_1)
	v_add_f64 v[133:134], v[135:136], v[133:134]
	scratch_load_b64 v[135:136], v129, off
	scratch_store_b64 v130, v[133:134], off
	v_max_f64 v[133:134], v[2:3], v[2:3]
	v_min_f64 v[133:134], v[133:134], v[131:132]
	s_waitcnt vmcnt(0)
	s_delay_alu instid0(VALU_DEP_1) | instskip(SKIP_3) | instid1(VALU_DEP_1)
	v_add_f64 v[133:134], v[133:134], v[135:136]
	scratch_store_b64 v129, v[133:134], off
	scratch_load_b64 v[133:134], v128, off
	v_max_f64 v[129:130], v[4:5], v[4:5]
	v_min_f64 v[129:130], v[129:130], v[131:132]
	s_waitcnt vmcnt(0)
	s_delay_alu instid0(VALU_DEP_1) | instskip(SKIP_3) | instid1(VALU_DEP_1)
	v_add_f64 v[129:130], v[129:130], v[133:134]
	scratch_load_b64 v[133:134], v127, off
	scratch_store_b64 v128, v[129:130], off
	v_max_f64 v[128:129], v[6:7], v[6:7]
	v_min_f64 v[128:129], v[128:129], v[131:132]
	s_waitcnt vmcnt(0)
	s_delay_alu instid0(VALU_DEP_1) | instskip(SKIP_3) | instid1(VALU_DEP_1)
	v_add_f64 v[128:129], v[128:129], v[133:134]
	scratch_store_b64 v127, v[128:129], off
	scratch_load_b64 v[129:130], v126, off
	v_max_f64 v[127:128], v[8:9], v[8:9]
	v_min_f64 v[127:128], v[127:128], v[131:132]
	s_waitcnt vmcnt(0)
	s_delay_alu instid0(VALU_DEP_1) | instskip(SKIP_4) | instid1(VALU_DEP_1)
	v_add_f64 v[127:128], v[127:128], v[129:130]
	v_mov_b32_e32 v130, 0x100
	scratch_store_b64 v126, v[127:128], off
	scratch_load_b64 v[128:129], v125, off
	v_max_f64 v[126:127], v[10:11], v[10:11]
	v_min_f64 v[126:127], v[126:127], v[131:132]
	s_waitcnt vmcnt(0)
	s_delay_alu instid0(VALU_DEP_1) | instskip(SKIP_4) | instid1(VALU_DEP_1)
	v_add_f64 v[126:127], v[126:127], v[128:129]
	v_mov_b32_e32 v129, 0x108
	;; [unrolled: 8-line block ×20, first 2 shown]
	scratch_store_b64 v107, v[108:109], off
	scratch_load_b64 v[109:110], v93, off
	v_max_f64 v[107:108], v[48:49], v[48:49]
	v_min_f64 v[107:108], v[107:108], v[131:132]
	s_waitcnt vmcnt(0)
	s_delay_alu instid0(VALU_DEP_1) | instskip(SKIP_3) | instid1(VALU_DEP_1)
	v_add_f64 v[107:108], v[107:108], v[109:110]
	scratch_load_b64 v[109:110], v92, off
	scratch_store_b64 v93, v[107:108], off
	v_max_f64 v[107:108], v[50:51], v[50:51]
	v_min_f64 v[107:108], v[107:108], v[131:132]
	s_waitcnt vmcnt(0)
	s_delay_alu instid0(VALU_DEP_1)
	v_add_f64 v[107:108], v[107:108], v[109:110]
	v_mov_b32_e32 v110, 0x1a0
	v_mov_b32_e32 v109, 0x1a8
	scratch_store_b64 v92, v[107:108], off
	scratch_load_b64 v[107:108], v91, off
	v_max_f64 v[92:93], v[52:53], v[52:53]
	s_delay_alu instid0(VALU_DEP_1) | instskip(SKIP_1) | instid1(VALU_DEP_1)
	v_min_f64 v[92:93], v[92:93], v[131:132]
	s_waitcnt vmcnt(0)
	v_add_f64 v[92:93], v[92:93], v[107:108]
	scratch_load_b64 v[107:108], v90, off
	scratch_store_b64 v91, v[92:93], off
	v_max_f64 v[91:92], v[54:55], v[54:55]
	s_delay_alu instid0(VALU_DEP_1) | instskip(SKIP_1) | instid1(VALU_DEP_1)
	v_min_f64 v[91:92], v[91:92], v[131:132]
	s_waitcnt vmcnt(0)
	v_add_f64 v[91:92], v[91:92], v[107:108]
	v_mov_b32_e32 v108, 0x1b0
	v_mov_b32_e32 v107, 0x1b8
	scratch_store_b64 v90, v[91:92], off
	scratch_load_b64 v[92:93], v89, off
	v_max_f64 v[90:91], v[56:57], v[56:57]
	s_delay_alu instid0(VALU_DEP_1) | instskip(SKIP_1) | instid1(VALU_DEP_1)
	v_min_f64 v[90:91], v[90:91], v[131:132]
	s_waitcnt vmcnt(0)
	v_add_f64 v[90:91], v[90:91], v[92:93]
	v_mov_b32_e32 v93, 0x1c0
	scratch_store_b64 v89, v[90:91], off
	scratch_load_b64 v[91:92], v88, off
	v_max_f64 v[89:90], v[58:59], v[58:59]
	s_delay_alu instid0(VALU_DEP_1) | instskip(SKIP_1) | instid1(VALU_DEP_1)
	v_min_f64 v[89:90], v[89:90], v[131:132]
	s_waitcnt vmcnt(0)
	v_add_f64 v[89:90], v[89:90], v[91:92]
	v_mov_b32_e32 v92, 0x1c8
	scratch_store_b64 v88, v[89:90], off
	scratch_load_b64 v[90:91], v87, off
	v_max_f64 v[88:89], v[60:61], v[60:61]
	s_delay_alu instid0(VALU_DEP_1) | instskip(SKIP_1) | instid1(VALU_DEP_1)
	v_min_f64 v[88:89], v[88:89], v[131:132]
	s_waitcnt vmcnt(0)
	v_add_f64 v[88:89], v[88:89], v[90:91]
	v_mov_b32_e32 v91, 0x1d0
	scratch_store_b64 v87, v[88:89], off
	scratch_load_b64 v[89:90], v86, off
	v_max_f64 v[87:88], v[62:63], v[62:63]
	s_delay_alu instid0(VALU_DEP_1) | instskip(SKIP_1) | instid1(VALU_DEP_1)
	v_min_f64 v[87:88], v[87:88], v[131:132]
	s_waitcnt vmcnt(0)
	v_add_f64 v[87:88], v[87:88], v[89:90]
	v_mov_b32_e32 v90, 0x1d8
	v_mov_b32_e32 v89, 0x1e0
	scratch_store_b64 v86, v[87:88], off
	v_mov_b32_e32 v88, 0x1e8
	v_mov_b32_e32 v87, 0x1f0
	v_mov_b32_e32 v86, 0x1f8
	s_cbranch_vccnz .LBB187_31
; %bb.32:                               ;   in Loop: Header=BB187_18 Depth=1
	ds_load_2addr_b64 v[0:3], v98 offset0:3 offset1:19
	ds_load_2addr_b64 v[4:7], v98 offset0:35 offset1:51
	ds_load_2addr_b64 v[8:11], v98 offset0:67 offset1:83
	ds_load_2addr_b64 v[12:15], v98 offset0:99 offset1:115
	ds_load_2addr_b64 v[16:19], v98 offset0:131 offset1:147
	ds_load_2addr_b64 v[20:23], v98 offset0:163 offset1:179
	ds_load_2addr_b64 v[24:27], v98 offset0:195 offset1:211
	ds_load_2addr_b64 v[28:31], v98 offset0:227 offset1:243
	ds_load_2addr_b64 v[32:35], v76 offset0:3 offset1:19
	ds_load_2addr_b64 v[36:39], v76 offset0:35 offset1:51
	ds_load_2addr_b64 v[40:43], v76 offset0:67 offset1:83
	ds_load_2addr_b64 v[44:47], v76 offset0:99 offset1:115
	v_dual_mov_b32 v129, 0 :: v_dual_add_nc_u32 v64, 24, v100
	ds_load_2addr_b64 v[48:51], v76 offset0:131 offset1:147
	ds_load_2addr_b64 v[52:55], v76 offset0:163 offset1:179
	;; [unrolled: 1-line block ×4, first 2 shown]
	ds_load_2addr_stride64_b64 v[64:67], v64 offset1:4
	v_dual_mov_b32 v128, 8 :: v_dual_mov_b32 v127, 16
	v_dual_mov_b32 v126, 24 :: v_dual_mov_b32 v125, 32
	;; [unrolled: 1-line block ×4, first 2 shown]
	v_mov_b32_e32 v120, 0x48
	v_mov_b32_e32 v119, 0x50
	;; [unrolled: 1-line block ×23, first 2 shown]
	s_mov_b64 s[8:9], 0
	s_mov_b32 s22, -1
.LBB187_33:                             ;   Parent Loop BB187_18 Depth=1
                                        ; =>  This Inner Loop Header: Depth=2
	scratch_load_b64 v[134:135], v129, off
	s_cmp_eq_u32 s8, 1
	s_waitcnt lgkmcnt(16)
	v_max_f64 v[132:133], v[0:1], v[0:1]
	s_cselect_b32 vcc_lo, -1, 0
	s_mov_b64 s[8:9], 1
	s_waitcnt lgkmcnt(0)
	v_dual_cndmask_b32 v131, v65, v67 :: v_dual_cndmask_b32 v130, v64, v66
	s_and_b32 vcc_lo, exec_lo, s22
	s_mov_b32 s22, 0
	s_delay_alu instid0(VALU_DEP_1) | instskip(NEXT) | instid1(VALU_DEP_1)
	v_max_f64 v[130:131], v[130:131], v[130:131]
	v_min_f64 v[132:133], v[132:133], v[130:131]
	s_waitcnt vmcnt(0)
	s_delay_alu instid0(VALU_DEP_1) | instskip(SKIP_3) | instid1(VALU_DEP_1)
	v_add_f64 v[132:133], v[134:135], v[132:133]
	scratch_load_b64 v[134:135], v128, off
	scratch_store_b64 v129, v[132:133], off
	v_max_f64 v[132:133], v[2:3], v[2:3]
	v_min_f64 v[132:133], v[132:133], v[130:131]
	s_waitcnt vmcnt(0)
	s_delay_alu instid0(VALU_DEP_1) | instskip(SKIP_3) | instid1(VALU_DEP_1)
	v_add_f64 v[132:133], v[132:133], v[134:135]
	scratch_store_b64 v128, v[132:133], off
	scratch_load_b64 v[132:133], v127, off
	v_max_f64 v[128:129], v[4:5], v[4:5]
	v_min_f64 v[128:129], v[128:129], v[130:131]
	s_waitcnt vmcnt(0)
	s_delay_alu instid0(VALU_DEP_1) | instskip(SKIP_3) | instid1(VALU_DEP_1)
	v_add_f64 v[128:129], v[128:129], v[132:133]
	scratch_load_b64 v[132:133], v126, off
	scratch_store_b64 v127, v[128:129], off
	v_max_f64 v[127:128], v[6:7], v[6:7]
	v_min_f64 v[127:128], v[127:128], v[130:131]
	s_waitcnt vmcnt(0)
	s_delay_alu instid0(VALU_DEP_1) | instskip(SKIP_3) | instid1(VALU_DEP_1)
	v_add_f64 v[127:128], v[127:128], v[132:133]
	scratch_store_b64 v126, v[127:128], off
	scratch_load_b64 v[128:129], v125, off
	v_max_f64 v[126:127], v[8:9], v[8:9]
	v_min_f64 v[126:127], v[126:127], v[130:131]
	s_waitcnt vmcnt(0)
	s_delay_alu instid0(VALU_DEP_1) | instskip(SKIP_4) | instid1(VALU_DEP_1)
	v_add_f64 v[126:127], v[126:127], v[128:129]
	v_mov_b32_e32 v129, 0x100
	scratch_store_b64 v125, v[126:127], off
	scratch_load_b64 v[127:128], v124, off
	v_max_f64 v[125:126], v[10:11], v[10:11]
	v_min_f64 v[125:126], v[125:126], v[130:131]
	s_waitcnt vmcnt(0)
	s_delay_alu instid0(VALU_DEP_1) | instskip(SKIP_4) | instid1(VALU_DEP_1)
	v_add_f64 v[125:126], v[125:126], v[127:128]
	v_mov_b32_e32 v128, 0x108
	;; [unrolled: 8-line block ×19, first 2 shown]
	scratch_store_b64 v107, v[108:109], off
	scratch_load_b64 v[109:110], v93, off
	v_max_f64 v[107:108], v[46:47], v[46:47]
	v_min_f64 v[107:108], v[107:108], v[130:131]
	s_waitcnt vmcnt(0)
	s_delay_alu instid0(VALU_DEP_1) | instskip(SKIP_3) | instid1(VALU_DEP_1)
	v_add_f64 v[107:108], v[107:108], v[109:110]
	scratch_load_b64 v[109:110], v92, off
	scratch_store_b64 v93, v[107:108], off
	v_max_f64 v[107:108], v[48:49], v[48:49]
	v_min_f64 v[107:108], v[107:108], v[130:131]
	s_waitcnt vmcnt(0)
	s_delay_alu instid0(VALU_DEP_1)
	v_add_f64 v[107:108], v[107:108], v[109:110]
	v_mov_b32_e32 v110, 0x198
	v_mov_b32_e32 v109, 0x1a0
	scratch_store_b64 v92, v[107:108], off
	scratch_load_b64 v[107:108], v91, off
	v_max_f64 v[92:93], v[50:51], v[50:51]
	s_delay_alu instid0(VALU_DEP_1) | instskip(SKIP_1) | instid1(VALU_DEP_1)
	v_min_f64 v[92:93], v[92:93], v[130:131]
	s_waitcnt vmcnt(0)
	v_add_f64 v[92:93], v[92:93], v[107:108]
	scratch_load_b64 v[107:108], v90, off
	scratch_store_b64 v91, v[92:93], off
	v_max_f64 v[91:92], v[52:53], v[52:53]
	s_delay_alu instid0(VALU_DEP_1) | instskip(SKIP_1) | instid1(VALU_DEP_1)
	v_min_f64 v[91:92], v[91:92], v[130:131]
	s_waitcnt vmcnt(0)
	v_add_f64 v[91:92], v[91:92], v[107:108]
	v_mov_b32_e32 v108, 0x1a8
	v_mov_b32_e32 v107, 0x1b0
	scratch_store_b64 v90, v[91:92], off
	scratch_load_b64 v[92:93], v89, off
	v_max_f64 v[90:91], v[54:55], v[54:55]
	s_delay_alu instid0(VALU_DEP_1) | instskip(SKIP_1) | instid1(VALU_DEP_1)
	v_min_f64 v[90:91], v[90:91], v[130:131]
	s_waitcnt vmcnt(0)
	v_add_f64 v[90:91], v[90:91], v[92:93]
	v_mov_b32_e32 v93, 0x1b8
	scratch_store_b64 v89, v[90:91], off
	scratch_load_b64 v[91:92], v88, off
	v_max_f64 v[89:90], v[56:57], v[56:57]
	s_delay_alu instid0(VALU_DEP_1) | instskip(SKIP_1) | instid1(VALU_DEP_1)
	v_min_f64 v[89:90], v[89:90], v[130:131]
	s_waitcnt vmcnt(0)
	v_add_f64 v[89:90], v[89:90], v[91:92]
	;; [unrolled: 8-line block ×5, first 2 shown]
	v_mov_b32_e32 v89, 0x1d8
	v_mov_b32_e32 v88, 0x1e0
	scratch_store_b64 v76, v[86:87], off
	v_mov_b32_e32 v87, 0x1e8
	v_mov_b32_e32 v86, 0x1f0
	;; [unrolled: 1-line block ×3, first 2 shown]
	s_cbranch_vccnz .LBB187_33
; %bb.34:                               ;   in Loop: Header=BB187_18 Depth=1
	s_add_i32 s21, s21, 8
	s_add_i32 s16, s16, 8
	s_cmp_ge_i32 s21, s17
	ds_store_2addr_stride64_b64 v103, v[78:79], v[80:81] offset1:4
	ds_store_2addr_stride64_b64 v104, v[82:83], v[84:85] offset1:4
	s_waitcnt lgkmcnt(0)
	s_waitcnt_vscnt null, 0x0
	s_barrier
	buffer_gl0_inv
	s_cbranch_scc0 .LBB187_18
.LBB187_35:
	v_dual_mov_b32 v71, 8 :: v_dual_add_nc_u32 v28, 0x1000, v98
	v_dual_mov_b32 v75, 40 :: v_dual_add_nc_u32 v60, 0x1800, v98
	;; [unrolled: 1-line block ×3, first 2 shown]
	ds_load_2addr_b64 v[0:3], v28 offset1:16
	ds_load_2addr_b64 v[4:7], v28 offset0:32 offset1:48
	ds_load_2addr_b64 v[8:11], v28 offset0:64 offset1:80
	;; [unrolled: 1-line block ×7, first 2 shown]
	ds_load_2addr_b64 v[32:35], v60 offset1:16
	ds_load_2addr_b64 v[36:39], v60 offset0:32 offset1:48
	ds_load_2addr_b64 v[40:43], v60 offset0:64 offset1:80
	;; [unrolled: 1-line block ×7, first 2 shown]
	ds_load_2addr_stride64_b64 v[64:67], v97 offset0:24 offset1:28
	v_dual_mov_b32 v70, 0 :: v_dual_add_nc_u32 v69, 0x3000, v97
	v_dual_mov_b32 v72, 16 :: v_dual_mov_b32 v77, 56
	v_dual_mov_b32 v74, 32 :: v_dual_mov_b32 v79, 0x48
	;; [unrolled: 1-line block ×4, first 2 shown]
	v_mov_b32_e32 v80, 0x50
	v_mov_b32_e32 v82, 0x60
	;; [unrolled: 1-line block ×20, first 2 shown]
	s_mov_b64 s[2:3], 0
	s_mov_b32 s8, -1
.LBB187_36:                             ; =>This Inner Loop Header: Depth=1
	scratch_load_b64 v[104:105], v70, off
	scratch_load_b64 v[106:107], v71, off
	;; [unrolled: 1-line block ×32, first 2 shown]
	s_cmp_eq_u32 s2, 1
	s_waitcnt lgkmcnt(16)
	v_max_f64 v[170:171], v[0:1], v[0:1]
	s_cselect_b32 vcc_lo, -1, 0
	v_max_f64 v[172:173], v[2:3], v[2:3]
	s_waitcnt lgkmcnt(0)
	v_dual_cndmask_b32 v169, v65, v67 :: v_dual_cndmask_b32 v168, v64, v66
	v_max_f64 v[174:175], v[4:5], v[4:5]
	v_max_f64 v[176:177], v[6:7], v[6:7]
	;; [unrolled: 1-line block ×31, first 2 shown]
	s_mov_b64 s[2:3], 1
	s_and_b32 vcc_lo, exec_lo, s8
	s_mov_b32 s8, 0
	v_min_f64 v[170:171], v[170:171], v[168:169]
	v_min_f64 v[172:173], v[172:173], v[168:169]
	v_min_f64 v[174:175], v[174:175], v[168:169]
	v_min_f64 v[176:177], v[176:177], v[168:169]
	v_min_f64 v[178:179], v[178:179], v[168:169]
	v_min_f64 v[180:181], v[180:181], v[168:169]
	v_min_f64 v[182:183], v[182:183], v[168:169]
	v_min_f64 v[184:185], v[184:185], v[168:169]
	v_min_f64 v[186:187], v[186:187], v[168:169]
	v_min_f64 v[188:189], v[188:189], v[168:169]
	v_min_f64 v[190:191], v[190:191], v[168:169]
	v_min_f64 v[192:193], v[192:193], v[168:169]
	v_min_f64 v[194:195], v[194:195], v[168:169]
	v_min_f64 v[196:197], v[196:197], v[168:169]
	v_min_f64 v[198:199], v[198:199], v[168:169]
	v_min_f64 v[200:201], v[200:201], v[168:169]
	v_min_f64 v[202:203], v[202:203], v[168:169]
	v_min_f64 v[204:205], v[204:205], v[168:169]
	v_min_f64 v[206:207], v[206:207], v[168:169]
	v_min_f64 v[208:209], v[208:209], v[168:169]
	v_min_f64 v[210:211], v[210:211], v[168:169]
	v_min_f64 v[212:213], v[212:213], v[168:169]
	v_min_f64 v[214:215], v[214:215], v[168:169]
	v_min_f64 v[216:217], v[216:217], v[168:169]
	v_min_f64 v[218:219], v[218:219], v[168:169]
	v_min_f64 v[220:221], v[220:221], v[168:169]
	v_min_f64 v[222:223], v[222:223], v[168:169]
	v_min_f64 v[224:225], v[224:225], v[168:169]
	v_min_f64 v[226:227], v[226:227], v[168:169]
	v_min_f64 v[228:229], v[228:229], v[168:169]
	v_min_f64 v[230:231], v[230:231], v[168:169]
	v_min_f64 v[168:169], v[232:233], v[168:169]
	s_waitcnt vmcnt(31)
	v_add_f64 v[104:105], v[104:105], v[170:171]
	s_waitcnt vmcnt(30)
	v_add_f64 v[106:107], v[172:173], v[106:107]
	;; [unrolled: 2-line block ×32, first 2 shown]
	scratch_store_b64 v70, v[104:105], off
	scratch_store_b64 v71, v[106:107], off
	;; [unrolled: 1-line block ×32, first 2 shown]
	v_mov_b32_e32 v70, 0x100
	v_mov_b32_e32 v71, 0x108
	;; [unrolled: 1-line block ×32, first 2 shown]
	s_cbranch_vccnz .LBB187_36
; %bb.37:
	v_dual_mov_b32 v71, 8 :: v_dual_add_nc_u32 v60, 0x800, v68
	ds_load_2addr_b64 v[0:3], v68 offset0:1 offset1:17
	ds_load_2addr_b64 v[4:7], v68 offset0:33 offset1:49
	;; [unrolled: 1-line block ×12, first 2 shown]
	v_dual_mov_b32 v73, 24 :: v_dual_add_nc_u32 v64, 8, v69
	ds_load_2addr_b64 v[48:51], v60 offset0:129 offset1:145
	ds_load_2addr_b64 v[52:55], v60 offset0:161 offset1:177
	;; [unrolled: 1-line block ×4, first 2 shown]
	ds_load_2addr_stride64_b64 v[64:67], v64 offset1:4
	v_dual_mov_b32 v70, 0 :: v_dual_mov_b32 v75, 40
	v_dual_mov_b32 v72, 16 :: v_dual_mov_b32 v77, 56
	;; [unrolled: 1-line block ×5, first 2 shown]
	v_mov_b32_e32 v80, 0x50
	v_mov_b32_e32 v82, 0x60
	;; [unrolled: 1-line block ×20, first 2 shown]
	s_mov_b64 s[2:3], 0
	s_mov_b32 s8, -1
.LBB187_38:                             ; =>This Inner Loop Header: Depth=1
	scratch_load_b64 v[104:105], v70, off
	scratch_load_b64 v[106:107], v71, off
	;; [unrolled: 1-line block ×32, first 2 shown]
	s_cmp_eq_u32 s2, 1
	s_waitcnt lgkmcnt(16)
	v_max_f64 v[170:171], v[0:1], v[0:1]
	s_cselect_b32 vcc_lo, -1, 0
	v_max_f64 v[172:173], v[2:3], v[2:3]
	s_waitcnt lgkmcnt(0)
	v_dual_cndmask_b32 v169, v65, v67 :: v_dual_cndmask_b32 v168, v64, v66
	v_max_f64 v[174:175], v[4:5], v[4:5]
	v_max_f64 v[176:177], v[6:7], v[6:7]
	;; [unrolled: 1-line block ×31, first 2 shown]
	s_mov_b64 s[2:3], 1
	s_and_b32 vcc_lo, exec_lo, s8
	s_mov_b32 s8, 0
	v_min_f64 v[170:171], v[170:171], v[168:169]
	v_min_f64 v[172:173], v[172:173], v[168:169]
	;; [unrolled: 1-line block ×32, first 2 shown]
	s_waitcnt vmcnt(31)
	v_add_f64 v[104:105], v[104:105], v[170:171]
	s_waitcnt vmcnt(30)
	v_add_f64 v[106:107], v[172:173], v[106:107]
	s_waitcnt vmcnt(29)
	v_add_f64 v[108:109], v[174:175], v[108:109]
	s_waitcnt vmcnt(28)
	v_add_f64 v[110:111], v[176:177], v[110:111]
	s_waitcnt vmcnt(27)
	v_add_f64 v[112:113], v[178:179], v[112:113]
	s_waitcnt vmcnt(26)
	v_add_f64 v[114:115], v[180:181], v[114:115]
	s_waitcnt vmcnt(25)
	v_add_f64 v[116:117], v[182:183], v[116:117]
	s_waitcnt vmcnt(24)
	v_add_f64 v[118:119], v[184:185], v[118:119]
	s_waitcnt vmcnt(23)
	v_add_f64 v[120:121], v[186:187], v[120:121]
	s_waitcnt vmcnt(22)
	v_add_f64 v[122:123], v[188:189], v[122:123]
	s_waitcnt vmcnt(21)
	v_add_f64 v[124:125], v[190:191], v[124:125]
	s_waitcnt vmcnt(20)
	v_add_f64 v[126:127], v[192:193], v[126:127]
	s_waitcnt vmcnt(19)
	v_add_f64 v[128:129], v[194:195], v[128:129]
	s_waitcnt vmcnt(18)
	v_add_f64 v[130:131], v[196:197], v[130:131]
	s_waitcnt vmcnt(17)
	v_add_f64 v[132:133], v[198:199], v[132:133]
	s_waitcnt vmcnt(16)
	v_add_f64 v[134:135], v[200:201], v[134:135]
	s_waitcnt vmcnt(15)
	v_add_f64 v[136:137], v[202:203], v[136:137]
	s_waitcnt vmcnt(14)
	v_add_f64 v[138:139], v[204:205], v[138:139]
	s_waitcnt vmcnt(13)
	v_add_f64 v[140:141], v[206:207], v[140:141]
	s_waitcnt vmcnt(12)
	v_add_f64 v[142:143], v[208:209], v[142:143]
	s_waitcnt vmcnt(11)
	v_add_f64 v[144:145], v[210:211], v[144:145]
	s_waitcnt vmcnt(10)
	v_add_f64 v[146:147], v[212:213], v[146:147]
	s_waitcnt vmcnt(9)
	v_add_f64 v[148:149], v[214:215], v[148:149]
	s_waitcnt vmcnt(8)
	v_add_f64 v[150:151], v[216:217], v[150:151]
	s_waitcnt vmcnt(7)
	v_add_f64 v[152:153], v[218:219], v[152:153]
	s_waitcnt vmcnt(6)
	v_add_f64 v[154:155], v[220:221], v[154:155]
	s_waitcnt vmcnt(5)
	v_add_f64 v[156:157], v[222:223], v[156:157]
	s_waitcnt vmcnt(4)
	v_add_f64 v[158:159], v[224:225], v[158:159]
	s_waitcnt vmcnt(3)
	v_add_f64 v[160:161], v[226:227], v[160:161]
	s_waitcnt vmcnt(2)
	v_add_f64 v[162:163], v[228:229], v[162:163]
	s_waitcnt vmcnt(1)
	v_add_f64 v[164:165], v[230:231], v[164:165]
	s_waitcnt vmcnt(0)
	v_add_f64 v[166:167], v[168:169], v[166:167]
	scratch_store_b64 v70, v[104:105], off
	scratch_store_b64 v71, v[106:107], off
	;; [unrolled: 1-line block ×32, first 2 shown]
	v_mov_b32_e32 v70, 0x100
	v_mov_b32_e32 v71, 0x108
	;; [unrolled: 1-line block ×32, first 2 shown]
	s_cbranch_vccnz .LBB187_38
; %bb.39:
	v_dual_mov_b32 v71, 8 :: v_dual_add_nc_u32 v60, 0x800, v68
	ds_load_2addr_b64 v[0:3], v68 offset0:2 offset1:18
	ds_load_2addr_b64 v[4:7], v68 offset0:34 offset1:50
	;; [unrolled: 1-line block ×12, first 2 shown]
	v_dual_mov_b32 v73, 24 :: v_dual_add_nc_u32 v64, 16, v69
	ds_load_2addr_b64 v[48:51], v60 offset0:130 offset1:146
	ds_load_2addr_b64 v[52:55], v60 offset0:162 offset1:178
	;; [unrolled: 1-line block ×4, first 2 shown]
	ds_load_2addr_stride64_b64 v[64:67], v64 offset1:4
	v_dual_mov_b32 v70, 0 :: v_dual_mov_b32 v75, 40
	v_dual_mov_b32 v72, 16 :: v_dual_mov_b32 v77, 56
	;; [unrolled: 1-line block ×5, first 2 shown]
	v_mov_b32_e32 v80, 0x50
	v_mov_b32_e32 v82, 0x60
	;; [unrolled: 1-line block ×20, first 2 shown]
	s_mov_b64 s[2:3], 0
	s_mov_b32 s8, -1
.LBB187_40:                             ; =>This Inner Loop Header: Depth=1
	scratch_load_b64 v[104:105], v70, off
	scratch_load_b64 v[106:107], v71, off
	;; [unrolled: 1-line block ×32, first 2 shown]
	s_cmp_eq_u32 s2, 1
	s_waitcnt lgkmcnt(16)
	v_max_f64 v[170:171], v[0:1], v[0:1]
	s_cselect_b32 vcc_lo, -1, 0
	v_max_f64 v[172:173], v[2:3], v[2:3]
	s_waitcnt lgkmcnt(0)
	v_dual_cndmask_b32 v169, v65, v67 :: v_dual_cndmask_b32 v168, v64, v66
	v_max_f64 v[174:175], v[4:5], v[4:5]
	v_max_f64 v[176:177], v[6:7], v[6:7]
	;; [unrolled: 1-line block ×31, first 2 shown]
	s_mov_b64 s[2:3], 1
	s_and_b32 vcc_lo, exec_lo, s8
	s_mov_b32 s8, 0
	v_min_f64 v[170:171], v[170:171], v[168:169]
	v_min_f64 v[172:173], v[172:173], v[168:169]
	;; [unrolled: 1-line block ×32, first 2 shown]
	s_waitcnt vmcnt(31)
	v_add_f64 v[104:105], v[104:105], v[170:171]
	s_waitcnt vmcnt(30)
	v_add_f64 v[106:107], v[172:173], v[106:107]
	;; [unrolled: 2-line block ×32, first 2 shown]
	scratch_store_b64 v70, v[104:105], off
	scratch_store_b64 v71, v[106:107], off
	;; [unrolled: 1-line block ×32, first 2 shown]
	v_mov_b32_e32 v70, 0x100
	v_mov_b32_e32 v71, 0x108
	;; [unrolled: 1-line block ×32, first 2 shown]
	s_cbranch_vccnz .LBB187_40
; %bb.41:
	v_add_nc_u32_e32 v60, 0x800, v68
	ds_load_2addr_b64 v[0:3], v68 offset0:3 offset1:19
	ds_load_2addr_b64 v[4:7], v68 offset0:35 offset1:51
	;; [unrolled: 1-line block ×4, first 2 shown]
	v_dual_mov_b32 v71, 24 :: v_dual_add_nc_u32 v64, 24, v69
	v_mov_b32_e32 v69, 8
	ds_load_2addr_b64 v[16:19], v68 offset0:131 offset1:147
	ds_load_2addr_b64 v[20:23], v68 offset0:163 offset1:179
	;; [unrolled: 1-line block ×12, first 2 shown]
	ds_load_2addr_stride64_b64 v[64:67], v64 offset1:4
	v_dual_mov_b32 v68, 0 :: v_dual_mov_b32 v73, 40
	v_dual_mov_b32 v70, 16 :: v_dual_mov_b32 v75, 56
	;; [unrolled: 1-line block ×5, first 2 shown]
	v_mov_b32_e32 v78, 0x50
	v_mov_b32_e32 v80, 0x60
	v_mov_b32_e32 v82, 0x70
	v_mov_b32_e32 v83, 0x78
	v_mov_b32_e32 v84, 0x80
	v_mov_b32_e32 v85, 0x88
	v_mov_b32_e32 v86, 0x90
	v_mov_b32_e32 v87, 0x98
	v_mov_b32_e32 v88, 0xa0
	v_mov_b32_e32 v89, 0xa8
	v_mov_b32_e32 v90, 0xb0
	v_mov_b32_e32 v91, 0xb8
	v_mov_b32_e32 v92, 0xc0
	v_mov_b32_e32 v93, 0xc8
	v_mov_b32_e32 v96, 0xd0
	v_mov_b32_e32 v97, 0xd8
	v_mov_b32_e32 v98, 0xe0
	v_mov_b32_e32 v99, 0xe8
	v_mov_b32_e32 v100, 0xf0
	v_mov_b32_e32 v101, 0xf8
	s_mov_b64 s[2:3], 0
	s_mov_b32 s8, -1
.LBB187_42:                             ; =>This Inner Loop Header: Depth=1
	scratch_load_b64 v[102:103], v68, off
	scratch_load_b64 v[104:105], v69, off
	;; [unrolled: 1-line block ×32, first 2 shown]
	s_cmp_eq_u32 s2, 1
	s_waitcnt lgkmcnt(16)
	v_max_f64 v[168:169], v[0:1], v[0:1]
	s_cselect_b32 vcc_lo, -1, 0
	v_max_f64 v[170:171], v[2:3], v[2:3]
	s_waitcnt lgkmcnt(0)
	v_dual_cndmask_b32 v167, v65, v67 :: v_dual_cndmask_b32 v166, v64, v66
	v_max_f64 v[172:173], v[4:5], v[4:5]
	v_max_f64 v[174:175], v[6:7], v[6:7]
	;; [unrolled: 1-line block ×31, first 2 shown]
	s_mov_b64 s[2:3], 1
	s_and_b32 vcc_lo, exec_lo, s8
	s_mov_b32 s8, 0
	v_min_f64 v[168:169], v[168:169], v[166:167]
	v_min_f64 v[170:171], v[170:171], v[166:167]
	v_min_f64 v[172:173], v[172:173], v[166:167]
	v_min_f64 v[174:175], v[174:175], v[166:167]
	v_min_f64 v[176:177], v[176:177], v[166:167]
	v_min_f64 v[178:179], v[178:179], v[166:167]
	v_min_f64 v[180:181], v[180:181], v[166:167]
	v_min_f64 v[182:183], v[182:183], v[166:167]
	v_min_f64 v[184:185], v[184:185], v[166:167]
	v_min_f64 v[186:187], v[186:187], v[166:167]
	v_min_f64 v[188:189], v[188:189], v[166:167]
	v_min_f64 v[190:191], v[190:191], v[166:167]
	v_min_f64 v[192:193], v[192:193], v[166:167]
	v_min_f64 v[194:195], v[194:195], v[166:167]
	v_min_f64 v[196:197], v[196:197], v[166:167]
	v_min_f64 v[198:199], v[198:199], v[166:167]
	v_min_f64 v[200:201], v[200:201], v[166:167]
	v_min_f64 v[202:203], v[202:203], v[166:167]
	v_min_f64 v[204:205], v[204:205], v[166:167]
	v_min_f64 v[206:207], v[206:207], v[166:167]
	v_min_f64 v[208:209], v[208:209], v[166:167]
	v_min_f64 v[210:211], v[210:211], v[166:167]
	v_min_f64 v[212:213], v[212:213], v[166:167]
	v_min_f64 v[214:215], v[214:215], v[166:167]
	v_min_f64 v[216:217], v[216:217], v[166:167]
	v_min_f64 v[218:219], v[218:219], v[166:167]
	v_min_f64 v[220:221], v[220:221], v[166:167]
	v_min_f64 v[222:223], v[222:223], v[166:167]
	v_min_f64 v[224:225], v[224:225], v[166:167]
	v_min_f64 v[226:227], v[226:227], v[166:167]
	v_min_f64 v[228:229], v[228:229], v[166:167]
	v_min_f64 v[166:167], v[230:231], v[166:167]
	s_waitcnt vmcnt(31)
	v_add_f64 v[102:103], v[102:103], v[168:169]
	s_waitcnt vmcnt(30)
	v_add_f64 v[104:105], v[170:171], v[104:105]
	;; [unrolled: 2-line block ×32, first 2 shown]
	scratch_store_b64 v68, v[102:103], off
	scratch_store_b64 v69, v[104:105], off
	;; [unrolled: 1-line block ×32, first 2 shown]
	v_mov_b32_e32 v68, 0x100
	v_mov_b32_e32 v69, 0x108
	;; [unrolled: 1-line block ×32, first 2 shown]
	s_cbranch_vccnz .LBB187_42
; %bb.43:
	scratch_load_b64 v[2:3], off, off
	s_load_b32 s3, s[0:1], 0x58
	v_dual_mov_b32 v4, 0 :: v_dual_add_nc_u32 v71, s18, v95
	v_dual_mov_b32 v5, 0 :: v_dual_add_nc_u32 v12, s14, v94
	v_mov_b32_e32 v8, 0
	v_mov_b32_e32 v9, 0
	s_and_b32 s2, exec_lo, s19
	s_delay_alu instid0(VALU_DEP_3) | instskip(SKIP_2) | instid1(VALU_DEP_1)
	v_ashrrev_i32_e32 v13, 31, v12
	s_waitcnt lgkmcnt(0)
	v_mad_i64_i32 v[0:1], null, v71, s3, 0
	v_lshlrev_b64 v[0:1], 3, v[0:1]
	s_delay_alu instid0(VALU_DEP_1) | instskip(NEXT) | instid1(VALU_DEP_2)
	v_add_co_u32 v72, vcc_lo, s4, v0
	v_add_co_ci_u32_e32 v73, vcc_lo, s5, v1, vcc_lo
	v_lshlrev_b64 v[0:1], 3, v[12:13]
	s_mov_b32 vcc_lo, s2
	s_cbranch_vccz .LBB187_45
; %bb.44:
	s_delay_alu instid0(VALU_DEP_1) | instskip(NEXT) | instid1(VALU_DEP_2)
	v_add_co_u32 v6, vcc_lo, v72, v0
	v_add_co_ci_u32_e32 v7, vcc_lo, v73, v1, vcc_lo
	flat_load_b64 v[6:7], v[6:7]
	s_waitcnt vmcnt(0) lgkmcnt(0)
	v_mul_f64 v[8:9], v[6:7], s[6:7]
.LBB187_45:
	scratch_load_b64 v[6:7], off, off offset:8
	s_clause 0x1
	s_load_b64 s[8:9], s[0:1], 0x78
	s_load_b32 s1, s[0:1], 0x70
	s_waitcnt vmcnt(1)
	v_add_f64 v[8:9], v[2:3], v[8:9]
	v_add_nc_u32_e32 v10, 4, v12
	v_cndmask_b32_e64 v13, 0, 1, s19
	s_delay_alu instid0(VALU_DEP_2) | instskip(SKIP_4) | instid1(SALU_CYCLE_1)
	v_ashrrev_i32_e32 v11, 31, v10
	s_waitcnt lgkmcnt(0)
	s_mul_i32 s0, s15, s9
	v_mad_i64_i32 v[2:3], null, v71, s1, 0
	s_mul_hi_u32 s9, s15, s8
	s_add_i32 s0, s9, s0
	s_mul_i32 s9, s20, s8
	s_mul_i32 s8, s15, s8
	s_add_i32 s9, s0, s9
	s_delay_alu instid0(VALU_DEP_1) | instskip(SKIP_4) | instid1(VALU_DEP_2)
	v_lshlrev_b64 v[2:3], 3, v[2:3]
	s_lshl_b64 s[8:9], s[8:9], 3
	v_cmp_ne_u32_e64 s0, 1, v13
	s_add_u32 s8, s10, s8
	s_addc_u32 s9, s11, s9
	v_add_co_u32 v74, vcc_lo, s8, v2
	v_add_co_ci_u32_e32 v75, vcc_lo, s9, v3, vcc_lo
	v_lshlrev_b64 v[2:3], 3, v[10:11]
	s_delay_alu instid0(VALU_DEP_3) | instskip(NEXT) | instid1(VALU_DEP_3)
	v_add_co_u32 v13, vcc_lo, v74, v0
	v_add_co_ci_u32_e32 v14, vcc_lo, v75, v1, vcc_lo
	s_and_not1_b32 vcc_lo, exec_lo, s19
	global_store_b64 v[13:14], v[8:9], off
	s_cbranch_vccnz .LBB187_47
; %bb.46:
	v_add_co_u32 v4, vcc_lo, v72, v2
	v_add_co_ci_u32_e32 v5, vcc_lo, v73, v3, vcc_lo
	flat_load_b64 v[4:5], v[4:5]
	s_waitcnt vmcnt(0) lgkmcnt(0)
	v_mul_f64 v[4:5], v[4:5], s[6:7]
.LBB187_47:
	scratch_load_b64 v[10:11], off, off offset:16
	s_waitcnt vmcnt(1)
	v_add_f64 v[13:14], v[6:7], v[4:5]
	v_add_nc_u32_e32 v4, 8, v12
	v_mov_b32_e32 v8, 0
	v_mov_b32_e32 v9, 0
	v_add_co_u32 v15, vcc_lo, v74, v2
	s_delay_alu instid0(VALU_DEP_4) | instskip(SKIP_3) | instid1(VALU_DEP_4)
	v_ashrrev_i32_e32 v5, 31, v4
	v_mov_b32_e32 v6, 0
	v_mov_b32_e32 v7, 0
	v_add_co_ci_u32_e32 v16, vcc_lo, v75, v3, vcc_lo
	v_lshlrev_b64 v[4:5], 3, v[4:5]
	s_and_b32 vcc_lo, exec_lo, s0
	global_store_b64 v[15:16], v[13:14], off
	s_cbranch_vccnz .LBB187_49
; %bb.48:
	v_add_co_u32 v6, vcc_lo, v72, v4
	v_add_co_ci_u32_e32 v7, vcc_lo, v73, v5, vcc_lo
	flat_load_b64 v[6:7], v[6:7]
	s_waitcnt vmcnt(0) lgkmcnt(0)
	v_mul_f64 v[6:7], v[6:7], s[6:7]
.LBB187_49:
	scratch_load_b64 v[13:14], off, off offset:24
	s_waitcnt vmcnt(1)
	v_add_f64 v[10:11], v[10:11], v[6:7]
	v_add_nc_u32_e32 v6, 12, v12
	v_add_co_u32 v15, vcc_lo, v74, v4
	v_add_co_ci_u32_e32 v16, vcc_lo, v75, v5, vcc_lo
	s_delay_alu instid0(VALU_DEP_3) | instskip(SKIP_1) | instid1(VALU_DEP_1)
	v_ashrrev_i32_e32 v7, 31, v6
	s_and_b32 vcc_lo, exec_lo, s0
	v_lshlrev_b64 v[6:7], 3, v[6:7]
	global_store_b64 v[15:16], v[10:11], off
	s_cbranch_vccnz .LBB187_51
; %bb.50:
	v_add_co_u32 v8, vcc_lo, v72, v6
	v_add_co_ci_u32_e32 v9, vcc_lo, v73, v7, vcc_lo
	flat_load_b64 v[8:9], v[8:9]
	s_waitcnt vmcnt(0) lgkmcnt(0)
	v_mul_f64 v[8:9], v[8:9], s[6:7]
.LBB187_51:
	scratch_load_b64 v[10:11], off, off offset:32
	s_waitcnt vmcnt(1)
	v_add_f64 v[17:18], v[13:14], v[8:9]
	v_dual_mov_b32 v13, 0 :: v_dual_add_nc_u32 v8, 16, v12
	v_add_co_u32 v19, vcc_lo, v74, v6
	v_dual_mov_b32 v14, 0 :: v_dual_mov_b32 v15, 0
	s_delay_alu instid0(VALU_DEP_3) | instskip(SKIP_3) | instid1(VALU_DEP_3)
	v_ashrrev_i32_e32 v9, 31, v8
	v_add_co_ci_u32_e32 v20, vcc_lo, v75, v7, vcc_lo
	v_mov_b32_e32 v16, 0
	s_and_b32 vcc_lo, exec_lo, s0
	v_lshlrev_b64 v[8:9], 3, v[8:9]
	global_store_b64 v[19:20], v[17:18], off
	s_cbranch_vccnz .LBB187_53
; %bb.52:
	v_add_co_u32 v15, vcc_lo, v72, v8
	v_add_co_ci_u32_e32 v16, vcc_lo, v73, v9, vcc_lo
	flat_load_b64 v[15:16], v[15:16]
	s_waitcnt vmcnt(0) lgkmcnt(0)
	v_mul_f64 v[15:16], v[15:16], s[6:7]
.LBB187_53:
	scratch_load_b64 v[17:18], off, off offset:40
	s_waitcnt vmcnt(1)
	v_add_f64 v[15:16], v[10:11], v[15:16]
	v_add_nc_u32_e32 v10, 20, v12
	v_add_co_u32 v19, vcc_lo, v74, v8
	v_add_co_ci_u32_e32 v20, vcc_lo, v75, v9, vcc_lo
	s_delay_alu instid0(VALU_DEP_3) | instskip(SKIP_1) | instid1(VALU_DEP_1)
	v_ashrrev_i32_e32 v11, 31, v10
	s_and_b32 vcc_lo, exec_lo, s0
	v_lshlrev_b64 v[10:11], 3, v[10:11]
	global_store_b64 v[19:20], v[15:16], off
	s_cbranch_vccnz .LBB187_55
; %bb.54:
	v_add_co_u32 v13, vcc_lo, v72, v10
	v_add_co_ci_u32_e32 v14, vcc_lo, v73, v11, vcc_lo
	flat_load_b64 v[13:14], v[13:14]
	s_waitcnt vmcnt(0) lgkmcnt(0)
	v_mul_f64 v[13:14], v[13:14], s[6:7]
.LBB187_55:
	scratch_load_b64 v[15:16], off, off offset:48
	s_waitcnt vmcnt(1)
	v_add_f64 v[21:22], v[17:18], v[13:14]
	v_add_nc_u32_e32 v13, 24, v12
	v_mov_b32_e32 v17, 0
	v_mov_b32_e32 v18, 0
	v_add_co_u32 v23, vcc_lo, v74, v10
	s_delay_alu instid0(VALU_DEP_4) | instskip(SKIP_3) | instid1(VALU_DEP_4)
	v_ashrrev_i32_e32 v14, 31, v13
	v_mov_b32_e32 v19, 0
	v_mov_b32_e32 v20, 0
	v_add_co_ci_u32_e32 v24, vcc_lo, v75, v11, vcc_lo
	v_lshlrev_b64 v[13:14], 3, v[13:14]
	s_and_b32 vcc_lo, exec_lo, s0
	global_store_b64 v[23:24], v[21:22], off
	s_cbranch_vccnz .LBB187_57
; %bb.56:
	v_add_co_u32 v19, vcc_lo, v72, v13
	v_add_co_ci_u32_e32 v20, vcc_lo, v73, v14, vcc_lo
	flat_load_b64 v[19:20], v[19:20]
	s_waitcnt vmcnt(0) lgkmcnt(0)
	v_mul_f64 v[19:20], v[19:20], s[6:7]
.LBB187_57:
	scratch_load_b64 v[21:22], off, off offset:56
	s_waitcnt vmcnt(1)
	v_add_f64 v[19:20], v[15:16], v[19:20]
	v_add_nc_u32_e32 v15, 28, v12
	v_add_co_u32 v23, vcc_lo, v74, v13
	v_add_co_ci_u32_e32 v24, vcc_lo, v75, v14, vcc_lo
	s_delay_alu instid0(VALU_DEP_3) | instskip(SKIP_1) | instid1(VALU_DEP_1)
	v_ashrrev_i32_e32 v16, 31, v15
	s_and_b32 vcc_lo, exec_lo, s0
	v_lshlrev_b64 v[15:16], 3, v[15:16]
	global_store_b64 v[23:24], v[19:20], off
	s_cbranch_vccnz .LBB187_59
; %bb.58:
	v_add_co_u32 v17, vcc_lo, v72, v15
	v_add_co_ci_u32_e32 v18, vcc_lo, v73, v16, vcc_lo
	flat_load_b64 v[17:18], v[17:18]
	s_waitcnt vmcnt(0) lgkmcnt(0)
	v_mul_f64 v[17:18], v[17:18], s[6:7]
.LBB187_59:
	scratch_load_b64 v[19:20], off, off offset:64
	s_waitcnt vmcnt(1)
	v_add_f64 v[25:26], v[21:22], v[17:18]
	v_add_nc_u32_e32 v17, 32, v12
	v_mov_b32_e32 v21, 0
	v_mov_b32_e32 v22, 0
	v_add_co_u32 v27, vcc_lo, v74, v15
	s_delay_alu instid0(VALU_DEP_4) | instskip(SKIP_3) | instid1(VALU_DEP_4)
	v_ashrrev_i32_e32 v18, 31, v17
	v_mov_b32_e32 v23, 0
	v_mov_b32_e32 v24, 0
	v_add_co_ci_u32_e32 v28, vcc_lo, v75, v16, vcc_lo
	v_lshlrev_b64 v[17:18], 3, v[17:18]
	s_and_b32 vcc_lo, exec_lo, s0
	;; [unrolled: 42-line block ×13, first 2 shown]
	global_store_b64 v[76:77], v[67:68], off
	s_cbranch_vccnz .LBB187_105
; %bb.104:
	v_add_co_u32 v67, vcc_lo, v72, v61
	v_add_co_ci_u32_e32 v68, vcc_lo, v73, v62, vcc_lo
	flat_load_b64 v[67:68], v[67:68]
	s_waitcnt vmcnt(0) lgkmcnt(0)
	v_mul_f64 v[69:70], v[67:68], s[6:7]
.LBB187_105:
	scratch_load_b64 v[67:68], off, off offset:248
	s_waitcnt vmcnt(1)
	v_add_f64 v[69:70], v[63:64], v[69:70]
	v_add_nc_u32_e32 v63, 0x7c, v12
	v_add_co_u32 v76, vcc_lo, v74, v61
	v_add_co_ci_u32_e32 v77, vcc_lo, v75, v62, vcc_lo
	s_delay_alu instid0(VALU_DEP_3) | instskip(SKIP_1) | instid1(VALU_DEP_1)
	v_ashrrev_i32_e32 v64, 31, v63
	s_and_b32 vcc_lo, exec_lo, s0
	v_lshlrev_b64 v[63:64], 3, v[63:64]
	global_store_b64 v[76:77], v[69:70], off
	s_cbranch_vccnz .LBB187_107
; %bb.106:
	v_add_co_u32 v65, vcc_lo, v72, v63
	v_add_co_ci_u32_e32 v66, vcc_lo, v73, v64, vcc_lo
	flat_load_b64 v[65:66], v[65:66]
	s_waitcnt vmcnt(0) lgkmcnt(0)
	v_mul_f64 v[65:66], v[65:66], s[6:7]
.LBB187_107:
	scratch_load_b64 v[69:70], off, off offset:256
	s_waitcnt vmcnt(1)
	v_add_f64 v[67:68], v[67:68], v[65:66]
	v_add_nc_u32_e32 v76, 64, v71
	v_add_co_u32 v74, vcc_lo, v74, v63
	v_add_co_ci_u32_e32 v75, vcc_lo, v75, v64, vcc_lo
	s_delay_alu instid0(VALU_DEP_3) | instskip(SKIP_2) | instid1(VALU_DEP_3)
	v_mad_i64_i32 v[65:66], null, v76, s3, 0
	v_mov_b32_e32 v71, 0
	v_mov_b32_e32 v72, 0
	v_lshlrev_b64 v[77:78], 3, v[65:66]
	v_mov_b32_e32 v65, 0
	v_mov_b32_e32 v66, 0
	s_delay_alu instid0(VALU_DEP_3) | instskip(NEXT) | instid1(VALU_DEP_4)
	v_add_co_u32 v12, vcc_lo, s4, v77
	v_add_co_ci_u32_e32 v73, vcc_lo, s5, v78, vcc_lo
	s_mov_b32 vcc_lo, s2
	global_store_b64 v[74:75], v[67:68], off
	s_cbranch_vccz .LBB187_109
; %bb.108:
	v_add_co_u32 v67, vcc_lo, v12, v0
	v_add_co_ci_u32_e32 v68, vcc_lo, v73, v1, vcc_lo
	flat_load_b64 v[67:68], v[67:68]
	s_waitcnt vmcnt(0) lgkmcnt(0)
	v_mul_f64 v[71:72], v[67:68], s[6:7]
.LBB187_109:
	scratch_load_b64 v[67:68], off, off offset:264
	s_waitcnt vmcnt(1)
	v_add_f64 v[69:70], v[69:70], v[71:72]
	v_mad_i64_i32 v[71:72], null, v76, s1, 0
	s_delay_alu instid0(VALU_DEP_1) | instskip(NEXT) | instid1(VALU_DEP_1)
	v_lshlrev_b64 v[71:72], 3, v[71:72]
	v_add_co_u32 v71, vcc_lo, s8, v71
	s_delay_alu instid0(VALU_DEP_2) | instskip(NEXT) | instid1(VALU_DEP_2)
	v_add_co_ci_u32_e32 v72, vcc_lo, s9, v72, vcc_lo
	v_add_co_u32 v0, vcc_lo, v71, v0
	s_delay_alu instid0(VALU_DEP_2)
	v_add_co_ci_u32_e32 v1, vcc_lo, v72, v1, vcc_lo
	s_and_b32 vcc_lo, exec_lo, s0
	global_store_b64 v[0:1], v[69:70], off
	s_cbranch_vccnz .LBB187_111
; %bb.110:
	v_add_co_u32 v0, vcc_lo, v12, v2
	v_add_co_ci_u32_e32 v1, vcc_lo, v73, v3, vcc_lo
	flat_load_b64 v[0:1], v[0:1]
	s_waitcnt vmcnt(0) lgkmcnt(0)
	v_mul_f64 v[65:66], v[0:1], s[6:7]
.LBB187_111:
	scratch_load_b64 v[69:70], off, off offset:272
	s_waitcnt vmcnt(1)
	v_add_f64 v[65:66], v[67:68], v[65:66]
	v_add_co_u32 v67, vcc_lo, v71, v2
	v_mov_b32_e32 v0, 0
	v_add_co_ci_u32_e32 v68, vcc_lo, v72, v3, vcc_lo
	v_dual_mov_b32 v1, 0 :: v_dual_mov_b32 v2, 0
	v_mov_b32_e32 v3, 0
	s_and_b32 vcc_lo, exec_lo, s0
	global_store_b64 v[67:68], v[65:66], off
	s_cbranch_vccnz .LBB187_113
; %bb.112:
	v_add_co_u32 v2, vcc_lo, v12, v4
	v_add_co_ci_u32_e32 v3, vcc_lo, v73, v5, vcc_lo
	flat_load_b64 v[2:3], v[2:3]
	s_waitcnt vmcnt(0) lgkmcnt(0)
	v_mul_f64 v[2:3], v[2:3], s[6:7]
.LBB187_113:
	scratch_load_b64 v[65:66], off, off offset:280
	s_waitcnt vmcnt(1)
	v_add_f64 v[2:3], v[69:70], v[2:3]
	v_add_co_u32 v4, vcc_lo, v71, v4
	v_add_co_ci_u32_e32 v5, vcc_lo, v72, v5, vcc_lo
	s_and_b32 vcc_lo, exec_lo, s0
	global_store_b64 v[4:5], v[2:3], off
	s_cbranch_vccnz .LBB187_115
; %bb.114:
	v_add_co_u32 v0, vcc_lo, v12, v6
	v_add_co_ci_u32_e32 v1, vcc_lo, v73, v7, vcc_lo
	flat_load_b64 v[0:1], v[0:1]
	s_waitcnt vmcnt(0) lgkmcnt(0)
	v_mul_f64 v[0:1], v[0:1], s[6:7]
.LBB187_115:
	scratch_load_b64 v[2:3], off, off offset:288
	s_waitcnt vmcnt(1)
	v_add_f64 v[4:5], v[65:66], v[0:1]
	v_add_co_u32 v65, vcc_lo, v71, v6
	v_mov_b32_e32 v0, 0
	v_add_co_ci_u32_e32 v66, vcc_lo, v72, v7, vcc_lo
	v_dual_mov_b32 v1, 0 :: v_dual_mov_b32 v6, 0
	v_mov_b32_e32 v7, 0
	s_and_b32 vcc_lo, exec_lo, s0
	global_store_b64 v[65:66], v[4:5], off
	s_cbranch_vccnz .LBB187_117
; %bb.116:
	v_add_co_u32 v4, vcc_lo, v12, v8
	v_add_co_ci_u32_e32 v5, vcc_lo, v73, v9, vcc_lo
	flat_load_b64 v[4:5], v[4:5]
	s_waitcnt vmcnt(0) lgkmcnt(0)
	v_mul_f64 v[6:7], v[4:5], s[6:7]
.LBB187_117:
	scratch_load_b64 v[4:5], off, off offset:296
	s_waitcnt vmcnt(1)
	v_add_f64 v[2:3], v[2:3], v[6:7]
	v_add_co_u32 v6, vcc_lo, v71, v8
	v_add_co_ci_u32_e32 v7, vcc_lo, v72, v9, vcc_lo
	s_and_b32 vcc_lo, exec_lo, s0
	global_store_b64 v[6:7], v[2:3], off
	s_cbranch_vccnz .LBB187_119
; %bb.118:
	v_add_co_u32 v0, vcc_lo, v12, v10
	v_add_co_ci_u32_e32 v1, vcc_lo, v73, v11, vcc_lo
	flat_load_b64 v[0:1], v[0:1]
	s_waitcnt vmcnt(0) lgkmcnt(0)
	v_mul_f64 v[0:1], v[0:1], s[6:7]
.LBB187_119:
	scratch_load_b64 v[2:3], off, off offset:304
	s_waitcnt vmcnt(1)
	v_add_f64 v[4:5], v[4:5], v[0:1]
	v_add_co_u32 v8, vcc_lo, v71, v10
	v_mov_b32_e32 v0, 0
	v_dual_mov_b32 v1, 0 :: v_dual_mov_b32 v6, 0
	v_add_co_ci_u32_e32 v9, vcc_lo, v72, v11, vcc_lo
	v_mov_b32_e32 v7, 0
	s_and_b32 vcc_lo, exec_lo, s0
	global_store_b64 v[8:9], v[4:5], off
	s_cbranch_vccnz .LBB187_121
; %bb.120:
	v_add_co_u32 v4, vcc_lo, v12, v13
	v_add_co_ci_u32_e32 v5, vcc_lo, v73, v14, vcc_lo
	flat_load_b64 v[4:5], v[4:5]
	s_waitcnt vmcnt(0) lgkmcnt(0)
	v_mul_f64 v[6:7], v[4:5], s[6:7]
.LBB187_121:
	scratch_load_b64 v[4:5], off, off offset:312
	s_waitcnt vmcnt(1)
	v_add_f64 v[2:3], v[2:3], v[6:7]
	v_add_co_u32 v6, vcc_lo, v71, v13
	v_add_co_ci_u32_e32 v7, vcc_lo, v72, v14, vcc_lo
	s_and_b32 vcc_lo, exec_lo, s0
	global_store_b64 v[6:7], v[2:3], off
	s_cbranch_vccnz .LBB187_123
; %bb.122:
	v_add_co_u32 v0, vcc_lo, v12, v15
	v_add_co_ci_u32_e32 v1, vcc_lo, v73, v16, vcc_lo
	flat_load_b64 v[0:1], v[0:1]
	s_waitcnt vmcnt(0) lgkmcnt(0)
	v_mul_f64 v[0:1], v[0:1], s[6:7]
.LBB187_123:
	scratch_load_b64 v[2:3], off, off offset:320
	s_waitcnt vmcnt(1)
	v_add_f64 v[4:5], v[4:5], v[0:1]
	v_add_co_u32 v8, vcc_lo, v71, v15
	v_mov_b32_e32 v0, 0
	v_dual_mov_b32 v1, 0 :: v_dual_mov_b32 v6, 0
	v_add_co_ci_u32_e32 v9, vcc_lo, v72, v16, vcc_lo
	;; [unrolled: 33-line block ×13, first 2 shown]
	v_mov_b32_e32 v7, 0
	s_and_b32 vcc_lo, exec_lo, s0
	global_store_b64 v[8:9], v[4:5], off
	s_cbranch_vccnz .LBB187_169
; %bb.168:
	v_add_co_u32 v4, vcc_lo, v12, v61
	v_add_co_ci_u32_e32 v5, vcc_lo, v73, v62, vcc_lo
	flat_load_b64 v[4:5], v[4:5]
	s_waitcnt vmcnt(0) lgkmcnt(0)
	v_mul_f64 v[6:7], v[4:5], s[6:7]
.LBB187_169:
	scratch_load_b64 v[4:5], off, off offset:504
	s_waitcnt vmcnt(1)
	v_add_f64 v[2:3], v[2:3], v[6:7]
	v_add_co_u32 v6, vcc_lo, v71, v61
	v_add_co_ci_u32_e32 v7, vcc_lo, v72, v62, vcc_lo
	s_and_b32 vcc_lo, exec_lo, s0
	global_store_b64 v[6:7], v[2:3], off
	s_cbranch_vccnz .LBB187_171
; %bb.170:
	v_add_co_u32 v0, vcc_lo, v12, v63
	v_add_co_ci_u32_e32 v1, vcc_lo, v73, v64, vcc_lo
	flat_load_b64 v[0:1], v[0:1]
	s_waitcnt vmcnt(0) lgkmcnt(0)
	v_mul_f64 v[0:1], v[0:1], s[6:7]
.LBB187_171:
	s_waitcnt vmcnt(0)
	s_delay_alu instid0(VALU_DEP_1)
	v_add_f64 v[0:1], v[4:5], v[0:1]
	v_add_co_u32 v2, vcc_lo, v71, v63
	v_add_co_ci_u32_e32 v3, vcc_lo, v72, v64, vcc_lo
	global_store_b64 v[2:3], v[0:1], off
	s_endpgm
	.section	.rodata,"a",@progbits
	.p2align	6, 0x0
	.amdhsa_kernel _ZN12_GLOBAL__N_120geam_min_plus_kernelIdddLi4ELi64ELi128ELi128ELi4ELi4ELi64ELi4ELi64ELc84ELc78ELb1ELb0ELb0EdKddEEviiiT16_PT17_ilS4_ilS2_S4_ilPT18_ili26rocblas_geam_ex_operation_
		.amdhsa_group_segment_fixed_size 16384
		.amdhsa_private_segment_fixed_size 528
		.amdhsa_kernarg_size 136
		.amdhsa_user_sgpr_count 14
		.amdhsa_user_sgpr_dispatch_ptr 0
		.amdhsa_user_sgpr_queue_ptr 0
		.amdhsa_user_sgpr_kernarg_segment_ptr 1
		.amdhsa_user_sgpr_dispatch_id 0
		.amdhsa_user_sgpr_private_segment_size 0
		.amdhsa_wavefront_size32 1
		.amdhsa_uses_dynamic_stack 0
		.amdhsa_enable_private_segment 1
		.amdhsa_system_sgpr_workgroup_id_x 1
		.amdhsa_system_sgpr_workgroup_id_y 0
		.amdhsa_system_sgpr_workgroup_id_z 1
		.amdhsa_system_sgpr_workgroup_info 0
		.amdhsa_system_vgpr_workitem_id 1
		.amdhsa_next_free_vgpr 254
		.amdhsa_next_free_sgpr 23
		.amdhsa_reserve_vcc 1
		.amdhsa_float_round_mode_32 0
		.amdhsa_float_round_mode_16_64 0
		.amdhsa_float_denorm_mode_32 3
		.amdhsa_float_denorm_mode_16_64 3
		.amdhsa_dx10_clamp 1
		.amdhsa_ieee_mode 1
		.amdhsa_fp16_overflow 0
		.amdhsa_workgroup_processor_mode 1
		.amdhsa_memory_ordered 1
		.amdhsa_forward_progress 0
		.amdhsa_shared_vgpr_count 0
		.amdhsa_exception_fp_ieee_invalid_op 0
		.amdhsa_exception_fp_denorm_src 0
		.amdhsa_exception_fp_ieee_div_zero 0
		.amdhsa_exception_fp_ieee_overflow 0
		.amdhsa_exception_fp_ieee_underflow 0
		.amdhsa_exception_fp_ieee_inexact 0
		.amdhsa_exception_int_div_zero 0
	.end_amdhsa_kernel
	.section	.text._ZN12_GLOBAL__N_120geam_min_plus_kernelIdddLi4ELi64ELi128ELi128ELi4ELi4ELi64ELi4ELi64ELc84ELc78ELb1ELb0ELb0EdKddEEviiiT16_PT17_ilS4_ilS2_S4_ilPT18_ili26rocblas_geam_ex_operation_,"axG",@progbits,_ZN12_GLOBAL__N_120geam_min_plus_kernelIdddLi4ELi64ELi128ELi128ELi4ELi4ELi64ELi4ELi64ELc84ELc78ELb1ELb0ELb0EdKddEEviiiT16_PT17_ilS4_ilS2_S4_ilPT18_ili26rocblas_geam_ex_operation_,comdat
.Lfunc_end187:
	.size	_ZN12_GLOBAL__N_120geam_min_plus_kernelIdddLi4ELi64ELi128ELi128ELi4ELi4ELi64ELi4ELi64ELc84ELc78ELb1ELb0ELb0EdKddEEviiiT16_PT17_ilS4_ilS2_S4_ilPT18_ili26rocblas_geam_ex_operation_, .Lfunc_end187-_ZN12_GLOBAL__N_120geam_min_plus_kernelIdddLi4ELi64ELi128ELi128ELi4ELi4ELi64ELi4ELi64ELc84ELc78ELb1ELb0ELb0EdKddEEviiiT16_PT17_ilS4_ilS2_S4_ilPT18_ili26rocblas_geam_ex_operation_
                                        ; -- End function
	.section	.AMDGPU.csdata,"",@progbits
; Kernel info:
; codeLenInByte = 42728
; NumSgprs: 25
; NumVgprs: 254
; ScratchSize: 528
; MemoryBound: 1
; FloatMode: 240
; IeeeMode: 1
; LDSByteSize: 16384 bytes/workgroup (compile time only)
; SGPRBlocks: 3
; VGPRBlocks: 31
; NumSGPRsForWavesPerEU: 25
; NumVGPRsForWavesPerEU: 254
; Occupancy: 5
; WaveLimiterHint : 1
; COMPUTE_PGM_RSRC2:SCRATCH_EN: 1
; COMPUTE_PGM_RSRC2:USER_SGPR: 14
; COMPUTE_PGM_RSRC2:TRAP_HANDLER: 0
; COMPUTE_PGM_RSRC2:TGID_X_EN: 1
; COMPUTE_PGM_RSRC2:TGID_Y_EN: 0
; COMPUTE_PGM_RSRC2:TGID_Z_EN: 1
; COMPUTE_PGM_RSRC2:TIDIG_COMP_CNT: 1
	.section	.text._ZN12_GLOBAL__N_120geam_min_plus_kernelIdddLi4ELi64ELi128ELi128ELi4ELi4ELi64ELi4ELi64ELc84ELc78ELb0ELb0ELb0EdKddEEviiiT16_PT17_ilS4_ilS2_S4_ilPT18_ili26rocblas_geam_ex_operation_,"axG",@progbits,_ZN12_GLOBAL__N_120geam_min_plus_kernelIdddLi4ELi64ELi128ELi128ELi4ELi4ELi64ELi4ELi64ELc84ELc78ELb0ELb0ELb0EdKddEEviiiT16_PT17_ilS4_ilS2_S4_ilPT18_ili26rocblas_geam_ex_operation_,comdat
	.globl	_ZN12_GLOBAL__N_120geam_min_plus_kernelIdddLi4ELi64ELi128ELi128ELi4ELi4ELi64ELi4ELi64ELc84ELc78ELb0ELb0ELb0EdKddEEviiiT16_PT17_ilS4_ilS2_S4_ilPT18_ili26rocblas_geam_ex_operation_ ; -- Begin function _ZN12_GLOBAL__N_120geam_min_plus_kernelIdddLi4ELi64ELi128ELi128ELi4ELi4ELi64ELi4ELi64ELc84ELc78ELb0ELb0ELb0EdKddEEviiiT16_PT17_ilS4_ilS2_S4_ilPT18_ili26rocblas_geam_ex_operation_
	.p2align	8
	.type	_ZN12_GLOBAL__N_120geam_min_plus_kernelIdddLi4ELi64ELi128ELi128ELi4ELi4ELi64ELi4ELi64ELc84ELc78ELb0ELb0ELb0EdKddEEviiiT16_PT17_ilS4_ilS2_S4_ilPT18_ili26rocblas_geam_ex_operation_,@function
_ZN12_GLOBAL__N_120geam_min_plus_kernelIdddLi4ELi64ELi128ELi128ELi4ELi4ELi64ELi4ELi64ELc84ELc78ELb0ELb0ELb0EdKddEEviiiT16_PT17_ilS4_ilS2_S4_ilPT18_ili26rocblas_geam_ex_operation_: ; @_ZN12_GLOBAL__N_120geam_min_plus_kernelIdddLi4ELi64ELi128ELi128ELi4ELi4ELi64ELi4ELi64ELc84ELc78ELb0ELb0ELb0EdKddEEviiiT16_PT17_ilS4_ilS2_S4_ilPT18_ili26rocblas_geam_ex_operation_
; %bb.0:
	s_clause 0x1
	s_load_b128 s[16:19], s[0:1], 0x10
	s_load_b128 s[8:11], s[0:1], 0x28
	s_mov_b64 s[12:13], 0
	s_waitcnt lgkmcnt(0)
	v_cmp_eq_f64_e64 s20, s[16:17], 0
	s_delay_alu instid0(VALU_DEP_1)
	s_and_b32 vcc_lo, exec_lo, s20
	s_cbranch_vccnz .LBB188_2
; %bb.1:
	s_mul_i32 s2, s15, s9
	s_mul_hi_u32 s3, s15, s8
	s_delay_alu instid0(SALU_CYCLE_1) | instskip(SKIP_1) | instid1(SALU_CYCLE_1)
	s_add_i32 s3, s3, s2
	s_mul_i32 s2, s15, s8
	s_lshl_b64 s[2:3], s[2:3], 3
	s_delay_alu instid0(SALU_CYCLE_1)
	s_add_u32 s12, s18, s2
	s_addc_u32 s13, s19, s3
.LBB188_2:
	s_clause 0x1
	s_load_b128 s[4:7], s[0:1], 0x40
	s_load_b64 s[2:3], s[0:1], 0x50
	s_and_not1_b32 vcc_lo, exec_lo, s20
	s_cbranch_vccnz .LBB188_4
; %bb.3:
	s_mov_b32 s20, 0
	s_mov_b64 s[18:19], 0
	s_cbranch_execz .LBB188_5
	s_branch .LBB188_6
.LBB188_4:
	s_mov_b32 s20, -1
                                        ; implicit-def: $sgpr18_sgpr19
.LBB188_5:
	s_waitcnt lgkmcnt(0)
	s_mul_i32 s5, s15, s5
	s_mul_hi_u32 s8, s15, s4
	s_mul_i32 s4, s15, s4
	s_add_i32 s5, s8, s5
	s_mov_b32 s20, 0
	s_lshl_b64 s[4:5], s[4:5], 3
	s_delay_alu instid0(SALU_CYCLE_1)
	s_add_u32 s18, s10, s4
	s_addc_u32 s19, s11, s5
.LBB188_6:
	s_waitcnt lgkmcnt(0)
	v_cmp_eq_f64_e64 s4, s[6:7], 0
	v_cmp_neq_f64_e64 s26, s[16:17], 0
	s_load_b128 s[8:11], s[0:1], 0x60
	s_delay_alu instid0(VALU_DEP_2)
	s_and_b32 vcc_lo, exec_lo, s4
	s_mov_b64 s[4:5], 0
	s_cbranch_vccnz .LBB188_8
; %bb.7:
	s_waitcnt lgkmcnt(0)
	s_mul_i32 s4, s15, s9
	s_mul_hi_u32 s5, s15, s8
	s_mul_i32 s9, s20, s8
	s_add_i32 s4, s5, s4
	s_delay_alu instid0(SALU_CYCLE_1) | instskip(SKIP_1) | instid1(SALU_CYCLE_1)
	s_add_i32 s5, s4, s9
	s_mul_i32 s4, s15, s8
	s_lshl_b64 s[4:5], s[4:5], 3
	s_delay_alu instid0(SALU_CYCLE_1)
	s_add_u32 s4, s2, s4
	s_addc_u32 s5, s3, s5
.LBB188_8:
	s_waitcnt lgkmcnt(0)
	s_load_b32 s8, s[0:1], 0x0
	s_mov_b32 s2, 0
	v_bfe_u32 v87, v0, 10, 10
	s_mov_b32 s3, s2
	v_dual_mov_b32 v1, s2 :: v_dual_and_b32 v86, 0x3ff, v0
	v_mov_b32_e32 v2, s3
	s_load_b32 s3, s[0:1], 0x20
	s_delay_alu instid0(VALU_DEP_2) | instskip(SKIP_1) | instid1(VALU_DEP_2)
	v_lshrrev_b32_e32 v0, 2, v86
	v_and_b32_e32 v88, 3, v86
	v_add_nc_u32_e32 v8, v0, v87
	v_cndmask_b32_e64 v0, 0, 1, s26
	s_delay_alu instid0(VALU_DEP_3) | instskip(SKIP_2) | instid1(SALU_CYCLE_1)
	v_lshlrev_b32_e32 v9, 3, v88
	s_waitcnt lgkmcnt(0)
	s_add_i32 s2, s8, -1
	s_ashr_i32 s8, s2, 31
	s_delay_alu instid0(SALU_CYCLE_1) | instskip(NEXT) | instid1(SALU_CYCLE_1)
	s_lshr_b32 s8, s8, 25
	s_add_i32 s2, s2, s8
	s_delay_alu instid0(SALU_CYCLE_1) | instskip(NEXT) | instid1(SALU_CYCLE_1)
	s_ashr_i32 s2, s2, 7
	s_add_i32 s9, s2, 1
	s_not_b32 s2, s2
	v_cvt_f32_u32_e32 v3, s9
	s_delay_alu instid0(VALU_DEP_1)
	v_rcp_iflag_f32_e32 v3, v3
	s_waitcnt_depctr 0xfff
	v_mul_f32_e32 v3, 0x4f7ffffe, v3
	s_clause 0xe
	scratch_store_b64 off, v[1:2], off
	scratch_store_b64 off, v[1:2], off offset:8
	scratch_store_b64 off, v[1:2], off offset:16
	;; [unrolled: 1-line block ×14, first 2 shown]
	v_cvt_u32_f32_e32 v3, v3
	s_clause 0xe
	scratch_store_b64 off, v[1:2], off offset:120
	scratch_store_b64 off, v[1:2], off offset:128
	;; [unrolled: 1-line block ×15, first 2 shown]
	v_readfirstlane_b32 s8, v3
	s_clause 0xd
	scratch_store_b64 off, v[1:2], off offset:240
	scratch_store_b64 off, v[1:2], off offset:248
	;; [unrolled: 1-line block ×14, first 2 shown]
	s_mul_i32 s2, s2, s8
	s_clause 0x3
	scratch_store_b64 off, v[1:2], off offset:352
	scratch_store_b64 off, v[1:2], off offset:360
	;; [unrolled: 1-line block ×4, first 2 shown]
	s_mul_hi_u32 s2, s8, s2
	s_clause 0x1
	scratch_store_b64 off, v[1:2], off offset:384
	scratch_store_b64 off, v[1:2], off offset:392
	s_add_i32 s8, s8, s2
	s_clause 0x6
	scratch_store_b64 off, v[1:2], off offset:400
	scratch_store_b64 off, v[1:2], off offset:408
	;; [unrolled: 1-line block ×7, first 2 shown]
	s_mul_hi_u32 s2, s14, s8
	s_clause 0x1
	scratch_store_b64 off, v[1:2], off offset:456
	scratch_store_b64 off, v[1:2], off offset:464
	s_mul_i32 s8, s2, s9
	s_add_i32 s21, s2, 1
	s_sub_i32 s8, s14, s8
	s_clause 0x2
	scratch_store_b64 off, v[1:2], off offset:472
	scratch_store_b64 off, v[1:2], off offset:480
	;; [unrolled: 1-line block ×3, first 2 shown]
	s_sub_i32 s22, s8, s9
	s_cmp_ge_u32 s8, s9
	s_clause 0x1
	scratch_store_b64 off, v[1:2], off offset:496
	scratch_store_b64 off, v[1:2], off offset:504
	s_cselect_b32 s2, s21, s2
	s_cselect_b32 s8, s22, s8
	s_add_i32 s21, s2, 1
	s_cmp_ge_u32 s8, s9
	s_cselect_b32 s8, s21, s2
	s_and_not1_b32 vcc_lo, exec_lo, s26
	s_mul_i32 s2, s8, s9
	s_delay_alu instid0(SALU_CYCLE_1) | instskip(NEXT) | instid1(SALU_CYCLE_1)
	s_sub_i32 s2, s14, s2
	s_lshl_b32 s14, s2, 7
	v_cmp_ne_u32_e64 s2, 1, v0
	v_add_nc_u32_e32 v76, s14, v8
	s_delay_alu instid0(VALU_DEP_1)
	v_add_nc_u32_e32 v77, 64, v76
	s_cbranch_vccnz .LBB188_10
; %bb.9:
	v_mad_i64_i32 v[0:1], null, v76, s3, 0
	s_delay_alu instid0(VALU_DEP_2) | instskip(SKIP_1) | instid1(VALU_DEP_1)
	v_mad_i64_i32 v[2:3], null, v77, s3, 0
	v_add_co_u32 v4, s9, s12, v9
	v_add_co_ci_u32_e64 v5, null, s13, 0, s9
	s_delay_alu instid0(VALU_DEP_4) | instskip(NEXT) | instid1(VALU_DEP_4)
	v_lshlrev_b64 v[0:1], 3, v[0:1]
	v_lshlrev_b64 v[2:3], 3, v[2:3]
	s_delay_alu instid0(VALU_DEP_2) | instskip(NEXT) | instid1(VALU_DEP_3)
	v_add_co_u32 v0, vcc_lo, v4, v0
	v_add_co_ci_u32_e32 v1, vcc_lo, v5, v1, vcc_lo
	s_delay_alu instid0(VALU_DEP_3) | instskip(NEXT) | instid1(VALU_DEP_4)
	v_add_co_u32 v2, vcc_lo, v4, v2
	v_add_co_ci_u32_e32 v3, vcc_lo, v5, v3, vcc_lo
	s_clause 0x1
	flat_load_b64 v[0:1], v[0:1]
	flat_load_b64 v[2:3], v[2:3]
	s_waitcnt vmcnt(1) lgkmcnt(1)
	v_mul_f64 v[0:1], v[0:1], s[16:17]
	s_waitcnt vmcnt(0) lgkmcnt(0)
	v_mul_f64 v[2:3], v[2:3], s[16:17]
	s_branch .LBB188_11
.LBB188_10:
	v_mov_b32_e32 v0, 0
	v_dual_mov_b32 v1, 0 :: v_dual_mov_b32 v2, 0
	v_mov_b32_e32 v3, 0
.LBB188_11:
	s_load_b32 s24, s[0:1], 0x38
	s_lshl_b32 s21, s8, 7
	s_and_b32 vcc_lo, exec_lo, s2
	v_add_nc_u32_e32 v79, s21, v8
	s_delay_alu instid0(VALU_DEP_1)
	v_add_nc_u32_e32 v78, 64, v79
	s_cbranch_vccnz .LBB188_15
; %bb.12:
	s_waitcnt lgkmcnt(0)
	v_mad_i64_i32 v[4:5], null, v79, s24, 0
	s_delay_alu instid0(VALU_DEP_2) | instskip(SKIP_1) | instid1(VALU_DEP_1)
	v_mad_i64_i32 v[6:7], null, v78, s24, 0
	v_add_co_u32 v10, s8, s18, v9
	v_add_co_ci_u32_e64 v11, null, s19, 0, s8
	s_delay_alu instid0(VALU_DEP_4) | instskip(NEXT) | instid1(VALU_DEP_4)
	v_lshlrev_b64 v[4:5], 3, v[4:5]
	v_lshlrev_b64 v[6:7], 3, v[6:7]
	s_delay_alu instid0(VALU_DEP_2) | instskip(NEXT) | instid1(VALU_DEP_3)
	v_add_co_u32 v4, vcc_lo, v10, v4
	v_add_co_ci_u32_e32 v5, vcc_lo, v11, v5, vcc_lo
	s_delay_alu instid0(VALU_DEP_3) | instskip(NEXT) | instid1(VALU_DEP_4)
	v_add_co_u32 v6, vcc_lo, v10, v6
	v_add_co_ci_u32_e32 v7, vcc_lo, v11, v7, vcc_lo
	s_clause 0x1
	flat_load_b64 v[4:5], v[4:5]
	flat_load_b64 v[6:7], v[6:7]
	s_waitcnt vmcnt(1) lgkmcnt(1)
	v_mul_f64 v[4:5], v[4:5], s[16:17]
	s_waitcnt vmcnt(0) lgkmcnt(0)
	v_mul_f64 v[6:7], v[6:7], s[16:17]
	s_and_b32 vcc_lo, exec_lo, s2
	s_cbranch_vccnz .LBB188_16
.LBB188_13:
	v_mad_i64_i32 v[10:11], null, v76, s3, 0
	v_mad_i64_i32 v[12:13], null, v77, s3, 0
	v_add_co_u32 v14, s8, s12, v9
	s_delay_alu instid0(VALU_DEP_1) | instskip(NEXT) | instid1(VALU_DEP_4)
	v_add_co_ci_u32_e64 v15, null, s13, 0, s8
	v_lshlrev_b64 v[10:11], 3, v[10:11]
	s_delay_alu instid0(VALU_DEP_4) | instskip(NEXT) | instid1(VALU_DEP_2)
	v_lshlrev_b64 v[12:13], 3, v[12:13]
	v_add_co_u32 v10, vcc_lo, v14, v10
	s_delay_alu instid0(VALU_DEP_3) | instskip(NEXT) | instid1(VALU_DEP_3)
	v_add_co_ci_u32_e32 v11, vcc_lo, v15, v11, vcc_lo
	v_add_co_u32 v12, vcc_lo, v14, v12
	s_delay_alu instid0(VALU_DEP_4)
	v_add_co_ci_u32_e32 v13, vcc_lo, v15, v13, vcc_lo
	s_clause 0x1
	flat_load_b64 v[10:11], v[10:11] offset:32
	flat_load_b64 v[12:13], v[12:13] offset:32
	s_waitcnt vmcnt(1) lgkmcnt(0)
	v_mul_f64 v[68:69], v[10:11], s[16:17]
	s_waitcnt vmcnt(0)
	v_mul_f64 v[70:71], v[12:13], s[16:17]
	s_and_b32 vcc_lo, exec_lo, s2
	s_mov_b64 s[8:9], 0
	s_cbranch_vccnz .LBB188_17
.LBB188_14:
	s_waitcnt lgkmcnt(0)
	v_mad_i64_i32 v[10:11], null, v79, s24, 0
	v_mad_i64_i32 v[12:13], null, v78, s24, 0
	v_add_co_u32 v14, s9, s18, v9
	s_delay_alu instid0(VALU_DEP_1) | instskip(NEXT) | instid1(VALU_DEP_4)
	v_add_co_ci_u32_e64 v15, null, s19, 0, s9
	v_lshlrev_b64 v[10:11], 3, v[10:11]
	s_delay_alu instid0(VALU_DEP_4) | instskip(NEXT) | instid1(VALU_DEP_2)
	v_lshlrev_b64 v[12:13], 3, v[12:13]
	v_add_co_u32 v10, vcc_lo, v14, v10
	s_delay_alu instid0(VALU_DEP_3) | instskip(NEXT) | instid1(VALU_DEP_3)
	v_add_co_ci_u32_e32 v11, vcc_lo, v15, v11, vcc_lo
	v_add_co_u32 v12, vcc_lo, v14, v12
	s_delay_alu instid0(VALU_DEP_4)
	v_add_co_ci_u32_e32 v13, vcc_lo, v15, v13, vcc_lo
	s_clause 0x1
	flat_load_b64 v[10:11], v[10:11] offset:32
	flat_load_b64 v[12:13], v[12:13] offset:32
	s_waitcnt vmcnt(1) lgkmcnt(1)
	v_mul_f64 v[72:73], v[10:11], s[16:17]
	s_waitcnt vmcnt(0) lgkmcnt(0)
	v_mul_f64 v[74:75], v[12:13], s[16:17]
	s_branch .LBB188_18
.LBB188_15:
	v_mov_b32_e32 v4, 0
	v_dual_mov_b32 v5, 0 :: v_dual_mov_b32 v6, 0
	v_mov_b32_e32 v7, 0
	s_and_b32 vcc_lo, exec_lo, s2
	s_cbranch_vccz .LBB188_13
.LBB188_16:
	v_mov_b32_e32 v68, 0
	v_dual_mov_b32 v69, 0 :: v_dual_mov_b32 v70, 0
	v_mov_b32_e32 v71, 0
	s_and_b32 vcc_lo, exec_lo, s2
	s_mov_b64 s[8:9], 0
	s_cbranch_vccz .LBB188_14
.LBB188_17:
	v_mov_b32_e32 v72, 0
	v_dual_mov_b32 v73, 0 :: v_dual_mov_b32 v74, 0
	v_mov_b32_e32 v75, 0
.LBB188_18:
	v_cmp_neq_f64_e64 s22, s[6:7], 0
	v_dual_mov_b32 v80, 0 :: v_dual_lshlrev_b32 v89, 5, v86
	v_lshl_or_b32 v90, v8, 5, v9
	v_dual_mov_b32 v82, 16 :: v_dual_lshlrev_b32 v91, 5, v87
	s_delay_alu instid0(VALU_DEP_3)
	v_dual_mov_b32 v83, 24 :: v_dual_add_nc_u32 v52, 0x800, v89
	ds_store_2addr_stride64_b64 v90, v[0:1], v[2:3] offset1:4
	ds_store_2addr_stride64_b64 v90, v[4:5], v[6:7] offset0:16 offset1:20
	s_waitcnt lgkmcnt(0)
	s_waitcnt_vscnt null, 0x0
	s_barrier
	buffer_gl0_inv
	ds_load_2addr_b64 v[0:3], v89 offset1:16
	ds_load_2addr_b64 v[4:7], v89 offset0:32 offset1:48
	ds_load_2addr_b64 v[8:11], v89 offset0:64 offset1:80
	;; [unrolled: 1-line block ×5, first 2 shown]
	ds_load_2addr_b64 v[24:27], v52 offset1:16
	ds_load_2addr_b64 v[28:31], v52 offset0:32 offset1:48
	ds_load_2addr_b64 v[32:35], v52 offset0:64 offset1:80
	;; [unrolled: 1-line block ×9, first 2 shown]
	ds_load_2addr_stride64_b64 v[64:67], v91 offset0:16 offset1:20
	v_dual_mov_b32 v81, 8 :: v_dual_add_nc_u32 v92, 0x2000, v90
	v_dual_mov_b32 v84, 32 :: v_dual_add_nc_u32 v93, 0x2000, v91
	v_dual_mov_b32 v85, 40 :: v_dual_mov_b32 v94, 48
	v_dual_mov_b32 v95, 56 :: v_dual_mov_b32 v96, 64
	v_mov_b32_e32 v97, 0x48
	v_mov_b32_e32 v98, 0x50
	;; [unrolled: 1-line block ×23, first 2 shown]
	s_mov_b32 s23, -1
.LBB188_19:                             ; =>This Inner Loop Header: Depth=1
	scratch_load_b64 v[120:121], v80, off
	scratch_load_b64 v[122:123], v81, off
	;; [unrolled: 1-line block ×32, first 2 shown]
	s_cmp_eq_u32 s8, 1
	s_waitcnt lgkmcnt(16)
	v_max_f64 v[186:187], v[0:1], v[0:1]
	s_cselect_b32 vcc_lo, -1, 0
	v_max_f64 v[188:189], v[2:3], v[2:3]
	s_waitcnt lgkmcnt(0)
	v_dual_cndmask_b32 v185, v65, v67 :: v_dual_cndmask_b32 v184, v64, v66
	v_max_f64 v[190:191], v[4:5], v[4:5]
	v_max_f64 v[192:193], v[6:7], v[6:7]
	;; [unrolled: 1-line block ×31, first 2 shown]
	s_mov_b64 s[8:9], 1
	s_and_b32 vcc_lo, exec_lo, s23
	s_mov_b32 s23, 0
	v_min_f64 v[186:187], v[186:187], v[184:185]
	v_min_f64 v[188:189], v[188:189], v[184:185]
	;; [unrolled: 1-line block ×32, first 2 shown]
	s_waitcnt vmcnt(31)
	v_add_f64 v[120:121], v[120:121], v[186:187]
	s_waitcnt vmcnt(30)
	v_add_f64 v[122:123], v[188:189], v[122:123]
	;; [unrolled: 2-line block ×32, first 2 shown]
	scratch_store_b64 v80, v[120:121], off
	scratch_store_b64 v81, v[122:123], off
	;; [unrolled: 1-line block ×32, first 2 shown]
	v_mov_b32_e32 v80, 0x100
	v_mov_b32_e32 v81, 0x108
	;; [unrolled: 1-line block ×32, first 2 shown]
	s_cbranch_vccnz .LBB188_19
; %bb.20:
	v_dual_mov_b32 v81, 8 :: v_dual_add_nc_u32 v60, 0x800, v89
	ds_load_2addr_b64 v[0:3], v89 offset0:1 offset1:17
	ds_load_2addr_b64 v[4:7], v89 offset0:33 offset1:49
	;; [unrolled: 1-line block ×12, first 2 shown]
	v_dual_mov_b32 v83, 24 :: v_dual_add_nc_u32 v64, 8, v93
	ds_load_2addr_b64 v[48:51], v60 offset0:129 offset1:145
	ds_load_2addr_b64 v[52:55], v60 offset0:161 offset1:177
	;; [unrolled: 1-line block ×4, first 2 shown]
	ds_load_2addr_stride64_b64 v[64:67], v64 offset1:4
	v_dual_mov_b32 v80, 0 :: v_dual_mov_b32 v85, 40
	v_dual_mov_b32 v82, 16 :: v_dual_mov_b32 v95, 56
	;; [unrolled: 1-line block ×5, first 2 shown]
	v_mov_b32_e32 v98, 0x50
	v_mov_b32_e32 v100, 0x60
	;; [unrolled: 1-line block ×20, first 2 shown]
	s_mov_b64 s[8:9], 0
	s_mov_b32 s23, -1
.LBB188_21:                             ; =>This Inner Loop Header: Depth=1
	scratch_load_b64 v[120:121], v80, off
	scratch_load_b64 v[122:123], v81, off
	;; [unrolled: 1-line block ×32, first 2 shown]
	s_cmp_eq_u32 s8, 1
	s_waitcnt lgkmcnt(16)
	v_max_f64 v[186:187], v[0:1], v[0:1]
	s_cselect_b32 vcc_lo, -1, 0
	v_max_f64 v[188:189], v[2:3], v[2:3]
	s_waitcnt lgkmcnt(0)
	v_dual_cndmask_b32 v185, v65, v67 :: v_dual_cndmask_b32 v184, v64, v66
	v_max_f64 v[190:191], v[4:5], v[4:5]
	v_max_f64 v[192:193], v[6:7], v[6:7]
	;; [unrolled: 1-line block ×31, first 2 shown]
	s_mov_b64 s[8:9], 1
	s_and_b32 vcc_lo, exec_lo, s23
	s_mov_b32 s23, 0
	v_min_f64 v[186:187], v[186:187], v[184:185]
	v_min_f64 v[188:189], v[188:189], v[184:185]
	;; [unrolled: 1-line block ×32, first 2 shown]
	s_waitcnt vmcnt(31)
	v_add_f64 v[120:121], v[120:121], v[186:187]
	s_waitcnt vmcnt(30)
	v_add_f64 v[122:123], v[188:189], v[122:123]
	;; [unrolled: 2-line block ×32, first 2 shown]
	scratch_store_b64 v80, v[120:121], off
	scratch_store_b64 v81, v[122:123], off
	;; [unrolled: 1-line block ×32, first 2 shown]
	v_mov_b32_e32 v80, 0x100
	v_mov_b32_e32 v81, 0x108
	;; [unrolled: 1-line block ×32, first 2 shown]
	s_cbranch_vccnz .LBB188_21
; %bb.22:
	v_dual_mov_b32 v81, 8 :: v_dual_add_nc_u32 v60, 0x800, v89
	ds_load_2addr_b64 v[0:3], v89 offset0:2 offset1:18
	ds_load_2addr_b64 v[4:7], v89 offset0:34 offset1:50
	ds_load_2addr_b64 v[8:11], v89 offset0:66 offset1:82
	ds_load_2addr_b64 v[12:15], v89 offset0:98 offset1:114
	ds_load_2addr_b64 v[16:19], v89 offset0:130 offset1:146
	ds_load_2addr_b64 v[20:23], v89 offset0:162 offset1:178
	ds_load_2addr_b64 v[24:27], v89 offset0:194 offset1:210
	ds_load_2addr_b64 v[28:31], v89 offset0:226 offset1:242
	ds_load_2addr_b64 v[32:35], v60 offset0:2 offset1:18
	ds_load_2addr_b64 v[36:39], v60 offset0:34 offset1:50
	ds_load_2addr_b64 v[40:43], v60 offset0:66 offset1:82
	ds_load_2addr_b64 v[44:47], v60 offset0:98 offset1:114
	v_dual_mov_b32 v83, 24 :: v_dual_add_nc_u32 v64, 16, v93
	ds_load_2addr_b64 v[48:51], v60 offset0:130 offset1:146
	ds_load_2addr_b64 v[52:55], v60 offset0:162 offset1:178
	ds_load_2addr_b64 v[56:59], v60 offset0:194 offset1:210
	ds_load_2addr_b64 v[60:63], v60 offset0:226 offset1:242
	ds_load_2addr_stride64_b64 v[64:67], v64 offset1:4
	v_dual_mov_b32 v80, 0 :: v_dual_mov_b32 v85, 40
	v_dual_mov_b32 v82, 16 :: v_dual_mov_b32 v95, 56
	v_dual_mov_b32 v84, 32 :: v_dual_mov_b32 v97, 0x48
	v_dual_mov_b32 v94, 48 :: v_dual_mov_b32 v99, 0x58
	v_dual_mov_b32 v96, 64 :: v_dual_mov_b32 v101, 0x68
	v_mov_b32_e32 v98, 0x50
	v_mov_b32_e32 v100, 0x60
	;; [unrolled: 1-line block ×20, first 2 shown]
	s_mov_b64 s[8:9], 0
	s_mov_b32 s23, -1
.LBB188_23:                             ; =>This Inner Loop Header: Depth=1
	scratch_load_b64 v[120:121], v80, off
	scratch_load_b64 v[122:123], v81, off
	;; [unrolled: 1-line block ×32, first 2 shown]
	s_cmp_eq_u32 s8, 1
	s_waitcnt lgkmcnt(16)
	v_max_f64 v[186:187], v[0:1], v[0:1]
	s_cselect_b32 vcc_lo, -1, 0
	v_max_f64 v[188:189], v[2:3], v[2:3]
	s_waitcnt lgkmcnt(0)
	v_dual_cndmask_b32 v185, v65, v67 :: v_dual_cndmask_b32 v184, v64, v66
	v_max_f64 v[190:191], v[4:5], v[4:5]
	v_max_f64 v[192:193], v[6:7], v[6:7]
	;; [unrolled: 1-line block ×31, first 2 shown]
	s_mov_b64 s[8:9], 1
	s_and_b32 vcc_lo, exec_lo, s23
	s_mov_b32 s23, 0
	v_min_f64 v[186:187], v[186:187], v[184:185]
	v_min_f64 v[188:189], v[188:189], v[184:185]
	;; [unrolled: 1-line block ×32, first 2 shown]
	s_waitcnt vmcnt(31)
	v_add_f64 v[120:121], v[120:121], v[186:187]
	s_waitcnt vmcnt(30)
	v_add_f64 v[122:123], v[188:189], v[122:123]
	;; [unrolled: 2-line block ×32, first 2 shown]
	scratch_store_b64 v80, v[120:121], off
	scratch_store_b64 v81, v[122:123], off
	;; [unrolled: 1-line block ×32, first 2 shown]
	v_mov_b32_e32 v80, 0x100
	v_mov_b32_e32 v81, 0x108
	;; [unrolled: 1-line block ×32, first 2 shown]
	s_cbranch_vccnz .LBB188_23
; %bb.24:
	v_dual_mov_b32 v81, 8 :: v_dual_add_nc_u32 v60, 0x800, v89
	ds_load_2addr_b64 v[0:3], v89 offset0:3 offset1:19
	ds_load_2addr_b64 v[4:7], v89 offset0:35 offset1:51
	;; [unrolled: 1-line block ×12, first 2 shown]
	v_dual_mov_b32 v83, 24 :: v_dual_add_nc_u32 v64, 24, v93
	ds_load_2addr_b64 v[48:51], v60 offset0:131 offset1:147
	ds_load_2addr_b64 v[52:55], v60 offset0:163 offset1:179
	;; [unrolled: 1-line block ×4, first 2 shown]
	ds_load_2addr_stride64_b64 v[64:67], v64 offset1:4
	v_dual_mov_b32 v80, 0 :: v_dual_mov_b32 v85, 40
	v_dual_mov_b32 v82, 16 :: v_dual_mov_b32 v95, 56
	;; [unrolled: 1-line block ×5, first 2 shown]
	v_mov_b32_e32 v98, 0x50
	v_mov_b32_e32 v100, 0x60
	;; [unrolled: 1-line block ×20, first 2 shown]
	s_mov_b64 s[8:9], 0
	s_mov_b32 s23, -1
.LBB188_25:                             ; =>This Inner Loop Header: Depth=1
	scratch_load_b64 v[120:121], v80, off
	scratch_load_b64 v[122:123], v81, off
	scratch_load_b64 v[124:125], v82, off
	scratch_load_b64 v[126:127], v83, off
	scratch_load_b64 v[128:129], v84, off
	scratch_load_b64 v[130:131], v85, off
	scratch_load_b64 v[132:133], v94, off
	scratch_load_b64 v[134:135], v95, off
	scratch_load_b64 v[136:137], v96, off
	scratch_load_b64 v[138:139], v97, off
	scratch_load_b64 v[140:141], v98, off
	scratch_load_b64 v[142:143], v99, off
	scratch_load_b64 v[144:145], v100, off
	scratch_load_b64 v[146:147], v101, off
	scratch_load_b64 v[148:149], v102, off
	scratch_load_b64 v[150:151], v103, off
	scratch_load_b64 v[152:153], v104, off
	scratch_load_b64 v[154:155], v105, off
	scratch_load_b64 v[156:157], v106, off
	scratch_load_b64 v[158:159], v107, off
	scratch_load_b64 v[160:161], v108, off
	scratch_load_b64 v[162:163], v109, off
	scratch_load_b64 v[164:165], v110, off
	scratch_load_b64 v[166:167], v111, off
	scratch_load_b64 v[168:169], v112, off
	scratch_load_b64 v[170:171], v113, off
	scratch_load_b64 v[172:173], v114, off
	scratch_load_b64 v[174:175], v115, off
	scratch_load_b64 v[176:177], v116, off
	scratch_load_b64 v[178:179], v117, off
	scratch_load_b64 v[180:181], v118, off
	scratch_load_b64 v[182:183], v119, off
	s_cmp_eq_u32 s8, 1
	s_waitcnt lgkmcnt(16)
	v_max_f64 v[186:187], v[0:1], v[0:1]
	s_cselect_b32 vcc_lo, -1, 0
	v_max_f64 v[188:189], v[2:3], v[2:3]
	s_waitcnt lgkmcnt(0)
	v_dual_cndmask_b32 v185, v65, v67 :: v_dual_cndmask_b32 v184, v64, v66
	v_max_f64 v[190:191], v[4:5], v[4:5]
	v_max_f64 v[192:193], v[6:7], v[6:7]
	;; [unrolled: 1-line block ×31, first 2 shown]
	s_mov_b64 s[8:9], 1
	s_and_b32 vcc_lo, exec_lo, s23
	s_mov_b32 s23, 0
	v_min_f64 v[186:187], v[186:187], v[184:185]
	v_min_f64 v[188:189], v[188:189], v[184:185]
	;; [unrolled: 1-line block ×32, first 2 shown]
	s_waitcnt vmcnt(31)
	v_add_f64 v[120:121], v[120:121], v[186:187]
	s_waitcnt vmcnt(30)
	v_add_f64 v[122:123], v[188:189], v[122:123]
	;; [unrolled: 2-line block ×32, first 2 shown]
	scratch_store_b64 v80, v[120:121], off
	scratch_store_b64 v81, v[122:123], off
	;; [unrolled: 1-line block ×32, first 2 shown]
	v_mov_b32_e32 v80, 0x100
	v_mov_b32_e32 v81, 0x108
	;; [unrolled: 1-line block ×32, first 2 shown]
	s_cbranch_vccnz .LBB188_25
; %bb.26:
	s_load_b32 s8, s[0:1], 0x8
	s_mov_b32 s23, 8
	ds_store_2addr_stride64_b64 v90, v[68:69], v[70:71] offset0:8 offset1:12
	ds_store_2addr_stride64_b64 v90, v[72:73], v[74:75] offset0:24 offset1:28
	s_waitcnt lgkmcnt(0)
	s_waitcnt_vscnt null, 0x0
	s_barrier
	buffer_gl0_inv
	s_cmp_gt_i32 s8, 8
	s_cbranch_scc0 .LBB188_55
; %bb.27:
	v_mad_i64_i32 v[0:1], null, v76, s3, 0
	v_mad_i64_i32 v[2:3], null, v77, s3, 0
	;; [unrolled: 1-line block ×4, first 2 shown]
	v_lshl_add_u32 v96, v86, 5, 0x1000
	v_lshlrev_b64 v[70:71], 3, v[0:1]
	v_lshlrev_b64 v[72:73], 3, v[2:3]
	v_dual_mov_b32 v69, 0 :: v_dual_add_nc_u32 v94, 0x1000, v90
	v_lshlrev_b64 v[74:75], 3, v[4:5]
	v_lshlrev_b64 v[76:77], 3, v[6:7]
	v_add_nc_u32_e32 v95, 0x3000, v90
	v_lshl_add_u32 v97, v87, 5, 0x3000
	v_add_nc_u32_e32 v98, 0x800, v96
	s_add_i32 s24, s8, -8
	s_mov_b32 s25, 0
	s_and_b32 s3, exec_lo, s26
.LBB188_28:                             ; =>This Loop Header: Depth=1
                                        ;     Child Loop BB188_34 Depth 2
                                        ;     Child Loop BB188_36 Depth 2
                                        ;     Child Loop BB188_38 Depth 2
                                        ;     Child Loop BB188_40 Depth 2
                                        ;     Child Loop BB188_47 Depth 2
                                        ;     Child Loop BB188_49 Depth 2
                                        ;     Child Loop BB188_51 Depth 2
                                        ;     Child Loop BB188_53 Depth 2
	v_or_b32_e32 v68, s23, v88
	s_and_b32 vcc_lo, exec_lo, s2
	s_cbranch_vccnz .LBB188_31
; %bb.29:                               ;   in Loop: Header=BB188_28 Depth=1
	s_delay_alu instid0(VALU_DEP_1) | instskip(NEXT) | instid1(VALU_DEP_1)
	v_lshlrev_b64 v[0:1], 3, v[68:69]
	v_add_co_u32 v2, vcc_lo, s12, v0
	s_delay_alu instid0(VALU_DEP_2) | instskip(NEXT) | instid1(VALU_DEP_2)
	v_add_co_ci_u32_e32 v3, vcc_lo, s13, v1, vcc_lo
	v_add_co_u32 v0, vcc_lo, v2, v70
	s_delay_alu instid0(VALU_DEP_2)
	v_add_co_ci_u32_e32 v1, vcc_lo, v3, v71, vcc_lo
	v_add_co_u32 v2, vcc_lo, v2, v72
	v_add_co_ci_u32_e32 v3, vcc_lo, v3, v73, vcc_lo
	s_clause 0x1
	flat_load_b64 v[0:1], v[0:1]
	flat_load_b64 v[2:3], v[2:3]
	s_waitcnt vmcnt(1) lgkmcnt(1)
	v_mul_f64 v[78:79], v[0:1], s[16:17]
	s_waitcnt vmcnt(0) lgkmcnt(0)
	v_mul_f64 v[80:81], v[2:3], s[16:17]
	s_and_b32 vcc_lo, exec_lo, s2
	s_mov_b64 s[8:9], 0
	s_cbranch_vccnz .LBB188_32
.LBB188_30:                             ;   in Loop: Header=BB188_28 Depth=1
	v_lshlrev_b64 v[0:1], 3, v[68:69]
	s_delay_alu instid0(VALU_DEP_1) | instskip(NEXT) | instid1(VALU_DEP_2)
	v_add_co_u32 v2, vcc_lo, s18, v0
	v_add_co_ci_u32_e32 v3, vcc_lo, s19, v1, vcc_lo
	s_delay_alu instid0(VALU_DEP_2) | instskip(NEXT) | instid1(VALU_DEP_2)
	v_add_co_u32 v0, vcc_lo, v2, v74
	v_add_co_ci_u32_e32 v1, vcc_lo, v3, v75, vcc_lo
	v_add_co_u32 v2, vcc_lo, v2, v76
	v_add_co_ci_u32_e32 v3, vcc_lo, v3, v77, vcc_lo
	s_clause 0x1
	flat_load_b64 v[0:1], v[0:1]
	flat_load_b64 v[2:3], v[2:3]
	s_waitcnt vmcnt(1) lgkmcnt(1)
	v_mul_f64 v[82:83], v[0:1], s[16:17]
	s_waitcnt vmcnt(0) lgkmcnt(0)
	v_mul_f64 v[84:85], v[2:3], s[16:17]
	s_branch .LBB188_33
.LBB188_31:                             ;   in Loop: Header=BB188_28 Depth=1
	v_mov_b32_e32 v78, 0
	v_dual_mov_b32 v79, 0 :: v_dual_mov_b32 v80, 0
	v_mov_b32_e32 v81, 0
	s_and_b32 vcc_lo, exec_lo, s2
	s_mov_b64 s[8:9], 0
	s_cbranch_vccz .LBB188_30
.LBB188_32:                             ;   in Loop: Header=BB188_28 Depth=1
	v_mov_b32_e32 v82, 0
	v_dual_mov_b32 v83, 0 :: v_dual_mov_b32 v84, 0
	v_mov_b32_e32 v85, 0
.LBB188_33:                             ;   in Loop: Header=BB188_28 Depth=1
	ds_load_2addr_b64 v[0:3], v96 offset1:16
	ds_load_2addr_b64 v[4:7], v96 offset0:32 offset1:48
	ds_load_2addr_b64 v[8:11], v96 offset0:64 offset1:80
	;; [unrolled: 1-line block ×7, first 2 shown]
	ds_load_2addr_b64 v[32:35], v98 offset1:16
	ds_load_2addr_b64 v[36:39], v98 offset0:32 offset1:48
	ds_load_2addr_b64 v[40:43], v98 offset0:64 offset1:80
	;; [unrolled: 1-line block ×7, first 2 shown]
	ds_load_2addr_stride64_b64 v[64:67], v97 offset1:4
	v_dual_mov_b32 v130, 0 :: v_dual_mov_b32 v129, 8
	v_dual_mov_b32 v128, 16 :: v_dual_mov_b32 v127, 24
	;; [unrolled: 1-line block ×5, first 2 shown]
	v_mov_b32_e32 v120, 0x50
	v_mov_b32_e32 v119, 0x58
	;; [unrolled: 1-line block ×22, first 2 shown]
	s_mov_b32 s26, -1
.LBB188_34:                             ;   Parent Loop BB188_28 Depth=1
                                        ; =>  This Inner Loop Header: Depth=2
	scratch_load_b64 v[135:136], v130, off
	s_cmp_eq_u32 s8, 1
	s_waitcnt lgkmcnt(16)
	v_max_f64 v[133:134], v[0:1], v[0:1]
	s_cselect_b32 vcc_lo, -1, 0
	s_mov_b64 s[8:9], 1
	s_waitcnt lgkmcnt(0)
	v_dual_cndmask_b32 v132, v65, v67 :: v_dual_cndmask_b32 v131, v64, v66
	s_and_b32 vcc_lo, exec_lo, s26
	s_mov_b32 s26, 0
	s_delay_alu instid0(VALU_DEP_1) | instskip(NEXT) | instid1(VALU_DEP_1)
	v_max_f64 v[131:132], v[131:132], v[131:132]
	v_min_f64 v[133:134], v[133:134], v[131:132]
	s_waitcnt vmcnt(0)
	s_delay_alu instid0(VALU_DEP_1) | instskip(SKIP_3) | instid1(VALU_DEP_1)
	v_add_f64 v[133:134], v[135:136], v[133:134]
	scratch_load_b64 v[135:136], v129, off
	scratch_store_b64 v130, v[133:134], off
	v_max_f64 v[133:134], v[2:3], v[2:3]
	v_min_f64 v[133:134], v[133:134], v[131:132]
	s_waitcnt vmcnt(0)
	s_delay_alu instid0(VALU_DEP_1) | instskip(SKIP_3) | instid1(VALU_DEP_1)
	v_add_f64 v[133:134], v[133:134], v[135:136]
	scratch_store_b64 v129, v[133:134], off
	scratch_load_b64 v[133:134], v128, off
	v_max_f64 v[129:130], v[4:5], v[4:5]
	v_min_f64 v[129:130], v[129:130], v[131:132]
	s_waitcnt vmcnt(0)
	s_delay_alu instid0(VALU_DEP_1) | instskip(SKIP_3) | instid1(VALU_DEP_1)
	v_add_f64 v[129:130], v[129:130], v[133:134]
	scratch_load_b64 v[133:134], v127, off
	scratch_store_b64 v128, v[129:130], off
	v_max_f64 v[128:129], v[6:7], v[6:7]
	v_min_f64 v[128:129], v[128:129], v[131:132]
	s_waitcnt vmcnt(0)
	s_delay_alu instid0(VALU_DEP_1) | instskip(SKIP_3) | instid1(VALU_DEP_1)
	v_add_f64 v[128:129], v[128:129], v[133:134]
	scratch_store_b64 v127, v[128:129], off
	scratch_load_b64 v[129:130], v126, off
	v_max_f64 v[127:128], v[8:9], v[8:9]
	v_min_f64 v[127:128], v[127:128], v[131:132]
	s_waitcnt vmcnt(0)
	s_delay_alu instid0(VALU_DEP_1) | instskip(SKIP_4) | instid1(VALU_DEP_1)
	v_add_f64 v[127:128], v[127:128], v[129:130]
	v_mov_b32_e32 v130, 0x100
	scratch_store_b64 v126, v[127:128], off
	scratch_load_b64 v[128:129], v125, off
	v_max_f64 v[126:127], v[10:11], v[10:11]
	v_min_f64 v[126:127], v[126:127], v[131:132]
	s_waitcnt vmcnt(0)
	s_delay_alu instid0(VALU_DEP_1) | instskip(SKIP_4) | instid1(VALU_DEP_1)
	v_add_f64 v[126:127], v[126:127], v[128:129]
	v_mov_b32_e32 v129, 0x108
	;; [unrolled: 8-line block ×27, first 2 shown]
	scratch_store_b64 v100, v[101:102], off
	scratch_load_b64 v[102:103], v99, off
	v_max_f64 v[100:101], v[62:63], v[62:63]
	v_min_f64 v[100:101], v[100:101], v[131:132]
	s_waitcnt vmcnt(0)
	s_delay_alu instid0(VALU_DEP_1)
	v_add_f64 v[100:101], v[100:101], v[102:103]
	v_mov_b32_e32 v103, 0x1d8
	v_mov_b32_e32 v102, 0x1e0
	scratch_store_b64 v99, v[100:101], off
	v_mov_b32_e32 v101, 0x1e8
	v_mov_b32_e32 v100, 0x1f0
	;; [unrolled: 1-line block ×3, first 2 shown]
	s_cbranch_vccnz .LBB188_34
; %bb.35:                               ;   in Loop: Header=BB188_28 Depth=1
	ds_load_2addr_b64 v[0:3], v96 offset0:1 offset1:17
	ds_load_2addr_b64 v[4:7], v96 offset0:33 offset1:49
	;; [unrolled: 1-line block ×12, first 2 shown]
	v_dual_mov_b32 v129, 8 :: v_dual_add_nc_u32 v64, 8, v97
	ds_load_2addr_b64 v[48:51], v98 offset0:129 offset1:145
	ds_load_2addr_b64 v[52:55], v98 offset0:161 offset1:177
	;; [unrolled: 1-line block ×4, first 2 shown]
	ds_load_2addr_stride64_b64 v[64:67], v64 offset1:4
	v_dual_mov_b32 v130, 0 :: v_dual_mov_b32 v127, 24
	v_dual_mov_b32 v128, 16 :: v_dual_mov_b32 v125, 40
	;; [unrolled: 1-line block ×5, first 2 shown]
	v_mov_b32_e32 v120, 0x50
	v_mov_b32_e32 v118, 0x60
	;; [unrolled: 1-line block ×21, first 2 shown]
	s_mov_b64 s[8:9], 0
	s_mov_b32 s26, -1
.LBB188_36:                             ;   Parent Loop BB188_28 Depth=1
                                        ; =>  This Inner Loop Header: Depth=2
	scratch_load_b64 v[135:136], v130, off
	s_cmp_eq_u32 s8, 1
	s_waitcnt lgkmcnt(16)
	v_max_f64 v[133:134], v[0:1], v[0:1]
	s_cselect_b32 vcc_lo, -1, 0
	s_mov_b64 s[8:9], 1
	s_waitcnt lgkmcnt(0)
	v_dual_cndmask_b32 v132, v65, v67 :: v_dual_cndmask_b32 v131, v64, v66
	s_and_b32 vcc_lo, exec_lo, s26
	s_mov_b32 s26, 0
	s_delay_alu instid0(VALU_DEP_1) | instskip(NEXT) | instid1(VALU_DEP_1)
	v_max_f64 v[131:132], v[131:132], v[131:132]
	v_min_f64 v[133:134], v[133:134], v[131:132]
	s_waitcnt vmcnt(0)
	s_delay_alu instid0(VALU_DEP_1) | instskip(SKIP_3) | instid1(VALU_DEP_1)
	v_add_f64 v[133:134], v[135:136], v[133:134]
	scratch_load_b64 v[135:136], v129, off
	scratch_store_b64 v130, v[133:134], off
	v_max_f64 v[133:134], v[2:3], v[2:3]
	v_min_f64 v[133:134], v[133:134], v[131:132]
	s_waitcnt vmcnt(0)
	s_delay_alu instid0(VALU_DEP_1) | instskip(SKIP_3) | instid1(VALU_DEP_1)
	v_add_f64 v[133:134], v[133:134], v[135:136]
	scratch_store_b64 v129, v[133:134], off
	scratch_load_b64 v[133:134], v128, off
	v_max_f64 v[129:130], v[4:5], v[4:5]
	v_min_f64 v[129:130], v[129:130], v[131:132]
	s_waitcnt vmcnt(0)
	s_delay_alu instid0(VALU_DEP_1) | instskip(SKIP_3) | instid1(VALU_DEP_1)
	v_add_f64 v[129:130], v[129:130], v[133:134]
	scratch_load_b64 v[133:134], v127, off
	scratch_store_b64 v128, v[129:130], off
	v_max_f64 v[128:129], v[6:7], v[6:7]
	v_min_f64 v[128:129], v[128:129], v[131:132]
	s_waitcnt vmcnt(0)
	s_delay_alu instid0(VALU_DEP_1) | instskip(SKIP_3) | instid1(VALU_DEP_1)
	v_add_f64 v[128:129], v[128:129], v[133:134]
	scratch_store_b64 v127, v[128:129], off
	scratch_load_b64 v[129:130], v126, off
	v_max_f64 v[127:128], v[8:9], v[8:9]
	v_min_f64 v[127:128], v[127:128], v[131:132]
	s_waitcnt vmcnt(0)
	s_delay_alu instid0(VALU_DEP_1) | instskip(SKIP_4) | instid1(VALU_DEP_1)
	v_add_f64 v[127:128], v[127:128], v[129:130]
	v_mov_b32_e32 v130, 0x100
	scratch_store_b64 v126, v[127:128], off
	scratch_load_b64 v[128:129], v125, off
	v_max_f64 v[126:127], v[10:11], v[10:11]
	v_min_f64 v[126:127], v[126:127], v[131:132]
	s_waitcnt vmcnt(0)
	s_delay_alu instid0(VALU_DEP_1) | instskip(SKIP_4) | instid1(VALU_DEP_1)
	v_add_f64 v[126:127], v[126:127], v[128:129]
	v_mov_b32_e32 v129, 0x108
	;; [unrolled: 8-line block ×27, first 2 shown]
	scratch_store_b64 v100, v[101:102], off
	scratch_load_b64 v[102:103], v99, off
	v_max_f64 v[100:101], v[62:63], v[62:63]
	v_min_f64 v[100:101], v[100:101], v[131:132]
	s_waitcnt vmcnt(0)
	s_delay_alu instid0(VALU_DEP_1)
	v_add_f64 v[100:101], v[100:101], v[102:103]
	v_mov_b32_e32 v103, 0x1d8
	v_mov_b32_e32 v102, 0x1e0
	scratch_store_b64 v99, v[100:101], off
	v_mov_b32_e32 v101, 0x1e8
	v_mov_b32_e32 v100, 0x1f0
	;; [unrolled: 1-line block ×3, first 2 shown]
	s_cbranch_vccnz .LBB188_36
; %bb.37:                               ;   in Loop: Header=BB188_28 Depth=1
	ds_load_2addr_b64 v[0:3], v96 offset0:2 offset1:18
	ds_load_2addr_b64 v[4:7], v96 offset0:34 offset1:50
	;; [unrolled: 1-line block ×12, first 2 shown]
	v_dual_mov_b32 v129, 8 :: v_dual_add_nc_u32 v64, 16, v97
	ds_load_2addr_b64 v[48:51], v98 offset0:130 offset1:146
	ds_load_2addr_b64 v[52:55], v98 offset0:162 offset1:178
	;; [unrolled: 1-line block ×4, first 2 shown]
	ds_load_2addr_stride64_b64 v[64:67], v64 offset1:4
	v_dual_mov_b32 v130, 0 :: v_dual_mov_b32 v127, 24
	v_dual_mov_b32 v128, 16 :: v_dual_mov_b32 v125, 40
	;; [unrolled: 1-line block ×5, first 2 shown]
	v_mov_b32_e32 v120, 0x50
	v_mov_b32_e32 v118, 0x60
	v_mov_b32_e32 v117, 0x68
	v_mov_b32_e32 v116, 0x70
	v_mov_b32_e32 v115, 0x78
	v_mov_b32_e32 v114, 0x80
	v_mov_b32_e32 v113, 0x88
	v_mov_b32_e32 v112, 0x90
	v_mov_b32_e32 v111, 0x98
	v_mov_b32_e32 v110, 0xa0
	v_mov_b32_e32 v109, 0xa8
	v_mov_b32_e32 v108, 0xb0
	v_mov_b32_e32 v107, 0xb8
	v_mov_b32_e32 v106, 0xc0
	v_mov_b32_e32 v105, 0xc8
	v_mov_b32_e32 v104, 0xd0
	v_mov_b32_e32 v103, 0xd8
	v_mov_b32_e32 v102, 0xe0
	v_mov_b32_e32 v101, 0xe8
	v_mov_b32_e32 v100, 0xf0
	v_mov_b32_e32 v99, 0xf8
	s_mov_b64 s[8:9], 0
	s_mov_b32 s26, -1
.LBB188_38:                             ;   Parent Loop BB188_28 Depth=1
                                        ; =>  This Inner Loop Header: Depth=2
	scratch_load_b64 v[135:136], v130, off
	s_cmp_eq_u32 s8, 1
	s_waitcnt lgkmcnt(16)
	v_max_f64 v[133:134], v[0:1], v[0:1]
	s_cselect_b32 vcc_lo, -1, 0
	s_mov_b64 s[8:9], 1
	s_waitcnt lgkmcnt(0)
	v_dual_cndmask_b32 v132, v65, v67 :: v_dual_cndmask_b32 v131, v64, v66
	s_and_b32 vcc_lo, exec_lo, s26
	s_mov_b32 s26, 0
	s_delay_alu instid0(VALU_DEP_1) | instskip(NEXT) | instid1(VALU_DEP_1)
	v_max_f64 v[131:132], v[131:132], v[131:132]
	v_min_f64 v[133:134], v[133:134], v[131:132]
	s_waitcnt vmcnt(0)
	s_delay_alu instid0(VALU_DEP_1) | instskip(SKIP_3) | instid1(VALU_DEP_1)
	v_add_f64 v[133:134], v[135:136], v[133:134]
	scratch_load_b64 v[135:136], v129, off
	scratch_store_b64 v130, v[133:134], off
	v_max_f64 v[133:134], v[2:3], v[2:3]
	v_min_f64 v[133:134], v[133:134], v[131:132]
	s_waitcnt vmcnt(0)
	s_delay_alu instid0(VALU_DEP_1) | instskip(SKIP_3) | instid1(VALU_DEP_1)
	v_add_f64 v[133:134], v[133:134], v[135:136]
	scratch_store_b64 v129, v[133:134], off
	scratch_load_b64 v[133:134], v128, off
	v_max_f64 v[129:130], v[4:5], v[4:5]
	v_min_f64 v[129:130], v[129:130], v[131:132]
	s_waitcnt vmcnt(0)
	s_delay_alu instid0(VALU_DEP_1) | instskip(SKIP_3) | instid1(VALU_DEP_1)
	v_add_f64 v[129:130], v[129:130], v[133:134]
	scratch_load_b64 v[133:134], v127, off
	scratch_store_b64 v128, v[129:130], off
	v_max_f64 v[128:129], v[6:7], v[6:7]
	v_min_f64 v[128:129], v[128:129], v[131:132]
	s_waitcnt vmcnt(0)
	s_delay_alu instid0(VALU_DEP_1) | instskip(SKIP_3) | instid1(VALU_DEP_1)
	v_add_f64 v[128:129], v[128:129], v[133:134]
	scratch_store_b64 v127, v[128:129], off
	scratch_load_b64 v[129:130], v126, off
	v_max_f64 v[127:128], v[8:9], v[8:9]
	v_min_f64 v[127:128], v[127:128], v[131:132]
	s_waitcnt vmcnt(0)
	s_delay_alu instid0(VALU_DEP_1) | instskip(SKIP_4) | instid1(VALU_DEP_1)
	v_add_f64 v[127:128], v[127:128], v[129:130]
	v_mov_b32_e32 v130, 0x100
	scratch_store_b64 v126, v[127:128], off
	scratch_load_b64 v[128:129], v125, off
	v_max_f64 v[126:127], v[10:11], v[10:11]
	v_min_f64 v[126:127], v[126:127], v[131:132]
	s_waitcnt vmcnt(0)
	s_delay_alu instid0(VALU_DEP_1) | instskip(SKIP_4) | instid1(VALU_DEP_1)
	v_add_f64 v[126:127], v[126:127], v[128:129]
	v_mov_b32_e32 v129, 0x108
	;; [unrolled: 8-line block ×27, first 2 shown]
	scratch_store_b64 v100, v[101:102], off
	scratch_load_b64 v[102:103], v99, off
	v_max_f64 v[100:101], v[62:63], v[62:63]
	v_min_f64 v[100:101], v[100:101], v[131:132]
	s_waitcnt vmcnt(0)
	s_delay_alu instid0(VALU_DEP_1)
	v_add_f64 v[100:101], v[100:101], v[102:103]
	v_mov_b32_e32 v103, 0x1d8
	v_mov_b32_e32 v102, 0x1e0
	scratch_store_b64 v99, v[100:101], off
	v_mov_b32_e32 v101, 0x1e8
	v_mov_b32_e32 v100, 0x1f0
	;; [unrolled: 1-line block ×3, first 2 shown]
	s_cbranch_vccnz .LBB188_38
; %bb.39:                               ;   in Loop: Header=BB188_28 Depth=1
	ds_load_2addr_b64 v[0:3], v96 offset0:3 offset1:19
	ds_load_2addr_b64 v[4:7], v96 offset0:35 offset1:51
	ds_load_2addr_b64 v[8:11], v96 offset0:67 offset1:83
	ds_load_2addr_b64 v[12:15], v96 offset0:99 offset1:115
	ds_load_2addr_b64 v[16:19], v96 offset0:131 offset1:147
	ds_load_2addr_b64 v[20:23], v96 offset0:163 offset1:179
	ds_load_2addr_b64 v[24:27], v96 offset0:195 offset1:211
	ds_load_2addr_b64 v[28:31], v96 offset0:227 offset1:243
	ds_load_2addr_b64 v[32:35], v98 offset0:3 offset1:19
	ds_load_2addr_b64 v[36:39], v98 offset0:35 offset1:51
	ds_load_2addr_b64 v[40:43], v98 offset0:67 offset1:83
	ds_load_2addr_b64 v[44:47], v98 offset0:99 offset1:115
	v_dual_mov_b32 v129, 8 :: v_dual_add_nc_u32 v64, 24, v97
	ds_load_2addr_b64 v[48:51], v98 offset0:131 offset1:147
	ds_load_2addr_b64 v[52:55], v98 offset0:163 offset1:179
	;; [unrolled: 1-line block ×4, first 2 shown]
	ds_load_2addr_stride64_b64 v[64:67], v64 offset1:4
	v_dual_mov_b32 v130, 0 :: v_dual_mov_b32 v127, 24
	v_dual_mov_b32 v128, 16 :: v_dual_mov_b32 v125, 40
	v_dual_mov_b32 v126, 32 :: v_dual_mov_b32 v123, 56
	v_dual_mov_b32 v124, 48 :: v_dual_mov_b32 v121, 0x48
	v_dual_mov_b32 v122, 64 :: v_dual_mov_b32 v119, 0x58
	v_mov_b32_e32 v120, 0x50
	v_mov_b32_e32 v118, 0x60
	v_mov_b32_e32 v117, 0x68
	v_mov_b32_e32 v116, 0x70
	v_mov_b32_e32 v115, 0x78
	v_mov_b32_e32 v114, 0x80
	v_mov_b32_e32 v113, 0x88
	v_mov_b32_e32 v112, 0x90
	v_mov_b32_e32 v111, 0x98
	v_mov_b32_e32 v110, 0xa0
	v_mov_b32_e32 v109, 0xa8
	v_mov_b32_e32 v108, 0xb0
	v_mov_b32_e32 v107, 0xb8
	v_mov_b32_e32 v106, 0xc0
	v_mov_b32_e32 v105, 0xc8
	v_mov_b32_e32 v104, 0xd0
	v_mov_b32_e32 v103, 0xd8
	v_mov_b32_e32 v102, 0xe0
	v_mov_b32_e32 v101, 0xe8
	v_mov_b32_e32 v100, 0xf0
	v_mov_b32_e32 v99, 0xf8
	s_mov_b64 s[8:9], 0
	s_mov_b32 s26, -1
.LBB188_40:                             ;   Parent Loop BB188_28 Depth=1
                                        ; =>  This Inner Loop Header: Depth=2
	scratch_load_b64 v[135:136], v130, off
	s_cmp_eq_u32 s8, 1
	s_waitcnt lgkmcnt(16)
	v_max_f64 v[133:134], v[0:1], v[0:1]
	s_cselect_b32 vcc_lo, -1, 0
	s_mov_b64 s[8:9], 1
	s_waitcnt lgkmcnt(0)
	v_dual_cndmask_b32 v132, v65, v67 :: v_dual_cndmask_b32 v131, v64, v66
	s_and_b32 vcc_lo, exec_lo, s26
	s_mov_b32 s26, 0
	s_delay_alu instid0(VALU_DEP_1) | instskip(NEXT) | instid1(VALU_DEP_1)
	v_max_f64 v[131:132], v[131:132], v[131:132]
	v_min_f64 v[133:134], v[133:134], v[131:132]
	s_waitcnt vmcnt(0)
	s_delay_alu instid0(VALU_DEP_1) | instskip(SKIP_3) | instid1(VALU_DEP_1)
	v_add_f64 v[133:134], v[135:136], v[133:134]
	scratch_load_b64 v[135:136], v129, off
	scratch_store_b64 v130, v[133:134], off
	v_max_f64 v[133:134], v[2:3], v[2:3]
	v_min_f64 v[133:134], v[133:134], v[131:132]
	s_waitcnt vmcnt(0)
	s_delay_alu instid0(VALU_DEP_1) | instskip(SKIP_3) | instid1(VALU_DEP_1)
	v_add_f64 v[133:134], v[133:134], v[135:136]
	scratch_store_b64 v129, v[133:134], off
	scratch_load_b64 v[133:134], v128, off
	v_max_f64 v[129:130], v[4:5], v[4:5]
	v_min_f64 v[129:130], v[129:130], v[131:132]
	s_waitcnt vmcnt(0)
	s_delay_alu instid0(VALU_DEP_1) | instskip(SKIP_3) | instid1(VALU_DEP_1)
	v_add_f64 v[129:130], v[129:130], v[133:134]
	scratch_load_b64 v[133:134], v127, off
	scratch_store_b64 v128, v[129:130], off
	v_max_f64 v[128:129], v[6:7], v[6:7]
	v_min_f64 v[128:129], v[128:129], v[131:132]
	s_waitcnt vmcnt(0)
	s_delay_alu instid0(VALU_DEP_1) | instskip(SKIP_3) | instid1(VALU_DEP_1)
	v_add_f64 v[128:129], v[128:129], v[133:134]
	scratch_store_b64 v127, v[128:129], off
	scratch_load_b64 v[129:130], v126, off
	v_max_f64 v[127:128], v[8:9], v[8:9]
	v_min_f64 v[127:128], v[127:128], v[131:132]
	s_waitcnt vmcnt(0)
	s_delay_alu instid0(VALU_DEP_1) | instskip(SKIP_4) | instid1(VALU_DEP_1)
	v_add_f64 v[127:128], v[127:128], v[129:130]
	v_mov_b32_e32 v130, 0x100
	scratch_store_b64 v126, v[127:128], off
	scratch_load_b64 v[128:129], v125, off
	v_max_f64 v[126:127], v[10:11], v[10:11]
	v_min_f64 v[126:127], v[126:127], v[131:132]
	s_waitcnt vmcnt(0)
	s_delay_alu instid0(VALU_DEP_1) | instskip(SKIP_4) | instid1(VALU_DEP_1)
	v_add_f64 v[126:127], v[126:127], v[128:129]
	v_mov_b32_e32 v129, 0x108
	;; [unrolled: 8-line block ×27, first 2 shown]
	scratch_store_b64 v100, v[101:102], off
	scratch_load_b64 v[102:103], v99, off
	v_max_f64 v[100:101], v[62:63], v[62:63]
	v_min_f64 v[100:101], v[100:101], v[131:132]
	s_waitcnt vmcnt(0)
	s_delay_alu instid0(VALU_DEP_1)
	v_add_f64 v[100:101], v[100:101], v[102:103]
	v_mov_b32_e32 v103, 0x1d8
	v_mov_b32_e32 v102, 0x1e0
	scratch_store_b64 v99, v[100:101], off
	v_mov_b32_e32 v101, 0x1e8
	v_mov_b32_e32 v100, 0x1f0
	;; [unrolled: 1-line block ×3, first 2 shown]
	s_cbranch_vccnz .LBB188_40
; %bb.41:                               ;   in Loop: Header=BB188_28 Depth=1
	s_mov_b32 vcc_lo, s3
	ds_store_2addr_stride64_b64 v90, v[78:79], v[80:81] offset1:4
	ds_store_2addr_stride64_b64 v92, v[82:83], v[84:85] offset1:4
	s_waitcnt lgkmcnt(0)
	s_waitcnt_vscnt null, 0x0
	s_barrier
	buffer_gl0_inv
	s_cbranch_vccz .LBB188_44
; %bb.42:                               ;   in Loop: Header=BB188_28 Depth=1
	v_lshlrev_b64 v[0:1], 3, v[68:69]
	s_delay_alu instid0(VALU_DEP_1) | instskip(NEXT) | instid1(VALU_DEP_2)
	v_add_co_u32 v2, vcc_lo, s12, v0
	v_add_co_ci_u32_e32 v3, vcc_lo, s13, v1, vcc_lo
	s_delay_alu instid0(VALU_DEP_2) | instskip(NEXT) | instid1(VALU_DEP_2)
	v_add_co_u32 v0, vcc_lo, v2, v70
	v_add_co_ci_u32_e32 v1, vcc_lo, v3, v71, vcc_lo
	v_add_co_u32 v2, vcc_lo, v2, v72
	v_add_co_ci_u32_e32 v3, vcc_lo, v3, v73, vcc_lo
	s_clause 0x1
	flat_load_b64 v[0:1], v[0:1] offset:32
	flat_load_b64 v[2:3], v[2:3] offset:32
	s_waitcnt vmcnt(1) lgkmcnt(1)
	v_mul_f64 v[78:79], v[0:1], s[16:17]
	s_waitcnt vmcnt(0) lgkmcnt(0)
	v_mul_f64 v[80:81], v[2:3], s[16:17]
	s_and_b32 vcc_lo, exec_lo, s2
	s_mov_b64 s[8:9], 0
	s_cbranch_vccnz .LBB188_45
.LBB188_43:                             ;   in Loop: Header=BB188_28 Depth=1
	v_lshlrev_b64 v[0:1], 3, v[68:69]
	s_delay_alu instid0(VALU_DEP_1) | instskip(NEXT) | instid1(VALU_DEP_2)
	v_add_co_u32 v2, vcc_lo, s18, v0
	v_add_co_ci_u32_e32 v3, vcc_lo, s19, v1, vcc_lo
	s_delay_alu instid0(VALU_DEP_2) | instskip(NEXT) | instid1(VALU_DEP_2)
	v_add_co_u32 v0, vcc_lo, v2, v74
	v_add_co_ci_u32_e32 v1, vcc_lo, v3, v75, vcc_lo
	v_add_co_u32 v2, vcc_lo, v2, v76
	v_add_co_ci_u32_e32 v3, vcc_lo, v3, v77, vcc_lo
	s_clause 0x1
	flat_load_b64 v[0:1], v[0:1] offset:32
	flat_load_b64 v[2:3], v[2:3] offset:32
	s_waitcnt vmcnt(1) lgkmcnt(1)
	v_mul_f64 v[82:83], v[0:1], s[16:17]
	s_waitcnt vmcnt(0) lgkmcnt(0)
	v_mul_f64 v[84:85], v[2:3], s[16:17]
	s_branch .LBB188_46
.LBB188_44:                             ;   in Loop: Header=BB188_28 Depth=1
	v_mov_b32_e32 v78, 0
	v_dual_mov_b32 v79, 0 :: v_dual_mov_b32 v80, 0
	v_mov_b32_e32 v81, 0
	s_and_b32 vcc_lo, exec_lo, s2
	s_mov_b64 s[8:9], 0
	s_cbranch_vccz .LBB188_43
.LBB188_45:                             ;   in Loop: Header=BB188_28 Depth=1
	v_mov_b32_e32 v82, 0
	v_dual_mov_b32 v83, 0 :: v_dual_mov_b32 v84, 0
	v_mov_b32_e32 v85, 0
.LBB188_46:                             ;   in Loop: Header=BB188_28 Depth=1
	v_dual_mov_b32 v129, 8 :: v_dual_add_nc_u32 v68, 0x800, v89
	ds_load_2addr_b64 v[0:3], v89 offset1:16
	ds_load_2addr_b64 v[4:7], v89 offset0:32 offset1:48
	ds_load_2addr_b64 v[8:11], v89 offset0:64 offset1:80
	ds_load_2addr_b64 v[12:15], v89 offset0:96 offset1:112
	ds_load_2addr_b64 v[16:19], v89 offset0:128 offset1:144
	ds_load_2addr_b64 v[20:23], v89 offset0:160 offset1:176
	ds_load_2addr_b64 v[24:27], v89 offset0:192 offset1:208
	ds_load_2addr_b64 v[28:31], v89 offset0:224 offset1:240
	ds_load_2addr_b64 v[32:35], v68 offset1:16
	ds_load_2addr_b64 v[36:39], v68 offset0:32 offset1:48
	ds_load_2addr_b64 v[40:43], v68 offset0:64 offset1:80
	;; [unrolled: 1-line block ×7, first 2 shown]
	ds_load_2addr_stride64_b64 v[64:67], v93 offset1:4
	v_dual_mov_b32 v130, 0 :: v_dual_mov_b32 v127, 24
	v_dual_mov_b32 v128, 16 :: v_dual_mov_b32 v125, 40
	;; [unrolled: 1-line block ×5, first 2 shown]
	v_mov_b32_e32 v120, 0x50
	v_mov_b32_e32 v118, 0x60
	;; [unrolled: 1-line block ×21, first 2 shown]
	s_mov_b32 s26, -1
.LBB188_47:                             ;   Parent Loop BB188_28 Depth=1
                                        ; =>  This Inner Loop Header: Depth=2
	scratch_load_b64 v[135:136], v130, off
	s_cmp_eq_u32 s8, 1
	s_waitcnt lgkmcnt(16)
	v_max_f64 v[133:134], v[0:1], v[0:1]
	s_cselect_b32 vcc_lo, -1, 0
	s_mov_b64 s[8:9], 1
	s_waitcnt lgkmcnt(0)
	v_dual_cndmask_b32 v132, v65, v67 :: v_dual_cndmask_b32 v131, v64, v66
	s_and_b32 vcc_lo, exec_lo, s26
	s_mov_b32 s26, 0
	s_delay_alu instid0(VALU_DEP_1) | instskip(NEXT) | instid1(VALU_DEP_1)
	v_max_f64 v[131:132], v[131:132], v[131:132]
	v_min_f64 v[133:134], v[133:134], v[131:132]
	s_waitcnt vmcnt(0)
	s_delay_alu instid0(VALU_DEP_1) | instskip(SKIP_3) | instid1(VALU_DEP_1)
	v_add_f64 v[133:134], v[135:136], v[133:134]
	scratch_load_b64 v[135:136], v129, off
	scratch_store_b64 v130, v[133:134], off
	v_max_f64 v[133:134], v[2:3], v[2:3]
	v_min_f64 v[133:134], v[133:134], v[131:132]
	s_waitcnt vmcnt(0)
	s_delay_alu instid0(VALU_DEP_1) | instskip(SKIP_3) | instid1(VALU_DEP_1)
	v_add_f64 v[133:134], v[133:134], v[135:136]
	scratch_store_b64 v129, v[133:134], off
	scratch_load_b64 v[133:134], v128, off
	v_max_f64 v[129:130], v[4:5], v[4:5]
	v_min_f64 v[129:130], v[129:130], v[131:132]
	s_waitcnt vmcnt(0)
	s_delay_alu instid0(VALU_DEP_1) | instskip(SKIP_3) | instid1(VALU_DEP_1)
	v_add_f64 v[129:130], v[129:130], v[133:134]
	scratch_load_b64 v[133:134], v127, off
	scratch_store_b64 v128, v[129:130], off
	v_max_f64 v[128:129], v[6:7], v[6:7]
	v_min_f64 v[128:129], v[128:129], v[131:132]
	s_waitcnt vmcnt(0)
	s_delay_alu instid0(VALU_DEP_1) | instskip(SKIP_3) | instid1(VALU_DEP_1)
	v_add_f64 v[128:129], v[128:129], v[133:134]
	scratch_store_b64 v127, v[128:129], off
	scratch_load_b64 v[129:130], v126, off
	v_max_f64 v[127:128], v[8:9], v[8:9]
	v_min_f64 v[127:128], v[127:128], v[131:132]
	s_waitcnt vmcnt(0)
	s_delay_alu instid0(VALU_DEP_1) | instskip(SKIP_4) | instid1(VALU_DEP_1)
	v_add_f64 v[127:128], v[127:128], v[129:130]
	v_mov_b32_e32 v130, 0x100
	scratch_store_b64 v126, v[127:128], off
	scratch_load_b64 v[128:129], v125, off
	v_max_f64 v[126:127], v[10:11], v[10:11]
	v_min_f64 v[126:127], v[126:127], v[131:132]
	s_waitcnt vmcnt(0)
	s_delay_alu instid0(VALU_DEP_1) | instskip(SKIP_4) | instid1(VALU_DEP_1)
	v_add_f64 v[126:127], v[126:127], v[128:129]
	v_mov_b32_e32 v129, 0x108
	;; [unrolled: 8-line block ×27, first 2 shown]
	scratch_store_b64 v100, v[101:102], off
	scratch_load_b64 v[102:103], v99, off
	v_max_f64 v[100:101], v[62:63], v[62:63]
	v_min_f64 v[100:101], v[100:101], v[131:132]
	s_waitcnt vmcnt(0)
	s_delay_alu instid0(VALU_DEP_1)
	v_add_f64 v[100:101], v[100:101], v[102:103]
	v_mov_b32_e32 v103, 0x1d8
	v_mov_b32_e32 v102, 0x1e0
	scratch_store_b64 v99, v[100:101], off
	v_mov_b32_e32 v101, 0x1e8
	v_mov_b32_e32 v100, 0x1f0
	;; [unrolled: 1-line block ×3, first 2 shown]
	s_cbranch_vccnz .LBB188_47
; %bb.48:                               ;   in Loop: Header=BB188_28 Depth=1
	ds_load_2addr_b64 v[0:3], v89 offset0:1 offset1:17
	ds_load_2addr_b64 v[4:7], v89 offset0:33 offset1:49
	;; [unrolled: 1-line block ×12, first 2 shown]
	v_dual_mov_b32 v129, 8 :: v_dual_add_nc_u32 v64, 8, v93
	ds_load_2addr_b64 v[48:51], v68 offset0:129 offset1:145
	ds_load_2addr_b64 v[52:55], v68 offset0:161 offset1:177
	;; [unrolled: 1-line block ×4, first 2 shown]
	ds_load_2addr_stride64_b64 v[64:67], v64 offset1:4
	v_dual_mov_b32 v130, 0 :: v_dual_mov_b32 v127, 24
	v_dual_mov_b32 v128, 16 :: v_dual_mov_b32 v125, 40
	;; [unrolled: 1-line block ×5, first 2 shown]
	v_mov_b32_e32 v120, 0x50
	v_mov_b32_e32 v118, 0x60
	;; [unrolled: 1-line block ×21, first 2 shown]
	s_mov_b64 s[8:9], 0
	s_mov_b32 s26, -1
.LBB188_49:                             ;   Parent Loop BB188_28 Depth=1
                                        ; =>  This Inner Loop Header: Depth=2
	scratch_load_b64 v[135:136], v130, off
	s_cmp_eq_u32 s8, 1
	s_waitcnt lgkmcnt(16)
	v_max_f64 v[133:134], v[0:1], v[0:1]
	s_cselect_b32 vcc_lo, -1, 0
	s_mov_b64 s[8:9], 1
	s_waitcnt lgkmcnt(0)
	v_dual_cndmask_b32 v132, v65, v67 :: v_dual_cndmask_b32 v131, v64, v66
	s_and_b32 vcc_lo, exec_lo, s26
	s_mov_b32 s26, 0
	s_delay_alu instid0(VALU_DEP_1) | instskip(NEXT) | instid1(VALU_DEP_1)
	v_max_f64 v[131:132], v[131:132], v[131:132]
	v_min_f64 v[133:134], v[133:134], v[131:132]
	s_waitcnt vmcnt(0)
	s_delay_alu instid0(VALU_DEP_1) | instskip(SKIP_3) | instid1(VALU_DEP_1)
	v_add_f64 v[133:134], v[135:136], v[133:134]
	scratch_load_b64 v[135:136], v129, off
	scratch_store_b64 v130, v[133:134], off
	v_max_f64 v[133:134], v[2:3], v[2:3]
	v_min_f64 v[133:134], v[133:134], v[131:132]
	s_waitcnt vmcnt(0)
	s_delay_alu instid0(VALU_DEP_1) | instskip(SKIP_3) | instid1(VALU_DEP_1)
	v_add_f64 v[133:134], v[133:134], v[135:136]
	scratch_store_b64 v129, v[133:134], off
	scratch_load_b64 v[133:134], v128, off
	v_max_f64 v[129:130], v[4:5], v[4:5]
	v_min_f64 v[129:130], v[129:130], v[131:132]
	s_waitcnt vmcnt(0)
	s_delay_alu instid0(VALU_DEP_1) | instskip(SKIP_3) | instid1(VALU_DEP_1)
	v_add_f64 v[129:130], v[129:130], v[133:134]
	scratch_load_b64 v[133:134], v127, off
	scratch_store_b64 v128, v[129:130], off
	v_max_f64 v[128:129], v[6:7], v[6:7]
	v_min_f64 v[128:129], v[128:129], v[131:132]
	s_waitcnt vmcnt(0)
	s_delay_alu instid0(VALU_DEP_1) | instskip(SKIP_3) | instid1(VALU_DEP_1)
	v_add_f64 v[128:129], v[128:129], v[133:134]
	scratch_store_b64 v127, v[128:129], off
	scratch_load_b64 v[129:130], v126, off
	v_max_f64 v[127:128], v[8:9], v[8:9]
	v_min_f64 v[127:128], v[127:128], v[131:132]
	s_waitcnt vmcnt(0)
	s_delay_alu instid0(VALU_DEP_1) | instskip(SKIP_4) | instid1(VALU_DEP_1)
	v_add_f64 v[127:128], v[127:128], v[129:130]
	v_mov_b32_e32 v130, 0x100
	scratch_store_b64 v126, v[127:128], off
	scratch_load_b64 v[128:129], v125, off
	v_max_f64 v[126:127], v[10:11], v[10:11]
	v_min_f64 v[126:127], v[126:127], v[131:132]
	s_waitcnt vmcnt(0)
	s_delay_alu instid0(VALU_DEP_1) | instskip(SKIP_4) | instid1(VALU_DEP_1)
	v_add_f64 v[126:127], v[126:127], v[128:129]
	v_mov_b32_e32 v129, 0x108
	scratch_store_b64 v125, v[126:127], off
	scratch_load_b64 v[127:128], v124, off
	v_max_f64 v[125:126], v[12:13], v[12:13]
	v_min_f64 v[125:126], v[125:126], v[131:132]
	s_waitcnt vmcnt(0)
	s_delay_alu instid0(VALU_DEP_1) | instskip(SKIP_4) | instid1(VALU_DEP_1)
	v_add_f64 v[125:126], v[125:126], v[127:128]
	v_mov_b32_e32 v128, 0x110
	scratch_store_b64 v124, v[125:126], off
	scratch_load_b64 v[126:127], v123, off
	v_max_f64 v[124:125], v[14:15], v[14:15]
	v_min_f64 v[124:125], v[124:125], v[131:132]
	s_waitcnt vmcnt(0)
	s_delay_alu instid0(VALU_DEP_1) | instskip(SKIP_4) | instid1(VALU_DEP_1)
	v_add_f64 v[124:125], v[124:125], v[126:127]
	v_mov_b32_e32 v127, 0x118
	scratch_store_b64 v123, v[124:125], off
	scratch_load_b64 v[125:126], v122, off
	v_max_f64 v[123:124], v[16:17], v[16:17]
	v_min_f64 v[123:124], v[123:124], v[131:132]
	s_waitcnt vmcnt(0)
	s_delay_alu instid0(VALU_DEP_1) | instskip(SKIP_4) | instid1(VALU_DEP_1)
	v_add_f64 v[123:124], v[123:124], v[125:126]
	v_mov_b32_e32 v126, 0x120
	scratch_store_b64 v122, v[123:124], off
	scratch_load_b64 v[124:125], v121, off
	v_max_f64 v[122:123], v[18:19], v[18:19]
	v_min_f64 v[122:123], v[122:123], v[131:132]
	s_waitcnt vmcnt(0)
	s_delay_alu instid0(VALU_DEP_1) | instskip(SKIP_4) | instid1(VALU_DEP_1)
	v_add_f64 v[122:123], v[122:123], v[124:125]
	v_mov_b32_e32 v125, 0x128
	scratch_store_b64 v121, v[122:123], off
	scratch_load_b64 v[123:124], v120, off
	v_max_f64 v[121:122], v[20:21], v[20:21]
	v_min_f64 v[121:122], v[121:122], v[131:132]
	s_waitcnt vmcnt(0)
	s_delay_alu instid0(VALU_DEP_1) | instskip(SKIP_4) | instid1(VALU_DEP_1)
	v_add_f64 v[121:122], v[121:122], v[123:124]
	v_mov_b32_e32 v124, 0x130
	scratch_store_b64 v120, v[121:122], off
	scratch_load_b64 v[122:123], v119, off
	v_max_f64 v[120:121], v[22:23], v[22:23]
	v_min_f64 v[120:121], v[120:121], v[131:132]
	s_waitcnt vmcnt(0)
	s_delay_alu instid0(VALU_DEP_1) | instskip(SKIP_4) | instid1(VALU_DEP_1)
	v_add_f64 v[120:121], v[120:121], v[122:123]
	v_mov_b32_e32 v123, 0x138
	scratch_store_b64 v119, v[120:121], off
	scratch_load_b64 v[121:122], v118, off
	v_max_f64 v[119:120], v[24:25], v[24:25]
	v_min_f64 v[119:120], v[119:120], v[131:132]
	s_waitcnt vmcnt(0)
	s_delay_alu instid0(VALU_DEP_1) | instskip(SKIP_4) | instid1(VALU_DEP_1)
	v_add_f64 v[119:120], v[119:120], v[121:122]
	v_mov_b32_e32 v122, 0x140
	scratch_store_b64 v118, v[119:120], off
	scratch_load_b64 v[120:121], v117, off
	v_max_f64 v[118:119], v[26:27], v[26:27]
	v_min_f64 v[118:119], v[118:119], v[131:132]
	s_waitcnt vmcnt(0)
	s_delay_alu instid0(VALU_DEP_1) | instskip(SKIP_4) | instid1(VALU_DEP_1)
	v_add_f64 v[118:119], v[118:119], v[120:121]
	v_mov_b32_e32 v121, 0x148
	scratch_store_b64 v117, v[118:119], off
	scratch_load_b64 v[119:120], v116, off
	v_max_f64 v[117:118], v[28:29], v[28:29]
	v_min_f64 v[117:118], v[117:118], v[131:132]
	s_waitcnt vmcnt(0)
	s_delay_alu instid0(VALU_DEP_1) | instskip(SKIP_4) | instid1(VALU_DEP_1)
	v_add_f64 v[117:118], v[117:118], v[119:120]
	v_mov_b32_e32 v120, 0x150
	scratch_store_b64 v116, v[117:118], off
	scratch_load_b64 v[118:119], v115, off
	v_max_f64 v[116:117], v[30:31], v[30:31]
	v_min_f64 v[116:117], v[116:117], v[131:132]
	s_waitcnt vmcnt(0)
	s_delay_alu instid0(VALU_DEP_1) | instskip(SKIP_4) | instid1(VALU_DEP_1)
	v_add_f64 v[116:117], v[116:117], v[118:119]
	v_mov_b32_e32 v119, 0x158
	scratch_store_b64 v115, v[116:117], off
	scratch_load_b64 v[117:118], v114, off
	v_max_f64 v[115:116], v[32:33], v[32:33]
	v_min_f64 v[115:116], v[115:116], v[131:132]
	s_waitcnt vmcnt(0)
	s_delay_alu instid0(VALU_DEP_1) | instskip(SKIP_4) | instid1(VALU_DEP_1)
	v_add_f64 v[115:116], v[115:116], v[117:118]
	v_mov_b32_e32 v118, 0x160
	scratch_store_b64 v114, v[115:116], off
	scratch_load_b64 v[116:117], v113, off
	v_max_f64 v[114:115], v[34:35], v[34:35]
	v_min_f64 v[114:115], v[114:115], v[131:132]
	s_waitcnt vmcnt(0)
	s_delay_alu instid0(VALU_DEP_1) | instskip(SKIP_4) | instid1(VALU_DEP_1)
	v_add_f64 v[114:115], v[114:115], v[116:117]
	v_mov_b32_e32 v117, 0x168
	scratch_store_b64 v113, v[114:115], off
	scratch_load_b64 v[115:116], v112, off
	v_max_f64 v[113:114], v[36:37], v[36:37]
	v_min_f64 v[113:114], v[113:114], v[131:132]
	s_waitcnt vmcnt(0)
	s_delay_alu instid0(VALU_DEP_1) | instskip(SKIP_4) | instid1(VALU_DEP_1)
	v_add_f64 v[113:114], v[113:114], v[115:116]
	v_mov_b32_e32 v116, 0x170
	scratch_store_b64 v112, v[113:114], off
	scratch_load_b64 v[114:115], v111, off
	v_max_f64 v[112:113], v[38:39], v[38:39]
	v_min_f64 v[112:113], v[112:113], v[131:132]
	s_waitcnt vmcnt(0)
	s_delay_alu instid0(VALU_DEP_1) | instskip(SKIP_4) | instid1(VALU_DEP_1)
	v_add_f64 v[112:113], v[112:113], v[114:115]
	v_mov_b32_e32 v115, 0x178
	scratch_store_b64 v111, v[112:113], off
	scratch_load_b64 v[113:114], v110, off
	v_max_f64 v[111:112], v[40:41], v[40:41]
	v_min_f64 v[111:112], v[111:112], v[131:132]
	s_waitcnt vmcnt(0)
	s_delay_alu instid0(VALU_DEP_1) | instskip(SKIP_4) | instid1(VALU_DEP_1)
	v_add_f64 v[111:112], v[111:112], v[113:114]
	v_mov_b32_e32 v114, 0x180
	scratch_store_b64 v110, v[111:112], off
	scratch_load_b64 v[112:113], v109, off
	v_max_f64 v[110:111], v[42:43], v[42:43]
	v_min_f64 v[110:111], v[110:111], v[131:132]
	s_waitcnt vmcnt(0)
	s_delay_alu instid0(VALU_DEP_1) | instskip(SKIP_4) | instid1(VALU_DEP_1)
	v_add_f64 v[110:111], v[110:111], v[112:113]
	v_mov_b32_e32 v113, 0x188
	scratch_store_b64 v109, v[110:111], off
	scratch_load_b64 v[111:112], v108, off
	v_max_f64 v[109:110], v[44:45], v[44:45]
	v_min_f64 v[109:110], v[109:110], v[131:132]
	s_waitcnt vmcnt(0)
	s_delay_alu instid0(VALU_DEP_1) | instskip(SKIP_4) | instid1(VALU_DEP_1)
	v_add_f64 v[109:110], v[109:110], v[111:112]
	v_mov_b32_e32 v112, 0x190
	scratch_store_b64 v108, v[109:110], off
	scratch_load_b64 v[110:111], v107, off
	v_max_f64 v[108:109], v[46:47], v[46:47]
	v_min_f64 v[108:109], v[108:109], v[131:132]
	s_waitcnt vmcnt(0)
	s_delay_alu instid0(VALU_DEP_1) | instskip(SKIP_4) | instid1(VALU_DEP_1)
	v_add_f64 v[108:109], v[108:109], v[110:111]
	v_mov_b32_e32 v111, 0x198
	scratch_store_b64 v107, v[108:109], off
	scratch_load_b64 v[109:110], v106, off
	v_max_f64 v[107:108], v[48:49], v[48:49]
	v_min_f64 v[107:108], v[107:108], v[131:132]
	s_waitcnt vmcnt(0)
	s_delay_alu instid0(VALU_DEP_1) | instskip(SKIP_4) | instid1(VALU_DEP_1)
	v_add_f64 v[107:108], v[107:108], v[109:110]
	v_mov_b32_e32 v110, 0x1a0
	scratch_store_b64 v106, v[107:108], off
	scratch_load_b64 v[108:109], v105, off
	v_max_f64 v[106:107], v[50:51], v[50:51]
	v_min_f64 v[106:107], v[106:107], v[131:132]
	s_waitcnt vmcnt(0)
	s_delay_alu instid0(VALU_DEP_1) | instskip(SKIP_4) | instid1(VALU_DEP_1)
	v_add_f64 v[106:107], v[106:107], v[108:109]
	v_mov_b32_e32 v109, 0x1a8
	scratch_store_b64 v105, v[106:107], off
	scratch_load_b64 v[107:108], v104, off
	v_max_f64 v[105:106], v[52:53], v[52:53]
	v_min_f64 v[105:106], v[105:106], v[131:132]
	s_waitcnt vmcnt(0)
	s_delay_alu instid0(VALU_DEP_1) | instskip(SKIP_4) | instid1(VALU_DEP_1)
	v_add_f64 v[105:106], v[105:106], v[107:108]
	v_mov_b32_e32 v108, 0x1b0
	scratch_store_b64 v104, v[105:106], off
	scratch_load_b64 v[106:107], v103, off
	v_max_f64 v[104:105], v[54:55], v[54:55]
	v_min_f64 v[104:105], v[104:105], v[131:132]
	s_waitcnt vmcnt(0)
	s_delay_alu instid0(VALU_DEP_1) | instskip(SKIP_4) | instid1(VALU_DEP_1)
	v_add_f64 v[104:105], v[104:105], v[106:107]
	v_mov_b32_e32 v107, 0x1b8
	scratch_store_b64 v103, v[104:105], off
	scratch_load_b64 v[105:106], v102, off
	v_max_f64 v[103:104], v[56:57], v[56:57]
	v_min_f64 v[103:104], v[103:104], v[131:132]
	s_waitcnt vmcnt(0)
	s_delay_alu instid0(VALU_DEP_1) | instskip(SKIP_4) | instid1(VALU_DEP_1)
	v_add_f64 v[103:104], v[103:104], v[105:106]
	v_mov_b32_e32 v106, 0x1c0
	scratch_store_b64 v102, v[103:104], off
	scratch_load_b64 v[104:105], v101, off
	v_max_f64 v[102:103], v[58:59], v[58:59]
	v_min_f64 v[102:103], v[102:103], v[131:132]
	s_waitcnt vmcnt(0)
	s_delay_alu instid0(VALU_DEP_1) | instskip(SKIP_4) | instid1(VALU_DEP_1)
	v_add_f64 v[102:103], v[102:103], v[104:105]
	v_mov_b32_e32 v105, 0x1c8
	scratch_store_b64 v101, v[102:103], off
	scratch_load_b64 v[103:104], v100, off
	v_max_f64 v[101:102], v[60:61], v[60:61]
	v_min_f64 v[101:102], v[101:102], v[131:132]
	s_waitcnt vmcnt(0)
	s_delay_alu instid0(VALU_DEP_1) | instskip(SKIP_4) | instid1(VALU_DEP_1)
	v_add_f64 v[101:102], v[101:102], v[103:104]
	v_mov_b32_e32 v104, 0x1d0
	scratch_store_b64 v100, v[101:102], off
	scratch_load_b64 v[102:103], v99, off
	v_max_f64 v[100:101], v[62:63], v[62:63]
	v_min_f64 v[100:101], v[100:101], v[131:132]
	s_waitcnt vmcnt(0)
	s_delay_alu instid0(VALU_DEP_1)
	v_add_f64 v[100:101], v[100:101], v[102:103]
	v_mov_b32_e32 v103, 0x1d8
	v_mov_b32_e32 v102, 0x1e0
	scratch_store_b64 v99, v[100:101], off
	v_mov_b32_e32 v101, 0x1e8
	v_mov_b32_e32 v100, 0x1f0
	;; [unrolled: 1-line block ×3, first 2 shown]
	s_cbranch_vccnz .LBB188_49
; %bb.50:                               ;   in Loop: Header=BB188_28 Depth=1
	ds_load_2addr_b64 v[0:3], v89 offset0:2 offset1:18
	ds_load_2addr_b64 v[4:7], v89 offset0:34 offset1:50
	;; [unrolled: 1-line block ×12, first 2 shown]
	v_dual_mov_b32 v129, 8 :: v_dual_add_nc_u32 v64, 16, v93
	ds_load_2addr_b64 v[48:51], v68 offset0:130 offset1:146
	ds_load_2addr_b64 v[52:55], v68 offset0:162 offset1:178
	;; [unrolled: 1-line block ×4, first 2 shown]
	ds_load_2addr_stride64_b64 v[64:67], v64 offset1:4
	v_dual_mov_b32 v130, 0 :: v_dual_mov_b32 v127, 24
	v_dual_mov_b32 v128, 16 :: v_dual_mov_b32 v125, 40
	;; [unrolled: 1-line block ×5, first 2 shown]
	v_mov_b32_e32 v120, 0x50
	v_mov_b32_e32 v118, 0x60
	;; [unrolled: 1-line block ×21, first 2 shown]
	s_mov_b64 s[8:9], 0
	s_mov_b32 s26, -1
.LBB188_51:                             ;   Parent Loop BB188_28 Depth=1
                                        ; =>  This Inner Loop Header: Depth=2
	scratch_load_b64 v[135:136], v130, off
	s_cmp_eq_u32 s8, 1
	s_waitcnt lgkmcnt(16)
	v_max_f64 v[133:134], v[0:1], v[0:1]
	s_cselect_b32 vcc_lo, -1, 0
	s_mov_b64 s[8:9], 1
	s_waitcnt lgkmcnt(0)
	v_dual_cndmask_b32 v132, v65, v67 :: v_dual_cndmask_b32 v131, v64, v66
	s_and_b32 vcc_lo, exec_lo, s26
	s_mov_b32 s26, 0
	s_delay_alu instid0(VALU_DEP_1) | instskip(NEXT) | instid1(VALU_DEP_1)
	v_max_f64 v[131:132], v[131:132], v[131:132]
	v_min_f64 v[133:134], v[133:134], v[131:132]
	s_waitcnt vmcnt(0)
	s_delay_alu instid0(VALU_DEP_1) | instskip(SKIP_3) | instid1(VALU_DEP_1)
	v_add_f64 v[133:134], v[135:136], v[133:134]
	scratch_load_b64 v[135:136], v129, off
	scratch_store_b64 v130, v[133:134], off
	v_max_f64 v[133:134], v[2:3], v[2:3]
	v_min_f64 v[133:134], v[133:134], v[131:132]
	s_waitcnt vmcnt(0)
	s_delay_alu instid0(VALU_DEP_1) | instskip(SKIP_3) | instid1(VALU_DEP_1)
	v_add_f64 v[133:134], v[133:134], v[135:136]
	scratch_store_b64 v129, v[133:134], off
	scratch_load_b64 v[133:134], v128, off
	v_max_f64 v[129:130], v[4:5], v[4:5]
	v_min_f64 v[129:130], v[129:130], v[131:132]
	s_waitcnt vmcnt(0)
	s_delay_alu instid0(VALU_DEP_1) | instskip(SKIP_3) | instid1(VALU_DEP_1)
	v_add_f64 v[129:130], v[129:130], v[133:134]
	scratch_load_b64 v[133:134], v127, off
	scratch_store_b64 v128, v[129:130], off
	v_max_f64 v[128:129], v[6:7], v[6:7]
	v_min_f64 v[128:129], v[128:129], v[131:132]
	s_waitcnt vmcnt(0)
	s_delay_alu instid0(VALU_DEP_1) | instskip(SKIP_3) | instid1(VALU_DEP_1)
	v_add_f64 v[128:129], v[128:129], v[133:134]
	scratch_store_b64 v127, v[128:129], off
	scratch_load_b64 v[129:130], v126, off
	v_max_f64 v[127:128], v[8:9], v[8:9]
	v_min_f64 v[127:128], v[127:128], v[131:132]
	s_waitcnt vmcnt(0)
	s_delay_alu instid0(VALU_DEP_1) | instskip(SKIP_4) | instid1(VALU_DEP_1)
	v_add_f64 v[127:128], v[127:128], v[129:130]
	v_mov_b32_e32 v130, 0x100
	scratch_store_b64 v126, v[127:128], off
	scratch_load_b64 v[128:129], v125, off
	v_max_f64 v[126:127], v[10:11], v[10:11]
	v_min_f64 v[126:127], v[126:127], v[131:132]
	s_waitcnt vmcnt(0)
	s_delay_alu instid0(VALU_DEP_1) | instskip(SKIP_4) | instid1(VALU_DEP_1)
	v_add_f64 v[126:127], v[126:127], v[128:129]
	v_mov_b32_e32 v129, 0x108
	;; [unrolled: 8-line block ×27, first 2 shown]
	scratch_store_b64 v100, v[101:102], off
	scratch_load_b64 v[102:103], v99, off
	v_max_f64 v[100:101], v[62:63], v[62:63]
	v_min_f64 v[100:101], v[100:101], v[131:132]
	s_waitcnt vmcnt(0)
	s_delay_alu instid0(VALU_DEP_1)
	v_add_f64 v[100:101], v[100:101], v[102:103]
	v_mov_b32_e32 v103, 0x1d8
	v_mov_b32_e32 v102, 0x1e0
	scratch_store_b64 v99, v[100:101], off
	v_mov_b32_e32 v101, 0x1e8
	v_mov_b32_e32 v100, 0x1f0
	v_mov_b32_e32 v99, 0x1f8
	s_cbranch_vccnz .LBB188_51
; %bb.52:                               ;   in Loop: Header=BB188_28 Depth=1
	ds_load_2addr_b64 v[0:3], v89 offset0:3 offset1:19
	ds_load_2addr_b64 v[4:7], v89 offset0:35 offset1:51
	;; [unrolled: 1-line block ×12, first 2 shown]
	v_dual_mov_b32 v129, 0 :: v_dual_add_nc_u32 v64, 24, v93
	ds_load_2addr_b64 v[48:51], v68 offset0:131 offset1:147
	ds_load_2addr_b64 v[52:55], v68 offset0:163 offset1:179
	;; [unrolled: 1-line block ×4, first 2 shown]
	ds_load_2addr_stride64_b64 v[64:67], v64 offset1:4
	v_dual_mov_b32 v128, 8 :: v_dual_mov_b32 v127, 16
	v_dual_mov_b32 v126, 24 :: v_dual_mov_b32 v125, 32
	;; [unrolled: 1-line block ×4, first 2 shown]
	v_mov_b32_e32 v120, 0x48
	v_mov_b32_e32 v119, 0x50
	v_mov_b32_e32 v118, 0x58
	v_mov_b32_e32 v117, 0x60
	v_mov_b32_e32 v116, 0x68
	v_mov_b32_e32 v115, 0x70
	v_mov_b32_e32 v114, 0x78
	v_mov_b32_e32 v113, 0x80
	v_mov_b32_e32 v112, 0x88
	v_mov_b32_e32 v111, 0x90
	v_mov_b32_e32 v110, 0x98
	v_mov_b32_e32 v109, 0xa0
	v_mov_b32_e32 v108, 0xa8
	v_mov_b32_e32 v107, 0xb0
	v_mov_b32_e32 v106, 0xb8
	v_mov_b32_e32 v105, 0xc0
	v_mov_b32_e32 v104, 0xc8
	v_mov_b32_e32 v103, 0xd0
	v_mov_b32_e32 v102, 0xd8
	v_mov_b32_e32 v101, 0xe0
	v_mov_b32_e32 v100, 0xe8
	v_mov_b32_e32 v99, 0xf0
	v_mov_b32_e32 v68, 0xf8
	s_mov_b64 s[8:9], 0
	s_mov_b32 s26, -1
.LBB188_53:                             ;   Parent Loop BB188_28 Depth=1
                                        ; =>  This Inner Loop Header: Depth=2
	scratch_load_b64 v[134:135], v129, off
	s_cmp_eq_u32 s8, 1
	s_waitcnt lgkmcnt(16)
	v_max_f64 v[132:133], v[0:1], v[0:1]
	s_cselect_b32 vcc_lo, -1, 0
	s_mov_b64 s[8:9], 1
	s_waitcnt lgkmcnt(0)
	v_dual_cndmask_b32 v131, v65, v67 :: v_dual_cndmask_b32 v130, v64, v66
	s_and_b32 vcc_lo, exec_lo, s26
	s_mov_b32 s26, 0
	s_delay_alu instid0(VALU_DEP_1) | instskip(NEXT) | instid1(VALU_DEP_1)
	v_max_f64 v[130:131], v[130:131], v[130:131]
	v_min_f64 v[132:133], v[132:133], v[130:131]
	s_waitcnt vmcnt(0)
	s_delay_alu instid0(VALU_DEP_1) | instskip(SKIP_3) | instid1(VALU_DEP_1)
	v_add_f64 v[132:133], v[134:135], v[132:133]
	scratch_load_b64 v[134:135], v128, off
	scratch_store_b64 v129, v[132:133], off
	v_max_f64 v[132:133], v[2:3], v[2:3]
	v_min_f64 v[132:133], v[132:133], v[130:131]
	s_waitcnt vmcnt(0)
	s_delay_alu instid0(VALU_DEP_1) | instskip(SKIP_3) | instid1(VALU_DEP_1)
	v_add_f64 v[132:133], v[132:133], v[134:135]
	scratch_store_b64 v128, v[132:133], off
	scratch_load_b64 v[132:133], v127, off
	v_max_f64 v[128:129], v[4:5], v[4:5]
	v_min_f64 v[128:129], v[128:129], v[130:131]
	s_waitcnt vmcnt(0)
	s_delay_alu instid0(VALU_DEP_1) | instskip(SKIP_3) | instid1(VALU_DEP_1)
	v_add_f64 v[128:129], v[128:129], v[132:133]
	scratch_load_b64 v[132:133], v126, off
	scratch_store_b64 v127, v[128:129], off
	v_max_f64 v[127:128], v[6:7], v[6:7]
	v_min_f64 v[127:128], v[127:128], v[130:131]
	s_waitcnt vmcnt(0)
	s_delay_alu instid0(VALU_DEP_1) | instskip(SKIP_3) | instid1(VALU_DEP_1)
	v_add_f64 v[127:128], v[127:128], v[132:133]
	scratch_store_b64 v126, v[127:128], off
	scratch_load_b64 v[128:129], v125, off
	v_max_f64 v[126:127], v[8:9], v[8:9]
	v_min_f64 v[126:127], v[126:127], v[130:131]
	s_waitcnt vmcnt(0)
	s_delay_alu instid0(VALU_DEP_1) | instskip(SKIP_4) | instid1(VALU_DEP_1)
	v_add_f64 v[126:127], v[126:127], v[128:129]
	v_mov_b32_e32 v129, 0x100
	scratch_store_b64 v125, v[126:127], off
	scratch_load_b64 v[127:128], v124, off
	v_max_f64 v[125:126], v[10:11], v[10:11]
	v_min_f64 v[125:126], v[125:126], v[130:131]
	s_waitcnt vmcnt(0)
	s_delay_alu instid0(VALU_DEP_1) | instskip(SKIP_4) | instid1(VALU_DEP_1)
	v_add_f64 v[125:126], v[125:126], v[127:128]
	v_mov_b32_e32 v128, 0x108
	;; [unrolled: 8-line block ×27, first 2 shown]
	scratch_store_b64 v99, v[100:101], off
	scratch_load_b64 v[101:102], v68, off
	v_max_f64 v[99:100], v[62:63], v[62:63]
	v_min_f64 v[99:100], v[99:100], v[130:131]
	s_waitcnt vmcnt(0)
	s_delay_alu instid0(VALU_DEP_1)
	v_add_f64 v[99:100], v[99:100], v[101:102]
	v_mov_b32_e32 v102, 0x1d8
	v_mov_b32_e32 v101, 0x1e0
	scratch_store_b64 v68, v[99:100], off
	v_mov_b32_e32 v100, 0x1e8
	v_mov_b32_e32 v99, 0x1f0
	;; [unrolled: 1-line block ×3, first 2 shown]
	s_cbranch_vccnz .LBB188_53
; %bb.54:                               ;   in Loop: Header=BB188_28 Depth=1
	s_add_i32 s25, s25, 8
	s_add_i32 s23, s23, 8
	s_cmp_ge_i32 s25, s24
	ds_store_2addr_stride64_b64 v94, v[78:79], v[80:81] offset1:4
	ds_store_2addr_stride64_b64 v95, v[82:83], v[84:85] offset1:4
	s_waitcnt lgkmcnt(0)
	s_waitcnt_vscnt null, 0x0
	s_barrier
	buffer_gl0_inv
	s_cbranch_scc0 .LBB188_28
.LBB188_55:
	v_dual_mov_b32 v71, 8 :: v_dual_add_nc_u32 v28, 0x1000, v89
	v_dual_mov_b32 v75, 40 :: v_dual_add_nc_u32 v60, 0x1800, v89
	v_dual_mov_b32 v73, 24 :: v_dual_add_nc_u32 v68, 0x1000, v89
	ds_load_2addr_b64 v[0:3], v28 offset1:16
	ds_load_2addr_b64 v[4:7], v28 offset0:32 offset1:48
	ds_load_2addr_b64 v[8:11], v28 offset0:64 offset1:80
	ds_load_2addr_b64 v[12:15], v28 offset0:96 offset1:112
	ds_load_2addr_b64 v[16:19], v28 offset0:128 offset1:144
	ds_load_2addr_b64 v[20:23], v28 offset0:160 offset1:176
	ds_load_2addr_b64 v[24:27], v28 offset0:192 offset1:208
	ds_load_2addr_b64 v[28:31], v28 offset0:224 offset1:240
	ds_load_2addr_b64 v[32:35], v60 offset1:16
	ds_load_2addr_b64 v[36:39], v60 offset0:32 offset1:48
	ds_load_2addr_b64 v[40:43], v60 offset0:64 offset1:80
	;; [unrolled: 1-line block ×7, first 2 shown]
	ds_load_2addr_stride64_b64 v[64:67], v91 offset0:24 offset1:28
	v_dual_mov_b32 v70, 0 :: v_dual_add_nc_u32 v69, 0x3000, v91
	v_dual_mov_b32 v72, 16 :: v_dual_mov_b32 v77, 56
	v_dual_mov_b32 v74, 32 :: v_dual_mov_b32 v79, 0x48
	;; [unrolled: 1-line block ×4, first 2 shown]
	v_mov_b32_e32 v80, 0x50
	v_mov_b32_e32 v82, 0x60
	;; [unrolled: 1-line block ×20, first 2 shown]
	s_mov_b64 s[2:3], 0
	s_mov_b32 s8, -1
.LBB188_56:                             ; =>This Inner Loop Header: Depth=1
	scratch_load_b64 v[104:105], v70, off
	scratch_load_b64 v[106:107], v71, off
	;; [unrolled: 1-line block ×32, first 2 shown]
	s_cmp_eq_u32 s2, 1
	s_waitcnt lgkmcnt(16)
	v_max_f64 v[170:171], v[0:1], v[0:1]
	s_cselect_b32 vcc_lo, -1, 0
	v_max_f64 v[172:173], v[2:3], v[2:3]
	s_waitcnt lgkmcnt(0)
	v_dual_cndmask_b32 v169, v65, v67 :: v_dual_cndmask_b32 v168, v64, v66
	v_max_f64 v[174:175], v[4:5], v[4:5]
	v_max_f64 v[176:177], v[6:7], v[6:7]
	;; [unrolled: 1-line block ×31, first 2 shown]
	s_mov_b64 s[2:3], 1
	s_and_b32 vcc_lo, exec_lo, s8
	s_mov_b32 s8, 0
	v_min_f64 v[170:171], v[170:171], v[168:169]
	v_min_f64 v[172:173], v[172:173], v[168:169]
	;; [unrolled: 1-line block ×32, first 2 shown]
	s_waitcnt vmcnt(31)
	v_add_f64 v[104:105], v[104:105], v[170:171]
	s_waitcnt vmcnt(30)
	v_add_f64 v[106:107], v[172:173], v[106:107]
	;; [unrolled: 2-line block ×32, first 2 shown]
	scratch_store_b64 v70, v[104:105], off
	scratch_store_b64 v71, v[106:107], off
	;; [unrolled: 1-line block ×32, first 2 shown]
	v_mov_b32_e32 v70, 0x100
	v_mov_b32_e32 v71, 0x108
	v_mov_b32_e32 v72, 0x110
	v_mov_b32_e32 v73, 0x118
	v_mov_b32_e32 v74, 0x120
	v_mov_b32_e32 v75, 0x128
	v_mov_b32_e32 v76, 0x130
	v_mov_b32_e32 v77, 0x138
	v_mov_b32_e32 v78, 0x140
	v_mov_b32_e32 v79, 0x148
	v_mov_b32_e32 v80, 0x150
	v_mov_b32_e32 v81, 0x158
	v_mov_b32_e32 v82, 0x160
	v_mov_b32_e32 v83, 0x168
	v_mov_b32_e32 v84, 0x170
	v_mov_b32_e32 v85, 0x178
	v_mov_b32_e32 v88, 0x180
	v_mov_b32_e32 v89, 0x188
	v_mov_b32_e32 v90, 0x190
	v_mov_b32_e32 v91, 0x198
	v_mov_b32_e32 v92, 0x1a0
	v_mov_b32_e32 v93, 0x1a8
	v_mov_b32_e32 v94, 0x1b0
	v_mov_b32_e32 v95, 0x1b8
	v_mov_b32_e32 v96, 0x1c0
	v_mov_b32_e32 v97, 0x1c8
	v_mov_b32_e32 v98, 0x1d0
	v_mov_b32_e32 v99, 0x1d8
	v_mov_b32_e32 v100, 0x1e0
	v_mov_b32_e32 v101, 0x1e8
	v_mov_b32_e32 v102, 0x1f0
	v_mov_b32_e32 v103, 0x1f8
	s_cbranch_vccnz .LBB188_56
; %bb.57:
	v_dual_mov_b32 v71, 8 :: v_dual_add_nc_u32 v60, 0x800, v68
	ds_load_2addr_b64 v[0:3], v68 offset0:1 offset1:17
	ds_load_2addr_b64 v[4:7], v68 offset0:33 offset1:49
	;; [unrolled: 1-line block ×12, first 2 shown]
	v_dual_mov_b32 v73, 24 :: v_dual_add_nc_u32 v64, 8, v69
	ds_load_2addr_b64 v[48:51], v60 offset0:129 offset1:145
	ds_load_2addr_b64 v[52:55], v60 offset0:161 offset1:177
	;; [unrolled: 1-line block ×4, first 2 shown]
	ds_load_2addr_stride64_b64 v[64:67], v64 offset1:4
	v_dual_mov_b32 v70, 0 :: v_dual_mov_b32 v75, 40
	v_dual_mov_b32 v72, 16 :: v_dual_mov_b32 v77, 56
	;; [unrolled: 1-line block ×5, first 2 shown]
	v_mov_b32_e32 v80, 0x50
	v_mov_b32_e32 v82, 0x60
	;; [unrolled: 1-line block ×20, first 2 shown]
	s_mov_b64 s[2:3], 0
	s_mov_b32 s8, -1
.LBB188_58:                             ; =>This Inner Loop Header: Depth=1
	scratch_load_b64 v[104:105], v70, off
	scratch_load_b64 v[106:107], v71, off
	;; [unrolled: 1-line block ×32, first 2 shown]
	s_cmp_eq_u32 s2, 1
	s_waitcnt lgkmcnt(16)
	v_max_f64 v[170:171], v[0:1], v[0:1]
	s_cselect_b32 vcc_lo, -1, 0
	v_max_f64 v[172:173], v[2:3], v[2:3]
	s_waitcnt lgkmcnt(0)
	v_dual_cndmask_b32 v169, v65, v67 :: v_dual_cndmask_b32 v168, v64, v66
	v_max_f64 v[174:175], v[4:5], v[4:5]
	v_max_f64 v[176:177], v[6:7], v[6:7]
	;; [unrolled: 1-line block ×31, first 2 shown]
	s_mov_b64 s[2:3], 1
	s_and_b32 vcc_lo, exec_lo, s8
	s_mov_b32 s8, 0
	v_min_f64 v[170:171], v[170:171], v[168:169]
	v_min_f64 v[172:173], v[172:173], v[168:169]
	;; [unrolled: 1-line block ×32, first 2 shown]
	s_waitcnt vmcnt(31)
	v_add_f64 v[104:105], v[104:105], v[170:171]
	s_waitcnt vmcnt(30)
	v_add_f64 v[106:107], v[172:173], v[106:107]
	;; [unrolled: 2-line block ×32, first 2 shown]
	scratch_store_b64 v70, v[104:105], off
	scratch_store_b64 v71, v[106:107], off
	;; [unrolled: 1-line block ×32, first 2 shown]
	v_mov_b32_e32 v70, 0x100
	v_mov_b32_e32 v71, 0x108
	;; [unrolled: 1-line block ×32, first 2 shown]
	s_cbranch_vccnz .LBB188_58
; %bb.59:
	v_dual_mov_b32 v71, 8 :: v_dual_add_nc_u32 v60, 0x800, v68
	ds_load_2addr_b64 v[0:3], v68 offset0:2 offset1:18
	ds_load_2addr_b64 v[4:7], v68 offset0:34 offset1:50
	;; [unrolled: 1-line block ×12, first 2 shown]
	v_dual_mov_b32 v73, 24 :: v_dual_add_nc_u32 v64, 16, v69
	ds_load_2addr_b64 v[48:51], v60 offset0:130 offset1:146
	ds_load_2addr_b64 v[52:55], v60 offset0:162 offset1:178
	;; [unrolled: 1-line block ×4, first 2 shown]
	ds_load_2addr_stride64_b64 v[64:67], v64 offset1:4
	v_dual_mov_b32 v70, 0 :: v_dual_mov_b32 v75, 40
	v_dual_mov_b32 v72, 16 :: v_dual_mov_b32 v77, 56
	v_dual_mov_b32 v74, 32 :: v_dual_mov_b32 v79, 0x48
	v_dual_mov_b32 v76, 48 :: v_dual_mov_b32 v81, 0x58
	v_dual_mov_b32 v78, 64 :: v_dual_mov_b32 v83, 0x68
	v_mov_b32_e32 v80, 0x50
	v_mov_b32_e32 v82, 0x60
	;; [unrolled: 1-line block ×20, first 2 shown]
	s_mov_b64 s[2:3], 0
	s_mov_b32 s8, -1
.LBB188_60:                             ; =>This Inner Loop Header: Depth=1
	scratch_load_b64 v[104:105], v70, off
	scratch_load_b64 v[106:107], v71, off
	;; [unrolled: 1-line block ×32, first 2 shown]
	s_cmp_eq_u32 s2, 1
	s_waitcnt lgkmcnt(16)
	v_max_f64 v[170:171], v[0:1], v[0:1]
	s_cselect_b32 vcc_lo, -1, 0
	v_max_f64 v[172:173], v[2:3], v[2:3]
	s_waitcnt lgkmcnt(0)
	v_dual_cndmask_b32 v169, v65, v67 :: v_dual_cndmask_b32 v168, v64, v66
	v_max_f64 v[174:175], v[4:5], v[4:5]
	v_max_f64 v[176:177], v[6:7], v[6:7]
	;; [unrolled: 1-line block ×31, first 2 shown]
	s_mov_b64 s[2:3], 1
	s_and_b32 vcc_lo, exec_lo, s8
	s_mov_b32 s8, 0
	v_min_f64 v[170:171], v[170:171], v[168:169]
	v_min_f64 v[172:173], v[172:173], v[168:169]
	;; [unrolled: 1-line block ×32, first 2 shown]
	s_waitcnt vmcnt(31)
	v_add_f64 v[104:105], v[104:105], v[170:171]
	s_waitcnt vmcnt(30)
	v_add_f64 v[106:107], v[172:173], v[106:107]
	;; [unrolled: 2-line block ×32, first 2 shown]
	scratch_store_b64 v70, v[104:105], off
	scratch_store_b64 v71, v[106:107], off
	;; [unrolled: 1-line block ×32, first 2 shown]
	v_mov_b32_e32 v70, 0x100
	v_mov_b32_e32 v71, 0x108
	;; [unrolled: 1-line block ×32, first 2 shown]
	s_cbranch_vccnz .LBB188_60
; %bb.61:
	v_add_nc_u32_e32 v60, 0x800, v68
	ds_load_2addr_b64 v[0:3], v68 offset0:3 offset1:19
	ds_load_2addr_b64 v[4:7], v68 offset0:35 offset1:51
	;; [unrolled: 1-line block ×4, first 2 shown]
	v_dual_mov_b32 v71, 24 :: v_dual_add_nc_u32 v64, 24, v69
	v_mov_b32_e32 v69, 8
	ds_load_2addr_b64 v[16:19], v68 offset0:131 offset1:147
	ds_load_2addr_b64 v[20:23], v68 offset0:163 offset1:179
	ds_load_2addr_b64 v[24:27], v68 offset0:195 offset1:211
	ds_load_2addr_b64 v[28:31], v68 offset0:227 offset1:243
	ds_load_2addr_b64 v[32:35], v60 offset0:3 offset1:19
	ds_load_2addr_b64 v[36:39], v60 offset0:35 offset1:51
	ds_load_2addr_b64 v[40:43], v60 offset0:67 offset1:83
	ds_load_2addr_b64 v[44:47], v60 offset0:99 offset1:115
	ds_load_2addr_b64 v[48:51], v60 offset0:131 offset1:147
	ds_load_2addr_b64 v[52:55], v60 offset0:163 offset1:179
	ds_load_2addr_b64 v[56:59], v60 offset0:195 offset1:211
	ds_load_2addr_b64 v[60:63], v60 offset0:227 offset1:243
	ds_load_2addr_stride64_b64 v[64:67], v64 offset1:4
	v_dual_mov_b32 v68, 0 :: v_dual_mov_b32 v73, 40
	v_dual_mov_b32 v70, 16 :: v_dual_mov_b32 v75, 56
	;; [unrolled: 1-line block ×5, first 2 shown]
	v_mov_b32_e32 v78, 0x50
	v_mov_b32_e32 v80, 0x60
	;; [unrolled: 1-line block ×20, first 2 shown]
	s_mov_b64 s[2:3], 0
	s_mov_b32 s8, -1
.LBB188_62:                             ; =>This Inner Loop Header: Depth=1
	scratch_load_b64 v[102:103], v68, off
	scratch_load_b64 v[104:105], v69, off
	scratch_load_b64 v[106:107], v70, off
	scratch_load_b64 v[108:109], v71, off
	scratch_load_b64 v[110:111], v72, off
	scratch_load_b64 v[112:113], v73, off
	scratch_load_b64 v[114:115], v74, off
	scratch_load_b64 v[116:117], v75, off
	scratch_load_b64 v[118:119], v76, off
	scratch_load_b64 v[120:121], v77, off
	scratch_load_b64 v[122:123], v78, off
	scratch_load_b64 v[124:125], v79, off
	scratch_load_b64 v[126:127], v80, off
	scratch_load_b64 v[128:129], v81, off
	scratch_load_b64 v[130:131], v82, off
	scratch_load_b64 v[132:133], v83, off
	scratch_load_b64 v[134:135], v84, off
	scratch_load_b64 v[136:137], v85, off
	scratch_load_b64 v[138:139], v88, off
	scratch_load_b64 v[140:141], v89, off
	scratch_load_b64 v[142:143], v90, off
	scratch_load_b64 v[144:145], v91, off
	scratch_load_b64 v[146:147], v92, off
	scratch_load_b64 v[148:149], v93, off
	scratch_load_b64 v[150:151], v94, off
	scratch_load_b64 v[152:153], v95, off
	scratch_load_b64 v[154:155], v96, off
	scratch_load_b64 v[156:157], v97, off
	scratch_load_b64 v[158:159], v98, off
	scratch_load_b64 v[160:161], v99, off
	scratch_load_b64 v[162:163], v100, off
	scratch_load_b64 v[164:165], v101, off
	s_cmp_eq_u32 s2, 1
	s_waitcnt lgkmcnt(16)
	v_max_f64 v[168:169], v[0:1], v[0:1]
	s_cselect_b32 vcc_lo, -1, 0
	v_max_f64 v[170:171], v[2:3], v[2:3]
	s_waitcnt lgkmcnt(0)
	v_dual_cndmask_b32 v167, v65, v67 :: v_dual_cndmask_b32 v166, v64, v66
	v_max_f64 v[172:173], v[4:5], v[4:5]
	v_max_f64 v[174:175], v[6:7], v[6:7]
	v_max_f64 v[176:177], v[8:9], v[8:9]
	v_max_f64 v[178:179], v[10:11], v[10:11]
	v_max_f64 v[166:167], v[166:167], v[166:167]
	v_max_f64 v[180:181], v[12:13], v[12:13]
	v_max_f64 v[182:183], v[14:15], v[14:15]
	v_max_f64 v[184:185], v[16:17], v[16:17]
	v_max_f64 v[186:187], v[18:19], v[18:19]
	v_max_f64 v[188:189], v[20:21], v[20:21]
	v_max_f64 v[190:191], v[22:23], v[22:23]
	v_max_f64 v[192:193], v[24:25], v[24:25]
	v_max_f64 v[194:195], v[26:27], v[26:27]
	v_max_f64 v[196:197], v[28:29], v[28:29]
	v_max_f64 v[198:199], v[30:31], v[30:31]
	v_max_f64 v[200:201], v[32:33], v[32:33]
	v_max_f64 v[202:203], v[34:35], v[34:35]
	v_max_f64 v[204:205], v[36:37], v[36:37]
	v_max_f64 v[206:207], v[38:39], v[38:39]
	v_max_f64 v[208:209], v[40:41], v[40:41]
	v_max_f64 v[210:211], v[42:43], v[42:43]
	v_max_f64 v[212:213], v[44:45], v[44:45]
	v_max_f64 v[214:215], v[46:47], v[46:47]
	v_max_f64 v[216:217], v[48:49], v[48:49]
	v_max_f64 v[218:219], v[50:51], v[50:51]
	v_max_f64 v[220:221], v[52:53], v[52:53]
	v_max_f64 v[222:223], v[54:55], v[54:55]
	v_max_f64 v[224:225], v[56:57], v[56:57]
	v_max_f64 v[226:227], v[58:59], v[58:59]
	v_max_f64 v[228:229], v[60:61], v[60:61]
	v_max_f64 v[230:231], v[62:63], v[62:63]
	s_mov_b64 s[2:3], 1
	s_and_b32 vcc_lo, exec_lo, s8
	s_mov_b32 s8, 0
	v_min_f64 v[168:169], v[168:169], v[166:167]
	v_min_f64 v[170:171], v[170:171], v[166:167]
	;; [unrolled: 1-line block ×32, first 2 shown]
	s_waitcnt vmcnt(31)
	v_add_f64 v[102:103], v[102:103], v[168:169]
	s_waitcnt vmcnt(30)
	v_add_f64 v[104:105], v[170:171], v[104:105]
	;; [unrolled: 2-line block ×32, first 2 shown]
	scratch_store_b64 v68, v[102:103], off
	scratch_store_b64 v69, v[104:105], off
	;; [unrolled: 1-line block ×32, first 2 shown]
	v_mov_b32_e32 v68, 0x100
	v_mov_b32_e32 v69, 0x108
	;; [unrolled: 1-line block ×32, first 2 shown]
	s_cbranch_vccnz .LBB188_62
; %bb.63:
	scratch_load_b64 v[2:3], off, off
	s_load_b32 s3, s[0:1], 0x58
	v_dual_mov_b32 v4, 0 :: v_dual_add_nc_u32 v71, s21, v87
	v_dual_mov_b32 v5, 0 :: v_dual_add_nc_u32 v12, s14, v86
	v_mov_b32_e32 v8, 0
	v_mov_b32_e32 v9, 0
	s_and_b32 s2, exec_lo, s22
	s_delay_alu instid0(VALU_DEP_3) | instskip(SKIP_2) | instid1(VALU_DEP_1)
	v_ashrrev_i32_e32 v13, 31, v12
	s_waitcnt lgkmcnt(0)
	v_mad_i64_i32 v[0:1], null, v71, s3, 0
	v_lshlrev_b64 v[0:1], 3, v[0:1]
	s_delay_alu instid0(VALU_DEP_1) | instskip(NEXT) | instid1(VALU_DEP_2)
	v_add_co_u32 v72, vcc_lo, s4, v0
	v_add_co_ci_u32_e32 v73, vcc_lo, s5, v1, vcc_lo
	v_lshlrev_b64 v[0:1], 3, v[12:13]
	s_mov_b32 vcc_lo, s2
	s_cbranch_vccz .LBB188_65
; %bb.64:
	s_delay_alu instid0(VALU_DEP_1) | instskip(NEXT) | instid1(VALU_DEP_2)
	v_add_co_u32 v6, vcc_lo, v72, v0
	v_add_co_ci_u32_e32 v7, vcc_lo, v73, v1, vcc_lo
	flat_load_b64 v[6:7], v[6:7]
	s_waitcnt vmcnt(0) lgkmcnt(0)
	v_mul_f64 v[8:9], v[6:7], s[6:7]
.LBB188_65:
	scratch_load_b64 v[6:7], off, off offset:8
	s_clause 0x1
	s_load_b64 s[8:9], s[0:1], 0x78
	s_load_b32 s1, s[0:1], 0x70
	s_waitcnt vmcnt(1)
	v_add_f64 v[8:9], v[2:3], v[8:9]
	v_add_nc_u32_e32 v10, 4, v12
	v_cndmask_b32_e64 v13, 0, 1, s22
	s_delay_alu instid0(VALU_DEP_2) | instskip(SKIP_4) | instid1(SALU_CYCLE_1)
	v_ashrrev_i32_e32 v11, 31, v10
	s_waitcnt lgkmcnt(0)
	s_mul_i32 s0, s15, s9
	v_mad_i64_i32 v[2:3], null, v71, s1, 0
	s_mul_hi_u32 s9, s15, s8
	s_add_i32 s0, s9, s0
	s_mul_i32 s9, s20, s8
	s_mul_i32 s8, s15, s8
	s_add_i32 s9, s0, s9
	s_delay_alu instid0(VALU_DEP_1) | instskip(SKIP_4) | instid1(VALU_DEP_2)
	v_lshlrev_b64 v[2:3], 3, v[2:3]
	s_lshl_b64 s[8:9], s[8:9], 3
	v_cmp_ne_u32_e64 s0, 1, v13
	s_add_u32 s8, s10, s8
	s_addc_u32 s9, s11, s9
	v_add_co_u32 v74, vcc_lo, s8, v2
	v_add_co_ci_u32_e32 v75, vcc_lo, s9, v3, vcc_lo
	v_lshlrev_b64 v[2:3], 3, v[10:11]
	s_delay_alu instid0(VALU_DEP_3) | instskip(NEXT) | instid1(VALU_DEP_3)
	v_add_co_u32 v13, vcc_lo, v74, v0
	v_add_co_ci_u32_e32 v14, vcc_lo, v75, v1, vcc_lo
	s_and_not1_b32 vcc_lo, exec_lo, s22
	global_store_b64 v[13:14], v[8:9], off
	s_cbranch_vccnz .LBB188_67
; %bb.66:
	v_add_co_u32 v4, vcc_lo, v72, v2
	v_add_co_ci_u32_e32 v5, vcc_lo, v73, v3, vcc_lo
	flat_load_b64 v[4:5], v[4:5]
	s_waitcnt vmcnt(0) lgkmcnt(0)
	v_mul_f64 v[4:5], v[4:5], s[6:7]
.LBB188_67:
	scratch_load_b64 v[10:11], off, off offset:16
	s_waitcnt vmcnt(1)
	v_add_f64 v[13:14], v[6:7], v[4:5]
	v_add_nc_u32_e32 v4, 8, v12
	v_mov_b32_e32 v8, 0
	v_mov_b32_e32 v9, 0
	v_add_co_u32 v15, vcc_lo, v74, v2
	s_delay_alu instid0(VALU_DEP_4) | instskip(SKIP_3) | instid1(VALU_DEP_4)
	v_ashrrev_i32_e32 v5, 31, v4
	v_mov_b32_e32 v6, 0
	v_mov_b32_e32 v7, 0
	v_add_co_ci_u32_e32 v16, vcc_lo, v75, v3, vcc_lo
	v_lshlrev_b64 v[4:5], 3, v[4:5]
	s_and_b32 vcc_lo, exec_lo, s0
	global_store_b64 v[15:16], v[13:14], off
	s_cbranch_vccnz .LBB188_69
; %bb.68:
	v_add_co_u32 v6, vcc_lo, v72, v4
	v_add_co_ci_u32_e32 v7, vcc_lo, v73, v5, vcc_lo
	flat_load_b64 v[6:7], v[6:7]
	s_waitcnt vmcnt(0) lgkmcnt(0)
	v_mul_f64 v[6:7], v[6:7], s[6:7]
.LBB188_69:
	scratch_load_b64 v[13:14], off, off offset:24
	s_waitcnt vmcnt(1)
	v_add_f64 v[10:11], v[10:11], v[6:7]
	v_add_nc_u32_e32 v6, 12, v12
	v_add_co_u32 v15, vcc_lo, v74, v4
	v_add_co_ci_u32_e32 v16, vcc_lo, v75, v5, vcc_lo
	s_delay_alu instid0(VALU_DEP_3) | instskip(SKIP_1) | instid1(VALU_DEP_1)
	v_ashrrev_i32_e32 v7, 31, v6
	s_and_b32 vcc_lo, exec_lo, s0
	v_lshlrev_b64 v[6:7], 3, v[6:7]
	global_store_b64 v[15:16], v[10:11], off
	s_cbranch_vccnz .LBB188_71
; %bb.70:
	v_add_co_u32 v8, vcc_lo, v72, v6
	v_add_co_ci_u32_e32 v9, vcc_lo, v73, v7, vcc_lo
	flat_load_b64 v[8:9], v[8:9]
	s_waitcnt vmcnt(0) lgkmcnt(0)
	v_mul_f64 v[8:9], v[8:9], s[6:7]
.LBB188_71:
	scratch_load_b64 v[10:11], off, off offset:32
	s_waitcnt vmcnt(1)
	v_add_f64 v[17:18], v[13:14], v[8:9]
	v_dual_mov_b32 v13, 0 :: v_dual_add_nc_u32 v8, 16, v12
	v_add_co_u32 v19, vcc_lo, v74, v6
	v_dual_mov_b32 v14, 0 :: v_dual_mov_b32 v15, 0
	s_delay_alu instid0(VALU_DEP_3) | instskip(SKIP_3) | instid1(VALU_DEP_3)
	v_ashrrev_i32_e32 v9, 31, v8
	v_add_co_ci_u32_e32 v20, vcc_lo, v75, v7, vcc_lo
	v_mov_b32_e32 v16, 0
	s_and_b32 vcc_lo, exec_lo, s0
	v_lshlrev_b64 v[8:9], 3, v[8:9]
	global_store_b64 v[19:20], v[17:18], off
	s_cbranch_vccnz .LBB188_73
; %bb.72:
	v_add_co_u32 v15, vcc_lo, v72, v8
	v_add_co_ci_u32_e32 v16, vcc_lo, v73, v9, vcc_lo
	flat_load_b64 v[15:16], v[15:16]
	s_waitcnt vmcnt(0) lgkmcnt(0)
	v_mul_f64 v[15:16], v[15:16], s[6:7]
.LBB188_73:
	scratch_load_b64 v[17:18], off, off offset:40
	s_waitcnt vmcnt(1)
	v_add_f64 v[15:16], v[10:11], v[15:16]
	v_add_nc_u32_e32 v10, 20, v12
	v_add_co_u32 v19, vcc_lo, v74, v8
	v_add_co_ci_u32_e32 v20, vcc_lo, v75, v9, vcc_lo
	s_delay_alu instid0(VALU_DEP_3) | instskip(SKIP_1) | instid1(VALU_DEP_1)
	v_ashrrev_i32_e32 v11, 31, v10
	s_and_b32 vcc_lo, exec_lo, s0
	v_lshlrev_b64 v[10:11], 3, v[10:11]
	global_store_b64 v[19:20], v[15:16], off
	s_cbranch_vccnz .LBB188_75
; %bb.74:
	v_add_co_u32 v13, vcc_lo, v72, v10
	v_add_co_ci_u32_e32 v14, vcc_lo, v73, v11, vcc_lo
	flat_load_b64 v[13:14], v[13:14]
	s_waitcnt vmcnt(0) lgkmcnt(0)
	v_mul_f64 v[13:14], v[13:14], s[6:7]
.LBB188_75:
	scratch_load_b64 v[15:16], off, off offset:48
	s_waitcnt vmcnt(1)
	v_add_f64 v[21:22], v[17:18], v[13:14]
	v_add_nc_u32_e32 v13, 24, v12
	v_mov_b32_e32 v17, 0
	v_mov_b32_e32 v18, 0
	v_add_co_u32 v23, vcc_lo, v74, v10
	s_delay_alu instid0(VALU_DEP_4) | instskip(SKIP_3) | instid1(VALU_DEP_4)
	v_ashrrev_i32_e32 v14, 31, v13
	v_mov_b32_e32 v19, 0
	v_mov_b32_e32 v20, 0
	v_add_co_ci_u32_e32 v24, vcc_lo, v75, v11, vcc_lo
	v_lshlrev_b64 v[13:14], 3, v[13:14]
	s_and_b32 vcc_lo, exec_lo, s0
	global_store_b64 v[23:24], v[21:22], off
	s_cbranch_vccnz .LBB188_77
; %bb.76:
	v_add_co_u32 v19, vcc_lo, v72, v13
	v_add_co_ci_u32_e32 v20, vcc_lo, v73, v14, vcc_lo
	flat_load_b64 v[19:20], v[19:20]
	s_waitcnt vmcnt(0) lgkmcnt(0)
	v_mul_f64 v[19:20], v[19:20], s[6:7]
.LBB188_77:
	scratch_load_b64 v[21:22], off, off offset:56
	s_waitcnt vmcnt(1)
	v_add_f64 v[19:20], v[15:16], v[19:20]
	v_add_nc_u32_e32 v15, 28, v12
	v_add_co_u32 v23, vcc_lo, v74, v13
	v_add_co_ci_u32_e32 v24, vcc_lo, v75, v14, vcc_lo
	s_delay_alu instid0(VALU_DEP_3) | instskip(SKIP_1) | instid1(VALU_DEP_1)
	v_ashrrev_i32_e32 v16, 31, v15
	s_and_b32 vcc_lo, exec_lo, s0
	v_lshlrev_b64 v[15:16], 3, v[15:16]
	global_store_b64 v[23:24], v[19:20], off
	s_cbranch_vccnz .LBB188_79
; %bb.78:
	v_add_co_u32 v17, vcc_lo, v72, v15
	v_add_co_ci_u32_e32 v18, vcc_lo, v73, v16, vcc_lo
	flat_load_b64 v[17:18], v[17:18]
	s_waitcnt vmcnt(0) lgkmcnt(0)
	v_mul_f64 v[17:18], v[17:18], s[6:7]
.LBB188_79:
	scratch_load_b64 v[19:20], off, off offset:64
	s_waitcnt vmcnt(1)
	v_add_f64 v[25:26], v[21:22], v[17:18]
	v_add_nc_u32_e32 v17, 32, v12
	v_mov_b32_e32 v21, 0
	v_mov_b32_e32 v22, 0
	v_add_co_u32 v27, vcc_lo, v74, v15
	s_delay_alu instid0(VALU_DEP_4) | instskip(SKIP_3) | instid1(VALU_DEP_4)
	v_ashrrev_i32_e32 v18, 31, v17
	v_mov_b32_e32 v23, 0
	v_mov_b32_e32 v24, 0
	v_add_co_ci_u32_e32 v28, vcc_lo, v75, v16, vcc_lo
	v_lshlrev_b64 v[17:18], 3, v[17:18]
	s_and_b32 vcc_lo, exec_lo, s0
	;; [unrolled: 42-line block ×13, first 2 shown]
	global_store_b64 v[76:77], v[67:68], off
	s_cbranch_vccnz .LBB188_125
; %bb.124:
	v_add_co_u32 v67, vcc_lo, v72, v61
	v_add_co_ci_u32_e32 v68, vcc_lo, v73, v62, vcc_lo
	flat_load_b64 v[67:68], v[67:68]
	s_waitcnt vmcnt(0) lgkmcnt(0)
	v_mul_f64 v[69:70], v[67:68], s[6:7]
.LBB188_125:
	scratch_load_b64 v[67:68], off, off offset:248
	s_waitcnt vmcnt(1)
	v_add_f64 v[69:70], v[63:64], v[69:70]
	v_add_nc_u32_e32 v63, 0x7c, v12
	v_add_co_u32 v76, vcc_lo, v74, v61
	v_add_co_ci_u32_e32 v77, vcc_lo, v75, v62, vcc_lo
	s_delay_alu instid0(VALU_DEP_3) | instskip(SKIP_1) | instid1(VALU_DEP_1)
	v_ashrrev_i32_e32 v64, 31, v63
	s_and_b32 vcc_lo, exec_lo, s0
	v_lshlrev_b64 v[63:64], 3, v[63:64]
	global_store_b64 v[76:77], v[69:70], off
	s_cbranch_vccnz .LBB188_127
; %bb.126:
	v_add_co_u32 v65, vcc_lo, v72, v63
	v_add_co_ci_u32_e32 v66, vcc_lo, v73, v64, vcc_lo
	flat_load_b64 v[65:66], v[65:66]
	s_waitcnt vmcnt(0) lgkmcnt(0)
	v_mul_f64 v[65:66], v[65:66], s[6:7]
.LBB188_127:
	scratch_load_b64 v[69:70], off, off offset:256
	s_waitcnt vmcnt(1)
	v_add_f64 v[67:68], v[67:68], v[65:66]
	v_add_nc_u32_e32 v76, 64, v71
	v_add_co_u32 v74, vcc_lo, v74, v63
	v_add_co_ci_u32_e32 v75, vcc_lo, v75, v64, vcc_lo
	s_delay_alu instid0(VALU_DEP_3) | instskip(SKIP_2) | instid1(VALU_DEP_3)
	v_mad_i64_i32 v[65:66], null, v76, s3, 0
	v_mov_b32_e32 v71, 0
	v_mov_b32_e32 v72, 0
	v_lshlrev_b64 v[77:78], 3, v[65:66]
	v_mov_b32_e32 v65, 0
	v_mov_b32_e32 v66, 0
	s_delay_alu instid0(VALU_DEP_3) | instskip(NEXT) | instid1(VALU_DEP_4)
	v_add_co_u32 v12, vcc_lo, s4, v77
	v_add_co_ci_u32_e32 v73, vcc_lo, s5, v78, vcc_lo
	s_mov_b32 vcc_lo, s2
	global_store_b64 v[74:75], v[67:68], off
	s_cbranch_vccz .LBB188_129
; %bb.128:
	v_add_co_u32 v67, vcc_lo, v12, v0
	v_add_co_ci_u32_e32 v68, vcc_lo, v73, v1, vcc_lo
	flat_load_b64 v[67:68], v[67:68]
	s_waitcnt vmcnt(0) lgkmcnt(0)
	v_mul_f64 v[71:72], v[67:68], s[6:7]
.LBB188_129:
	scratch_load_b64 v[67:68], off, off offset:264
	s_waitcnt vmcnt(1)
	v_add_f64 v[69:70], v[69:70], v[71:72]
	v_mad_i64_i32 v[71:72], null, v76, s1, 0
	s_delay_alu instid0(VALU_DEP_1) | instskip(NEXT) | instid1(VALU_DEP_1)
	v_lshlrev_b64 v[71:72], 3, v[71:72]
	v_add_co_u32 v71, vcc_lo, s8, v71
	s_delay_alu instid0(VALU_DEP_2) | instskip(NEXT) | instid1(VALU_DEP_2)
	v_add_co_ci_u32_e32 v72, vcc_lo, s9, v72, vcc_lo
	v_add_co_u32 v0, vcc_lo, v71, v0
	s_delay_alu instid0(VALU_DEP_2)
	v_add_co_ci_u32_e32 v1, vcc_lo, v72, v1, vcc_lo
	s_and_b32 vcc_lo, exec_lo, s0
	global_store_b64 v[0:1], v[69:70], off
	s_cbranch_vccnz .LBB188_131
; %bb.130:
	v_add_co_u32 v0, vcc_lo, v12, v2
	v_add_co_ci_u32_e32 v1, vcc_lo, v73, v3, vcc_lo
	flat_load_b64 v[0:1], v[0:1]
	s_waitcnt vmcnt(0) lgkmcnt(0)
	v_mul_f64 v[65:66], v[0:1], s[6:7]
.LBB188_131:
	scratch_load_b64 v[69:70], off, off offset:272
	s_waitcnt vmcnt(1)
	v_add_f64 v[65:66], v[67:68], v[65:66]
	v_add_co_u32 v67, vcc_lo, v71, v2
	v_mov_b32_e32 v0, 0
	v_add_co_ci_u32_e32 v68, vcc_lo, v72, v3, vcc_lo
	v_dual_mov_b32 v1, 0 :: v_dual_mov_b32 v2, 0
	v_mov_b32_e32 v3, 0
	s_and_b32 vcc_lo, exec_lo, s0
	global_store_b64 v[67:68], v[65:66], off
	s_cbranch_vccnz .LBB188_133
; %bb.132:
	v_add_co_u32 v2, vcc_lo, v12, v4
	v_add_co_ci_u32_e32 v3, vcc_lo, v73, v5, vcc_lo
	flat_load_b64 v[2:3], v[2:3]
	s_waitcnt vmcnt(0) lgkmcnt(0)
	v_mul_f64 v[2:3], v[2:3], s[6:7]
.LBB188_133:
	scratch_load_b64 v[65:66], off, off offset:280
	s_waitcnt vmcnt(1)
	v_add_f64 v[2:3], v[69:70], v[2:3]
	v_add_co_u32 v4, vcc_lo, v71, v4
	v_add_co_ci_u32_e32 v5, vcc_lo, v72, v5, vcc_lo
	s_and_b32 vcc_lo, exec_lo, s0
	global_store_b64 v[4:5], v[2:3], off
	s_cbranch_vccnz .LBB188_135
; %bb.134:
	v_add_co_u32 v0, vcc_lo, v12, v6
	v_add_co_ci_u32_e32 v1, vcc_lo, v73, v7, vcc_lo
	flat_load_b64 v[0:1], v[0:1]
	s_waitcnt vmcnt(0) lgkmcnt(0)
	v_mul_f64 v[0:1], v[0:1], s[6:7]
.LBB188_135:
	scratch_load_b64 v[2:3], off, off offset:288
	s_waitcnt vmcnt(1)
	v_add_f64 v[4:5], v[65:66], v[0:1]
	v_add_co_u32 v65, vcc_lo, v71, v6
	v_mov_b32_e32 v0, 0
	v_add_co_ci_u32_e32 v66, vcc_lo, v72, v7, vcc_lo
	v_dual_mov_b32 v1, 0 :: v_dual_mov_b32 v6, 0
	v_mov_b32_e32 v7, 0
	s_and_b32 vcc_lo, exec_lo, s0
	global_store_b64 v[65:66], v[4:5], off
	s_cbranch_vccnz .LBB188_137
; %bb.136:
	v_add_co_u32 v4, vcc_lo, v12, v8
	v_add_co_ci_u32_e32 v5, vcc_lo, v73, v9, vcc_lo
	flat_load_b64 v[4:5], v[4:5]
	s_waitcnt vmcnt(0) lgkmcnt(0)
	v_mul_f64 v[6:7], v[4:5], s[6:7]
.LBB188_137:
	scratch_load_b64 v[4:5], off, off offset:296
	s_waitcnt vmcnt(1)
	v_add_f64 v[2:3], v[2:3], v[6:7]
	v_add_co_u32 v6, vcc_lo, v71, v8
	v_add_co_ci_u32_e32 v7, vcc_lo, v72, v9, vcc_lo
	s_and_b32 vcc_lo, exec_lo, s0
	global_store_b64 v[6:7], v[2:3], off
	s_cbranch_vccnz .LBB188_139
; %bb.138:
	v_add_co_u32 v0, vcc_lo, v12, v10
	v_add_co_ci_u32_e32 v1, vcc_lo, v73, v11, vcc_lo
	flat_load_b64 v[0:1], v[0:1]
	s_waitcnt vmcnt(0) lgkmcnt(0)
	v_mul_f64 v[0:1], v[0:1], s[6:7]
.LBB188_139:
	scratch_load_b64 v[2:3], off, off offset:304
	s_waitcnt vmcnt(1)
	v_add_f64 v[4:5], v[4:5], v[0:1]
	v_add_co_u32 v8, vcc_lo, v71, v10
	v_mov_b32_e32 v0, 0
	v_dual_mov_b32 v1, 0 :: v_dual_mov_b32 v6, 0
	v_add_co_ci_u32_e32 v9, vcc_lo, v72, v11, vcc_lo
	v_mov_b32_e32 v7, 0
	s_and_b32 vcc_lo, exec_lo, s0
	global_store_b64 v[8:9], v[4:5], off
	s_cbranch_vccnz .LBB188_141
; %bb.140:
	v_add_co_u32 v4, vcc_lo, v12, v13
	v_add_co_ci_u32_e32 v5, vcc_lo, v73, v14, vcc_lo
	flat_load_b64 v[4:5], v[4:5]
	s_waitcnt vmcnt(0) lgkmcnt(0)
	v_mul_f64 v[6:7], v[4:5], s[6:7]
.LBB188_141:
	scratch_load_b64 v[4:5], off, off offset:312
	s_waitcnt vmcnt(1)
	v_add_f64 v[2:3], v[2:3], v[6:7]
	v_add_co_u32 v6, vcc_lo, v71, v13
	v_add_co_ci_u32_e32 v7, vcc_lo, v72, v14, vcc_lo
	s_and_b32 vcc_lo, exec_lo, s0
	global_store_b64 v[6:7], v[2:3], off
	s_cbranch_vccnz .LBB188_143
; %bb.142:
	v_add_co_u32 v0, vcc_lo, v12, v15
	v_add_co_ci_u32_e32 v1, vcc_lo, v73, v16, vcc_lo
	flat_load_b64 v[0:1], v[0:1]
	s_waitcnt vmcnt(0) lgkmcnt(0)
	v_mul_f64 v[0:1], v[0:1], s[6:7]
.LBB188_143:
	scratch_load_b64 v[2:3], off, off offset:320
	s_waitcnt vmcnt(1)
	v_add_f64 v[4:5], v[4:5], v[0:1]
	v_add_co_u32 v8, vcc_lo, v71, v15
	v_mov_b32_e32 v0, 0
	v_dual_mov_b32 v1, 0 :: v_dual_mov_b32 v6, 0
	v_add_co_ci_u32_e32 v9, vcc_lo, v72, v16, vcc_lo
	;; [unrolled: 33-line block ×13, first 2 shown]
	v_mov_b32_e32 v7, 0
	s_and_b32 vcc_lo, exec_lo, s0
	global_store_b64 v[8:9], v[4:5], off
	s_cbranch_vccnz .LBB188_189
; %bb.188:
	v_add_co_u32 v4, vcc_lo, v12, v61
	v_add_co_ci_u32_e32 v5, vcc_lo, v73, v62, vcc_lo
	flat_load_b64 v[4:5], v[4:5]
	s_waitcnt vmcnt(0) lgkmcnt(0)
	v_mul_f64 v[6:7], v[4:5], s[6:7]
.LBB188_189:
	scratch_load_b64 v[4:5], off, off offset:504
	s_waitcnt vmcnt(1)
	v_add_f64 v[2:3], v[2:3], v[6:7]
	v_add_co_u32 v6, vcc_lo, v71, v61
	v_add_co_ci_u32_e32 v7, vcc_lo, v72, v62, vcc_lo
	s_and_b32 vcc_lo, exec_lo, s0
	global_store_b64 v[6:7], v[2:3], off
	s_cbranch_vccnz .LBB188_191
; %bb.190:
	v_add_co_u32 v0, vcc_lo, v12, v63
	v_add_co_ci_u32_e32 v1, vcc_lo, v73, v64, vcc_lo
	flat_load_b64 v[0:1], v[0:1]
	s_waitcnt vmcnt(0) lgkmcnt(0)
	v_mul_f64 v[0:1], v[0:1], s[6:7]
.LBB188_191:
	s_waitcnt vmcnt(0)
	s_delay_alu instid0(VALU_DEP_1)
	v_add_f64 v[0:1], v[4:5], v[0:1]
	v_add_co_u32 v2, vcc_lo, v71, v63
	v_add_co_ci_u32_e32 v3, vcc_lo, v72, v64, vcc_lo
	global_store_b64 v[2:3], v[0:1], off
	s_endpgm
	.section	.rodata,"a",@progbits
	.p2align	6, 0x0
	.amdhsa_kernel _ZN12_GLOBAL__N_120geam_min_plus_kernelIdddLi4ELi64ELi128ELi128ELi4ELi4ELi64ELi4ELi64ELc84ELc78ELb0ELb0ELb0EdKddEEviiiT16_PT17_ilS4_ilS2_S4_ilPT18_ili26rocblas_geam_ex_operation_
		.amdhsa_group_segment_fixed_size 16384
		.amdhsa_private_segment_fixed_size 528
		.amdhsa_kernarg_size 136
		.amdhsa_user_sgpr_count 14
		.amdhsa_user_sgpr_dispatch_ptr 0
		.amdhsa_user_sgpr_queue_ptr 0
		.amdhsa_user_sgpr_kernarg_segment_ptr 1
		.amdhsa_user_sgpr_dispatch_id 0
		.amdhsa_user_sgpr_private_segment_size 0
		.amdhsa_wavefront_size32 1
		.amdhsa_uses_dynamic_stack 0
		.amdhsa_enable_private_segment 1
		.amdhsa_system_sgpr_workgroup_id_x 1
		.amdhsa_system_sgpr_workgroup_id_y 0
		.amdhsa_system_sgpr_workgroup_id_z 1
		.amdhsa_system_sgpr_workgroup_info 0
		.amdhsa_system_vgpr_workitem_id 1
		.amdhsa_next_free_vgpr 250
		.amdhsa_next_free_sgpr 27
		.amdhsa_reserve_vcc 1
		.amdhsa_float_round_mode_32 0
		.amdhsa_float_round_mode_16_64 0
		.amdhsa_float_denorm_mode_32 3
		.amdhsa_float_denorm_mode_16_64 3
		.amdhsa_dx10_clamp 1
		.amdhsa_ieee_mode 1
		.amdhsa_fp16_overflow 0
		.amdhsa_workgroup_processor_mode 1
		.amdhsa_memory_ordered 1
		.amdhsa_forward_progress 0
		.amdhsa_shared_vgpr_count 0
		.amdhsa_exception_fp_ieee_invalid_op 0
		.amdhsa_exception_fp_denorm_src 0
		.amdhsa_exception_fp_ieee_div_zero 0
		.amdhsa_exception_fp_ieee_overflow 0
		.amdhsa_exception_fp_ieee_underflow 0
		.amdhsa_exception_fp_ieee_inexact 0
		.amdhsa_exception_int_div_zero 0
	.end_amdhsa_kernel
	.section	.text._ZN12_GLOBAL__N_120geam_min_plus_kernelIdddLi4ELi64ELi128ELi128ELi4ELi4ELi64ELi4ELi64ELc84ELc78ELb0ELb0ELb0EdKddEEviiiT16_PT17_ilS4_ilS2_S4_ilPT18_ili26rocblas_geam_ex_operation_,"axG",@progbits,_ZN12_GLOBAL__N_120geam_min_plus_kernelIdddLi4ELi64ELi128ELi128ELi4ELi4ELi64ELi4ELi64ELc84ELc78ELb0ELb0ELb0EdKddEEviiiT16_PT17_ilS4_ilS2_S4_ilPT18_ili26rocblas_geam_ex_operation_,comdat
.Lfunc_end188:
	.size	_ZN12_GLOBAL__N_120geam_min_plus_kernelIdddLi4ELi64ELi128ELi128ELi4ELi4ELi64ELi4ELi64ELc84ELc78ELb0ELb0ELb0EdKddEEviiiT16_PT17_ilS4_ilS2_S4_ilPT18_ili26rocblas_geam_ex_operation_, .Lfunc_end188-_ZN12_GLOBAL__N_120geam_min_plus_kernelIdddLi4ELi64ELi128ELi128ELi4ELi4ELi64ELi4ELi64ELc84ELc78ELb0ELb0ELb0EdKddEEviiiT16_PT17_ilS4_ilS2_S4_ilPT18_ili26rocblas_geam_ex_operation_
                                        ; -- End function
	.section	.AMDGPU.csdata,"",@progbits
; Kernel info:
; codeLenInByte = 43620
; NumSgprs: 29
; NumVgprs: 250
; ScratchSize: 528
; MemoryBound: 1
; FloatMode: 240
; IeeeMode: 1
; LDSByteSize: 16384 bytes/workgroup (compile time only)
; SGPRBlocks: 3
; VGPRBlocks: 31
; NumSGPRsForWavesPerEU: 29
; NumVGPRsForWavesPerEU: 250
; Occupancy: 5
; WaveLimiterHint : 1
; COMPUTE_PGM_RSRC2:SCRATCH_EN: 1
; COMPUTE_PGM_RSRC2:USER_SGPR: 14
; COMPUTE_PGM_RSRC2:TRAP_HANDLER: 0
; COMPUTE_PGM_RSRC2:TGID_X_EN: 1
; COMPUTE_PGM_RSRC2:TGID_Y_EN: 0
; COMPUTE_PGM_RSRC2:TGID_Z_EN: 1
; COMPUTE_PGM_RSRC2:TIDIG_COMP_CNT: 1
	.section	.text._ZN12_GLOBAL__N_120geam_min_plus_kernelIdddLi4ELi64ELi128ELi128ELi4ELi4ELi64ELi4ELi64ELc84ELc78ELb0ELb1ELb0EPKdS1_dEEviiiT16_PT17_ilS5_ilS3_S5_ilPT18_ili26rocblas_geam_ex_operation_,"axG",@progbits,_ZN12_GLOBAL__N_120geam_min_plus_kernelIdddLi4ELi64ELi128ELi128ELi4ELi4ELi64ELi4ELi64ELc84ELc78ELb0ELb1ELb0EPKdS1_dEEviiiT16_PT17_ilS5_ilS3_S5_ilPT18_ili26rocblas_geam_ex_operation_,comdat
	.globl	_ZN12_GLOBAL__N_120geam_min_plus_kernelIdddLi4ELi64ELi128ELi128ELi4ELi4ELi64ELi4ELi64ELc84ELc78ELb0ELb1ELb0EPKdS1_dEEviiiT16_PT17_ilS5_ilS3_S5_ilPT18_ili26rocblas_geam_ex_operation_ ; -- Begin function _ZN12_GLOBAL__N_120geam_min_plus_kernelIdddLi4ELi64ELi128ELi128ELi4ELi4ELi64ELi4ELi64ELc84ELc78ELb0ELb1ELb0EPKdS1_dEEviiiT16_PT17_ilS5_ilS3_S5_ilPT18_ili26rocblas_geam_ex_operation_
	.p2align	8
	.type	_ZN12_GLOBAL__N_120geam_min_plus_kernelIdddLi4ELi64ELi128ELi128ELi4ELi4ELi64ELi4ELi64ELc84ELc78ELb0ELb1ELb0EPKdS1_dEEviiiT16_PT17_ilS5_ilS3_S5_ilPT18_ili26rocblas_geam_ex_operation_,@function
_ZN12_GLOBAL__N_120geam_min_plus_kernelIdddLi4ELi64ELi128ELi128ELi4ELi4ELi64ELi4ELi64ELc84ELc78ELb0ELb1ELb0EPKdS1_dEEviiiT16_PT17_ilS5_ilS3_S5_ilPT18_ili26rocblas_geam_ex_operation_: ; @_ZN12_GLOBAL__N_120geam_min_plus_kernelIdddLi4ELi64ELi128ELi128ELi4ELi4ELi64ELi4ELi64ELc84ELc78ELb0ELb1ELb0EPKdS1_dEEviiiT16_PT17_ilS5_ilS3_S5_ilPT18_ili26rocblas_geam_ex_operation_
; %bb.0:
	s_clause 0x1
	s_load_b128 s[8:11], s[0:1], 0x10
	s_load_b128 s[4:7], s[0:1], 0x28
	s_mov_b32 s12, s15
	s_mov_b32 s13, 0
	s_delay_alu instid0(SALU_CYCLE_1)
	s_lshl_b64 s[22:23], s[12:13], 3
	s_waitcnt lgkmcnt(0)
	s_add_u32 s2, s8, s22
	s_addc_u32 s3, s9, s23
	s_load_b64 s[20:21], s[2:3], 0x0
	s_clause 0x1
	s_load_b128 s[16:19], s[0:1], 0x40
	s_load_b64 s[2:3], s[0:1], 0x50
	s_waitcnt lgkmcnt(0)
	s_add_u32 s8, s18, s22
	v_cmp_eq_f64_e64 s15, s[20:21], 0
	v_cmp_neq_f64_e64 s13, s[20:21], 0
	s_addc_u32 s9, s19, s23
	s_mov_b64 s[18:19], 0
	s_mov_b64 s[22:23], 0
	s_delay_alu instid0(VALU_DEP_2)
	s_and_b32 vcc_lo, exec_lo, s15
	s_cbranch_vccnz .LBB189_2
; %bb.1:
	s_mul_i32 s5, s12, s5
	s_mul_hi_u32 s15, s12, s4
	s_mul_i32 s4, s12, s4
	s_add_i32 s5, s15, s5
	s_delay_alu instid0(SALU_CYCLE_1) | instskip(NEXT) | instid1(SALU_CYCLE_1)
	s_lshl_b64 s[4:5], s[4:5], 3
	s_add_u32 s22, s10, s4
	s_addc_u32 s23, s11, s5
.LBB189_2:
	s_load_b64 s[34:35], s[8:9], 0x0
	s_delay_alu instid0(VALU_DEP_1)
	s_and_not1_b32 vcc_lo, exec_lo, s13
	s_cbranch_vccnz .LBB189_4
; %bb.3:
	s_mul_i32 s4, s12, s17
	s_mul_hi_u32 s5, s12, s16
	s_delay_alu instid0(SALU_CYCLE_1) | instskip(SKIP_1) | instid1(SALU_CYCLE_1)
	s_add_i32 s5, s5, s4
	s_mul_i32 s4, s12, s16
	s_lshl_b64 s[4:5], s[4:5], 3
	s_delay_alu instid0(SALU_CYCLE_1)
	s_add_u32 s18, s6, s4
	s_addc_u32 s19, s7, s5
.LBB189_4:
	s_waitcnt lgkmcnt(0)
	v_cmp_eq_f64_e64 s4, s[34:35], 0
	v_cmp_neq_f64_e64 s42, s[34:35], 0
	s_load_b128 s[8:11], s[0:1], 0x60
	s_mov_b64 s[40:41], 0
	s_delay_alu instid0(VALU_DEP_2)
	s_and_b32 vcc_lo, exec_lo, s4
	s_cbranch_vccnz .LBB189_6
; %bb.5:
	s_waitcnt lgkmcnt(0)
	s_mul_i32 s4, s12, s9
	s_mul_hi_u32 s5, s12, s8
	s_delay_alu instid0(SALU_CYCLE_1) | instskip(SKIP_1) | instid1(SALU_CYCLE_1)
	s_add_i32 s5, s5, s4
	s_mul_i32 s4, s12, s8
	s_lshl_b64 s[4:5], s[4:5], 3
	s_delay_alu instid0(SALU_CYCLE_1)
	s_add_u32 s40, s2, s4
	s_addc_u32 s41, s3, s5
.LBB189_6:
	s_clause 0x1
	s_load_b128 s[36:39], s[0:1], 0x0
	s_load_b32 s16, s[0:1], 0x20
	s_mov_b32 s2, 0
	v_cmp_eq_f64_e64 s13, s[20:21], 0
	s_mov_b32 s3, s2
	s_delay_alu instid0(SALU_CYCLE_1) | instskip(SKIP_2) | instid1(VALU_DEP_3)
	v_dual_mov_b32 v5, s3 :: v_dual_and_b32 v84, 0x3ff, v0
	v_mov_b32_e32 v4, s2
	v_bfe_u32 v85, v0, 10, 10
	v_and_b32_e32 v86, 3, v84
	v_lshrrev_b32_e32 v0, 2, v84
	s_delay_alu instid0(VALU_DEP_1) | instskip(SKIP_2) | instid1(SALU_CYCLE_1)
	v_add_nc_u32_e32 v10, v0, v85
	s_waitcnt lgkmcnt(0)
	s_add_i32 s2, s36, -1
	s_ashr_i32 s3, s2, 31
	s_delay_alu instid0(SALU_CYCLE_1) | instskip(NEXT) | instid1(SALU_CYCLE_1)
	s_lshr_b32 s3, s3, 25
	s_add_i32 s2, s2, s3
	s_delay_alu instid0(SALU_CYCLE_1) | instskip(NEXT) | instid1(SALU_CYCLE_1)
	s_ashr_i32 s2, s2, 7
	s_add_i32 s3, s2, 1
	s_not_b32 s2, s2
	v_cvt_f32_u32_e32 v1, s3
	s_delay_alu instid0(VALU_DEP_1)
	v_rcp_iflag_f32_e32 v1, v1
	s_waitcnt_depctr 0xfff
	v_mul_f32_e32 v1, 0x4f7ffffe, v1
	s_clause 0xd
	scratch_store_b64 off, v[4:5], off
	scratch_store_b64 off, v[4:5], off offset:8
	scratch_store_b64 off, v[4:5], off offset:16
	;; [unrolled: 1-line block ×13, first 2 shown]
	v_cvt_u32_f32_e32 v1, v1
	s_clause 0xe
	scratch_store_b64 off, v[4:5], off offset:112
	scratch_store_b64 off, v[4:5], off offset:120
	;; [unrolled: 1-line block ×15, first 2 shown]
	v_readfirstlane_b32 s4, v1
	s_clause 0xd
	scratch_store_b64 off, v[4:5], off offset:232
	scratch_store_b64 off, v[4:5], off offset:240
	;; [unrolled: 1-line block ×14, first 2 shown]
	s_mul_i32 s2, s2, s4
	s_clause 0x3
	scratch_store_b64 off, v[4:5], off offset:344
	scratch_store_b64 off, v[4:5], off offset:352
	;; [unrolled: 1-line block ×4, first 2 shown]
	s_mul_hi_u32 s2, s4, s2
	s_clause 0x1
	scratch_store_b64 off, v[4:5], off offset:376
	scratch_store_b64 off, v[4:5], off offset:384
	s_add_i32 s4, s4, s2
	s_clause 0x3
	scratch_store_b64 off, v[4:5], off offset:392
	scratch_store_b64 off, v[4:5], off offset:400
	;; [unrolled: 1-line block ×4, first 2 shown]
	s_mul_hi_u32 s2, s14, s4
	scratch_store_b64 off, v[4:5], off offset:424
	s_mul_i32 s4, s2, s3
	s_add_i32 s5, s2, 1
	s_sub_i32 s4, s14, s4
	s_clause 0x3
	scratch_store_b64 off, v[4:5], off offset:432
	scratch_store_b64 off, v[4:5], off offset:440
	scratch_store_b64 off, v[4:5], off offset:448
	scratch_store_b64 off, v[4:5], off offset:456
	s_sub_i32 s6, s4, s3
	s_cmp_ge_u32 s4, s3
	s_clause 0x1
	scratch_store_b64 off, v[4:5], off offset:464
	scratch_store_b64 off, v[4:5], off offset:472
	s_cselect_b32 s2, s5, s2
	s_cselect_b32 s4, s6, s4
	s_add_i32 s5, s2, 1
	s_cmp_ge_u32 s4, s3
	s_clause 0x3
	scratch_store_b64 off, v[4:5], off offset:480
	scratch_store_b64 off, v[4:5], off offset:488
	;; [unrolled: 1-line block ×4, first 2 shown]
	s_cselect_b32 s5, s5, s2
	s_delay_alu instid0(SALU_CYCLE_1) | instskip(NEXT) | instid1(SALU_CYCLE_1)
	s_mul_i32 s2, s5, s3
	s_sub_i32 s2, s14, s2
	s_add_i32 s14, s38, -1
	s_lshl_b32 s8, s2, 7
	v_min_i32_e32 v0, s14, v86
	s_delay_alu instid0(VALU_DEP_1) | instskip(NEXT) | instid1(VALU_DEP_1)
	v_ashrrev_i32_e32 v1, 31, v0
	v_lshlrev_b64 v[6:7], 3, v[0:1]
	v_mov_b32_e32 v0, 0
	v_mov_b32_e32 v1, 0
	v_cmp_le_i32_e32 vcc_lo, s38, v86
	s_delay_alu instid0(VALU_DEP_4) | instskip(NEXT) | instid1(VALU_DEP_3)
	v_add_co_u32 v8, s3, s22, v6
	v_dual_mov_b32 v3, v1 :: v_dual_add_nc_u32 v76, s8, v10
	v_add_co_ci_u32_e64 v9, s3, s23, v7, s3
	v_mov_b32_e32 v2, v0
	s_delay_alu instid0(VALU_DEP_3) | instskip(NEXT) | instid1(VALU_DEP_1)
	v_cmp_le_i32_e64 s2, s36, v76
	s_or_b32 s3, vcc_lo, s2
	s_delay_alu instid0(SALU_CYCLE_1) | instskip(NEXT) | instid1(SALU_CYCLE_1)
	s_or_b32 s3, s13, s3
	s_xor_b32 s3, s3, -1
	s_delay_alu instid0(SALU_CYCLE_1)
	s_and_saveexec_b32 s4, s3
	s_cbranch_execz .LBB189_8
; %bb.7:
	v_mad_i64_i32 v[2:3], null, v76, s16, 0
	s_delay_alu instid0(VALU_DEP_1) | instskip(NEXT) | instid1(VALU_DEP_1)
	v_lshlrev_b64 v[2:3], 3, v[2:3]
	v_add_co_u32 v2, s3, v8, v2
	s_delay_alu instid0(VALU_DEP_1)
	v_add_co_ci_u32_e64 v3, s3, v9, v3, s3
	flat_load_b64 v[2:3], v[2:3]
	s_waitcnt vmcnt(0) lgkmcnt(0)
	v_mul_f64 v[2:3], s[20:21], v[2:3]
.LBB189_8:
	s_or_b32 exec_lo, exec_lo, s4
	v_add_nc_u32_e32 v77, 64, v76
	v_dual_mov_b32 v5, v1 :: v_dual_mov_b32 v4, v0
	s_delay_alu instid0(VALU_DEP_2) | instskip(NEXT) | instid1(VALU_DEP_1)
	v_cmp_le_i32_e64 s3, s36, v77
	s_or_b32 s4, vcc_lo, s3
	s_delay_alu instid0(SALU_CYCLE_1) | instskip(NEXT) | instid1(SALU_CYCLE_1)
	s_or_b32 s4, s13, s4
	s_xor_b32 s4, s4, -1
	s_delay_alu instid0(SALU_CYCLE_1)
	s_and_saveexec_b32 s6, s4
	s_cbranch_execz .LBB189_10
; %bb.9:
	v_mad_i64_i32 v[4:5], null, v77, s16, 0
	s_delay_alu instid0(VALU_DEP_1) | instskip(NEXT) | instid1(VALU_DEP_1)
	v_lshlrev_b64 v[4:5], 3, v[4:5]
	v_add_co_u32 v4, s4, v8, v4
	s_delay_alu instid0(VALU_DEP_1)
	v_add_co_ci_u32_e64 v5, s4, v9, v5, s4
	flat_load_b64 v[4:5], v[4:5]
	s_waitcnt vmcnt(0) lgkmcnt(0)
	v_mul_f64 v[4:5], s[20:21], v[4:5]
.LBB189_10:
	s_or_b32 exec_lo, exec_lo, s6
	s_load_b32 s17, s[0:1], 0x38
	s_lshl_b32 s9, s5, 7
	v_add_co_u32 v8, s5, s18, v6
	v_add_nc_u32_e32 v78, s9, v10
	v_add_co_ci_u32_e64 v9, s5, s19, v7, s5
	s_delay_alu instid0(VALU_DEP_2) | instskip(NEXT) | instid1(VALU_DEP_1)
	v_cmp_le_i32_e64 s4, s37, v78
	s_or_b32 s6, vcc_lo, s4
	s_delay_alu instid0(SALU_CYCLE_1) | instskip(NEXT) | instid1(SALU_CYCLE_1)
	s_or_b32 s5, s13, s6
	s_xor_b32 s5, s5, -1
	s_delay_alu instid0(SALU_CYCLE_1)
	s_and_saveexec_b32 s6, s5
	s_cbranch_execz .LBB189_12
; %bb.11:
	s_waitcnt lgkmcnt(0)
	v_mad_i64_i32 v[0:1], null, v78, s17, 0
	s_delay_alu instid0(VALU_DEP_1) | instskip(NEXT) | instid1(VALU_DEP_1)
	v_lshlrev_b64 v[0:1], 3, v[0:1]
	v_add_co_u32 v0, s5, v8, v0
	s_delay_alu instid0(VALU_DEP_1)
	v_add_co_ci_u32_e64 v1, s5, v9, v1, s5
	flat_load_b64 v[0:1], v[0:1]
	s_waitcnt vmcnt(0) lgkmcnt(0)
	v_mul_f64 v[0:1], s[20:21], v[0:1]
.LBB189_12:
	s_or_b32 exec_lo, exec_lo, s6
	v_dual_mov_b32 v68, 0 :: v_dual_add_nc_u32 v79, 64, v78
	v_mov_b32_e32 v69, 0
	s_delay_alu instid0(VALU_DEP_2) | instskip(NEXT) | instid1(VALU_DEP_3)
	v_mov_b32_e32 v6, v68
	v_cmp_le_i32_e64 s5, s37, v79
	s_delay_alu instid0(VALU_DEP_3) | instskip(NEXT) | instid1(VALU_DEP_2)
	v_mov_b32_e32 v7, v69
	s_or_b32 s6, vcc_lo, s5
	s_delay_alu instid0(SALU_CYCLE_1) | instskip(NEXT) | instid1(SALU_CYCLE_1)
	s_or_b32 s6, s13, s6
	s_xor_b32 s7, s6, -1
	s_delay_alu instid0(SALU_CYCLE_1)
	s_and_saveexec_b32 s6, s7
	s_cbranch_execz .LBB189_14
; %bb.13:
	s_waitcnt lgkmcnt(0)
	v_mad_i64_i32 v[6:7], null, v79, s17, 0
	s_delay_alu instid0(VALU_DEP_1) | instskip(NEXT) | instid1(VALU_DEP_1)
	v_lshlrev_b64 v[6:7], 3, v[6:7]
	v_add_co_u32 v6, vcc_lo, v8, v6
	s_delay_alu instid0(VALU_DEP_2)
	v_add_co_ci_u32_e32 v7, vcc_lo, v9, v7, vcc_lo
	flat_load_b64 v[6:7], v[6:7]
	s_waitcnt vmcnt(0) lgkmcnt(0)
	v_mul_f64 v[6:7], s[20:21], v[6:7]
.LBB189_14:
	s_or_b32 exec_lo, exec_lo, s6
	v_or_b32_e32 v11, 4, v86
	s_delay_alu instid0(VALU_DEP_1) | instskip(SKIP_1) | instid1(VALU_DEP_2)
	v_min_i32_e32 v8, s14, v11
	v_cmp_le_i32_e32 vcc_lo, s38, v11
	v_ashrrev_i32_e32 v9, 31, v8
	s_or_b32 s7, vcc_lo, s2
	s_delay_alu instid0(VALU_DEP_1) | instskip(NEXT) | instid1(VALU_DEP_1)
	v_lshlrev_b64 v[8:9], 3, v[8:9]
	v_add_co_u32 v11, s6, s22, v8
	s_delay_alu instid0(VALU_DEP_1) | instskip(SKIP_1) | instid1(SALU_CYCLE_1)
	v_add_co_ci_u32_e64 v12, s6, s23, v9, s6
	s_or_b32 s6, s13, s7
	s_xor_b32 s6, s6, -1
	s_delay_alu instid0(SALU_CYCLE_1)
	s_and_saveexec_b32 s7, s6
	s_cbranch_execz .LBB189_16
; %bb.15:
	v_mad_i64_i32 v[13:14], null, v76, s16, 0
	s_delay_alu instid0(VALU_DEP_1) | instskip(NEXT) | instid1(VALU_DEP_1)
	v_lshlrev_b64 v[13:14], 3, v[13:14]
	v_add_co_u32 v13, s6, v11, v13
	s_delay_alu instid0(VALU_DEP_1)
	v_add_co_ci_u32_e64 v14, s6, v12, v14, s6
	flat_load_b64 v[13:14], v[13:14]
	s_waitcnt vmcnt(0) lgkmcnt(0)
	v_mul_f64 v[68:69], s[20:21], v[13:14]
.LBB189_16:
	s_or_b32 exec_lo, exec_lo, s7
	v_mov_b32_e32 v70, 0
	v_mov_b32_e32 v71, 0
	s_or_b32 s6, vcc_lo, s3
	s_delay_alu instid0(SALU_CYCLE_1) | instskip(NEXT) | instid1(SALU_CYCLE_1)
	s_or_b32 s6, s13, s6
	s_xor_b32 s6, s6, -1
	s_delay_alu instid0(VALU_DEP_1)
	v_dual_mov_b32 v73, v71 :: v_dual_mov_b32 v72, v70
	s_and_saveexec_b32 s7, s6
	s_cbranch_execz .LBB189_18
; %bb.17:
	v_mad_i64_i32 v[13:14], null, v77, s16, 0
	s_delay_alu instid0(VALU_DEP_1) | instskip(NEXT) | instid1(VALU_DEP_1)
	v_lshlrev_b64 v[13:14], 3, v[13:14]
	v_add_co_u32 v11, s6, v11, v13
	s_delay_alu instid0(VALU_DEP_1)
	v_add_co_ci_u32_e64 v12, s6, v12, v14, s6
	flat_load_b64 v[11:12], v[11:12]
	s_waitcnt vmcnt(0) lgkmcnt(0)
	v_mul_f64 v[72:73], s[20:21], v[11:12]
.LBB189_18:
	s_or_b32 exec_lo, exec_lo, s7
	v_add_co_u32 v8, s6, s18, v8
	s_or_b32 s7, vcc_lo, s4
	v_add_co_ci_u32_e64 v9, s6, s19, v9, s6
	s_or_b32 s6, s13, s7
	s_delay_alu instid0(SALU_CYCLE_1) | instskip(NEXT) | instid1(SALU_CYCLE_1)
	s_xor_b32 s6, s6, -1
	s_and_saveexec_b32 s7, s6
	s_cbranch_execz .LBB189_20
; %bb.19:
	s_waitcnt lgkmcnt(0)
	v_mad_i64_i32 v[11:12], null, v78, s17, 0
	s_delay_alu instid0(VALU_DEP_1) | instskip(NEXT) | instid1(VALU_DEP_1)
	v_lshlrev_b64 v[11:12], 3, v[11:12]
	v_add_co_u32 v11, s6, v8, v11
	s_delay_alu instid0(VALU_DEP_1)
	v_add_co_ci_u32_e64 v12, s6, v9, v12, s6
	flat_load_b64 v[11:12], v[11:12]
	s_waitcnt vmcnt(0) lgkmcnt(0)
	v_mul_f64 v[70:71], s[20:21], v[11:12]
.LBB189_20:
	s_or_b32 exec_lo, exec_lo, s7
	s_or_b32 s6, vcc_lo, s5
	v_mov_b32_e32 v74, 0
	v_mov_b32_e32 v75, 0
	s_or_b32 s6, s13, s6
	s_delay_alu instid0(SALU_CYCLE_1) | instskip(NEXT) | instid1(SALU_CYCLE_1)
	s_xor_b32 s7, s6, -1
	s_and_saveexec_b32 s6, s7
	s_cbranch_execz .LBB189_22
; %bb.21:
	s_waitcnt lgkmcnt(0)
	v_mad_i64_i32 v[11:12], null, v79, s17, 0
	s_delay_alu instid0(VALU_DEP_1) | instskip(NEXT) | instid1(VALU_DEP_1)
	v_lshlrev_b64 v[11:12], 3, v[11:12]
	v_add_co_u32 v8, vcc_lo, v8, v11
	s_delay_alu instid0(VALU_DEP_2)
	v_add_co_ci_u32_e32 v9, vcc_lo, v9, v12, vcc_lo
	flat_load_b64 v[8:9], v[8:9]
	s_waitcnt vmcnt(0) lgkmcnt(0)
	v_mul_f64 v[74:75], s[20:21], v[8:9]
.LBB189_22:
	s_or_b32 exec_lo, exec_lo, s6
	v_dual_mov_b32 v81, 8 :: v_dual_lshlrev_b32 v8, 3, v86
	v_dual_mov_b32 v80, 0 :: v_dual_lshlrev_b32 v87, 5, v84
	;; [unrolled: 1-line block ×3, first 2 shown]
	s_delay_alu instid0(VALU_DEP_3) | instskip(NEXT) | instid1(VALU_DEP_3)
	v_lshl_or_b32 v88, v10, 5, v8
	v_dual_mov_b32 v83, 24 :: v_dual_add_nc_u32 v48, 0x800, v87
	s_delay_alu instid0(VALU_DEP_3)
	v_dual_mov_b32 v92, 32 :: v_dual_add_nc_u32 v91, 0x2000, v89
	ds_store_2addr_stride64_b64 v88, v[2:3], v[4:5] offset1:4
	ds_store_2addr_stride64_b64 v88, v[0:1], v[6:7] offset0:16 offset1:20
	s_waitcnt lgkmcnt(0)
	s_waitcnt_vscnt null, 0x0
	s_barrier
	buffer_gl0_inv
	ds_load_2addr_b64 v[0:3], v87 offset1:16
	ds_load_2addr_b64 v[4:7], v87 offset0:32 offset1:48
	ds_load_2addr_b64 v[8:11], v87 offset0:64 offset1:80
	;; [unrolled: 1-line block ×4, first 2 shown]
	ds_load_2addr_b64 v[20:23], v48 offset1:16
	ds_load_2addr_b64 v[24:27], v48 offset0:32 offset1:48
	ds_load_2addr_b64 v[28:31], v48 offset0:64 offset1:80
	;; [unrolled: 1-line block ×10, first 2 shown]
	ds_load_2addr_stride64_b64 v[64:67], v89 offset0:16 offset1:20
	v_dual_mov_b32 v93, 40 :: v_dual_add_nc_u32 v90, 0x2000, v88
	v_dual_mov_b32 v94, 48 :: v_dual_mov_b32 v95, 56
	v_dual_mov_b32 v96, 64 :: v_dual_mov_b32 v97, 0x48
	v_mov_b32_e32 v98, 0x50
	v_mov_b32_e32 v99, 0x58
	;; [unrolled: 1-line block ×22, first 2 shown]
	s_mov_b64 s[6:7], 0
	s_mov_b32 s15, -1
.LBB189_23:                             ; =>This Inner Loop Header: Depth=1
	scratch_load_b64 v[120:121], v80, off
	scratch_load_b64 v[122:123], v81, off
	;; [unrolled: 1-line block ×32, first 2 shown]
	s_cmp_eq_u32 s6, 1
	s_waitcnt lgkmcnt(16)
	v_max_f64 v[186:187], v[0:1], v[0:1]
	s_cselect_b32 vcc_lo, -1, 0
	v_max_f64 v[188:189], v[2:3], v[2:3]
	s_waitcnt lgkmcnt(0)
	v_dual_cndmask_b32 v185, v65, v67 :: v_dual_cndmask_b32 v184, v64, v66
	v_max_f64 v[190:191], v[4:5], v[4:5]
	v_max_f64 v[192:193], v[6:7], v[6:7]
	;; [unrolled: 1-line block ×31, first 2 shown]
	s_mov_b64 s[6:7], 1
	s_and_b32 vcc_lo, exec_lo, s15
	s_mov_b32 s15, 0
	v_min_f64 v[186:187], v[186:187], v[184:185]
	v_min_f64 v[188:189], v[188:189], v[184:185]
	;; [unrolled: 1-line block ×32, first 2 shown]
	s_waitcnt vmcnt(31)
	v_add_f64 v[120:121], v[120:121], v[186:187]
	s_waitcnt vmcnt(30)
	v_add_f64 v[122:123], v[188:189], v[122:123]
	;; [unrolled: 2-line block ×32, first 2 shown]
	scratch_store_b64 v80, v[120:121], off
	scratch_store_b64 v81, v[122:123], off
	;; [unrolled: 1-line block ×32, first 2 shown]
	v_mov_b32_e32 v80, 0x100
	v_mov_b32_e32 v81, 0x108
	;; [unrolled: 1-line block ×32, first 2 shown]
	s_cbranch_vccnz .LBB189_23
; %bb.24:
	v_dual_mov_b32 v81, 8 :: v_dual_add_nc_u32 v60, 0x800, v87
	ds_load_2addr_b64 v[0:3], v87 offset0:1 offset1:17
	ds_load_2addr_b64 v[4:7], v87 offset0:33 offset1:49
	ds_load_2addr_b64 v[8:11], v87 offset0:65 offset1:81
	ds_load_2addr_b64 v[12:15], v87 offset0:97 offset1:113
	ds_load_2addr_b64 v[16:19], v87 offset0:129 offset1:145
	ds_load_2addr_b64 v[20:23], v87 offset0:161 offset1:177
	ds_load_2addr_b64 v[24:27], v87 offset0:193 offset1:209
	ds_load_2addr_b64 v[28:31], v87 offset0:225 offset1:241
	ds_load_2addr_b64 v[32:35], v60 offset0:1 offset1:17
	ds_load_2addr_b64 v[36:39], v60 offset0:33 offset1:49
	ds_load_2addr_b64 v[40:43], v60 offset0:65 offset1:81
	ds_load_2addr_b64 v[44:47], v60 offset0:97 offset1:113
	v_dual_mov_b32 v83, 24 :: v_dual_add_nc_u32 v64, 8, v91
	ds_load_2addr_b64 v[48:51], v60 offset0:129 offset1:145
	ds_load_2addr_b64 v[52:55], v60 offset0:161 offset1:177
	;; [unrolled: 1-line block ×4, first 2 shown]
	ds_load_2addr_stride64_b64 v[64:67], v64 offset1:4
	v_dual_mov_b32 v80, 0 :: v_dual_mov_b32 v93, 40
	v_dual_mov_b32 v82, 16 :: v_dual_mov_b32 v95, 56
	;; [unrolled: 1-line block ×5, first 2 shown]
	v_mov_b32_e32 v98, 0x50
	v_mov_b32_e32 v100, 0x60
	;; [unrolled: 1-line block ×20, first 2 shown]
	s_mov_b64 s[6:7], 0
	s_mov_b32 s15, -1
.LBB189_25:                             ; =>This Inner Loop Header: Depth=1
	scratch_load_b64 v[120:121], v80, off
	scratch_load_b64 v[122:123], v81, off
	;; [unrolled: 1-line block ×32, first 2 shown]
	s_cmp_eq_u32 s6, 1
	s_waitcnt lgkmcnt(16)
	v_max_f64 v[186:187], v[0:1], v[0:1]
	s_cselect_b32 vcc_lo, -1, 0
	v_max_f64 v[188:189], v[2:3], v[2:3]
	s_waitcnt lgkmcnt(0)
	v_dual_cndmask_b32 v185, v65, v67 :: v_dual_cndmask_b32 v184, v64, v66
	v_max_f64 v[190:191], v[4:5], v[4:5]
	v_max_f64 v[192:193], v[6:7], v[6:7]
	;; [unrolled: 1-line block ×31, first 2 shown]
	s_mov_b64 s[6:7], 1
	s_and_b32 vcc_lo, exec_lo, s15
	s_mov_b32 s15, 0
	v_min_f64 v[186:187], v[186:187], v[184:185]
	v_min_f64 v[188:189], v[188:189], v[184:185]
	;; [unrolled: 1-line block ×32, first 2 shown]
	s_waitcnt vmcnt(31)
	v_add_f64 v[120:121], v[120:121], v[186:187]
	s_waitcnt vmcnt(30)
	v_add_f64 v[122:123], v[188:189], v[122:123]
	;; [unrolled: 2-line block ×32, first 2 shown]
	scratch_store_b64 v80, v[120:121], off
	scratch_store_b64 v81, v[122:123], off
	scratch_store_b64 v82, v[124:125], off
	scratch_store_b64 v83, v[126:127], off
	scratch_store_b64 v92, v[128:129], off
	scratch_store_b64 v93, v[130:131], off
	scratch_store_b64 v94, v[132:133], off
	scratch_store_b64 v95, v[134:135], off
	scratch_store_b64 v96, v[136:137], off
	scratch_store_b64 v97, v[138:139], off
	scratch_store_b64 v98, v[140:141], off
	scratch_store_b64 v99, v[142:143], off
	scratch_store_b64 v100, v[144:145], off
	scratch_store_b64 v101, v[146:147], off
	scratch_store_b64 v102, v[148:149], off
	scratch_store_b64 v103, v[150:151], off
	scratch_store_b64 v104, v[152:153], off
	scratch_store_b64 v105, v[154:155], off
	scratch_store_b64 v106, v[156:157], off
	scratch_store_b64 v107, v[158:159], off
	scratch_store_b64 v108, v[160:161], off
	scratch_store_b64 v109, v[162:163], off
	scratch_store_b64 v110, v[164:165], off
	scratch_store_b64 v111, v[166:167], off
	scratch_store_b64 v112, v[168:169], off
	scratch_store_b64 v113, v[170:171], off
	scratch_store_b64 v114, v[172:173], off
	scratch_store_b64 v115, v[174:175], off
	scratch_store_b64 v116, v[176:177], off
	scratch_store_b64 v117, v[178:179], off
	scratch_store_b64 v118, v[180:181], off
	scratch_store_b64 v119, v[182:183], off
	v_mov_b32_e32 v80, 0x100
	v_mov_b32_e32 v81, 0x108
	;; [unrolled: 1-line block ×32, first 2 shown]
	s_cbranch_vccnz .LBB189_25
; %bb.26:
	v_dual_mov_b32 v81, 8 :: v_dual_add_nc_u32 v60, 0x800, v87
	ds_load_2addr_b64 v[0:3], v87 offset0:2 offset1:18
	ds_load_2addr_b64 v[4:7], v87 offset0:34 offset1:50
	;; [unrolled: 1-line block ×12, first 2 shown]
	v_dual_mov_b32 v83, 24 :: v_dual_add_nc_u32 v64, 16, v91
	ds_load_2addr_b64 v[48:51], v60 offset0:130 offset1:146
	ds_load_2addr_b64 v[52:55], v60 offset0:162 offset1:178
	;; [unrolled: 1-line block ×4, first 2 shown]
	ds_load_2addr_stride64_b64 v[64:67], v64 offset1:4
	v_dual_mov_b32 v80, 0 :: v_dual_mov_b32 v93, 40
	v_dual_mov_b32 v82, 16 :: v_dual_mov_b32 v95, 56
	;; [unrolled: 1-line block ×5, first 2 shown]
	v_mov_b32_e32 v98, 0x50
	v_mov_b32_e32 v100, 0x60
	;; [unrolled: 1-line block ×20, first 2 shown]
	s_mov_b64 s[6:7], 0
	s_mov_b32 s15, -1
.LBB189_27:                             ; =>This Inner Loop Header: Depth=1
	scratch_load_b64 v[120:121], v80, off
	scratch_load_b64 v[122:123], v81, off
	;; [unrolled: 1-line block ×32, first 2 shown]
	s_cmp_eq_u32 s6, 1
	s_waitcnt lgkmcnt(16)
	v_max_f64 v[186:187], v[0:1], v[0:1]
	s_cselect_b32 vcc_lo, -1, 0
	v_max_f64 v[188:189], v[2:3], v[2:3]
	s_waitcnt lgkmcnt(0)
	v_dual_cndmask_b32 v185, v65, v67 :: v_dual_cndmask_b32 v184, v64, v66
	v_max_f64 v[190:191], v[4:5], v[4:5]
	v_max_f64 v[192:193], v[6:7], v[6:7]
	;; [unrolled: 1-line block ×31, first 2 shown]
	s_mov_b64 s[6:7], 1
	s_and_b32 vcc_lo, exec_lo, s15
	s_mov_b32 s15, 0
	v_min_f64 v[186:187], v[186:187], v[184:185]
	v_min_f64 v[188:189], v[188:189], v[184:185]
	;; [unrolled: 1-line block ×32, first 2 shown]
	s_waitcnt vmcnt(31)
	v_add_f64 v[120:121], v[120:121], v[186:187]
	s_waitcnt vmcnt(30)
	v_add_f64 v[122:123], v[188:189], v[122:123]
	;; [unrolled: 2-line block ×32, first 2 shown]
	scratch_store_b64 v80, v[120:121], off
	scratch_store_b64 v81, v[122:123], off
	;; [unrolled: 1-line block ×32, first 2 shown]
	v_mov_b32_e32 v80, 0x100
	v_mov_b32_e32 v81, 0x108
	;; [unrolled: 1-line block ×32, first 2 shown]
	s_cbranch_vccnz .LBB189_27
; %bb.28:
	v_dual_mov_b32 v81, 8 :: v_dual_add_nc_u32 v60, 0x800, v87
	ds_load_2addr_b64 v[0:3], v87 offset0:3 offset1:19
	ds_load_2addr_b64 v[4:7], v87 offset0:35 offset1:51
	;; [unrolled: 1-line block ×12, first 2 shown]
	v_dual_mov_b32 v83, 24 :: v_dual_add_nc_u32 v64, 24, v91
	ds_load_2addr_b64 v[48:51], v60 offset0:131 offset1:147
	ds_load_2addr_b64 v[52:55], v60 offset0:163 offset1:179
	;; [unrolled: 1-line block ×4, first 2 shown]
	ds_load_2addr_stride64_b64 v[64:67], v64 offset1:4
	v_dual_mov_b32 v80, 0 :: v_dual_mov_b32 v93, 40
	v_dual_mov_b32 v82, 16 :: v_dual_mov_b32 v95, 56
	;; [unrolled: 1-line block ×5, first 2 shown]
	v_mov_b32_e32 v98, 0x50
	v_mov_b32_e32 v100, 0x60
	;; [unrolled: 1-line block ×20, first 2 shown]
	s_mov_b64 s[6:7], 0
	s_mov_b32 s15, -1
.LBB189_29:                             ; =>This Inner Loop Header: Depth=1
	scratch_load_b64 v[120:121], v80, off
	scratch_load_b64 v[122:123], v81, off
	;; [unrolled: 1-line block ×32, first 2 shown]
	s_cmp_eq_u32 s6, 1
	s_waitcnt lgkmcnt(16)
	v_max_f64 v[186:187], v[0:1], v[0:1]
	s_cselect_b32 vcc_lo, -1, 0
	v_max_f64 v[188:189], v[2:3], v[2:3]
	s_waitcnt lgkmcnt(0)
	v_dual_cndmask_b32 v185, v65, v67 :: v_dual_cndmask_b32 v184, v64, v66
	v_max_f64 v[190:191], v[4:5], v[4:5]
	v_max_f64 v[192:193], v[6:7], v[6:7]
	;; [unrolled: 1-line block ×31, first 2 shown]
	s_mov_b64 s[6:7], 1
	s_and_b32 vcc_lo, exec_lo, s15
	s_mov_b32 s15, 0
	v_min_f64 v[186:187], v[186:187], v[184:185]
	v_min_f64 v[188:189], v[188:189], v[184:185]
	;; [unrolled: 1-line block ×32, first 2 shown]
	s_waitcnt vmcnt(31)
	v_add_f64 v[120:121], v[120:121], v[186:187]
	s_waitcnt vmcnt(30)
	v_add_f64 v[122:123], v[188:189], v[122:123]
	;; [unrolled: 2-line block ×32, first 2 shown]
	scratch_store_b64 v80, v[120:121], off
	scratch_store_b64 v81, v[122:123], off
	;; [unrolled: 1-line block ×32, first 2 shown]
	v_mov_b32_e32 v80, 0x100
	v_mov_b32_e32 v81, 0x108
	;; [unrolled: 1-line block ×32, first 2 shown]
	s_cbranch_vccnz .LBB189_29
; %bb.30:
	s_cmp_gt_i32 s38, 8
	s_mov_b32 s15, 8
	ds_store_2addr_stride64_b64 v88, v[68:69], v[72:73] offset0:8 offset1:12
	ds_store_2addr_stride64_b64 v88, v[70:71], v[74:75] offset0:24 offset1:28
	s_waitcnt lgkmcnt(0)
	s_waitcnt_vscnt null, 0x0
	s_barrier
	buffer_gl0_inv
	s_cbranch_scc0 .LBB189_65
; %bb.31:
	v_mad_i64_i32 v[0:1], null, v76, s16, 0
	v_mad_i64_i32 v[2:3], null, v77, s16, 0
	;; [unrolled: 1-line block ×4, first 2 shown]
	v_lshl_add_u32 v94, v84, 5, 0x1000
	v_lshlrev_b64 v[68:69], 3, v[0:1]
	v_lshlrev_b64 v[70:71], 3, v[2:3]
	v_add_nc_u32_e32 v92, 0x1000, v88
	v_lshlrev_b64 v[72:73], 3, v[4:5]
	v_add_nc_u32_e32 v93, 0x3000, v88
	v_lshlrev_b64 v[74:75], 3, v[6:7]
	v_lshl_add_u32 v95, v85, 5, 0x3000
	v_add_nc_u32_e32 v96, 0x800, v94
	s_add_i32 s16, s38, -8
	s_mov_b32 s17, 0
.LBB189_32:                             ; =>This Loop Header: Depth=1
                                        ;     Child Loop BB189_41 Depth 2
                                        ;     Child Loop BB189_43 Depth 2
	;; [unrolled: 1-line block ×8, first 2 shown]
	v_or_b32_e32 v97, s15, v86
	v_mov_b32_e32 v76, 0
	v_mov_b32_e32 v77, 0
	s_delay_alu instid0(VALU_DEP_3) | instskip(SKIP_1) | instid1(VALU_DEP_3)
	v_min_i32_e32 v0, s14, v97
	v_cmp_le_i32_e32 vcc_lo, s38, v97
	v_dual_mov_b32 v79, v77 :: v_dual_mov_b32 v78, v76
	s_delay_alu instid0(VALU_DEP_3) | instskip(SKIP_1) | instid1(VALU_DEP_1)
	v_ashrrev_i32_e32 v1, 31, v0
	s_or_b32 s7, s2, vcc_lo
	v_lshlrev_b64 v[0:1], 3, v[0:1]
	s_delay_alu instid0(VALU_DEP_1) | instskip(NEXT) | instid1(VALU_DEP_1)
	v_add_co_u32 v2, s6, s22, v0
	v_add_co_ci_u32_e64 v3, s6, s23, v1, s6
	s_or_b32 s6, s13, s7
	s_delay_alu instid0(SALU_CYCLE_1) | instskip(NEXT) | instid1(SALU_CYCLE_1)
	s_xor_b32 s6, s6, -1
	s_and_saveexec_b32 s7, s6
	s_cbranch_execz .LBB189_34
; %bb.33:                               ;   in Loop: Header=BB189_32 Depth=1
	v_add_co_u32 v4, s6, v2, v68
	s_delay_alu instid0(VALU_DEP_1)
	v_add_co_ci_u32_e64 v5, s6, v3, v69, s6
	flat_load_b64 v[4:5], v[4:5]
	s_waitcnt vmcnt(0) lgkmcnt(0)
	v_mul_f64 v[78:79], s[20:21], v[4:5]
.LBB189_34:                             ;   in Loop: Header=BB189_32 Depth=1
	s_or_b32 exec_lo, exec_lo, s7
	s_or_b32 s6, s3, vcc_lo
	s_delay_alu instid0(SALU_CYCLE_1) | instskip(NEXT) | instid1(SALU_CYCLE_1)
	s_or_b32 s6, s13, s6
	s_xor_b32 s6, s6, -1
	s_delay_alu instid0(SALU_CYCLE_1)
	s_and_saveexec_b32 s7, s6
	s_cbranch_execz .LBB189_36
; %bb.35:                               ;   in Loop: Header=BB189_32 Depth=1
	v_add_co_u32 v2, s6, v2, v70
	s_delay_alu instid0(VALU_DEP_1)
	v_add_co_ci_u32_e64 v3, s6, v3, v71, s6
	flat_load_b64 v[2:3], v[2:3]
	s_waitcnt vmcnt(0) lgkmcnt(0)
	v_mul_f64 v[76:77], s[20:21], v[2:3]
.LBB189_36:                             ;   in Loop: Header=BB189_32 Depth=1
	s_or_b32 exec_lo, exec_lo, s7
	v_mov_b32_e32 v80, 0
	v_mov_b32_e32 v81, 0
	v_add_co_u32 v0, s6, s18, v0
	s_delay_alu instid0(VALU_DEP_1) | instskip(SKIP_1) | instid1(VALU_DEP_3)
	v_add_co_ci_u32_e64 v1, s6, s19, v1, s6
	s_or_b32 s6, s4, vcc_lo
	v_dual_mov_b32 v83, v81 :: v_dual_mov_b32 v82, v80
	s_or_b32 s6, s13, s6
	s_delay_alu instid0(SALU_CYCLE_1) | instskip(NEXT) | instid1(SALU_CYCLE_1)
	s_xor_b32 s6, s6, -1
	s_and_saveexec_b32 s7, s6
	s_cbranch_execz .LBB189_38
; %bb.37:                               ;   in Loop: Header=BB189_32 Depth=1
	v_add_co_u32 v2, s6, v0, v72
	s_delay_alu instid0(VALU_DEP_1)
	v_add_co_ci_u32_e64 v3, s6, v1, v73, s6
	flat_load_b64 v[2:3], v[2:3]
	s_waitcnt vmcnt(0) lgkmcnt(0)
	v_mul_f64 v[82:83], s[20:21], v[2:3]
.LBB189_38:                             ;   in Loop: Header=BB189_32 Depth=1
	s_or_b32 exec_lo, exec_lo, s7
	s_or_b32 s6, s5, vcc_lo
	s_delay_alu instid0(SALU_CYCLE_1) | instskip(NEXT) | instid1(SALU_CYCLE_1)
	s_or_b32 s6, s13, s6
	s_xor_b32 s7, s6, -1
	s_delay_alu instid0(SALU_CYCLE_1)
	s_and_saveexec_b32 s6, s7
	s_cbranch_execz .LBB189_40
; %bb.39:                               ;   in Loop: Header=BB189_32 Depth=1
	v_add_co_u32 v0, vcc_lo, v0, v74
	v_add_co_ci_u32_e32 v1, vcc_lo, v1, v75, vcc_lo
	flat_load_b64 v[0:1], v[0:1]
	s_waitcnt vmcnt(0) lgkmcnt(0)
	v_mul_f64 v[80:81], s[20:21], v[0:1]
.LBB189_40:                             ;   in Loop: Header=BB189_32 Depth=1
	s_or_b32 exec_lo, exec_lo, s6
	ds_load_2addr_b64 v[0:3], v94 offset1:16
	ds_load_2addr_b64 v[4:7], v94 offset0:32 offset1:48
	ds_load_2addr_b64 v[8:11], v94 offset0:64 offset1:80
	;; [unrolled: 1-line block ×7, first 2 shown]
	ds_load_2addr_b64 v[32:35], v96 offset1:16
	ds_load_2addr_b64 v[36:39], v96 offset0:32 offset1:48
	ds_load_2addr_b64 v[40:43], v96 offset0:64 offset1:80
	;; [unrolled: 1-line block ×7, first 2 shown]
	ds_load_2addr_stride64_b64 v[64:67], v95 offset1:4
	v_dual_mov_b32 v129, 0 :: v_dual_mov_b32 v128, 8
	v_dual_mov_b32 v127, 16 :: v_dual_mov_b32 v126, 24
	;; [unrolled: 1-line block ×5, first 2 shown]
	v_mov_b32_e32 v119, 0x50
	v_mov_b32_e32 v118, 0x58
	;; [unrolled: 1-line block ×22, first 2 shown]
	s_mov_b64 s[6:7], 0
	s_mov_b32 s24, -1
.LBB189_41:                             ;   Parent Loop BB189_32 Depth=1
                                        ; =>  This Inner Loop Header: Depth=2
	scratch_load_b64 v[134:135], v129, off
	s_cmp_eq_u32 s6, 1
	s_waitcnt lgkmcnt(16)
	v_max_f64 v[132:133], v[0:1], v[0:1]
	s_cselect_b32 vcc_lo, -1, 0
	s_mov_b64 s[6:7], 1
	s_waitcnt lgkmcnt(0)
	v_dual_cndmask_b32 v131, v65, v67 :: v_dual_cndmask_b32 v130, v64, v66
	s_and_b32 vcc_lo, exec_lo, s24
	s_mov_b32 s24, 0
	s_delay_alu instid0(VALU_DEP_1) | instskip(NEXT) | instid1(VALU_DEP_1)
	v_max_f64 v[130:131], v[130:131], v[130:131]
	v_min_f64 v[132:133], v[132:133], v[130:131]
	s_waitcnt vmcnt(0)
	s_delay_alu instid0(VALU_DEP_1) | instskip(SKIP_3) | instid1(VALU_DEP_1)
	v_add_f64 v[132:133], v[134:135], v[132:133]
	scratch_load_b64 v[134:135], v128, off
	scratch_store_b64 v129, v[132:133], off
	v_max_f64 v[132:133], v[2:3], v[2:3]
	v_min_f64 v[132:133], v[132:133], v[130:131]
	s_waitcnt vmcnt(0)
	s_delay_alu instid0(VALU_DEP_1) | instskip(SKIP_3) | instid1(VALU_DEP_1)
	v_add_f64 v[132:133], v[132:133], v[134:135]
	scratch_store_b64 v128, v[132:133], off
	scratch_load_b64 v[132:133], v127, off
	v_max_f64 v[128:129], v[4:5], v[4:5]
	v_min_f64 v[128:129], v[128:129], v[130:131]
	s_waitcnt vmcnt(0)
	s_delay_alu instid0(VALU_DEP_1) | instskip(SKIP_3) | instid1(VALU_DEP_1)
	v_add_f64 v[128:129], v[128:129], v[132:133]
	scratch_load_b64 v[132:133], v126, off
	scratch_store_b64 v127, v[128:129], off
	v_max_f64 v[127:128], v[6:7], v[6:7]
	v_min_f64 v[127:128], v[127:128], v[130:131]
	s_waitcnt vmcnt(0)
	s_delay_alu instid0(VALU_DEP_1) | instskip(SKIP_3) | instid1(VALU_DEP_1)
	v_add_f64 v[127:128], v[127:128], v[132:133]
	scratch_store_b64 v126, v[127:128], off
	scratch_load_b64 v[128:129], v125, off
	v_max_f64 v[126:127], v[8:9], v[8:9]
	v_min_f64 v[126:127], v[126:127], v[130:131]
	s_waitcnt vmcnt(0)
	s_delay_alu instid0(VALU_DEP_1) | instskip(SKIP_4) | instid1(VALU_DEP_1)
	v_add_f64 v[126:127], v[126:127], v[128:129]
	v_mov_b32_e32 v129, 0x100
	scratch_store_b64 v125, v[126:127], off
	scratch_load_b64 v[127:128], v124, off
	v_max_f64 v[125:126], v[10:11], v[10:11]
	v_min_f64 v[125:126], v[125:126], v[130:131]
	s_waitcnt vmcnt(0)
	s_delay_alu instid0(VALU_DEP_1) | instskip(SKIP_4) | instid1(VALU_DEP_1)
	v_add_f64 v[125:126], v[125:126], v[127:128]
	v_mov_b32_e32 v128, 0x108
	;; [unrolled: 8-line block ×27, first 2 shown]
	scratch_store_b64 v99, v[100:101], off
	scratch_load_b64 v[101:102], v98, off
	v_max_f64 v[99:100], v[62:63], v[62:63]
	v_min_f64 v[99:100], v[99:100], v[130:131]
	s_waitcnt vmcnt(0)
	s_delay_alu instid0(VALU_DEP_1)
	v_add_f64 v[99:100], v[99:100], v[101:102]
	v_mov_b32_e32 v102, 0x1d8
	v_mov_b32_e32 v101, 0x1e0
	scratch_store_b64 v98, v[99:100], off
	v_mov_b32_e32 v100, 0x1e8
	v_mov_b32_e32 v99, 0x1f0
	;; [unrolled: 1-line block ×3, first 2 shown]
	s_cbranch_vccnz .LBB189_41
; %bb.42:                               ;   in Loop: Header=BB189_32 Depth=1
	ds_load_2addr_b64 v[0:3], v94 offset0:1 offset1:17
	ds_load_2addr_b64 v[4:7], v94 offset0:33 offset1:49
	;; [unrolled: 1-line block ×12, first 2 shown]
	v_dual_mov_b32 v129, 0 :: v_dual_add_nc_u32 v64, 8, v95
	ds_load_2addr_b64 v[48:51], v96 offset0:129 offset1:145
	ds_load_2addr_b64 v[52:55], v96 offset0:161 offset1:177
	;; [unrolled: 1-line block ×4, first 2 shown]
	ds_load_2addr_stride64_b64 v[64:67], v64 offset1:4
	v_dual_mov_b32 v128, 8 :: v_dual_mov_b32 v127, 16
	v_dual_mov_b32 v126, 24 :: v_dual_mov_b32 v125, 32
	;; [unrolled: 1-line block ×4, first 2 shown]
	v_mov_b32_e32 v120, 0x48
	v_mov_b32_e32 v119, 0x50
	;; [unrolled: 1-line block ×23, first 2 shown]
	s_mov_b64 s[6:7], 0
	s_mov_b32 s24, -1
.LBB189_43:                             ;   Parent Loop BB189_32 Depth=1
                                        ; =>  This Inner Loop Header: Depth=2
	scratch_load_b64 v[134:135], v129, off
	s_cmp_eq_u32 s6, 1
	s_waitcnt lgkmcnt(16)
	v_max_f64 v[132:133], v[0:1], v[0:1]
	s_cselect_b32 vcc_lo, -1, 0
	s_mov_b64 s[6:7], 1
	s_waitcnt lgkmcnt(0)
	v_dual_cndmask_b32 v131, v65, v67 :: v_dual_cndmask_b32 v130, v64, v66
	s_and_b32 vcc_lo, exec_lo, s24
	s_mov_b32 s24, 0
	s_delay_alu instid0(VALU_DEP_1) | instskip(NEXT) | instid1(VALU_DEP_1)
	v_max_f64 v[130:131], v[130:131], v[130:131]
	v_min_f64 v[132:133], v[132:133], v[130:131]
	s_waitcnt vmcnt(0)
	s_delay_alu instid0(VALU_DEP_1) | instskip(SKIP_3) | instid1(VALU_DEP_1)
	v_add_f64 v[132:133], v[134:135], v[132:133]
	scratch_load_b64 v[134:135], v128, off
	scratch_store_b64 v129, v[132:133], off
	v_max_f64 v[132:133], v[2:3], v[2:3]
	v_min_f64 v[132:133], v[132:133], v[130:131]
	s_waitcnt vmcnt(0)
	s_delay_alu instid0(VALU_DEP_1) | instskip(SKIP_3) | instid1(VALU_DEP_1)
	v_add_f64 v[132:133], v[132:133], v[134:135]
	scratch_store_b64 v128, v[132:133], off
	scratch_load_b64 v[132:133], v127, off
	v_max_f64 v[128:129], v[4:5], v[4:5]
	v_min_f64 v[128:129], v[128:129], v[130:131]
	s_waitcnt vmcnt(0)
	s_delay_alu instid0(VALU_DEP_1) | instskip(SKIP_3) | instid1(VALU_DEP_1)
	v_add_f64 v[128:129], v[128:129], v[132:133]
	scratch_load_b64 v[132:133], v126, off
	scratch_store_b64 v127, v[128:129], off
	v_max_f64 v[127:128], v[6:7], v[6:7]
	v_min_f64 v[127:128], v[127:128], v[130:131]
	s_waitcnt vmcnt(0)
	s_delay_alu instid0(VALU_DEP_1) | instskip(SKIP_3) | instid1(VALU_DEP_1)
	v_add_f64 v[127:128], v[127:128], v[132:133]
	scratch_store_b64 v126, v[127:128], off
	scratch_load_b64 v[128:129], v125, off
	v_max_f64 v[126:127], v[8:9], v[8:9]
	v_min_f64 v[126:127], v[126:127], v[130:131]
	s_waitcnt vmcnt(0)
	s_delay_alu instid0(VALU_DEP_1) | instskip(SKIP_4) | instid1(VALU_DEP_1)
	v_add_f64 v[126:127], v[126:127], v[128:129]
	v_mov_b32_e32 v129, 0x100
	scratch_store_b64 v125, v[126:127], off
	scratch_load_b64 v[127:128], v124, off
	v_max_f64 v[125:126], v[10:11], v[10:11]
	v_min_f64 v[125:126], v[125:126], v[130:131]
	s_waitcnt vmcnt(0)
	s_delay_alu instid0(VALU_DEP_1) | instskip(SKIP_4) | instid1(VALU_DEP_1)
	v_add_f64 v[125:126], v[125:126], v[127:128]
	v_mov_b32_e32 v128, 0x108
	;; [unrolled: 8-line block ×27, first 2 shown]
	scratch_store_b64 v99, v[100:101], off
	scratch_load_b64 v[101:102], v98, off
	v_max_f64 v[99:100], v[62:63], v[62:63]
	v_min_f64 v[99:100], v[99:100], v[130:131]
	s_waitcnt vmcnt(0)
	s_delay_alu instid0(VALU_DEP_1)
	v_add_f64 v[99:100], v[99:100], v[101:102]
	v_mov_b32_e32 v102, 0x1d8
	v_mov_b32_e32 v101, 0x1e0
	scratch_store_b64 v98, v[99:100], off
	v_mov_b32_e32 v100, 0x1e8
	v_mov_b32_e32 v99, 0x1f0
	;; [unrolled: 1-line block ×3, first 2 shown]
	s_cbranch_vccnz .LBB189_43
; %bb.44:                               ;   in Loop: Header=BB189_32 Depth=1
	ds_load_2addr_b64 v[0:3], v94 offset0:2 offset1:18
	ds_load_2addr_b64 v[4:7], v94 offset0:34 offset1:50
	;; [unrolled: 1-line block ×12, first 2 shown]
	v_dual_mov_b32 v129, 0 :: v_dual_add_nc_u32 v64, 16, v95
	ds_load_2addr_b64 v[48:51], v96 offset0:130 offset1:146
	ds_load_2addr_b64 v[52:55], v96 offset0:162 offset1:178
	;; [unrolled: 1-line block ×4, first 2 shown]
	ds_load_2addr_stride64_b64 v[64:67], v64 offset1:4
	v_dual_mov_b32 v128, 8 :: v_dual_mov_b32 v127, 16
	v_dual_mov_b32 v126, 24 :: v_dual_mov_b32 v125, 32
	;; [unrolled: 1-line block ×4, first 2 shown]
	v_mov_b32_e32 v120, 0x48
	v_mov_b32_e32 v119, 0x50
	;; [unrolled: 1-line block ×23, first 2 shown]
	s_mov_b64 s[6:7], 0
	s_mov_b32 s24, -1
.LBB189_45:                             ;   Parent Loop BB189_32 Depth=1
                                        ; =>  This Inner Loop Header: Depth=2
	scratch_load_b64 v[134:135], v129, off
	s_cmp_eq_u32 s6, 1
	s_waitcnt lgkmcnt(16)
	v_max_f64 v[132:133], v[0:1], v[0:1]
	s_cselect_b32 vcc_lo, -1, 0
	s_mov_b64 s[6:7], 1
	s_waitcnt lgkmcnt(0)
	v_dual_cndmask_b32 v131, v65, v67 :: v_dual_cndmask_b32 v130, v64, v66
	s_and_b32 vcc_lo, exec_lo, s24
	s_mov_b32 s24, 0
	s_delay_alu instid0(VALU_DEP_1) | instskip(NEXT) | instid1(VALU_DEP_1)
	v_max_f64 v[130:131], v[130:131], v[130:131]
	v_min_f64 v[132:133], v[132:133], v[130:131]
	s_waitcnt vmcnt(0)
	s_delay_alu instid0(VALU_DEP_1) | instskip(SKIP_3) | instid1(VALU_DEP_1)
	v_add_f64 v[132:133], v[134:135], v[132:133]
	scratch_load_b64 v[134:135], v128, off
	scratch_store_b64 v129, v[132:133], off
	v_max_f64 v[132:133], v[2:3], v[2:3]
	v_min_f64 v[132:133], v[132:133], v[130:131]
	s_waitcnt vmcnt(0)
	s_delay_alu instid0(VALU_DEP_1) | instskip(SKIP_3) | instid1(VALU_DEP_1)
	v_add_f64 v[132:133], v[132:133], v[134:135]
	scratch_store_b64 v128, v[132:133], off
	scratch_load_b64 v[132:133], v127, off
	v_max_f64 v[128:129], v[4:5], v[4:5]
	v_min_f64 v[128:129], v[128:129], v[130:131]
	s_waitcnt vmcnt(0)
	s_delay_alu instid0(VALU_DEP_1) | instskip(SKIP_3) | instid1(VALU_DEP_1)
	v_add_f64 v[128:129], v[128:129], v[132:133]
	scratch_load_b64 v[132:133], v126, off
	scratch_store_b64 v127, v[128:129], off
	v_max_f64 v[127:128], v[6:7], v[6:7]
	v_min_f64 v[127:128], v[127:128], v[130:131]
	s_waitcnt vmcnt(0)
	s_delay_alu instid0(VALU_DEP_1) | instskip(SKIP_3) | instid1(VALU_DEP_1)
	v_add_f64 v[127:128], v[127:128], v[132:133]
	scratch_store_b64 v126, v[127:128], off
	scratch_load_b64 v[128:129], v125, off
	v_max_f64 v[126:127], v[8:9], v[8:9]
	v_min_f64 v[126:127], v[126:127], v[130:131]
	s_waitcnt vmcnt(0)
	s_delay_alu instid0(VALU_DEP_1) | instskip(SKIP_4) | instid1(VALU_DEP_1)
	v_add_f64 v[126:127], v[126:127], v[128:129]
	v_mov_b32_e32 v129, 0x100
	scratch_store_b64 v125, v[126:127], off
	scratch_load_b64 v[127:128], v124, off
	v_max_f64 v[125:126], v[10:11], v[10:11]
	v_min_f64 v[125:126], v[125:126], v[130:131]
	s_waitcnt vmcnt(0)
	s_delay_alu instid0(VALU_DEP_1) | instskip(SKIP_4) | instid1(VALU_DEP_1)
	v_add_f64 v[125:126], v[125:126], v[127:128]
	v_mov_b32_e32 v128, 0x108
	;; [unrolled: 8-line block ×27, first 2 shown]
	scratch_store_b64 v99, v[100:101], off
	scratch_load_b64 v[101:102], v98, off
	v_max_f64 v[99:100], v[62:63], v[62:63]
	v_min_f64 v[99:100], v[99:100], v[130:131]
	s_waitcnt vmcnt(0)
	s_delay_alu instid0(VALU_DEP_1)
	v_add_f64 v[99:100], v[99:100], v[101:102]
	v_mov_b32_e32 v102, 0x1d8
	v_mov_b32_e32 v101, 0x1e0
	scratch_store_b64 v98, v[99:100], off
	v_mov_b32_e32 v100, 0x1e8
	v_mov_b32_e32 v99, 0x1f0
	;; [unrolled: 1-line block ×3, first 2 shown]
	s_cbranch_vccnz .LBB189_45
; %bb.46:                               ;   in Loop: Header=BB189_32 Depth=1
	ds_load_2addr_b64 v[0:3], v94 offset0:3 offset1:19
	ds_load_2addr_b64 v[4:7], v94 offset0:35 offset1:51
	;; [unrolled: 1-line block ×12, first 2 shown]
	v_dual_mov_b32 v129, 0 :: v_dual_add_nc_u32 v64, 24, v95
	ds_load_2addr_b64 v[48:51], v96 offset0:131 offset1:147
	ds_load_2addr_b64 v[52:55], v96 offset0:163 offset1:179
	ds_load_2addr_b64 v[56:59], v96 offset0:195 offset1:211
	ds_load_2addr_b64 v[60:63], v96 offset0:227 offset1:243
	ds_load_2addr_stride64_b64 v[64:67], v64 offset1:4
	v_dual_mov_b32 v128, 8 :: v_dual_mov_b32 v127, 16
	v_dual_mov_b32 v126, 24 :: v_dual_mov_b32 v125, 32
	;; [unrolled: 1-line block ×4, first 2 shown]
	v_mov_b32_e32 v120, 0x48
	v_mov_b32_e32 v119, 0x50
	;; [unrolled: 1-line block ×23, first 2 shown]
	s_mov_b64 s[6:7], 0
	s_mov_b32 s24, -1
.LBB189_47:                             ;   Parent Loop BB189_32 Depth=1
                                        ; =>  This Inner Loop Header: Depth=2
	scratch_load_b64 v[134:135], v129, off
	s_cmp_eq_u32 s6, 1
	s_waitcnt lgkmcnt(16)
	v_max_f64 v[132:133], v[0:1], v[0:1]
	s_cselect_b32 vcc_lo, -1, 0
	s_mov_b64 s[6:7], 1
	s_waitcnt lgkmcnt(0)
	v_dual_cndmask_b32 v131, v65, v67 :: v_dual_cndmask_b32 v130, v64, v66
	s_and_b32 vcc_lo, exec_lo, s24
	s_mov_b32 s24, 0
	s_delay_alu instid0(VALU_DEP_1) | instskip(NEXT) | instid1(VALU_DEP_1)
	v_max_f64 v[130:131], v[130:131], v[130:131]
	v_min_f64 v[132:133], v[132:133], v[130:131]
	s_waitcnt vmcnt(0)
	s_delay_alu instid0(VALU_DEP_1) | instskip(SKIP_3) | instid1(VALU_DEP_1)
	v_add_f64 v[132:133], v[134:135], v[132:133]
	scratch_load_b64 v[134:135], v128, off
	scratch_store_b64 v129, v[132:133], off
	v_max_f64 v[132:133], v[2:3], v[2:3]
	v_min_f64 v[132:133], v[132:133], v[130:131]
	s_waitcnt vmcnt(0)
	s_delay_alu instid0(VALU_DEP_1) | instskip(SKIP_3) | instid1(VALU_DEP_1)
	v_add_f64 v[132:133], v[132:133], v[134:135]
	scratch_store_b64 v128, v[132:133], off
	scratch_load_b64 v[132:133], v127, off
	v_max_f64 v[128:129], v[4:5], v[4:5]
	v_min_f64 v[128:129], v[128:129], v[130:131]
	s_waitcnt vmcnt(0)
	s_delay_alu instid0(VALU_DEP_1) | instskip(SKIP_3) | instid1(VALU_DEP_1)
	v_add_f64 v[128:129], v[128:129], v[132:133]
	scratch_load_b64 v[132:133], v126, off
	scratch_store_b64 v127, v[128:129], off
	v_max_f64 v[127:128], v[6:7], v[6:7]
	v_min_f64 v[127:128], v[127:128], v[130:131]
	s_waitcnt vmcnt(0)
	s_delay_alu instid0(VALU_DEP_1) | instskip(SKIP_3) | instid1(VALU_DEP_1)
	v_add_f64 v[127:128], v[127:128], v[132:133]
	scratch_store_b64 v126, v[127:128], off
	scratch_load_b64 v[128:129], v125, off
	v_max_f64 v[126:127], v[8:9], v[8:9]
	v_min_f64 v[126:127], v[126:127], v[130:131]
	s_waitcnt vmcnt(0)
	s_delay_alu instid0(VALU_DEP_1) | instskip(SKIP_4) | instid1(VALU_DEP_1)
	v_add_f64 v[126:127], v[126:127], v[128:129]
	v_mov_b32_e32 v129, 0x100
	scratch_store_b64 v125, v[126:127], off
	scratch_load_b64 v[127:128], v124, off
	v_max_f64 v[125:126], v[10:11], v[10:11]
	v_min_f64 v[125:126], v[125:126], v[130:131]
	s_waitcnt vmcnt(0)
	s_delay_alu instid0(VALU_DEP_1) | instskip(SKIP_4) | instid1(VALU_DEP_1)
	v_add_f64 v[125:126], v[125:126], v[127:128]
	v_mov_b32_e32 v128, 0x108
	;; [unrolled: 8-line block ×27, first 2 shown]
	scratch_store_b64 v99, v[100:101], off
	scratch_load_b64 v[101:102], v98, off
	v_max_f64 v[99:100], v[62:63], v[62:63]
	v_min_f64 v[99:100], v[99:100], v[130:131]
	s_waitcnt vmcnt(0)
	s_delay_alu instid0(VALU_DEP_1)
	v_add_f64 v[99:100], v[99:100], v[101:102]
	v_mov_b32_e32 v102, 0x1d8
	v_mov_b32_e32 v101, 0x1e0
	scratch_store_b64 v98, v[99:100], off
	v_mov_b32_e32 v100, 0x1e8
	v_mov_b32_e32 v99, 0x1f0
	;; [unrolled: 1-line block ×3, first 2 shown]
	s_cbranch_vccnz .LBB189_47
; %bb.48:                               ;   in Loop: Header=BB189_32 Depth=1
	v_or_b32_e32 v2, 4, v97
	ds_store_2addr_stride64_b64 v88, v[78:79], v[76:77] offset1:4
	v_mov_b32_e32 v76, 0
	v_mov_b32_e32 v77, 0
	ds_store_2addr_stride64_b64 v90, v[82:83], v[80:81] offset1:4
	v_min_i32_e32 v0, s14, v2
	v_cmp_le_i32_e32 vcc_lo, s38, v2
	s_waitcnt lgkmcnt(0)
	s_waitcnt_vscnt null, 0x0
	v_dual_mov_b32 v79, v77 :: v_dual_mov_b32 v78, v76
	v_ashrrev_i32_e32 v1, 31, v0
	s_or_b32 s7, s2, vcc_lo
	s_barrier
	buffer_gl0_inv
	v_lshlrev_b64 v[0:1], 3, v[0:1]
	s_delay_alu instid0(VALU_DEP_1) | instskip(NEXT) | instid1(VALU_DEP_1)
	v_add_co_u32 v2, s6, s22, v0
	v_add_co_ci_u32_e64 v3, s6, s23, v1, s6
	s_or_b32 s6, s13, s7
	s_delay_alu instid0(SALU_CYCLE_1) | instskip(NEXT) | instid1(SALU_CYCLE_1)
	s_xor_b32 s6, s6, -1
	s_and_saveexec_b32 s7, s6
	s_delay_alu instid0(SALU_CYCLE_1)
	s_xor_b32 s7, exec_lo, s7
	s_cbranch_execz .LBB189_50
; %bb.49:                               ;   in Loop: Header=BB189_32 Depth=1
	v_add_co_u32 v4, s6, v2, v68
	s_delay_alu instid0(VALU_DEP_1)
	v_add_co_ci_u32_e64 v5, s6, v3, v69, s6
	flat_load_b64 v[4:5], v[4:5]
	s_waitcnt vmcnt(0) lgkmcnt(0)
	v_mul_f64 v[78:79], s[20:21], v[4:5]
.LBB189_50:                             ;   in Loop: Header=BB189_32 Depth=1
	s_or_b32 exec_lo, exec_lo, s7
	s_or_b32 s6, s3, vcc_lo
	s_delay_alu instid0(SALU_CYCLE_1) | instskip(NEXT) | instid1(SALU_CYCLE_1)
	s_or_b32 s6, s13, s6
	s_xor_b32 s6, s6, -1
	s_delay_alu instid0(SALU_CYCLE_1)
	s_and_saveexec_b32 s7, s6
	s_cbranch_execz .LBB189_52
; %bb.51:                               ;   in Loop: Header=BB189_32 Depth=1
	v_add_co_u32 v2, s6, v2, v70
	s_delay_alu instid0(VALU_DEP_1)
	v_add_co_ci_u32_e64 v3, s6, v3, v71, s6
	flat_load_b64 v[2:3], v[2:3]
	s_waitcnt vmcnt(0) lgkmcnt(0)
	v_mul_f64 v[76:77], s[20:21], v[2:3]
.LBB189_52:                             ;   in Loop: Header=BB189_32 Depth=1
	s_or_b32 exec_lo, exec_lo, s7
	v_mov_b32_e32 v80, 0
	v_mov_b32_e32 v81, 0
	v_add_co_u32 v0, s6, s18, v0
	s_delay_alu instid0(VALU_DEP_1) | instskip(SKIP_1) | instid1(VALU_DEP_3)
	v_add_co_ci_u32_e64 v1, s6, s19, v1, s6
	s_or_b32 s6, s4, vcc_lo
	v_dual_mov_b32 v83, v81 :: v_dual_mov_b32 v82, v80
	s_or_b32 s6, s13, s6
	s_delay_alu instid0(SALU_CYCLE_1) | instskip(NEXT) | instid1(SALU_CYCLE_1)
	s_xor_b32 s6, s6, -1
	s_and_saveexec_b32 s7, s6
	s_cbranch_execz .LBB189_54
; %bb.53:                               ;   in Loop: Header=BB189_32 Depth=1
	v_add_co_u32 v2, s6, v0, v72
	s_delay_alu instid0(VALU_DEP_1)
	v_add_co_ci_u32_e64 v3, s6, v1, v73, s6
	flat_load_b64 v[2:3], v[2:3]
	s_waitcnt vmcnt(0) lgkmcnt(0)
	v_mul_f64 v[82:83], s[20:21], v[2:3]
.LBB189_54:                             ;   in Loop: Header=BB189_32 Depth=1
	s_or_b32 exec_lo, exec_lo, s7
	s_or_b32 s6, s5, vcc_lo
	s_delay_alu instid0(SALU_CYCLE_1) | instskip(NEXT) | instid1(SALU_CYCLE_1)
	s_or_b32 s6, s13, s6
	s_xor_b32 s7, s6, -1
	s_delay_alu instid0(SALU_CYCLE_1)
	s_and_saveexec_b32 s6, s7
	s_cbranch_execz .LBB189_56
; %bb.55:                               ;   in Loop: Header=BB189_32 Depth=1
	v_add_co_u32 v0, vcc_lo, v0, v74
	v_add_co_ci_u32_e32 v1, vcc_lo, v1, v75, vcc_lo
	flat_load_b64 v[0:1], v[0:1]
	s_waitcnt vmcnt(0) lgkmcnt(0)
	v_mul_f64 v[80:81], s[20:21], v[0:1]
.LBB189_56:                             ;   in Loop: Header=BB189_32 Depth=1
	s_or_b32 exec_lo, exec_lo, s6
	v_dual_mov_b32 v128, 8 :: v_dual_add_nc_u32 v97, 0x800, v87
	ds_load_2addr_b64 v[0:3], v87 offset1:16
	ds_load_2addr_b64 v[4:7], v87 offset0:32 offset1:48
	ds_load_2addr_b64 v[8:11], v87 offset0:64 offset1:80
	;; [unrolled: 1-line block ×7, first 2 shown]
	ds_load_2addr_b64 v[32:35], v97 offset1:16
	ds_load_2addr_b64 v[36:39], v97 offset0:32 offset1:48
	ds_load_2addr_b64 v[40:43], v97 offset0:64 offset1:80
	;; [unrolled: 1-line block ×7, first 2 shown]
	ds_load_2addr_stride64_b64 v[64:67], v91 offset1:4
	v_dual_mov_b32 v129, 0 :: v_dual_mov_b32 v126, 24
	v_dual_mov_b32 v127, 16 :: v_dual_mov_b32 v124, 40
	;; [unrolled: 1-line block ×5, first 2 shown]
	v_mov_b32_e32 v119, 0x50
	v_mov_b32_e32 v117, 0x60
	;; [unrolled: 1-line block ×21, first 2 shown]
	s_mov_b64 s[6:7], 0
	s_mov_b32 s24, -1
.LBB189_57:                             ;   Parent Loop BB189_32 Depth=1
                                        ; =>  This Inner Loop Header: Depth=2
	scratch_load_b64 v[134:135], v129, off
	s_cmp_eq_u32 s6, 1
	s_waitcnt lgkmcnt(16)
	v_max_f64 v[132:133], v[0:1], v[0:1]
	s_cselect_b32 vcc_lo, -1, 0
	s_mov_b64 s[6:7], 1
	s_waitcnt lgkmcnt(0)
	v_dual_cndmask_b32 v131, v65, v67 :: v_dual_cndmask_b32 v130, v64, v66
	s_and_b32 vcc_lo, exec_lo, s24
	s_mov_b32 s24, 0
	s_delay_alu instid0(VALU_DEP_1) | instskip(NEXT) | instid1(VALU_DEP_1)
	v_max_f64 v[130:131], v[130:131], v[130:131]
	v_min_f64 v[132:133], v[132:133], v[130:131]
	s_waitcnt vmcnt(0)
	s_delay_alu instid0(VALU_DEP_1) | instskip(SKIP_3) | instid1(VALU_DEP_1)
	v_add_f64 v[132:133], v[134:135], v[132:133]
	scratch_load_b64 v[134:135], v128, off
	scratch_store_b64 v129, v[132:133], off
	v_max_f64 v[132:133], v[2:3], v[2:3]
	v_min_f64 v[132:133], v[132:133], v[130:131]
	s_waitcnt vmcnt(0)
	s_delay_alu instid0(VALU_DEP_1) | instskip(SKIP_3) | instid1(VALU_DEP_1)
	v_add_f64 v[132:133], v[132:133], v[134:135]
	scratch_store_b64 v128, v[132:133], off
	scratch_load_b64 v[132:133], v127, off
	v_max_f64 v[128:129], v[4:5], v[4:5]
	v_min_f64 v[128:129], v[128:129], v[130:131]
	s_waitcnt vmcnt(0)
	s_delay_alu instid0(VALU_DEP_1) | instskip(SKIP_3) | instid1(VALU_DEP_1)
	v_add_f64 v[128:129], v[128:129], v[132:133]
	scratch_load_b64 v[132:133], v126, off
	scratch_store_b64 v127, v[128:129], off
	v_max_f64 v[127:128], v[6:7], v[6:7]
	v_min_f64 v[127:128], v[127:128], v[130:131]
	s_waitcnt vmcnt(0)
	s_delay_alu instid0(VALU_DEP_1) | instskip(SKIP_3) | instid1(VALU_DEP_1)
	v_add_f64 v[127:128], v[127:128], v[132:133]
	scratch_store_b64 v126, v[127:128], off
	scratch_load_b64 v[128:129], v125, off
	v_max_f64 v[126:127], v[8:9], v[8:9]
	v_min_f64 v[126:127], v[126:127], v[130:131]
	s_waitcnt vmcnt(0)
	s_delay_alu instid0(VALU_DEP_1) | instskip(SKIP_4) | instid1(VALU_DEP_1)
	v_add_f64 v[126:127], v[126:127], v[128:129]
	v_mov_b32_e32 v129, 0x100
	scratch_store_b64 v125, v[126:127], off
	scratch_load_b64 v[127:128], v124, off
	v_max_f64 v[125:126], v[10:11], v[10:11]
	v_min_f64 v[125:126], v[125:126], v[130:131]
	s_waitcnt vmcnt(0)
	s_delay_alu instid0(VALU_DEP_1) | instskip(SKIP_4) | instid1(VALU_DEP_1)
	v_add_f64 v[125:126], v[125:126], v[127:128]
	v_mov_b32_e32 v128, 0x108
	;; [unrolled: 8-line block ×27, first 2 shown]
	scratch_store_b64 v99, v[100:101], off
	scratch_load_b64 v[101:102], v98, off
	v_max_f64 v[99:100], v[62:63], v[62:63]
	v_min_f64 v[99:100], v[99:100], v[130:131]
	s_waitcnt vmcnt(0)
	s_delay_alu instid0(VALU_DEP_1)
	v_add_f64 v[99:100], v[99:100], v[101:102]
	v_mov_b32_e32 v102, 0x1d8
	v_mov_b32_e32 v101, 0x1e0
	scratch_store_b64 v98, v[99:100], off
	v_mov_b32_e32 v100, 0x1e8
	v_mov_b32_e32 v99, 0x1f0
	;; [unrolled: 1-line block ×3, first 2 shown]
	s_cbranch_vccnz .LBB189_57
; %bb.58:                               ;   in Loop: Header=BB189_32 Depth=1
	ds_load_2addr_b64 v[0:3], v87 offset0:1 offset1:17
	ds_load_2addr_b64 v[4:7], v87 offset0:33 offset1:49
	ds_load_2addr_b64 v[8:11], v87 offset0:65 offset1:81
	ds_load_2addr_b64 v[12:15], v87 offset0:97 offset1:113
	ds_load_2addr_b64 v[16:19], v87 offset0:129 offset1:145
	ds_load_2addr_b64 v[20:23], v87 offset0:161 offset1:177
	ds_load_2addr_b64 v[24:27], v87 offset0:193 offset1:209
	ds_load_2addr_b64 v[28:31], v87 offset0:225 offset1:241
	ds_load_2addr_b64 v[32:35], v97 offset0:1 offset1:17
	ds_load_2addr_b64 v[36:39], v97 offset0:33 offset1:49
	ds_load_2addr_b64 v[40:43], v97 offset0:65 offset1:81
	ds_load_2addr_b64 v[44:47], v97 offset0:97 offset1:113
	v_dual_mov_b32 v129, 0 :: v_dual_add_nc_u32 v64, 8, v91
	ds_load_2addr_b64 v[48:51], v97 offset0:129 offset1:145
	ds_load_2addr_b64 v[52:55], v97 offset0:161 offset1:177
	;; [unrolled: 1-line block ×4, first 2 shown]
	ds_load_2addr_stride64_b64 v[64:67], v64 offset1:4
	v_dual_mov_b32 v128, 8 :: v_dual_mov_b32 v127, 16
	v_dual_mov_b32 v126, 24 :: v_dual_mov_b32 v125, 32
	;; [unrolled: 1-line block ×4, first 2 shown]
	v_mov_b32_e32 v120, 0x48
	v_mov_b32_e32 v119, 0x50
	;; [unrolled: 1-line block ×23, first 2 shown]
	s_mov_b64 s[6:7], 0
	s_mov_b32 s24, -1
.LBB189_59:                             ;   Parent Loop BB189_32 Depth=1
                                        ; =>  This Inner Loop Header: Depth=2
	scratch_load_b64 v[134:135], v129, off
	s_cmp_eq_u32 s6, 1
	s_waitcnt lgkmcnt(16)
	v_max_f64 v[132:133], v[0:1], v[0:1]
	s_cselect_b32 vcc_lo, -1, 0
	s_mov_b64 s[6:7], 1
	s_waitcnt lgkmcnt(0)
	v_dual_cndmask_b32 v131, v65, v67 :: v_dual_cndmask_b32 v130, v64, v66
	s_and_b32 vcc_lo, exec_lo, s24
	s_mov_b32 s24, 0
	s_delay_alu instid0(VALU_DEP_1) | instskip(NEXT) | instid1(VALU_DEP_1)
	v_max_f64 v[130:131], v[130:131], v[130:131]
	v_min_f64 v[132:133], v[132:133], v[130:131]
	s_waitcnt vmcnt(0)
	s_delay_alu instid0(VALU_DEP_1) | instskip(SKIP_3) | instid1(VALU_DEP_1)
	v_add_f64 v[132:133], v[134:135], v[132:133]
	scratch_load_b64 v[134:135], v128, off
	scratch_store_b64 v129, v[132:133], off
	v_max_f64 v[132:133], v[2:3], v[2:3]
	v_min_f64 v[132:133], v[132:133], v[130:131]
	s_waitcnt vmcnt(0)
	s_delay_alu instid0(VALU_DEP_1) | instskip(SKIP_3) | instid1(VALU_DEP_1)
	v_add_f64 v[132:133], v[132:133], v[134:135]
	scratch_store_b64 v128, v[132:133], off
	scratch_load_b64 v[132:133], v127, off
	v_max_f64 v[128:129], v[4:5], v[4:5]
	v_min_f64 v[128:129], v[128:129], v[130:131]
	s_waitcnt vmcnt(0)
	s_delay_alu instid0(VALU_DEP_1) | instskip(SKIP_3) | instid1(VALU_DEP_1)
	v_add_f64 v[128:129], v[128:129], v[132:133]
	scratch_load_b64 v[132:133], v126, off
	scratch_store_b64 v127, v[128:129], off
	v_max_f64 v[127:128], v[6:7], v[6:7]
	v_min_f64 v[127:128], v[127:128], v[130:131]
	s_waitcnt vmcnt(0)
	s_delay_alu instid0(VALU_DEP_1) | instskip(SKIP_3) | instid1(VALU_DEP_1)
	v_add_f64 v[127:128], v[127:128], v[132:133]
	scratch_store_b64 v126, v[127:128], off
	scratch_load_b64 v[128:129], v125, off
	v_max_f64 v[126:127], v[8:9], v[8:9]
	v_min_f64 v[126:127], v[126:127], v[130:131]
	s_waitcnt vmcnt(0)
	s_delay_alu instid0(VALU_DEP_1) | instskip(SKIP_4) | instid1(VALU_DEP_1)
	v_add_f64 v[126:127], v[126:127], v[128:129]
	v_mov_b32_e32 v129, 0x100
	scratch_store_b64 v125, v[126:127], off
	scratch_load_b64 v[127:128], v124, off
	v_max_f64 v[125:126], v[10:11], v[10:11]
	v_min_f64 v[125:126], v[125:126], v[130:131]
	s_waitcnt vmcnt(0)
	s_delay_alu instid0(VALU_DEP_1) | instskip(SKIP_4) | instid1(VALU_DEP_1)
	v_add_f64 v[125:126], v[125:126], v[127:128]
	v_mov_b32_e32 v128, 0x108
	scratch_store_b64 v124, v[125:126], off
	scratch_load_b64 v[126:127], v123, off
	v_max_f64 v[124:125], v[12:13], v[12:13]
	v_min_f64 v[124:125], v[124:125], v[130:131]
	s_waitcnt vmcnt(0)
	s_delay_alu instid0(VALU_DEP_1) | instskip(SKIP_4) | instid1(VALU_DEP_1)
	v_add_f64 v[124:125], v[124:125], v[126:127]
	v_mov_b32_e32 v127, 0x110
	scratch_store_b64 v123, v[124:125], off
	scratch_load_b64 v[125:126], v122, off
	v_max_f64 v[123:124], v[14:15], v[14:15]
	v_min_f64 v[123:124], v[123:124], v[130:131]
	s_waitcnt vmcnt(0)
	s_delay_alu instid0(VALU_DEP_1) | instskip(SKIP_4) | instid1(VALU_DEP_1)
	v_add_f64 v[123:124], v[123:124], v[125:126]
	v_mov_b32_e32 v126, 0x118
	scratch_store_b64 v122, v[123:124], off
	scratch_load_b64 v[124:125], v121, off
	v_max_f64 v[122:123], v[16:17], v[16:17]
	v_min_f64 v[122:123], v[122:123], v[130:131]
	s_waitcnt vmcnt(0)
	s_delay_alu instid0(VALU_DEP_1) | instskip(SKIP_4) | instid1(VALU_DEP_1)
	v_add_f64 v[122:123], v[122:123], v[124:125]
	v_mov_b32_e32 v125, 0x120
	scratch_store_b64 v121, v[122:123], off
	scratch_load_b64 v[123:124], v120, off
	v_max_f64 v[121:122], v[18:19], v[18:19]
	v_min_f64 v[121:122], v[121:122], v[130:131]
	s_waitcnt vmcnt(0)
	s_delay_alu instid0(VALU_DEP_1) | instskip(SKIP_4) | instid1(VALU_DEP_1)
	v_add_f64 v[121:122], v[121:122], v[123:124]
	v_mov_b32_e32 v124, 0x128
	scratch_store_b64 v120, v[121:122], off
	scratch_load_b64 v[122:123], v119, off
	v_max_f64 v[120:121], v[20:21], v[20:21]
	v_min_f64 v[120:121], v[120:121], v[130:131]
	s_waitcnt vmcnt(0)
	s_delay_alu instid0(VALU_DEP_1) | instskip(SKIP_4) | instid1(VALU_DEP_1)
	v_add_f64 v[120:121], v[120:121], v[122:123]
	v_mov_b32_e32 v123, 0x130
	scratch_store_b64 v119, v[120:121], off
	scratch_load_b64 v[121:122], v118, off
	v_max_f64 v[119:120], v[22:23], v[22:23]
	v_min_f64 v[119:120], v[119:120], v[130:131]
	s_waitcnt vmcnt(0)
	s_delay_alu instid0(VALU_DEP_1) | instskip(SKIP_4) | instid1(VALU_DEP_1)
	v_add_f64 v[119:120], v[119:120], v[121:122]
	v_mov_b32_e32 v122, 0x138
	scratch_store_b64 v118, v[119:120], off
	scratch_load_b64 v[120:121], v117, off
	v_max_f64 v[118:119], v[24:25], v[24:25]
	v_min_f64 v[118:119], v[118:119], v[130:131]
	s_waitcnt vmcnt(0)
	s_delay_alu instid0(VALU_DEP_1) | instskip(SKIP_4) | instid1(VALU_DEP_1)
	v_add_f64 v[118:119], v[118:119], v[120:121]
	v_mov_b32_e32 v121, 0x140
	scratch_store_b64 v117, v[118:119], off
	scratch_load_b64 v[119:120], v116, off
	v_max_f64 v[117:118], v[26:27], v[26:27]
	v_min_f64 v[117:118], v[117:118], v[130:131]
	s_waitcnt vmcnt(0)
	s_delay_alu instid0(VALU_DEP_1) | instskip(SKIP_4) | instid1(VALU_DEP_1)
	v_add_f64 v[117:118], v[117:118], v[119:120]
	v_mov_b32_e32 v120, 0x148
	scratch_store_b64 v116, v[117:118], off
	scratch_load_b64 v[118:119], v115, off
	v_max_f64 v[116:117], v[28:29], v[28:29]
	v_min_f64 v[116:117], v[116:117], v[130:131]
	s_waitcnt vmcnt(0)
	s_delay_alu instid0(VALU_DEP_1) | instskip(SKIP_4) | instid1(VALU_DEP_1)
	v_add_f64 v[116:117], v[116:117], v[118:119]
	v_mov_b32_e32 v119, 0x150
	scratch_store_b64 v115, v[116:117], off
	scratch_load_b64 v[117:118], v114, off
	v_max_f64 v[115:116], v[30:31], v[30:31]
	v_min_f64 v[115:116], v[115:116], v[130:131]
	s_waitcnt vmcnt(0)
	s_delay_alu instid0(VALU_DEP_1) | instskip(SKIP_4) | instid1(VALU_DEP_1)
	v_add_f64 v[115:116], v[115:116], v[117:118]
	v_mov_b32_e32 v118, 0x158
	scratch_store_b64 v114, v[115:116], off
	scratch_load_b64 v[116:117], v113, off
	v_max_f64 v[114:115], v[32:33], v[32:33]
	v_min_f64 v[114:115], v[114:115], v[130:131]
	s_waitcnt vmcnt(0)
	s_delay_alu instid0(VALU_DEP_1) | instskip(SKIP_4) | instid1(VALU_DEP_1)
	v_add_f64 v[114:115], v[114:115], v[116:117]
	v_mov_b32_e32 v117, 0x160
	scratch_store_b64 v113, v[114:115], off
	scratch_load_b64 v[115:116], v112, off
	v_max_f64 v[113:114], v[34:35], v[34:35]
	v_min_f64 v[113:114], v[113:114], v[130:131]
	s_waitcnt vmcnt(0)
	s_delay_alu instid0(VALU_DEP_1) | instskip(SKIP_4) | instid1(VALU_DEP_1)
	v_add_f64 v[113:114], v[113:114], v[115:116]
	v_mov_b32_e32 v116, 0x168
	scratch_store_b64 v112, v[113:114], off
	scratch_load_b64 v[114:115], v111, off
	v_max_f64 v[112:113], v[36:37], v[36:37]
	v_min_f64 v[112:113], v[112:113], v[130:131]
	s_waitcnt vmcnt(0)
	s_delay_alu instid0(VALU_DEP_1) | instskip(SKIP_4) | instid1(VALU_DEP_1)
	v_add_f64 v[112:113], v[112:113], v[114:115]
	v_mov_b32_e32 v115, 0x170
	scratch_store_b64 v111, v[112:113], off
	scratch_load_b64 v[113:114], v110, off
	v_max_f64 v[111:112], v[38:39], v[38:39]
	v_min_f64 v[111:112], v[111:112], v[130:131]
	s_waitcnt vmcnt(0)
	s_delay_alu instid0(VALU_DEP_1) | instskip(SKIP_4) | instid1(VALU_DEP_1)
	v_add_f64 v[111:112], v[111:112], v[113:114]
	v_mov_b32_e32 v114, 0x178
	scratch_store_b64 v110, v[111:112], off
	scratch_load_b64 v[112:113], v109, off
	v_max_f64 v[110:111], v[40:41], v[40:41]
	v_min_f64 v[110:111], v[110:111], v[130:131]
	s_waitcnt vmcnt(0)
	s_delay_alu instid0(VALU_DEP_1) | instskip(SKIP_4) | instid1(VALU_DEP_1)
	v_add_f64 v[110:111], v[110:111], v[112:113]
	v_mov_b32_e32 v113, 0x180
	scratch_store_b64 v109, v[110:111], off
	scratch_load_b64 v[111:112], v108, off
	v_max_f64 v[109:110], v[42:43], v[42:43]
	v_min_f64 v[109:110], v[109:110], v[130:131]
	s_waitcnt vmcnt(0)
	s_delay_alu instid0(VALU_DEP_1) | instskip(SKIP_4) | instid1(VALU_DEP_1)
	v_add_f64 v[109:110], v[109:110], v[111:112]
	v_mov_b32_e32 v112, 0x188
	scratch_store_b64 v108, v[109:110], off
	scratch_load_b64 v[110:111], v107, off
	v_max_f64 v[108:109], v[44:45], v[44:45]
	v_min_f64 v[108:109], v[108:109], v[130:131]
	s_waitcnt vmcnt(0)
	s_delay_alu instid0(VALU_DEP_1) | instskip(SKIP_4) | instid1(VALU_DEP_1)
	v_add_f64 v[108:109], v[108:109], v[110:111]
	v_mov_b32_e32 v111, 0x190
	scratch_store_b64 v107, v[108:109], off
	scratch_load_b64 v[109:110], v106, off
	v_max_f64 v[107:108], v[46:47], v[46:47]
	v_min_f64 v[107:108], v[107:108], v[130:131]
	s_waitcnt vmcnt(0)
	s_delay_alu instid0(VALU_DEP_1) | instskip(SKIP_4) | instid1(VALU_DEP_1)
	v_add_f64 v[107:108], v[107:108], v[109:110]
	v_mov_b32_e32 v110, 0x198
	scratch_store_b64 v106, v[107:108], off
	scratch_load_b64 v[108:109], v105, off
	v_max_f64 v[106:107], v[48:49], v[48:49]
	v_min_f64 v[106:107], v[106:107], v[130:131]
	s_waitcnt vmcnt(0)
	s_delay_alu instid0(VALU_DEP_1) | instskip(SKIP_4) | instid1(VALU_DEP_1)
	v_add_f64 v[106:107], v[106:107], v[108:109]
	v_mov_b32_e32 v109, 0x1a0
	scratch_store_b64 v105, v[106:107], off
	scratch_load_b64 v[107:108], v104, off
	v_max_f64 v[105:106], v[50:51], v[50:51]
	v_min_f64 v[105:106], v[105:106], v[130:131]
	s_waitcnt vmcnt(0)
	s_delay_alu instid0(VALU_DEP_1) | instskip(SKIP_4) | instid1(VALU_DEP_1)
	v_add_f64 v[105:106], v[105:106], v[107:108]
	v_mov_b32_e32 v108, 0x1a8
	scratch_store_b64 v104, v[105:106], off
	scratch_load_b64 v[106:107], v103, off
	v_max_f64 v[104:105], v[52:53], v[52:53]
	v_min_f64 v[104:105], v[104:105], v[130:131]
	s_waitcnt vmcnt(0)
	s_delay_alu instid0(VALU_DEP_1) | instskip(SKIP_4) | instid1(VALU_DEP_1)
	v_add_f64 v[104:105], v[104:105], v[106:107]
	v_mov_b32_e32 v107, 0x1b0
	scratch_store_b64 v103, v[104:105], off
	scratch_load_b64 v[105:106], v102, off
	v_max_f64 v[103:104], v[54:55], v[54:55]
	v_min_f64 v[103:104], v[103:104], v[130:131]
	s_waitcnt vmcnt(0)
	s_delay_alu instid0(VALU_DEP_1) | instskip(SKIP_4) | instid1(VALU_DEP_1)
	v_add_f64 v[103:104], v[103:104], v[105:106]
	v_mov_b32_e32 v106, 0x1b8
	scratch_store_b64 v102, v[103:104], off
	scratch_load_b64 v[104:105], v101, off
	v_max_f64 v[102:103], v[56:57], v[56:57]
	v_min_f64 v[102:103], v[102:103], v[130:131]
	s_waitcnt vmcnt(0)
	s_delay_alu instid0(VALU_DEP_1) | instskip(SKIP_4) | instid1(VALU_DEP_1)
	v_add_f64 v[102:103], v[102:103], v[104:105]
	v_mov_b32_e32 v105, 0x1c0
	scratch_store_b64 v101, v[102:103], off
	scratch_load_b64 v[103:104], v100, off
	v_max_f64 v[101:102], v[58:59], v[58:59]
	v_min_f64 v[101:102], v[101:102], v[130:131]
	s_waitcnt vmcnt(0)
	s_delay_alu instid0(VALU_DEP_1) | instskip(SKIP_4) | instid1(VALU_DEP_1)
	v_add_f64 v[101:102], v[101:102], v[103:104]
	v_mov_b32_e32 v104, 0x1c8
	scratch_store_b64 v100, v[101:102], off
	scratch_load_b64 v[102:103], v99, off
	v_max_f64 v[100:101], v[60:61], v[60:61]
	v_min_f64 v[100:101], v[100:101], v[130:131]
	s_waitcnt vmcnt(0)
	s_delay_alu instid0(VALU_DEP_1) | instskip(SKIP_4) | instid1(VALU_DEP_1)
	v_add_f64 v[100:101], v[100:101], v[102:103]
	v_mov_b32_e32 v103, 0x1d0
	scratch_store_b64 v99, v[100:101], off
	scratch_load_b64 v[101:102], v98, off
	v_max_f64 v[99:100], v[62:63], v[62:63]
	v_min_f64 v[99:100], v[99:100], v[130:131]
	s_waitcnt vmcnt(0)
	s_delay_alu instid0(VALU_DEP_1)
	v_add_f64 v[99:100], v[99:100], v[101:102]
	v_mov_b32_e32 v102, 0x1d8
	v_mov_b32_e32 v101, 0x1e0
	scratch_store_b64 v98, v[99:100], off
	v_mov_b32_e32 v100, 0x1e8
	v_mov_b32_e32 v99, 0x1f0
	;; [unrolled: 1-line block ×3, first 2 shown]
	s_cbranch_vccnz .LBB189_59
; %bb.60:                               ;   in Loop: Header=BB189_32 Depth=1
	ds_load_2addr_b64 v[0:3], v87 offset0:2 offset1:18
	ds_load_2addr_b64 v[4:7], v87 offset0:34 offset1:50
	;; [unrolled: 1-line block ×12, first 2 shown]
	v_dual_mov_b32 v129, 0 :: v_dual_add_nc_u32 v64, 16, v91
	ds_load_2addr_b64 v[48:51], v97 offset0:130 offset1:146
	ds_load_2addr_b64 v[52:55], v97 offset0:162 offset1:178
	;; [unrolled: 1-line block ×4, first 2 shown]
	ds_load_2addr_stride64_b64 v[64:67], v64 offset1:4
	v_dual_mov_b32 v128, 8 :: v_dual_mov_b32 v127, 16
	v_dual_mov_b32 v126, 24 :: v_dual_mov_b32 v125, 32
	;; [unrolled: 1-line block ×4, first 2 shown]
	v_mov_b32_e32 v120, 0x48
	v_mov_b32_e32 v119, 0x50
	v_mov_b32_e32 v118, 0x58
	v_mov_b32_e32 v117, 0x60
	v_mov_b32_e32 v116, 0x68
	v_mov_b32_e32 v115, 0x70
	v_mov_b32_e32 v114, 0x78
	v_mov_b32_e32 v113, 0x80
	v_mov_b32_e32 v112, 0x88
	v_mov_b32_e32 v111, 0x90
	v_mov_b32_e32 v110, 0x98
	v_mov_b32_e32 v109, 0xa0
	v_mov_b32_e32 v108, 0xa8
	v_mov_b32_e32 v107, 0xb0
	v_mov_b32_e32 v106, 0xb8
	v_mov_b32_e32 v105, 0xc0
	v_mov_b32_e32 v104, 0xc8
	v_mov_b32_e32 v103, 0xd0
	v_mov_b32_e32 v102, 0xd8
	v_mov_b32_e32 v101, 0xe0
	v_mov_b32_e32 v100, 0xe8
	v_mov_b32_e32 v99, 0xf0
	v_mov_b32_e32 v98, 0xf8
	s_mov_b64 s[6:7], 0
	s_mov_b32 s24, -1
.LBB189_61:                             ;   Parent Loop BB189_32 Depth=1
                                        ; =>  This Inner Loop Header: Depth=2
	scratch_load_b64 v[134:135], v129, off
	s_cmp_eq_u32 s6, 1
	s_waitcnt lgkmcnt(16)
	v_max_f64 v[132:133], v[0:1], v[0:1]
	s_cselect_b32 vcc_lo, -1, 0
	s_mov_b64 s[6:7], 1
	s_waitcnt lgkmcnt(0)
	v_dual_cndmask_b32 v131, v65, v67 :: v_dual_cndmask_b32 v130, v64, v66
	s_and_b32 vcc_lo, exec_lo, s24
	s_mov_b32 s24, 0
	s_delay_alu instid0(VALU_DEP_1) | instskip(NEXT) | instid1(VALU_DEP_1)
	v_max_f64 v[130:131], v[130:131], v[130:131]
	v_min_f64 v[132:133], v[132:133], v[130:131]
	s_waitcnt vmcnt(0)
	s_delay_alu instid0(VALU_DEP_1) | instskip(SKIP_3) | instid1(VALU_DEP_1)
	v_add_f64 v[132:133], v[134:135], v[132:133]
	scratch_load_b64 v[134:135], v128, off
	scratch_store_b64 v129, v[132:133], off
	v_max_f64 v[132:133], v[2:3], v[2:3]
	v_min_f64 v[132:133], v[132:133], v[130:131]
	s_waitcnt vmcnt(0)
	s_delay_alu instid0(VALU_DEP_1) | instskip(SKIP_3) | instid1(VALU_DEP_1)
	v_add_f64 v[132:133], v[132:133], v[134:135]
	scratch_store_b64 v128, v[132:133], off
	scratch_load_b64 v[132:133], v127, off
	v_max_f64 v[128:129], v[4:5], v[4:5]
	v_min_f64 v[128:129], v[128:129], v[130:131]
	s_waitcnt vmcnt(0)
	s_delay_alu instid0(VALU_DEP_1) | instskip(SKIP_3) | instid1(VALU_DEP_1)
	v_add_f64 v[128:129], v[128:129], v[132:133]
	scratch_load_b64 v[132:133], v126, off
	scratch_store_b64 v127, v[128:129], off
	v_max_f64 v[127:128], v[6:7], v[6:7]
	v_min_f64 v[127:128], v[127:128], v[130:131]
	s_waitcnt vmcnt(0)
	s_delay_alu instid0(VALU_DEP_1) | instskip(SKIP_3) | instid1(VALU_DEP_1)
	v_add_f64 v[127:128], v[127:128], v[132:133]
	scratch_store_b64 v126, v[127:128], off
	scratch_load_b64 v[128:129], v125, off
	v_max_f64 v[126:127], v[8:9], v[8:9]
	v_min_f64 v[126:127], v[126:127], v[130:131]
	s_waitcnt vmcnt(0)
	s_delay_alu instid0(VALU_DEP_1) | instskip(SKIP_4) | instid1(VALU_DEP_1)
	v_add_f64 v[126:127], v[126:127], v[128:129]
	v_mov_b32_e32 v129, 0x100
	scratch_store_b64 v125, v[126:127], off
	scratch_load_b64 v[127:128], v124, off
	v_max_f64 v[125:126], v[10:11], v[10:11]
	v_min_f64 v[125:126], v[125:126], v[130:131]
	s_waitcnt vmcnt(0)
	s_delay_alu instid0(VALU_DEP_1) | instskip(SKIP_4) | instid1(VALU_DEP_1)
	v_add_f64 v[125:126], v[125:126], v[127:128]
	v_mov_b32_e32 v128, 0x108
	;; [unrolled: 8-line block ×27, first 2 shown]
	scratch_store_b64 v99, v[100:101], off
	scratch_load_b64 v[101:102], v98, off
	v_max_f64 v[99:100], v[62:63], v[62:63]
	v_min_f64 v[99:100], v[99:100], v[130:131]
	s_waitcnt vmcnt(0)
	s_delay_alu instid0(VALU_DEP_1)
	v_add_f64 v[99:100], v[99:100], v[101:102]
	v_mov_b32_e32 v102, 0x1d8
	v_mov_b32_e32 v101, 0x1e0
	scratch_store_b64 v98, v[99:100], off
	v_mov_b32_e32 v100, 0x1e8
	v_mov_b32_e32 v99, 0x1f0
	;; [unrolled: 1-line block ×3, first 2 shown]
	s_cbranch_vccnz .LBB189_61
; %bb.62:                               ;   in Loop: Header=BB189_32 Depth=1
	ds_load_2addr_b64 v[0:3], v87 offset0:3 offset1:19
	ds_load_2addr_b64 v[4:7], v87 offset0:35 offset1:51
	;; [unrolled: 1-line block ×12, first 2 shown]
	v_dual_mov_b32 v127, 8 :: v_dual_add_nc_u32 v64, 24, v91
	ds_load_2addr_b64 v[48:51], v97 offset0:131 offset1:147
	ds_load_2addr_b64 v[52:55], v97 offset0:163 offset1:179
	;; [unrolled: 1-line block ×4, first 2 shown]
	ds_load_2addr_stride64_b64 v[64:67], v64 offset1:4
	v_dual_mov_b32 v128, 0 :: v_dual_mov_b32 v125, 24
	v_dual_mov_b32 v126, 16 :: v_dual_mov_b32 v123, 40
	;; [unrolled: 1-line block ×5, first 2 shown]
	v_mov_b32_e32 v118, 0x50
	v_mov_b32_e32 v116, 0x60
	;; [unrolled: 1-line block ×21, first 2 shown]
	s_mov_b64 s[6:7], 0
	s_mov_b32 s24, -1
.LBB189_63:                             ;   Parent Loop BB189_32 Depth=1
                                        ; =>  This Inner Loop Header: Depth=2
	scratch_load_b64 v[133:134], v128, off
	s_cmp_eq_u32 s6, 1
	s_waitcnt lgkmcnt(16)
	v_max_f64 v[131:132], v[0:1], v[0:1]
	s_cselect_b32 vcc_lo, -1, 0
	s_mov_b64 s[6:7], 1
	s_waitcnt lgkmcnt(0)
	v_dual_cndmask_b32 v130, v65, v67 :: v_dual_cndmask_b32 v129, v64, v66
	s_and_b32 vcc_lo, exec_lo, s24
	s_mov_b32 s24, 0
	s_delay_alu instid0(VALU_DEP_1) | instskip(NEXT) | instid1(VALU_DEP_1)
	v_max_f64 v[129:130], v[129:130], v[129:130]
	v_min_f64 v[131:132], v[131:132], v[129:130]
	s_waitcnt vmcnt(0)
	s_delay_alu instid0(VALU_DEP_1) | instskip(SKIP_3) | instid1(VALU_DEP_1)
	v_add_f64 v[131:132], v[133:134], v[131:132]
	scratch_load_b64 v[133:134], v127, off
	scratch_store_b64 v128, v[131:132], off
	v_max_f64 v[131:132], v[2:3], v[2:3]
	v_min_f64 v[131:132], v[131:132], v[129:130]
	s_waitcnt vmcnt(0)
	s_delay_alu instid0(VALU_DEP_1) | instskip(SKIP_3) | instid1(VALU_DEP_1)
	v_add_f64 v[131:132], v[131:132], v[133:134]
	scratch_store_b64 v127, v[131:132], off
	scratch_load_b64 v[131:132], v126, off
	v_max_f64 v[127:128], v[4:5], v[4:5]
	v_min_f64 v[127:128], v[127:128], v[129:130]
	s_waitcnt vmcnt(0)
	s_delay_alu instid0(VALU_DEP_1) | instskip(SKIP_3) | instid1(VALU_DEP_1)
	v_add_f64 v[127:128], v[127:128], v[131:132]
	scratch_load_b64 v[131:132], v125, off
	scratch_store_b64 v126, v[127:128], off
	v_max_f64 v[126:127], v[6:7], v[6:7]
	v_min_f64 v[126:127], v[126:127], v[129:130]
	s_waitcnt vmcnt(0)
	s_delay_alu instid0(VALU_DEP_1) | instskip(SKIP_3) | instid1(VALU_DEP_1)
	v_add_f64 v[126:127], v[126:127], v[131:132]
	scratch_store_b64 v125, v[126:127], off
	scratch_load_b64 v[127:128], v124, off
	v_max_f64 v[125:126], v[8:9], v[8:9]
	v_min_f64 v[125:126], v[125:126], v[129:130]
	s_waitcnt vmcnt(0)
	s_delay_alu instid0(VALU_DEP_1) | instskip(SKIP_4) | instid1(VALU_DEP_1)
	v_add_f64 v[125:126], v[125:126], v[127:128]
	v_mov_b32_e32 v128, 0x100
	scratch_store_b64 v124, v[125:126], off
	scratch_load_b64 v[126:127], v123, off
	v_max_f64 v[124:125], v[10:11], v[10:11]
	v_min_f64 v[124:125], v[124:125], v[129:130]
	s_waitcnt vmcnt(0)
	s_delay_alu instid0(VALU_DEP_1) | instskip(SKIP_4) | instid1(VALU_DEP_1)
	v_add_f64 v[124:125], v[124:125], v[126:127]
	v_mov_b32_e32 v127, 0x108
	;; [unrolled: 8-line block ×27, first 2 shown]
	scratch_store_b64 v98, v[99:100], off
	scratch_load_b64 v[100:101], v97, off
	v_max_f64 v[98:99], v[62:63], v[62:63]
	v_min_f64 v[98:99], v[98:99], v[129:130]
	s_waitcnt vmcnt(0)
	s_delay_alu instid0(VALU_DEP_1)
	v_add_f64 v[98:99], v[98:99], v[100:101]
	v_mov_b32_e32 v101, 0x1d8
	v_mov_b32_e32 v100, 0x1e0
	scratch_store_b64 v97, v[98:99], off
	v_mov_b32_e32 v99, 0x1e8
	v_mov_b32_e32 v98, 0x1f0
	;; [unrolled: 1-line block ×3, first 2 shown]
	s_cbranch_vccnz .LBB189_63
; %bb.64:                               ;   in Loop: Header=BB189_32 Depth=1
	s_add_i32 s17, s17, 8
	s_add_i32 s15, s15, 8
	s_cmp_ge_i32 s17, s16
	ds_store_2addr_stride64_b64 v92, v[78:79], v[76:77] offset1:4
	ds_store_2addr_stride64_b64 v93, v[82:83], v[80:81] offset1:4
	s_waitcnt lgkmcnt(0)
	s_waitcnt_vscnt null, 0x0
	s_barrier
	buffer_gl0_inv
	s_cbranch_scc0 .LBB189_32
.LBB189_65:
	v_dual_mov_b32 v71, 8 :: v_dual_add_nc_u32 v28, 0x1000, v87
	v_dual_mov_b32 v75, 40 :: v_dual_add_nc_u32 v60, 0x1800, v87
	;; [unrolled: 1-line block ×3, first 2 shown]
	ds_load_2addr_b64 v[0:3], v28 offset1:16
	ds_load_2addr_b64 v[4:7], v28 offset0:32 offset1:48
	ds_load_2addr_b64 v[8:11], v28 offset0:64 offset1:80
	;; [unrolled: 1-line block ×7, first 2 shown]
	ds_load_2addr_b64 v[32:35], v60 offset1:16
	ds_load_2addr_b64 v[36:39], v60 offset0:32 offset1:48
	ds_load_2addr_b64 v[40:43], v60 offset0:64 offset1:80
	ds_load_2addr_b64 v[44:47], v60 offset0:96 offset1:112
	ds_load_2addr_b64 v[48:51], v60 offset0:128 offset1:144
	ds_load_2addr_b64 v[52:55], v60 offset0:160 offset1:176
	ds_load_2addr_b64 v[56:59], v60 offset0:192 offset1:208
	ds_load_2addr_b64 v[60:63], v60 offset0:224 offset1:240
	ds_load_2addr_stride64_b64 v[64:67], v89 offset0:24 offset1:28
	v_dual_mov_b32 v70, 0 :: v_dual_add_nc_u32 v69, 0x3000, v89
	v_dual_mov_b32 v72, 16 :: v_dual_mov_b32 v77, 56
	v_dual_mov_b32 v74, 32 :: v_dual_mov_b32 v79, 0x48
	;; [unrolled: 1-line block ×4, first 2 shown]
	v_mov_b32_e32 v80, 0x50
	v_mov_b32_e32 v82, 0x60
	;; [unrolled: 1-line block ×20, first 2 shown]
	s_mov_b64 s[2:3], 0
	s_mov_b32 s4, -1
.LBB189_66:                             ; =>This Inner Loop Header: Depth=1
	scratch_load_b64 v[104:105], v70, off
	scratch_load_b64 v[106:107], v71, off
	;; [unrolled: 1-line block ×32, first 2 shown]
	s_cmp_eq_u32 s2, 1
	s_waitcnt lgkmcnt(16)
	v_max_f64 v[170:171], v[0:1], v[0:1]
	s_cselect_b32 vcc_lo, -1, 0
	v_max_f64 v[172:173], v[2:3], v[2:3]
	s_waitcnt lgkmcnt(0)
	v_dual_cndmask_b32 v169, v65, v67 :: v_dual_cndmask_b32 v168, v64, v66
	v_max_f64 v[174:175], v[4:5], v[4:5]
	v_max_f64 v[176:177], v[6:7], v[6:7]
	;; [unrolled: 1-line block ×31, first 2 shown]
	s_mov_b64 s[2:3], 1
	s_and_b32 vcc_lo, exec_lo, s4
	s_mov_b32 s4, 0
	v_min_f64 v[170:171], v[170:171], v[168:169]
	v_min_f64 v[172:173], v[172:173], v[168:169]
	;; [unrolled: 1-line block ×32, first 2 shown]
	s_waitcnt vmcnt(31)
	v_add_f64 v[104:105], v[104:105], v[170:171]
	s_waitcnt vmcnt(30)
	v_add_f64 v[106:107], v[172:173], v[106:107]
	;; [unrolled: 2-line block ×32, first 2 shown]
	scratch_store_b64 v70, v[104:105], off
	scratch_store_b64 v71, v[106:107], off
	;; [unrolled: 1-line block ×32, first 2 shown]
	v_mov_b32_e32 v70, 0x100
	v_mov_b32_e32 v71, 0x108
	;; [unrolled: 1-line block ×32, first 2 shown]
	s_cbranch_vccnz .LBB189_66
; %bb.67:
	v_dual_mov_b32 v71, 8 :: v_dual_add_nc_u32 v60, 0x800, v68
	ds_load_2addr_b64 v[0:3], v68 offset0:1 offset1:17
	ds_load_2addr_b64 v[4:7], v68 offset0:33 offset1:49
	;; [unrolled: 1-line block ×12, first 2 shown]
	v_dual_mov_b32 v73, 24 :: v_dual_add_nc_u32 v64, 8, v69
	ds_load_2addr_b64 v[48:51], v60 offset0:129 offset1:145
	ds_load_2addr_b64 v[52:55], v60 offset0:161 offset1:177
	;; [unrolled: 1-line block ×4, first 2 shown]
	ds_load_2addr_stride64_b64 v[64:67], v64 offset1:4
	v_dual_mov_b32 v70, 0 :: v_dual_mov_b32 v75, 40
	v_dual_mov_b32 v72, 16 :: v_dual_mov_b32 v77, 56
	;; [unrolled: 1-line block ×5, first 2 shown]
	v_mov_b32_e32 v80, 0x50
	v_mov_b32_e32 v82, 0x60
	;; [unrolled: 1-line block ×20, first 2 shown]
	s_mov_b64 s[2:3], 0
	s_mov_b32 s4, -1
.LBB189_68:                             ; =>This Inner Loop Header: Depth=1
	scratch_load_b64 v[104:105], v70, off
	scratch_load_b64 v[106:107], v71, off
	;; [unrolled: 1-line block ×32, first 2 shown]
	s_cmp_eq_u32 s2, 1
	s_waitcnt lgkmcnt(16)
	v_max_f64 v[170:171], v[0:1], v[0:1]
	s_cselect_b32 vcc_lo, -1, 0
	v_max_f64 v[172:173], v[2:3], v[2:3]
	s_waitcnt lgkmcnt(0)
	v_dual_cndmask_b32 v169, v65, v67 :: v_dual_cndmask_b32 v168, v64, v66
	v_max_f64 v[174:175], v[4:5], v[4:5]
	v_max_f64 v[176:177], v[6:7], v[6:7]
	;; [unrolled: 1-line block ×31, first 2 shown]
	s_mov_b64 s[2:3], 1
	s_and_b32 vcc_lo, exec_lo, s4
	s_mov_b32 s4, 0
	v_min_f64 v[170:171], v[170:171], v[168:169]
	v_min_f64 v[172:173], v[172:173], v[168:169]
	;; [unrolled: 1-line block ×32, first 2 shown]
	s_waitcnt vmcnt(31)
	v_add_f64 v[104:105], v[104:105], v[170:171]
	s_waitcnt vmcnt(30)
	v_add_f64 v[106:107], v[172:173], v[106:107]
	;; [unrolled: 2-line block ×32, first 2 shown]
	scratch_store_b64 v70, v[104:105], off
	scratch_store_b64 v71, v[106:107], off
	;; [unrolled: 1-line block ×32, first 2 shown]
	v_mov_b32_e32 v70, 0x100
	v_mov_b32_e32 v71, 0x108
	;; [unrolled: 1-line block ×32, first 2 shown]
	s_cbranch_vccnz .LBB189_68
; %bb.69:
	v_dual_mov_b32 v71, 8 :: v_dual_add_nc_u32 v60, 0x800, v68
	ds_load_2addr_b64 v[0:3], v68 offset0:2 offset1:18
	ds_load_2addr_b64 v[4:7], v68 offset0:34 offset1:50
	ds_load_2addr_b64 v[8:11], v68 offset0:66 offset1:82
	ds_load_2addr_b64 v[12:15], v68 offset0:98 offset1:114
	ds_load_2addr_b64 v[16:19], v68 offset0:130 offset1:146
	ds_load_2addr_b64 v[20:23], v68 offset0:162 offset1:178
	ds_load_2addr_b64 v[24:27], v68 offset0:194 offset1:210
	ds_load_2addr_b64 v[28:31], v68 offset0:226 offset1:242
	ds_load_2addr_b64 v[32:35], v60 offset0:2 offset1:18
	ds_load_2addr_b64 v[36:39], v60 offset0:34 offset1:50
	ds_load_2addr_b64 v[40:43], v60 offset0:66 offset1:82
	ds_load_2addr_b64 v[44:47], v60 offset0:98 offset1:114
	v_dual_mov_b32 v73, 24 :: v_dual_add_nc_u32 v64, 16, v69
	ds_load_2addr_b64 v[48:51], v60 offset0:130 offset1:146
	ds_load_2addr_b64 v[52:55], v60 offset0:162 offset1:178
	ds_load_2addr_b64 v[56:59], v60 offset0:194 offset1:210
	ds_load_2addr_b64 v[60:63], v60 offset0:226 offset1:242
	ds_load_2addr_stride64_b64 v[64:67], v64 offset1:4
	v_dual_mov_b32 v70, 0 :: v_dual_mov_b32 v75, 40
	v_dual_mov_b32 v72, 16 :: v_dual_mov_b32 v77, 56
	;; [unrolled: 1-line block ×5, first 2 shown]
	v_mov_b32_e32 v80, 0x50
	v_mov_b32_e32 v82, 0x60
	;; [unrolled: 1-line block ×20, first 2 shown]
	s_mov_b64 s[2:3], 0
	s_mov_b32 s4, -1
.LBB189_70:                             ; =>This Inner Loop Header: Depth=1
	scratch_load_b64 v[104:105], v70, off
	scratch_load_b64 v[106:107], v71, off
	;; [unrolled: 1-line block ×32, first 2 shown]
	s_cmp_eq_u32 s2, 1
	s_waitcnt lgkmcnt(16)
	v_max_f64 v[170:171], v[0:1], v[0:1]
	s_cselect_b32 vcc_lo, -1, 0
	v_max_f64 v[172:173], v[2:3], v[2:3]
	s_waitcnt lgkmcnt(0)
	v_dual_cndmask_b32 v169, v65, v67 :: v_dual_cndmask_b32 v168, v64, v66
	v_max_f64 v[174:175], v[4:5], v[4:5]
	v_max_f64 v[176:177], v[6:7], v[6:7]
	;; [unrolled: 1-line block ×31, first 2 shown]
	s_mov_b64 s[2:3], 1
	s_and_b32 vcc_lo, exec_lo, s4
	s_mov_b32 s4, 0
	v_min_f64 v[170:171], v[170:171], v[168:169]
	v_min_f64 v[172:173], v[172:173], v[168:169]
	;; [unrolled: 1-line block ×32, first 2 shown]
	s_waitcnt vmcnt(31)
	v_add_f64 v[104:105], v[104:105], v[170:171]
	s_waitcnt vmcnt(30)
	v_add_f64 v[106:107], v[172:173], v[106:107]
	;; [unrolled: 2-line block ×32, first 2 shown]
	scratch_store_b64 v70, v[104:105], off
	scratch_store_b64 v71, v[106:107], off
	;; [unrolled: 1-line block ×32, first 2 shown]
	v_mov_b32_e32 v70, 0x100
	v_mov_b32_e32 v71, 0x108
	;; [unrolled: 1-line block ×32, first 2 shown]
	s_cbranch_vccnz .LBB189_70
; %bb.71:
	v_add_nc_u32_e32 v60, 0x800, v68
	ds_load_2addr_b64 v[0:3], v68 offset0:3 offset1:19
	ds_load_2addr_b64 v[4:7], v68 offset0:35 offset1:51
	ds_load_2addr_b64 v[8:11], v68 offset0:67 offset1:83
	ds_load_2addr_b64 v[12:15], v68 offset0:99 offset1:115
	v_dual_mov_b32 v71, 24 :: v_dual_add_nc_u32 v64, 24, v69
	v_mov_b32_e32 v69, 8
	ds_load_2addr_b64 v[16:19], v68 offset0:131 offset1:147
	ds_load_2addr_b64 v[20:23], v68 offset0:163 offset1:179
	;; [unrolled: 1-line block ×12, first 2 shown]
	ds_load_2addr_stride64_b64 v[64:67], v64 offset1:4
	v_dual_mov_b32 v68, 0 :: v_dual_mov_b32 v73, 40
	v_dual_mov_b32 v70, 16 :: v_dual_mov_b32 v75, 56
	;; [unrolled: 1-line block ×5, first 2 shown]
	v_mov_b32_e32 v78, 0x50
	v_mov_b32_e32 v80, 0x60
	;; [unrolled: 1-line block ×20, first 2 shown]
	s_mov_b64 s[2:3], 0
	s_mov_b32 s4, -1
.LBB189_72:                             ; =>This Inner Loop Header: Depth=1
	scratch_load_b64 v[102:103], v68, off
	scratch_load_b64 v[104:105], v69, off
	;; [unrolled: 1-line block ×32, first 2 shown]
	s_cmp_eq_u32 s2, 1
	s_waitcnt lgkmcnt(16)
	v_max_f64 v[168:169], v[0:1], v[0:1]
	s_cselect_b32 vcc_lo, -1, 0
	v_max_f64 v[170:171], v[2:3], v[2:3]
	s_waitcnt lgkmcnt(0)
	v_dual_cndmask_b32 v167, v65, v67 :: v_dual_cndmask_b32 v166, v64, v66
	v_max_f64 v[172:173], v[4:5], v[4:5]
	v_max_f64 v[174:175], v[6:7], v[6:7]
	;; [unrolled: 1-line block ×31, first 2 shown]
	s_mov_b64 s[2:3], 1
	s_and_b32 vcc_lo, exec_lo, s4
	s_mov_b32 s4, 0
	v_min_f64 v[168:169], v[168:169], v[166:167]
	v_min_f64 v[170:171], v[170:171], v[166:167]
	;; [unrolled: 1-line block ×32, first 2 shown]
	s_waitcnt vmcnt(31)
	v_add_f64 v[102:103], v[102:103], v[168:169]
	s_waitcnt vmcnt(30)
	v_add_f64 v[104:105], v[170:171], v[104:105]
	;; [unrolled: 2-line block ×32, first 2 shown]
	scratch_store_b64 v68, v[102:103], off
	scratch_store_b64 v69, v[104:105], off
	;; [unrolled: 1-line block ×32, first 2 shown]
	v_mov_b32_e32 v68, 0x100
	v_mov_b32_e32 v69, 0x108
	;; [unrolled: 1-line block ×32, first 2 shown]
	s_cbranch_vccnz .LBB189_72
; %bb.73:
	s_clause 0x2
	s_load_b64 s[2:3], s[0:1], 0x78
	s_load_b32 s39, s[0:1], 0x58
	s_load_b32 s38, s[0:1], 0x70
	v_add_nc_u32_e32 v71, s9, v85
	v_add_nc_u32_e32 v0, s8, v84
	v_cndmask_b32_e64 v70, 0, 1, s42
	s_delay_alu instid0(VALU_DEP_3)
	v_cmp_gt_i32_e64 s8, s37, v71
	s_waitcnt lgkmcnt(0)
	s_mul_i32 s0, s12, s3
	v_mad_i64_i32 v[1:2], null, v71, s39, 0
	v_mad_i64_i32 v[3:4], null, v71, s38, 0
	s_mul_hi_u32 s1, s12, s2
	s_mul_i32 s2, s12, s2
	s_add_i32 s3, s1, s0
	v_cmp_gt_i32_e64 s0, s36, v0
	s_delay_alu instid0(VALU_DEP_3) | instskip(SKIP_1) | instid1(VALU_DEP_3)
	v_lshlrev_b64 v[5:6], 3, v[1:2]
	s_lshl_b64 s[2:3], s[2:3], 3
	v_lshlrev_b64 v[2:3], 3, v[3:4]
	s_add_u32 s43, s10, s2
	s_addc_u32 s44, s11, s3
	v_ashrrev_i32_e32 v1, 31, v0
	v_add_co_u32 v68, vcc_lo, s40, v5
	v_add_co_ci_u32_e32 v69, vcc_lo, s41, v6, vcc_lo
	v_add_co_u32 v72, vcc_lo, s43, v2
	v_add_co_ci_u32_e32 v73, vcc_lo, s44, v3, vcc_lo
	s_and_b32 s1, s8, s0
	s_delay_alu instid0(SALU_CYCLE_1) | instskip(NEXT) | instid1(SALU_CYCLE_1)
	s_and_saveexec_b32 s2, s1
	s_xor_b32 s1, exec_lo, s2
	s_cbranch_execz .LBB189_78
; %bb.74:
	scratch_load_b64 v[2:3], off, off
	v_lshlrev_b64 v[4:5], 3, v[0:1]
	s_and_not1_b32 vcc_lo, exec_lo, s42
	s_cbranch_vccnz .LBB189_76
; %bb.75:
	s_delay_alu instid0(VALU_DEP_1) | instskip(NEXT) | instid1(VALU_DEP_2)
	v_add_co_u32 v6, vcc_lo, v68, v4
	v_add_co_ci_u32_e32 v7, vcc_lo, v69, v5, vcc_lo
	flat_load_b64 v[6:7], v[6:7]
	s_waitcnt vmcnt(0) lgkmcnt(0)
	v_mul_f64 v[6:7], s[34:35], v[6:7]
	s_branch .LBB189_77
.LBB189_76:
	v_mov_b32_e32 v6, 0
	v_mov_b32_e32 v7, 0
.LBB189_77:
	s_waitcnt vmcnt(0)
	s_delay_alu instid0(VALU_DEP_1)
	v_add_f64 v[2:3], v[2:3], v[6:7]
	v_add_co_u32 v4, vcc_lo, v72, v4
	v_add_co_ci_u32_e32 v5, vcc_lo, v73, v5, vcc_lo
	global_store_b64 v[4:5], v[2:3], off
.LBB189_78:
	s_or_b32 exec_lo, exec_lo, s1
	v_add_nc_u32_e32 v2, 4, v0
	s_delay_alu instid0(VALU_DEP_1) | instskip(SKIP_1) | instid1(VALU_DEP_2)
	v_cmp_gt_i32_e64 s1, s36, v2
	v_ashrrev_i32_e32 v3, 31, v2
	s_and_b32 s3, s8, s1
	s_delay_alu instid0(SALU_CYCLE_1)
	s_and_saveexec_b32 s2, s3
	s_cbranch_execz .LBB189_83
; %bb.79:
	scratch_load_b64 v[4:5], off, off offset:8
	v_lshlrev_b64 v[6:7], 3, v[2:3]
	s_and_not1_b32 vcc_lo, exec_lo, s42
	s_cbranch_vccnz .LBB189_81
; %bb.80:
	s_delay_alu instid0(VALU_DEP_1) | instskip(NEXT) | instid1(VALU_DEP_2)
	v_add_co_u32 v8, vcc_lo, v68, v6
	v_add_co_ci_u32_e32 v9, vcc_lo, v69, v7, vcc_lo
	flat_load_b64 v[8:9], v[8:9]
	s_waitcnt vmcnt(0) lgkmcnt(0)
	v_mul_f64 v[8:9], s[34:35], v[8:9]
	s_branch .LBB189_82
.LBB189_81:
	v_mov_b32_e32 v8, 0
	v_mov_b32_e32 v9, 0
.LBB189_82:
	s_waitcnt vmcnt(0)
	s_delay_alu instid0(VALU_DEP_1)
	v_add_f64 v[4:5], v[4:5], v[8:9]
	v_add_co_u32 v6, vcc_lo, v72, v6
	v_add_co_ci_u32_e32 v7, vcc_lo, v73, v7, vcc_lo
	global_store_b64 v[6:7], v[4:5], off
.LBB189_83:
	s_or_b32 exec_lo, exec_lo, s2
	v_add_nc_u32_e32 v4, 8, v0
	s_delay_alu instid0(VALU_DEP_1) | instskip(SKIP_1) | instid1(VALU_DEP_2)
	v_cmp_gt_i32_e64 s2, s36, v4
	v_ashrrev_i32_e32 v5, 31, v4
	s_and_b32 s4, s8, s2
	s_delay_alu instid0(SALU_CYCLE_1)
	s_and_saveexec_b32 s3, s4
	s_cbranch_execz .LBB189_88
; %bb.84:
	scratch_load_b64 v[6:7], off, off offset:16
	v_lshlrev_b64 v[8:9], 3, v[4:5]
	s_and_not1_b32 vcc_lo, exec_lo, s42
	s_cbranch_vccnz .LBB189_86
; %bb.85:
	s_delay_alu instid0(VALU_DEP_1) | instskip(NEXT) | instid1(VALU_DEP_2)
	v_add_co_u32 v10, vcc_lo, v68, v8
	v_add_co_ci_u32_e32 v11, vcc_lo, v69, v9, vcc_lo
	flat_load_b64 v[10:11], v[10:11]
	s_waitcnt vmcnt(0) lgkmcnt(0)
	v_mul_f64 v[10:11], s[34:35], v[10:11]
	s_branch .LBB189_87
.LBB189_86:
	v_mov_b32_e32 v10, 0
	v_mov_b32_e32 v11, 0
.LBB189_87:
	s_waitcnt vmcnt(0)
	s_delay_alu instid0(VALU_DEP_1)
	v_add_f64 v[6:7], v[6:7], v[10:11]
	v_add_co_u32 v8, vcc_lo, v72, v8
	v_add_co_ci_u32_e32 v9, vcc_lo, v73, v9, vcc_lo
	global_store_b64 v[8:9], v[6:7], off
.LBB189_88:
	;; [unrolled: 33-line block ×31, first 2 shown]
	s_or_b32 exec_lo, exec_lo, s8
	v_add_nc_u32_e32 v68, 64, v71
	s_delay_alu instid0(VALU_DEP_1) | instskip(SKIP_2) | instid1(VALU_DEP_3)
	v_mad_i64_i32 v[64:65], null, v68, s39, 0
	v_mad_i64_i32 v[66:67], null, v68, s38, 0
	v_cmp_gt_i32_e64 s8, s37, v68
	v_lshlrev_b64 v[64:65], 3, v[64:65]
	s_delay_alu instid0(VALU_DEP_2) | instskip(NEXT) | instid1(VALU_DEP_3)
	s_and_b32 s0, s8, s0
	v_lshlrev_b64 v[66:67], 3, v[66:67]
	s_delay_alu instid0(VALU_DEP_2) | instskip(NEXT) | instid1(VALU_DEP_3)
	v_add_co_u32 v71, vcc_lo, s40, v64
	v_add_co_ci_u32_e32 v72, vcc_lo, s41, v65, vcc_lo
	s_delay_alu instid0(VALU_DEP_3) | instskip(NEXT) | instid1(VALU_DEP_4)
	v_add_co_u32 v68, vcc_lo, s43, v66
	v_add_co_ci_u32_e32 v69, vcc_lo, s44, v67, vcc_lo
	s_and_saveexec_b32 s36, s0
	s_delay_alu instid0(SALU_CYCLE_1)
	s_xor_b32 s0, exec_lo, s36
	s_cbranch_execnz .LBB189_266
; %bb.234:
	s_or_b32 exec_lo, exec_lo, s0
	s_and_b32 s1, s8, s1
	s_delay_alu instid0(SALU_CYCLE_1)
	s_and_saveexec_b32 s0, s1
	s_cbranch_execnz .LBB189_270
.LBB189_235:
	s_or_b32 exec_lo, exec_lo, s0
	s_and_b32 s1, s8, s2
	s_delay_alu instid0(SALU_CYCLE_1)
	s_and_saveexec_b32 s0, s1
	s_cbranch_execnz .LBB189_274
.LBB189_236:
	s_or_b32 exec_lo, exec_lo, s0
	s_and_b32 s1, s8, s3
	s_delay_alu instid0(SALU_CYCLE_1)
	s_and_saveexec_b32 s0, s1
	s_cbranch_execnz .LBB189_278
.LBB189_237:
	s_or_b32 exec_lo, exec_lo, s0
	s_and_b32 s1, s8, s4
	s_delay_alu instid0(SALU_CYCLE_1)
	s_and_saveexec_b32 s0, s1
	s_cbranch_execnz .LBB189_282
.LBB189_238:
	s_or_b32 exec_lo, exec_lo, s0
	s_and_b32 s1, s8, s5
	s_delay_alu instid0(SALU_CYCLE_1)
	s_and_saveexec_b32 s0, s1
	s_cbranch_execnz .LBB189_286
.LBB189_239:
	s_or_b32 exec_lo, exec_lo, s0
	s_and_b32 s1, s8, s6
	s_delay_alu instid0(SALU_CYCLE_1)
	s_and_saveexec_b32 s0, s1
	s_cbranch_execnz .LBB189_290
.LBB189_240:
	s_or_b32 exec_lo, exec_lo, s0
	s_and_b32 s1, s8, s7
	s_delay_alu instid0(SALU_CYCLE_1)
	s_and_saveexec_b32 s0, s1
	s_cbranch_execnz .LBB189_294
.LBB189_241:
	s_or_b32 exec_lo, exec_lo, s0
	s_and_b32 s1, s8, s9
	s_delay_alu instid0(SALU_CYCLE_1)
	s_and_saveexec_b32 s0, s1
	s_cbranch_execnz .LBB189_298
.LBB189_242:
	s_or_b32 exec_lo, exec_lo, s0
	s_and_b32 s1, s8, s10
	s_delay_alu instid0(SALU_CYCLE_1)
	s_and_saveexec_b32 s0, s1
	s_cbranch_execnz .LBB189_302
.LBB189_243:
	s_or_b32 exec_lo, exec_lo, s0
	s_and_b32 s1, s8, s11
	s_delay_alu instid0(SALU_CYCLE_1)
	s_and_saveexec_b32 s0, s1
	s_cbranch_execnz .LBB189_306
.LBB189_244:
	s_or_b32 exec_lo, exec_lo, s0
	s_and_b32 s1, s8, s12
	s_delay_alu instid0(SALU_CYCLE_1)
	s_and_saveexec_b32 s0, s1
	s_cbranch_execnz .LBB189_310
.LBB189_245:
	s_or_b32 exec_lo, exec_lo, s0
	s_and_b32 s1, s8, s13
	s_delay_alu instid0(SALU_CYCLE_1)
	s_and_saveexec_b32 s0, s1
	s_cbranch_execnz .LBB189_314
.LBB189_246:
	s_or_b32 exec_lo, exec_lo, s0
	s_and_b32 s1, s8, s14
	s_delay_alu instid0(SALU_CYCLE_1)
	s_and_saveexec_b32 s0, s1
	s_cbranch_execnz .LBB189_318
.LBB189_247:
	s_or_b32 exec_lo, exec_lo, s0
	s_and_b32 s1, s8, s15
	s_delay_alu instid0(SALU_CYCLE_1)
	s_and_saveexec_b32 s0, s1
	s_cbranch_execnz .LBB189_322
.LBB189_248:
	s_or_b32 exec_lo, exec_lo, s0
	s_and_b32 s1, s8, s16
	s_delay_alu instid0(SALU_CYCLE_1)
	s_and_saveexec_b32 s0, s1
	s_cbranch_execnz .LBB189_326
.LBB189_249:
	s_or_b32 exec_lo, exec_lo, s0
	s_and_b32 s1, s8, s17
	s_delay_alu instid0(SALU_CYCLE_1)
	s_and_saveexec_b32 s0, s1
	s_cbranch_execnz .LBB189_330
.LBB189_250:
	s_or_b32 exec_lo, exec_lo, s0
	s_and_b32 s1, s8, s18
	s_delay_alu instid0(SALU_CYCLE_1)
	s_and_saveexec_b32 s0, s1
	s_cbranch_execnz .LBB189_334
.LBB189_251:
	s_or_b32 exec_lo, exec_lo, s0
	s_and_b32 s1, s8, s19
	s_delay_alu instid0(SALU_CYCLE_1)
	s_and_saveexec_b32 s0, s1
	s_cbranch_execnz .LBB189_338
.LBB189_252:
	s_or_b32 exec_lo, exec_lo, s0
	s_and_b32 s1, s8, s20
	s_delay_alu instid0(SALU_CYCLE_1)
	s_and_saveexec_b32 s0, s1
	s_cbranch_execnz .LBB189_342
.LBB189_253:
	s_or_b32 exec_lo, exec_lo, s0
	s_and_b32 s1, s8, s21
	s_delay_alu instid0(SALU_CYCLE_1)
	s_and_saveexec_b32 s0, s1
	s_cbranch_execnz .LBB189_346
.LBB189_254:
	s_or_b32 exec_lo, exec_lo, s0
	s_and_b32 s1, s8, s22
	s_delay_alu instid0(SALU_CYCLE_1)
	s_and_saveexec_b32 s0, s1
	s_cbranch_execnz .LBB189_350
.LBB189_255:
	s_or_b32 exec_lo, exec_lo, s0
	s_and_b32 s1, s8, s23
	s_delay_alu instid0(SALU_CYCLE_1)
	s_and_saveexec_b32 s0, s1
	s_cbranch_execnz .LBB189_354
.LBB189_256:
	s_or_b32 exec_lo, exec_lo, s0
	s_and_b32 s1, s8, s24
	s_delay_alu instid0(SALU_CYCLE_1)
	s_and_saveexec_b32 s0, s1
	s_cbranch_execnz .LBB189_358
.LBB189_257:
	s_or_b32 exec_lo, exec_lo, s0
	s_and_b32 s1, s8, s25
	s_delay_alu instid0(SALU_CYCLE_1)
	s_and_saveexec_b32 s0, s1
	s_cbranch_execnz .LBB189_362
.LBB189_258:
	s_or_b32 exec_lo, exec_lo, s0
	s_and_b32 s1, s8, s26
	s_delay_alu instid0(SALU_CYCLE_1)
	s_and_saveexec_b32 s0, s1
	s_cbranch_execnz .LBB189_366
.LBB189_259:
	s_or_b32 exec_lo, exec_lo, s0
	s_and_b32 s1, s8, s27
	s_delay_alu instid0(SALU_CYCLE_1)
	s_and_saveexec_b32 s0, s1
	s_cbranch_execnz .LBB189_370
.LBB189_260:
	s_or_b32 exec_lo, exec_lo, s0
	s_and_b32 s1, s8, s28
	s_delay_alu instid0(SALU_CYCLE_1)
	s_and_saveexec_b32 s0, s1
	s_cbranch_execnz .LBB189_374
.LBB189_261:
	s_or_b32 exec_lo, exec_lo, s0
	s_and_b32 s1, s8, s29
	s_delay_alu instid0(SALU_CYCLE_1)
	s_and_saveexec_b32 s0, s1
	s_cbranch_execnz .LBB189_378
.LBB189_262:
	s_or_b32 exec_lo, exec_lo, s0
	s_and_b32 s1, s8, s30
	s_delay_alu instid0(SALU_CYCLE_1)
	s_and_saveexec_b32 s0, s1
	s_cbranch_execnz .LBB189_382
.LBB189_263:
	s_or_b32 exec_lo, exec_lo, s0
	s_and_b32 s1, s8, s31
	s_delay_alu instid0(SALU_CYCLE_1)
	s_and_saveexec_b32 s0, s1
	s_cbranch_execnz .LBB189_386
.LBB189_264:
	s_or_b32 exec_lo, exec_lo, s0
	s_and_b32 s0, s8, s33
	s_delay_alu instid0(SALU_CYCLE_1)
	s_and_saveexec_b32 s1, s0
	s_cbranch_execnz .LBB189_390
.LBB189_265:
	s_endpgm
.LBB189_266:
	scratch_load_b64 v[64:65], off, off offset:256
	v_lshlrev_b64 v[0:1], 3, v[0:1]
	s_and_not1_b32 vcc_lo, exec_lo, s42
	s_cbranch_vccnz .LBB189_268
; %bb.267:
	s_delay_alu instid0(VALU_DEP_1) | instskip(NEXT) | instid1(VALU_DEP_2)
	v_add_co_u32 v66, vcc_lo, v71, v0
	v_add_co_ci_u32_e32 v67, vcc_lo, v72, v1, vcc_lo
	flat_load_b64 v[66:67], v[66:67]
	s_waitcnt vmcnt(0) lgkmcnt(0)
	v_mul_f64 v[66:67], s[34:35], v[66:67]
	s_branch .LBB189_269
.LBB189_268:
	v_mov_b32_e32 v66, 0
	v_mov_b32_e32 v67, 0
.LBB189_269:
	s_waitcnt vmcnt(0)
	s_delay_alu instid0(VALU_DEP_1)
	v_add_f64 v[64:65], v[64:65], v[66:67]
	v_add_co_u32 v0, vcc_lo, v68, v0
	v_add_co_ci_u32_e32 v1, vcc_lo, v69, v1, vcc_lo
	global_store_b64 v[0:1], v[64:65], off
	s_or_b32 exec_lo, exec_lo, s0
	s_and_b32 s1, s8, s1
	s_delay_alu instid0(SALU_CYCLE_1)
	s_and_saveexec_b32 s0, s1
	s_cbranch_execz .LBB189_235
.LBB189_270:
	scratch_load_b64 v[0:1], off, off offset:264
	v_cmp_ne_u32_e32 vcc_lo, 1, v70
	v_lshlrev_b64 v[2:3], 3, v[2:3]
	s_cbranch_vccnz .LBB189_272
; %bb.271:
	s_delay_alu instid0(VALU_DEP_1) | instskip(NEXT) | instid1(VALU_DEP_2)
	v_add_co_u32 v64, vcc_lo, v71, v2
	v_add_co_ci_u32_e32 v65, vcc_lo, v72, v3, vcc_lo
	flat_load_b64 v[64:65], v[64:65]
	s_waitcnt vmcnt(0) lgkmcnt(0)
	v_mul_f64 v[64:65], s[34:35], v[64:65]
	s_branch .LBB189_273
.LBB189_272:
	v_mov_b32_e32 v64, 0
	v_mov_b32_e32 v65, 0
.LBB189_273:
	s_waitcnt vmcnt(0)
	s_delay_alu instid0(VALU_DEP_1)
	v_add_f64 v[0:1], v[0:1], v[64:65]
	v_add_co_u32 v2, vcc_lo, v68, v2
	v_add_co_ci_u32_e32 v3, vcc_lo, v69, v3, vcc_lo
	global_store_b64 v[2:3], v[0:1], off
	s_or_b32 exec_lo, exec_lo, s0
	s_and_b32 s1, s8, s2
	s_delay_alu instid0(SALU_CYCLE_1)
	s_and_saveexec_b32 s0, s1
	s_cbranch_execz .LBB189_236
.LBB189_274:
	scratch_load_b64 v[0:1], off, off offset:272
	v_cmp_ne_u32_e32 vcc_lo, 1, v70
	v_lshlrev_b64 v[2:3], 3, v[4:5]
	s_cbranch_vccnz .LBB189_276
; %bb.275:
	s_delay_alu instid0(VALU_DEP_1) | instskip(NEXT) | instid1(VALU_DEP_2)
	v_add_co_u32 v4, vcc_lo, v71, v2
	v_add_co_ci_u32_e32 v5, vcc_lo, v72, v3, vcc_lo
	flat_load_b64 v[4:5], v[4:5]
	s_waitcnt vmcnt(0) lgkmcnt(0)
	v_mul_f64 v[4:5], s[34:35], v[4:5]
	s_branch .LBB189_277
.LBB189_276:
	v_mov_b32_e32 v4, 0
	v_mov_b32_e32 v5, 0
.LBB189_277:
	s_waitcnt vmcnt(0)
	s_delay_alu instid0(VALU_DEP_1)
	v_add_f64 v[0:1], v[0:1], v[4:5]
	v_add_co_u32 v2, vcc_lo, v68, v2
	v_add_co_ci_u32_e32 v3, vcc_lo, v69, v3, vcc_lo
	global_store_b64 v[2:3], v[0:1], off
	s_or_b32 exec_lo, exec_lo, s0
	s_and_b32 s1, s8, s3
	s_delay_alu instid0(SALU_CYCLE_1)
	s_and_saveexec_b32 s0, s1
	s_cbranch_execz .LBB189_237
.LBB189_278:
	scratch_load_b64 v[0:1], off, off offset:280
	v_cmp_ne_u32_e32 vcc_lo, 1, v70
	v_lshlrev_b64 v[2:3], 3, v[6:7]
	s_cbranch_vccnz .LBB189_280
; %bb.279:
	s_delay_alu instid0(VALU_DEP_1) | instskip(NEXT) | instid1(VALU_DEP_2)
	v_add_co_u32 v4, vcc_lo, v71, v2
	v_add_co_ci_u32_e32 v5, vcc_lo, v72, v3, vcc_lo
	flat_load_b64 v[4:5], v[4:5]
	s_waitcnt vmcnt(0) lgkmcnt(0)
	v_mul_f64 v[4:5], s[34:35], v[4:5]
	s_branch .LBB189_281
.LBB189_280:
	v_mov_b32_e32 v4, 0
	v_mov_b32_e32 v5, 0
.LBB189_281:
	s_waitcnt vmcnt(0)
	s_delay_alu instid0(VALU_DEP_1)
	v_add_f64 v[0:1], v[0:1], v[4:5]
	v_add_co_u32 v2, vcc_lo, v68, v2
	v_add_co_ci_u32_e32 v3, vcc_lo, v69, v3, vcc_lo
	global_store_b64 v[2:3], v[0:1], off
	s_or_b32 exec_lo, exec_lo, s0
	s_and_b32 s1, s8, s4
	s_delay_alu instid0(SALU_CYCLE_1)
	s_and_saveexec_b32 s0, s1
	s_cbranch_execz .LBB189_238
.LBB189_282:
	scratch_load_b64 v[0:1], off, off offset:288
	v_cmp_ne_u32_e32 vcc_lo, 1, v70
	v_lshlrev_b64 v[2:3], 3, v[8:9]
	s_cbranch_vccnz .LBB189_284
; %bb.283:
	s_delay_alu instid0(VALU_DEP_1) | instskip(NEXT) | instid1(VALU_DEP_2)
	v_add_co_u32 v4, vcc_lo, v71, v2
	v_add_co_ci_u32_e32 v5, vcc_lo, v72, v3, vcc_lo
	flat_load_b64 v[4:5], v[4:5]
	s_waitcnt vmcnt(0) lgkmcnt(0)
	v_mul_f64 v[4:5], s[34:35], v[4:5]
	s_branch .LBB189_285
.LBB189_284:
	v_mov_b32_e32 v4, 0
	v_mov_b32_e32 v5, 0
.LBB189_285:
	s_waitcnt vmcnt(0)
	s_delay_alu instid0(VALU_DEP_1)
	v_add_f64 v[0:1], v[0:1], v[4:5]
	v_add_co_u32 v2, vcc_lo, v68, v2
	v_add_co_ci_u32_e32 v3, vcc_lo, v69, v3, vcc_lo
	global_store_b64 v[2:3], v[0:1], off
	s_or_b32 exec_lo, exec_lo, s0
	s_and_b32 s1, s8, s5
	s_delay_alu instid0(SALU_CYCLE_1)
	s_and_saveexec_b32 s0, s1
	s_cbranch_execz .LBB189_239
.LBB189_286:
	scratch_load_b64 v[0:1], off, off offset:296
	v_cmp_ne_u32_e32 vcc_lo, 1, v70
	v_lshlrev_b64 v[2:3], 3, v[10:11]
	s_cbranch_vccnz .LBB189_288
; %bb.287:
	s_delay_alu instid0(VALU_DEP_1) | instskip(NEXT) | instid1(VALU_DEP_2)
	v_add_co_u32 v4, vcc_lo, v71, v2
	v_add_co_ci_u32_e32 v5, vcc_lo, v72, v3, vcc_lo
	flat_load_b64 v[4:5], v[4:5]
	s_waitcnt vmcnt(0) lgkmcnt(0)
	v_mul_f64 v[4:5], s[34:35], v[4:5]
	s_branch .LBB189_289
.LBB189_288:
	v_mov_b32_e32 v4, 0
	v_mov_b32_e32 v5, 0
.LBB189_289:
	s_waitcnt vmcnt(0)
	s_delay_alu instid0(VALU_DEP_1)
	v_add_f64 v[0:1], v[0:1], v[4:5]
	v_add_co_u32 v2, vcc_lo, v68, v2
	v_add_co_ci_u32_e32 v3, vcc_lo, v69, v3, vcc_lo
	global_store_b64 v[2:3], v[0:1], off
	s_or_b32 exec_lo, exec_lo, s0
	s_and_b32 s1, s8, s6
	s_delay_alu instid0(SALU_CYCLE_1)
	s_and_saveexec_b32 s0, s1
	s_cbranch_execz .LBB189_240
.LBB189_290:
	scratch_load_b64 v[0:1], off, off offset:304
	v_cmp_ne_u32_e32 vcc_lo, 1, v70
	v_lshlrev_b64 v[2:3], 3, v[12:13]
	s_cbranch_vccnz .LBB189_292
; %bb.291:
	s_delay_alu instid0(VALU_DEP_1) | instskip(NEXT) | instid1(VALU_DEP_2)
	v_add_co_u32 v4, vcc_lo, v71, v2
	v_add_co_ci_u32_e32 v5, vcc_lo, v72, v3, vcc_lo
	flat_load_b64 v[4:5], v[4:5]
	s_waitcnt vmcnt(0) lgkmcnt(0)
	v_mul_f64 v[4:5], s[34:35], v[4:5]
	s_branch .LBB189_293
.LBB189_292:
	v_mov_b32_e32 v4, 0
	v_mov_b32_e32 v5, 0
.LBB189_293:
	s_waitcnt vmcnt(0)
	s_delay_alu instid0(VALU_DEP_1)
	v_add_f64 v[0:1], v[0:1], v[4:5]
	v_add_co_u32 v2, vcc_lo, v68, v2
	v_add_co_ci_u32_e32 v3, vcc_lo, v69, v3, vcc_lo
	global_store_b64 v[2:3], v[0:1], off
	s_or_b32 exec_lo, exec_lo, s0
	s_and_b32 s1, s8, s7
	s_delay_alu instid0(SALU_CYCLE_1)
	s_and_saveexec_b32 s0, s1
	s_cbranch_execz .LBB189_241
.LBB189_294:
	scratch_load_b64 v[0:1], off, off offset:312
	v_cmp_ne_u32_e32 vcc_lo, 1, v70
	v_lshlrev_b64 v[2:3], 3, v[14:15]
	s_cbranch_vccnz .LBB189_296
; %bb.295:
	s_delay_alu instid0(VALU_DEP_1) | instskip(NEXT) | instid1(VALU_DEP_2)
	v_add_co_u32 v4, vcc_lo, v71, v2
	v_add_co_ci_u32_e32 v5, vcc_lo, v72, v3, vcc_lo
	flat_load_b64 v[4:5], v[4:5]
	s_waitcnt vmcnt(0) lgkmcnt(0)
	v_mul_f64 v[4:5], s[34:35], v[4:5]
	s_branch .LBB189_297
.LBB189_296:
	v_mov_b32_e32 v4, 0
	v_mov_b32_e32 v5, 0
.LBB189_297:
	s_waitcnt vmcnt(0)
	s_delay_alu instid0(VALU_DEP_1)
	v_add_f64 v[0:1], v[0:1], v[4:5]
	v_add_co_u32 v2, vcc_lo, v68, v2
	v_add_co_ci_u32_e32 v3, vcc_lo, v69, v3, vcc_lo
	global_store_b64 v[2:3], v[0:1], off
	s_or_b32 exec_lo, exec_lo, s0
	s_and_b32 s1, s8, s9
	s_delay_alu instid0(SALU_CYCLE_1)
	s_and_saveexec_b32 s0, s1
	s_cbranch_execz .LBB189_242
.LBB189_298:
	scratch_load_b64 v[0:1], off, off offset:320
	v_cmp_ne_u32_e32 vcc_lo, 1, v70
	v_lshlrev_b64 v[2:3], 3, v[16:17]
	s_cbranch_vccnz .LBB189_300
; %bb.299:
	s_delay_alu instid0(VALU_DEP_1) | instskip(NEXT) | instid1(VALU_DEP_2)
	v_add_co_u32 v4, vcc_lo, v71, v2
	v_add_co_ci_u32_e32 v5, vcc_lo, v72, v3, vcc_lo
	flat_load_b64 v[4:5], v[4:5]
	s_waitcnt vmcnt(0) lgkmcnt(0)
	v_mul_f64 v[4:5], s[34:35], v[4:5]
	s_branch .LBB189_301
.LBB189_300:
	v_mov_b32_e32 v4, 0
	v_mov_b32_e32 v5, 0
.LBB189_301:
	s_waitcnt vmcnt(0)
	s_delay_alu instid0(VALU_DEP_1)
	v_add_f64 v[0:1], v[0:1], v[4:5]
	v_add_co_u32 v2, vcc_lo, v68, v2
	v_add_co_ci_u32_e32 v3, vcc_lo, v69, v3, vcc_lo
	global_store_b64 v[2:3], v[0:1], off
	s_or_b32 exec_lo, exec_lo, s0
	s_and_b32 s1, s8, s10
	s_delay_alu instid0(SALU_CYCLE_1)
	s_and_saveexec_b32 s0, s1
	s_cbranch_execz .LBB189_243
.LBB189_302:
	scratch_load_b64 v[0:1], off, off offset:328
	v_cmp_ne_u32_e32 vcc_lo, 1, v70
	v_lshlrev_b64 v[2:3], 3, v[18:19]
	s_cbranch_vccnz .LBB189_304
; %bb.303:
	s_delay_alu instid0(VALU_DEP_1) | instskip(NEXT) | instid1(VALU_DEP_2)
	v_add_co_u32 v4, vcc_lo, v71, v2
	v_add_co_ci_u32_e32 v5, vcc_lo, v72, v3, vcc_lo
	flat_load_b64 v[4:5], v[4:5]
	s_waitcnt vmcnt(0) lgkmcnt(0)
	v_mul_f64 v[4:5], s[34:35], v[4:5]
	s_branch .LBB189_305
.LBB189_304:
	v_mov_b32_e32 v4, 0
	v_mov_b32_e32 v5, 0
.LBB189_305:
	s_waitcnt vmcnt(0)
	s_delay_alu instid0(VALU_DEP_1)
	v_add_f64 v[0:1], v[0:1], v[4:5]
	v_add_co_u32 v2, vcc_lo, v68, v2
	v_add_co_ci_u32_e32 v3, vcc_lo, v69, v3, vcc_lo
	global_store_b64 v[2:3], v[0:1], off
	s_or_b32 exec_lo, exec_lo, s0
	s_and_b32 s1, s8, s11
	s_delay_alu instid0(SALU_CYCLE_1)
	s_and_saveexec_b32 s0, s1
	s_cbranch_execz .LBB189_244
.LBB189_306:
	scratch_load_b64 v[0:1], off, off offset:336
	v_cmp_ne_u32_e32 vcc_lo, 1, v70
	v_lshlrev_b64 v[2:3], 3, v[20:21]
	s_cbranch_vccnz .LBB189_308
; %bb.307:
	s_delay_alu instid0(VALU_DEP_1) | instskip(NEXT) | instid1(VALU_DEP_2)
	v_add_co_u32 v4, vcc_lo, v71, v2
	v_add_co_ci_u32_e32 v5, vcc_lo, v72, v3, vcc_lo
	flat_load_b64 v[4:5], v[4:5]
	s_waitcnt vmcnt(0) lgkmcnt(0)
	v_mul_f64 v[4:5], s[34:35], v[4:5]
	s_branch .LBB189_309
.LBB189_308:
	v_mov_b32_e32 v4, 0
	v_mov_b32_e32 v5, 0
.LBB189_309:
	s_waitcnt vmcnt(0)
	s_delay_alu instid0(VALU_DEP_1)
	v_add_f64 v[0:1], v[0:1], v[4:5]
	v_add_co_u32 v2, vcc_lo, v68, v2
	v_add_co_ci_u32_e32 v3, vcc_lo, v69, v3, vcc_lo
	global_store_b64 v[2:3], v[0:1], off
	s_or_b32 exec_lo, exec_lo, s0
	s_and_b32 s1, s8, s12
	s_delay_alu instid0(SALU_CYCLE_1)
	s_and_saveexec_b32 s0, s1
	s_cbranch_execz .LBB189_245
.LBB189_310:
	scratch_load_b64 v[0:1], off, off offset:344
	v_cmp_ne_u32_e32 vcc_lo, 1, v70
	v_lshlrev_b64 v[2:3], 3, v[22:23]
	s_cbranch_vccnz .LBB189_312
; %bb.311:
	s_delay_alu instid0(VALU_DEP_1) | instskip(NEXT) | instid1(VALU_DEP_2)
	v_add_co_u32 v4, vcc_lo, v71, v2
	v_add_co_ci_u32_e32 v5, vcc_lo, v72, v3, vcc_lo
	flat_load_b64 v[4:5], v[4:5]
	s_waitcnt vmcnt(0) lgkmcnt(0)
	v_mul_f64 v[4:5], s[34:35], v[4:5]
	s_branch .LBB189_313
.LBB189_312:
	v_mov_b32_e32 v4, 0
	v_mov_b32_e32 v5, 0
.LBB189_313:
	s_waitcnt vmcnt(0)
	s_delay_alu instid0(VALU_DEP_1)
	v_add_f64 v[0:1], v[0:1], v[4:5]
	v_add_co_u32 v2, vcc_lo, v68, v2
	v_add_co_ci_u32_e32 v3, vcc_lo, v69, v3, vcc_lo
	global_store_b64 v[2:3], v[0:1], off
	s_or_b32 exec_lo, exec_lo, s0
	s_and_b32 s1, s8, s13
	s_delay_alu instid0(SALU_CYCLE_1)
	s_and_saveexec_b32 s0, s1
	s_cbranch_execz .LBB189_246
.LBB189_314:
	scratch_load_b64 v[0:1], off, off offset:352
	v_cmp_ne_u32_e32 vcc_lo, 1, v70
	v_lshlrev_b64 v[2:3], 3, v[24:25]
	s_cbranch_vccnz .LBB189_316
; %bb.315:
	s_delay_alu instid0(VALU_DEP_1) | instskip(NEXT) | instid1(VALU_DEP_2)
	v_add_co_u32 v4, vcc_lo, v71, v2
	v_add_co_ci_u32_e32 v5, vcc_lo, v72, v3, vcc_lo
	flat_load_b64 v[4:5], v[4:5]
	s_waitcnt vmcnt(0) lgkmcnt(0)
	v_mul_f64 v[4:5], s[34:35], v[4:5]
	s_branch .LBB189_317
.LBB189_316:
	v_mov_b32_e32 v4, 0
	v_mov_b32_e32 v5, 0
.LBB189_317:
	s_waitcnt vmcnt(0)
	s_delay_alu instid0(VALU_DEP_1)
	v_add_f64 v[0:1], v[0:1], v[4:5]
	v_add_co_u32 v2, vcc_lo, v68, v2
	v_add_co_ci_u32_e32 v3, vcc_lo, v69, v3, vcc_lo
	global_store_b64 v[2:3], v[0:1], off
	s_or_b32 exec_lo, exec_lo, s0
	s_and_b32 s1, s8, s14
	s_delay_alu instid0(SALU_CYCLE_1)
	s_and_saveexec_b32 s0, s1
	s_cbranch_execz .LBB189_247
.LBB189_318:
	scratch_load_b64 v[0:1], off, off offset:360
	v_cmp_ne_u32_e32 vcc_lo, 1, v70
	v_lshlrev_b64 v[2:3], 3, v[26:27]
	s_cbranch_vccnz .LBB189_320
; %bb.319:
	s_delay_alu instid0(VALU_DEP_1) | instskip(NEXT) | instid1(VALU_DEP_2)
	v_add_co_u32 v4, vcc_lo, v71, v2
	v_add_co_ci_u32_e32 v5, vcc_lo, v72, v3, vcc_lo
	flat_load_b64 v[4:5], v[4:5]
	s_waitcnt vmcnt(0) lgkmcnt(0)
	v_mul_f64 v[4:5], s[34:35], v[4:5]
	s_branch .LBB189_321
.LBB189_320:
	v_mov_b32_e32 v4, 0
	v_mov_b32_e32 v5, 0
.LBB189_321:
	s_waitcnt vmcnt(0)
	s_delay_alu instid0(VALU_DEP_1)
	v_add_f64 v[0:1], v[0:1], v[4:5]
	v_add_co_u32 v2, vcc_lo, v68, v2
	v_add_co_ci_u32_e32 v3, vcc_lo, v69, v3, vcc_lo
	global_store_b64 v[2:3], v[0:1], off
	s_or_b32 exec_lo, exec_lo, s0
	s_and_b32 s1, s8, s15
	s_delay_alu instid0(SALU_CYCLE_1)
	s_and_saveexec_b32 s0, s1
	s_cbranch_execz .LBB189_248
.LBB189_322:
	scratch_load_b64 v[0:1], off, off offset:368
	v_cmp_ne_u32_e32 vcc_lo, 1, v70
	v_lshlrev_b64 v[2:3], 3, v[28:29]
	s_cbranch_vccnz .LBB189_324
; %bb.323:
	s_delay_alu instid0(VALU_DEP_1) | instskip(NEXT) | instid1(VALU_DEP_2)
	v_add_co_u32 v4, vcc_lo, v71, v2
	v_add_co_ci_u32_e32 v5, vcc_lo, v72, v3, vcc_lo
	flat_load_b64 v[4:5], v[4:5]
	s_waitcnt vmcnt(0) lgkmcnt(0)
	v_mul_f64 v[4:5], s[34:35], v[4:5]
	s_branch .LBB189_325
.LBB189_324:
	v_mov_b32_e32 v4, 0
	v_mov_b32_e32 v5, 0
.LBB189_325:
	s_waitcnt vmcnt(0)
	s_delay_alu instid0(VALU_DEP_1)
	v_add_f64 v[0:1], v[0:1], v[4:5]
	v_add_co_u32 v2, vcc_lo, v68, v2
	v_add_co_ci_u32_e32 v3, vcc_lo, v69, v3, vcc_lo
	global_store_b64 v[2:3], v[0:1], off
	s_or_b32 exec_lo, exec_lo, s0
	s_and_b32 s1, s8, s16
	s_delay_alu instid0(SALU_CYCLE_1)
	s_and_saveexec_b32 s0, s1
	s_cbranch_execz .LBB189_249
.LBB189_326:
	scratch_load_b64 v[0:1], off, off offset:376
	v_cmp_ne_u32_e32 vcc_lo, 1, v70
	v_lshlrev_b64 v[2:3], 3, v[30:31]
	s_cbranch_vccnz .LBB189_328
; %bb.327:
	s_delay_alu instid0(VALU_DEP_1) | instskip(NEXT) | instid1(VALU_DEP_2)
	v_add_co_u32 v4, vcc_lo, v71, v2
	v_add_co_ci_u32_e32 v5, vcc_lo, v72, v3, vcc_lo
	flat_load_b64 v[4:5], v[4:5]
	s_waitcnt vmcnt(0) lgkmcnt(0)
	v_mul_f64 v[4:5], s[34:35], v[4:5]
	s_branch .LBB189_329
.LBB189_328:
	v_mov_b32_e32 v4, 0
	v_mov_b32_e32 v5, 0
.LBB189_329:
	s_waitcnt vmcnt(0)
	s_delay_alu instid0(VALU_DEP_1)
	v_add_f64 v[0:1], v[0:1], v[4:5]
	v_add_co_u32 v2, vcc_lo, v68, v2
	v_add_co_ci_u32_e32 v3, vcc_lo, v69, v3, vcc_lo
	global_store_b64 v[2:3], v[0:1], off
	s_or_b32 exec_lo, exec_lo, s0
	s_and_b32 s1, s8, s17
	s_delay_alu instid0(SALU_CYCLE_1)
	s_and_saveexec_b32 s0, s1
	s_cbranch_execz .LBB189_250
.LBB189_330:
	scratch_load_b64 v[0:1], off, off offset:384
	v_cmp_ne_u32_e32 vcc_lo, 1, v70
	v_lshlrev_b64 v[2:3], 3, v[32:33]
	s_cbranch_vccnz .LBB189_332
; %bb.331:
	s_delay_alu instid0(VALU_DEP_1) | instskip(NEXT) | instid1(VALU_DEP_2)
	v_add_co_u32 v4, vcc_lo, v71, v2
	v_add_co_ci_u32_e32 v5, vcc_lo, v72, v3, vcc_lo
	flat_load_b64 v[4:5], v[4:5]
	s_waitcnt vmcnt(0) lgkmcnt(0)
	v_mul_f64 v[4:5], s[34:35], v[4:5]
	s_branch .LBB189_333
.LBB189_332:
	v_mov_b32_e32 v4, 0
	v_mov_b32_e32 v5, 0
.LBB189_333:
	s_waitcnt vmcnt(0)
	s_delay_alu instid0(VALU_DEP_1)
	v_add_f64 v[0:1], v[0:1], v[4:5]
	v_add_co_u32 v2, vcc_lo, v68, v2
	v_add_co_ci_u32_e32 v3, vcc_lo, v69, v3, vcc_lo
	global_store_b64 v[2:3], v[0:1], off
	s_or_b32 exec_lo, exec_lo, s0
	s_and_b32 s1, s8, s18
	s_delay_alu instid0(SALU_CYCLE_1)
	s_and_saveexec_b32 s0, s1
	s_cbranch_execz .LBB189_251
.LBB189_334:
	scratch_load_b64 v[0:1], off, off offset:392
	v_cmp_ne_u32_e32 vcc_lo, 1, v70
	v_lshlrev_b64 v[2:3], 3, v[34:35]
	s_cbranch_vccnz .LBB189_336
; %bb.335:
	s_delay_alu instid0(VALU_DEP_1) | instskip(NEXT) | instid1(VALU_DEP_2)
	v_add_co_u32 v4, vcc_lo, v71, v2
	v_add_co_ci_u32_e32 v5, vcc_lo, v72, v3, vcc_lo
	flat_load_b64 v[4:5], v[4:5]
	s_waitcnt vmcnt(0) lgkmcnt(0)
	v_mul_f64 v[4:5], s[34:35], v[4:5]
	s_branch .LBB189_337
.LBB189_336:
	v_mov_b32_e32 v4, 0
	v_mov_b32_e32 v5, 0
.LBB189_337:
	s_waitcnt vmcnt(0)
	s_delay_alu instid0(VALU_DEP_1)
	v_add_f64 v[0:1], v[0:1], v[4:5]
	v_add_co_u32 v2, vcc_lo, v68, v2
	v_add_co_ci_u32_e32 v3, vcc_lo, v69, v3, vcc_lo
	global_store_b64 v[2:3], v[0:1], off
	s_or_b32 exec_lo, exec_lo, s0
	s_and_b32 s1, s8, s19
	s_delay_alu instid0(SALU_CYCLE_1)
	s_and_saveexec_b32 s0, s1
	s_cbranch_execz .LBB189_252
.LBB189_338:
	scratch_load_b64 v[0:1], off, off offset:400
	v_cmp_ne_u32_e32 vcc_lo, 1, v70
	v_lshlrev_b64 v[2:3], 3, v[36:37]
	s_cbranch_vccnz .LBB189_340
; %bb.339:
	s_delay_alu instid0(VALU_DEP_1) | instskip(NEXT) | instid1(VALU_DEP_2)
	v_add_co_u32 v4, vcc_lo, v71, v2
	v_add_co_ci_u32_e32 v5, vcc_lo, v72, v3, vcc_lo
	flat_load_b64 v[4:5], v[4:5]
	s_waitcnt vmcnt(0) lgkmcnt(0)
	v_mul_f64 v[4:5], s[34:35], v[4:5]
	s_branch .LBB189_341
.LBB189_340:
	v_mov_b32_e32 v4, 0
	v_mov_b32_e32 v5, 0
.LBB189_341:
	s_waitcnt vmcnt(0)
	s_delay_alu instid0(VALU_DEP_1)
	v_add_f64 v[0:1], v[0:1], v[4:5]
	v_add_co_u32 v2, vcc_lo, v68, v2
	v_add_co_ci_u32_e32 v3, vcc_lo, v69, v3, vcc_lo
	global_store_b64 v[2:3], v[0:1], off
	s_or_b32 exec_lo, exec_lo, s0
	s_and_b32 s1, s8, s20
	s_delay_alu instid0(SALU_CYCLE_1)
	s_and_saveexec_b32 s0, s1
	s_cbranch_execz .LBB189_253
.LBB189_342:
	scratch_load_b64 v[0:1], off, off offset:408
	v_cmp_ne_u32_e32 vcc_lo, 1, v70
	v_lshlrev_b64 v[2:3], 3, v[38:39]
	s_cbranch_vccnz .LBB189_344
; %bb.343:
	s_delay_alu instid0(VALU_DEP_1) | instskip(NEXT) | instid1(VALU_DEP_2)
	v_add_co_u32 v4, vcc_lo, v71, v2
	v_add_co_ci_u32_e32 v5, vcc_lo, v72, v3, vcc_lo
	flat_load_b64 v[4:5], v[4:5]
	s_waitcnt vmcnt(0) lgkmcnt(0)
	v_mul_f64 v[4:5], s[34:35], v[4:5]
	s_branch .LBB189_345
.LBB189_344:
	v_mov_b32_e32 v4, 0
	v_mov_b32_e32 v5, 0
.LBB189_345:
	s_waitcnt vmcnt(0)
	s_delay_alu instid0(VALU_DEP_1)
	v_add_f64 v[0:1], v[0:1], v[4:5]
	v_add_co_u32 v2, vcc_lo, v68, v2
	v_add_co_ci_u32_e32 v3, vcc_lo, v69, v3, vcc_lo
	global_store_b64 v[2:3], v[0:1], off
	s_or_b32 exec_lo, exec_lo, s0
	s_and_b32 s1, s8, s21
	s_delay_alu instid0(SALU_CYCLE_1)
	s_and_saveexec_b32 s0, s1
	s_cbranch_execz .LBB189_254
.LBB189_346:
	scratch_load_b64 v[0:1], off, off offset:416
	v_cmp_ne_u32_e32 vcc_lo, 1, v70
	v_lshlrev_b64 v[2:3], 3, v[40:41]
	s_cbranch_vccnz .LBB189_348
; %bb.347:
	s_delay_alu instid0(VALU_DEP_1) | instskip(NEXT) | instid1(VALU_DEP_2)
	v_add_co_u32 v4, vcc_lo, v71, v2
	v_add_co_ci_u32_e32 v5, vcc_lo, v72, v3, vcc_lo
	flat_load_b64 v[4:5], v[4:5]
	s_waitcnt vmcnt(0) lgkmcnt(0)
	v_mul_f64 v[4:5], s[34:35], v[4:5]
	s_branch .LBB189_349
.LBB189_348:
	v_mov_b32_e32 v4, 0
	v_mov_b32_e32 v5, 0
.LBB189_349:
	s_waitcnt vmcnt(0)
	s_delay_alu instid0(VALU_DEP_1)
	v_add_f64 v[0:1], v[0:1], v[4:5]
	v_add_co_u32 v2, vcc_lo, v68, v2
	v_add_co_ci_u32_e32 v3, vcc_lo, v69, v3, vcc_lo
	global_store_b64 v[2:3], v[0:1], off
	s_or_b32 exec_lo, exec_lo, s0
	s_and_b32 s1, s8, s22
	s_delay_alu instid0(SALU_CYCLE_1)
	s_and_saveexec_b32 s0, s1
	s_cbranch_execz .LBB189_255
.LBB189_350:
	scratch_load_b64 v[0:1], off, off offset:424
	v_cmp_ne_u32_e32 vcc_lo, 1, v70
	v_lshlrev_b64 v[2:3], 3, v[42:43]
	s_cbranch_vccnz .LBB189_352
; %bb.351:
	s_delay_alu instid0(VALU_DEP_1) | instskip(NEXT) | instid1(VALU_DEP_2)
	v_add_co_u32 v4, vcc_lo, v71, v2
	v_add_co_ci_u32_e32 v5, vcc_lo, v72, v3, vcc_lo
	flat_load_b64 v[4:5], v[4:5]
	s_waitcnt vmcnt(0) lgkmcnt(0)
	v_mul_f64 v[4:5], s[34:35], v[4:5]
	s_branch .LBB189_353
.LBB189_352:
	v_mov_b32_e32 v4, 0
	v_mov_b32_e32 v5, 0
.LBB189_353:
	s_waitcnt vmcnt(0)
	s_delay_alu instid0(VALU_DEP_1)
	v_add_f64 v[0:1], v[0:1], v[4:5]
	v_add_co_u32 v2, vcc_lo, v68, v2
	v_add_co_ci_u32_e32 v3, vcc_lo, v69, v3, vcc_lo
	global_store_b64 v[2:3], v[0:1], off
	s_or_b32 exec_lo, exec_lo, s0
	s_and_b32 s1, s8, s23
	s_delay_alu instid0(SALU_CYCLE_1)
	s_and_saveexec_b32 s0, s1
	s_cbranch_execz .LBB189_256
.LBB189_354:
	scratch_load_b64 v[0:1], off, off offset:432
	v_cmp_ne_u32_e32 vcc_lo, 1, v70
	v_lshlrev_b64 v[2:3], 3, v[44:45]
	s_cbranch_vccnz .LBB189_356
; %bb.355:
	s_delay_alu instid0(VALU_DEP_1) | instskip(NEXT) | instid1(VALU_DEP_2)
	v_add_co_u32 v4, vcc_lo, v71, v2
	v_add_co_ci_u32_e32 v5, vcc_lo, v72, v3, vcc_lo
	flat_load_b64 v[4:5], v[4:5]
	s_waitcnt vmcnt(0) lgkmcnt(0)
	v_mul_f64 v[4:5], s[34:35], v[4:5]
	s_branch .LBB189_357
.LBB189_356:
	v_mov_b32_e32 v4, 0
	v_mov_b32_e32 v5, 0
.LBB189_357:
	s_waitcnt vmcnt(0)
	s_delay_alu instid0(VALU_DEP_1)
	v_add_f64 v[0:1], v[0:1], v[4:5]
	v_add_co_u32 v2, vcc_lo, v68, v2
	v_add_co_ci_u32_e32 v3, vcc_lo, v69, v3, vcc_lo
	global_store_b64 v[2:3], v[0:1], off
	s_or_b32 exec_lo, exec_lo, s0
	s_and_b32 s1, s8, s24
	s_delay_alu instid0(SALU_CYCLE_1)
	s_and_saveexec_b32 s0, s1
	s_cbranch_execz .LBB189_257
.LBB189_358:
	scratch_load_b64 v[0:1], off, off offset:440
	v_cmp_ne_u32_e32 vcc_lo, 1, v70
	v_lshlrev_b64 v[2:3], 3, v[46:47]
	s_cbranch_vccnz .LBB189_360
; %bb.359:
	s_delay_alu instid0(VALU_DEP_1) | instskip(NEXT) | instid1(VALU_DEP_2)
	v_add_co_u32 v4, vcc_lo, v71, v2
	v_add_co_ci_u32_e32 v5, vcc_lo, v72, v3, vcc_lo
	flat_load_b64 v[4:5], v[4:5]
	s_waitcnt vmcnt(0) lgkmcnt(0)
	v_mul_f64 v[4:5], s[34:35], v[4:5]
	s_branch .LBB189_361
.LBB189_360:
	v_mov_b32_e32 v4, 0
	v_mov_b32_e32 v5, 0
.LBB189_361:
	s_waitcnt vmcnt(0)
	s_delay_alu instid0(VALU_DEP_1)
	v_add_f64 v[0:1], v[0:1], v[4:5]
	v_add_co_u32 v2, vcc_lo, v68, v2
	v_add_co_ci_u32_e32 v3, vcc_lo, v69, v3, vcc_lo
	global_store_b64 v[2:3], v[0:1], off
	s_or_b32 exec_lo, exec_lo, s0
	s_and_b32 s1, s8, s25
	s_delay_alu instid0(SALU_CYCLE_1)
	s_and_saveexec_b32 s0, s1
	s_cbranch_execz .LBB189_258
.LBB189_362:
	scratch_load_b64 v[0:1], off, off offset:448
	v_cmp_ne_u32_e32 vcc_lo, 1, v70
	v_lshlrev_b64 v[2:3], 3, v[48:49]
	s_cbranch_vccnz .LBB189_364
; %bb.363:
	s_delay_alu instid0(VALU_DEP_1) | instskip(NEXT) | instid1(VALU_DEP_2)
	v_add_co_u32 v4, vcc_lo, v71, v2
	v_add_co_ci_u32_e32 v5, vcc_lo, v72, v3, vcc_lo
	flat_load_b64 v[4:5], v[4:5]
	s_waitcnt vmcnt(0) lgkmcnt(0)
	v_mul_f64 v[4:5], s[34:35], v[4:5]
	s_branch .LBB189_365
.LBB189_364:
	v_mov_b32_e32 v4, 0
	v_mov_b32_e32 v5, 0
.LBB189_365:
	s_waitcnt vmcnt(0)
	s_delay_alu instid0(VALU_DEP_1)
	v_add_f64 v[0:1], v[0:1], v[4:5]
	v_add_co_u32 v2, vcc_lo, v68, v2
	v_add_co_ci_u32_e32 v3, vcc_lo, v69, v3, vcc_lo
	global_store_b64 v[2:3], v[0:1], off
	s_or_b32 exec_lo, exec_lo, s0
	s_and_b32 s1, s8, s26
	s_delay_alu instid0(SALU_CYCLE_1)
	s_and_saveexec_b32 s0, s1
	s_cbranch_execz .LBB189_259
.LBB189_366:
	scratch_load_b64 v[0:1], off, off offset:456
	v_cmp_ne_u32_e32 vcc_lo, 1, v70
	v_lshlrev_b64 v[2:3], 3, v[50:51]
	s_cbranch_vccnz .LBB189_368
; %bb.367:
	s_delay_alu instid0(VALU_DEP_1) | instskip(NEXT) | instid1(VALU_DEP_2)
	v_add_co_u32 v4, vcc_lo, v71, v2
	v_add_co_ci_u32_e32 v5, vcc_lo, v72, v3, vcc_lo
	flat_load_b64 v[4:5], v[4:5]
	s_waitcnt vmcnt(0) lgkmcnt(0)
	v_mul_f64 v[4:5], s[34:35], v[4:5]
	s_branch .LBB189_369
.LBB189_368:
	v_mov_b32_e32 v4, 0
	v_mov_b32_e32 v5, 0
.LBB189_369:
	s_waitcnt vmcnt(0)
	s_delay_alu instid0(VALU_DEP_1)
	v_add_f64 v[0:1], v[0:1], v[4:5]
	v_add_co_u32 v2, vcc_lo, v68, v2
	v_add_co_ci_u32_e32 v3, vcc_lo, v69, v3, vcc_lo
	global_store_b64 v[2:3], v[0:1], off
	s_or_b32 exec_lo, exec_lo, s0
	s_and_b32 s1, s8, s27
	s_delay_alu instid0(SALU_CYCLE_1)
	s_and_saveexec_b32 s0, s1
	s_cbranch_execz .LBB189_260
.LBB189_370:
	scratch_load_b64 v[0:1], off, off offset:464
	v_cmp_ne_u32_e32 vcc_lo, 1, v70
	v_lshlrev_b64 v[2:3], 3, v[52:53]
	s_cbranch_vccnz .LBB189_372
; %bb.371:
	s_delay_alu instid0(VALU_DEP_1) | instskip(NEXT) | instid1(VALU_DEP_2)
	v_add_co_u32 v4, vcc_lo, v71, v2
	v_add_co_ci_u32_e32 v5, vcc_lo, v72, v3, vcc_lo
	flat_load_b64 v[4:5], v[4:5]
	s_waitcnt vmcnt(0) lgkmcnt(0)
	v_mul_f64 v[4:5], s[34:35], v[4:5]
	s_branch .LBB189_373
.LBB189_372:
	v_mov_b32_e32 v4, 0
	v_mov_b32_e32 v5, 0
.LBB189_373:
	s_waitcnt vmcnt(0)
	s_delay_alu instid0(VALU_DEP_1)
	v_add_f64 v[0:1], v[0:1], v[4:5]
	v_add_co_u32 v2, vcc_lo, v68, v2
	v_add_co_ci_u32_e32 v3, vcc_lo, v69, v3, vcc_lo
	global_store_b64 v[2:3], v[0:1], off
	s_or_b32 exec_lo, exec_lo, s0
	s_and_b32 s1, s8, s28
	s_delay_alu instid0(SALU_CYCLE_1)
	s_and_saveexec_b32 s0, s1
	s_cbranch_execz .LBB189_261
.LBB189_374:
	scratch_load_b64 v[0:1], off, off offset:472
	v_cmp_ne_u32_e32 vcc_lo, 1, v70
	v_lshlrev_b64 v[2:3], 3, v[54:55]
	s_cbranch_vccnz .LBB189_376
; %bb.375:
	s_delay_alu instid0(VALU_DEP_1) | instskip(NEXT) | instid1(VALU_DEP_2)
	v_add_co_u32 v4, vcc_lo, v71, v2
	v_add_co_ci_u32_e32 v5, vcc_lo, v72, v3, vcc_lo
	flat_load_b64 v[4:5], v[4:5]
	s_waitcnt vmcnt(0) lgkmcnt(0)
	v_mul_f64 v[4:5], s[34:35], v[4:5]
	s_branch .LBB189_377
.LBB189_376:
	v_mov_b32_e32 v4, 0
	v_mov_b32_e32 v5, 0
.LBB189_377:
	s_waitcnt vmcnt(0)
	s_delay_alu instid0(VALU_DEP_1)
	v_add_f64 v[0:1], v[0:1], v[4:5]
	v_add_co_u32 v2, vcc_lo, v68, v2
	v_add_co_ci_u32_e32 v3, vcc_lo, v69, v3, vcc_lo
	global_store_b64 v[2:3], v[0:1], off
	s_or_b32 exec_lo, exec_lo, s0
	s_and_b32 s1, s8, s29
	s_delay_alu instid0(SALU_CYCLE_1)
	s_and_saveexec_b32 s0, s1
	s_cbranch_execz .LBB189_262
.LBB189_378:
	scratch_load_b64 v[0:1], off, off offset:480
	v_cmp_ne_u32_e32 vcc_lo, 1, v70
	v_lshlrev_b64 v[2:3], 3, v[56:57]
	s_cbranch_vccnz .LBB189_380
; %bb.379:
	s_delay_alu instid0(VALU_DEP_1) | instskip(NEXT) | instid1(VALU_DEP_2)
	v_add_co_u32 v4, vcc_lo, v71, v2
	v_add_co_ci_u32_e32 v5, vcc_lo, v72, v3, vcc_lo
	flat_load_b64 v[4:5], v[4:5]
	s_waitcnt vmcnt(0) lgkmcnt(0)
	v_mul_f64 v[4:5], s[34:35], v[4:5]
	s_branch .LBB189_381
.LBB189_380:
	v_mov_b32_e32 v4, 0
	v_mov_b32_e32 v5, 0
.LBB189_381:
	s_waitcnt vmcnt(0)
	s_delay_alu instid0(VALU_DEP_1)
	v_add_f64 v[0:1], v[0:1], v[4:5]
	v_add_co_u32 v2, vcc_lo, v68, v2
	v_add_co_ci_u32_e32 v3, vcc_lo, v69, v3, vcc_lo
	global_store_b64 v[2:3], v[0:1], off
	s_or_b32 exec_lo, exec_lo, s0
	s_and_b32 s1, s8, s30
	s_delay_alu instid0(SALU_CYCLE_1)
	s_and_saveexec_b32 s0, s1
	s_cbranch_execz .LBB189_263
.LBB189_382:
	scratch_load_b64 v[0:1], off, off offset:488
	v_cmp_ne_u32_e32 vcc_lo, 1, v70
	v_lshlrev_b64 v[2:3], 3, v[58:59]
	s_cbranch_vccnz .LBB189_384
; %bb.383:
	s_delay_alu instid0(VALU_DEP_1) | instskip(NEXT) | instid1(VALU_DEP_2)
	v_add_co_u32 v4, vcc_lo, v71, v2
	v_add_co_ci_u32_e32 v5, vcc_lo, v72, v3, vcc_lo
	flat_load_b64 v[4:5], v[4:5]
	s_waitcnt vmcnt(0) lgkmcnt(0)
	v_mul_f64 v[4:5], s[34:35], v[4:5]
	s_branch .LBB189_385
.LBB189_384:
	v_mov_b32_e32 v4, 0
	v_mov_b32_e32 v5, 0
.LBB189_385:
	s_waitcnt vmcnt(0)
	s_delay_alu instid0(VALU_DEP_1)
	v_add_f64 v[0:1], v[0:1], v[4:5]
	v_add_co_u32 v2, vcc_lo, v68, v2
	v_add_co_ci_u32_e32 v3, vcc_lo, v69, v3, vcc_lo
	global_store_b64 v[2:3], v[0:1], off
	s_or_b32 exec_lo, exec_lo, s0
	s_and_b32 s1, s8, s31
	s_delay_alu instid0(SALU_CYCLE_1)
	s_and_saveexec_b32 s0, s1
	s_cbranch_execz .LBB189_264
.LBB189_386:
	scratch_load_b64 v[0:1], off, off offset:496
	v_cmp_ne_u32_e32 vcc_lo, 1, v70
	v_lshlrev_b64 v[2:3], 3, v[60:61]
	s_cbranch_vccnz .LBB189_388
; %bb.387:
	s_delay_alu instid0(VALU_DEP_1) | instskip(NEXT) | instid1(VALU_DEP_2)
	v_add_co_u32 v4, vcc_lo, v71, v2
	v_add_co_ci_u32_e32 v5, vcc_lo, v72, v3, vcc_lo
	flat_load_b64 v[4:5], v[4:5]
	s_waitcnt vmcnt(0) lgkmcnt(0)
	v_mul_f64 v[4:5], s[34:35], v[4:5]
	s_branch .LBB189_389
.LBB189_388:
	v_mov_b32_e32 v4, 0
	v_mov_b32_e32 v5, 0
.LBB189_389:
	s_waitcnt vmcnt(0)
	s_delay_alu instid0(VALU_DEP_1)
	v_add_f64 v[0:1], v[0:1], v[4:5]
	v_add_co_u32 v2, vcc_lo, v68, v2
	v_add_co_ci_u32_e32 v3, vcc_lo, v69, v3, vcc_lo
	global_store_b64 v[2:3], v[0:1], off
	s_or_b32 exec_lo, exec_lo, s0
	s_and_b32 s0, s8, s33
	s_delay_alu instid0(SALU_CYCLE_1)
	s_and_saveexec_b32 s1, s0
	s_cbranch_execz .LBB189_265
.LBB189_390:
	scratch_load_b64 v[0:1], off, off offset:504
	v_cmp_ne_u32_e32 vcc_lo, 1, v70
	v_lshlrev_b64 v[2:3], 3, v[62:63]
	s_cbranch_vccnz .LBB189_392
; %bb.391:
	s_delay_alu instid0(VALU_DEP_1) | instskip(NEXT) | instid1(VALU_DEP_2)
	v_add_co_u32 v4, vcc_lo, v71, v2
	v_add_co_ci_u32_e32 v5, vcc_lo, v72, v3, vcc_lo
	flat_load_b64 v[4:5], v[4:5]
	s_waitcnt vmcnt(0) lgkmcnt(0)
	v_mul_f64 v[4:5], s[34:35], v[4:5]
	s_branch .LBB189_393
.LBB189_392:
	v_mov_b32_e32 v4, 0
	v_mov_b32_e32 v5, 0
.LBB189_393:
	s_waitcnt vmcnt(0)
	s_delay_alu instid0(VALU_DEP_1)
	v_add_f64 v[0:1], v[0:1], v[4:5]
	v_add_co_u32 v2, vcc_lo, v68, v2
	v_add_co_ci_u32_e32 v3, vcc_lo, v69, v3, vcc_lo
	global_store_b64 v[2:3], v[0:1], off
	s_endpgm
	.section	.rodata,"a",@progbits
	.p2align	6, 0x0
	.amdhsa_kernel _ZN12_GLOBAL__N_120geam_min_plus_kernelIdddLi4ELi64ELi128ELi128ELi4ELi4ELi64ELi4ELi64ELc84ELc78ELb0ELb1ELb0EPKdS1_dEEviiiT16_PT17_ilS5_ilS3_S5_ilPT18_ili26rocblas_geam_ex_operation_
		.amdhsa_group_segment_fixed_size 16384
		.amdhsa_private_segment_fixed_size 528
		.amdhsa_kernarg_size 136
		.amdhsa_user_sgpr_count 14
		.amdhsa_user_sgpr_dispatch_ptr 0
		.amdhsa_user_sgpr_queue_ptr 0
		.amdhsa_user_sgpr_kernarg_segment_ptr 1
		.amdhsa_user_sgpr_dispatch_id 0
		.amdhsa_user_sgpr_private_segment_size 0
		.amdhsa_wavefront_size32 1
		.amdhsa_uses_dynamic_stack 0
		.amdhsa_enable_private_segment 1
		.amdhsa_system_sgpr_workgroup_id_x 1
		.amdhsa_system_sgpr_workgroup_id_y 0
		.amdhsa_system_sgpr_workgroup_id_z 1
		.amdhsa_system_sgpr_workgroup_info 0
		.amdhsa_system_vgpr_workitem_id 1
		.amdhsa_next_free_vgpr 250
		.amdhsa_next_free_sgpr 46
		.amdhsa_reserve_vcc 1
		.amdhsa_float_round_mode_32 0
		.amdhsa_float_round_mode_16_64 0
		.amdhsa_float_denorm_mode_32 3
		.amdhsa_float_denorm_mode_16_64 3
		.amdhsa_dx10_clamp 1
		.amdhsa_ieee_mode 1
		.amdhsa_fp16_overflow 0
		.amdhsa_workgroup_processor_mode 1
		.amdhsa_memory_ordered 1
		.amdhsa_forward_progress 0
		.amdhsa_shared_vgpr_count 0
		.amdhsa_exception_fp_ieee_invalid_op 0
		.amdhsa_exception_fp_denorm_src 0
		.amdhsa_exception_fp_ieee_div_zero 0
		.amdhsa_exception_fp_ieee_overflow 0
		.amdhsa_exception_fp_ieee_underflow 0
		.amdhsa_exception_fp_ieee_inexact 0
		.amdhsa_exception_int_div_zero 0
	.end_amdhsa_kernel
	.section	.text._ZN12_GLOBAL__N_120geam_min_plus_kernelIdddLi4ELi64ELi128ELi128ELi4ELi4ELi64ELi4ELi64ELc84ELc78ELb0ELb1ELb0EPKdS1_dEEviiiT16_PT17_ilS5_ilS3_S5_ilPT18_ili26rocblas_geam_ex_operation_,"axG",@progbits,_ZN12_GLOBAL__N_120geam_min_plus_kernelIdddLi4ELi64ELi128ELi128ELi4ELi4ELi64ELi4ELi64ELc84ELc78ELb0ELb1ELb0EPKdS1_dEEviiiT16_PT17_ilS5_ilS3_S5_ilPT18_ili26rocblas_geam_ex_operation_,comdat
.Lfunc_end189:
	.size	_ZN12_GLOBAL__N_120geam_min_plus_kernelIdddLi4ELi64ELi128ELi128ELi4ELi4ELi64ELi4ELi64ELc84ELc78ELb0ELb1ELb0EPKdS1_dEEviiiT16_PT17_ilS5_ilS3_S5_ilPT18_ili26rocblas_geam_ex_operation_, .Lfunc_end189-_ZN12_GLOBAL__N_120geam_min_plus_kernelIdddLi4ELi64ELi128ELi128ELi4ELi4ELi64ELi4ELi64ELc84ELc78ELb0ELb1ELb0EPKdS1_dEEviiiT16_PT17_ilS5_ilS3_S5_ilPT18_ili26rocblas_geam_ex_operation_
                                        ; -- End function
	.section	.AMDGPU.csdata,"",@progbits
; Kernel info:
; codeLenInByte = 47328
; NumSgprs: 48
; NumVgprs: 250
; ScratchSize: 528
; MemoryBound: 1
; FloatMode: 240
; IeeeMode: 1
; LDSByteSize: 16384 bytes/workgroup (compile time only)
; SGPRBlocks: 5
; VGPRBlocks: 31
; NumSGPRsForWavesPerEU: 48
; NumVGPRsForWavesPerEU: 250
; Occupancy: 5
; WaveLimiterHint : 1
; COMPUTE_PGM_RSRC2:SCRATCH_EN: 1
; COMPUTE_PGM_RSRC2:USER_SGPR: 14
; COMPUTE_PGM_RSRC2:TRAP_HANDLER: 0
; COMPUTE_PGM_RSRC2:TGID_X_EN: 1
; COMPUTE_PGM_RSRC2:TGID_Y_EN: 0
; COMPUTE_PGM_RSRC2:TGID_Z_EN: 1
; COMPUTE_PGM_RSRC2:TIDIG_COMP_CNT: 1
	.section	.text._ZN12_GLOBAL__N_120geam_min_plus_kernelIdddLi4ELi64ELi128ELi128ELi4ELi4ELi64ELi4ELi64ELc84ELc78ELb1ELb1ELb0EdKddEEviiiT16_PT17_ilS4_ilS2_S4_ilPT18_ili26rocblas_geam_ex_operation_,"axG",@progbits,_ZN12_GLOBAL__N_120geam_min_plus_kernelIdddLi4ELi64ELi128ELi128ELi4ELi4ELi64ELi4ELi64ELc84ELc78ELb1ELb1ELb0EdKddEEviiiT16_PT17_ilS4_ilS2_S4_ilPT18_ili26rocblas_geam_ex_operation_,comdat
	.globl	_ZN12_GLOBAL__N_120geam_min_plus_kernelIdddLi4ELi64ELi128ELi128ELi4ELi4ELi64ELi4ELi64ELc84ELc78ELb1ELb1ELb0EdKddEEviiiT16_PT17_ilS4_ilS2_S4_ilPT18_ili26rocblas_geam_ex_operation_ ; -- Begin function _ZN12_GLOBAL__N_120geam_min_plus_kernelIdddLi4ELi64ELi128ELi128ELi4ELi4ELi64ELi4ELi64ELc84ELc78ELb1ELb1ELb0EdKddEEviiiT16_PT17_ilS4_ilS2_S4_ilPT18_ili26rocblas_geam_ex_operation_
	.p2align	8
	.type	_ZN12_GLOBAL__N_120geam_min_plus_kernelIdddLi4ELi64ELi128ELi128ELi4ELi4ELi64ELi4ELi64ELc84ELc78ELb1ELb1ELb0EdKddEEviiiT16_PT17_ilS4_ilS2_S4_ilPT18_ili26rocblas_geam_ex_operation_,@function
_ZN12_GLOBAL__N_120geam_min_plus_kernelIdddLi4ELi64ELi128ELi128ELi4ELi4ELi64ELi4ELi64ELc84ELc78ELb1ELb1ELb0EdKddEEviiiT16_PT17_ilS4_ilS2_S4_ilPT18_ili26rocblas_geam_ex_operation_: ; @_ZN12_GLOBAL__N_120geam_min_plus_kernelIdddLi4ELi64ELi128ELi128ELi4ELi4ELi64ELi4ELi64ELc84ELc78ELb1ELb1ELb0EdKddEEviiiT16_PT17_ilS4_ilS2_S4_ilPT18_ili26rocblas_geam_ex_operation_
; %bb.0:
	s_clause 0x1
	s_load_b128 s[8:11], s[0:1], 0x10
	s_load_b128 s[4:7], s[0:1], 0x28
	s_mov_b64 s[12:13], 0
	s_waitcnt lgkmcnt(0)
	v_cmp_eq_f64_e64 s8, s[8:9], 0
	s_delay_alu instid0(VALU_DEP_1)
	s_and_b32 vcc_lo, exec_lo, s8
	s_cbranch_vccnz .LBB190_2
; %bb.1:
	s_mul_i32 s2, s15, s5
	s_mul_hi_u32 s3, s15, s4
	s_delay_alu instid0(SALU_CYCLE_1) | instskip(SKIP_1) | instid1(SALU_CYCLE_1)
	s_add_i32 s3, s3, s2
	s_mul_i32 s2, s15, s4
	s_lshl_b64 s[2:3], s[2:3], 3
	s_delay_alu instid0(SALU_CYCLE_1)
	s_add_u32 s12, s10, s2
	s_addc_u32 s13, s11, s3
.LBB190_2:
	s_clause 0x1
	s_load_b128 s[36:39], s[0:1], 0x40
	s_load_b64 s[2:3], s[0:1], 0x50
	s_and_not1_b32 vcc_lo, exec_lo, s8
	s_cbranch_vccnz .LBB190_4
; %bb.3:
	s_mov_b32 s18, 0
	s_mov_b64 s[16:17], 0
	s_cbranch_execz .LBB190_5
	s_branch .LBB190_6
.LBB190_4:
	s_mov_b32 s18, -1
                                        ; implicit-def: $sgpr16_sgpr17
.LBB190_5:
	s_waitcnt lgkmcnt(0)
	s_mul_i32 s4, s15, s37
	s_mul_hi_u32 s5, s15, s36
	s_mov_b32 s18, 0
	s_add_i32 s5, s5, s4
	s_mul_i32 s4, s15, s36
	s_delay_alu instid0(SALU_CYCLE_1) | instskip(NEXT) | instid1(SALU_CYCLE_1)
	s_lshl_b64 s[4:5], s[4:5], 3
	s_add_u32 s16, s6, s4
	s_addc_u32 s17, s7, s5
.LBB190_6:
	s_waitcnt lgkmcnt(0)
	v_cmp_eq_f64_e64 s4, s[38:39], 0
	v_cmp_neq_f64_e64 s36, s[38:39], 0
	s_load_b128 s[8:11], s[0:1], 0x60
	s_mov_b64 s[34:35], 0
	s_delay_alu instid0(VALU_DEP_2)
	s_and_b32 vcc_lo, exec_lo, s4
	s_cbranch_vccnz .LBB190_8
; %bb.7:
	s_waitcnt lgkmcnt(0)
	s_mul_i32 s4, s15, s9
	s_mul_hi_u32 s5, s15, s8
	s_mul_i32 s6, s18, s8
	s_add_i32 s4, s5, s4
	s_delay_alu instid0(SALU_CYCLE_1) | instskip(SKIP_1) | instid1(SALU_CYCLE_1)
	s_add_i32 s5, s4, s6
	s_mul_i32 s4, s15, s8
	s_lshl_b64 s[4:5], s[4:5], 3
	s_delay_alu instid0(SALU_CYCLE_1)
	s_add_u32 s34, s2, s4
	s_addc_u32 s35, s3, s5
.LBB190_8:
	s_clause 0x1
	s_load_b128 s[40:43], s[0:1], 0x0
	s_load_b32 s19, s[0:1], 0x20
	s_mov_b32 s2, 0
	v_bfe_u32 v89, v0, 10, 10
	s_mov_b32 s3, s2
	s_delay_alu instid0(SALU_CYCLE_1) | instskip(SKIP_1) | instid1(VALU_DEP_2)
	v_dual_mov_b32 v5, s3 :: v_dual_and_b32 v88, 0x3ff, v0
	v_mov_b32_e32 v4, s2
	v_lshrrev_b32_e32 v0, 2, v88
	v_and_b32_e32 v90, 3, v88
	s_delay_alu instid0(VALU_DEP_2) | instskip(SKIP_2) | instid1(SALU_CYCLE_1)
	v_add_nc_u32_e32 v8, v0, v89
	s_waitcnt lgkmcnt(0)
	s_add_i32 s2, s40, -1
	s_ashr_i32 s3, s2, 31
	s_delay_alu instid0(SALU_CYCLE_1) | instskip(NEXT) | instid1(SALU_CYCLE_1)
	s_lshr_b32 s3, s3, 25
	s_add_i32 s2, s2, s3
	s_delay_alu instid0(SALU_CYCLE_1) | instskip(NEXT) | instid1(SALU_CYCLE_1)
	s_ashr_i32 s2, s2, 7
	s_add_i32 s3, s2, 1
	s_not_b32 s2, s2
	v_cvt_f32_u32_e32 v1, s3
	s_delay_alu instid0(VALU_DEP_1)
	v_rcp_iflag_f32_e32 v1, v1
	s_waitcnt_depctr 0xfff
	v_mul_f32_e32 v1, 0x4f7ffffe, v1
	s_clause 0xe
	scratch_store_b64 off, v[4:5], off
	scratch_store_b64 off, v[4:5], off offset:8
	scratch_store_b64 off, v[4:5], off offset:16
	;; [unrolled: 1-line block ×14, first 2 shown]
	v_cvt_u32_f32_e32 v1, v1
	s_clause 0xe
	scratch_store_b64 off, v[4:5], off offset:120
	scratch_store_b64 off, v[4:5], off offset:128
	;; [unrolled: 1-line block ×15, first 2 shown]
	v_readfirstlane_b32 s4, v1
	v_mov_b32_e32 v0, 0
	v_mov_b32_e32 v1, 0
	v_lshlrev_b32_e32 v9, 3, v90
	v_cmp_le_i32_e32 vcc_lo, s42, v90
	s_mul_i32 s2, s2, s4
	s_clause 0x3
	scratch_store_b64 off, v[4:5], off offset:240
	scratch_store_b64 off, v[4:5], off offset:248
	;; [unrolled: 1-line block ×4, first 2 shown]
	s_mul_hi_u32 s2, s4, s2
	v_dual_mov_b32 v3, v1 :: v_dual_mov_b32 v2, v0
	s_add_i32 s4, s4, s2
	s_clause 0x3
	scratch_store_b64 off, v[4:5], off offset:272
	scratch_store_b64 off, v[4:5], off offset:280
	;; [unrolled: 1-line block ×4, first 2 shown]
	s_mul_hi_u32 s2, s14, s4
	s_clause 0x1
	scratch_store_b64 off, v[4:5], off offset:304
	scratch_store_b64 off, v[4:5], off offset:312
	s_mul_i32 s4, s2, s3
	s_add_i32 s5, s2, 1
	s_sub_i32 s4, s14, s4
	s_clause 0x3
	scratch_store_b64 off, v[4:5], off offset:320
	scratch_store_b64 off, v[4:5], off offset:328
	;; [unrolled: 1-line block ×4, first 2 shown]
	s_sub_i32 s6, s4, s3
	s_cmp_ge_u32 s4, s3
	s_clause 0x3
	scratch_store_b64 off, v[4:5], off offset:352
	scratch_store_b64 off, v[4:5], off offset:360
	;; [unrolled: 1-line block ×4, first 2 shown]
	s_cselect_b32 s2, s5, s2
	s_cselect_b32 s4, s6, s4
	s_add_i32 s5, s2, 1
	s_cmp_ge_u32 s4, s3
	s_clause 0x1
	scratch_store_b64 off, v[4:5], off offset:384
	scratch_store_b64 off, v[4:5], off offset:392
	s_cselect_b32 s5, s5, s2
	s_clause 0xa
	scratch_store_b64 off, v[4:5], off offset:400
	scratch_store_b64 off, v[4:5], off offset:408
	;; [unrolled: 1-line block ×11, first 2 shown]
	s_mul_i32 s2, s5, s3
	v_add_co_u32 v10, s3, s12, v9
	s_sub_i32 s2, s14, s2
	v_add_co_ci_u32_e64 v11, null, s13, 0, s3
	s_lshl_b32 s8, s2, 7
	s_clause 0x2
	scratch_store_b64 off, v[4:5], off offset:488
	scratch_store_b64 off, v[4:5], off offset:496
	;; [unrolled: 1-line block ×3, first 2 shown]
	v_add_nc_u32_e32 v76, s8, v8
	s_delay_alu instid0(VALU_DEP_1) | instskip(NEXT) | instid1(VALU_DEP_1)
	v_cmp_le_i32_e64 s2, s40, v76
	s_or_b32 s3, vcc_lo, s2
	s_delay_alu instid0(SALU_CYCLE_1) | instskip(NEXT) | instid1(SALU_CYCLE_1)
	s_xor_b32 s3, s3, -1
	s_and_saveexec_b32 s4, s3
	s_cbranch_execz .LBB190_10
; %bb.9:
	v_mad_i64_i32 v[2:3], null, v76, s19, 0
	s_delay_alu instid0(VALU_DEP_1) | instskip(NEXT) | instid1(VALU_DEP_1)
	v_lshlrev_b64 v[2:3], 3, v[2:3]
	v_add_co_u32 v2, s3, v10, v2
	s_delay_alu instid0(VALU_DEP_1)
	v_add_co_ci_u32_e64 v3, s3, v11, v3, s3
	flat_load_b64 v[2:3], v[2:3]
.LBB190_10:
	s_or_b32 exec_lo, exec_lo, s4
	v_add_nc_u32_e32 v77, 64, v76
	s_delay_alu instid0(VALU_DEP_1) | instskip(NEXT) | instid1(VALU_DEP_1)
	v_cmp_le_i32_e64 s3, s40, v77
	s_or_b32 s4, vcc_lo, s3
	s_delay_alu instid0(SALU_CYCLE_1) | instskip(NEXT) | instid1(SALU_CYCLE_1)
	s_xor_b32 s4, s4, -1
	s_and_saveexec_b32 s6, s4
	s_cbranch_execz .LBB190_12
; %bb.11:
	v_mad_i64_i32 v[0:1], null, v77, s19, 0
	s_delay_alu instid0(VALU_DEP_1) | instskip(NEXT) | instid1(VALU_DEP_1)
	v_lshlrev_b64 v[0:1], 3, v[0:1]
	v_add_co_u32 v0, s4, v10, v0
	s_delay_alu instid0(VALU_DEP_1)
	v_add_co_ci_u32_e64 v1, s4, v11, v1, s4
	flat_load_b64 v[0:1], v[0:1]
.LBB190_12:
	s_or_b32 exec_lo, exec_lo, s6
	s_load_b32 s20, s[0:1], 0x38
	s_lshl_b32 s9, s5, 7
	v_mov_b32_e32 v4, 0
	v_dual_mov_b32 v5, 0 :: v_dual_add_nc_u32 v78, s9, v8
	v_add_co_u32 v12, s5, s16, v9
	s_delay_alu instid0(VALU_DEP_1) | instskip(NEXT) | instid1(VALU_DEP_3)
	v_add_co_ci_u32_e64 v13, null, s17, 0, s5
	v_cmp_le_i32_e64 s4, s41, v78
	s_delay_alu instid0(VALU_DEP_4) | instskip(NEXT) | instid1(VALU_DEP_2)
	v_dual_mov_b32 v7, v5 :: v_dual_mov_b32 v6, v4
	s_or_b32 s5, vcc_lo, s4
	s_delay_alu instid0(SALU_CYCLE_1) | instskip(NEXT) | instid1(SALU_CYCLE_1)
	s_xor_b32 s5, s5, -1
	s_and_saveexec_b32 s6, s5
	s_cbranch_execz .LBB190_14
; %bb.13:
	s_waitcnt lgkmcnt(0)
	v_mad_i64_i32 v[6:7], null, v78, s20, 0
	s_delay_alu instid0(VALU_DEP_1) | instskip(NEXT) | instid1(VALU_DEP_1)
	v_lshlrev_b64 v[6:7], 3, v[6:7]
	v_add_co_u32 v6, s5, v12, v6
	s_delay_alu instid0(VALU_DEP_1)
	v_add_co_ci_u32_e64 v7, s5, v13, v7, s5
	flat_load_b64 v[6:7], v[6:7]
.LBB190_14:
	s_or_b32 exec_lo, exec_lo, s6
	v_add_nc_u32_e32 v79, 64, v78
	s_delay_alu instid0(VALU_DEP_1) | instskip(NEXT) | instid1(VALU_DEP_1)
	v_cmp_le_i32_e64 s5, s41, v79
	s_or_b32 s6, vcc_lo, s5
	s_delay_alu instid0(SALU_CYCLE_1) | instskip(NEXT) | instid1(SALU_CYCLE_1)
	s_xor_b32 s7, s6, -1
	s_and_saveexec_b32 s6, s7
	s_cbranch_execz .LBB190_16
; %bb.15:
	s_waitcnt lgkmcnt(0)
	v_mad_i64_i32 v[4:5], null, v79, s20, 0
	s_delay_alu instid0(VALU_DEP_1) | instskip(NEXT) | instid1(VALU_DEP_1)
	v_lshlrev_b64 v[4:5], 3, v[4:5]
	v_add_co_u32 v4, vcc_lo, v12, v4
	s_delay_alu instid0(VALU_DEP_2)
	v_add_co_ci_u32_e32 v5, vcc_lo, v13, v5, vcc_lo
	flat_load_b64 v[4:5], v[4:5]
.LBB190_16:
	s_or_b32 exec_lo, exec_lo, s6
	v_or_b32_e32 v14, 4, v90
	v_mov_b32_e32 v68, 0
	v_mov_b32_e32 v69, 0
	s_delay_alu instid0(VALU_DEP_3) | instskip(NEXT) | instid1(VALU_DEP_2)
	v_cmp_le_i32_e32 vcc_lo, s42, v14
	v_dual_mov_b32 v71, v69 :: v_dual_mov_b32 v70, v68
	s_or_b32 s6, vcc_lo, s2
	s_delay_alu instid0(SALU_CYCLE_1) | instskip(NEXT) | instid1(SALU_CYCLE_1)
	s_xor_b32 s6, s6, -1
	s_and_saveexec_b32 s7, s6
	s_cbranch_execz .LBB190_18
; %bb.17:
	v_mad_i64_i32 v[14:15], null, v76, s19, 0
	s_delay_alu instid0(VALU_DEP_1) | instskip(NEXT) | instid1(VALU_DEP_1)
	v_lshlrev_b64 v[14:15], 3, v[14:15]
	v_add_co_u32 v14, s6, v10, v14
	s_delay_alu instid0(VALU_DEP_1)
	v_add_co_ci_u32_e64 v15, s6, v11, v15, s6
	flat_load_b64 v[70:71], v[14:15] offset:32
.LBB190_18:
	s_or_b32 exec_lo, exec_lo, s7
	s_or_b32 s6, vcc_lo, s3
	s_delay_alu instid0(SALU_CYCLE_1) | instskip(NEXT) | instid1(SALU_CYCLE_1)
	s_xor_b32 s6, s6, -1
	s_and_saveexec_b32 s7, s6
	s_cbranch_execz .LBB190_20
; %bb.19:
	v_mad_i64_i32 v[14:15], null, v77, s19, 0
	s_delay_alu instid0(VALU_DEP_1) | instskip(NEXT) | instid1(VALU_DEP_1)
	v_lshlrev_b64 v[14:15], 3, v[14:15]
	v_add_co_u32 v10, s6, v10, v14
	s_delay_alu instid0(VALU_DEP_1)
	v_add_co_ci_u32_e64 v11, s6, v11, v15, s6
	flat_load_b64 v[68:69], v[10:11] offset:32
.LBB190_20:
	s_or_b32 exec_lo, exec_lo, s7
	v_mov_b32_e32 v72, 0
	v_mov_b32_e32 v73, 0
	s_or_b32 s6, vcc_lo, s4
	s_delay_alu instid0(SALU_CYCLE_1) | instskip(NEXT) | instid1(VALU_DEP_1)
	s_xor_b32 s6, s6, -1
	v_dual_mov_b32 v75, v73 :: v_dual_mov_b32 v74, v72
	s_and_saveexec_b32 s7, s6
	s_cbranch_execz .LBB190_22
; %bb.21:
	s_waitcnt lgkmcnt(0)
	v_mad_i64_i32 v[10:11], null, v78, s20, 0
	s_delay_alu instid0(VALU_DEP_1) | instskip(NEXT) | instid1(VALU_DEP_1)
	v_lshlrev_b64 v[10:11], 3, v[10:11]
	v_add_co_u32 v10, s6, v12, v10
	s_delay_alu instid0(VALU_DEP_1)
	v_add_co_ci_u32_e64 v11, s6, v13, v11, s6
	flat_load_b64 v[74:75], v[10:11] offset:32
.LBB190_22:
	s_or_b32 exec_lo, exec_lo, s7
	s_or_b32 s6, vcc_lo, s5
	s_delay_alu instid0(SALU_CYCLE_1) | instskip(NEXT) | instid1(SALU_CYCLE_1)
	s_xor_b32 s7, s6, -1
	s_and_saveexec_b32 s6, s7
	s_cbranch_execz .LBB190_24
; %bb.23:
	s_waitcnt lgkmcnt(0)
	v_mad_i64_i32 v[10:11], null, v79, s20, 0
	s_delay_alu instid0(VALU_DEP_1) | instskip(NEXT) | instid1(VALU_DEP_1)
	v_lshlrev_b64 v[10:11], 3, v[10:11]
	v_add_co_u32 v10, vcc_lo, v12, v10
	s_delay_alu instid0(VALU_DEP_2)
	v_add_co_ci_u32_e32 v11, vcc_lo, v13, v11, vcc_lo
	flat_load_b64 v[72:73], v[10:11] offset:32
.LBB190_24:
	s_or_b32 exec_lo, exec_lo, s6
	v_dual_mov_b32 v80, 0 :: v_dual_lshlrev_b32 v91, 5, v88
	v_lshl_or_b32 v92, v8, 5, v9
	v_dual_mov_b32 v82, 16 :: v_dual_lshlrev_b32 v93, 5, v89
	s_delay_alu instid0(VALU_DEP_3)
	v_dual_mov_b32 v83, 24 :: v_dual_add_nc_u32 v52, 0x800, v91
	s_waitcnt vmcnt(0) lgkmcnt(0)
	ds_store_2addr_stride64_b64 v92, v[2:3], v[0:1] offset1:4
	ds_store_2addr_stride64_b64 v92, v[6:7], v[4:5] offset0:16 offset1:20
	s_waitcnt lgkmcnt(0)
	s_waitcnt_vscnt null, 0x0
	s_barrier
	buffer_gl0_inv
	ds_load_2addr_b64 v[0:3], v91 offset1:16
	ds_load_2addr_b64 v[4:7], v91 offset0:32 offset1:48
	ds_load_2addr_b64 v[8:11], v91 offset0:64 offset1:80
	;; [unrolled: 1-line block ×5, first 2 shown]
	ds_load_2addr_b64 v[24:27], v52 offset1:16
	ds_load_2addr_b64 v[28:31], v52 offset0:32 offset1:48
	ds_load_2addr_b64 v[32:35], v52 offset0:64 offset1:80
	;; [unrolled: 1-line block ×9, first 2 shown]
	ds_load_2addr_stride64_b64 v[64:67], v93 offset0:16 offset1:20
	v_dual_mov_b32 v81, 8 :: v_dual_add_nc_u32 v94, 0x2000, v92
	v_dual_mov_b32 v84, 32 :: v_dual_add_nc_u32 v95, 0x2000, v93
	v_dual_mov_b32 v85, 40 :: v_dual_mov_b32 v86, 48
	v_dual_mov_b32 v87, 56 :: v_dual_mov_b32 v96, 64
	v_mov_b32_e32 v97, 0x48
	v_mov_b32_e32 v98, 0x50
	;; [unrolled: 1-line block ×23, first 2 shown]
	s_mov_b64 s[6:7], 0
	s_mov_b32 s14, -1
.LBB190_25:                             ; =>This Inner Loop Header: Depth=1
	scratch_load_b64 v[120:121], v80, off
	scratch_load_b64 v[122:123], v81, off
	;; [unrolled: 1-line block ×32, first 2 shown]
	s_cmp_eq_u32 s6, 1
	s_waitcnt lgkmcnt(16)
	v_max_f64 v[186:187], v[0:1], v[0:1]
	s_cselect_b32 vcc_lo, -1, 0
	v_max_f64 v[188:189], v[2:3], v[2:3]
	s_waitcnt lgkmcnt(0)
	v_dual_cndmask_b32 v185, v65, v67 :: v_dual_cndmask_b32 v184, v64, v66
	v_max_f64 v[190:191], v[4:5], v[4:5]
	v_max_f64 v[192:193], v[6:7], v[6:7]
	;; [unrolled: 1-line block ×31, first 2 shown]
	s_mov_b64 s[6:7], 1
	s_and_b32 vcc_lo, exec_lo, s14
	s_mov_b32 s14, 0
	v_min_f64 v[186:187], v[186:187], v[184:185]
	v_min_f64 v[188:189], v[188:189], v[184:185]
	;; [unrolled: 1-line block ×32, first 2 shown]
	s_waitcnt vmcnt(31)
	v_add_f64 v[120:121], v[120:121], v[186:187]
	s_waitcnt vmcnt(30)
	v_add_f64 v[122:123], v[188:189], v[122:123]
	;; [unrolled: 2-line block ×32, first 2 shown]
	scratch_store_b64 v80, v[120:121], off
	scratch_store_b64 v81, v[122:123], off
	scratch_store_b64 v82, v[124:125], off
	scratch_store_b64 v83, v[126:127], off
	scratch_store_b64 v84, v[128:129], off
	scratch_store_b64 v85, v[130:131], off
	scratch_store_b64 v86, v[132:133], off
	scratch_store_b64 v87, v[134:135], off
	scratch_store_b64 v96, v[136:137], off
	scratch_store_b64 v97, v[138:139], off
	scratch_store_b64 v98, v[140:141], off
	scratch_store_b64 v99, v[142:143], off
	scratch_store_b64 v100, v[144:145], off
	scratch_store_b64 v101, v[146:147], off
	scratch_store_b64 v102, v[148:149], off
	scratch_store_b64 v103, v[150:151], off
	scratch_store_b64 v104, v[152:153], off
	scratch_store_b64 v105, v[154:155], off
	scratch_store_b64 v106, v[156:157], off
	scratch_store_b64 v107, v[158:159], off
	scratch_store_b64 v108, v[160:161], off
	scratch_store_b64 v109, v[162:163], off
	scratch_store_b64 v110, v[164:165], off
	scratch_store_b64 v111, v[166:167], off
	scratch_store_b64 v112, v[168:169], off
	scratch_store_b64 v113, v[170:171], off
	scratch_store_b64 v114, v[172:173], off
	scratch_store_b64 v115, v[174:175], off
	scratch_store_b64 v116, v[176:177], off
	scratch_store_b64 v117, v[178:179], off
	scratch_store_b64 v118, v[180:181], off
	scratch_store_b64 v119, v[182:183], off
	v_mov_b32_e32 v80, 0x100
	v_mov_b32_e32 v81, 0x108
	;; [unrolled: 1-line block ×32, first 2 shown]
	s_cbranch_vccnz .LBB190_25
; %bb.26:
	v_dual_mov_b32 v81, 8 :: v_dual_add_nc_u32 v60, 0x800, v91
	ds_load_2addr_b64 v[0:3], v91 offset0:1 offset1:17
	ds_load_2addr_b64 v[4:7], v91 offset0:33 offset1:49
	;; [unrolled: 1-line block ×12, first 2 shown]
	v_dual_mov_b32 v83, 24 :: v_dual_add_nc_u32 v64, 8, v95
	ds_load_2addr_b64 v[48:51], v60 offset0:129 offset1:145
	ds_load_2addr_b64 v[52:55], v60 offset0:161 offset1:177
	ds_load_2addr_b64 v[56:59], v60 offset0:193 offset1:209
	ds_load_2addr_b64 v[60:63], v60 offset0:225 offset1:241
	ds_load_2addr_stride64_b64 v[64:67], v64 offset1:4
	v_dual_mov_b32 v80, 0 :: v_dual_mov_b32 v85, 40
	v_dual_mov_b32 v82, 16 :: v_dual_mov_b32 v87, 56
	;; [unrolled: 1-line block ×5, first 2 shown]
	v_mov_b32_e32 v98, 0x50
	v_mov_b32_e32 v100, 0x60
	;; [unrolled: 1-line block ×20, first 2 shown]
	s_mov_b64 s[6:7], 0
	s_mov_b32 s14, -1
.LBB190_27:                             ; =>This Inner Loop Header: Depth=1
	scratch_load_b64 v[120:121], v80, off
	scratch_load_b64 v[122:123], v81, off
	;; [unrolled: 1-line block ×32, first 2 shown]
	s_cmp_eq_u32 s6, 1
	s_waitcnt lgkmcnt(16)
	v_max_f64 v[186:187], v[0:1], v[0:1]
	s_cselect_b32 vcc_lo, -1, 0
	v_max_f64 v[188:189], v[2:3], v[2:3]
	s_waitcnt lgkmcnt(0)
	v_dual_cndmask_b32 v185, v65, v67 :: v_dual_cndmask_b32 v184, v64, v66
	v_max_f64 v[190:191], v[4:5], v[4:5]
	v_max_f64 v[192:193], v[6:7], v[6:7]
	;; [unrolled: 1-line block ×31, first 2 shown]
	s_mov_b64 s[6:7], 1
	s_and_b32 vcc_lo, exec_lo, s14
	s_mov_b32 s14, 0
	v_min_f64 v[186:187], v[186:187], v[184:185]
	v_min_f64 v[188:189], v[188:189], v[184:185]
	;; [unrolled: 1-line block ×32, first 2 shown]
	s_waitcnt vmcnt(31)
	v_add_f64 v[120:121], v[120:121], v[186:187]
	s_waitcnt vmcnt(30)
	v_add_f64 v[122:123], v[188:189], v[122:123]
	;; [unrolled: 2-line block ×32, first 2 shown]
	scratch_store_b64 v80, v[120:121], off
	scratch_store_b64 v81, v[122:123], off
	;; [unrolled: 1-line block ×32, first 2 shown]
	v_mov_b32_e32 v80, 0x100
	v_mov_b32_e32 v81, 0x108
	v_mov_b32_e32 v82, 0x110
	v_mov_b32_e32 v83, 0x118
	v_mov_b32_e32 v84, 0x120
	v_mov_b32_e32 v85, 0x128
	v_mov_b32_e32 v86, 0x130
	v_mov_b32_e32 v87, 0x138
	v_mov_b32_e32 v96, 0x140
	v_mov_b32_e32 v97, 0x148
	v_mov_b32_e32 v98, 0x150
	v_mov_b32_e32 v99, 0x158
	v_mov_b32_e32 v100, 0x160
	v_mov_b32_e32 v101, 0x168
	v_mov_b32_e32 v102, 0x170
	v_mov_b32_e32 v103, 0x178
	v_mov_b32_e32 v104, 0x180
	v_mov_b32_e32 v105, 0x188
	v_mov_b32_e32 v106, 0x190
	v_mov_b32_e32 v107, 0x198
	v_mov_b32_e32 v108, 0x1a0
	v_mov_b32_e32 v109, 0x1a8
	v_mov_b32_e32 v110, 0x1b0
	v_mov_b32_e32 v111, 0x1b8
	v_mov_b32_e32 v112, 0x1c0
	v_mov_b32_e32 v113, 0x1c8
	v_mov_b32_e32 v114, 0x1d0
	v_mov_b32_e32 v115, 0x1d8
	v_mov_b32_e32 v116, 0x1e0
	v_mov_b32_e32 v117, 0x1e8
	v_mov_b32_e32 v118, 0x1f0
	v_mov_b32_e32 v119, 0x1f8
	s_cbranch_vccnz .LBB190_27
; %bb.28:
	v_dual_mov_b32 v81, 8 :: v_dual_add_nc_u32 v60, 0x800, v91
	ds_load_2addr_b64 v[0:3], v91 offset0:2 offset1:18
	ds_load_2addr_b64 v[4:7], v91 offset0:34 offset1:50
	;; [unrolled: 1-line block ×12, first 2 shown]
	v_dual_mov_b32 v83, 24 :: v_dual_add_nc_u32 v64, 16, v95
	ds_load_2addr_b64 v[48:51], v60 offset0:130 offset1:146
	ds_load_2addr_b64 v[52:55], v60 offset0:162 offset1:178
	;; [unrolled: 1-line block ×4, first 2 shown]
	ds_load_2addr_stride64_b64 v[64:67], v64 offset1:4
	v_dual_mov_b32 v80, 0 :: v_dual_mov_b32 v85, 40
	v_dual_mov_b32 v82, 16 :: v_dual_mov_b32 v87, 56
	;; [unrolled: 1-line block ×5, first 2 shown]
	v_mov_b32_e32 v98, 0x50
	v_mov_b32_e32 v100, 0x60
	v_mov_b32_e32 v102, 0x70
	v_mov_b32_e32 v103, 0x78
	v_mov_b32_e32 v104, 0x80
	v_mov_b32_e32 v105, 0x88
	v_mov_b32_e32 v106, 0x90
	v_mov_b32_e32 v107, 0x98
	v_mov_b32_e32 v108, 0xa0
	v_mov_b32_e32 v109, 0xa8
	v_mov_b32_e32 v110, 0xb0
	v_mov_b32_e32 v111, 0xb8
	v_mov_b32_e32 v112, 0xc0
	v_mov_b32_e32 v113, 0xc8
	v_mov_b32_e32 v114, 0xd0
	v_mov_b32_e32 v115, 0xd8
	v_mov_b32_e32 v116, 0xe0
	v_mov_b32_e32 v117, 0xe8
	v_mov_b32_e32 v118, 0xf0
	v_mov_b32_e32 v119, 0xf8
	s_mov_b64 s[6:7], 0
	s_mov_b32 s14, -1
.LBB190_29:                             ; =>This Inner Loop Header: Depth=1
	scratch_load_b64 v[120:121], v80, off
	scratch_load_b64 v[122:123], v81, off
	;; [unrolled: 1-line block ×32, first 2 shown]
	s_cmp_eq_u32 s6, 1
	s_waitcnt lgkmcnt(16)
	v_max_f64 v[186:187], v[0:1], v[0:1]
	s_cselect_b32 vcc_lo, -1, 0
	v_max_f64 v[188:189], v[2:3], v[2:3]
	s_waitcnt lgkmcnt(0)
	v_dual_cndmask_b32 v185, v65, v67 :: v_dual_cndmask_b32 v184, v64, v66
	v_max_f64 v[190:191], v[4:5], v[4:5]
	v_max_f64 v[192:193], v[6:7], v[6:7]
	;; [unrolled: 1-line block ×31, first 2 shown]
	s_mov_b64 s[6:7], 1
	s_and_b32 vcc_lo, exec_lo, s14
	s_mov_b32 s14, 0
	v_min_f64 v[186:187], v[186:187], v[184:185]
	v_min_f64 v[188:189], v[188:189], v[184:185]
	;; [unrolled: 1-line block ×32, first 2 shown]
	s_waitcnt vmcnt(31)
	v_add_f64 v[120:121], v[120:121], v[186:187]
	s_waitcnt vmcnt(30)
	v_add_f64 v[122:123], v[188:189], v[122:123]
	s_waitcnt vmcnt(29)
	v_add_f64 v[124:125], v[190:191], v[124:125]
	s_waitcnt vmcnt(28)
	v_add_f64 v[126:127], v[192:193], v[126:127]
	s_waitcnt vmcnt(27)
	v_add_f64 v[128:129], v[194:195], v[128:129]
	s_waitcnt vmcnt(26)
	v_add_f64 v[130:131], v[196:197], v[130:131]
	s_waitcnt vmcnt(25)
	v_add_f64 v[132:133], v[198:199], v[132:133]
	s_waitcnt vmcnt(24)
	v_add_f64 v[134:135], v[200:201], v[134:135]
	s_waitcnt vmcnt(23)
	v_add_f64 v[136:137], v[202:203], v[136:137]
	s_waitcnt vmcnt(22)
	v_add_f64 v[138:139], v[204:205], v[138:139]
	s_waitcnt vmcnt(21)
	v_add_f64 v[140:141], v[206:207], v[140:141]
	s_waitcnt vmcnt(20)
	v_add_f64 v[142:143], v[208:209], v[142:143]
	s_waitcnt vmcnt(19)
	v_add_f64 v[144:145], v[210:211], v[144:145]
	s_waitcnt vmcnt(18)
	v_add_f64 v[146:147], v[212:213], v[146:147]
	s_waitcnt vmcnt(17)
	v_add_f64 v[148:149], v[214:215], v[148:149]
	s_waitcnt vmcnt(16)
	v_add_f64 v[150:151], v[216:217], v[150:151]
	s_waitcnt vmcnt(15)
	v_add_f64 v[152:153], v[218:219], v[152:153]
	s_waitcnt vmcnt(14)
	v_add_f64 v[154:155], v[220:221], v[154:155]
	s_waitcnt vmcnt(13)
	v_add_f64 v[156:157], v[222:223], v[156:157]
	s_waitcnt vmcnt(12)
	v_add_f64 v[158:159], v[224:225], v[158:159]
	s_waitcnt vmcnt(11)
	v_add_f64 v[160:161], v[226:227], v[160:161]
	s_waitcnt vmcnt(10)
	v_add_f64 v[162:163], v[228:229], v[162:163]
	s_waitcnt vmcnt(9)
	v_add_f64 v[164:165], v[230:231], v[164:165]
	s_waitcnt vmcnt(8)
	v_add_f64 v[166:167], v[232:233], v[166:167]
	s_waitcnt vmcnt(7)
	v_add_f64 v[168:169], v[234:235], v[168:169]
	s_waitcnt vmcnt(6)
	v_add_f64 v[170:171], v[236:237], v[170:171]
	s_waitcnt vmcnt(5)
	v_add_f64 v[172:173], v[238:239], v[172:173]
	s_waitcnt vmcnt(4)
	v_add_f64 v[174:175], v[240:241], v[174:175]
	s_waitcnt vmcnt(3)
	v_add_f64 v[176:177], v[242:243], v[176:177]
	s_waitcnt vmcnt(2)
	v_add_f64 v[178:179], v[244:245], v[178:179]
	s_waitcnt vmcnt(1)
	v_add_f64 v[180:181], v[246:247], v[180:181]
	s_waitcnt vmcnt(0)
	v_add_f64 v[182:183], v[184:185], v[182:183]
	scratch_store_b64 v80, v[120:121], off
	scratch_store_b64 v81, v[122:123], off
	;; [unrolled: 1-line block ×32, first 2 shown]
	v_mov_b32_e32 v80, 0x100
	v_mov_b32_e32 v81, 0x108
	;; [unrolled: 1-line block ×32, first 2 shown]
	s_cbranch_vccnz .LBB190_29
; %bb.30:
	v_dual_mov_b32 v81, 8 :: v_dual_add_nc_u32 v60, 0x800, v91
	ds_load_2addr_b64 v[0:3], v91 offset0:3 offset1:19
	ds_load_2addr_b64 v[4:7], v91 offset0:35 offset1:51
	;; [unrolled: 1-line block ×12, first 2 shown]
	v_dual_mov_b32 v83, 24 :: v_dual_add_nc_u32 v64, 24, v95
	ds_load_2addr_b64 v[48:51], v60 offset0:131 offset1:147
	ds_load_2addr_b64 v[52:55], v60 offset0:163 offset1:179
	;; [unrolled: 1-line block ×4, first 2 shown]
	ds_load_2addr_stride64_b64 v[64:67], v64 offset1:4
	v_dual_mov_b32 v80, 0 :: v_dual_mov_b32 v85, 40
	v_dual_mov_b32 v82, 16 :: v_dual_mov_b32 v87, 56
	;; [unrolled: 1-line block ×5, first 2 shown]
	v_mov_b32_e32 v98, 0x50
	v_mov_b32_e32 v100, 0x60
	;; [unrolled: 1-line block ×20, first 2 shown]
	s_mov_b64 s[6:7], 0
	s_mov_b32 s14, -1
.LBB190_31:                             ; =>This Inner Loop Header: Depth=1
	scratch_load_b64 v[120:121], v80, off
	scratch_load_b64 v[122:123], v81, off
	;; [unrolled: 1-line block ×32, first 2 shown]
	s_cmp_eq_u32 s6, 1
	s_waitcnt lgkmcnt(16)
	v_max_f64 v[186:187], v[0:1], v[0:1]
	s_cselect_b32 vcc_lo, -1, 0
	v_max_f64 v[188:189], v[2:3], v[2:3]
	s_waitcnt lgkmcnt(0)
	v_dual_cndmask_b32 v185, v65, v67 :: v_dual_cndmask_b32 v184, v64, v66
	v_max_f64 v[190:191], v[4:5], v[4:5]
	v_max_f64 v[192:193], v[6:7], v[6:7]
	;; [unrolled: 1-line block ×31, first 2 shown]
	s_mov_b64 s[6:7], 1
	s_and_b32 vcc_lo, exec_lo, s14
	s_mov_b32 s14, 0
	v_min_f64 v[186:187], v[186:187], v[184:185]
	v_min_f64 v[188:189], v[188:189], v[184:185]
	v_min_f64 v[190:191], v[190:191], v[184:185]
	v_min_f64 v[192:193], v[192:193], v[184:185]
	v_min_f64 v[194:195], v[194:195], v[184:185]
	v_min_f64 v[196:197], v[196:197], v[184:185]
	v_min_f64 v[198:199], v[198:199], v[184:185]
	v_min_f64 v[200:201], v[200:201], v[184:185]
	v_min_f64 v[202:203], v[202:203], v[184:185]
	v_min_f64 v[204:205], v[204:205], v[184:185]
	v_min_f64 v[206:207], v[206:207], v[184:185]
	v_min_f64 v[208:209], v[208:209], v[184:185]
	v_min_f64 v[210:211], v[210:211], v[184:185]
	v_min_f64 v[212:213], v[212:213], v[184:185]
	v_min_f64 v[214:215], v[214:215], v[184:185]
	v_min_f64 v[216:217], v[216:217], v[184:185]
	v_min_f64 v[218:219], v[218:219], v[184:185]
	v_min_f64 v[220:221], v[220:221], v[184:185]
	v_min_f64 v[222:223], v[222:223], v[184:185]
	v_min_f64 v[224:225], v[224:225], v[184:185]
	v_min_f64 v[226:227], v[226:227], v[184:185]
	v_min_f64 v[228:229], v[228:229], v[184:185]
	v_min_f64 v[230:231], v[230:231], v[184:185]
	v_min_f64 v[232:233], v[232:233], v[184:185]
	v_min_f64 v[234:235], v[234:235], v[184:185]
	v_min_f64 v[236:237], v[236:237], v[184:185]
	v_min_f64 v[238:239], v[238:239], v[184:185]
	v_min_f64 v[240:241], v[240:241], v[184:185]
	v_min_f64 v[242:243], v[242:243], v[184:185]
	v_min_f64 v[244:245], v[244:245], v[184:185]
	v_min_f64 v[246:247], v[246:247], v[184:185]
	v_min_f64 v[184:185], v[248:249], v[184:185]
	s_waitcnt vmcnt(31)
	v_add_f64 v[120:121], v[120:121], v[186:187]
	s_waitcnt vmcnt(30)
	v_add_f64 v[122:123], v[188:189], v[122:123]
	;; [unrolled: 2-line block ×32, first 2 shown]
	scratch_store_b64 v80, v[120:121], off
	scratch_store_b64 v81, v[122:123], off
	scratch_store_b64 v82, v[124:125], off
	scratch_store_b64 v83, v[126:127], off
	scratch_store_b64 v84, v[128:129], off
	scratch_store_b64 v85, v[130:131], off
	scratch_store_b64 v86, v[132:133], off
	scratch_store_b64 v87, v[134:135], off
	scratch_store_b64 v96, v[136:137], off
	scratch_store_b64 v97, v[138:139], off
	scratch_store_b64 v98, v[140:141], off
	scratch_store_b64 v99, v[142:143], off
	scratch_store_b64 v100, v[144:145], off
	scratch_store_b64 v101, v[146:147], off
	scratch_store_b64 v102, v[148:149], off
	scratch_store_b64 v103, v[150:151], off
	scratch_store_b64 v104, v[152:153], off
	scratch_store_b64 v105, v[154:155], off
	scratch_store_b64 v106, v[156:157], off
	scratch_store_b64 v107, v[158:159], off
	scratch_store_b64 v108, v[160:161], off
	scratch_store_b64 v109, v[162:163], off
	scratch_store_b64 v110, v[164:165], off
	scratch_store_b64 v111, v[166:167], off
	scratch_store_b64 v112, v[168:169], off
	scratch_store_b64 v113, v[170:171], off
	scratch_store_b64 v114, v[172:173], off
	scratch_store_b64 v115, v[174:175], off
	scratch_store_b64 v116, v[176:177], off
	scratch_store_b64 v117, v[178:179], off
	scratch_store_b64 v118, v[180:181], off
	scratch_store_b64 v119, v[182:183], off
	v_mov_b32_e32 v80, 0x100
	v_mov_b32_e32 v81, 0x108
	v_mov_b32_e32 v82, 0x110
	v_mov_b32_e32 v83, 0x118
	v_mov_b32_e32 v84, 0x120
	v_mov_b32_e32 v85, 0x128
	v_mov_b32_e32 v86, 0x130
	v_mov_b32_e32 v87, 0x138
	v_mov_b32_e32 v96, 0x140
	v_mov_b32_e32 v97, 0x148
	v_mov_b32_e32 v98, 0x150
	v_mov_b32_e32 v99, 0x158
	v_mov_b32_e32 v100, 0x160
	v_mov_b32_e32 v101, 0x168
	v_mov_b32_e32 v102, 0x170
	v_mov_b32_e32 v103, 0x178
	v_mov_b32_e32 v104, 0x180
	v_mov_b32_e32 v105, 0x188
	v_mov_b32_e32 v106, 0x190
	v_mov_b32_e32 v107, 0x198
	v_mov_b32_e32 v108, 0x1a0
	v_mov_b32_e32 v109, 0x1a8
	v_mov_b32_e32 v110, 0x1b0
	v_mov_b32_e32 v111, 0x1b8
	v_mov_b32_e32 v112, 0x1c0
	v_mov_b32_e32 v113, 0x1c8
	v_mov_b32_e32 v114, 0x1d0
	v_mov_b32_e32 v115, 0x1d8
	v_mov_b32_e32 v116, 0x1e0
	v_mov_b32_e32 v117, 0x1e8
	v_mov_b32_e32 v118, 0x1f0
	v_mov_b32_e32 v119, 0x1f8
	s_cbranch_vccnz .LBB190_31
; %bb.32:
	s_cmp_gt_i32 s42, 8
	s_mov_b32 s14, 8
	ds_store_2addr_stride64_b64 v92, v[70:71], v[68:69] offset0:8 offset1:12
	ds_store_2addr_stride64_b64 v92, v[74:75], v[72:73] offset0:24 offset1:28
	s_waitcnt lgkmcnt(0)
	s_waitcnt_vscnt null, 0x0
	s_barrier
	buffer_gl0_inv
	s_cbranch_scc0 .LBB190_67
; %bb.33:
	v_mad_i64_i32 v[0:1], null, v76, s19, 0
	v_mad_i64_i32 v[2:3], null, v77, s19, 0
	;; [unrolled: 1-line block ×3, first 2 shown]
	v_lshl_add_u32 v98, v88, 5, 0x1000
	v_dual_mov_b32 v73, 0 :: v_dual_add_nc_u32 v96, 0x1000, v92
	v_lshlrev_b64 v[68:69], 3, v[0:1]
	v_mad_i64_i32 v[0:1], null, v79, s20, 0
	v_lshlrev_b64 v[70:71], 3, v[2:3]
	v_lshlrev_b64 v[74:75], 3, v[4:5]
	v_add_nc_u32_e32 v97, 0x3000, v92
	v_add_co_u32 v100, vcc_lo, s12, v68
	v_add_co_ci_u32_e32 v101, vcc_lo, s13, v69, vcc_lo
	v_add_co_u32 v102, vcc_lo, s12, v70
	v_lshlrev_b64 v[76:77], 3, v[0:1]
	v_lshl_add_u32 v99, v89, 5, 0x3000
	v_add_co_ci_u32_e32 v103, vcc_lo, s13, v71, vcc_lo
	v_add_nc_u32_e32 v104, 0x800, v98
	s_add_i32 s19, s42, -8
	s_mov_b32 s20, 0
.LBB190_34:                             ; =>This Loop Header: Depth=1
                                        ;     Child Loop BB190_43 Depth 2
                                        ;     Child Loop BB190_45 Depth 2
	;; [unrolled: 1-line block ×8, first 2 shown]
	v_or_b32_e32 v72, s14, v90
	v_mov_b32_e32 v78, 0
	v_mov_b32_e32 v79, 0
	s_delay_alu instid0(VALU_DEP_3) | instskip(SKIP_1) | instid1(VALU_DEP_3)
	v_lshlrev_b64 v[0:1], 3, v[72:73]
	v_cmp_le_i32_e32 vcc_lo, s42, v72
	v_dual_mov_b32 v81, v79 :: v_dual_mov_b32 v80, v78
	s_delay_alu instid0(VALU_DEP_3) | instskip(NEXT) | instid1(VALU_DEP_1)
	v_add_co_u32 v2, s6, s12, v0
	v_add_co_ci_u32_e64 v3, s6, s13, v1, s6
	s_or_b32 s6, s2, vcc_lo
	s_delay_alu instid0(SALU_CYCLE_1) | instskip(NEXT) | instid1(SALU_CYCLE_1)
	s_xor_b32 s6, s6, -1
	s_and_saveexec_b32 s7, s6
	s_cbranch_execz .LBB190_36
; %bb.35:                               ;   in Loop: Header=BB190_34 Depth=1
	v_add_co_u32 v4, s6, v2, v68
	s_delay_alu instid0(VALU_DEP_1)
	v_add_co_ci_u32_e64 v5, s6, v3, v69, s6
	flat_load_b64 v[80:81], v[4:5]
.LBB190_36:                             ;   in Loop: Header=BB190_34 Depth=1
	s_or_b32 exec_lo, exec_lo, s7
	s_or_b32 s6, s3, vcc_lo
	s_delay_alu instid0(SALU_CYCLE_1) | instskip(NEXT) | instid1(SALU_CYCLE_1)
	s_xor_b32 s6, s6, -1
	s_and_saveexec_b32 s7, s6
	s_cbranch_execz .LBB190_38
; %bb.37:                               ;   in Loop: Header=BB190_34 Depth=1
	v_add_co_u32 v2, s6, v2, v70
	s_delay_alu instid0(VALU_DEP_1)
	v_add_co_ci_u32_e64 v3, s6, v3, v71, s6
	flat_load_b64 v[78:79], v[2:3]
.LBB190_38:                             ;   in Loop: Header=BB190_34 Depth=1
	s_or_b32 exec_lo, exec_lo, s7
	v_mov_b32_e32 v84, 0
	v_mov_b32_e32 v85, 0
	v_add_co_u32 v105, s6, s16, v0
	s_delay_alu instid0(VALU_DEP_1) | instskip(NEXT) | instid1(VALU_DEP_3)
	v_add_co_ci_u32_e64 v106, s6, s17, v1, s6
	v_dual_mov_b32 v87, v85 :: v_dual_mov_b32 v86, v84
	s_or_b32 s6, s4, vcc_lo
	s_delay_alu instid0(SALU_CYCLE_1) | instskip(NEXT) | instid1(SALU_CYCLE_1)
	s_xor_b32 s6, s6, -1
	s_and_saveexec_b32 s7, s6
	s_cbranch_execz .LBB190_40
; %bb.39:                               ;   in Loop: Header=BB190_34 Depth=1
	v_add_co_u32 v0, s6, v105, v74
	s_delay_alu instid0(VALU_DEP_1)
	v_add_co_ci_u32_e64 v1, s6, v106, v75, s6
	flat_load_b64 v[86:87], v[0:1]
.LBB190_40:                             ;   in Loop: Header=BB190_34 Depth=1
	s_or_b32 exec_lo, exec_lo, s7
	s_or_b32 s6, s5, vcc_lo
	s_delay_alu instid0(SALU_CYCLE_1) | instskip(NEXT) | instid1(SALU_CYCLE_1)
	s_xor_b32 s7, s6, -1
	s_and_saveexec_b32 s6, s7
	s_cbranch_execz .LBB190_42
; %bb.41:                               ;   in Loop: Header=BB190_34 Depth=1
	v_add_co_u32 v0, vcc_lo, v105, v76
	v_add_co_ci_u32_e32 v1, vcc_lo, v106, v77, vcc_lo
	flat_load_b64 v[84:85], v[0:1]
.LBB190_42:                             ;   in Loop: Header=BB190_34 Depth=1
	s_or_b32 exec_lo, exec_lo, s6
	ds_load_2addr_b64 v[0:3], v98 offset1:16
	ds_load_2addr_b64 v[4:7], v98 offset0:32 offset1:48
	ds_load_2addr_b64 v[8:11], v98 offset0:64 offset1:80
	;; [unrolled: 1-line block ×7, first 2 shown]
	ds_load_2addr_b64 v[32:35], v104 offset1:16
	ds_load_2addr_b64 v[36:39], v104 offset0:32 offset1:48
	ds_load_2addr_b64 v[40:43], v104 offset0:64 offset1:80
	ds_load_2addr_b64 v[44:47], v104 offset0:96 offset1:112
	ds_load_2addr_b64 v[48:51], v104 offset0:128 offset1:144
	ds_load_2addr_b64 v[52:55], v104 offset0:160 offset1:176
	ds_load_2addr_b64 v[56:59], v104 offset0:192 offset1:208
	ds_load_2addr_b64 v[60:63], v104 offset0:224 offset1:240
	ds_load_2addr_stride64_b64 v[64:67], v99 offset1:4
	v_dual_mov_b32 v136, 0 :: v_dual_mov_b32 v135, 8
	v_dual_mov_b32 v134, 16 :: v_dual_mov_b32 v133, 24
	;; [unrolled: 1-line block ×5, first 2 shown]
	v_mov_b32_e32 v126, 0x50
	v_mov_b32_e32 v125, 0x58
	;; [unrolled: 1-line block ×22, first 2 shown]
	s_mov_b64 s[6:7], 0
	s_mov_b32 s21, -1
.LBB190_43:                             ;   Parent Loop BB190_34 Depth=1
                                        ; =>  This Inner Loop Header: Depth=2
	scratch_load_b64 v[141:142], v136, off
	s_cmp_eq_u32 s6, 1
	s_waitcnt lgkmcnt(16)
	v_max_f64 v[139:140], v[0:1], v[0:1]
	s_cselect_b32 vcc_lo, -1, 0
	s_mov_b64 s[6:7], 1
	s_waitcnt lgkmcnt(0)
	v_dual_cndmask_b32 v138, v65, v67 :: v_dual_cndmask_b32 v137, v64, v66
	s_and_b32 vcc_lo, exec_lo, s21
	s_mov_b32 s21, 0
	s_delay_alu instid0(VALU_DEP_1) | instskip(NEXT) | instid1(VALU_DEP_1)
	v_max_f64 v[137:138], v[137:138], v[137:138]
	v_min_f64 v[139:140], v[139:140], v[137:138]
	s_waitcnt vmcnt(0)
	s_delay_alu instid0(VALU_DEP_1) | instskip(SKIP_3) | instid1(VALU_DEP_1)
	v_add_f64 v[139:140], v[141:142], v[139:140]
	scratch_load_b64 v[141:142], v135, off
	scratch_store_b64 v136, v[139:140], off
	v_max_f64 v[139:140], v[2:3], v[2:3]
	v_min_f64 v[139:140], v[139:140], v[137:138]
	s_waitcnt vmcnt(0)
	s_delay_alu instid0(VALU_DEP_1) | instskip(SKIP_3) | instid1(VALU_DEP_1)
	v_add_f64 v[139:140], v[139:140], v[141:142]
	scratch_store_b64 v135, v[139:140], off
	scratch_load_b64 v[139:140], v134, off
	v_max_f64 v[135:136], v[4:5], v[4:5]
	v_min_f64 v[135:136], v[135:136], v[137:138]
	s_waitcnt vmcnt(0)
	s_delay_alu instid0(VALU_DEP_1) | instskip(SKIP_3) | instid1(VALU_DEP_1)
	v_add_f64 v[135:136], v[135:136], v[139:140]
	scratch_load_b64 v[139:140], v133, off
	scratch_store_b64 v134, v[135:136], off
	v_max_f64 v[134:135], v[6:7], v[6:7]
	v_min_f64 v[134:135], v[134:135], v[137:138]
	s_waitcnt vmcnt(0)
	s_delay_alu instid0(VALU_DEP_1) | instskip(SKIP_3) | instid1(VALU_DEP_1)
	v_add_f64 v[134:135], v[134:135], v[139:140]
	scratch_store_b64 v133, v[134:135], off
	scratch_load_b64 v[135:136], v132, off
	v_max_f64 v[133:134], v[8:9], v[8:9]
	v_min_f64 v[133:134], v[133:134], v[137:138]
	s_waitcnt vmcnt(0)
	s_delay_alu instid0(VALU_DEP_1) | instskip(SKIP_4) | instid1(VALU_DEP_1)
	v_add_f64 v[133:134], v[133:134], v[135:136]
	v_mov_b32_e32 v136, 0x100
	scratch_store_b64 v132, v[133:134], off
	scratch_load_b64 v[134:135], v131, off
	v_max_f64 v[132:133], v[10:11], v[10:11]
	v_min_f64 v[132:133], v[132:133], v[137:138]
	s_waitcnt vmcnt(0)
	s_delay_alu instid0(VALU_DEP_1) | instskip(SKIP_4) | instid1(VALU_DEP_1)
	v_add_f64 v[132:133], v[132:133], v[134:135]
	v_mov_b32_e32 v135, 0x108
	;; [unrolled: 8-line block ×26, first 2 shown]
	scratch_store_b64 v107, v[108:109], off
	scratch_load_b64 v[109:110], v83, off
	v_max_f64 v[107:108], v[60:61], v[60:61]
	v_min_f64 v[107:108], v[107:108], v[137:138]
	s_waitcnt vmcnt(0)
	s_delay_alu instid0(VALU_DEP_1) | instskip(SKIP_4) | instid1(VALU_DEP_2)
	v_add_f64 v[107:108], v[107:108], v[109:110]
	scratch_load_b64 v[109:110], v82, off
	scratch_store_b64 v83, v[107:108], off
	v_max_f64 v[107:108], v[62:63], v[62:63]
	v_mov_b32_e32 v83, 0x1f0
	v_min_f64 v[107:108], v[107:108], v[137:138]
	s_waitcnt vmcnt(0)
	s_delay_alu instid0(VALU_DEP_1)
	v_add_f64 v[107:108], v[107:108], v[109:110]
	v_mov_b32_e32 v110, 0x1d0
	v_mov_b32_e32 v109, 0x1d8
	scratch_store_b64 v82, v[107:108], off
	v_mov_b32_e32 v108, 0x1e0
	v_mov_b32_e32 v107, 0x1e8
	;; [unrolled: 1-line block ×3, first 2 shown]
	s_cbranch_vccnz .LBB190_43
; %bb.44:                               ;   in Loop: Header=BB190_34 Depth=1
	ds_load_2addr_b64 v[0:3], v98 offset0:1 offset1:17
	ds_load_2addr_b64 v[4:7], v98 offset0:33 offset1:49
	;; [unrolled: 1-line block ×12, first 2 shown]
	v_dual_mov_b32 v135, 8 :: v_dual_add_nc_u32 v64, 8, v99
	ds_load_2addr_b64 v[48:51], v104 offset0:129 offset1:145
	ds_load_2addr_b64 v[52:55], v104 offset0:161 offset1:177
	;; [unrolled: 1-line block ×4, first 2 shown]
	ds_load_2addr_stride64_b64 v[64:67], v64 offset1:4
	v_dual_mov_b32 v136, 0 :: v_dual_mov_b32 v133, 24
	v_dual_mov_b32 v134, 16 :: v_dual_mov_b32 v131, 40
	;; [unrolled: 1-line block ×5, first 2 shown]
	v_mov_b32_e32 v126, 0x50
	v_mov_b32_e32 v124, 0x60
	;; [unrolled: 1-line block ×21, first 2 shown]
	s_mov_b64 s[6:7], 0
	s_mov_b32 s21, -1
.LBB190_45:                             ;   Parent Loop BB190_34 Depth=1
                                        ; =>  This Inner Loop Header: Depth=2
	scratch_load_b64 v[141:142], v136, off
	s_cmp_eq_u32 s6, 1
	s_waitcnt lgkmcnt(16)
	v_max_f64 v[139:140], v[0:1], v[0:1]
	s_cselect_b32 vcc_lo, -1, 0
	s_mov_b64 s[6:7], 1
	s_waitcnt lgkmcnt(0)
	v_dual_cndmask_b32 v138, v65, v67 :: v_dual_cndmask_b32 v137, v64, v66
	s_and_b32 vcc_lo, exec_lo, s21
	s_mov_b32 s21, 0
	s_delay_alu instid0(VALU_DEP_1) | instskip(NEXT) | instid1(VALU_DEP_1)
	v_max_f64 v[137:138], v[137:138], v[137:138]
	v_min_f64 v[139:140], v[139:140], v[137:138]
	s_waitcnt vmcnt(0)
	s_delay_alu instid0(VALU_DEP_1) | instskip(SKIP_3) | instid1(VALU_DEP_1)
	v_add_f64 v[139:140], v[141:142], v[139:140]
	scratch_load_b64 v[141:142], v135, off
	scratch_store_b64 v136, v[139:140], off
	v_max_f64 v[139:140], v[2:3], v[2:3]
	v_min_f64 v[139:140], v[139:140], v[137:138]
	s_waitcnt vmcnt(0)
	s_delay_alu instid0(VALU_DEP_1) | instskip(SKIP_3) | instid1(VALU_DEP_1)
	v_add_f64 v[139:140], v[139:140], v[141:142]
	scratch_store_b64 v135, v[139:140], off
	scratch_load_b64 v[139:140], v134, off
	v_max_f64 v[135:136], v[4:5], v[4:5]
	v_min_f64 v[135:136], v[135:136], v[137:138]
	s_waitcnt vmcnt(0)
	s_delay_alu instid0(VALU_DEP_1) | instskip(SKIP_3) | instid1(VALU_DEP_1)
	v_add_f64 v[135:136], v[135:136], v[139:140]
	scratch_load_b64 v[139:140], v133, off
	scratch_store_b64 v134, v[135:136], off
	v_max_f64 v[134:135], v[6:7], v[6:7]
	v_min_f64 v[134:135], v[134:135], v[137:138]
	s_waitcnt vmcnt(0)
	s_delay_alu instid0(VALU_DEP_1) | instskip(SKIP_3) | instid1(VALU_DEP_1)
	v_add_f64 v[134:135], v[134:135], v[139:140]
	scratch_store_b64 v133, v[134:135], off
	scratch_load_b64 v[135:136], v132, off
	v_max_f64 v[133:134], v[8:9], v[8:9]
	v_min_f64 v[133:134], v[133:134], v[137:138]
	s_waitcnt vmcnt(0)
	s_delay_alu instid0(VALU_DEP_1) | instskip(SKIP_4) | instid1(VALU_DEP_1)
	v_add_f64 v[133:134], v[133:134], v[135:136]
	v_mov_b32_e32 v136, 0x100
	scratch_store_b64 v132, v[133:134], off
	scratch_load_b64 v[134:135], v131, off
	v_max_f64 v[132:133], v[10:11], v[10:11]
	v_min_f64 v[132:133], v[132:133], v[137:138]
	s_waitcnt vmcnt(0)
	s_delay_alu instid0(VALU_DEP_1) | instskip(SKIP_4) | instid1(VALU_DEP_1)
	v_add_f64 v[132:133], v[132:133], v[134:135]
	v_mov_b32_e32 v135, 0x108
	;; [unrolled: 8-line block ×26, first 2 shown]
	scratch_store_b64 v107, v[108:109], off
	scratch_load_b64 v[109:110], v83, off
	v_max_f64 v[107:108], v[60:61], v[60:61]
	v_min_f64 v[107:108], v[107:108], v[137:138]
	s_waitcnt vmcnt(0)
	s_delay_alu instid0(VALU_DEP_1) | instskip(SKIP_4) | instid1(VALU_DEP_2)
	v_add_f64 v[107:108], v[107:108], v[109:110]
	scratch_load_b64 v[109:110], v82, off
	scratch_store_b64 v83, v[107:108], off
	v_max_f64 v[107:108], v[62:63], v[62:63]
	v_mov_b32_e32 v83, 0x1f0
	v_min_f64 v[107:108], v[107:108], v[137:138]
	s_waitcnt vmcnt(0)
	s_delay_alu instid0(VALU_DEP_1)
	v_add_f64 v[107:108], v[107:108], v[109:110]
	v_mov_b32_e32 v110, 0x1d0
	v_mov_b32_e32 v109, 0x1d8
	scratch_store_b64 v82, v[107:108], off
	v_mov_b32_e32 v108, 0x1e0
	v_mov_b32_e32 v107, 0x1e8
	;; [unrolled: 1-line block ×3, first 2 shown]
	s_cbranch_vccnz .LBB190_45
; %bb.46:                               ;   in Loop: Header=BB190_34 Depth=1
	ds_load_2addr_b64 v[0:3], v98 offset0:2 offset1:18
	ds_load_2addr_b64 v[4:7], v98 offset0:34 offset1:50
	;; [unrolled: 1-line block ×12, first 2 shown]
	v_dual_mov_b32 v135, 8 :: v_dual_add_nc_u32 v64, 16, v99
	ds_load_2addr_b64 v[48:51], v104 offset0:130 offset1:146
	ds_load_2addr_b64 v[52:55], v104 offset0:162 offset1:178
	;; [unrolled: 1-line block ×4, first 2 shown]
	ds_load_2addr_stride64_b64 v[64:67], v64 offset1:4
	v_dual_mov_b32 v136, 0 :: v_dual_mov_b32 v133, 24
	v_dual_mov_b32 v134, 16 :: v_dual_mov_b32 v131, 40
	;; [unrolled: 1-line block ×5, first 2 shown]
	v_mov_b32_e32 v126, 0x50
	v_mov_b32_e32 v124, 0x60
	;; [unrolled: 1-line block ×21, first 2 shown]
	s_mov_b64 s[6:7], 0
	s_mov_b32 s21, -1
.LBB190_47:                             ;   Parent Loop BB190_34 Depth=1
                                        ; =>  This Inner Loop Header: Depth=2
	scratch_load_b64 v[141:142], v136, off
	s_cmp_eq_u32 s6, 1
	s_waitcnt lgkmcnt(16)
	v_max_f64 v[139:140], v[0:1], v[0:1]
	s_cselect_b32 vcc_lo, -1, 0
	s_mov_b64 s[6:7], 1
	s_waitcnt lgkmcnt(0)
	v_dual_cndmask_b32 v138, v65, v67 :: v_dual_cndmask_b32 v137, v64, v66
	s_and_b32 vcc_lo, exec_lo, s21
	s_mov_b32 s21, 0
	s_delay_alu instid0(VALU_DEP_1) | instskip(NEXT) | instid1(VALU_DEP_1)
	v_max_f64 v[137:138], v[137:138], v[137:138]
	v_min_f64 v[139:140], v[139:140], v[137:138]
	s_waitcnt vmcnt(0)
	s_delay_alu instid0(VALU_DEP_1) | instskip(SKIP_3) | instid1(VALU_DEP_1)
	v_add_f64 v[139:140], v[141:142], v[139:140]
	scratch_load_b64 v[141:142], v135, off
	scratch_store_b64 v136, v[139:140], off
	v_max_f64 v[139:140], v[2:3], v[2:3]
	v_min_f64 v[139:140], v[139:140], v[137:138]
	s_waitcnt vmcnt(0)
	s_delay_alu instid0(VALU_DEP_1) | instskip(SKIP_3) | instid1(VALU_DEP_1)
	v_add_f64 v[139:140], v[139:140], v[141:142]
	scratch_store_b64 v135, v[139:140], off
	scratch_load_b64 v[139:140], v134, off
	v_max_f64 v[135:136], v[4:5], v[4:5]
	v_min_f64 v[135:136], v[135:136], v[137:138]
	s_waitcnt vmcnt(0)
	s_delay_alu instid0(VALU_DEP_1) | instskip(SKIP_3) | instid1(VALU_DEP_1)
	v_add_f64 v[135:136], v[135:136], v[139:140]
	scratch_load_b64 v[139:140], v133, off
	scratch_store_b64 v134, v[135:136], off
	v_max_f64 v[134:135], v[6:7], v[6:7]
	v_min_f64 v[134:135], v[134:135], v[137:138]
	s_waitcnt vmcnt(0)
	s_delay_alu instid0(VALU_DEP_1) | instskip(SKIP_3) | instid1(VALU_DEP_1)
	v_add_f64 v[134:135], v[134:135], v[139:140]
	scratch_store_b64 v133, v[134:135], off
	scratch_load_b64 v[135:136], v132, off
	v_max_f64 v[133:134], v[8:9], v[8:9]
	v_min_f64 v[133:134], v[133:134], v[137:138]
	s_waitcnt vmcnt(0)
	s_delay_alu instid0(VALU_DEP_1) | instskip(SKIP_4) | instid1(VALU_DEP_1)
	v_add_f64 v[133:134], v[133:134], v[135:136]
	v_mov_b32_e32 v136, 0x100
	scratch_store_b64 v132, v[133:134], off
	scratch_load_b64 v[134:135], v131, off
	v_max_f64 v[132:133], v[10:11], v[10:11]
	v_min_f64 v[132:133], v[132:133], v[137:138]
	s_waitcnt vmcnt(0)
	s_delay_alu instid0(VALU_DEP_1) | instskip(SKIP_4) | instid1(VALU_DEP_1)
	v_add_f64 v[132:133], v[132:133], v[134:135]
	v_mov_b32_e32 v135, 0x108
	scratch_store_b64 v131, v[132:133], off
	scratch_load_b64 v[133:134], v130, off
	v_max_f64 v[131:132], v[12:13], v[12:13]
	v_min_f64 v[131:132], v[131:132], v[137:138]
	s_waitcnt vmcnt(0)
	s_delay_alu instid0(VALU_DEP_1) | instskip(SKIP_4) | instid1(VALU_DEP_1)
	v_add_f64 v[131:132], v[131:132], v[133:134]
	v_mov_b32_e32 v134, 0x110
	scratch_store_b64 v130, v[131:132], off
	scratch_load_b64 v[132:133], v129, off
	v_max_f64 v[130:131], v[14:15], v[14:15]
	v_min_f64 v[130:131], v[130:131], v[137:138]
	s_waitcnt vmcnt(0)
	s_delay_alu instid0(VALU_DEP_1) | instskip(SKIP_4) | instid1(VALU_DEP_1)
	v_add_f64 v[130:131], v[130:131], v[132:133]
	v_mov_b32_e32 v133, 0x118
	scratch_store_b64 v129, v[130:131], off
	scratch_load_b64 v[131:132], v128, off
	v_max_f64 v[129:130], v[16:17], v[16:17]
	v_min_f64 v[129:130], v[129:130], v[137:138]
	s_waitcnt vmcnt(0)
	s_delay_alu instid0(VALU_DEP_1) | instskip(SKIP_4) | instid1(VALU_DEP_1)
	v_add_f64 v[129:130], v[129:130], v[131:132]
	v_mov_b32_e32 v132, 0x120
	scratch_store_b64 v128, v[129:130], off
	scratch_load_b64 v[130:131], v127, off
	v_max_f64 v[128:129], v[18:19], v[18:19]
	v_min_f64 v[128:129], v[128:129], v[137:138]
	s_waitcnt vmcnt(0)
	s_delay_alu instid0(VALU_DEP_1) | instskip(SKIP_4) | instid1(VALU_DEP_1)
	v_add_f64 v[128:129], v[128:129], v[130:131]
	v_mov_b32_e32 v131, 0x128
	scratch_store_b64 v127, v[128:129], off
	scratch_load_b64 v[129:130], v126, off
	v_max_f64 v[127:128], v[20:21], v[20:21]
	v_min_f64 v[127:128], v[127:128], v[137:138]
	s_waitcnt vmcnt(0)
	s_delay_alu instid0(VALU_DEP_1) | instskip(SKIP_4) | instid1(VALU_DEP_1)
	v_add_f64 v[127:128], v[127:128], v[129:130]
	v_mov_b32_e32 v130, 0x130
	scratch_store_b64 v126, v[127:128], off
	scratch_load_b64 v[128:129], v125, off
	v_max_f64 v[126:127], v[22:23], v[22:23]
	v_min_f64 v[126:127], v[126:127], v[137:138]
	s_waitcnt vmcnt(0)
	s_delay_alu instid0(VALU_DEP_1) | instskip(SKIP_4) | instid1(VALU_DEP_1)
	v_add_f64 v[126:127], v[126:127], v[128:129]
	v_mov_b32_e32 v129, 0x138
	scratch_store_b64 v125, v[126:127], off
	scratch_load_b64 v[127:128], v124, off
	v_max_f64 v[125:126], v[24:25], v[24:25]
	v_min_f64 v[125:126], v[125:126], v[137:138]
	s_waitcnt vmcnt(0)
	s_delay_alu instid0(VALU_DEP_1) | instskip(SKIP_4) | instid1(VALU_DEP_1)
	v_add_f64 v[125:126], v[125:126], v[127:128]
	v_mov_b32_e32 v128, 0x140
	scratch_store_b64 v124, v[125:126], off
	scratch_load_b64 v[126:127], v123, off
	v_max_f64 v[124:125], v[26:27], v[26:27]
	v_min_f64 v[124:125], v[124:125], v[137:138]
	s_waitcnt vmcnt(0)
	s_delay_alu instid0(VALU_DEP_1) | instskip(SKIP_4) | instid1(VALU_DEP_1)
	v_add_f64 v[124:125], v[124:125], v[126:127]
	v_mov_b32_e32 v127, 0x148
	scratch_store_b64 v123, v[124:125], off
	scratch_load_b64 v[125:126], v122, off
	v_max_f64 v[123:124], v[28:29], v[28:29]
	v_min_f64 v[123:124], v[123:124], v[137:138]
	s_waitcnt vmcnt(0)
	s_delay_alu instid0(VALU_DEP_1) | instskip(SKIP_4) | instid1(VALU_DEP_1)
	v_add_f64 v[123:124], v[123:124], v[125:126]
	v_mov_b32_e32 v126, 0x150
	scratch_store_b64 v122, v[123:124], off
	scratch_load_b64 v[124:125], v121, off
	v_max_f64 v[122:123], v[30:31], v[30:31]
	v_min_f64 v[122:123], v[122:123], v[137:138]
	s_waitcnt vmcnt(0)
	s_delay_alu instid0(VALU_DEP_1) | instskip(SKIP_4) | instid1(VALU_DEP_1)
	v_add_f64 v[122:123], v[122:123], v[124:125]
	v_mov_b32_e32 v125, 0x158
	scratch_store_b64 v121, v[122:123], off
	scratch_load_b64 v[123:124], v120, off
	v_max_f64 v[121:122], v[32:33], v[32:33]
	v_min_f64 v[121:122], v[121:122], v[137:138]
	s_waitcnt vmcnt(0)
	s_delay_alu instid0(VALU_DEP_1) | instskip(SKIP_4) | instid1(VALU_DEP_1)
	v_add_f64 v[121:122], v[121:122], v[123:124]
	v_mov_b32_e32 v124, 0x160
	scratch_store_b64 v120, v[121:122], off
	scratch_load_b64 v[122:123], v119, off
	v_max_f64 v[120:121], v[34:35], v[34:35]
	v_min_f64 v[120:121], v[120:121], v[137:138]
	s_waitcnt vmcnt(0)
	s_delay_alu instid0(VALU_DEP_1) | instskip(SKIP_4) | instid1(VALU_DEP_1)
	v_add_f64 v[120:121], v[120:121], v[122:123]
	v_mov_b32_e32 v123, 0x168
	scratch_store_b64 v119, v[120:121], off
	scratch_load_b64 v[121:122], v118, off
	v_max_f64 v[119:120], v[36:37], v[36:37]
	v_min_f64 v[119:120], v[119:120], v[137:138]
	s_waitcnt vmcnt(0)
	s_delay_alu instid0(VALU_DEP_1) | instskip(SKIP_4) | instid1(VALU_DEP_1)
	v_add_f64 v[119:120], v[119:120], v[121:122]
	v_mov_b32_e32 v122, 0x170
	scratch_store_b64 v118, v[119:120], off
	scratch_load_b64 v[120:121], v117, off
	v_max_f64 v[118:119], v[38:39], v[38:39]
	v_min_f64 v[118:119], v[118:119], v[137:138]
	s_waitcnt vmcnt(0)
	s_delay_alu instid0(VALU_DEP_1) | instskip(SKIP_4) | instid1(VALU_DEP_1)
	v_add_f64 v[118:119], v[118:119], v[120:121]
	v_mov_b32_e32 v121, 0x178
	scratch_store_b64 v117, v[118:119], off
	scratch_load_b64 v[119:120], v116, off
	v_max_f64 v[117:118], v[40:41], v[40:41]
	v_min_f64 v[117:118], v[117:118], v[137:138]
	s_waitcnt vmcnt(0)
	s_delay_alu instid0(VALU_DEP_1) | instskip(SKIP_4) | instid1(VALU_DEP_1)
	v_add_f64 v[117:118], v[117:118], v[119:120]
	v_mov_b32_e32 v120, 0x180
	scratch_store_b64 v116, v[117:118], off
	scratch_load_b64 v[118:119], v115, off
	v_max_f64 v[116:117], v[42:43], v[42:43]
	v_min_f64 v[116:117], v[116:117], v[137:138]
	s_waitcnt vmcnt(0)
	s_delay_alu instid0(VALU_DEP_1) | instskip(SKIP_4) | instid1(VALU_DEP_1)
	v_add_f64 v[116:117], v[116:117], v[118:119]
	v_mov_b32_e32 v119, 0x188
	scratch_store_b64 v115, v[116:117], off
	scratch_load_b64 v[117:118], v114, off
	v_max_f64 v[115:116], v[44:45], v[44:45]
	v_min_f64 v[115:116], v[115:116], v[137:138]
	s_waitcnt vmcnt(0)
	s_delay_alu instid0(VALU_DEP_1) | instskip(SKIP_4) | instid1(VALU_DEP_1)
	v_add_f64 v[115:116], v[115:116], v[117:118]
	v_mov_b32_e32 v118, 0x190
	scratch_store_b64 v114, v[115:116], off
	scratch_load_b64 v[116:117], v113, off
	v_max_f64 v[114:115], v[46:47], v[46:47]
	v_min_f64 v[114:115], v[114:115], v[137:138]
	s_waitcnt vmcnt(0)
	s_delay_alu instid0(VALU_DEP_1) | instskip(SKIP_4) | instid1(VALU_DEP_1)
	v_add_f64 v[114:115], v[114:115], v[116:117]
	v_mov_b32_e32 v117, 0x198
	scratch_store_b64 v113, v[114:115], off
	scratch_load_b64 v[115:116], v112, off
	v_max_f64 v[113:114], v[48:49], v[48:49]
	v_min_f64 v[113:114], v[113:114], v[137:138]
	s_waitcnt vmcnt(0)
	s_delay_alu instid0(VALU_DEP_1) | instskip(SKIP_4) | instid1(VALU_DEP_1)
	v_add_f64 v[113:114], v[113:114], v[115:116]
	v_mov_b32_e32 v116, 0x1a0
	scratch_store_b64 v112, v[113:114], off
	scratch_load_b64 v[114:115], v111, off
	v_max_f64 v[112:113], v[50:51], v[50:51]
	v_min_f64 v[112:113], v[112:113], v[137:138]
	s_waitcnt vmcnt(0)
	s_delay_alu instid0(VALU_DEP_1) | instskip(SKIP_4) | instid1(VALU_DEP_1)
	v_add_f64 v[112:113], v[112:113], v[114:115]
	v_mov_b32_e32 v115, 0x1a8
	scratch_store_b64 v111, v[112:113], off
	scratch_load_b64 v[113:114], v110, off
	v_max_f64 v[111:112], v[52:53], v[52:53]
	v_min_f64 v[111:112], v[111:112], v[137:138]
	s_waitcnt vmcnt(0)
	s_delay_alu instid0(VALU_DEP_1) | instskip(SKIP_4) | instid1(VALU_DEP_1)
	v_add_f64 v[111:112], v[111:112], v[113:114]
	v_mov_b32_e32 v114, 0x1b0
	scratch_store_b64 v110, v[111:112], off
	scratch_load_b64 v[112:113], v109, off
	v_max_f64 v[110:111], v[54:55], v[54:55]
	v_min_f64 v[110:111], v[110:111], v[137:138]
	s_waitcnt vmcnt(0)
	s_delay_alu instid0(VALU_DEP_1) | instskip(SKIP_4) | instid1(VALU_DEP_1)
	v_add_f64 v[110:111], v[110:111], v[112:113]
	v_mov_b32_e32 v113, 0x1b8
	scratch_store_b64 v109, v[110:111], off
	scratch_load_b64 v[111:112], v108, off
	v_max_f64 v[109:110], v[56:57], v[56:57]
	v_min_f64 v[109:110], v[109:110], v[137:138]
	s_waitcnt vmcnt(0)
	s_delay_alu instid0(VALU_DEP_1) | instskip(SKIP_4) | instid1(VALU_DEP_1)
	v_add_f64 v[109:110], v[109:110], v[111:112]
	v_mov_b32_e32 v112, 0x1c0
	scratch_store_b64 v108, v[109:110], off
	scratch_load_b64 v[110:111], v107, off
	v_max_f64 v[108:109], v[58:59], v[58:59]
	v_min_f64 v[108:109], v[108:109], v[137:138]
	s_waitcnt vmcnt(0)
	s_delay_alu instid0(VALU_DEP_1) | instskip(SKIP_4) | instid1(VALU_DEP_1)
	v_add_f64 v[108:109], v[108:109], v[110:111]
	v_mov_b32_e32 v111, 0x1c8
	scratch_store_b64 v107, v[108:109], off
	scratch_load_b64 v[109:110], v83, off
	v_max_f64 v[107:108], v[60:61], v[60:61]
	v_min_f64 v[107:108], v[107:108], v[137:138]
	s_waitcnt vmcnt(0)
	s_delay_alu instid0(VALU_DEP_1) | instskip(SKIP_4) | instid1(VALU_DEP_2)
	v_add_f64 v[107:108], v[107:108], v[109:110]
	scratch_load_b64 v[109:110], v82, off
	scratch_store_b64 v83, v[107:108], off
	v_max_f64 v[107:108], v[62:63], v[62:63]
	v_mov_b32_e32 v83, 0x1f0
	v_min_f64 v[107:108], v[107:108], v[137:138]
	s_waitcnt vmcnt(0)
	s_delay_alu instid0(VALU_DEP_1)
	v_add_f64 v[107:108], v[107:108], v[109:110]
	v_mov_b32_e32 v110, 0x1d0
	v_mov_b32_e32 v109, 0x1d8
	scratch_store_b64 v82, v[107:108], off
	v_mov_b32_e32 v108, 0x1e0
	v_mov_b32_e32 v107, 0x1e8
	;; [unrolled: 1-line block ×3, first 2 shown]
	s_cbranch_vccnz .LBB190_47
; %bb.48:                               ;   in Loop: Header=BB190_34 Depth=1
	ds_load_2addr_b64 v[0:3], v98 offset0:3 offset1:19
	ds_load_2addr_b64 v[4:7], v98 offset0:35 offset1:51
	;; [unrolled: 1-line block ×12, first 2 shown]
	v_dual_mov_b32 v135, 8 :: v_dual_add_nc_u32 v64, 24, v99
	ds_load_2addr_b64 v[48:51], v104 offset0:131 offset1:147
	ds_load_2addr_b64 v[52:55], v104 offset0:163 offset1:179
	;; [unrolled: 1-line block ×4, first 2 shown]
	ds_load_2addr_stride64_b64 v[64:67], v64 offset1:4
	v_dual_mov_b32 v136, 0 :: v_dual_mov_b32 v133, 24
	v_dual_mov_b32 v134, 16 :: v_dual_mov_b32 v131, 40
	;; [unrolled: 1-line block ×5, first 2 shown]
	v_mov_b32_e32 v126, 0x50
	v_mov_b32_e32 v124, 0x60
	;; [unrolled: 1-line block ×21, first 2 shown]
	s_mov_b64 s[6:7], 0
	s_mov_b32 s21, -1
.LBB190_49:                             ;   Parent Loop BB190_34 Depth=1
                                        ; =>  This Inner Loop Header: Depth=2
	scratch_load_b64 v[141:142], v136, off
	s_cmp_eq_u32 s6, 1
	s_waitcnt lgkmcnt(16)
	v_max_f64 v[139:140], v[0:1], v[0:1]
	s_cselect_b32 vcc_lo, -1, 0
	s_mov_b64 s[6:7], 1
	s_waitcnt lgkmcnt(0)
	v_dual_cndmask_b32 v138, v65, v67 :: v_dual_cndmask_b32 v137, v64, v66
	s_and_b32 vcc_lo, exec_lo, s21
	s_mov_b32 s21, 0
	s_delay_alu instid0(VALU_DEP_1) | instskip(NEXT) | instid1(VALU_DEP_1)
	v_max_f64 v[137:138], v[137:138], v[137:138]
	v_min_f64 v[139:140], v[139:140], v[137:138]
	s_waitcnt vmcnt(0)
	s_delay_alu instid0(VALU_DEP_1) | instskip(SKIP_3) | instid1(VALU_DEP_1)
	v_add_f64 v[139:140], v[141:142], v[139:140]
	scratch_load_b64 v[141:142], v135, off
	scratch_store_b64 v136, v[139:140], off
	v_max_f64 v[139:140], v[2:3], v[2:3]
	v_min_f64 v[139:140], v[139:140], v[137:138]
	s_waitcnt vmcnt(0)
	s_delay_alu instid0(VALU_DEP_1) | instskip(SKIP_3) | instid1(VALU_DEP_1)
	v_add_f64 v[139:140], v[139:140], v[141:142]
	scratch_store_b64 v135, v[139:140], off
	scratch_load_b64 v[139:140], v134, off
	v_max_f64 v[135:136], v[4:5], v[4:5]
	v_min_f64 v[135:136], v[135:136], v[137:138]
	s_waitcnt vmcnt(0)
	s_delay_alu instid0(VALU_DEP_1) | instskip(SKIP_3) | instid1(VALU_DEP_1)
	v_add_f64 v[135:136], v[135:136], v[139:140]
	scratch_load_b64 v[139:140], v133, off
	scratch_store_b64 v134, v[135:136], off
	v_max_f64 v[134:135], v[6:7], v[6:7]
	v_min_f64 v[134:135], v[134:135], v[137:138]
	s_waitcnt vmcnt(0)
	s_delay_alu instid0(VALU_DEP_1) | instskip(SKIP_3) | instid1(VALU_DEP_1)
	v_add_f64 v[134:135], v[134:135], v[139:140]
	scratch_store_b64 v133, v[134:135], off
	scratch_load_b64 v[135:136], v132, off
	v_max_f64 v[133:134], v[8:9], v[8:9]
	v_min_f64 v[133:134], v[133:134], v[137:138]
	s_waitcnt vmcnt(0)
	s_delay_alu instid0(VALU_DEP_1) | instskip(SKIP_4) | instid1(VALU_DEP_1)
	v_add_f64 v[133:134], v[133:134], v[135:136]
	v_mov_b32_e32 v136, 0x100
	scratch_store_b64 v132, v[133:134], off
	scratch_load_b64 v[134:135], v131, off
	v_max_f64 v[132:133], v[10:11], v[10:11]
	v_min_f64 v[132:133], v[132:133], v[137:138]
	s_waitcnt vmcnt(0)
	s_delay_alu instid0(VALU_DEP_1) | instskip(SKIP_4) | instid1(VALU_DEP_1)
	v_add_f64 v[132:133], v[132:133], v[134:135]
	v_mov_b32_e32 v135, 0x108
	;; [unrolled: 8-line block ×26, first 2 shown]
	scratch_store_b64 v107, v[108:109], off
	scratch_load_b64 v[109:110], v83, off
	v_max_f64 v[107:108], v[60:61], v[60:61]
	v_min_f64 v[107:108], v[107:108], v[137:138]
	s_waitcnt vmcnt(0)
	s_delay_alu instid0(VALU_DEP_1) | instskip(SKIP_4) | instid1(VALU_DEP_2)
	v_add_f64 v[107:108], v[107:108], v[109:110]
	scratch_load_b64 v[109:110], v82, off
	scratch_store_b64 v83, v[107:108], off
	v_max_f64 v[107:108], v[62:63], v[62:63]
	v_mov_b32_e32 v83, 0x1f0
	v_min_f64 v[107:108], v[107:108], v[137:138]
	s_waitcnt vmcnt(0)
	s_delay_alu instid0(VALU_DEP_1)
	v_add_f64 v[107:108], v[107:108], v[109:110]
	v_mov_b32_e32 v110, 0x1d0
	v_mov_b32_e32 v109, 0x1d8
	scratch_store_b64 v82, v[107:108], off
	v_mov_b32_e32 v108, 0x1e0
	v_mov_b32_e32 v107, 0x1e8
	;; [unrolled: 1-line block ×3, first 2 shown]
	s_cbranch_vccnz .LBB190_49
; %bb.50:                               ;   in Loop: Header=BB190_34 Depth=1
	v_or_b32_e32 v72, 4, v72
	v_mov_b32_e32 v82, 0
	v_mov_b32_e32 v83, 0
	ds_store_2addr_stride64_b64 v92, v[80:81], v[78:79] offset1:4
	v_mov_b32_e32 v78, v82
	v_cmp_le_i32_e32 vcc_lo, s42, v72
	v_lshlrev_b64 v[0:1], 3, v[72:73]
	v_mov_b32_e32 v79, v83
	ds_store_2addr_stride64_b64 v94, v[86:87], v[84:85] offset1:4
	s_waitcnt lgkmcnt(0)
	s_waitcnt_vscnt null, 0x0
	s_or_b32 s6, s2, vcc_lo
	s_barrier
	s_xor_b32 s6, s6, -1
	buffer_gl0_inv
	s_and_saveexec_b32 s7, s6
	s_delay_alu instid0(SALU_CYCLE_1)
	s_xor_b32 s7, exec_lo, s7
	s_cbranch_execz .LBB190_52
; %bb.51:                               ;   in Loop: Header=BB190_34 Depth=1
	v_add_co_u32 v2, s6, v100, v0
	s_delay_alu instid0(VALU_DEP_1)
	v_add_co_ci_u32_e64 v3, s6, v101, v1, s6
	flat_load_b64 v[78:79], v[2:3]
.LBB190_52:                             ;   in Loop: Header=BB190_34 Depth=1
	s_or_b32 exec_lo, exec_lo, s7
	s_or_b32 s6, s3, vcc_lo
	s_delay_alu instid0(SALU_CYCLE_1) | instskip(NEXT) | instid1(SALU_CYCLE_1)
	s_xor_b32 s6, s6, -1
	s_and_saveexec_b32 s7, s6
	s_cbranch_execz .LBB190_54
; %bb.53:                               ;   in Loop: Header=BB190_34 Depth=1
	v_add_co_u32 v0, s6, v102, v0
	s_delay_alu instid0(VALU_DEP_1)
	v_add_co_ci_u32_e64 v1, s6, v103, v1, s6
	flat_load_b64 v[82:83], v[0:1]
.LBB190_54:                             ;   in Loop: Header=BB190_34 Depth=1
	s_or_b32 exec_lo, exec_lo, s7
	v_mov_b32_e32 v80, 0
	v_mov_b32_e32 v81, 0
	s_or_b32 s6, s4, vcc_lo
	s_delay_alu instid0(SALU_CYCLE_1) | instskip(NEXT) | instid1(VALU_DEP_1)
	s_xor_b32 s6, s6, -1
	v_dual_mov_b32 v85, v81 :: v_dual_mov_b32 v84, v80
	s_and_saveexec_b32 s7, s6
	s_cbranch_execz .LBB190_56
; %bb.55:                               ;   in Loop: Header=BB190_34 Depth=1
	v_add_co_u32 v0, s6, v105, v74
	s_delay_alu instid0(VALU_DEP_1)
	v_add_co_ci_u32_e64 v1, s6, v106, v75, s6
	flat_load_b64 v[84:85], v[0:1] offset:32
.LBB190_56:                             ;   in Loop: Header=BB190_34 Depth=1
	s_or_b32 exec_lo, exec_lo, s7
	s_or_b32 s6, s5, vcc_lo
	s_delay_alu instid0(SALU_CYCLE_1) | instskip(NEXT) | instid1(SALU_CYCLE_1)
	s_xor_b32 s7, s6, -1
	s_and_saveexec_b32 s6, s7
	s_cbranch_execz .LBB190_58
; %bb.57:                               ;   in Loop: Header=BB190_34 Depth=1
	v_add_co_u32 v0, vcc_lo, v105, v76
	v_add_co_ci_u32_e32 v1, vcc_lo, v106, v77, vcc_lo
	flat_load_b64 v[80:81], v[0:1] offset:32
.LBB190_58:                             ;   in Loop: Header=BB190_34 Depth=1
	s_or_b32 exec_lo, exec_lo, s6
	v_dual_mov_b32 v133, 8 :: v_dual_add_nc_u32 v72, 0x800, v91
	ds_load_2addr_b64 v[0:3], v91 offset1:16
	ds_load_2addr_b64 v[4:7], v91 offset0:32 offset1:48
	ds_load_2addr_b64 v[8:11], v91 offset0:64 offset1:80
	;; [unrolled: 1-line block ×7, first 2 shown]
	ds_load_2addr_b64 v[32:35], v72 offset1:16
	ds_load_2addr_b64 v[36:39], v72 offset0:32 offset1:48
	ds_load_2addr_b64 v[40:43], v72 offset0:64 offset1:80
	ds_load_2addr_b64 v[44:47], v72 offset0:96 offset1:112
	ds_load_2addr_b64 v[48:51], v72 offset0:128 offset1:144
	ds_load_2addr_b64 v[52:55], v72 offset0:160 offset1:176
	ds_load_2addr_b64 v[56:59], v72 offset0:192 offset1:208
	ds_load_2addr_b64 v[60:63], v72 offset0:224 offset1:240
	ds_load_2addr_stride64_b64 v[64:67], v95 offset1:4
	v_dual_mov_b32 v134, 0 :: v_dual_mov_b32 v131, 24
	v_dual_mov_b32 v132, 16 :: v_dual_mov_b32 v129, 40
	;; [unrolled: 1-line block ×5, first 2 shown]
	v_mov_b32_e32 v124, 0x50
	v_mov_b32_e32 v122, 0x60
	;; [unrolled: 1-line block ×21, first 2 shown]
	s_mov_b64 s[6:7], 0
	s_mov_b32 s21, -1
.LBB190_59:                             ;   Parent Loop BB190_34 Depth=1
                                        ; =>  This Inner Loop Header: Depth=2
	scratch_load_b64 v[139:140], v134, off
	s_cmp_eq_u32 s6, 1
	s_waitcnt lgkmcnt(16)
	v_max_f64 v[137:138], v[0:1], v[0:1]
	s_cselect_b32 vcc_lo, -1, 0
	s_mov_b64 s[6:7], 1
	s_waitcnt lgkmcnt(0)
	v_dual_cndmask_b32 v136, v65, v67 :: v_dual_cndmask_b32 v135, v64, v66
	s_and_b32 vcc_lo, exec_lo, s21
	s_mov_b32 s21, 0
	s_delay_alu instid0(VALU_DEP_1) | instskip(NEXT) | instid1(VALU_DEP_1)
	v_max_f64 v[135:136], v[135:136], v[135:136]
	v_min_f64 v[137:138], v[137:138], v[135:136]
	s_waitcnt vmcnt(0)
	s_delay_alu instid0(VALU_DEP_1) | instskip(SKIP_3) | instid1(VALU_DEP_1)
	v_add_f64 v[137:138], v[139:140], v[137:138]
	scratch_load_b64 v[139:140], v133, off
	scratch_store_b64 v134, v[137:138], off
	v_max_f64 v[137:138], v[2:3], v[2:3]
	v_min_f64 v[137:138], v[137:138], v[135:136]
	s_waitcnt vmcnt(0)
	s_delay_alu instid0(VALU_DEP_1) | instskip(SKIP_3) | instid1(VALU_DEP_1)
	v_add_f64 v[137:138], v[137:138], v[139:140]
	scratch_store_b64 v133, v[137:138], off
	scratch_load_b64 v[137:138], v132, off
	v_max_f64 v[133:134], v[4:5], v[4:5]
	v_min_f64 v[133:134], v[133:134], v[135:136]
	s_waitcnt vmcnt(0)
	s_delay_alu instid0(VALU_DEP_1) | instskip(SKIP_3) | instid1(VALU_DEP_1)
	v_add_f64 v[133:134], v[133:134], v[137:138]
	scratch_load_b64 v[137:138], v131, off
	scratch_store_b64 v132, v[133:134], off
	v_max_f64 v[132:133], v[6:7], v[6:7]
	v_min_f64 v[132:133], v[132:133], v[135:136]
	s_waitcnt vmcnt(0)
	s_delay_alu instid0(VALU_DEP_1) | instskip(SKIP_3) | instid1(VALU_DEP_1)
	v_add_f64 v[132:133], v[132:133], v[137:138]
	scratch_store_b64 v131, v[132:133], off
	scratch_load_b64 v[133:134], v130, off
	v_max_f64 v[131:132], v[8:9], v[8:9]
	v_min_f64 v[131:132], v[131:132], v[135:136]
	s_waitcnt vmcnt(0)
	s_delay_alu instid0(VALU_DEP_1) | instskip(SKIP_4) | instid1(VALU_DEP_1)
	v_add_f64 v[131:132], v[131:132], v[133:134]
	v_mov_b32_e32 v134, 0x100
	scratch_store_b64 v130, v[131:132], off
	scratch_load_b64 v[132:133], v129, off
	v_max_f64 v[130:131], v[10:11], v[10:11]
	v_min_f64 v[130:131], v[130:131], v[135:136]
	s_waitcnt vmcnt(0)
	s_delay_alu instid0(VALU_DEP_1) | instskip(SKIP_4) | instid1(VALU_DEP_1)
	v_add_f64 v[130:131], v[130:131], v[132:133]
	v_mov_b32_e32 v133, 0x108
	;; [unrolled: 8-line block ×26, first 2 shown]
	scratch_store_b64 v105, v[106:107], off
	scratch_load_b64 v[107:108], v87, off
	v_max_f64 v[105:106], v[60:61], v[60:61]
	v_min_f64 v[105:106], v[105:106], v[135:136]
	s_waitcnt vmcnt(0)
	s_delay_alu instid0(VALU_DEP_1) | instskip(SKIP_4) | instid1(VALU_DEP_2)
	v_add_f64 v[105:106], v[105:106], v[107:108]
	scratch_load_b64 v[107:108], v86, off
	scratch_store_b64 v87, v[105:106], off
	v_max_f64 v[105:106], v[62:63], v[62:63]
	v_mov_b32_e32 v87, 0x1f0
	v_min_f64 v[105:106], v[105:106], v[135:136]
	s_waitcnt vmcnt(0)
	s_delay_alu instid0(VALU_DEP_1)
	v_add_f64 v[105:106], v[105:106], v[107:108]
	v_mov_b32_e32 v108, 0x1d0
	v_mov_b32_e32 v107, 0x1d8
	scratch_store_b64 v86, v[105:106], off
	v_mov_b32_e32 v106, 0x1e0
	v_mov_b32_e32 v105, 0x1e8
	;; [unrolled: 1-line block ×3, first 2 shown]
	s_cbranch_vccnz .LBB190_59
; %bb.60:                               ;   in Loop: Header=BB190_34 Depth=1
	ds_load_2addr_b64 v[0:3], v91 offset0:1 offset1:17
	ds_load_2addr_b64 v[4:7], v91 offset0:33 offset1:49
	;; [unrolled: 1-line block ×12, first 2 shown]
	v_dual_mov_b32 v133, 8 :: v_dual_add_nc_u32 v64, 8, v95
	ds_load_2addr_b64 v[48:51], v72 offset0:129 offset1:145
	ds_load_2addr_b64 v[52:55], v72 offset0:161 offset1:177
	ds_load_2addr_b64 v[56:59], v72 offset0:193 offset1:209
	ds_load_2addr_b64 v[60:63], v72 offset0:225 offset1:241
	ds_load_2addr_stride64_b64 v[64:67], v64 offset1:4
	v_dual_mov_b32 v134, 0 :: v_dual_mov_b32 v131, 24
	v_dual_mov_b32 v132, 16 :: v_dual_mov_b32 v129, 40
	v_dual_mov_b32 v130, 32 :: v_dual_mov_b32 v127, 56
	v_dual_mov_b32 v128, 48 :: v_dual_mov_b32 v125, 0x48
	v_dual_mov_b32 v126, 64 :: v_dual_mov_b32 v123, 0x58
	v_mov_b32_e32 v124, 0x50
	v_mov_b32_e32 v122, 0x60
	;; [unrolled: 1-line block ×21, first 2 shown]
	s_mov_b64 s[6:7], 0
	s_mov_b32 s21, -1
.LBB190_61:                             ;   Parent Loop BB190_34 Depth=1
                                        ; =>  This Inner Loop Header: Depth=2
	scratch_load_b64 v[139:140], v134, off
	s_cmp_eq_u32 s6, 1
	s_waitcnt lgkmcnt(16)
	v_max_f64 v[137:138], v[0:1], v[0:1]
	s_cselect_b32 vcc_lo, -1, 0
	s_mov_b64 s[6:7], 1
	s_waitcnt lgkmcnt(0)
	v_dual_cndmask_b32 v136, v65, v67 :: v_dual_cndmask_b32 v135, v64, v66
	s_and_b32 vcc_lo, exec_lo, s21
	s_mov_b32 s21, 0
	s_delay_alu instid0(VALU_DEP_1) | instskip(NEXT) | instid1(VALU_DEP_1)
	v_max_f64 v[135:136], v[135:136], v[135:136]
	v_min_f64 v[137:138], v[137:138], v[135:136]
	s_waitcnt vmcnt(0)
	s_delay_alu instid0(VALU_DEP_1) | instskip(SKIP_3) | instid1(VALU_DEP_1)
	v_add_f64 v[137:138], v[139:140], v[137:138]
	scratch_load_b64 v[139:140], v133, off
	scratch_store_b64 v134, v[137:138], off
	v_max_f64 v[137:138], v[2:3], v[2:3]
	v_min_f64 v[137:138], v[137:138], v[135:136]
	s_waitcnt vmcnt(0)
	s_delay_alu instid0(VALU_DEP_1) | instskip(SKIP_3) | instid1(VALU_DEP_1)
	v_add_f64 v[137:138], v[137:138], v[139:140]
	scratch_store_b64 v133, v[137:138], off
	scratch_load_b64 v[137:138], v132, off
	v_max_f64 v[133:134], v[4:5], v[4:5]
	v_min_f64 v[133:134], v[133:134], v[135:136]
	s_waitcnt vmcnt(0)
	s_delay_alu instid0(VALU_DEP_1) | instskip(SKIP_3) | instid1(VALU_DEP_1)
	v_add_f64 v[133:134], v[133:134], v[137:138]
	scratch_load_b64 v[137:138], v131, off
	scratch_store_b64 v132, v[133:134], off
	v_max_f64 v[132:133], v[6:7], v[6:7]
	v_min_f64 v[132:133], v[132:133], v[135:136]
	s_waitcnt vmcnt(0)
	s_delay_alu instid0(VALU_DEP_1) | instskip(SKIP_3) | instid1(VALU_DEP_1)
	v_add_f64 v[132:133], v[132:133], v[137:138]
	scratch_store_b64 v131, v[132:133], off
	scratch_load_b64 v[133:134], v130, off
	v_max_f64 v[131:132], v[8:9], v[8:9]
	v_min_f64 v[131:132], v[131:132], v[135:136]
	s_waitcnt vmcnt(0)
	s_delay_alu instid0(VALU_DEP_1) | instskip(SKIP_4) | instid1(VALU_DEP_1)
	v_add_f64 v[131:132], v[131:132], v[133:134]
	v_mov_b32_e32 v134, 0x100
	scratch_store_b64 v130, v[131:132], off
	scratch_load_b64 v[132:133], v129, off
	v_max_f64 v[130:131], v[10:11], v[10:11]
	v_min_f64 v[130:131], v[130:131], v[135:136]
	s_waitcnt vmcnt(0)
	s_delay_alu instid0(VALU_DEP_1) | instskip(SKIP_4) | instid1(VALU_DEP_1)
	v_add_f64 v[130:131], v[130:131], v[132:133]
	v_mov_b32_e32 v133, 0x108
	;; [unrolled: 8-line block ×26, first 2 shown]
	scratch_store_b64 v105, v[106:107], off
	scratch_load_b64 v[107:108], v87, off
	v_max_f64 v[105:106], v[60:61], v[60:61]
	v_min_f64 v[105:106], v[105:106], v[135:136]
	s_waitcnt vmcnt(0)
	s_delay_alu instid0(VALU_DEP_1) | instskip(SKIP_4) | instid1(VALU_DEP_2)
	v_add_f64 v[105:106], v[105:106], v[107:108]
	scratch_load_b64 v[107:108], v86, off
	scratch_store_b64 v87, v[105:106], off
	v_max_f64 v[105:106], v[62:63], v[62:63]
	v_mov_b32_e32 v87, 0x1f0
	v_min_f64 v[105:106], v[105:106], v[135:136]
	s_waitcnt vmcnt(0)
	s_delay_alu instid0(VALU_DEP_1)
	v_add_f64 v[105:106], v[105:106], v[107:108]
	v_mov_b32_e32 v108, 0x1d0
	v_mov_b32_e32 v107, 0x1d8
	scratch_store_b64 v86, v[105:106], off
	v_mov_b32_e32 v106, 0x1e0
	v_mov_b32_e32 v105, 0x1e8
	;; [unrolled: 1-line block ×3, first 2 shown]
	s_cbranch_vccnz .LBB190_61
; %bb.62:                               ;   in Loop: Header=BB190_34 Depth=1
	ds_load_2addr_b64 v[0:3], v91 offset0:2 offset1:18
	ds_load_2addr_b64 v[4:7], v91 offset0:34 offset1:50
	;; [unrolled: 1-line block ×12, first 2 shown]
	v_dual_mov_b32 v133, 8 :: v_dual_add_nc_u32 v64, 16, v95
	ds_load_2addr_b64 v[48:51], v72 offset0:130 offset1:146
	ds_load_2addr_b64 v[52:55], v72 offset0:162 offset1:178
	;; [unrolled: 1-line block ×4, first 2 shown]
	ds_load_2addr_stride64_b64 v[64:67], v64 offset1:4
	v_dual_mov_b32 v134, 0 :: v_dual_mov_b32 v131, 24
	v_dual_mov_b32 v132, 16 :: v_dual_mov_b32 v129, 40
	v_dual_mov_b32 v130, 32 :: v_dual_mov_b32 v127, 56
	v_dual_mov_b32 v128, 48 :: v_dual_mov_b32 v125, 0x48
	v_dual_mov_b32 v126, 64 :: v_dual_mov_b32 v123, 0x58
	v_mov_b32_e32 v124, 0x50
	v_mov_b32_e32 v122, 0x60
	;; [unrolled: 1-line block ×21, first 2 shown]
	s_mov_b64 s[6:7], 0
	s_mov_b32 s21, -1
.LBB190_63:                             ;   Parent Loop BB190_34 Depth=1
                                        ; =>  This Inner Loop Header: Depth=2
	scratch_load_b64 v[139:140], v134, off
	s_cmp_eq_u32 s6, 1
	s_waitcnt lgkmcnt(16)
	v_max_f64 v[137:138], v[0:1], v[0:1]
	s_cselect_b32 vcc_lo, -1, 0
	s_mov_b64 s[6:7], 1
	s_waitcnt lgkmcnt(0)
	v_dual_cndmask_b32 v136, v65, v67 :: v_dual_cndmask_b32 v135, v64, v66
	s_and_b32 vcc_lo, exec_lo, s21
	s_mov_b32 s21, 0
	s_delay_alu instid0(VALU_DEP_1) | instskip(NEXT) | instid1(VALU_DEP_1)
	v_max_f64 v[135:136], v[135:136], v[135:136]
	v_min_f64 v[137:138], v[137:138], v[135:136]
	s_waitcnt vmcnt(0)
	s_delay_alu instid0(VALU_DEP_1) | instskip(SKIP_3) | instid1(VALU_DEP_1)
	v_add_f64 v[137:138], v[139:140], v[137:138]
	scratch_load_b64 v[139:140], v133, off
	scratch_store_b64 v134, v[137:138], off
	v_max_f64 v[137:138], v[2:3], v[2:3]
	v_min_f64 v[137:138], v[137:138], v[135:136]
	s_waitcnt vmcnt(0)
	s_delay_alu instid0(VALU_DEP_1) | instskip(SKIP_3) | instid1(VALU_DEP_1)
	v_add_f64 v[137:138], v[137:138], v[139:140]
	scratch_store_b64 v133, v[137:138], off
	scratch_load_b64 v[137:138], v132, off
	v_max_f64 v[133:134], v[4:5], v[4:5]
	v_min_f64 v[133:134], v[133:134], v[135:136]
	s_waitcnt vmcnt(0)
	s_delay_alu instid0(VALU_DEP_1) | instskip(SKIP_3) | instid1(VALU_DEP_1)
	v_add_f64 v[133:134], v[133:134], v[137:138]
	scratch_load_b64 v[137:138], v131, off
	scratch_store_b64 v132, v[133:134], off
	v_max_f64 v[132:133], v[6:7], v[6:7]
	v_min_f64 v[132:133], v[132:133], v[135:136]
	s_waitcnt vmcnt(0)
	s_delay_alu instid0(VALU_DEP_1) | instskip(SKIP_3) | instid1(VALU_DEP_1)
	v_add_f64 v[132:133], v[132:133], v[137:138]
	scratch_store_b64 v131, v[132:133], off
	scratch_load_b64 v[133:134], v130, off
	v_max_f64 v[131:132], v[8:9], v[8:9]
	v_min_f64 v[131:132], v[131:132], v[135:136]
	s_waitcnt vmcnt(0)
	s_delay_alu instid0(VALU_DEP_1) | instskip(SKIP_4) | instid1(VALU_DEP_1)
	v_add_f64 v[131:132], v[131:132], v[133:134]
	v_mov_b32_e32 v134, 0x100
	scratch_store_b64 v130, v[131:132], off
	scratch_load_b64 v[132:133], v129, off
	v_max_f64 v[130:131], v[10:11], v[10:11]
	v_min_f64 v[130:131], v[130:131], v[135:136]
	s_waitcnt vmcnt(0)
	s_delay_alu instid0(VALU_DEP_1) | instskip(SKIP_4) | instid1(VALU_DEP_1)
	v_add_f64 v[130:131], v[130:131], v[132:133]
	v_mov_b32_e32 v133, 0x108
	;; [unrolled: 8-line block ×26, first 2 shown]
	scratch_store_b64 v105, v[106:107], off
	scratch_load_b64 v[107:108], v87, off
	v_max_f64 v[105:106], v[60:61], v[60:61]
	v_min_f64 v[105:106], v[105:106], v[135:136]
	s_waitcnt vmcnt(0)
	s_delay_alu instid0(VALU_DEP_1) | instskip(SKIP_4) | instid1(VALU_DEP_2)
	v_add_f64 v[105:106], v[105:106], v[107:108]
	scratch_load_b64 v[107:108], v86, off
	scratch_store_b64 v87, v[105:106], off
	v_max_f64 v[105:106], v[62:63], v[62:63]
	v_mov_b32_e32 v87, 0x1f0
	v_min_f64 v[105:106], v[105:106], v[135:136]
	s_waitcnt vmcnt(0)
	s_delay_alu instid0(VALU_DEP_1)
	v_add_f64 v[105:106], v[105:106], v[107:108]
	v_mov_b32_e32 v108, 0x1d0
	v_mov_b32_e32 v107, 0x1d8
	scratch_store_b64 v86, v[105:106], off
	v_mov_b32_e32 v106, 0x1e0
	v_mov_b32_e32 v105, 0x1e8
	;; [unrolled: 1-line block ×3, first 2 shown]
	s_cbranch_vccnz .LBB190_63
; %bb.64:                               ;   in Loop: Header=BB190_34 Depth=1
	ds_load_2addr_b64 v[0:3], v91 offset0:3 offset1:19
	ds_load_2addr_b64 v[4:7], v91 offset0:35 offset1:51
	ds_load_2addr_b64 v[8:11], v91 offset0:67 offset1:83
	ds_load_2addr_b64 v[12:15], v91 offset0:99 offset1:115
	ds_load_2addr_b64 v[16:19], v91 offset0:131 offset1:147
	ds_load_2addr_b64 v[20:23], v91 offset0:163 offset1:179
	ds_load_2addr_b64 v[24:27], v91 offset0:195 offset1:211
	ds_load_2addr_b64 v[28:31], v91 offset0:227 offset1:243
	ds_load_2addr_b64 v[32:35], v72 offset0:3 offset1:19
	ds_load_2addr_b64 v[36:39], v72 offset0:35 offset1:51
	ds_load_2addr_b64 v[40:43], v72 offset0:67 offset1:83
	ds_load_2addr_b64 v[44:47], v72 offset0:99 offset1:115
	v_dual_mov_b32 v133, 0 :: v_dual_add_nc_u32 v64, 24, v95
	ds_load_2addr_b64 v[48:51], v72 offset0:131 offset1:147
	ds_load_2addr_b64 v[52:55], v72 offset0:163 offset1:179
	;; [unrolled: 1-line block ×4, first 2 shown]
	ds_load_2addr_stride64_b64 v[64:67], v64 offset1:4
	v_dual_mov_b32 v132, 8 :: v_dual_mov_b32 v131, 16
	v_dual_mov_b32 v130, 24 :: v_dual_mov_b32 v129, 32
	;; [unrolled: 1-line block ×4, first 2 shown]
	v_mov_b32_e32 v124, 0x48
	v_mov_b32_e32 v123, 0x50
	;; [unrolled: 1-line block ×23, first 2 shown]
	s_mov_b64 s[6:7], 0
	s_mov_b32 s21, -1
.LBB190_65:                             ;   Parent Loop BB190_34 Depth=1
                                        ; =>  This Inner Loop Header: Depth=2
	scratch_load_b64 v[138:139], v133, off
	s_cmp_eq_u32 s6, 1
	s_waitcnt lgkmcnt(16)
	v_max_f64 v[136:137], v[0:1], v[0:1]
	s_cselect_b32 vcc_lo, -1, 0
	s_mov_b64 s[6:7], 1
	s_waitcnt lgkmcnt(0)
	v_dual_cndmask_b32 v135, v65, v67 :: v_dual_cndmask_b32 v134, v64, v66
	s_and_b32 vcc_lo, exec_lo, s21
	s_mov_b32 s21, 0
	s_delay_alu instid0(VALU_DEP_1) | instskip(NEXT) | instid1(VALU_DEP_1)
	v_max_f64 v[134:135], v[134:135], v[134:135]
	v_min_f64 v[136:137], v[136:137], v[134:135]
	s_waitcnt vmcnt(0)
	s_delay_alu instid0(VALU_DEP_1) | instskip(SKIP_3) | instid1(VALU_DEP_1)
	v_add_f64 v[136:137], v[138:139], v[136:137]
	scratch_load_b64 v[138:139], v132, off
	scratch_store_b64 v133, v[136:137], off
	v_max_f64 v[136:137], v[2:3], v[2:3]
	v_min_f64 v[136:137], v[136:137], v[134:135]
	s_waitcnt vmcnt(0)
	s_delay_alu instid0(VALU_DEP_1) | instskip(SKIP_3) | instid1(VALU_DEP_1)
	v_add_f64 v[136:137], v[136:137], v[138:139]
	scratch_store_b64 v132, v[136:137], off
	scratch_load_b64 v[136:137], v131, off
	v_max_f64 v[132:133], v[4:5], v[4:5]
	v_min_f64 v[132:133], v[132:133], v[134:135]
	s_waitcnt vmcnt(0)
	s_delay_alu instid0(VALU_DEP_1) | instskip(SKIP_3) | instid1(VALU_DEP_1)
	v_add_f64 v[132:133], v[132:133], v[136:137]
	scratch_load_b64 v[136:137], v130, off
	scratch_store_b64 v131, v[132:133], off
	v_max_f64 v[131:132], v[6:7], v[6:7]
	v_min_f64 v[131:132], v[131:132], v[134:135]
	s_waitcnt vmcnt(0)
	s_delay_alu instid0(VALU_DEP_1) | instskip(SKIP_3) | instid1(VALU_DEP_1)
	v_add_f64 v[131:132], v[131:132], v[136:137]
	scratch_store_b64 v130, v[131:132], off
	scratch_load_b64 v[132:133], v129, off
	v_max_f64 v[130:131], v[8:9], v[8:9]
	v_min_f64 v[130:131], v[130:131], v[134:135]
	s_waitcnt vmcnt(0)
	s_delay_alu instid0(VALU_DEP_1) | instskip(SKIP_4) | instid1(VALU_DEP_1)
	v_add_f64 v[130:131], v[130:131], v[132:133]
	v_mov_b32_e32 v133, 0x100
	scratch_store_b64 v129, v[130:131], off
	scratch_load_b64 v[131:132], v128, off
	v_max_f64 v[129:130], v[10:11], v[10:11]
	v_min_f64 v[129:130], v[129:130], v[134:135]
	s_waitcnt vmcnt(0)
	s_delay_alu instid0(VALU_DEP_1) | instskip(SKIP_4) | instid1(VALU_DEP_1)
	v_add_f64 v[129:130], v[129:130], v[131:132]
	v_mov_b32_e32 v132, 0x108
	;; [unrolled: 8-line block ×25, first 2 shown]
	scratch_store_b64 v105, v[106:107], off
	scratch_load_b64 v[107:108], v87, off
	v_max_f64 v[105:106], v[58:59], v[58:59]
	v_min_f64 v[105:106], v[105:106], v[134:135]
	s_waitcnt vmcnt(0)
	s_delay_alu instid0(VALU_DEP_1) | instskip(SKIP_3) | instid1(VALU_DEP_1)
	v_add_f64 v[105:106], v[105:106], v[107:108]
	scratch_load_b64 v[107:108], v86, off
	scratch_store_b64 v87, v[105:106], off
	v_max_f64 v[105:106], v[60:61], v[60:61]
	v_min_f64 v[105:106], v[105:106], v[134:135]
	s_waitcnt vmcnt(0)
	s_delay_alu instid0(VALU_DEP_1)
	v_add_f64 v[105:106], v[105:106], v[107:108]
	v_mov_b32_e32 v108, 0x1c8
	v_mov_b32_e32 v107, 0x1d0
	scratch_store_b64 v86, v[105:106], off
	scratch_load_b64 v[105:106], v72, off
	v_max_f64 v[86:87], v[62:63], v[62:63]
	s_delay_alu instid0(VALU_DEP_1) | instskip(SKIP_1) | instid1(VALU_DEP_1)
	v_min_f64 v[86:87], v[86:87], v[134:135]
	s_waitcnt vmcnt(0)
	v_add_f64 v[86:87], v[86:87], v[105:106]
	v_mov_b32_e32 v106, 0x1d8
	v_mov_b32_e32 v105, 0x1e0
	scratch_store_b64 v72, v[86:87], off
	v_mov_b32_e32 v87, 0x1e8
	v_mov_b32_e32 v86, 0x1f0
	;; [unrolled: 1-line block ×3, first 2 shown]
	s_cbranch_vccnz .LBB190_65
; %bb.66:                               ;   in Loop: Header=BB190_34 Depth=1
	s_add_i32 s20, s20, 8
	s_add_i32 s14, s14, 8
	s_cmp_ge_i32 s20, s19
	ds_store_2addr_stride64_b64 v96, v[78:79], v[82:83] offset1:4
	ds_store_2addr_stride64_b64 v97, v[84:85], v[80:81] offset1:4
	s_waitcnt lgkmcnt(0)
	s_waitcnt_vscnt null, 0x0
	s_barrier
	buffer_gl0_inv
	s_cbranch_scc0 .LBB190_34
.LBB190_67:
	v_dual_mov_b32 v71, 8 :: v_dual_add_nc_u32 v28, 0x1000, v91
	v_dual_mov_b32 v75, 40 :: v_dual_add_nc_u32 v60, 0x1800, v91
	;; [unrolled: 1-line block ×3, first 2 shown]
	ds_load_2addr_b64 v[0:3], v28 offset1:16
	ds_load_2addr_b64 v[4:7], v28 offset0:32 offset1:48
	ds_load_2addr_b64 v[8:11], v28 offset0:64 offset1:80
	ds_load_2addr_b64 v[12:15], v28 offset0:96 offset1:112
	ds_load_2addr_b64 v[16:19], v28 offset0:128 offset1:144
	ds_load_2addr_b64 v[20:23], v28 offset0:160 offset1:176
	ds_load_2addr_b64 v[24:27], v28 offset0:192 offset1:208
	ds_load_2addr_b64 v[28:31], v28 offset0:224 offset1:240
	ds_load_2addr_b64 v[32:35], v60 offset1:16
	ds_load_2addr_b64 v[36:39], v60 offset0:32 offset1:48
	ds_load_2addr_b64 v[40:43], v60 offset0:64 offset1:80
	;; [unrolled: 1-line block ×7, first 2 shown]
	ds_load_2addr_stride64_b64 v[64:67], v93 offset0:24 offset1:28
	v_dual_mov_b32 v70, 0 :: v_dual_add_nc_u32 v69, 0x3000, v93
	v_dual_mov_b32 v72, 16 :: v_dual_mov_b32 v77, 56
	v_dual_mov_b32 v74, 32 :: v_dual_mov_b32 v79, 0x48
	v_dual_mov_b32 v76, 48 :: v_dual_mov_b32 v81, 0x58
	v_dual_mov_b32 v78, 64 :: v_dual_mov_b32 v83, 0x68
	v_mov_b32_e32 v80, 0x50
	v_mov_b32_e32 v82, 0x60
	;; [unrolled: 1-line block ×20, first 2 shown]
	s_mov_b64 s[2:3], 0
	s_mov_b32 s4, -1
.LBB190_68:                             ; =>This Inner Loop Header: Depth=1
	scratch_load_b64 v[104:105], v70, off
	scratch_load_b64 v[106:107], v71, off
	;; [unrolled: 1-line block ×32, first 2 shown]
	s_cmp_eq_u32 s2, 1
	s_waitcnt lgkmcnt(16)
	v_max_f64 v[170:171], v[0:1], v[0:1]
	s_cselect_b32 vcc_lo, -1, 0
	v_max_f64 v[172:173], v[2:3], v[2:3]
	s_waitcnt lgkmcnt(0)
	v_dual_cndmask_b32 v169, v65, v67 :: v_dual_cndmask_b32 v168, v64, v66
	v_max_f64 v[174:175], v[4:5], v[4:5]
	v_max_f64 v[176:177], v[6:7], v[6:7]
	;; [unrolled: 1-line block ×31, first 2 shown]
	s_mov_b64 s[2:3], 1
	s_and_b32 vcc_lo, exec_lo, s4
	s_mov_b32 s4, 0
	v_min_f64 v[170:171], v[170:171], v[168:169]
	v_min_f64 v[172:173], v[172:173], v[168:169]
	;; [unrolled: 1-line block ×32, first 2 shown]
	s_waitcnt vmcnt(31)
	v_add_f64 v[104:105], v[104:105], v[170:171]
	s_waitcnt vmcnt(30)
	v_add_f64 v[106:107], v[172:173], v[106:107]
	;; [unrolled: 2-line block ×32, first 2 shown]
	scratch_store_b64 v70, v[104:105], off
	scratch_store_b64 v71, v[106:107], off
	;; [unrolled: 1-line block ×32, first 2 shown]
	v_mov_b32_e32 v70, 0x100
	v_mov_b32_e32 v71, 0x108
	;; [unrolled: 1-line block ×32, first 2 shown]
	s_cbranch_vccnz .LBB190_68
; %bb.69:
	v_dual_mov_b32 v71, 8 :: v_dual_add_nc_u32 v60, 0x800, v68
	ds_load_2addr_b64 v[0:3], v68 offset0:1 offset1:17
	ds_load_2addr_b64 v[4:7], v68 offset0:33 offset1:49
	;; [unrolled: 1-line block ×12, first 2 shown]
	v_dual_mov_b32 v73, 24 :: v_dual_add_nc_u32 v64, 8, v69
	ds_load_2addr_b64 v[48:51], v60 offset0:129 offset1:145
	ds_load_2addr_b64 v[52:55], v60 offset0:161 offset1:177
	;; [unrolled: 1-line block ×4, first 2 shown]
	ds_load_2addr_stride64_b64 v[64:67], v64 offset1:4
	v_dual_mov_b32 v70, 0 :: v_dual_mov_b32 v75, 40
	v_dual_mov_b32 v72, 16 :: v_dual_mov_b32 v77, 56
	v_dual_mov_b32 v74, 32 :: v_dual_mov_b32 v79, 0x48
	v_dual_mov_b32 v76, 48 :: v_dual_mov_b32 v81, 0x58
	v_dual_mov_b32 v78, 64 :: v_dual_mov_b32 v83, 0x68
	v_mov_b32_e32 v80, 0x50
	v_mov_b32_e32 v82, 0x60
	;; [unrolled: 1-line block ×20, first 2 shown]
	s_mov_b64 s[2:3], 0
	s_mov_b32 s4, -1
.LBB190_70:                             ; =>This Inner Loop Header: Depth=1
	scratch_load_b64 v[104:105], v70, off
	scratch_load_b64 v[106:107], v71, off
	;; [unrolled: 1-line block ×32, first 2 shown]
	s_cmp_eq_u32 s2, 1
	s_waitcnt lgkmcnt(16)
	v_max_f64 v[170:171], v[0:1], v[0:1]
	s_cselect_b32 vcc_lo, -1, 0
	v_max_f64 v[172:173], v[2:3], v[2:3]
	s_waitcnt lgkmcnt(0)
	v_dual_cndmask_b32 v169, v65, v67 :: v_dual_cndmask_b32 v168, v64, v66
	v_max_f64 v[174:175], v[4:5], v[4:5]
	v_max_f64 v[176:177], v[6:7], v[6:7]
	;; [unrolled: 1-line block ×31, first 2 shown]
	s_mov_b64 s[2:3], 1
	s_and_b32 vcc_lo, exec_lo, s4
	s_mov_b32 s4, 0
	v_min_f64 v[170:171], v[170:171], v[168:169]
	v_min_f64 v[172:173], v[172:173], v[168:169]
	v_min_f64 v[174:175], v[174:175], v[168:169]
	v_min_f64 v[176:177], v[176:177], v[168:169]
	v_min_f64 v[178:179], v[178:179], v[168:169]
	v_min_f64 v[180:181], v[180:181], v[168:169]
	v_min_f64 v[182:183], v[182:183], v[168:169]
	v_min_f64 v[184:185], v[184:185], v[168:169]
	v_min_f64 v[186:187], v[186:187], v[168:169]
	v_min_f64 v[188:189], v[188:189], v[168:169]
	v_min_f64 v[190:191], v[190:191], v[168:169]
	v_min_f64 v[192:193], v[192:193], v[168:169]
	v_min_f64 v[194:195], v[194:195], v[168:169]
	v_min_f64 v[196:197], v[196:197], v[168:169]
	v_min_f64 v[198:199], v[198:199], v[168:169]
	v_min_f64 v[200:201], v[200:201], v[168:169]
	v_min_f64 v[202:203], v[202:203], v[168:169]
	v_min_f64 v[204:205], v[204:205], v[168:169]
	v_min_f64 v[206:207], v[206:207], v[168:169]
	v_min_f64 v[208:209], v[208:209], v[168:169]
	v_min_f64 v[210:211], v[210:211], v[168:169]
	v_min_f64 v[212:213], v[212:213], v[168:169]
	v_min_f64 v[214:215], v[214:215], v[168:169]
	v_min_f64 v[216:217], v[216:217], v[168:169]
	v_min_f64 v[218:219], v[218:219], v[168:169]
	v_min_f64 v[220:221], v[220:221], v[168:169]
	v_min_f64 v[222:223], v[222:223], v[168:169]
	v_min_f64 v[224:225], v[224:225], v[168:169]
	v_min_f64 v[226:227], v[226:227], v[168:169]
	v_min_f64 v[228:229], v[228:229], v[168:169]
	v_min_f64 v[230:231], v[230:231], v[168:169]
	v_min_f64 v[168:169], v[232:233], v[168:169]
	s_waitcnt vmcnt(31)
	v_add_f64 v[104:105], v[104:105], v[170:171]
	s_waitcnt vmcnt(30)
	v_add_f64 v[106:107], v[172:173], v[106:107]
	;; [unrolled: 2-line block ×32, first 2 shown]
	scratch_store_b64 v70, v[104:105], off
	scratch_store_b64 v71, v[106:107], off
	;; [unrolled: 1-line block ×32, first 2 shown]
	v_mov_b32_e32 v70, 0x100
	v_mov_b32_e32 v71, 0x108
	v_mov_b32_e32 v72, 0x110
	v_mov_b32_e32 v73, 0x118
	v_mov_b32_e32 v74, 0x120
	v_mov_b32_e32 v75, 0x128
	v_mov_b32_e32 v76, 0x130
	v_mov_b32_e32 v77, 0x138
	v_mov_b32_e32 v78, 0x140
	v_mov_b32_e32 v79, 0x148
	v_mov_b32_e32 v80, 0x150
	v_mov_b32_e32 v81, 0x158
	v_mov_b32_e32 v82, 0x160
	v_mov_b32_e32 v83, 0x168
	v_mov_b32_e32 v84, 0x170
	v_mov_b32_e32 v85, 0x178
	v_mov_b32_e32 v86, 0x180
	v_mov_b32_e32 v87, 0x188
	v_mov_b32_e32 v90, 0x190
	v_mov_b32_e32 v91, 0x198
	v_mov_b32_e32 v92, 0x1a0
	v_mov_b32_e32 v93, 0x1a8
	v_mov_b32_e32 v94, 0x1b0
	v_mov_b32_e32 v95, 0x1b8
	v_mov_b32_e32 v96, 0x1c0
	v_mov_b32_e32 v97, 0x1c8
	v_mov_b32_e32 v98, 0x1d0
	v_mov_b32_e32 v99, 0x1d8
	v_mov_b32_e32 v100, 0x1e0
	v_mov_b32_e32 v101, 0x1e8
	v_mov_b32_e32 v102, 0x1f0
	v_mov_b32_e32 v103, 0x1f8
	s_cbranch_vccnz .LBB190_70
; %bb.71:
	v_dual_mov_b32 v71, 8 :: v_dual_add_nc_u32 v60, 0x800, v68
	ds_load_2addr_b64 v[0:3], v68 offset0:2 offset1:18
	ds_load_2addr_b64 v[4:7], v68 offset0:34 offset1:50
	;; [unrolled: 1-line block ×12, first 2 shown]
	v_dual_mov_b32 v73, 24 :: v_dual_add_nc_u32 v64, 16, v69
	ds_load_2addr_b64 v[48:51], v60 offset0:130 offset1:146
	ds_load_2addr_b64 v[52:55], v60 offset0:162 offset1:178
	;; [unrolled: 1-line block ×4, first 2 shown]
	ds_load_2addr_stride64_b64 v[64:67], v64 offset1:4
	v_dual_mov_b32 v70, 0 :: v_dual_mov_b32 v75, 40
	v_dual_mov_b32 v72, 16 :: v_dual_mov_b32 v77, 56
	;; [unrolled: 1-line block ×5, first 2 shown]
	v_mov_b32_e32 v80, 0x50
	v_mov_b32_e32 v82, 0x60
	v_mov_b32_e32 v84, 0x70
	v_mov_b32_e32 v85, 0x78
	v_mov_b32_e32 v86, 0x80
	v_mov_b32_e32 v87, 0x88
	v_mov_b32_e32 v90, 0x90
	v_mov_b32_e32 v91, 0x98
	v_mov_b32_e32 v92, 0xa0
	v_mov_b32_e32 v93, 0xa8
	v_mov_b32_e32 v94, 0xb0
	v_mov_b32_e32 v95, 0xb8
	v_mov_b32_e32 v96, 0xc0
	v_mov_b32_e32 v97, 0xc8
	v_mov_b32_e32 v98, 0xd0
	v_mov_b32_e32 v99, 0xd8
	v_mov_b32_e32 v100, 0xe0
	v_mov_b32_e32 v101, 0xe8
	v_mov_b32_e32 v102, 0xf0
	v_mov_b32_e32 v103, 0xf8
	s_mov_b64 s[2:3], 0
	s_mov_b32 s4, -1
.LBB190_72:                             ; =>This Inner Loop Header: Depth=1
	scratch_load_b64 v[104:105], v70, off
	scratch_load_b64 v[106:107], v71, off
	;; [unrolled: 1-line block ×32, first 2 shown]
	s_cmp_eq_u32 s2, 1
	s_waitcnt lgkmcnt(16)
	v_max_f64 v[170:171], v[0:1], v[0:1]
	s_cselect_b32 vcc_lo, -1, 0
	v_max_f64 v[172:173], v[2:3], v[2:3]
	s_waitcnt lgkmcnt(0)
	v_dual_cndmask_b32 v169, v65, v67 :: v_dual_cndmask_b32 v168, v64, v66
	v_max_f64 v[174:175], v[4:5], v[4:5]
	v_max_f64 v[176:177], v[6:7], v[6:7]
	;; [unrolled: 1-line block ×31, first 2 shown]
	s_mov_b64 s[2:3], 1
	s_and_b32 vcc_lo, exec_lo, s4
	s_mov_b32 s4, 0
	v_min_f64 v[170:171], v[170:171], v[168:169]
	v_min_f64 v[172:173], v[172:173], v[168:169]
	;; [unrolled: 1-line block ×32, first 2 shown]
	s_waitcnt vmcnt(31)
	v_add_f64 v[104:105], v[104:105], v[170:171]
	s_waitcnt vmcnt(30)
	v_add_f64 v[106:107], v[172:173], v[106:107]
	;; [unrolled: 2-line block ×32, first 2 shown]
	scratch_store_b64 v70, v[104:105], off
	scratch_store_b64 v71, v[106:107], off
	;; [unrolled: 1-line block ×32, first 2 shown]
	v_mov_b32_e32 v70, 0x100
	v_mov_b32_e32 v71, 0x108
	;; [unrolled: 1-line block ×32, first 2 shown]
	s_cbranch_vccnz .LBB190_72
; %bb.73:
	v_add_nc_u32_e32 v60, 0x800, v68
	ds_load_2addr_b64 v[0:3], v68 offset0:3 offset1:19
	ds_load_2addr_b64 v[4:7], v68 offset0:35 offset1:51
	;; [unrolled: 1-line block ×4, first 2 shown]
	v_dual_mov_b32 v71, 24 :: v_dual_add_nc_u32 v64, 24, v69
	v_mov_b32_e32 v69, 8
	ds_load_2addr_b64 v[16:19], v68 offset0:131 offset1:147
	ds_load_2addr_b64 v[20:23], v68 offset0:163 offset1:179
	;; [unrolled: 1-line block ×12, first 2 shown]
	ds_load_2addr_stride64_b64 v[64:67], v64 offset1:4
	v_dual_mov_b32 v68, 0 :: v_dual_mov_b32 v73, 40
	v_dual_mov_b32 v70, 16 :: v_dual_mov_b32 v75, 56
	;; [unrolled: 1-line block ×5, first 2 shown]
	v_mov_b32_e32 v78, 0x50
	v_mov_b32_e32 v80, 0x60
	;; [unrolled: 1-line block ×20, first 2 shown]
	s_mov_b64 s[2:3], 0
	s_mov_b32 s4, -1
.LBB190_74:                             ; =>This Inner Loop Header: Depth=1
	scratch_load_b64 v[102:103], v68, off
	scratch_load_b64 v[104:105], v69, off
	;; [unrolled: 1-line block ×32, first 2 shown]
	s_cmp_eq_u32 s2, 1
	s_waitcnt lgkmcnt(16)
	v_max_f64 v[168:169], v[0:1], v[0:1]
	s_cselect_b32 vcc_lo, -1, 0
	v_max_f64 v[170:171], v[2:3], v[2:3]
	s_waitcnt lgkmcnt(0)
	v_dual_cndmask_b32 v167, v65, v67 :: v_dual_cndmask_b32 v166, v64, v66
	v_max_f64 v[172:173], v[4:5], v[4:5]
	v_max_f64 v[174:175], v[6:7], v[6:7]
	;; [unrolled: 1-line block ×31, first 2 shown]
	s_mov_b64 s[2:3], 1
	s_and_b32 vcc_lo, exec_lo, s4
	s_mov_b32 s4, 0
	v_min_f64 v[168:169], v[168:169], v[166:167]
	v_min_f64 v[170:171], v[170:171], v[166:167]
	;; [unrolled: 1-line block ×32, first 2 shown]
	s_waitcnt vmcnt(31)
	v_add_f64 v[102:103], v[102:103], v[168:169]
	s_waitcnt vmcnt(30)
	v_add_f64 v[104:105], v[170:171], v[104:105]
	;; [unrolled: 2-line block ×32, first 2 shown]
	scratch_store_b64 v68, v[102:103], off
	scratch_store_b64 v69, v[104:105], off
	;; [unrolled: 1-line block ×32, first 2 shown]
	v_mov_b32_e32 v68, 0x100
	v_mov_b32_e32 v69, 0x108
	;; [unrolled: 1-line block ×32, first 2 shown]
	s_cbranch_vccnz .LBB190_74
; %bb.75:
	s_clause 0x2
	s_load_b64 s[2:3], s[0:1], 0x78
	s_load_b32 s42, s[0:1], 0x58
	s_load_b32 s37, s[0:1], 0x70
	v_add_nc_u32_e32 v71, s9, v89
	v_add_nc_u32_e32 v0, s8, v88
	v_cndmask_b32_e64 v70, 0, 1, s36
	s_delay_alu instid0(VALU_DEP_3)
	v_cmp_gt_i32_e64 s8, s41, v71
	s_waitcnt lgkmcnt(0)
	s_mul_i32 s0, s15, s3
	v_mad_i64_i32 v[1:2], null, v71, s42, 0
	v_mad_i64_i32 v[3:4], null, v71, s37, 0
	s_mul_hi_u32 s1, s15, s2
	s_mul_i32 s3, s18, s2
	s_add_i32 s0, s1, s0
	s_mul_i32 s2, s15, s2
	s_delay_alu instid0(VALU_DEP_2) | instskip(SKIP_1) | instid1(VALU_DEP_2)
	v_lshlrev_b64 v[5:6], 3, v[1:2]
	s_add_i32 s3, s0, s3
	v_lshlrev_b64 v[2:3], 3, v[3:4]
	s_lshl_b64 s[2:3], s[2:3], 3
	v_cmp_gt_i32_e64 s0, s40, v0
	s_add_u32 s43, s10, s2
	v_add_co_u32 v68, vcc_lo, s34, v5
	v_add_co_ci_u32_e32 v69, vcc_lo, s35, v6, vcc_lo
	s_addc_u32 s44, s11, s3
	v_add_co_u32 v72, vcc_lo, s43, v2
	v_ashrrev_i32_e32 v1, 31, v0
	v_add_co_ci_u32_e32 v73, vcc_lo, s44, v3, vcc_lo
	s_and_b32 s1, s8, s0
	s_delay_alu instid0(SALU_CYCLE_1) | instskip(NEXT) | instid1(SALU_CYCLE_1)
	s_and_saveexec_b32 s2, s1
	s_xor_b32 s1, exec_lo, s2
	s_cbranch_execz .LBB190_80
; %bb.76:
	scratch_load_b64 v[2:3], off, off
	v_lshlrev_b64 v[4:5], 3, v[0:1]
	s_and_not1_b32 vcc_lo, exec_lo, s36
	s_cbranch_vccnz .LBB190_78
; %bb.77:
	s_delay_alu instid0(VALU_DEP_1) | instskip(NEXT) | instid1(VALU_DEP_2)
	v_add_co_u32 v6, vcc_lo, v68, v4
	v_add_co_ci_u32_e32 v7, vcc_lo, v69, v5, vcc_lo
	flat_load_b64 v[6:7], v[6:7]
	s_waitcnt vmcnt(0) lgkmcnt(0)
	v_mul_f64 v[6:7], v[6:7], s[38:39]
	s_branch .LBB190_79
.LBB190_78:
	v_mov_b32_e32 v6, 0
	v_mov_b32_e32 v7, 0
.LBB190_79:
	s_waitcnt vmcnt(0)
	s_delay_alu instid0(VALU_DEP_1)
	v_add_f64 v[2:3], v[2:3], v[6:7]
	v_add_co_u32 v4, vcc_lo, v72, v4
	v_add_co_ci_u32_e32 v5, vcc_lo, v73, v5, vcc_lo
	global_store_b64 v[4:5], v[2:3], off
.LBB190_80:
	s_or_b32 exec_lo, exec_lo, s1
	v_add_nc_u32_e32 v2, 4, v0
	s_delay_alu instid0(VALU_DEP_1) | instskip(SKIP_1) | instid1(VALU_DEP_2)
	v_cmp_gt_i32_e64 s1, s40, v2
	v_ashrrev_i32_e32 v3, 31, v2
	s_and_b32 s3, s8, s1
	s_delay_alu instid0(SALU_CYCLE_1)
	s_and_saveexec_b32 s2, s3
	s_cbranch_execz .LBB190_85
; %bb.81:
	scratch_load_b64 v[4:5], off, off offset:8
	v_lshlrev_b64 v[6:7], 3, v[2:3]
	s_and_not1_b32 vcc_lo, exec_lo, s36
	s_cbranch_vccnz .LBB190_83
; %bb.82:
	s_delay_alu instid0(VALU_DEP_1) | instskip(NEXT) | instid1(VALU_DEP_2)
	v_add_co_u32 v8, vcc_lo, v68, v6
	v_add_co_ci_u32_e32 v9, vcc_lo, v69, v7, vcc_lo
	flat_load_b64 v[8:9], v[8:9]
	s_waitcnt vmcnt(0) lgkmcnt(0)
	v_mul_f64 v[8:9], v[8:9], s[38:39]
	s_branch .LBB190_84
.LBB190_83:
	v_mov_b32_e32 v8, 0
	v_mov_b32_e32 v9, 0
.LBB190_84:
	s_waitcnt vmcnt(0)
	s_delay_alu instid0(VALU_DEP_1)
	v_add_f64 v[4:5], v[4:5], v[8:9]
	v_add_co_u32 v6, vcc_lo, v72, v6
	v_add_co_ci_u32_e32 v7, vcc_lo, v73, v7, vcc_lo
	global_store_b64 v[6:7], v[4:5], off
.LBB190_85:
	s_or_b32 exec_lo, exec_lo, s2
	v_add_nc_u32_e32 v4, 8, v0
	s_delay_alu instid0(VALU_DEP_1) | instskip(SKIP_1) | instid1(VALU_DEP_2)
	v_cmp_gt_i32_e64 s2, s40, v4
	v_ashrrev_i32_e32 v5, 31, v4
	s_and_b32 s4, s8, s2
	s_delay_alu instid0(SALU_CYCLE_1)
	s_and_saveexec_b32 s3, s4
	s_cbranch_execz .LBB190_90
; %bb.86:
	scratch_load_b64 v[6:7], off, off offset:16
	v_lshlrev_b64 v[8:9], 3, v[4:5]
	s_and_not1_b32 vcc_lo, exec_lo, s36
	s_cbranch_vccnz .LBB190_88
; %bb.87:
	s_delay_alu instid0(VALU_DEP_1) | instskip(NEXT) | instid1(VALU_DEP_2)
	v_add_co_u32 v10, vcc_lo, v68, v8
	v_add_co_ci_u32_e32 v11, vcc_lo, v69, v9, vcc_lo
	flat_load_b64 v[10:11], v[10:11]
	s_waitcnt vmcnt(0) lgkmcnt(0)
	v_mul_f64 v[10:11], v[10:11], s[38:39]
	s_branch .LBB190_89
.LBB190_88:
	v_mov_b32_e32 v10, 0
	v_mov_b32_e32 v11, 0
.LBB190_89:
	s_waitcnt vmcnt(0)
	s_delay_alu instid0(VALU_DEP_1)
	v_add_f64 v[6:7], v[6:7], v[10:11]
	v_add_co_u32 v8, vcc_lo, v72, v8
	v_add_co_ci_u32_e32 v9, vcc_lo, v73, v9, vcc_lo
	global_store_b64 v[8:9], v[6:7], off
.LBB190_90:
	;; [unrolled: 33-line block ×31, first 2 shown]
	s_or_b32 exec_lo, exec_lo, s8
	v_add_nc_u32_e32 v68, 64, v71
	s_delay_alu instid0(VALU_DEP_1) | instskip(SKIP_2) | instid1(VALU_DEP_3)
	v_mad_i64_i32 v[64:65], null, v68, s42, 0
	v_mad_i64_i32 v[66:67], null, v68, s37, 0
	v_cmp_gt_i32_e64 s8, s41, v68
	v_lshlrev_b64 v[64:65], 3, v[64:65]
	s_delay_alu instid0(VALU_DEP_2) | instskip(NEXT) | instid1(VALU_DEP_3)
	s_and_b32 s0, s8, s0
	v_lshlrev_b64 v[66:67], 3, v[66:67]
	s_delay_alu instid0(VALU_DEP_2) | instskip(NEXT) | instid1(VALU_DEP_3)
	v_add_co_u32 v71, vcc_lo, s34, v64
	v_add_co_ci_u32_e32 v72, vcc_lo, s35, v65, vcc_lo
	s_delay_alu instid0(VALU_DEP_3) | instskip(NEXT) | instid1(VALU_DEP_4)
	v_add_co_u32 v68, vcc_lo, s43, v66
	v_add_co_ci_u32_e32 v69, vcc_lo, s44, v67, vcc_lo
	s_and_saveexec_b32 s34, s0
	s_delay_alu instid0(SALU_CYCLE_1)
	s_xor_b32 s0, exec_lo, s34
	s_cbranch_execnz .LBB190_268
; %bb.236:
	s_or_b32 exec_lo, exec_lo, s0
	s_and_b32 s1, s8, s1
	s_delay_alu instid0(SALU_CYCLE_1)
	s_and_saveexec_b32 s0, s1
	s_cbranch_execnz .LBB190_272
.LBB190_237:
	s_or_b32 exec_lo, exec_lo, s0
	s_and_b32 s1, s8, s2
	s_delay_alu instid0(SALU_CYCLE_1)
	s_and_saveexec_b32 s0, s1
	s_cbranch_execnz .LBB190_276
.LBB190_238:
	s_or_b32 exec_lo, exec_lo, s0
	s_and_b32 s1, s8, s3
	s_delay_alu instid0(SALU_CYCLE_1)
	s_and_saveexec_b32 s0, s1
	s_cbranch_execnz .LBB190_280
.LBB190_239:
	s_or_b32 exec_lo, exec_lo, s0
	s_and_b32 s1, s8, s4
	s_delay_alu instid0(SALU_CYCLE_1)
	s_and_saveexec_b32 s0, s1
	s_cbranch_execnz .LBB190_284
.LBB190_240:
	s_or_b32 exec_lo, exec_lo, s0
	s_and_b32 s1, s8, s5
	s_delay_alu instid0(SALU_CYCLE_1)
	s_and_saveexec_b32 s0, s1
	s_cbranch_execnz .LBB190_288
.LBB190_241:
	s_or_b32 exec_lo, exec_lo, s0
	s_and_b32 s1, s8, s6
	s_delay_alu instid0(SALU_CYCLE_1)
	s_and_saveexec_b32 s0, s1
	s_cbranch_execnz .LBB190_292
.LBB190_242:
	s_or_b32 exec_lo, exec_lo, s0
	s_and_b32 s1, s8, s7
	s_delay_alu instid0(SALU_CYCLE_1)
	s_and_saveexec_b32 s0, s1
	s_cbranch_execnz .LBB190_296
.LBB190_243:
	s_or_b32 exec_lo, exec_lo, s0
	s_and_b32 s1, s8, s9
	s_delay_alu instid0(SALU_CYCLE_1)
	s_and_saveexec_b32 s0, s1
	s_cbranch_execnz .LBB190_300
.LBB190_244:
	s_or_b32 exec_lo, exec_lo, s0
	s_and_b32 s1, s8, s10
	s_delay_alu instid0(SALU_CYCLE_1)
	s_and_saveexec_b32 s0, s1
	s_cbranch_execnz .LBB190_304
.LBB190_245:
	s_or_b32 exec_lo, exec_lo, s0
	s_and_b32 s1, s8, s11
	s_delay_alu instid0(SALU_CYCLE_1)
	s_and_saveexec_b32 s0, s1
	s_cbranch_execnz .LBB190_308
.LBB190_246:
	s_or_b32 exec_lo, exec_lo, s0
	s_and_b32 s1, s8, s12
	s_delay_alu instid0(SALU_CYCLE_1)
	s_and_saveexec_b32 s0, s1
	s_cbranch_execnz .LBB190_312
.LBB190_247:
	s_or_b32 exec_lo, exec_lo, s0
	s_and_b32 s1, s8, s13
	s_delay_alu instid0(SALU_CYCLE_1)
	s_and_saveexec_b32 s0, s1
	s_cbranch_execnz .LBB190_316
.LBB190_248:
	s_or_b32 exec_lo, exec_lo, s0
	s_and_b32 s1, s8, s14
	s_delay_alu instid0(SALU_CYCLE_1)
	s_and_saveexec_b32 s0, s1
	s_cbranch_execnz .LBB190_320
.LBB190_249:
	s_or_b32 exec_lo, exec_lo, s0
	s_and_b32 s1, s8, s15
	s_delay_alu instid0(SALU_CYCLE_1)
	s_and_saveexec_b32 s0, s1
	s_cbranch_execnz .LBB190_324
.LBB190_250:
	s_or_b32 exec_lo, exec_lo, s0
	s_and_b32 s1, s8, s16
	s_delay_alu instid0(SALU_CYCLE_1)
	s_and_saveexec_b32 s0, s1
	s_cbranch_execnz .LBB190_328
.LBB190_251:
	s_or_b32 exec_lo, exec_lo, s0
	s_and_b32 s1, s8, s17
	s_delay_alu instid0(SALU_CYCLE_1)
	s_and_saveexec_b32 s0, s1
	s_cbranch_execnz .LBB190_332
.LBB190_252:
	s_or_b32 exec_lo, exec_lo, s0
	s_and_b32 s1, s8, s18
	s_delay_alu instid0(SALU_CYCLE_1)
	s_and_saveexec_b32 s0, s1
	s_cbranch_execnz .LBB190_336
.LBB190_253:
	s_or_b32 exec_lo, exec_lo, s0
	s_and_b32 s1, s8, s19
	s_delay_alu instid0(SALU_CYCLE_1)
	s_and_saveexec_b32 s0, s1
	s_cbranch_execnz .LBB190_340
.LBB190_254:
	s_or_b32 exec_lo, exec_lo, s0
	s_and_b32 s1, s8, s20
	s_delay_alu instid0(SALU_CYCLE_1)
	s_and_saveexec_b32 s0, s1
	s_cbranch_execnz .LBB190_344
.LBB190_255:
	s_or_b32 exec_lo, exec_lo, s0
	s_and_b32 s1, s8, s21
	s_delay_alu instid0(SALU_CYCLE_1)
	s_and_saveexec_b32 s0, s1
	s_cbranch_execnz .LBB190_348
.LBB190_256:
	s_or_b32 exec_lo, exec_lo, s0
	s_and_b32 s1, s8, s22
	s_delay_alu instid0(SALU_CYCLE_1)
	s_and_saveexec_b32 s0, s1
	s_cbranch_execnz .LBB190_352
.LBB190_257:
	s_or_b32 exec_lo, exec_lo, s0
	s_and_b32 s1, s8, s23
	s_delay_alu instid0(SALU_CYCLE_1)
	s_and_saveexec_b32 s0, s1
	s_cbranch_execnz .LBB190_356
.LBB190_258:
	s_or_b32 exec_lo, exec_lo, s0
	s_and_b32 s1, s8, s24
	s_delay_alu instid0(SALU_CYCLE_1)
	s_and_saveexec_b32 s0, s1
	s_cbranch_execnz .LBB190_360
.LBB190_259:
	s_or_b32 exec_lo, exec_lo, s0
	s_and_b32 s1, s8, s25
	s_delay_alu instid0(SALU_CYCLE_1)
	s_and_saveexec_b32 s0, s1
	s_cbranch_execnz .LBB190_364
.LBB190_260:
	s_or_b32 exec_lo, exec_lo, s0
	s_and_b32 s1, s8, s26
	s_delay_alu instid0(SALU_CYCLE_1)
	s_and_saveexec_b32 s0, s1
	s_cbranch_execnz .LBB190_368
.LBB190_261:
	s_or_b32 exec_lo, exec_lo, s0
	s_and_b32 s1, s8, s27
	s_delay_alu instid0(SALU_CYCLE_1)
	s_and_saveexec_b32 s0, s1
	s_cbranch_execnz .LBB190_372
.LBB190_262:
	s_or_b32 exec_lo, exec_lo, s0
	s_and_b32 s1, s8, s28
	s_delay_alu instid0(SALU_CYCLE_1)
	s_and_saveexec_b32 s0, s1
	s_cbranch_execnz .LBB190_376
.LBB190_263:
	s_or_b32 exec_lo, exec_lo, s0
	s_and_b32 s1, s8, s29
	s_delay_alu instid0(SALU_CYCLE_1)
	s_and_saveexec_b32 s0, s1
	s_cbranch_execnz .LBB190_380
.LBB190_264:
	s_or_b32 exec_lo, exec_lo, s0
	s_and_b32 s1, s8, s30
	s_delay_alu instid0(SALU_CYCLE_1)
	s_and_saveexec_b32 s0, s1
	s_cbranch_execnz .LBB190_384
.LBB190_265:
	s_or_b32 exec_lo, exec_lo, s0
	s_and_b32 s1, s8, s31
	s_delay_alu instid0(SALU_CYCLE_1)
	s_and_saveexec_b32 s0, s1
	s_cbranch_execnz .LBB190_388
.LBB190_266:
	s_or_b32 exec_lo, exec_lo, s0
	s_and_b32 s0, s8, s33
	s_delay_alu instid0(SALU_CYCLE_1)
	s_and_saveexec_b32 s1, s0
	s_cbranch_execnz .LBB190_392
.LBB190_267:
	s_endpgm
.LBB190_268:
	scratch_load_b64 v[64:65], off, off offset:256
	v_lshlrev_b64 v[0:1], 3, v[0:1]
	s_and_not1_b32 vcc_lo, exec_lo, s36
	s_cbranch_vccnz .LBB190_270
; %bb.269:
	s_delay_alu instid0(VALU_DEP_1) | instskip(NEXT) | instid1(VALU_DEP_2)
	v_add_co_u32 v66, vcc_lo, v71, v0
	v_add_co_ci_u32_e32 v67, vcc_lo, v72, v1, vcc_lo
	flat_load_b64 v[66:67], v[66:67]
	s_waitcnt vmcnt(0) lgkmcnt(0)
	v_mul_f64 v[66:67], v[66:67], s[38:39]
	s_branch .LBB190_271
.LBB190_270:
	v_mov_b32_e32 v66, 0
	v_mov_b32_e32 v67, 0
.LBB190_271:
	s_waitcnt vmcnt(0)
	s_delay_alu instid0(VALU_DEP_1)
	v_add_f64 v[64:65], v[64:65], v[66:67]
	v_add_co_u32 v0, vcc_lo, v68, v0
	v_add_co_ci_u32_e32 v1, vcc_lo, v69, v1, vcc_lo
	global_store_b64 v[0:1], v[64:65], off
	s_or_b32 exec_lo, exec_lo, s0
	s_and_b32 s1, s8, s1
	s_delay_alu instid0(SALU_CYCLE_1)
	s_and_saveexec_b32 s0, s1
	s_cbranch_execz .LBB190_237
.LBB190_272:
	scratch_load_b64 v[0:1], off, off offset:264
	v_cmp_ne_u32_e32 vcc_lo, 1, v70
	v_lshlrev_b64 v[2:3], 3, v[2:3]
	s_cbranch_vccnz .LBB190_274
; %bb.273:
	s_delay_alu instid0(VALU_DEP_1) | instskip(NEXT) | instid1(VALU_DEP_2)
	v_add_co_u32 v64, vcc_lo, v71, v2
	v_add_co_ci_u32_e32 v65, vcc_lo, v72, v3, vcc_lo
	flat_load_b64 v[64:65], v[64:65]
	s_waitcnt vmcnt(0) lgkmcnt(0)
	v_mul_f64 v[64:65], v[64:65], s[38:39]
	s_branch .LBB190_275
.LBB190_274:
	v_mov_b32_e32 v64, 0
	v_mov_b32_e32 v65, 0
.LBB190_275:
	s_waitcnt vmcnt(0)
	s_delay_alu instid0(VALU_DEP_1)
	v_add_f64 v[0:1], v[0:1], v[64:65]
	v_add_co_u32 v2, vcc_lo, v68, v2
	v_add_co_ci_u32_e32 v3, vcc_lo, v69, v3, vcc_lo
	global_store_b64 v[2:3], v[0:1], off
	s_or_b32 exec_lo, exec_lo, s0
	s_and_b32 s1, s8, s2
	s_delay_alu instid0(SALU_CYCLE_1)
	s_and_saveexec_b32 s0, s1
	s_cbranch_execz .LBB190_238
.LBB190_276:
	scratch_load_b64 v[0:1], off, off offset:272
	v_cmp_ne_u32_e32 vcc_lo, 1, v70
	v_lshlrev_b64 v[2:3], 3, v[4:5]
	s_cbranch_vccnz .LBB190_278
; %bb.277:
	s_delay_alu instid0(VALU_DEP_1) | instskip(NEXT) | instid1(VALU_DEP_2)
	v_add_co_u32 v4, vcc_lo, v71, v2
	v_add_co_ci_u32_e32 v5, vcc_lo, v72, v3, vcc_lo
	flat_load_b64 v[4:5], v[4:5]
	s_waitcnt vmcnt(0) lgkmcnt(0)
	v_mul_f64 v[4:5], v[4:5], s[38:39]
	s_branch .LBB190_279
.LBB190_278:
	v_mov_b32_e32 v4, 0
	v_mov_b32_e32 v5, 0
.LBB190_279:
	s_waitcnt vmcnt(0)
	s_delay_alu instid0(VALU_DEP_1)
	v_add_f64 v[0:1], v[0:1], v[4:5]
	v_add_co_u32 v2, vcc_lo, v68, v2
	v_add_co_ci_u32_e32 v3, vcc_lo, v69, v3, vcc_lo
	global_store_b64 v[2:3], v[0:1], off
	s_or_b32 exec_lo, exec_lo, s0
	s_and_b32 s1, s8, s3
	s_delay_alu instid0(SALU_CYCLE_1)
	s_and_saveexec_b32 s0, s1
	s_cbranch_execz .LBB190_239
.LBB190_280:
	scratch_load_b64 v[0:1], off, off offset:280
	v_cmp_ne_u32_e32 vcc_lo, 1, v70
	v_lshlrev_b64 v[2:3], 3, v[6:7]
	s_cbranch_vccnz .LBB190_282
; %bb.281:
	s_delay_alu instid0(VALU_DEP_1) | instskip(NEXT) | instid1(VALU_DEP_2)
	v_add_co_u32 v4, vcc_lo, v71, v2
	v_add_co_ci_u32_e32 v5, vcc_lo, v72, v3, vcc_lo
	flat_load_b64 v[4:5], v[4:5]
	s_waitcnt vmcnt(0) lgkmcnt(0)
	v_mul_f64 v[4:5], v[4:5], s[38:39]
	s_branch .LBB190_283
.LBB190_282:
	v_mov_b32_e32 v4, 0
	v_mov_b32_e32 v5, 0
.LBB190_283:
	s_waitcnt vmcnt(0)
	s_delay_alu instid0(VALU_DEP_1)
	v_add_f64 v[0:1], v[0:1], v[4:5]
	v_add_co_u32 v2, vcc_lo, v68, v2
	v_add_co_ci_u32_e32 v3, vcc_lo, v69, v3, vcc_lo
	global_store_b64 v[2:3], v[0:1], off
	s_or_b32 exec_lo, exec_lo, s0
	s_and_b32 s1, s8, s4
	s_delay_alu instid0(SALU_CYCLE_1)
	s_and_saveexec_b32 s0, s1
	s_cbranch_execz .LBB190_240
.LBB190_284:
	scratch_load_b64 v[0:1], off, off offset:288
	v_cmp_ne_u32_e32 vcc_lo, 1, v70
	v_lshlrev_b64 v[2:3], 3, v[8:9]
	s_cbranch_vccnz .LBB190_286
; %bb.285:
	s_delay_alu instid0(VALU_DEP_1) | instskip(NEXT) | instid1(VALU_DEP_2)
	v_add_co_u32 v4, vcc_lo, v71, v2
	v_add_co_ci_u32_e32 v5, vcc_lo, v72, v3, vcc_lo
	flat_load_b64 v[4:5], v[4:5]
	s_waitcnt vmcnt(0) lgkmcnt(0)
	v_mul_f64 v[4:5], v[4:5], s[38:39]
	s_branch .LBB190_287
.LBB190_286:
	v_mov_b32_e32 v4, 0
	v_mov_b32_e32 v5, 0
.LBB190_287:
	s_waitcnt vmcnt(0)
	s_delay_alu instid0(VALU_DEP_1)
	v_add_f64 v[0:1], v[0:1], v[4:5]
	v_add_co_u32 v2, vcc_lo, v68, v2
	v_add_co_ci_u32_e32 v3, vcc_lo, v69, v3, vcc_lo
	global_store_b64 v[2:3], v[0:1], off
	s_or_b32 exec_lo, exec_lo, s0
	s_and_b32 s1, s8, s5
	s_delay_alu instid0(SALU_CYCLE_1)
	s_and_saveexec_b32 s0, s1
	s_cbranch_execz .LBB190_241
.LBB190_288:
	scratch_load_b64 v[0:1], off, off offset:296
	v_cmp_ne_u32_e32 vcc_lo, 1, v70
	v_lshlrev_b64 v[2:3], 3, v[10:11]
	s_cbranch_vccnz .LBB190_290
; %bb.289:
	s_delay_alu instid0(VALU_DEP_1) | instskip(NEXT) | instid1(VALU_DEP_2)
	v_add_co_u32 v4, vcc_lo, v71, v2
	v_add_co_ci_u32_e32 v5, vcc_lo, v72, v3, vcc_lo
	flat_load_b64 v[4:5], v[4:5]
	s_waitcnt vmcnt(0) lgkmcnt(0)
	v_mul_f64 v[4:5], v[4:5], s[38:39]
	s_branch .LBB190_291
.LBB190_290:
	v_mov_b32_e32 v4, 0
	v_mov_b32_e32 v5, 0
.LBB190_291:
	s_waitcnt vmcnt(0)
	s_delay_alu instid0(VALU_DEP_1)
	v_add_f64 v[0:1], v[0:1], v[4:5]
	v_add_co_u32 v2, vcc_lo, v68, v2
	v_add_co_ci_u32_e32 v3, vcc_lo, v69, v3, vcc_lo
	global_store_b64 v[2:3], v[0:1], off
	s_or_b32 exec_lo, exec_lo, s0
	s_and_b32 s1, s8, s6
	s_delay_alu instid0(SALU_CYCLE_1)
	s_and_saveexec_b32 s0, s1
	s_cbranch_execz .LBB190_242
.LBB190_292:
	scratch_load_b64 v[0:1], off, off offset:304
	v_cmp_ne_u32_e32 vcc_lo, 1, v70
	v_lshlrev_b64 v[2:3], 3, v[12:13]
	s_cbranch_vccnz .LBB190_294
; %bb.293:
	s_delay_alu instid0(VALU_DEP_1) | instskip(NEXT) | instid1(VALU_DEP_2)
	v_add_co_u32 v4, vcc_lo, v71, v2
	v_add_co_ci_u32_e32 v5, vcc_lo, v72, v3, vcc_lo
	flat_load_b64 v[4:5], v[4:5]
	s_waitcnt vmcnt(0) lgkmcnt(0)
	v_mul_f64 v[4:5], v[4:5], s[38:39]
	s_branch .LBB190_295
.LBB190_294:
	v_mov_b32_e32 v4, 0
	v_mov_b32_e32 v5, 0
.LBB190_295:
	s_waitcnt vmcnt(0)
	s_delay_alu instid0(VALU_DEP_1)
	v_add_f64 v[0:1], v[0:1], v[4:5]
	v_add_co_u32 v2, vcc_lo, v68, v2
	v_add_co_ci_u32_e32 v3, vcc_lo, v69, v3, vcc_lo
	global_store_b64 v[2:3], v[0:1], off
	s_or_b32 exec_lo, exec_lo, s0
	s_and_b32 s1, s8, s7
	s_delay_alu instid0(SALU_CYCLE_1)
	s_and_saveexec_b32 s0, s1
	s_cbranch_execz .LBB190_243
.LBB190_296:
	scratch_load_b64 v[0:1], off, off offset:312
	v_cmp_ne_u32_e32 vcc_lo, 1, v70
	v_lshlrev_b64 v[2:3], 3, v[14:15]
	s_cbranch_vccnz .LBB190_298
; %bb.297:
	s_delay_alu instid0(VALU_DEP_1) | instskip(NEXT) | instid1(VALU_DEP_2)
	v_add_co_u32 v4, vcc_lo, v71, v2
	v_add_co_ci_u32_e32 v5, vcc_lo, v72, v3, vcc_lo
	flat_load_b64 v[4:5], v[4:5]
	s_waitcnt vmcnt(0) lgkmcnt(0)
	v_mul_f64 v[4:5], v[4:5], s[38:39]
	s_branch .LBB190_299
.LBB190_298:
	v_mov_b32_e32 v4, 0
	v_mov_b32_e32 v5, 0
.LBB190_299:
	s_waitcnt vmcnt(0)
	s_delay_alu instid0(VALU_DEP_1)
	v_add_f64 v[0:1], v[0:1], v[4:5]
	v_add_co_u32 v2, vcc_lo, v68, v2
	v_add_co_ci_u32_e32 v3, vcc_lo, v69, v3, vcc_lo
	global_store_b64 v[2:3], v[0:1], off
	s_or_b32 exec_lo, exec_lo, s0
	s_and_b32 s1, s8, s9
	s_delay_alu instid0(SALU_CYCLE_1)
	s_and_saveexec_b32 s0, s1
	s_cbranch_execz .LBB190_244
.LBB190_300:
	scratch_load_b64 v[0:1], off, off offset:320
	v_cmp_ne_u32_e32 vcc_lo, 1, v70
	v_lshlrev_b64 v[2:3], 3, v[16:17]
	s_cbranch_vccnz .LBB190_302
; %bb.301:
	s_delay_alu instid0(VALU_DEP_1) | instskip(NEXT) | instid1(VALU_DEP_2)
	v_add_co_u32 v4, vcc_lo, v71, v2
	v_add_co_ci_u32_e32 v5, vcc_lo, v72, v3, vcc_lo
	flat_load_b64 v[4:5], v[4:5]
	s_waitcnt vmcnt(0) lgkmcnt(0)
	v_mul_f64 v[4:5], v[4:5], s[38:39]
	s_branch .LBB190_303
.LBB190_302:
	v_mov_b32_e32 v4, 0
	v_mov_b32_e32 v5, 0
.LBB190_303:
	s_waitcnt vmcnt(0)
	s_delay_alu instid0(VALU_DEP_1)
	v_add_f64 v[0:1], v[0:1], v[4:5]
	v_add_co_u32 v2, vcc_lo, v68, v2
	v_add_co_ci_u32_e32 v3, vcc_lo, v69, v3, vcc_lo
	global_store_b64 v[2:3], v[0:1], off
	s_or_b32 exec_lo, exec_lo, s0
	s_and_b32 s1, s8, s10
	s_delay_alu instid0(SALU_CYCLE_1)
	s_and_saveexec_b32 s0, s1
	s_cbranch_execz .LBB190_245
.LBB190_304:
	scratch_load_b64 v[0:1], off, off offset:328
	v_cmp_ne_u32_e32 vcc_lo, 1, v70
	v_lshlrev_b64 v[2:3], 3, v[18:19]
	s_cbranch_vccnz .LBB190_306
; %bb.305:
	s_delay_alu instid0(VALU_DEP_1) | instskip(NEXT) | instid1(VALU_DEP_2)
	v_add_co_u32 v4, vcc_lo, v71, v2
	v_add_co_ci_u32_e32 v5, vcc_lo, v72, v3, vcc_lo
	flat_load_b64 v[4:5], v[4:5]
	s_waitcnt vmcnt(0) lgkmcnt(0)
	v_mul_f64 v[4:5], v[4:5], s[38:39]
	s_branch .LBB190_307
.LBB190_306:
	v_mov_b32_e32 v4, 0
	v_mov_b32_e32 v5, 0
.LBB190_307:
	s_waitcnt vmcnt(0)
	s_delay_alu instid0(VALU_DEP_1)
	v_add_f64 v[0:1], v[0:1], v[4:5]
	v_add_co_u32 v2, vcc_lo, v68, v2
	v_add_co_ci_u32_e32 v3, vcc_lo, v69, v3, vcc_lo
	global_store_b64 v[2:3], v[0:1], off
	s_or_b32 exec_lo, exec_lo, s0
	s_and_b32 s1, s8, s11
	s_delay_alu instid0(SALU_CYCLE_1)
	s_and_saveexec_b32 s0, s1
	s_cbranch_execz .LBB190_246
.LBB190_308:
	scratch_load_b64 v[0:1], off, off offset:336
	v_cmp_ne_u32_e32 vcc_lo, 1, v70
	v_lshlrev_b64 v[2:3], 3, v[20:21]
	s_cbranch_vccnz .LBB190_310
; %bb.309:
	s_delay_alu instid0(VALU_DEP_1) | instskip(NEXT) | instid1(VALU_DEP_2)
	v_add_co_u32 v4, vcc_lo, v71, v2
	v_add_co_ci_u32_e32 v5, vcc_lo, v72, v3, vcc_lo
	flat_load_b64 v[4:5], v[4:5]
	s_waitcnt vmcnt(0) lgkmcnt(0)
	v_mul_f64 v[4:5], v[4:5], s[38:39]
	s_branch .LBB190_311
.LBB190_310:
	v_mov_b32_e32 v4, 0
	v_mov_b32_e32 v5, 0
.LBB190_311:
	s_waitcnt vmcnt(0)
	s_delay_alu instid0(VALU_DEP_1)
	v_add_f64 v[0:1], v[0:1], v[4:5]
	v_add_co_u32 v2, vcc_lo, v68, v2
	v_add_co_ci_u32_e32 v3, vcc_lo, v69, v3, vcc_lo
	global_store_b64 v[2:3], v[0:1], off
	s_or_b32 exec_lo, exec_lo, s0
	s_and_b32 s1, s8, s12
	s_delay_alu instid0(SALU_CYCLE_1)
	s_and_saveexec_b32 s0, s1
	s_cbranch_execz .LBB190_247
.LBB190_312:
	scratch_load_b64 v[0:1], off, off offset:344
	v_cmp_ne_u32_e32 vcc_lo, 1, v70
	v_lshlrev_b64 v[2:3], 3, v[22:23]
	s_cbranch_vccnz .LBB190_314
; %bb.313:
	s_delay_alu instid0(VALU_DEP_1) | instskip(NEXT) | instid1(VALU_DEP_2)
	v_add_co_u32 v4, vcc_lo, v71, v2
	v_add_co_ci_u32_e32 v5, vcc_lo, v72, v3, vcc_lo
	flat_load_b64 v[4:5], v[4:5]
	s_waitcnt vmcnt(0) lgkmcnt(0)
	v_mul_f64 v[4:5], v[4:5], s[38:39]
	s_branch .LBB190_315
.LBB190_314:
	v_mov_b32_e32 v4, 0
	v_mov_b32_e32 v5, 0
.LBB190_315:
	s_waitcnt vmcnt(0)
	s_delay_alu instid0(VALU_DEP_1)
	v_add_f64 v[0:1], v[0:1], v[4:5]
	v_add_co_u32 v2, vcc_lo, v68, v2
	v_add_co_ci_u32_e32 v3, vcc_lo, v69, v3, vcc_lo
	global_store_b64 v[2:3], v[0:1], off
	s_or_b32 exec_lo, exec_lo, s0
	s_and_b32 s1, s8, s13
	s_delay_alu instid0(SALU_CYCLE_1)
	s_and_saveexec_b32 s0, s1
	s_cbranch_execz .LBB190_248
.LBB190_316:
	scratch_load_b64 v[0:1], off, off offset:352
	v_cmp_ne_u32_e32 vcc_lo, 1, v70
	v_lshlrev_b64 v[2:3], 3, v[24:25]
	s_cbranch_vccnz .LBB190_318
; %bb.317:
	s_delay_alu instid0(VALU_DEP_1) | instskip(NEXT) | instid1(VALU_DEP_2)
	v_add_co_u32 v4, vcc_lo, v71, v2
	v_add_co_ci_u32_e32 v5, vcc_lo, v72, v3, vcc_lo
	flat_load_b64 v[4:5], v[4:5]
	s_waitcnt vmcnt(0) lgkmcnt(0)
	v_mul_f64 v[4:5], v[4:5], s[38:39]
	s_branch .LBB190_319
.LBB190_318:
	v_mov_b32_e32 v4, 0
	v_mov_b32_e32 v5, 0
.LBB190_319:
	s_waitcnt vmcnt(0)
	s_delay_alu instid0(VALU_DEP_1)
	v_add_f64 v[0:1], v[0:1], v[4:5]
	v_add_co_u32 v2, vcc_lo, v68, v2
	v_add_co_ci_u32_e32 v3, vcc_lo, v69, v3, vcc_lo
	global_store_b64 v[2:3], v[0:1], off
	s_or_b32 exec_lo, exec_lo, s0
	s_and_b32 s1, s8, s14
	s_delay_alu instid0(SALU_CYCLE_1)
	s_and_saveexec_b32 s0, s1
	s_cbranch_execz .LBB190_249
.LBB190_320:
	scratch_load_b64 v[0:1], off, off offset:360
	v_cmp_ne_u32_e32 vcc_lo, 1, v70
	v_lshlrev_b64 v[2:3], 3, v[26:27]
	s_cbranch_vccnz .LBB190_322
; %bb.321:
	s_delay_alu instid0(VALU_DEP_1) | instskip(NEXT) | instid1(VALU_DEP_2)
	v_add_co_u32 v4, vcc_lo, v71, v2
	v_add_co_ci_u32_e32 v5, vcc_lo, v72, v3, vcc_lo
	flat_load_b64 v[4:5], v[4:5]
	s_waitcnt vmcnt(0) lgkmcnt(0)
	v_mul_f64 v[4:5], v[4:5], s[38:39]
	s_branch .LBB190_323
.LBB190_322:
	v_mov_b32_e32 v4, 0
	v_mov_b32_e32 v5, 0
.LBB190_323:
	s_waitcnt vmcnt(0)
	s_delay_alu instid0(VALU_DEP_1)
	v_add_f64 v[0:1], v[0:1], v[4:5]
	v_add_co_u32 v2, vcc_lo, v68, v2
	v_add_co_ci_u32_e32 v3, vcc_lo, v69, v3, vcc_lo
	global_store_b64 v[2:3], v[0:1], off
	s_or_b32 exec_lo, exec_lo, s0
	s_and_b32 s1, s8, s15
	s_delay_alu instid0(SALU_CYCLE_1)
	s_and_saveexec_b32 s0, s1
	s_cbranch_execz .LBB190_250
.LBB190_324:
	scratch_load_b64 v[0:1], off, off offset:368
	v_cmp_ne_u32_e32 vcc_lo, 1, v70
	v_lshlrev_b64 v[2:3], 3, v[28:29]
	s_cbranch_vccnz .LBB190_326
; %bb.325:
	s_delay_alu instid0(VALU_DEP_1) | instskip(NEXT) | instid1(VALU_DEP_2)
	v_add_co_u32 v4, vcc_lo, v71, v2
	v_add_co_ci_u32_e32 v5, vcc_lo, v72, v3, vcc_lo
	flat_load_b64 v[4:5], v[4:5]
	s_waitcnt vmcnt(0) lgkmcnt(0)
	v_mul_f64 v[4:5], v[4:5], s[38:39]
	s_branch .LBB190_327
.LBB190_326:
	v_mov_b32_e32 v4, 0
	v_mov_b32_e32 v5, 0
.LBB190_327:
	s_waitcnt vmcnt(0)
	s_delay_alu instid0(VALU_DEP_1)
	v_add_f64 v[0:1], v[0:1], v[4:5]
	v_add_co_u32 v2, vcc_lo, v68, v2
	v_add_co_ci_u32_e32 v3, vcc_lo, v69, v3, vcc_lo
	global_store_b64 v[2:3], v[0:1], off
	s_or_b32 exec_lo, exec_lo, s0
	s_and_b32 s1, s8, s16
	s_delay_alu instid0(SALU_CYCLE_1)
	s_and_saveexec_b32 s0, s1
	s_cbranch_execz .LBB190_251
.LBB190_328:
	scratch_load_b64 v[0:1], off, off offset:376
	v_cmp_ne_u32_e32 vcc_lo, 1, v70
	v_lshlrev_b64 v[2:3], 3, v[30:31]
	s_cbranch_vccnz .LBB190_330
; %bb.329:
	s_delay_alu instid0(VALU_DEP_1) | instskip(NEXT) | instid1(VALU_DEP_2)
	v_add_co_u32 v4, vcc_lo, v71, v2
	v_add_co_ci_u32_e32 v5, vcc_lo, v72, v3, vcc_lo
	flat_load_b64 v[4:5], v[4:5]
	s_waitcnt vmcnt(0) lgkmcnt(0)
	v_mul_f64 v[4:5], v[4:5], s[38:39]
	s_branch .LBB190_331
.LBB190_330:
	v_mov_b32_e32 v4, 0
	v_mov_b32_e32 v5, 0
.LBB190_331:
	s_waitcnt vmcnt(0)
	s_delay_alu instid0(VALU_DEP_1)
	v_add_f64 v[0:1], v[0:1], v[4:5]
	v_add_co_u32 v2, vcc_lo, v68, v2
	v_add_co_ci_u32_e32 v3, vcc_lo, v69, v3, vcc_lo
	global_store_b64 v[2:3], v[0:1], off
	s_or_b32 exec_lo, exec_lo, s0
	s_and_b32 s1, s8, s17
	s_delay_alu instid0(SALU_CYCLE_1)
	s_and_saveexec_b32 s0, s1
	s_cbranch_execz .LBB190_252
.LBB190_332:
	scratch_load_b64 v[0:1], off, off offset:384
	v_cmp_ne_u32_e32 vcc_lo, 1, v70
	v_lshlrev_b64 v[2:3], 3, v[32:33]
	s_cbranch_vccnz .LBB190_334
; %bb.333:
	s_delay_alu instid0(VALU_DEP_1) | instskip(NEXT) | instid1(VALU_DEP_2)
	v_add_co_u32 v4, vcc_lo, v71, v2
	v_add_co_ci_u32_e32 v5, vcc_lo, v72, v3, vcc_lo
	flat_load_b64 v[4:5], v[4:5]
	s_waitcnt vmcnt(0) lgkmcnt(0)
	v_mul_f64 v[4:5], v[4:5], s[38:39]
	s_branch .LBB190_335
.LBB190_334:
	v_mov_b32_e32 v4, 0
	v_mov_b32_e32 v5, 0
.LBB190_335:
	s_waitcnt vmcnt(0)
	s_delay_alu instid0(VALU_DEP_1)
	v_add_f64 v[0:1], v[0:1], v[4:5]
	v_add_co_u32 v2, vcc_lo, v68, v2
	v_add_co_ci_u32_e32 v3, vcc_lo, v69, v3, vcc_lo
	global_store_b64 v[2:3], v[0:1], off
	s_or_b32 exec_lo, exec_lo, s0
	s_and_b32 s1, s8, s18
	s_delay_alu instid0(SALU_CYCLE_1)
	s_and_saveexec_b32 s0, s1
	s_cbranch_execz .LBB190_253
.LBB190_336:
	scratch_load_b64 v[0:1], off, off offset:392
	v_cmp_ne_u32_e32 vcc_lo, 1, v70
	v_lshlrev_b64 v[2:3], 3, v[34:35]
	s_cbranch_vccnz .LBB190_338
; %bb.337:
	s_delay_alu instid0(VALU_DEP_1) | instskip(NEXT) | instid1(VALU_DEP_2)
	v_add_co_u32 v4, vcc_lo, v71, v2
	v_add_co_ci_u32_e32 v5, vcc_lo, v72, v3, vcc_lo
	flat_load_b64 v[4:5], v[4:5]
	s_waitcnt vmcnt(0) lgkmcnt(0)
	v_mul_f64 v[4:5], v[4:5], s[38:39]
	s_branch .LBB190_339
.LBB190_338:
	v_mov_b32_e32 v4, 0
	v_mov_b32_e32 v5, 0
.LBB190_339:
	s_waitcnt vmcnt(0)
	s_delay_alu instid0(VALU_DEP_1)
	v_add_f64 v[0:1], v[0:1], v[4:5]
	v_add_co_u32 v2, vcc_lo, v68, v2
	v_add_co_ci_u32_e32 v3, vcc_lo, v69, v3, vcc_lo
	global_store_b64 v[2:3], v[0:1], off
	s_or_b32 exec_lo, exec_lo, s0
	s_and_b32 s1, s8, s19
	s_delay_alu instid0(SALU_CYCLE_1)
	s_and_saveexec_b32 s0, s1
	s_cbranch_execz .LBB190_254
.LBB190_340:
	scratch_load_b64 v[0:1], off, off offset:400
	v_cmp_ne_u32_e32 vcc_lo, 1, v70
	v_lshlrev_b64 v[2:3], 3, v[36:37]
	s_cbranch_vccnz .LBB190_342
; %bb.341:
	s_delay_alu instid0(VALU_DEP_1) | instskip(NEXT) | instid1(VALU_DEP_2)
	v_add_co_u32 v4, vcc_lo, v71, v2
	v_add_co_ci_u32_e32 v5, vcc_lo, v72, v3, vcc_lo
	flat_load_b64 v[4:5], v[4:5]
	s_waitcnt vmcnt(0) lgkmcnt(0)
	v_mul_f64 v[4:5], v[4:5], s[38:39]
	s_branch .LBB190_343
.LBB190_342:
	v_mov_b32_e32 v4, 0
	v_mov_b32_e32 v5, 0
.LBB190_343:
	s_waitcnt vmcnt(0)
	s_delay_alu instid0(VALU_DEP_1)
	v_add_f64 v[0:1], v[0:1], v[4:5]
	v_add_co_u32 v2, vcc_lo, v68, v2
	v_add_co_ci_u32_e32 v3, vcc_lo, v69, v3, vcc_lo
	global_store_b64 v[2:3], v[0:1], off
	s_or_b32 exec_lo, exec_lo, s0
	s_and_b32 s1, s8, s20
	s_delay_alu instid0(SALU_CYCLE_1)
	s_and_saveexec_b32 s0, s1
	s_cbranch_execz .LBB190_255
.LBB190_344:
	scratch_load_b64 v[0:1], off, off offset:408
	v_cmp_ne_u32_e32 vcc_lo, 1, v70
	v_lshlrev_b64 v[2:3], 3, v[38:39]
	s_cbranch_vccnz .LBB190_346
; %bb.345:
	s_delay_alu instid0(VALU_DEP_1) | instskip(NEXT) | instid1(VALU_DEP_2)
	v_add_co_u32 v4, vcc_lo, v71, v2
	v_add_co_ci_u32_e32 v5, vcc_lo, v72, v3, vcc_lo
	flat_load_b64 v[4:5], v[4:5]
	s_waitcnt vmcnt(0) lgkmcnt(0)
	v_mul_f64 v[4:5], v[4:5], s[38:39]
	s_branch .LBB190_347
.LBB190_346:
	v_mov_b32_e32 v4, 0
	v_mov_b32_e32 v5, 0
.LBB190_347:
	s_waitcnt vmcnt(0)
	s_delay_alu instid0(VALU_DEP_1)
	v_add_f64 v[0:1], v[0:1], v[4:5]
	v_add_co_u32 v2, vcc_lo, v68, v2
	v_add_co_ci_u32_e32 v3, vcc_lo, v69, v3, vcc_lo
	global_store_b64 v[2:3], v[0:1], off
	s_or_b32 exec_lo, exec_lo, s0
	s_and_b32 s1, s8, s21
	s_delay_alu instid0(SALU_CYCLE_1)
	s_and_saveexec_b32 s0, s1
	s_cbranch_execz .LBB190_256
.LBB190_348:
	scratch_load_b64 v[0:1], off, off offset:416
	v_cmp_ne_u32_e32 vcc_lo, 1, v70
	v_lshlrev_b64 v[2:3], 3, v[40:41]
	s_cbranch_vccnz .LBB190_350
; %bb.349:
	s_delay_alu instid0(VALU_DEP_1) | instskip(NEXT) | instid1(VALU_DEP_2)
	v_add_co_u32 v4, vcc_lo, v71, v2
	v_add_co_ci_u32_e32 v5, vcc_lo, v72, v3, vcc_lo
	flat_load_b64 v[4:5], v[4:5]
	s_waitcnt vmcnt(0) lgkmcnt(0)
	v_mul_f64 v[4:5], v[4:5], s[38:39]
	s_branch .LBB190_351
.LBB190_350:
	v_mov_b32_e32 v4, 0
	v_mov_b32_e32 v5, 0
.LBB190_351:
	s_waitcnt vmcnt(0)
	s_delay_alu instid0(VALU_DEP_1)
	v_add_f64 v[0:1], v[0:1], v[4:5]
	v_add_co_u32 v2, vcc_lo, v68, v2
	v_add_co_ci_u32_e32 v3, vcc_lo, v69, v3, vcc_lo
	global_store_b64 v[2:3], v[0:1], off
	s_or_b32 exec_lo, exec_lo, s0
	s_and_b32 s1, s8, s22
	s_delay_alu instid0(SALU_CYCLE_1)
	s_and_saveexec_b32 s0, s1
	s_cbranch_execz .LBB190_257
.LBB190_352:
	scratch_load_b64 v[0:1], off, off offset:424
	v_cmp_ne_u32_e32 vcc_lo, 1, v70
	v_lshlrev_b64 v[2:3], 3, v[42:43]
	s_cbranch_vccnz .LBB190_354
; %bb.353:
	s_delay_alu instid0(VALU_DEP_1) | instskip(NEXT) | instid1(VALU_DEP_2)
	v_add_co_u32 v4, vcc_lo, v71, v2
	v_add_co_ci_u32_e32 v5, vcc_lo, v72, v3, vcc_lo
	flat_load_b64 v[4:5], v[4:5]
	s_waitcnt vmcnt(0) lgkmcnt(0)
	v_mul_f64 v[4:5], v[4:5], s[38:39]
	s_branch .LBB190_355
.LBB190_354:
	v_mov_b32_e32 v4, 0
	v_mov_b32_e32 v5, 0
.LBB190_355:
	s_waitcnt vmcnt(0)
	s_delay_alu instid0(VALU_DEP_1)
	v_add_f64 v[0:1], v[0:1], v[4:5]
	v_add_co_u32 v2, vcc_lo, v68, v2
	v_add_co_ci_u32_e32 v3, vcc_lo, v69, v3, vcc_lo
	global_store_b64 v[2:3], v[0:1], off
	s_or_b32 exec_lo, exec_lo, s0
	s_and_b32 s1, s8, s23
	s_delay_alu instid0(SALU_CYCLE_1)
	s_and_saveexec_b32 s0, s1
	s_cbranch_execz .LBB190_258
.LBB190_356:
	scratch_load_b64 v[0:1], off, off offset:432
	v_cmp_ne_u32_e32 vcc_lo, 1, v70
	v_lshlrev_b64 v[2:3], 3, v[44:45]
	s_cbranch_vccnz .LBB190_358
; %bb.357:
	s_delay_alu instid0(VALU_DEP_1) | instskip(NEXT) | instid1(VALU_DEP_2)
	v_add_co_u32 v4, vcc_lo, v71, v2
	v_add_co_ci_u32_e32 v5, vcc_lo, v72, v3, vcc_lo
	flat_load_b64 v[4:5], v[4:5]
	s_waitcnt vmcnt(0) lgkmcnt(0)
	v_mul_f64 v[4:5], v[4:5], s[38:39]
	s_branch .LBB190_359
.LBB190_358:
	v_mov_b32_e32 v4, 0
	v_mov_b32_e32 v5, 0
.LBB190_359:
	s_waitcnt vmcnt(0)
	s_delay_alu instid0(VALU_DEP_1)
	v_add_f64 v[0:1], v[0:1], v[4:5]
	v_add_co_u32 v2, vcc_lo, v68, v2
	v_add_co_ci_u32_e32 v3, vcc_lo, v69, v3, vcc_lo
	global_store_b64 v[2:3], v[0:1], off
	s_or_b32 exec_lo, exec_lo, s0
	s_and_b32 s1, s8, s24
	s_delay_alu instid0(SALU_CYCLE_1)
	s_and_saveexec_b32 s0, s1
	s_cbranch_execz .LBB190_259
.LBB190_360:
	scratch_load_b64 v[0:1], off, off offset:440
	v_cmp_ne_u32_e32 vcc_lo, 1, v70
	v_lshlrev_b64 v[2:3], 3, v[46:47]
	s_cbranch_vccnz .LBB190_362
; %bb.361:
	s_delay_alu instid0(VALU_DEP_1) | instskip(NEXT) | instid1(VALU_DEP_2)
	v_add_co_u32 v4, vcc_lo, v71, v2
	v_add_co_ci_u32_e32 v5, vcc_lo, v72, v3, vcc_lo
	flat_load_b64 v[4:5], v[4:5]
	s_waitcnt vmcnt(0) lgkmcnt(0)
	v_mul_f64 v[4:5], v[4:5], s[38:39]
	s_branch .LBB190_363
.LBB190_362:
	v_mov_b32_e32 v4, 0
	v_mov_b32_e32 v5, 0
.LBB190_363:
	s_waitcnt vmcnt(0)
	s_delay_alu instid0(VALU_DEP_1)
	v_add_f64 v[0:1], v[0:1], v[4:5]
	v_add_co_u32 v2, vcc_lo, v68, v2
	v_add_co_ci_u32_e32 v3, vcc_lo, v69, v3, vcc_lo
	global_store_b64 v[2:3], v[0:1], off
	s_or_b32 exec_lo, exec_lo, s0
	s_and_b32 s1, s8, s25
	s_delay_alu instid0(SALU_CYCLE_1)
	s_and_saveexec_b32 s0, s1
	s_cbranch_execz .LBB190_260
.LBB190_364:
	scratch_load_b64 v[0:1], off, off offset:448
	v_cmp_ne_u32_e32 vcc_lo, 1, v70
	v_lshlrev_b64 v[2:3], 3, v[48:49]
	s_cbranch_vccnz .LBB190_366
; %bb.365:
	s_delay_alu instid0(VALU_DEP_1) | instskip(NEXT) | instid1(VALU_DEP_2)
	v_add_co_u32 v4, vcc_lo, v71, v2
	v_add_co_ci_u32_e32 v5, vcc_lo, v72, v3, vcc_lo
	flat_load_b64 v[4:5], v[4:5]
	s_waitcnt vmcnt(0) lgkmcnt(0)
	v_mul_f64 v[4:5], v[4:5], s[38:39]
	s_branch .LBB190_367
.LBB190_366:
	v_mov_b32_e32 v4, 0
	v_mov_b32_e32 v5, 0
.LBB190_367:
	s_waitcnt vmcnt(0)
	s_delay_alu instid0(VALU_DEP_1)
	v_add_f64 v[0:1], v[0:1], v[4:5]
	v_add_co_u32 v2, vcc_lo, v68, v2
	v_add_co_ci_u32_e32 v3, vcc_lo, v69, v3, vcc_lo
	global_store_b64 v[2:3], v[0:1], off
	s_or_b32 exec_lo, exec_lo, s0
	s_and_b32 s1, s8, s26
	s_delay_alu instid0(SALU_CYCLE_1)
	s_and_saveexec_b32 s0, s1
	s_cbranch_execz .LBB190_261
.LBB190_368:
	scratch_load_b64 v[0:1], off, off offset:456
	v_cmp_ne_u32_e32 vcc_lo, 1, v70
	v_lshlrev_b64 v[2:3], 3, v[50:51]
	s_cbranch_vccnz .LBB190_370
; %bb.369:
	s_delay_alu instid0(VALU_DEP_1) | instskip(NEXT) | instid1(VALU_DEP_2)
	v_add_co_u32 v4, vcc_lo, v71, v2
	v_add_co_ci_u32_e32 v5, vcc_lo, v72, v3, vcc_lo
	flat_load_b64 v[4:5], v[4:5]
	s_waitcnt vmcnt(0) lgkmcnt(0)
	v_mul_f64 v[4:5], v[4:5], s[38:39]
	s_branch .LBB190_371
.LBB190_370:
	v_mov_b32_e32 v4, 0
	v_mov_b32_e32 v5, 0
.LBB190_371:
	s_waitcnt vmcnt(0)
	s_delay_alu instid0(VALU_DEP_1)
	v_add_f64 v[0:1], v[0:1], v[4:5]
	v_add_co_u32 v2, vcc_lo, v68, v2
	v_add_co_ci_u32_e32 v3, vcc_lo, v69, v3, vcc_lo
	global_store_b64 v[2:3], v[0:1], off
	s_or_b32 exec_lo, exec_lo, s0
	s_and_b32 s1, s8, s27
	s_delay_alu instid0(SALU_CYCLE_1)
	s_and_saveexec_b32 s0, s1
	s_cbranch_execz .LBB190_262
.LBB190_372:
	scratch_load_b64 v[0:1], off, off offset:464
	v_cmp_ne_u32_e32 vcc_lo, 1, v70
	v_lshlrev_b64 v[2:3], 3, v[52:53]
	s_cbranch_vccnz .LBB190_374
; %bb.373:
	s_delay_alu instid0(VALU_DEP_1) | instskip(NEXT) | instid1(VALU_DEP_2)
	v_add_co_u32 v4, vcc_lo, v71, v2
	v_add_co_ci_u32_e32 v5, vcc_lo, v72, v3, vcc_lo
	flat_load_b64 v[4:5], v[4:5]
	s_waitcnt vmcnt(0) lgkmcnt(0)
	v_mul_f64 v[4:5], v[4:5], s[38:39]
	s_branch .LBB190_375
.LBB190_374:
	v_mov_b32_e32 v4, 0
	v_mov_b32_e32 v5, 0
.LBB190_375:
	s_waitcnt vmcnt(0)
	s_delay_alu instid0(VALU_DEP_1)
	v_add_f64 v[0:1], v[0:1], v[4:5]
	v_add_co_u32 v2, vcc_lo, v68, v2
	v_add_co_ci_u32_e32 v3, vcc_lo, v69, v3, vcc_lo
	global_store_b64 v[2:3], v[0:1], off
	s_or_b32 exec_lo, exec_lo, s0
	s_and_b32 s1, s8, s28
	s_delay_alu instid0(SALU_CYCLE_1)
	s_and_saveexec_b32 s0, s1
	s_cbranch_execz .LBB190_263
.LBB190_376:
	scratch_load_b64 v[0:1], off, off offset:472
	v_cmp_ne_u32_e32 vcc_lo, 1, v70
	v_lshlrev_b64 v[2:3], 3, v[54:55]
	s_cbranch_vccnz .LBB190_378
; %bb.377:
	s_delay_alu instid0(VALU_DEP_1) | instskip(NEXT) | instid1(VALU_DEP_2)
	v_add_co_u32 v4, vcc_lo, v71, v2
	v_add_co_ci_u32_e32 v5, vcc_lo, v72, v3, vcc_lo
	flat_load_b64 v[4:5], v[4:5]
	s_waitcnt vmcnt(0) lgkmcnt(0)
	v_mul_f64 v[4:5], v[4:5], s[38:39]
	s_branch .LBB190_379
.LBB190_378:
	v_mov_b32_e32 v4, 0
	v_mov_b32_e32 v5, 0
.LBB190_379:
	s_waitcnt vmcnt(0)
	s_delay_alu instid0(VALU_DEP_1)
	v_add_f64 v[0:1], v[0:1], v[4:5]
	v_add_co_u32 v2, vcc_lo, v68, v2
	v_add_co_ci_u32_e32 v3, vcc_lo, v69, v3, vcc_lo
	global_store_b64 v[2:3], v[0:1], off
	s_or_b32 exec_lo, exec_lo, s0
	s_and_b32 s1, s8, s29
	s_delay_alu instid0(SALU_CYCLE_1)
	s_and_saveexec_b32 s0, s1
	s_cbranch_execz .LBB190_264
.LBB190_380:
	scratch_load_b64 v[0:1], off, off offset:480
	v_cmp_ne_u32_e32 vcc_lo, 1, v70
	v_lshlrev_b64 v[2:3], 3, v[56:57]
	s_cbranch_vccnz .LBB190_382
; %bb.381:
	s_delay_alu instid0(VALU_DEP_1) | instskip(NEXT) | instid1(VALU_DEP_2)
	v_add_co_u32 v4, vcc_lo, v71, v2
	v_add_co_ci_u32_e32 v5, vcc_lo, v72, v3, vcc_lo
	flat_load_b64 v[4:5], v[4:5]
	s_waitcnt vmcnt(0) lgkmcnt(0)
	v_mul_f64 v[4:5], v[4:5], s[38:39]
	s_branch .LBB190_383
.LBB190_382:
	v_mov_b32_e32 v4, 0
	v_mov_b32_e32 v5, 0
.LBB190_383:
	s_waitcnt vmcnt(0)
	s_delay_alu instid0(VALU_DEP_1)
	v_add_f64 v[0:1], v[0:1], v[4:5]
	v_add_co_u32 v2, vcc_lo, v68, v2
	v_add_co_ci_u32_e32 v3, vcc_lo, v69, v3, vcc_lo
	global_store_b64 v[2:3], v[0:1], off
	s_or_b32 exec_lo, exec_lo, s0
	s_and_b32 s1, s8, s30
	s_delay_alu instid0(SALU_CYCLE_1)
	s_and_saveexec_b32 s0, s1
	s_cbranch_execz .LBB190_265
.LBB190_384:
	scratch_load_b64 v[0:1], off, off offset:488
	v_cmp_ne_u32_e32 vcc_lo, 1, v70
	v_lshlrev_b64 v[2:3], 3, v[58:59]
	s_cbranch_vccnz .LBB190_386
; %bb.385:
	s_delay_alu instid0(VALU_DEP_1) | instskip(NEXT) | instid1(VALU_DEP_2)
	v_add_co_u32 v4, vcc_lo, v71, v2
	v_add_co_ci_u32_e32 v5, vcc_lo, v72, v3, vcc_lo
	flat_load_b64 v[4:5], v[4:5]
	s_waitcnt vmcnt(0) lgkmcnt(0)
	v_mul_f64 v[4:5], v[4:5], s[38:39]
	s_branch .LBB190_387
.LBB190_386:
	v_mov_b32_e32 v4, 0
	v_mov_b32_e32 v5, 0
.LBB190_387:
	s_waitcnt vmcnt(0)
	s_delay_alu instid0(VALU_DEP_1)
	v_add_f64 v[0:1], v[0:1], v[4:5]
	v_add_co_u32 v2, vcc_lo, v68, v2
	v_add_co_ci_u32_e32 v3, vcc_lo, v69, v3, vcc_lo
	global_store_b64 v[2:3], v[0:1], off
	s_or_b32 exec_lo, exec_lo, s0
	s_and_b32 s1, s8, s31
	s_delay_alu instid0(SALU_CYCLE_1)
	s_and_saveexec_b32 s0, s1
	s_cbranch_execz .LBB190_266
.LBB190_388:
	scratch_load_b64 v[0:1], off, off offset:496
	v_cmp_ne_u32_e32 vcc_lo, 1, v70
	v_lshlrev_b64 v[2:3], 3, v[60:61]
	s_cbranch_vccnz .LBB190_390
; %bb.389:
	s_delay_alu instid0(VALU_DEP_1) | instskip(NEXT) | instid1(VALU_DEP_2)
	v_add_co_u32 v4, vcc_lo, v71, v2
	v_add_co_ci_u32_e32 v5, vcc_lo, v72, v3, vcc_lo
	flat_load_b64 v[4:5], v[4:5]
	s_waitcnt vmcnt(0) lgkmcnt(0)
	v_mul_f64 v[4:5], v[4:5], s[38:39]
	s_branch .LBB190_391
.LBB190_390:
	v_mov_b32_e32 v4, 0
	v_mov_b32_e32 v5, 0
.LBB190_391:
	s_waitcnt vmcnt(0)
	s_delay_alu instid0(VALU_DEP_1)
	v_add_f64 v[0:1], v[0:1], v[4:5]
	v_add_co_u32 v2, vcc_lo, v68, v2
	v_add_co_ci_u32_e32 v3, vcc_lo, v69, v3, vcc_lo
	global_store_b64 v[2:3], v[0:1], off
	s_or_b32 exec_lo, exec_lo, s0
	s_and_b32 s0, s8, s33
	s_delay_alu instid0(SALU_CYCLE_1)
	s_and_saveexec_b32 s1, s0
	s_cbranch_execz .LBB190_267
.LBB190_392:
	scratch_load_b64 v[0:1], off, off offset:504
	v_cmp_ne_u32_e32 vcc_lo, 1, v70
	v_lshlrev_b64 v[2:3], 3, v[62:63]
	s_cbranch_vccnz .LBB190_394
; %bb.393:
	s_delay_alu instid0(VALU_DEP_1) | instskip(NEXT) | instid1(VALU_DEP_2)
	v_add_co_u32 v4, vcc_lo, v71, v2
	v_add_co_ci_u32_e32 v5, vcc_lo, v72, v3, vcc_lo
	flat_load_b64 v[4:5], v[4:5]
	s_waitcnt vmcnt(0) lgkmcnt(0)
	v_mul_f64 v[4:5], v[4:5], s[38:39]
	s_branch .LBB190_395
.LBB190_394:
	v_mov_b32_e32 v4, 0
	v_mov_b32_e32 v5, 0
.LBB190_395:
	s_waitcnt vmcnt(0)
	s_delay_alu instid0(VALU_DEP_1)
	v_add_f64 v[0:1], v[0:1], v[4:5]
	v_add_co_u32 v2, vcc_lo, v68, v2
	v_add_co_ci_u32_e32 v3, vcc_lo, v69, v3, vcc_lo
	global_store_b64 v[2:3], v[0:1], off
	s_endpgm
	.section	.rodata,"a",@progbits
	.p2align	6, 0x0
	.amdhsa_kernel _ZN12_GLOBAL__N_120geam_min_plus_kernelIdddLi4ELi64ELi128ELi128ELi4ELi4ELi64ELi4ELi64ELc84ELc78ELb1ELb1ELb0EdKddEEviiiT16_PT17_ilS4_ilS2_S4_ilPT18_ili26rocblas_geam_ex_operation_
		.amdhsa_group_segment_fixed_size 16384
		.amdhsa_private_segment_fixed_size 528
		.amdhsa_kernarg_size 136
		.amdhsa_user_sgpr_count 14
		.amdhsa_user_sgpr_dispatch_ptr 0
		.amdhsa_user_sgpr_queue_ptr 0
		.amdhsa_user_sgpr_kernarg_segment_ptr 1
		.amdhsa_user_sgpr_dispatch_id 0
		.amdhsa_user_sgpr_private_segment_size 0
		.amdhsa_wavefront_size32 1
		.amdhsa_uses_dynamic_stack 0
		.amdhsa_enable_private_segment 1
		.amdhsa_system_sgpr_workgroup_id_x 1
		.amdhsa_system_sgpr_workgroup_id_y 0
		.amdhsa_system_sgpr_workgroup_id_z 1
		.amdhsa_system_sgpr_workgroup_info 0
		.amdhsa_system_vgpr_workitem_id 1
		.amdhsa_next_free_vgpr 250
		.amdhsa_next_free_sgpr 46
		.amdhsa_reserve_vcc 1
		.amdhsa_float_round_mode_32 0
		.amdhsa_float_round_mode_16_64 0
		.amdhsa_float_denorm_mode_32 3
		.amdhsa_float_denorm_mode_16_64 3
		.amdhsa_dx10_clamp 1
		.amdhsa_ieee_mode 1
		.amdhsa_fp16_overflow 0
		.amdhsa_workgroup_processor_mode 1
		.amdhsa_memory_ordered 1
		.amdhsa_forward_progress 0
		.amdhsa_shared_vgpr_count 0
		.amdhsa_exception_fp_ieee_invalid_op 0
		.amdhsa_exception_fp_denorm_src 0
		.amdhsa_exception_fp_ieee_div_zero 0
		.amdhsa_exception_fp_ieee_overflow 0
		.amdhsa_exception_fp_ieee_underflow 0
		.amdhsa_exception_fp_ieee_inexact 0
		.amdhsa_exception_int_div_zero 0
	.end_amdhsa_kernel
	.section	.text._ZN12_GLOBAL__N_120geam_min_plus_kernelIdddLi4ELi64ELi128ELi128ELi4ELi4ELi64ELi4ELi64ELc84ELc78ELb1ELb1ELb0EdKddEEviiiT16_PT17_ilS4_ilS2_S4_ilPT18_ili26rocblas_geam_ex_operation_,"axG",@progbits,_ZN12_GLOBAL__N_120geam_min_plus_kernelIdddLi4ELi64ELi128ELi128ELi4ELi4ELi64ELi4ELi64ELc84ELc78ELb1ELb1ELb0EdKddEEviiiT16_PT17_ilS4_ilS2_S4_ilPT18_ili26rocblas_geam_ex_operation_,comdat
.Lfunc_end190:
	.size	_ZN12_GLOBAL__N_120geam_min_plus_kernelIdddLi4ELi64ELi128ELi128ELi4ELi4ELi64ELi4ELi64ELc84ELc78ELb1ELb1ELb0EdKddEEviiiT16_PT17_ilS4_ilS2_S4_ilPT18_ili26rocblas_geam_ex_operation_, .Lfunc_end190-_ZN12_GLOBAL__N_120geam_min_plus_kernelIdddLi4ELi64ELi128ELi128ELi4ELi4ELi64ELi4ELi64ELc84ELc78ELb1ELb1ELb0EdKddEEviiiT16_PT17_ilS4_ilS2_S4_ilPT18_ili26rocblas_geam_ex_operation_
                                        ; -- End function
	.section	.AMDGPU.csdata,"",@progbits
; Kernel info:
; codeLenInByte = 46884
; NumSgprs: 48
; NumVgprs: 250
; ScratchSize: 528
; MemoryBound: 1
; FloatMode: 240
; IeeeMode: 1
; LDSByteSize: 16384 bytes/workgroup (compile time only)
; SGPRBlocks: 5
; VGPRBlocks: 31
; NumSGPRsForWavesPerEU: 48
; NumVGPRsForWavesPerEU: 250
; Occupancy: 5
; WaveLimiterHint : 1
; COMPUTE_PGM_RSRC2:SCRATCH_EN: 1
; COMPUTE_PGM_RSRC2:USER_SGPR: 14
; COMPUTE_PGM_RSRC2:TRAP_HANDLER: 0
; COMPUTE_PGM_RSRC2:TGID_X_EN: 1
; COMPUTE_PGM_RSRC2:TGID_Y_EN: 0
; COMPUTE_PGM_RSRC2:TGID_Z_EN: 1
; COMPUTE_PGM_RSRC2:TIDIG_COMP_CNT: 1
	.section	.text._ZN12_GLOBAL__N_120geam_min_plus_kernelIdddLi4ELi64ELi128ELi128ELi4ELi4ELi64ELi4ELi64ELc84ELc78ELb0ELb1ELb0EdKddEEviiiT16_PT17_ilS4_ilS2_S4_ilPT18_ili26rocblas_geam_ex_operation_,"axG",@progbits,_ZN12_GLOBAL__N_120geam_min_plus_kernelIdddLi4ELi64ELi128ELi128ELi4ELi4ELi64ELi4ELi64ELc84ELc78ELb0ELb1ELb0EdKddEEviiiT16_PT17_ilS4_ilS2_S4_ilPT18_ili26rocblas_geam_ex_operation_,comdat
	.globl	_ZN12_GLOBAL__N_120geam_min_plus_kernelIdddLi4ELi64ELi128ELi128ELi4ELi4ELi64ELi4ELi64ELc84ELc78ELb0ELb1ELb0EdKddEEviiiT16_PT17_ilS4_ilS2_S4_ilPT18_ili26rocblas_geam_ex_operation_ ; -- Begin function _ZN12_GLOBAL__N_120geam_min_plus_kernelIdddLi4ELi64ELi128ELi128ELi4ELi4ELi64ELi4ELi64ELc84ELc78ELb0ELb1ELb0EdKddEEviiiT16_PT17_ilS4_ilS2_S4_ilPT18_ili26rocblas_geam_ex_operation_
	.p2align	8
	.type	_ZN12_GLOBAL__N_120geam_min_plus_kernelIdddLi4ELi64ELi128ELi128ELi4ELi4ELi64ELi4ELi64ELc84ELc78ELb0ELb1ELb0EdKddEEviiiT16_PT17_ilS4_ilS2_S4_ilPT18_ili26rocblas_geam_ex_operation_,@function
_ZN12_GLOBAL__N_120geam_min_plus_kernelIdddLi4ELi64ELi128ELi128ELi4ELi4ELi64ELi4ELi64ELc84ELc78ELb0ELb1ELb0EdKddEEviiiT16_PT17_ilS4_ilS2_S4_ilPT18_ili26rocblas_geam_ex_operation_: ; @_ZN12_GLOBAL__N_120geam_min_plus_kernelIdddLi4ELi64ELi128ELi128ELi4ELi4ELi64ELi4ELi64ELc84ELc78ELb0ELb1ELb0EdKddEEviiiT16_PT17_ilS4_ilS2_S4_ilPT18_ili26rocblas_geam_ex_operation_
; %bb.0:
	s_clause 0x1
	s_load_b128 s[16:19], s[0:1], 0x10
	s_load_b128 s[4:7], s[0:1], 0x28
	s_mov_b64 s[12:13], 0
	s_waitcnt lgkmcnt(0)
	v_cmp_eq_f64_e64 s8, s[16:17], 0
	s_delay_alu instid0(VALU_DEP_1)
	s_and_b32 vcc_lo, exec_lo, s8
	s_cbranch_vccnz .LBB191_2
; %bb.1:
	s_mul_i32 s2, s15, s5
	s_mul_hi_u32 s3, s15, s4
	s_delay_alu instid0(SALU_CYCLE_1) | instskip(SKIP_1) | instid1(SALU_CYCLE_1)
	s_add_i32 s3, s3, s2
	s_mul_i32 s2, s15, s4
	s_lshl_b64 s[2:3], s[2:3], 3
	s_delay_alu instid0(SALU_CYCLE_1)
	s_add_u32 s12, s18, s2
	s_addc_u32 s13, s19, s3
.LBB191_2:
	s_clause 0x1
	s_load_b128 s[36:39], s[0:1], 0x40
	s_load_b64 s[2:3], s[0:1], 0x50
	s_and_not1_b32 vcc_lo, exec_lo, s8
	s_cbranch_vccnz .LBB191_4
; %bb.3:
	s_mov_b32 s20, 0
	s_mov_b64 s[18:19], 0
	s_cbranch_execz .LBB191_5
	s_branch .LBB191_6
.LBB191_4:
	s_mov_b32 s20, -1
                                        ; implicit-def: $sgpr18_sgpr19
.LBB191_5:
	s_waitcnt lgkmcnt(0)
	s_mul_i32 s4, s15, s37
	s_mul_hi_u32 s5, s15, s36
	s_mov_b32 s20, 0
	s_add_i32 s5, s5, s4
	s_mul_i32 s4, s15, s36
	s_delay_alu instid0(SALU_CYCLE_1) | instskip(NEXT) | instid1(SALU_CYCLE_1)
	s_lshl_b64 s[4:5], s[4:5], 3
	s_add_u32 s18, s6, s4
	s_addc_u32 s19, s7, s5
.LBB191_6:
	s_waitcnt lgkmcnt(0)
	v_cmp_eq_f64_e64 s4, s[38:39], 0
	v_cmp_neq_f64_e64 s36, s[38:39], 0
	s_load_b128 s[8:11], s[0:1], 0x60
	s_mov_b64 s[34:35], 0
	s_delay_alu instid0(VALU_DEP_2)
	s_and_b32 vcc_lo, exec_lo, s4
	s_cbranch_vccnz .LBB191_8
; %bb.7:
	s_waitcnt lgkmcnt(0)
	s_mul_i32 s4, s15, s9
	s_mul_hi_u32 s5, s15, s8
	s_mul_i32 s6, s20, s8
	s_add_i32 s4, s5, s4
	s_delay_alu instid0(SALU_CYCLE_1) | instskip(SKIP_1) | instid1(SALU_CYCLE_1)
	s_add_i32 s5, s4, s6
	s_mul_i32 s4, s15, s8
	s_lshl_b64 s[4:5], s[4:5], 3
	s_delay_alu instid0(SALU_CYCLE_1)
	s_add_u32 s34, s2, s4
	s_addc_u32 s35, s3, s5
.LBB191_8:
	s_clause 0x1
	s_load_b128 s[40:43], s[0:1], 0x0
	s_load_b32 s23, s[0:1], 0x20
	s_mov_b32 s2, 0
	v_cmp_eq_f64_e64 s21, s[16:17], 0
	s_mov_b32 s3, s2
	s_delay_alu instid0(SALU_CYCLE_1) | instskip(SKIP_2) | instid1(VALU_DEP_3)
	v_dual_mov_b32 v5, s3 :: v_dual_and_b32 v84, 0x3ff, v0
	v_mov_b32_e32 v4, s2
	v_bfe_u32 v85, v0, 10, 10
	v_and_b32_e32 v86, 3, v84
	v_lshrrev_b32_e32 v0, 2, v84
	s_delay_alu instid0(VALU_DEP_1) | instskip(SKIP_2) | instid1(SALU_CYCLE_1)
	v_add_nc_u32_e32 v10, v0, v85
	s_waitcnt lgkmcnt(0)
	s_add_i32 s2, s40, -1
	s_ashr_i32 s3, s2, 31
	s_delay_alu instid0(SALU_CYCLE_1) | instskip(NEXT) | instid1(SALU_CYCLE_1)
	s_lshr_b32 s3, s3, 25
	s_add_i32 s2, s2, s3
	s_delay_alu instid0(SALU_CYCLE_1) | instskip(NEXT) | instid1(SALU_CYCLE_1)
	s_ashr_i32 s2, s2, 7
	s_add_i32 s3, s2, 1
	s_not_b32 s2, s2
	v_cvt_f32_u32_e32 v1, s3
	s_delay_alu instid0(VALU_DEP_1)
	v_rcp_iflag_f32_e32 v1, v1
	s_waitcnt_depctr 0xfff
	v_mul_f32_e32 v1, 0x4f7ffffe, v1
	s_clause 0xd
	scratch_store_b64 off, v[4:5], off
	scratch_store_b64 off, v[4:5], off offset:8
	scratch_store_b64 off, v[4:5], off offset:16
	;; [unrolled: 1-line block ×13, first 2 shown]
	v_cvt_u32_f32_e32 v1, v1
	s_clause 0xe
	scratch_store_b64 off, v[4:5], off offset:112
	scratch_store_b64 off, v[4:5], off offset:120
	;; [unrolled: 1-line block ×15, first 2 shown]
	v_readfirstlane_b32 s4, v1
	s_clause 0xd
	scratch_store_b64 off, v[4:5], off offset:232
	scratch_store_b64 off, v[4:5], off offset:240
	;; [unrolled: 1-line block ×14, first 2 shown]
	s_mul_i32 s2, s2, s4
	s_clause 0x3
	scratch_store_b64 off, v[4:5], off offset:344
	scratch_store_b64 off, v[4:5], off offset:352
	;; [unrolled: 1-line block ×4, first 2 shown]
	s_mul_hi_u32 s2, s4, s2
	s_clause 0x1
	scratch_store_b64 off, v[4:5], off offset:376
	scratch_store_b64 off, v[4:5], off offset:384
	s_add_i32 s4, s4, s2
	s_clause 0x3
	scratch_store_b64 off, v[4:5], off offset:392
	scratch_store_b64 off, v[4:5], off offset:400
	;; [unrolled: 1-line block ×4, first 2 shown]
	s_mul_hi_u32 s2, s14, s4
	scratch_store_b64 off, v[4:5], off offset:424
	s_mul_i32 s4, s2, s3
	s_add_i32 s5, s2, 1
	s_sub_i32 s4, s14, s4
	s_clause 0x3
	scratch_store_b64 off, v[4:5], off offset:432
	scratch_store_b64 off, v[4:5], off offset:440
	;; [unrolled: 1-line block ×4, first 2 shown]
	s_sub_i32 s6, s4, s3
	s_cmp_ge_u32 s4, s3
	s_clause 0x1
	scratch_store_b64 off, v[4:5], off offset:464
	scratch_store_b64 off, v[4:5], off offset:472
	s_cselect_b32 s2, s5, s2
	s_cselect_b32 s4, s6, s4
	s_add_i32 s5, s2, 1
	s_cmp_ge_u32 s4, s3
	s_clause 0x3
	scratch_store_b64 off, v[4:5], off offset:480
	scratch_store_b64 off, v[4:5], off offset:488
	;; [unrolled: 1-line block ×4, first 2 shown]
	s_cselect_b32 s5, s5, s2
	s_delay_alu instid0(SALU_CYCLE_1) | instskip(NEXT) | instid1(SALU_CYCLE_1)
	s_mul_i32 s2, s5, s3
	s_sub_i32 s2, s14, s2
	s_add_i32 s14, s42, -1
	s_lshl_b32 s8, s2, 7
	v_min_i32_e32 v0, s14, v86
	s_delay_alu instid0(VALU_DEP_1) | instskip(NEXT) | instid1(VALU_DEP_1)
	v_ashrrev_i32_e32 v1, 31, v0
	v_lshlrev_b64 v[6:7], 3, v[0:1]
	v_mov_b32_e32 v0, 0
	v_mov_b32_e32 v1, 0
	v_cmp_le_i32_e32 vcc_lo, s42, v86
	s_delay_alu instid0(VALU_DEP_4) | instskip(NEXT) | instid1(VALU_DEP_3)
	v_add_co_u32 v8, s3, s12, v6
	v_dual_mov_b32 v3, v1 :: v_dual_add_nc_u32 v76, s8, v10
	v_add_co_ci_u32_e64 v9, s3, s13, v7, s3
	v_mov_b32_e32 v2, v0
	s_delay_alu instid0(VALU_DEP_3) | instskip(NEXT) | instid1(VALU_DEP_1)
	v_cmp_le_i32_e64 s2, s40, v76
	s_or_b32 s3, vcc_lo, s2
	s_delay_alu instid0(SALU_CYCLE_1) | instskip(NEXT) | instid1(SALU_CYCLE_1)
	s_or_b32 s3, s21, s3
	s_xor_b32 s3, s3, -1
	s_delay_alu instid0(SALU_CYCLE_1)
	s_and_saveexec_b32 s4, s3
	s_cbranch_execz .LBB191_10
; %bb.9:
	v_mad_i64_i32 v[2:3], null, v76, s23, 0
	s_delay_alu instid0(VALU_DEP_1) | instskip(NEXT) | instid1(VALU_DEP_1)
	v_lshlrev_b64 v[2:3], 3, v[2:3]
	v_add_co_u32 v2, s3, v8, v2
	s_delay_alu instid0(VALU_DEP_1)
	v_add_co_ci_u32_e64 v3, s3, v9, v3, s3
	flat_load_b64 v[2:3], v[2:3]
	s_waitcnt vmcnt(0) lgkmcnt(0)
	v_mul_f64 v[2:3], v[2:3], s[16:17]
.LBB191_10:
	s_or_b32 exec_lo, exec_lo, s4
	v_add_nc_u32_e32 v77, 64, v76
	v_dual_mov_b32 v5, v1 :: v_dual_mov_b32 v4, v0
	s_delay_alu instid0(VALU_DEP_2) | instskip(NEXT) | instid1(VALU_DEP_1)
	v_cmp_le_i32_e64 s3, s40, v77
	s_or_b32 s4, vcc_lo, s3
	s_delay_alu instid0(SALU_CYCLE_1) | instskip(NEXT) | instid1(SALU_CYCLE_1)
	s_or_b32 s4, s21, s4
	s_xor_b32 s4, s4, -1
	s_delay_alu instid0(SALU_CYCLE_1)
	s_and_saveexec_b32 s6, s4
	s_cbranch_execz .LBB191_12
; %bb.11:
	v_mad_i64_i32 v[4:5], null, v77, s23, 0
	s_delay_alu instid0(VALU_DEP_1) | instskip(NEXT) | instid1(VALU_DEP_1)
	v_lshlrev_b64 v[4:5], 3, v[4:5]
	v_add_co_u32 v4, s4, v8, v4
	s_delay_alu instid0(VALU_DEP_1)
	v_add_co_ci_u32_e64 v5, s4, v9, v5, s4
	flat_load_b64 v[4:5], v[4:5]
	s_waitcnt vmcnt(0) lgkmcnt(0)
	v_mul_f64 v[4:5], v[4:5], s[16:17]
.LBB191_12:
	s_or_b32 exec_lo, exec_lo, s6
	s_load_b32 s24, s[0:1], 0x38
	s_lshl_b32 s9, s5, 7
	v_add_co_u32 v8, s5, s18, v6
	v_add_nc_u32_e32 v78, s9, v10
	v_add_co_ci_u32_e64 v9, s5, s19, v7, s5
	s_delay_alu instid0(VALU_DEP_2) | instskip(NEXT) | instid1(VALU_DEP_1)
	v_cmp_le_i32_e64 s4, s41, v78
	s_or_b32 s6, vcc_lo, s4
	s_delay_alu instid0(SALU_CYCLE_1) | instskip(NEXT) | instid1(SALU_CYCLE_1)
	s_or_b32 s5, s21, s6
	s_xor_b32 s5, s5, -1
	s_delay_alu instid0(SALU_CYCLE_1)
	s_and_saveexec_b32 s6, s5
	s_cbranch_execz .LBB191_14
; %bb.13:
	s_waitcnt lgkmcnt(0)
	v_mad_i64_i32 v[0:1], null, v78, s24, 0
	s_delay_alu instid0(VALU_DEP_1) | instskip(NEXT) | instid1(VALU_DEP_1)
	v_lshlrev_b64 v[0:1], 3, v[0:1]
	v_add_co_u32 v0, s5, v8, v0
	s_delay_alu instid0(VALU_DEP_1)
	v_add_co_ci_u32_e64 v1, s5, v9, v1, s5
	flat_load_b64 v[0:1], v[0:1]
	s_waitcnt vmcnt(0) lgkmcnt(0)
	v_mul_f64 v[0:1], v[0:1], s[16:17]
.LBB191_14:
	s_or_b32 exec_lo, exec_lo, s6
	v_dual_mov_b32 v68, 0 :: v_dual_add_nc_u32 v79, 64, v78
	v_mov_b32_e32 v69, 0
	s_delay_alu instid0(VALU_DEP_2) | instskip(NEXT) | instid1(VALU_DEP_3)
	v_mov_b32_e32 v6, v68
	v_cmp_le_i32_e64 s5, s41, v79
	s_delay_alu instid0(VALU_DEP_3) | instskip(NEXT) | instid1(VALU_DEP_2)
	v_mov_b32_e32 v7, v69
	s_or_b32 s6, vcc_lo, s5
	s_delay_alu instid0(SALU_CYCLE_1) | instskip(NEXT) | instid1(SALU_CYCLE_1)
	s_or_b32 s6, s21, s6
	s_xor_b32 s7, s6, -1
	s_delay_alu instid0(SALU_CYCLE_1)
	s_and_saveexec_b32 s6, s7
	s_cbranch_execz .LBB191_16
; %bb.15:
	s_waitcnt lgkmcnt(0)
	v_mad_i64_i32 v[6:7], null, v79, s24, 0
	s_delay_alu instid0(VALU_DEP_1) | instskip(NEXT) | instid1(VALU_DEP_1)
	v_lshlrev_b64 v[6:7], 3, v[6:7]
	v_add_co_u32 v6, vcc_lo, v8, v6
	s_delay_alu instid0(VALU_DEP_2)
	v_add_co_ci_u32_e32 v7, vcc_lo, v9, v7, vcc_lo
	flat_load_b64 v[6:7], v[6:7]
	s_waitcnt vmcnt(0) lgkmcnt(0)
	v_mul_f64 v[6:7], v[6:7], s[16:17]
.LBB191_16:
	s_or_b32 exec_lo, exec_lo, s6
	v_or_b32_e32 v11, 4, v86
	s_delay_alu instid0(VALU_DEP_1) | instskip(SKIP_1) | instid1(VALU_DEP_2)
	v_min_i32_e32 v8, s14, v11
	v_cmp_le_i32_e32 vcc_lo, s42, v11
	v_ashrrev_i32_e32 v9, 31, v8
	s_or_b32 s7, vcc_lo, s2
	s_delay_alu instid0(VALU_DEP_1) | instskip(NEXT) | instid1(VALU_DEP_1)
	v_lshlrev_b64 v[8:9], 3, v[8:9]
	v_add_co_u32 v11, s6, s12, v8
	s_delay_alu instid0(VALU_DEP_1) | instskip(SKIP_1) | instid1(SALU_CYCLE_1)
	v_add_co_ci_u32_e64 v12, s6, s13, v9, s6
	s_or_b32 s6, s21, s7
	s_xor_b32 s6, s6, -1
	s_delay_alu instid0(SALU_CYCLE_1)
	s_and_saveexec_b32 s7, s6
	s_cbranch_execz .LBB191_18
; %bb.17:
	v_mad_i64_i32 v[13:14], null, v76, s23, 0
	s_delay_alu instid0(VALU_DEP_1) | instskip(NEXT) | instid1(VALU_DEP_1)
	v_lshlrev_b64 v[13:14], 3, v[13:14]
	v_add_co_u32 v13, s6, v11, v13
	s_delay_alu instid0(VALU_DEP_1)
	v_add_co_ci_u32_e64 v14, s6, v12, v14, s6
	flat_load_b64 v[13:14], v[13:14]
	s_waitcnt vmcnt(0) lgkmcnt(0)
	v_mul_f64 v[68:69], v[13:14], s[16:17]
.LBB191_18:
	s_or_b32 exec_lo, exec_lo, s7
	v_mov_b32_e32 v70, 0
	v_mov_b32_e32 v71, 0
	s_or_b32 s6, vcc_lo, s3
	s_delay_alu instid0(SALU_CYCLE_1) | instskip(NEXT) | instid1(SALU_CYCLE_1)
	s_or_b32 s6, s21, s6
	s_xor_b32 s6, s6, -1
	s_delay_alu instid0(VALU_DEP_1)
	v_dual_mov_b32 v73, v71 :: v_dual_mov_b32 v72, v70
	s_and_saveexec_b32 s7, s6
	s_cbranch_execz .LBB191_20
; %bb.19:
	v_mad_i64_i32 v[13:14], null, v77, s23, 0
	s_delay_alu instid0(VALU_DEP_1) | instskip(NEXT) | instid1(VALU_DEP_1)
	v_lshlrev_b64 v[13:14], 3, v[13:14]
	v_add_co_u32 v11, s6, v11, v13
	s_delay_alu instid0(VALU_DEP_1)
	v_add_co_ci_u32_e64 v12, s6, v12, v14, s6
	flat_load_b64 v[11:12], v[11:12]
	s_waitcnt vmcnt(0) lgkmcnt(0)
	v_mul_f64 v[72:73], v[11:12], s[16:17]
.LBB191_20:
	s_or_b32 exec_lo, exec_lo, s7
	v_add_co_u32 v8, s6, s18, v8
	s_or_b32 s7, vcc_lo, s4
	v_add_co_ci_u32_e64 v9, s6, s19, v9, s6
	s_or_b32 s6, s21, s7
	s_delay_alu instid0(SALU_CYCLE_1) | instskip(NEXT) | instid1(SALU_CYCLE_1)
	s_xor_b32 s6, s6, -1
	s_and_saveexec_b32 s7, s6
	s_cbranch_execz .LBB191_22
; %bb.21:
	s_waitcnt lgkmcnt(0)
	v_mad_i64_i32 v[11:12], null, v78, s24, 0
	s_delay_alu instid0(VALU_DEP_1) | instskip(NEXT) | instid1(VALU_DEP_1)
	v_lshlrev_b64 v[11:12], 3, v[11:12]
	v_add_co_u32 v11, s6, v8, v11
	s_delay_alu instid0(VALU_DEP_1)
	v_add_co_ci_u32_e64 v12, s6, v9, v12, s6
	flat_load_b64 v[11:12], v[11:12]
	s_waitcnt vmcnt(0) lgkmcnt(0)
	v_mul_f64 v[70:71], v[11:12], s[16:17]
.LBB191_22:
	s_or_b32 exec_lo, exec_lo, s7
	s_or_b32 s6, vcc_lo, s5
	v_mov_b32_e32 v74, 0
	v_mov_b32_e32 v75, 0
	s_or_b32 s6, s21, s6
	s_delay_alu instid0(SALU_CYCLE_1) | instskip(NEXT) | instid1(SALU_CYCLE_1)
	s_xor_b32 s7, s6, -1
	s_and_saveexec_b32 s6, s7
	s_cbranch_execz .LBB191_24
; %bb.23:
	s_waitcnt lgkmcnt(0)
	v_mad_i64_i32 v[11:12], null, v79, s24, 0
	s_delay_alu instid0(VALU_DEP_1) | instskip(NEXT) | instid1(VALU_DEP_1)
	v_lshlrev_b64 v[11:12], 3, v[11:12]
	v_add_co_u32 v8, vcc_lo, v8, v11
	s_delay_alu instid0(VALU_DEP_2)
	v_add_co_ci_u32_e32 v9, vcc_lo, v9, v12, vcc_lo
	flat_load_b64 v[8:9], v[8:9]
	s_waitcnt vmcnt(0) lgkmcnt(0)
	v_mul_f64 v[74:75], v[8:9], s[16:17]
.LBB191_24:
	s_or_b32 exec_lo, exec_lo, s6
	v_dual_mov_b32 v81, 8 :: v_dual_lshlrev_b32 v8, 3, v86
	v_dual_mov_b32 v80, 0 :: v_dual_lshlrev_b32 v87, 5, v84
	;; [unrolled: 1-line block ×3, first 2 shown]
	s_delay_alu instid0(VALU_DEP_3) | instskip(NEXT) | instid1(VALU_DEP_3)
	v_lshl_or_b32 v88, v10, 5, v8
	v_dual_mov_b32 v83, 24 :: v_dual_add_nc_u32 v48, 0x800, v87
	s_delay_alu instid0(VALU_DEP_3)
	v_dual_mov_b32 v92, 32 :: v_dual_add_nc_u32 v91, 0x2000, v89
	ds_store_2addr_stride64_b64 v88, v[2:3], v[4:5] offset1:4
	ds_store_2addr_stride64_b64 v88, v[0:1], v[6:7] offset0:16 offset1:20
	s_waitcnt lgkmcnt(0)
	s_waitcnt_vscnt null, 0x0
	s_barrier
	buffer_gl0_inv
	ds_load_2addr_b64 v[0:3], v87 offset1:16
	ds_load_2addr_b64 v[4:7], v87 offset0:32 offset1:48
	ds_load_2addr_b64 v[8:11], v87 offset0:64 offset1:80
	;; [unrolled: 1-line block ×4, first 2 shown]
	ds_load_2addr_b64 v[20:23], v48 offset1:16
	ds_load_2addr_b64 v[24:27], v48 offset0:32 offset1:48
	ds_load_2addr_b64 v[28:31], v48 offset0:64 offset1:80
	;; [unrolled: 1-line block ×10, first 2 shown]
	ds_load_2addr_stride64_b64 v[64:67], v89 offset0:16 offset1:20
	v_dual_mov_b32 v93, 40 :: v_dual_add_nc_u32 v90, 0x2000, v88
	v_dual_mov_b32 v94, 48 :: v_dual_mov_b32 v95, 56
	v_dual_mov_b32 v96, 64 :: v_dual_mov_b32 v97, 0x48
	v_mov_b32_e32 v98, 0x50
	v_mov_b32_e32 v99, 0x58
	;; [unrolled: 1-line block ×22, first 2 shown]
	s_mov_b64 s[6:7], 0
	s_mov_b32 s22, -1
.LBB191_25:                             ; =>This Inner Loop Header: Depth=1
	scratch_load_b64 v[120:121], v80, off
	scratch_load_b64 v[122:123], v81, off
	;; [unrolled: 1-line block ×32, first 2 shown]
	s_cmp_eq_u32 s6, 1
	s_waitcnt lgkmcnt(16)
	v_max_f64 v[186:187], v[0:1], v[0:1]
	s_cselect_b32 vcc_lo, -1, 0
	v_max_f64 v[188:189], v[2:3], v[2:3]
	s_waitcnt lgkmcnt(0)
	v_dual_cndmask_b32 v185, v65, v67 :: v_dual_cndmask_b32 v184, v64, v66
	v_max_f64 v[190:191], v[4:5], v[4:5]
	v_max_f64 v[192:193], v[6:7], v[6:7]
	;; [unrolled: 1-line block ×31, first 2 shown]
	s_mov_b64 s[6:7], 1
	s_and_b32 vcc_lo, exec_lo, s22
	s_mov_b32 s22, 0
	v_min_f64 v[186:187], v[186:187], v[184:185]
	v_min_f64 v[188:189], v[188:189], v[184:185]
	;; [unrolled: 1-line block ×32, first 2 shown]
	s_waitcnt vmcnt(31)
	v_add_f64 v[120:121], v[120:121], v[186:187]
	s_waitcnt vmcnt(30)
	v_add_f64 v[122:123], v[188:189], v[122:123]
	;; [unrolled: 2-line block ×32, first 2 shown]
	scratch_store_b64 v80, v[120:121], off
	scratch_store_b64 v81, v[122:123], off
	;; [unrolled: 1-line block ×32, first 2 shown]
	v_mov_b32_e32 v80, 0x100
	v_mov_b32_e32 v81, 0x108
	;; [unrolled: 1-line block ×32, first 2 shown]
	s_cbranch_vccnz .LBB191_25
; %bb.26:
	v_dual_mov_b32 v81, 8 :: v_dual_add_nc_u32 v60, 0x800, v87
	ds_load_2addr_b64 v[0:3], v87 offset0:1 offset1:17
	ds_load_2addr_b64 v[4:7], v87 offset0:33 offset1:49
	;; [unrolled: 1-line block ×12, first 2 shown]
	v_dual_mov_b32 v83, 24 :: v_dual_add_nc_u32 v64, 8, v91
	ds_load_2addr_b64 v[48:51], v60 offset0:129 offset1:145
	ds_load_2addr_b64 v[52:55], v60 offset0:161 offset1:177
	;; [unrolled: 1-line block ×4, first 2 shown]
	ds_load_2addr_stride64_b64 v[64:67], v64 offset1:4
	v_dual_mov_b32 v80, 0 :: v_dual_mov_b32 v93, 40
	v_dual_mov_b32 v82, 16 :: v_dual_mov_b32 v95, 56
	;; [unrolled: 1-line block ×5, first 2 shown]
	v_mov_b32_e32 v98, 0x50
	v_mov_b32_e32 v100, 0x60
	;; [unrolled: 1-line block ×20, first 2 shown]
	s_mov_b64 s[6:7], 0
	s_mov_b32 s22, -1
.LBB191_27:                             ; =>This Inner Loop Header: Depth=1
	scratch_load_b64 v[120:121], v80, off
	scratch_load_b64 v[122:123], v81, off
	;; [unrolled: 1-line block ×32, first 2 shown]
	s_cmp_eq_u32 s6, 1
	s_waitcnt lgkmcnt(16)
	v_max_f64 v[186:187], v[0:1], v[0:1]
	s_cselect_b32 vcc_lo, -1, 0
	v_max_f64 v[188:189], v[2:3], v[2:3]
	s_waitcnt lgkmcnt(0)
	v_dual_cndmask_b32 v185, v65, v67 :: v_dual_cndmask_b32 v184, v64, v66
	v_max_f64 v[190:191], v[4:5], v[4:5]
	v_max_f64 v[192:193], v[6:7], v[6:7]
	;; [unrolled: 1-line block ×31, first 2 shown]
	s_mov_b64 s[6:7], 1
	s_and_b32 vcc_lo, exec_lo, s22
	s_mov_b32 s22, 0
	v_min_f64 v[186:187], v[186:187], v[184:185]
	v_min_f64 v[188:189], v[188:189], v[184:185]
	;; [unrolled: 1-line block ×32, first 2 shown]
	s_waitcnt vmcnt(31)
	v_add_f64 v[120:121], v[120:121], v[186:187]
	s_waitcnt vmcnt(30)
	v_add_f64 v[122:123], v[188:189], v[122:123]
	;; [unrolled: 2-line block ×32, first 2 shown]
	scratch_store_b64 v80, v[120:121], off
	scratch_store_b64 v81, v[122:123], off
	;; [unrolled: 1-line block ×32, first 2 shown]
	v_mov_b32_e32 v80, 0x100
	v_mov_b32_e32 v81, 0x108
	;; [unrolled: 1-line block ×32, first 2 shown]
	s_cbranch_vccnz .LBB191_27
; %bb.28:
	v_dual_mov_b32 v81, 8 :: v_dual_add_nc_u32 v60, 0x800, v87
	ds_load_2addr_b64 v[0:3], v87 offset0:2 offset1:18
	ds_load_2addr_b64 v[4:7], v87 offset0:34 offset1:50
	;; [unrolled: 1-line block ×12, first 2 shown]
	v_dual_mov_b32 v83, 24 :: v_dual_add_nc_u32 v64, 16, v91
	ds_load_2addr_b64 v[48:51], v60 offset0:130 offset1:146
	ds_load_2addr_b64 v[52:55], v60 offset0:162 offset1:178
	;; [unrolled: 1-line block ×4, first 2 shown]
	ds_load_2addr_stride64_b64 v[64:67], v64 offset1:4
	v_dual_mov_b32 v80, 0 :: v_dual_mov_b32 v93, 40
	v_dual_mov_b32 v82, 16 :: v_dual_mov_b32 v95, 56
	;; [unrolled: 1-line block ×5, first 2 shown]
	v_mov_b32_e32 v98, 0x50
	v_mov_b32_e32 v100, 0x60
	;; [unrolled: 1-line block ×20, first 2 shown]
	s_mov_b64 s[6:7], 0
	s_mov_b32 s22, -1
.LBB191_29:                             ; =>This Inner Loop Header: Depth=1
	scratch_load_b64 v[120:121], v80, off
	scratch_load_b64 v[122:123], v81, off
	;; [unrolled: 1-line block ×32, first 2 shown]
	s_cmp_eq_u32 s6, 1
	s_waitcnt lgkmcnt(16)
	v_max_f64 v[186:187], v[0:1], v[0:1]
	s_cselect_b32 vcc_lo, -1, 0
	v_max_f64 v[188:189], v[2:3], v[2:3]
	s_waitcnt lgkmcnt(0)
	v_dual_cndmask_b32 v185, v65, v67 :: v_dual_cndmask_b32 v184, v64, v66
	v_max_f64 v[190:191], v[4:5], v[4:5]
	v_max_f64 v[192:193], v[6:7], v[6:7]
	;; [unrolled: 1-line block ×31, first 2 shown]
	s_mov_b64 s[6:7], 1
	s_and_b32 vcc_lo, exec_lo, s22
	s_mov_b32 s22, 0
	v_min_f64 v[186:187], v[186:187], v[184:185]
	v_min_f64 v[188:189], v[188:189], v[184:185]
	;; [unrolled: 1-line block ×32, first 2 shown]
	s_waitcnt vmcnt(31)
	v_add_f64 v[120:121], v[120:121], v[186:187]
	s_waitcnt vmcnt(30)
	v_add_f64 v[122:123], v[188:189], v[122:123]
	;; [unrolled: 2-line block ×32, first 2 shown]
	scratch_store_b64 v80, v[120:121], off
	scratch_store_b64 v81, v[122:123], off
	;; [unrolled: 1-line block ×32, first 2 shown]
	v_mov_b32_e32 v80, 0x100
	v_mov_b32_e32 v81, 0x108
	;; [unrolled: 1-line block ×32, first 2 shown]
	s_cbranch_vccnz .LBB191_29
; %bb.30:
	v_dual_mov_b32 v81, 8 :: v_dual_add_nc_u32 v60, 0x800, v87
	ds_load_2addr_b64 v[0:3], v87 offset0:3 offset1:19
	ds_load_2addr_b64 v[4:7], v87 offset0:35 offset1:51
	;; [unrolled: 1-line block ×12, first 2 shown]
	v_dual_mov_b32 v83, 24 :: v_dual_add_nc_u32 v64, 24, v91
	ds_load_2addr_b64 v[48:51], v60 offset0:131 offset1:147
	ds_load_2addr_b64 v[52:55], v60 offset0:163 offset1:179
	;; [unrolled: 1-line block ×4, first 2 shown]
	ds_load_2addr_stride64_b64 v[64:67], v64 offset1:4
	v_dual_mov_b32 v80, 0 :: v_dual_mov_b32 v93, 40
	v_dual_mov_b32 v82, 16 :: v_dual_mov_b32 v95, 56
	;; [unrolled: 1-line block ×5, first 2 shown]
	v_mov_b32_e32 v98, 0x50
	v_mov_b32_e32 v100, 0x60
	;; [unrolled: 1-line block ×20, first 2 shown]
	s_mov_b64 s[6:7], 0
	s_mov_b32 s22, -1
.LBB191_31:                             ; =>This Inner Loop Header: Depth=1
	scratch_load_b64 v[120:121], v80, off
	scratch_load_b64 v[122:123], v81, off
	;; [unrolled: 1-line block ×32, first 2 shown]
	s_cmp_eq_u32 s6, 1
	s_waitcnt lgkmcnt(16)
	v_max_f64 v[186:187], v[0:1], v[0:1]
	s_cselect_b32 vcc_lo, -1, 0
	v_max_f64 v[188:189], v[2:3], v[2:3]
	s_waitcnt lgkmcnt(0)
	v_dual_cndmask_b32 v185, v65, v67 :: v_dual_cndmask_b32 v184, v64, v66
	v_max_f64 v[190:191], v[4:5], v[4:5]
	v_max_f64 v[192:193], v[6:7], v[6:7]
	v_max_f64 v[194:195], v[8:9], v[8:9]
	v_max_f64 v[196:197], v[10:11], v[10:11]
	v_max_f64 v[184:185], v[184:185], v[184:185]
	v_max_f64 v[198:199], v[12:13], v[12:13]
	v_max_f64 v[200:201], v[14:15], v[14:15]
	v_max_f64 v[202:203], v[16:17], v[16:17]
	v_max_f64 v[204:205], v[18:19], v[18:19]
	v_max_f64 v[206:207], v[20:21], v[20:21]
	v_max_f64 v[208:209], v[22:23], v[22:23]
	v_max_f64 v[210:211], v[24:25], v[24:25]
	v_max_f64 v[212:213], v[26:27], v[26:27]
	v_max_f64 v[214:215], v[28:29], v[28:29]
	v_max_f64 v[216:217], v[30:31], v[30:31]
	v_max_f64 v[218:219], v[32:33], v[32:33]
	v_max_f64 v[220:221], v[34:35], v[34:35]
	v_max_f64 v[222:223], v[36:37], v[36:37]
	v_max_f64 v[224:225], v[38:39], v[38:39]
	v_max_f64 v[226:227], v[40:41], v[40:41]
	v_max_f64 v[228:229], v[42:43], v[42:43]
	v_max_f64 v[230:231], v[44:45], v[44:45]
	v_max_f64 v[232:233], v[46:47], v[46:47]
	v_max_f64 v[234:235], v[48:49], v[48:49]
	v_max_f64 v[236:237], v[50:51], v[50:51]
	v_max_f64 v[238:239], v[52:53], v[52:53]
	v_max_f64 v[240:241], v[54:55], v[54:55]
	v_max_f64 v[242:243], v[56:57], v[56:57]
	v_max_f64 v[244:245], v[58:59], v[58:59]
	v_max_f64 v[246:247], v[60:61], v[60:61]
	v_max_f64 v[248:249], v[62:63], v[62:63]
	s_mov_b64 s[6:7], 1
	s_and_b32 vcc_lo, exec_lo, s22
	s_mov_b32 s22, 0
	v_min_f64 v[186:187], v[186:187], v[184:185]
	v_min_f64 v[188:189], v[188:189], v[184:185]
	;; [unrolled: 1-line block ×32, first 2 shown]
	s_waitcnt vmcnt(31)
	v_add_f64 v[120:121], v[120:121], v[186:187]
	s_waitcnt vmcnt(30)
	v_add_f64 v[122:123], v[188:189], v[122:123]
	;; [unrolled: 2-line block ×32, first 2 shown]
	scratch_store_b64 v80, v[120:121], off
	scratch_store_b64 v81, v[122:123], off
	;; [unrolled: 1-line block ×32, first 2 shown]
	v_mov_b32_e32 v80, 0x100
	v_mov_b32_e32 v81, 0x108
	;; [unrolled: 1-line block ×32, first 2 shown]
	s_cbranch_vccnz .LBB191_31
; %bb.32:
	s_cmp_gt_i32 s42, 8
	s_mov_b32 s22, 8
	ds_store_2addr_stride64_b64 v88, v[68:69], v[72:73] offset0:8 offset1:12
	ds_store_2addr_stride64_b64 v88, v[70:71], v[74:75] offset0:24 offset1:28
	s_waitcnt lgkmcnt(0)
	s_waitcnt_vscnt null, 0x0
	s_barrier
	buffer_gl0_inv
	s_cbranch_scc0 .LBB191_67
; %bb.33:
	v_mad_i64_i32 v[0:1], null, v76, s23, 0
	v_mad_i64_i32 v[2:3], null, v77, s23, 0
	;; [unrolled: 1-line block ×4, first 2 shown]
	v_lshl_add_u32 v94, v84, 5, 0x1000
	v_lshlrev_b64 v[68:69], 3, v[0:1]
	v_lshlrev_b64 v[70:71], 3, v[2:3]
	v_add_nc_u32_e32 v92, 0x1000, v88
	v_lshlrev_b64 v[72:73], 3, v[4:5]
	v_add_nc_u32_e32 v93, 0x3000, v88
	v_lshlrev_b64 v[74:75], 3, v[6:7]
	v_lshl_add_u32 v95, v85, 5, 0x3000
	v_add_nc_u32_e32 v96, 0x800, v94
	s_add_i32 s23, s42, -8
	s_mov_b32 s24, 0
.LBB191_34:                             ; =>This Loop Header: Depth=1
                                        ;     Child Loop BB191_43 Depth 2
                                        ;     Child Loop BB191_45 Depth 2
	;; [unrolled: 1-line block ×8, first 2 shown]
	v_or_b32_e32 v97, s22, v86
	v_mov_b32_e32 v76, 0
	v_mov_b32_e32 v77, 0
	s_delay_alu instid0(VALU_DEP_3) | instskip(SKIP_1) | instid1(VALU_DEP_3)
	v_min_i32_e32 v0, s14, v97
	v_cmp_le_i32_e32 vcc_lo, s42, v97
	v_dual_mov_b32 v79, v77 :: v_dual_mov_b32 v78, v76
	s_delay_alu instid0(VALU_DEP_3) | instskip(SKIP_1) | instid1(VALU_DEP_1)
	v_ashrrev_i32_e32 v1, 31, v0
	s_or_b32 s7, s2, vcc_lo
	v_lshlrev_b64 v[0:1], 3, v[0:1]
	s_delay_alu instid0(VALU_DEP_1) | instskip(NEXT) | instid1(VALU_DEP_1)
	v_add_co_u32 v2, s6, s12, v0
	v_add_co_ci_u32_e64 v3, s6, s13, v1, s6
	s_or_b32 s6, s21, s7
	s_delay_alu instid0(SALU_CYCLE_1) | instskip(NEXT) | instid1(SALU_CYCLE_1)
	s_xor_b32 s6, s6, -1
	s_and_saveexec_b32 s7, s6
	s_cbranch_execz .LBB191_36
; %bb.35:                               ;   in Loop: Header=BB191_34 Depth=1
	v_add_co_u32 v4, s6, v2, v68
	s_delay_alu instid0(VALU_DEP_1)
	v_add_co_ci_u32_e64 v5, s6, v3, v69, s6
	flat_load_b64 v[4:5], v[4:5]
	s_waitcnt vmcnt(0) lgkmcnt(0)
	v_mul_f64 v[78:79], v[4:5], s[16:17]
.LBB191_36:                             ;   in Loop: Header=BB191_34 Depth=1
	s_or_b32 exec_lo, exec_lo, s7
	s_or_b32 s6, s3, vcc_lo
	s_delay_alu instid0(SALU_CYCLE_1) | instskip(NEXT) | instid1(SALU_CYCLE_1)
	s_or_b32 s6, s21, s6
	s_xor_b32 s6, s6, -1
	s_delay_alu instid0(SALU_CYCLE_1)
	s_and_saveexec_b32 s7, s6
	s_cbranch_execz .LBB191_38
; %bb.37:                               ;   in Loop: Header=BB191_34 Depth=1
	v_add_co_u32 v2, s6, v2, v70
	s_delay_alu instid0(VALU_DEP_1)
	v_add_co_ci_u32_e64 v3, s6, v3, v71, s6
	flat_load_b64 v[2:3], v[2:3]
	s_waitcnt vmcnt(0) lgkmcnt(0)
	v_mul_f64 v[76:77], v[2:3], s[16:17]
.LBB191_38:                             ;   in Loop: Header=BB191_34 Depth=1
	s_or_b32 exec_lo, exec_lo, s7
	v_mov_b32_e32 v80, 0
	v_mov_b32_e32 v81, 0
	v_add_co_u32 v0, s6, s18, v0
	s_delay_alu instid0(VALU_DEP_1) | instskip(SKIP_1) | instid1(VALU_DEP_3)
	v_add_co_ci_u32_e64 v1, s6, s19, v1, s6
	s_or_b32 s6, s4, vcc_lo
	v_dual_mov_b32 v83, v81 :: v_dual_mov_b32 v82, v80
	s_or_b32 s6, s21, s6
	s_delay_alu instid0(SALU_CYCLE_1) | instskip(NEXT) | instid1(SALU_CYCLE_1)
	s_xor_b32 s6, s6, -1
	s_and_saveexec_b32 s7, s6
	s_cbranch_execz .LBB191_40
; %bb.39:                               ;   in Loop: Header=BB191_34 Depth=1
	v_add_co_u32 v2, s6, v0, v72
	s_delay_alu instid0(VALU_DEP_1)
	v_add_co_ci_u32_e64 v3, s6, v1, v73, s6
	flat_load_b64 v[2:3], v[2:3]
	s_waitcnt vmcnt(0) lgkmcnt(0)
	v_mul_f64 v[82:83], v[2:3], s[16:17]
.LBB191_40:                             ;   in Loop: Header=BB191_34 Depth=1
	s_or_b32 exec_lo, exec_lo, s7
	s_or_b32 s6, s5, vcc_lo
	s_delay_alu instid0(SALU_CYCLE_1) | instskip(NEXT) | instid1(SALU_CYCLE_1)
	s_or_b32 s6, s21, s6
	s_xor_b32 s7, s6, -1
	s_delay_alu instid0(SALU_CYCLE_1)
	s_and_saveexec_b32 s6, s7
	s_cbranch_execz .LBB191_42
; %bb.41:                               ;   in Loop: Header=BB191_34 Depth=1
	v_add_co_u32 v0, vcc_lo, v0, v74
	v_add_co_ci_u32_e32 v1, vcc_lo, v1, v75, vcc_lo
	flat_load_b64 v[0:1], v[0:1]
	s_waitcnt vmcnt(0) lgkmcnt(0)
	v_mul_f64 v[80:81], v[0:1], s[16:17]
.LBB191_42:                             ;   in Loop: Header=BB191_34 Depth=1
	s_or_b32 exec_lo, exec_lo, s6
	ds_load_2addr_b64 v[0:3], v94 offset1:16
	ds_load_2addr_b64 v[4:7], v94 offset0:32 offset1:48
	ds_load_2addr_b64 v[8:11], v94 offset0:64 offset1:80
	;; [unrolled: 1-line block ×7, first 2 shown]
	ds_load_2addr_b64 v[32:35], v96 offset1:16
	ds_load_2addr_b64 v[36:39], v96 offset0:32 offset1:48
	ds_load_2addr_b64 v[40:43], v96 offset0:64 offset1:80
	;; [unrolled: 1-line block ×7, first 2 shown]
	ds_load_2addr_stride64_b64 v[64:67], v95 offset1:4
	v_dual_mov_b32 v129, 0 :: v_dual_mov_b32 v128, 8
	v_dual_mov_b32 v127, 16 :: v_dual_mov_b32 v126, 24
	;; [unrolled: 1-line block ×5, first 2 shown]
	v_mov_b32_e32 v119, 0x50
	v_mov_b32_e32 v118, 0x58
	;; [unrolled: 1-line block ×22, first 2 shown]
	s_mov_b64 s[6:7], 0
	s_mov_b32 s25, -1
.LBB191_43:                             ;   Parent Loop BB191_34 Depth=1
                                        ; =>  This Inner Loop Header: Depth=2
	scratch_load_b64 v[134:135], v129, off
	s_cmp_eq_u32 s6, 1
	s_waitcnt lgkmcnt(16)
	v_max_f64 v[132:133], v[0:1], v[0:1]
	s_cselect_b32 vcc_lo, -1, 0
	s_mov_b64 s[6:7], 1
	s_waitcnt lgkmcnt(0)
	v_dual_cndmask_b32 v131, v65, v67 :: v_dual_cndmask_b32 v130, v64, v66
	s_and_b32 vcc_lo, exec_lo, s25
	s_mov_b32 s25, 0
	s_delay_alu instid0(VALU_DEP_1) | instskip(NEXT) | instid1(VALU_DEP_1)
	v_max_f64 v[130:131], v[130:131], v[130:131]
	v_min_f64 v[132:133], v[132:133], v[130:131]
	s_waitcnt vmcnt(0)
	s_delay_alu instid0(VALU_DEP_1) | instskip(SKIP_3) | instid1(VALU_DEP_1)
	v_add_f64 v[132:133], v[134:135], v[132:133]
	scratch_load_b64 v[134:135], v128, off
	scratch_store_b64 v129, v[132:133], off
	v_max_f64 v[132:133], v[2:3], v[2:3]
	v_min_f64 v[132:133], v[132:133], v[130:131]
	s_waitcnt vmcnt(0)
	s_delay_alu instid0(VALU_DEP_1) | instskip(SKIP_3) | instid1(VALU_DEP_1)
	v_add_f64 v[132:133], v[132:133], v[134:135]
	scratch_store_b64 v128, v[132:133], off
	scratch_load_b64 v[132:133], v127, off
	v_max_f64 v[128:129], v[4:5], v[4:5]
	v_min_f64 v[128:129], v[128:129], v[130:131]
	s_waitcnt vmcnt(0)
	s_delay_alu instid0(VALU_DEP_1) | instskip(SKIP_3) | instid1(VALU_DEP_1)
	v_add_f64 v[128:129], v[128:129], v[132:133]
	scratch_load_b64 v[132:133], v126, off
	scratch_store_b64 v127, v[128:129], off
	v_max_f64 v[127:128], v[6:7], v[6:7]
	v_min_f64 v[127:128], v[127:128], v[130:131]
	s_waitcnt vmcnt(0)
	s_delay_alu instid0(VALU_DEP_1) | instskip(SKIP_3) | instid1(VALU_DEP_1)
	v_add_f64 v[127:128], v[127:128], v[132:133]
	scratch_store_b64 v126, v[127:128], off
	scratch_load_b64 v[128:129], v125, off
	v_max_f64 v[126:127], v[8:9], v[8:9]
	v_min_f64 v[126:127], v[126:127], v[130:131]
	s_waitcnt vmcnt(0)
	s_delay_alu instid0(VALU_DEP_1) | instskip(SKIP_4) | instid1(VALU_DEP_1)
	v_add_f64 v[126:127], v[126:127], v[128:129]
	v_mov_b32_e32 v129, 0x100
	scratch_store_b64 v125, v[126:127], off
	scratch_load_b64 v[127:128], v124, off
	v_max_f64 v[125:126], v[10:11], v[10:11]
	v_min_f64 v[125:126], v[125:126], v[130:131]
	s_waitcnt vmcnt(0)
	s_delay_alu instid0(VALU_DEP_1) | instskip(SKIP_4) | instid1(VALU_DEP_1)
	v_add_f64 v[125:126], v[125:126], v[127:128]
	v_mov_b32_e32 v128, 0x108
	;; [unrolled: 8-line block ×27, first 2 shown]
	scratch_store_b64 v99, v[100:101], off
	scratch_load_b64 v[101:102], v98, off
	v_max_f64 v[99:100], v[62:63], v[62:63]
	v_min_f64 v[99:100], v[99:100], v[130:131]
	s_waitcnt vmcnt(0)
	s_delay_alu instid0(VALU_DEP_1)
	v_add_f64 v[99:100], v[99:100], v[101:102]
	v_mov_b32_e32 v102, 0x1d8
	v_mov_b32_e32 v101, 0x1e0
	scratch_store_b64 v98, v[99:100], off
	v_mov_b32_e32 v100, 0x1e8
	v_mov_b32_e32 v99, 0x1f0
	;; [unrolled: 1-line block ×3, first 2 shown]
	s_cbranch_vccnz .LBB191_43
; %bb.44:                               ;   in Loop: Header=BB191_34 Depth=1
	ds_load_2addr_b64 v[0:3], v94 offset0:1 offset1:17
	ds_load_2addr_b64 v[4:7], v94 offset0:33 offset1:49
	;; [unrolled: 1-line block ×12, first 2 shown]
	v_dual_mov_b32 v129, 0 :: v_dual_add_nc_u32 v64, 8, v95
	ds_load_2addr_b64 v[48:51], v96 offset0:129 offset1:145
	ds_load_2addr_b64 v[52:55], v96 offset0:161 offset1:177
	;; [unrolled: 1-line block ×4, first 2 shown]
	ds_load_2addr_stride64_b64 v[64:67], v64 offset1:4
	v_dual_mov_b32 v128, 8 :: v_dual_mov_b32 v127, 16
	v_dual_mov_b32 v126, 24 :: v_dual_mov_b32 v125, 32
	;; [unrolled: 1-line block ×4, first 2 shown]
	v_mov_b32_e32 v120, 0x48
	v_mov_b32_e32 v119, 0x50
	;; [unrolled: 1-line block ×23, first 2 shown]
	s_mov_b64 s[6:7], 0
	s_mov_b32 s25, -1
.LBB191_45:                             ;   Parent Loop BB191_34 Depth=1
                                        ; =>  This Inner Loop Header: Depth=2
	scratch_load_b64 v[134:135], v129, off
	s_cmp_eq_u32 s6, 1
	s_waitcnt lgkmcnt(16)
	v_max_f64 v[132:133], v[0:1], v[0:1]
	s_cselect_b32 vcc_lo, -1, 0
	s_mov_b64 s[6:7], 1
	s_waitcnt lgkmcnt(0)
	v_dual_cndmask_b32 v131, v65, v67 :: v_dual_cndmask_b32 v130, v64, v66
	s_and_b32 vcc_lo, exec_lo, s25
	s_mov_b32 s25, 0
	s_delay_alu instid0(VALU_DEP_1) | instskip(NEXT) | instid1(VALU_DEP_1)
	v_max_f64 v[130:131], v[130:131], v[130:131]
	v_min_f64 v[132:133], v[132:133], v[130:131]
	s_waitcnt vmcnt(0)
	s_delay_alu instid0(VALU_DEP_1) | instskip(SKIP_3) | instid1(VALU_DEP_1)
	v_add_f64 v[132:133], v[134:135], v[132:133]
	scratch_load_b64 v[134:135], v128, off
	scratch_store_b64 v129, v[132:133], off
	v_max_f64 v[132:133], v[2:3], v[2:3]
	v_min_f64 v[132:133], v[132:133], v[130:131]
	s_waitcnt vmcnt(0)
	s_delay_alu instid0(VALU_DEP_1) | instskip(SKIP_3) | instid1(VALU_DEP_1)
	v_add_f64 v[132:133], v[132:133], v[134:135]
	scratch_store_b64 v128, v[132:133], off
	scratch_load_b64 v[132:133], v127, off
	v_max_f64 v[128:129], v[4:5], v[4:5]
	v_min_f64 v[128:129], v[128:129], v[130:131]
	s_waitcnt vmcnt(0)
	s_delay_alu instid0(VALU_DEP_1) | instskip(SKIP_3) | instid1(VALU_DEP_1)
	v_add_f64 v[128:129], v[128:129], v[132:133]
	scratch_load_b64 v[132:133], v126, off
	scratch_store_b64 v127, v[128:129], off
	v_max_f64 v[127:128], v[6:7], v[6:7]
	v_min_f64 v[127:128], v[127:128], v[130:131]
	s_waitcnt vmcnt(0)
	s_delay_alu instid0(VALU_DEP_1) | instskip(SKIP_3) | instid1(VALU_DEP_1)
	v_add_f64 v[127:128], v[127:128], v[132:133]
	scratch_store_b64 v126, v[127:128], off
	scratch_load_b64 v[128:129], v125, off
	v_max_f64 v[126:127], v[8:9], v[8:9]
	v_min_f64 v[126:127], v[126:127], v[130:131]
	s_waitcnt vmcnt(0)
	s_delay_alu instid0(VALU_DEP_1) | instskip(SKIP_4) | instid1(VALU_DEP_1)
	v_add_f64 v[126:127], v[126:127], v[128:129]
	v_mov_b32_e32 v129, 0x100
	scratch_store_b64 v125, v[126:127], off
	scratch_load_b64 v[127:128], v124, off
	v_max_f64 v[125:126], v[10:11], v[10:11]
	v_min_f64 v[125:126], v[125:126], v[130:131]
	s_waitcnt vmcnt(0)
	s_delay_alu instid0(VALU_DEP_1) | instskip(SKIP_4) | instid1(VALU_DEP_1)
	v_add_f64 v[125:126], v[125:126], v[127:128]
	v_mov_b32_e32 v128, 0x108
	;; [unrolled: 8-line block ×27, first 2 shown]
	scratch_store_b64 v99, v[100:101], off
	scratch_load_b64 v[101:102], v98, off
	v_max_f64 v[99:100], v[62:63], v[62:63]
	v_min_f64 v[99:100], v[99:100], v[130:131]
	s_waitcnt vmcnt(0)
	s_delay_alu instid0(VALU_DEP_1)
	v_add_f64 v[99:100], v[99:100], v[101:102]
	v_mov_b32_e32 v102, 0x1d8
	v_mov_b32_e32 v101, 0x1e0
	scratch_store_b64 v98, v[99:100], off
	v_mov_b32_e32 v100, 0x1e8
	v_mov_b32_e32 v99, 0x1f0
	;; [unrolled: 1-line block ×3, first 2 shown]
	s_cbranch_vccnz .LBB191_45
; %bb.46:                               ;   in Loop: Header=BB191_34 Depth=1
	ds_load_2addr_b64 v[0:3], v94 offset0:2 offset1:18
	ds_load_2addr_b64 v[4:7], v94 offset0:34 offset1:50
	;; [unrolled: 1-line block ×12, first 2 shown]
	v_dual_mov_b32 v129, 0 :: v_dual_add_nc_u32 v64, 16, v95
	ds_load_2addr_b64 v[48:51], v96 offset0:130 offset1:146
	ds_load_2addr_b64 v[52:55], v96 offset0:162 offset1:178
	ds_load_2addr_b64 v[56:59], v96 offset0:194 offset1:210
	ds_load_2addr_b64 v[60:63], v96 offset0:226 offset1:242
	ds_load_2addr_stride64_b64 v[64:67], v64 offset1:4
	v_dual_mov_b32 v128, 8 :: v_dual_mov_b32 v127, 16
	v_dual_mov_b32 v126, 24 :: v_dual_mov_b32 v125, 32
	;; [unrolled: 1-line block ×4, first 2 shown]
	v_mov_b32_e32 v120, 0x48
	v_mov_b32_e32 v119, 0x50
	;; [unrolled: 1-line block ×23, first 2 shown]
	s_mov_b64 s[6:7], 0
	s_mov_b32 s25, -1
.LBB191_47:                             ;   Parent Loop BB191_34 Depth=1
                                        ; =>  This Inner Loop Header: Depth=2
	scratch_load_b64 v[134:135], v129, off
	s_cmp_eq_u32 s6, 1
	s_waitcnt lgkmcnt(16)
	v_max_f64 v[132:133], v[0:1], v[0:1]
	s_cselect_b32 vcc_lo, -1, 0
	s_mov_b64 s[6:7], 1
	s_waitcnt lgkmcnt(0)
	v_dual_cndmask_b32 v131, v65, v67 :: v_dual_cndmask_b32 v130, v64, v66
	s_and_b32 vcc_lo, exec_lo, s25
	s_mov_b32 s25, 0
	s_delay_alu instid0(VALU_DEP_1) | instskip(NEXT) | instid1(VALU_DEP_1)
	v_max_f64 v[130:131], v[130:131], v[130:131]
	v_min_f64 v[132:133], v[132:133], v[130:131]
	s_waitcnt vmcnt(0)
	s_delay_alu instid0(VALU_DEP_1) | instskip(SKIP_3) | instid1(VALU_DEP_1)
	v_add_f64 v[132:133], v[134:135], v[132:133]
	scratch_load_b64 v[134:135], v128, off
	scratch_store_b64 v129, v[132:133], off
	v_max_f64 v[132:133], v[2:3], v[2:3]
	v_min_f64 v[132:133], v[132:133], v[130:131]
	s_waitcnt vmcnt(0)
	s_delay_alu instid0(VALU_DEP_1) | instskip(SKIP_3) | instid1(VALU_DEP_1)
	v_add_f64 v[132:133], v[132:133], v[134:135]
	scratch_store_b64 v128, v[132:133], off
	scratch_load_b64 v[132:133], v127, off
	v_max_f64 v[128:129], v[4:5], v[4:5]
	v_min_f64 v[128:129], v[128:129], v[130:131]
	s_waitcnt vmcnt(0)
	s_delay_alu instid0(VALU_DEP_1) | instskip(SKIP_3) | instid1(VALU_DEP_1)
	v_add_f64 v[128:129], v[128:129], v[132:133]
	scratch_load_b64 v[132:133], v126, off
	scratch_store_b64 v127, v[128:129], off
	v_max_f64 v[127:128], v[6:7], v[6:7]
	v_min_f64 v[127:128], v[127:128], v[130:131]
	s_waitcnt vmcnt(0)
	s_delay_alu instid0(VALU_DEP_1) | instskip(SKIP_3) | instid1(VALU_DEP_1)
	v_add_f64 v[127:128], v[127:128], v[132:133]
	scratch_store_b64 v126, v[127:128], off
	scratch_load_b64 v[128:129], v125, off
	v_max_f64 v[126:127], v[8:9], v[8:9]
	v_min_f64 v[126:127], v[126:127], v[130:131]
	s_waitcnt vmcnt(0)
	s_delay_alu instid0(VALU_DEP_1) | instskip(SKIP_4) | instid1(VALU_DEP_1)
	v_add_f64 v[126:127], v[126:127], v[128:129]
	v_mov_b32_e32 v129, 0x100
	scratch_store_b64 v125, v[126:127], off
	scratch_load_b64 v[127:128], v124, off
	v_max_f64 v[125:126], v[10:11], v[10:11]
	v_min_f64 v[125:126], v[125:126], v[130:131]
	s_waitcnt vmcnt(0)
	s_delay_alu instid0(VALU_DEP_1) | instskip(SKIP_4) | instid1(VALU_DEP_1)
	v_add_f64 v[125:126], v[125:126], v[127:128]
	v_mov_b32_e32 v128, 0x108
	scratch_store_b64 v124, v[125:126], off
	scratch_load_b64 v[126:127], v123, off
	v_max_f64 v[124:125], v[12:13], v[12:13]
	v_min_f64 v[124:125], v[124:125], v[130:131]
	s_waitcnt vmcnt(0)
	s_delay_alu instid0(VALU_DEP_1) | instskip(SKIP_4) | instid1(VALU_DEP_1)
	v_add_f64 v[124:125], v[124:125], v[126:127]
	v_mov_b32_e32 v127, 0x110
	scratch_store_b64 v123, v[124:125], off
	scratch_load_b64 v[125:126], v122, off
	v_max_f64 v[123:124], v[14:15], v[14:15]
	v_min_f64 v[123:124], v[123:124], v[130:131]
	s_waitcnt vmcnt(0)
	s_delay_alu instid0(VALU_DEP_1) | instskip(SKIP_4) | instid1(VALU_DEP_1)
	v_add_f64 v[123:124], v[123:124], v[125:126]
	v_mov_b32_e32 v126, 0x118
	scratch_store_b64 v122, v[123:124], off
	scratch_load_b64 v[124:125], v121, off
	v_max_f64 v[122:123], v[16:17], v[16:17]
	v_min_f64 v[122:123], v[122:123], v[130:131]
	s_waitcnt vmcnt(0)
	s_delay_alu instid0(VALU_DEP_1) | instskip(SKIP_4) | instid1(VALU_DEP_1)
	v_add_f64 v[122:123], v[122:123], v[124:125]
	v_mov_b32_e32 v125, 0x120
	scratch_store_b64 v121, v[122:123], off
	scratch_load_b64 v[123:124], v120, off
	v_max_f64 v[121:122], v[18:19], v[18:19]
	v_min_f64 v[121:122], v[121:122], v[130:131]
	s_waitcnt vmcnt(0)
	s_delay_alu instid0(VALU_DEP_1) | instskip(SKIP_4) | instid1(VALU_DEP_1)
	v_add_f64 v[121:122], v[121:122], v[123:124]
	v_mov_b32_e32 v124, 0x128
	scratch_store_b64 v120, v[121:122], off
	scratch_load_b64 v[122:123], v119, off
	v_max_f64 v[120:121], v[20:21], v[20:21]
	v_min_f64 v[120:121], v[120:121], v[130:131]
	s_waitcnt vmcnt(0)
	s_delay_alu instid0(VALU_DEP_1) | instskip(SKIP_4) | instid1(VALU_DEP_1)
	v_add_f64 v[120:121], v[120:121], v[122:123]
	v_mov_b32_e32 v123, 0x130
	scratch_store_b64 v119, v[120:121], off
	scratch_load_b64 v[121:122], v118, off
	v_max_f64 v[119:120], v[22:23], v[22:23]
	v_min_f64 v[119:120], v[119:120], v[130:131]
	s_waitcnt vmcnt(0)
	s_delay_alu instid0(VALU_DEP_1) | instskip(SKIP_4) | instid1(VALU_DEP_1)
	v_add_f64 v[119:120], v[119:120], v[121:122]
	v_mov_b32_e32 v122, 0x138
	scratch_store_b64 v118, v[119:120], off
	scratch_load_b64 v[120:121], v117, off
	v_max_f64 v[118:119], v[24:25], v[24:25]
	v_min_f64 v[118:119], v[118:119], v[130:131]
	s_waitcnt vmcnt(0)
	s_delay_alu instid0(VALU_DEP_1) | instskip(SKIP_4) | instid1(VALU_DEP_1)
	v_add_f64 v[118:119], v[118:119], v[120:121]
	v_mov_b32_e32 v121, 0x140
	scratch_store_b64 v117, v[118:119], off
	scratch_load_b64 v[119:120], v116, off
	v_max_f64 v[117:118], v[26:27], v[26:27]
	v_min_f64 v[117:118], v[117:118], v[130:131]
	s_waitcnt vmcnt(0)
	s_delay_alu instid0(VALU_DEP_1) | instskip(SKIP_4) | instid1(VALU_DEP_1)
	v_add_f64 v[117:118], v[117:118], v[119:120]
	v_mov_b32_e32 v120, 0x148
	scratch_store_b64 v116, v[117:118], off
	scratch_load_b64 v[118:119], v115, off
	v_max_f64 v[116:117], v[28:29], v[28:29]
	v_min_f64 v[116:117], v[116:117], v[130:131]
	s_waitcnt vmcnt(0)
	s_delay_alu instid0(VALU_DEP_1) | instskip(SKIP_4) | instid1(VALU_DEP_1)
	v_add_f64 v[116:117], v[116:117], v[118:119]
	v_mov_b32_e32 v119, 0x150
	scratch_store_b64 v115, v[116:117], off
	scratch_load_b64 v[117:118], v114, off
	v_max_f64 v[115:116], v[30:31], v[30:31]
	v_min_f64 v[115:116], v[115:116], v[130:131]
	s_waitcnt vmcnt(0)
	s_delay_alu instid0(VALU_DEP_1) | instskip(SKIP_4) | instid1(VALU_DEP_1)
	v_add_f64 v[115:116], v[115:116], v[117:118]
	v_mov_b32_e32 v118, 0x158
	scratch_store_b64 v114, v[115:116], off
	scratch_load_b64 v[116:117], v113, off
	v_max_f64 v[114:115], v[32:33], v[32:33]
	v_min_f64 v[114:115], v[114:115], v[130:131]
	s_waitcnt vmcnt(0)
	s_delay_alu instid0(VALU_DEP_1) | instskip(SKIP_4) | instid1(VALU_DEP_1)
	v_add_f64 v[114:115], v[114:115], v[116:117]
	v_mov_b32_e32 v117, 0x160
	scratch_store_b64 v113, v[114:115], off
	scratch_load_b64 v[115:116], v112, off
	v_max_f64 v[113:114], v[34:35], v[34:35]
	v_min_f64 v[113:114], v[113:114], v[130:131]
	s_waitcnt vmcnt(0)
	s_delay_alu instid0(VALU_DEP_1) | instskip(SKIP_4) | instid1(VALU_DEP_1)
	v_add_f64 v[113:114], v[113:114], v[115:116]
	v_mov_b32_e32 v116, 0x168
	scratch_store_b64 v112, v[113:114], off
	scratch_load_b64 v[114:115], v111, off
	v_max_f64 v[112:113], v[36:37], v[36:37]
	v_min_f64 v[112:113], v[112:113], v[130:131]
	s_waitcnt vmcnt(0)
	s_delay_alu instid0(VALU_DEP_1) | instskip(SKIP_4) | instid1(VALU_DEP_1)
	v_add_f64 v[112:113], v[112:113], v[114:115]
	v_mov_b32_e32 v115, 0x170
	scratch_store_b64 v111, v[112:113], off
	scratch_load_b64 v[113:114], v110, off
	v_max_f64 v[111:112], v[38:39], v[38:39]
	v_min_f64 v[111:112], v[111:112], v[130:131]
	s_waitcnt vmcnt(0)
	s_delay_alu instid0(VALU_DEP_1) | instskip(SKIP_4) | instid1(VALU_DEP_1)
	v_add_f64 v[111:112], v[111:112], v[113:114]
	v_mov_b32_e32 v114, 0x178
	scratch_store_b64 v110, v[111:112], off
	scratch_load_b64 v[112:113], v109, off
	v_max_f64 v[110:111], v[40:41], v[40:41]
	v_min_f64 v[110:111], v[110:111], v[130:131]
	s_waitcnt vmcnt(0)
	s_delay_alu instid0(VALU_DEP_1) | instskip(SKIP_4) | instid1(VALU_DEP_1)
	v_add_f64 v[110:111], v[110:111], v[112:113]
	v_mov_b32_e32 v113, 0x180
	scratch_store_b64 v109, v[110:111], off
	scratch_load_b64 v[111:112], v108, off
	v_max_f64 v[109:110], v[42:43], v[42:43]
	v_min_f64 v[109:110], v[109:110], v[130:131]
	s_waitcnt vmcnt(0)
	s_delay_alu instid0(VALU_DEP_1) | instskip(SKIP_4) | instid1(VALU_DEP_1)
	v_add_f64 v[109:110], v[109:110], v[111:112]
	v_mov_b32_e32 v112, 0x188
	scratch_store_b64 v108, v[109:110], off
	scratch_load_b64 v[110:111], v107, off
	v_max_f64 v[108:109], v[44:45], v[44:45]
	v_min_f64 v[108:109], v[108:109], v[130:131]
	s_waitcnt vmcnt(0)
	s_delay_alu instid0(VALU_DEP_1) | instskip(SKIP_4) | instid1(VALU_DEP_1)
	v_add_f64 v[108:109], v[108:109], v[110:111]
	v_mov_b32_e32 v111, 0x190
	scratch_store_b64 v107, v[108:109], off
	scratch_load_b64 v[109:110], v106, off
	v_max_f64 v[107:108], v[46:47], v[46:47]
	v_min_f64 v[107:108], v[107:108], v[130:131]
	s_waitcnt vmcnt(0)
	s_delay_alu instid0(VALU_DEP_1) | instskip(SKIP_4) | instid1(VALU_DEP_1)
	v_add_f64 v[107:108], v[107:108], v[109:110]
	v_mov_b32_e32 v110, 0x198
	scratch_store_b64 v106, v[107:108], off
	scratch_load_b64 v[108:109], v105, off
	v_max_f64 v[106:107], v[48:49], v[48:49]
	v_min_f64 v[106:107], v[106:107], v[130:131]
	s_waitcnt vmcnt(0)
	s_delay_alu instid0(VALU_DEP_1) | instskip(SKIP_4) | instid1(VALU_DEP_1)
	v_add_f64 v[106:107], v[106:107], v[108:109]
	v_mov_b32_e32 v109, 0x1a0
	scratch_store_b64 v105, v[106:107], off
	scratch_load_b64 v[107:108], v104, off
	v_max_f64 v[105:106], v[50:51], v[50:51]
	v_min_f64 v[105:106], v[105:106], v[130:131]
	s_waitcnt vmcnt(0)
	s_delay_alu instid0(VALU_DEP_1) | instskip(SKIP_4) | instid1(VALU_DEP_1)
	v_add_f64 v[105:106], v[105:106], v[107:108]
	v_mov_b32_e32 v108, 0x1a8
	scratch_store_b64 v104, v[105:106], off
	scratch_load_b64 v[106:107], v103, off
	v_max_f64 v[104:105], v[52:53], v[52:53]
	v_min_f64 v[104:105], v[104:105], v[130:131]
	s_waitcnt vmcnt(0)
	s_delay_alu instid0(VALU_DEP_1) | instskip(SKIP_4) | instid1(VALU_DEP_1)
	v_add_f64 v[104:105], v[104:105], v[106:107]
	v_mov_b32_e32 v107, 0x1b0
	scratch_store_b64 v103, v[104:105], off
	scratch_load_b64 v[105:106], v102, off
	v_max_f64 v[103:104], v[54:55], v[54:55]
	v_min_f64 v[103:104], v[103:104], v[130:131]
	s_waitcnt vmcnt(0)
	s_delay_alu instid0(VALU_DEP_1) | instskip(SKIP_4) | instid1(VALU_DEP_1)
	v_add_f64 v[103:104], v[103:104], v[105:106]
	v_mov_b32_e32 v106, 0x1b8
	scratch_store_b64 v102, v[103:104], off
	scratch_load_b64 v[104:105], v101, off
	v_max_f64 v[102:103], v[56:57], v[56:57]
	v_min_f64 v[102:103], v[102:103], v[130:131]
	s_waitcnt vmcnt(0)
	s_delay_alu instid0(VALU_DEP_1) | instskip(SKIP_4) | instid1(VALU_DEP_1)
	v_add_f64 v[102:103], v[102:103], v[104:105]
	v_mov_b32_e32 v105, 0x1c0
	scratch_store_b64 v101, v[102:103], off
	scratch_load_b64 v[103:104], v100, off
	v_max_f64 v[101:102], v[58:59], v[58:59]
	v_min_f64 v[101:102], v[101:102], v[130:131]
	s_waitcnt vmcnt(0)
	s_delay_alu instid0(VALU_DEP_1) | instskip(SKIP_4) | instid1(VALU_DEP_1)
	v_add_f64 v[101:102], v[101:102], v[103:104]
	v_mov_b32_e32 v104, 0x1c8
	scratch_store_b64 v100, v[101:102], off
	scratch_load_b64 v[102:103], v99, off
	v_max_f64 v[100:101], v[60:61], v[60:61]
	v_min_f64 v[100:101], v[100:101], v[130:131]
	s_waitcnt vmcnt(0)
	s_delay_alu instid0(VALU_DEP_1) | instskip(SKIP_4) | instid1(VALU_DEP_1)
	v_add_f64 v[100:101], v[100:101], v[102:103]
	v_mov_b32_e32 v103, 0x1d0
	scratch_store_b64 v99, v[100:101], off
	scratch_load_b64 v[101:102], v98, off
	v_max_f64 v[99:100], v[62:63], v[62:63]
	v_min_f64 v[99:100], v[99:100], v[130:131]
	s_waitcnt vmcnt(0)
	s_delay_alu instid0(VALU_DEP_1)
	v_add_f64 v[99:100], v[99:100], v[101:102]
	v_mov_b32_e32 v102, 0x1d8
	v_mov_b32_e32 v101, 0x1e0
	scratch_store_b64 v98, v[99:100], off
	v_mov_b32_e32 v100, 0x1e8
	v_mov_b32_e32 v99, 0x1f0
	;; [unrolled: 1-line block ×3, first 2 shown]
	s_cbranch_vccnz .LBB191_47
; %bb.48:                               ;   in Loop: Header=BB191_34 Depth=1
	ds_load_2addr_b64 v[0:3], v94 offset0:3 offset1:19
	ds_load_2addr_b64 v[4:7], v94 offset0:35 offset1:51
	;; [unrolled: 1-line block ×12, first 2 shown]
	v_dual_mov_b32 v129, 0 :: v_dual_add_nc_u32 v64, 24, v95
	ds_load_2addr_b64 v[48:51], v96 offset0:131 offset1:147
	ds_load_2addr_b64 v[52:55], v96 offset0:163 offset1:179
	;; [unrolled: 1-line block ×4, first 2 shown]
	ds_load_2addr_stride64_b64 v[64:67], v64 offset1:4
	v_dual_mov_b32 v128, 8 :: v_dual_mov_b32 v127, 16
	v_dual_mov_b32 v126, 24 :: v_dual_mov_b32 v125, 32
	;; [unrolled: 1-line block ×4, first 2 shown]
	v_mov_b32_e32 v120, 0x48
	v_mov_b32_e32 v119, 0x50
	;; [unrolled: 1-line block ×23, first 2 shown]
	s_mov_b64 s[6:7], 0
	s_mov_b32 s25, -1
.LBB191_49:                             ;   Parent Loop BB191_34 Depth=1
                                        ; =>  This Inner Loop Header: Depth=2
	scratch_load_b64 v[134:135], v129, off
	s_cmp_eq_u32 s6, 1
	s_waitcnt lgkmcnt(16)
	v_max_f64 v[132:133], v[0:1], v[0:1]
	s_cselect_b32 vcc_lo, -1, 0
	s_mov_b64 s[6:7], 1
	s_waitcnt lgkmcnt(0)
	v_dual_cndmask_b32 v131, v65, v67 :: v_dual_cndmask_b32 v130, v64, v66
	s_and_b32 vcc_lo, exec_lo, s25
	s_mov_b32 s25, 0
	s_delay_alu instid0(VALU_DEP_1) | instskip(NEXT) | instid1(VALU_DEP_1)
	v_max_f64 v[130:131], v[130:131], v[130:131]
	v_min_f64 v[132:133], v[132:133], v[130:131]
	s_waitcnt vmcnt(0)
	s_delay_alu instid0(VALU_DEP_1) | instskip(SKIP_3) | instid1(VALU_DEP_1)
	v_add_f64 v[132:133], v[134:135], v[132:133]
	scratch_load_b64 v[134:135], v128, off
	scratch_store_b64 v129, v[132:133], off
	v_max_f64 v[132:133], v[2:3], v[2:3]
	v_min_f64 v[132:133], v[132:133], v[130:131]
	s_waitcnt vmcnt(0)
	s_delay_alu instid0(VALU_DEP_1) | instskip(SKIP_3) | instid1(VALU_DEP_1)
	v_add_f64 v[132:133], v[132:133], v[134:135]
	scratch_store_b64 v128, v[132:133], off
	scratch_load_b64 v[132:133], v127, off
	v_max_f64 v[128:129], v[4:5], v[4:5]
	v_min_f64 v[128:129], v[128:129], v[130:131]
	s_waitcnt vmcnt(0)
	s_delay_alu instid0(VALU_DEP_1) | instskip(SKIP_3) | instid1(VALU_DEP_1)
	v_add_f64 v[128:129], v[128:129], v[132:133]
	scratch_load_b64 v[132:133], v126, off
	scratch_store_b64 v127, v[128:129], off
	v_max_f64 v[127:128], v[6:7], v[6:7]
	v_min_f64 v[127:128], v[127:128], v[130:131]
	s_waitcnt vmcnt(0)
	s_delay_alu instid0(VALU_DEP_1) | instskip(SKIP_3) | instid1(VALU_DEP_1)
	v_add_f64 v[127:128], v[127:128], v[132:133]
	scratch_store_b64 v126, v[127:128], off
	scratch_load_b64 v[128:129], v125, off
	v_max_f64 v[126:127], v[8:9], v[8:9]
	v_min_f64 v[126:127], v[126:127], v[130:131]
	s_waitcnt vmcnt(0)
	s_delay_alu instid0(VALU_DEP_1) | instskip(SKIP_4) | instid1(VALU_DEP_1)
	v_add_f64 v[126:127], v[126:127], v[128:129]
	v_mov_b32_e32 v129, 0x100
	scratch_store_b64 v125, v[126:127], off
	scratch_load_b64 v[127:128], v124, off
	v_max_f64 v[125:126], v[10:11], v[10:11]
	v_min_f64 v[125:126], v[125:126], v[130:131]
	s_waitcnt vmcnt(0)
	s_delay_alu instid0(VALU_DEP_1) | instskip(SKIP_4) | instid1(VALU_DEP_1)
	v_add_f64 v[125:126], v[125:126], v[127:128]
	v_mov_b32_e32 v128, 0x108
	;; [unrolled: 8-line block ×27, first 2 shown]
	scratch_store_b64 v99, v[100:101], off
	scratch_load_b64 v[101:102], v98, off
	v_max_f64 v[99:100], v[62:63], v[62:63]
	v_min_f64 v[99:100], v[99:100], v[130:131]
	s_waitcnt vmcnt(0)
	s_delay_alu instid0(VALU_DEP_1)
	v_add_f64 v[99:100], v[99:100], v[101:102]
	v_mov_b32_e32 v102, 0x1d8
	v_mov_b32_e32 v101, 0x1e0
	scratch_store_b64 v98, v[99:100], off
	v_mov_b32_e32 v100, 0x1e8
	v_mov_b32_e32 v99, 0x1f0
	v_mov_b32_e32 v98, 0x1f8
	s_cbranch_vccnz .LBB191_49
; %bb.50:                               ;   in Loop: Header=BB191_34 Depth=1
	v_or_b32_e32 v2, 4, v97
	ds_store_2addr_stride64_b64 v88, v[78:79], v[76:77] offset1:4
	v_mov_b32_e32 v76, 0
	v_mov_b32_e32 v77, 0
	ds_store_2addr_stride64_b64 v90, v[82:83], v[80:81] offset1:4
	v_min_i32_e32 v0, s14, v2
	v_cmp_le_i32_e32 vcc_lo, s42, v2
	s_waitcnt lgkmcnt(0)
	s_waitcnt_vscnt null, 0x0
	v_dual_mov_b32 v79, v77 :: v_dual_mov_b32 v78, v76
	v_ashrrev_i32_e32 v1, 31, v0
	s_or_b32 s7, s2, vcc_lo
	s_barrier
	buffer_gl0_inv
	v_lshlrev_b64 v[0:1], 3, v[0:1]
	s_delay_alu instid0(VALU_DEP_1) | instskip(NEXT) | instid1(VALU_DEP_1)
	v_add_co_u32 v2, s6, s12, v0
	v_add_co_ci_u32_e64 v3, s6, s13, v1, s6
	s_or_b32 s6, s21, s7
	s_delay_alu instid0(SALU_CYCLE_1) | instskip(NEXT) | instid1(SALU_CYCLE_1)
	s_xor_b32 s6, s6, -1
	s_and_saveexec_b32 s7, s6
	s_delay_alu instid0(SALU_CYCLE_1)
	s_xor_b32 s7, exec_lo, s7
	s_cbranch_execz .LBB191_52
; %bb.51:                               ;   in Loop: Header=BB191_34 Depth=1
	v_add_co_u32 v4, s6, v2, v68
	s_delay_alu instid0(VALU_DEP_1)
	v_add_co_ci_u32_e64 v5, s6, v3, v69, s6
	flat_load_b64 v[4:5], v[4:5]
	s_waitcnt vmcnt(0) lgkmcnt(0)
	v_mul_f64 v[78:79], v[4:5], s[16:17]
.LBB191_52:                             ;   in Loop: Header=BB191_34 Depth=1
	s_or_b32 exec_lo, exec_lo, s7
	s_or_b32 s6, s3, vcc_lo
	s_delay_alu instid0(SALU_CYCLE_1) | instskip(NEXT) | instid1(SALU_CYCLE_1)
	s_or_b32 s6, s21, s6
	s_xor_b32 s6, s6, -1
	s_delay_alu instid0(SALU_CYCLE_1)
	s_and_saveexec_b32 s7, s6
	s_cbranch_execz .LBB191_54
; %bb.53:                               ;   in Loop: Header=BB191_34 Depth=1
	v_add_co_u32 v2, s6, v2, v70
	s_delay_alu instid0(VALU_DEP_1)
	v_add_co_ci_u32_e64 v3, s6, v3, v71, s6
	flat_load_b64 v[2:3], v[2:3]
	s_waitcnt vmcnt(0) lgkmcnt(0)
	v_mul_f64 v[76:77], v[2:3], s[16:17]
.LBB191_54:                             ;   in Loop: Header=BB191_34 Depth=1
	s_or_b32 exec_lo, exec_lo, s7
	v_mov_b32_e32 v80, 0
	v_mov_b32_e32 v81, 0
	v_add_co_u32 v0, s6, s18, v0
	s_delay_alu instid0(VALU_DEP_1) | instskip(SKIP_1) | instid1(VALU_DEP_3)
	v_add_co_ci_u32_e64 v1, s6, s19, v1, s6
	s_or_b32 s6, s4, vcc_lo
	v_dual_mov_b32 v83, v81 :: v_dual_mov_b32 v82, v80
	s_or_b32 s6, s21, s6
	s_delay_alu instid0(SALU_CYCLE_1) | instskip(NEXT) | instid1(SALU_CYCLE_1)
	s_xor_b32 s6, s6, -1
	s_and_saveexec_b32 s7, s6
	s_cbranch_execz .LBB191_56
; %bb.55:                               ;   in Loop: Header=BB191_34 Depth=1
	v_add_co_u32 v2, s6, v0, v72
	s_delay_alu instid0(VALU_DEP_1)
	v_add_co_ci_u32_e64 v3, s6, v1, v73, s6
	flat_load_b64 v[2:3], v[2:3]
	s_waitcnt vmcnt(0) lgkmcnt(0)
	v_mul_f64 v[82:83], v[2:3], s[16:17]
.LBB191_56:                             ;   in Loop: Header=BB191_34 Depth=1
	s_or_b32 exec_lo, exec_lo, s7
	s_or_b32 s6, s5, vcc_lo
	s_delay_alu instid0(SALU_CYCLE_1) | instskip(NEXT) | instid1(SALU_CYCLE_1)
	s_or_b32 s6, s21, s6
	s_xor_b32 s7, s6, -1
	s_delay_alu instid0(SALU_CYCLE_1)
	s_and_saveexec_b32 s6, s7
	s_cbranch_execz .LBB191_58
; %bb.57:                               ;   in Loop: Header=BB191_34 Depth=1
	v_add_co_u32 v0, vcc_lo, v0, v74
	v_add_co_ci_u32_e32 v1, vcc_lo, v1, v75, vcc_lo
	flat_load_b64 v[0:1], v[0:1]
	s_waitcnt vmcnt(0) lgkmcnt(0)
	v_mul_f64 v[80:81], v[0:1], s[16:17]
.LBB191_58:                             ;   in Loop: Header=BB191_34 Depth=1
	s_or_b32 exec_lo, exec_lo, s6
	v_dual_mov_b32 v128, 8 :: v_dual_add_nc_u32 v97, 0x800, v87
	ds_load_2addr_b64 v[0:3], v87 offset1:16
	ds_load_2addr_b64 v[4:7], v87 offset0:32 offset1:48
	ds_load_2addr_b64 v[8:11], v87 offset0:64 offset1:80
	;; [unrolled: 1-line block ×7, first 2 shown]
	ds_load_2addr_b64 v[32:35], v97 offset1:16
	ds_load_2addr_b64 v[36:39], v97 offset0:32 offset1:48
	ds_load_2addr_b64 v[40:43], v97 offset0:64 offset1:80
	;; [unrolled: 1-line block ×7, first 2 shown]
	ds_load_2addr_stride64_b64 v[64:67], v91 offset1:4
	v_dual_mov_b32 v129, 0 :: v_dual_mov_b32 v126, 24
	v_dual_mov_b32 v127, 16 :: v_dual_mov_b32 v124, 40
	;; [unrolled: 1-line block ×5, first 2 shown]
	v_mov_b32_e32 v119, 0x50
	v_mov_b32_e32 v117, 0x60
	;; [unrolled: 1-line block ×21, first 2 shown]
	s_mov_b64 s[6:7], 0
	s_mov_b32 s25, -1
.LBB191_59:                             ;   Parent Loop BB191_34 Depth=1
                                        ; =>  This Inner Loop Header: Depth=2
	scratch_load_b64 v[134:135], v129, off
	s_cmp_eq_u32 s6, 1
	s_waitcnt lgkmcnt(16)
	v_max_f64 v[132:133], v[0:1], v[0:1]
	s_cselect_b32 vcc_lo, -1, 0
	s_mov_b64 s[6:7], 1
	s_waitcnt lgkmcnt(0)
	v_dual_cndmask_b32 v131, v65, v67 :: v_dual_cndmask_b32 v130, v64, v66
	s_and_b32 vcc_lo, exec_lo, s25
	s_mov_b32 s25, 0
	s_delay_alu instid0(VALU_DEP_1) | instskip(NEXT) | instid1(VALU_DEP_1)
	v_max_f64 v[130:131], v[130:131], v[130:131]
	v_min_f64 v[132:133], v[132:133], v[130:131]
	s_waitcnt vmcnt(0)
	s_delay_alu instid0(VALU_DEP_1) | instskip(SKIP_3) | instid1(VALU_DEP_1)
	v_add_f64 v[132:133], v[134:135], v[132:133]
	scratch_load_b64 v[134:135], v128, off
	scratch_store_b64 v129, v[132:133], off
	v_max_f64 v[132:133], v[2:3], v[2:3]
	v_min_f64 v[132:133], v[132:133], v[130:131]
	s_waitcnt vmcnt(0)
	s_delay_alu instid0(VALU_DEP_1) | instskip(SKIP_3) | instid1(VALU_DEP_1)
	v_add_f64 v[132:133], v[132:133], v[134:135]
	scratch_store_b64 v128, v[132:133], off
	scratch_load_b64 v[132:133], v127, off
	v_max_f64 v[128:129], v[4:5], v[4:5]
	v_min_f64 v[128:129], v[128:129], v[130:131]
	s_waitcnt vmcnt(0)
	s_delay_alu instid0(VALU_DEP_1) | instskip(SKIP_3) | instid1(VALU_DEP_1)
	v_add_f64 v[128:129], v[128:129], v[132:133]
	scratch_load_b64 v[132:133], v126, off
	scratch_store_b64 v127, v[128:129], off
	v_max_f64 v[127:128], v[6:7], v[6:7]
	v_min_f64 v[127:128], v[127:128], v[130:131]
	s_waitcnt vmcnt(0)
	s_delay_alu instid0(VALU_DEP_1) | instskip(SKIP_3) | instid1(VALU_DEP_1)
	v_add_f64 v[127:128], v[127:128], v[132:133]
	scratch_store_b64 v126, v[127:128], off
	scratch_load_b64 v[128:129], v125, off
	v_max_f64 v[126:127], v[8:9], v[8:9]
	v_min_f64 v[126:127], v[126:127], v[130:131]
	s_waitcnt vmcnt(0)
	s_delay_alu instid0(VALU_DEP_1) | instskip(SKIP_4) | instid1(VALU_DEP_1)
	v_add_f64 v[126:127], v[126:127], v[128:129]
	v_mov_b32_e32 v129, 0x100
	scratch_store_b64 v125, v[126:127], off
	scratch_load_b64 v[127:128], v124, off
	v_max_f64 v[125:126], v[10:11], v[10:11]
	v_min_f64 v[125:126], v[125:126], v[130:131]
	s_waitcnt vmcnt(0)
	s_delay_alu instid0(VALU_DEP_1) | instskip(SKIP_4) | instid1(VALU_DEP_1)
	v_add_f64 v[125:126], v[125:126], v[127:128]
	v_mov_b32_e32 v128, 0x108
	;; [unrolled: 8-line block ×27, first 2 shown]
	scratch_store_b64 v99, v[100:101], off
	scratch_load_b64 v[101:102], v98, off
	v_max_f64 v[99:100], v[62:63], v[62:63]
	v_min_f64 v[99:100], v[99:100], v[130:131]
	s_waitcnt vmcnt(0)
	s_delay_alu instid0(VALU_DEP_1)
	v_add_f64 v[99:100], v[99:100], v[101:102]
	v_mov_b32_e32 v102, 0x1d8
	v_mov_b32_e32 v101, 0x1e0
	scratch_store_b64 v98, v[99:100], off
	v_mov_b32_e32 v100, 0x1e8
	v_mov_b32_e32 v99, 0x1f0
	;; [unrolled: 1-line block ×3, first 2 shown]
	s_cbranch_vccnz .LBB191_59
; %bb.60:                               ;   in Loop: Header=BB191_34 Depth=1
	ds_load_2addr_b64 v[0:3], v87 offset0:1 offset1:17
	ds_load_2addr_b64 v[4:7], v87 offset0:33 offset1:49
	;; [unrolled: 1-line block ×12, first 2 shown]
	v_dual_mov_b32 v129, 0 :: v_dual_add_nc_u32 v64, 8, v91
	ds_load_2addr_b64 v[48:51], v97 offset0:129 offset1:145
	ds_load_2addr_b64 v[52:55], v97 offset0:161 offset1:177
	;; [unrolled: 1-line block ×4, first 2 shown]
	ds_load_2addr_stride64_b64 v[64:67], v64 offset1:4
	v_dual_mov_b32 v128, 8 :: v_dual_mov_b32 v127, 16
	v_dual_mov_b32 v126, 24 :: v_dual_mov_b32 v125, 32
	;; [unrolled: 1-line block ×4, first 2 shown]
	v_mov_b32_e32 v120, 0x48
	v_mov_b32_e32 v119, 0x50
	;; [unrolled: 1-line block ×23, first 2 shown]
	s_mov_b64 s[6:7], 0
	s_mov_b32 s25, -1
.LBB191_61:                             ;   Parent Loop BB191_34 Depth=1
                                        ; =>  This Inner Loop Header: Depth=2
	scratch_load_b64 v[134:135], v129, off
	s_cmp_eq_u32 s6, 1
	s_waitcnt lgkmcnt(16)
	v_max_f64 v[132:133], v[0:1], v[0:1]
	s_cselect_b32 vcc_lo, -1, 0
	s_mov_b64 s[6:7], 1
	s_waitcnt lgkmcnt(0)
	v_dual_cndmask_b32 v131, v65, v67 :: v_dual_cndmask_b32 v130, v64, v66
	s_and_b32 vcc_lo, exec_lo, s25
	s_mov_b32 s25, 0
	s_delay_alu instid0(VALU_DEP_1) | instskip(NEXT) | instid1(VALU_DEP_1)
	v_max_f64 v[130:131], v[130:131], v[130:131]
	v_min_f64 v[132:133], v[132:133], v[130:131]
	s_waitcnt vmcnt(0)
	s_delay_alu instid0(VALU_DEP_1) | instskip(SKIP_3) | instid1(VALU_DEP_1)
	v_add_f64 v[132:133], v[134:135], v[132:133]
	scratch_load_b64 v[134:135], v128, off
	scratch_store_b64 v129, v[132:133], off
	v_max_f64 v[132:133], v[2:3], v[2:3]
	v_min_f64 v[132:133], v[132:133], v[130:131]
	s_waitcnt vmcnt(0)
	s_delay_alu instid0(VALU_DEP_1) | instskip(SKIP_3) | instid1(VALU_DEP_1)
	v_add_f64 v[132:133], v[132:133], v[134:135]
	scratch_store_b64 v128, v[132:133], off
	scratch_load_b64 v[132:133], v127, off
	v_max_f64 v[128:129], v[4:5], v[4:5]
	v_min_f64 v[128:129], v[128:129], v[130:131]
	s_waitcnt vmcnt(0)
	s_delay_alu instid0(VALU_DEP_1) | instskip(SKIP_3) | instid1(VALU_DEP_1)
	v_add_f64 v[128:129], v[128:129], v[132:133]
	scratch_load_b64 v[132:133], v126, off
	scratch_store_b64 v127, v[128:129], off
	v_max_f64 v[127:128], v[6:7], v[6:7]
	v_min_f64 v[127:128], v[127:128], v[130:131]
	s_waitcnt vmcnt(0)
	s_delay_alu instid0(VALU_DEP_1) | instskip(SKIP_3) | instid1(VALU_DEP_1)
	v_add_f64 v[127:128], v[127:128], v[132:133]
	scratch_store_b64 v126, v[127:128], off
	scratch_load_b64 v[128:129], v125, off
	v_max_f64 v[126:127], v[8:9], v[8:9]
	v_min_f64 v[126:127], v[126:127], v[130:131]
	s_waitcnt vmcnt(0)
	s_delay_alu instid0(VALU_DEP_1) | instskip(SKIP_4) | instid1(VALU_DEP_1)
	v_add_f64 v[126:127], v[126:127], v[128:129]
	v_mov_b32_e32 v129, 0x100
	scratch_store_b64 v125, v[126:127], off
	scratch_load_b64 v[127:128], v124, off
	v_max_f64 v[125:126], v[10:11], v[10:11]
	v_min_f64 v[125:126], v[125:126], v[130:131]
	s_waitcnt vmcnt(0)
	s_delay_alu instid0(VALU_DEP_1) | instskip(SKIP_4) | instid1(VALU_DEP_1)
	v_add_f64 v[125:126], v[125:126], v[127:128]
	v_mov_b32_e32 v128, 0x108
	;; [unrolled: 8-line block ×27, first 2 shown]
	scratch_store_b64 v99, v[100:101], off
	scratch_load_b64 v[101:102], v98, off
	v_max_f64 v[99:100], v[62:63], v[62:63]
	v_min_f64 v[99:100], v[99:100], v[130:131]
	s_waitcnt vmcnt(0)
	s_delay_alu instid0(VALU_DEP_1)
	v_add_f64 v[99:100], v[99:100], v[101:102]
	v_mov_b32_e32 v102, 0x1d8
	v_mov_b32_e32 v101, 0x1e0
	scratch_store_b64 v98, v[99:100], off
	v_mov_b32_e32 v100, 0x1e8
	v_mov_b32_e32 v99, 0x1f0
	;; [unrolled: 1-line block ×3, first 2 shown]
	s_cbranch_vccnz .LBB191_61
; %bb.62:                               ;   in Loop: Header=BB191_34 Depth=1
	ds_load_2addr_b64 v[0:3], v87 offset0:2 offset1:18
	ds_load_2addr_b64 v[4:7], v87 offset0:34 offset1:50
	;; [unrolled: 1-line block ×12, first 2 shown]
	v_dual_mov_b32 v129, 0 :: v_dual_add_nc_u32 v64, 16, v91
	ds_load_2addr_b64 v[48:51], v97 offset0:130 offset1:146
	ds_load_2addr_b64 v[52:55], v97 offset0:162 offset1:178
	;; [unrolled: 1-line block ×4, first 2 shown]
	ds_load_2addr_stride64_b64 v[64:67], v64 offset1:4
	v_dual_mov_b32 v128, 8 :: v_dual_mov_b32 v127, 16
	v_dual_mov_b32 v126, 24 :: v_dual_mov_b32 v125, 32
	;; [unrolled: 1-line block ×4, first 2 shown]
	v_mov_b32_e32 v120, 0x48
	v_mov_b32_e32 v119, 0x50
	;; [unrolled: 1-line block ×23, first 2 shown]
	s_mov_b64 s[6:7], 0
	s_mov_b32 s25, -1
.LBB191_63:                             ;   Parent Loop BB191_34 Depth=1
                                        ; =>  This Inner Loop Header: Depth=2
	scratch_load_b64 v[134:135], v129, off
	s_cmp_eq_u32 s6, 1
	s_waitcnt lgkmcnt(16)
	v_max_f64 v[132:133], v[0:1], v[0:1]
	s_cselect_b32 vcc_lo, -1, 0
	s_mov_b64 s[6:7], 1
	s_waitcnt lgkmcnt(0)
	v_dual_cndmask_b32 v131, v65, v67 :: v_dual_cndmask_b32 v130, v64, v66
	s_and_b32 vcc_lo, exec_lo, s25
	s_mov_b32 s25, 0
	s_delay_alu instid0(VALU_DEP_1) | instskip(NEXT) | instid1(VALU_DEP_1)
	v_max_f64 v[130:131], v[130:131], v[130:131]
	v_min_f64 v[132:133], v[132:133], v[130:131]
	s_waitcnt vmcnt(0)
	s_delay_alu instid0(VALU_DEP_1) | instskip(SKIP_3) | instid1(VALU_DEP_1)
	v_add_f64 v[132:133], v[134:135], v[132:133]
	scratch_load_b64 v[134:135], v128, off
	scratch_store_b64 v129, v[132:133], off
	v_max_f64 v[132:133], v[2:3], v[2:3]
	v_min_f64 v[132:133], v[132:133], v[130:131]
	s_waitcnt vmcnt(0)
	s_delay_alu instid0(VALU_DEP_1) | instskip(SKIP_3) | instid1(VALU_DEP_1)
	v_add_f64 v[132:133], v[132:133], v[134:135]
	scratch_store_b64 v128, v[132:133], off
	scratch_load_b64 v[132:133], v127, off
	v_max_f64 v[128:129], v[4:5], v[4:5]
	v_min_f64 v[128:129], v[128:129], v[130:131]
	s_waitcnt vmcnt(0)
	s_delay_alu instid0(VALU_DEP_1) | instskip(SKIP_3) | instid1(VALU_DEP_1)
	v_add_f64 v[128:129], v[128:129], v[132:133]
	scratch_load_b64 v[132:133], v126, off
	scratch_store_b64 v127, v[128:129], off
	v_max_f64 v[127:128], v[6:7], v[6:7]
	v_min_f64 v[127:128], v[127:128], v[130:131]
	s_waitcnt vmcnt(0)
	s_delay_alu instid0(VALU_DEP_1) | instskip(SKIP_3) | instid1(VALU_DEP_1)
	v_add_f64 v[127:128], v[127:128], v[132:133]
	scratch_store_b64 v126, v[127:128], off
	scratch_load_b64 v[128:129], v125, off
	v_max_f64 v[126:127], v[8:9], v[8:9]
	v_min_f64 v[126:127], v[126:127], v[130:131]
	s_waitcnt vmcnt(0)
	s_delay_alu instid0(VALU_DEP_1) | instskip(SKIP_4) | instid1(VALU_DEP_1)
	v_add_f64 v[126:127], v[126:127], v[128:129]
	v_mov_b32_e32 v129, 0x100
	scratch_store_b64 v125, v[126:127], off
	scratch_load_b64 v[127:128], v124, off
	v_max_f64 v[125:126], v[10:11], v[10:11]
	v_min_f64 v[125:126], v[125:126], v[130:131]
	s_waitcnt vmcnt(0)
	s_delay_alu instid0(VALU_DEP_1) | instskip(SKIP_4) | instid1(VALU_DEP_1)
	v_add_f64 v[125:126], v[125:126], v[127:128]
	v_mov_b32_e32 v128, 0x108
	;; [unrolled: 8-line block ×27, first 2 shown]
	scratch_store_b64 v99, v[100:101], off
	scratch_load_b64 v[101:102], v98, off
	v_max_f64 v[99:100], v[62:63], v[62:63]
	v_min_f64 v[99:100], v[99:100], v[130:131]
	s_waitcnt vmcnt(0)
	s_delay_alu instid0(VALU_DEP_1)
	v_add_f64 v[99:100], v[99:100], v[101:102]
	v_mov_b32_e32 v102, 0x1d8
	v_mov_b32_e32 v101, 0x1e0
	scratch_store_b64 v98, v[99:100], off
	v_mov_b32_e32 v100, 0x1e8
	v_mov_b32_e32 v99, 0x1f0
	;; [unrolled: 1-line block ×3, first 2 shown]
	s_cbranch_vccnz .LBB191_63
; %bb.64:                               ;   in Loop: Header=BB191_34 Depth=1
	ds_load_2addr_b64 v[0:3], v87 offset0:3 offset1:19
	ds_load_2addr_b64 v[4:7], v87 offset0:35 offset1:51
	;; [unrolled: 1-line block ×12, first 2 shown]
	v_dual_mov_b32 v127, 8 :: v_dual_add_nc_u32 v64, 24, v91
	ds_load_2addr_b64 v[48:51], v97 offset0:131 offset1:147
	ds_load_2addr_b64 v[52:55], v97 offset0:163 offset1:179
	;; [unrolled: 1-line block ×4, first 2 shown]
	ds_load_2addr_stride64_b64 v[64:67], v64 offset1:4
	v_dual_mov_b32 v128, 0 :: v_dual_mov_b32 v125, 24
	v_dual_mov_b32 v126, 16 :: v_dual_mov_b32 v123, 40
	;; [unrolled: 1-line block ×5, first 2 shown]
	v_mov_b32_e32 v118, 0x50
	v_mov_b32_e32 v116, 0x60
	;; [unrolled: 1-line block ×21, first 2 shown]
	s_mov_b64 s[6:7], 0
	s_mov_b32 s25, -1
.LBB191_65:                             ;   Parent Loop BB191_34 Depth=1
                                        ; =>  This Inner Loop Header: Depth=2
	scratch_load_b64 v[133:134], v128, off
	s_cmp_eq_u32 s6, 1
	s_waitcnt lgkmcnt(16)
	v_max_f64 v[131:132], v[0:1], v[0:1]
	s_cselect_b32 vcc_lo, -1, 0
	s_mov_b64 s[6:7], 1
	s_waitcnt lgkmcnt(0)
	v_dual_cndmask_b32 v130, v65, v67 :: v_dual_cndmask_b32 v129, v64, v66
	s_and_b32 vcc_lo, exec_lo, s25
	s_mov_b32 s25, 0
	s_delay_alu instid0(VALU_DEP_1) | instskip(NEXT) | instid1(VALU_DEP_1)
	v_max_f64 v[129:130], v[129:130], v[129:130]
	v_min_f64 v[131:132], v[131:132], v[129:130]
	s_waitcnt vmcnt(0)
	s_delay_alu instid0(VALU_DEP_1) | instskip(SKIP_3) | instid1(VALU_DEP_1)
	v_add_f64 v[131:132], v[133:134], v[131:132]
	scratch_load_b64 v[133:134], v127, off
	scratch_store_b64 v128, v[131:132], off
	v_max_f64 v[131:132], v[2:3], v[2:3]
	v_min_f64 v[131:132], v[131:132], v[129:130]
	s_waitcnt vmcnt(0)
	s_delay_alu instid0(VALU_DEP_1) | instskip(SKIP_3) | instid1(VALU_DEP_1)
	v_add_f64 v[131:132], v[131:132], v[133:134]
	scratch_store_b64 v127, v[131:132], off
	scratch_load_b64 v[131:132], v126, off
	v_max_f64 v[127:128], v[4:5], v[4:5]
	v_min_f64 v[127:128], v[127:128], v[129:130]
	s_waitcnt vmcnt(0)
	s_delay_alu instid0(VALU_DEP_1) | instskip(SKIP_3) | instid1(VALU_DEP_1)
	v_add_f64 v[127:128], v[127:128], v[131:132]
	scratch_load_b64 v[131:132], v125, off
	scratch_store_b64 v126, v[127:128], off
	v_max_f64 v[126:127], v[6:7], v[6:7]
	v_min_f64 v[126:127], v[126:127], v[129:130]
	s_waitcnt vmcnt(0)
	s_delay_alu instid0(VALU_DEP_1) | instskip(SKIP_3) | instid1(VALU_DEP_1)
	v_add_f64 v[126:127], v[126:127], v[131:132]
	scratch_store_b64 v125, v[126:127], off
	scratch_load_b64 v[127:128], v124, off
	v_max_f64 v[125:126], v[8:9], v[8:9]
	v_min_f64 v[125:126], v[125:126], v[129:130]
	s_waitcnt vmcnt(0)
	s_delay_alu instid0(VALU_DEP_1) | instskip(SKIP_4) | instid1(VALU_DEP_1)
	v_add_f64 v[125:126], v[125:126], v[127:128]
	v_mov_b32_e32 v128, 0x100
	scratch_store_b64 v124, v[125:126], off
	scratch_load_b64 v[126:127], v123, off
	v_max_f64 v[124:125], v[10:11], v[10:11]
	v_min_f64 v[124:125], v[124:125], v[129:130]
	s_waitcnt vmcnt(0)
	s_delay_alu instid0(VALU_DEP_1) | instskip(SKIP_4) | instid1(VALU_DEP_1)
	v_add_f64 v[124:125], v[124:125], v[126:127]
	v_mov_b32_e32 v127, 0x108
	scratch_store_b64 v123, v[124:125], off
	scratch_load_b64 v[125:126], v122, off
	v_max_f64 v[123:124], v[12:13], v[12:13]
	v_min_f64 v[123:124], v[123:124], v[129:130]
	s_waitcnt vmcnt(0)
	s_delay_alu instid0(VALU_DEP_1) | instskip(SKIP_4) | instid1(VALU_DEP_1)
	v_add_f64 v[123:124], v[123:124], v[125:126]
	v_mov_b32_e32 v126, 0x110
	scratch_store_b64 v122, v[123:124], off
	scratch_load_b64 v[124:125], v121, off
	v_max_f64 v[122:123], v[14:15], v[14:15]
	v_min_f64 v[122:123], v[122:123], v[129:130]
	s_waitcnt vmcnt(0)
	s_delay_alu instid0(VALU_DEP_1) | instskip(SKIP_4) | instid1(VALU_DEP_1)
	v_add_f64 v[122:123], v[122:123], v[124:125]
	v_mov_b32_e32 v125, 0x118
	scratch_store_b64 v121, v[122:123], off
	scratch_load_b64 v[123:124], v120, off
	v_max_f64 v[121:122], v[16:17], v[16:17]
	v_min_f64 v[121:122], v[121:122], v[129:130]
	s_waitcnt vmcnt(0)
	s_delay_alu instid0(VALU_DEP_1) | instskip(SKIP_4) | instid1(VALU_DEP_1)
	v_add_f64 v[121:122], v[121:122], v[123:124]
	v_mov_b32_e32 v124, 0x120
	scratch_store_b64 v120, v[121:122], off
	scratch_load_b64 v[122:123], v119, off
	v_max_f64 v[120:121], v[18:19], v[18:19]
	v_min_f64 v[120:121], v[120:121], v[129:130]
	s_waitcnt vmcnt(0)
	s_delay_alu instid0(VALU_DEP_1) | instskip(SKIP_4) | instid1(VALU_DEP_1)
	v_add_f64 v[120:121], v[120:121], v[122:123]
	v_mov_b32_e32 v123, 0x128
	scratch_store_b64 v119, v[120:121], off
	scratch_load_b64 v[121:122], v118, off
	v_max_f64 v[119:120], v[20:21], v[20:21]
	v_min_f64 v[119:120], v[119:120], v[129:130]
	s_waitcnt vmcnt(0)
	s_delay_alu instid0(VALU_DEP_1) | instskip(SKIP_4) | instid1(VALU_DEP_1)
	v_add_f64 v[119:120], v[119:120], v[121:122]
	v_mov_b32_e32 v122, 0x130
	scratch_store_b64 v118, v[119:120], off
	scratch_load_b64 v[120:121], v117, off
	v_max_f64 v[118:119], v[22:23], v[22:23]
	v_min_f64 v[118:119], v[118:119], v[129:130]
	s_waitcnt vmcnt(0)
	s_delay_alu instid0(VALU_DEP_1) | instskip(SKIP_4) | instid1(VALU_DEP_1)
	v_add_f64 v[118:119], v[118:119], v[120:121]
	v_mov_b32_e32 v121, 0x138
	scratch_store_b64 v117, v[118:119], off
	scratch_load_b64 v[119:120], v116, off
	v_max_f64 v[117:118], v[24:25], v[24:25]
	v_min_f64 v[117:118], v[117:118], v[129:130]
	s_waitcnt vmcnt(0)
	s_delay_alu instid0(VALU_DEP_1) | instskip(SKIP_4) | instid1(VALU_DEP_1)
	v_add_f64 v[117:118], v[117:118], v[119:120]
	v_mov_b32_e32 v120, 0x140
	scratch_store_b64 v116, v[117:118], off
	scratch_load_b64 v[118:119], v115, off
	v_max_f64 v[116:117], v[26:27], v[26:27]
	v_min_f64 v[116:117], v[116:117], v[129:130]
	s_waitcnt vmcnt(0)
	s_delay_alu instid0(VALU_DEP_1) | instskip(SKIP_4) | instid1(VALU_DEP_1)
	v_add_f64 v[116:117], v[116:117], v[118:119]
	v_mov_b32_e32 v119, 0x148
	scratch_store_b64 v115, v[116:117], off
	scratch_load_b64 v[117:118], v114, off
	v_max_f64 v[115:116], v[28:29], v[28:29]
	v_min_f64 v[115:116], v[115:116], v[129:130]
	s_waitcnt vmcnt(0)
	s_delay_alu instid0(VALU_DEP_1) | instskip(SKIP_4) | instid1(VALU_DEP_1)
	v_add_f64 v[115:116], v[115:116], v[117:118]
	v_mov_b32_e32 v118, 0x150
	scratch_store_b64 v114, v[115:116], off
	scratch_load_b64 v[116:117], v113, off
	v_max_f64 v[114:115], v[30:31], v[30:31]
	v_min_f64 v[114:115], v[114:115], v[129:130]
	s_waitcnt vmcnt(0)
	s_delay_alu instid0(VALU_DEP_1) | instskip(SKIP_4) | instid1(VALU_DEP_1)
	v_add_f64 v[114:115], v[114:115], v[116:117]
	v_mov_b32_e32 v117, 0x158
	scratch_store_b64 v113, v[114:115], off
	scratch_load_b64 v[115:116], v112, off
	v_max_f64 v[113:114], v[32:33], v[32:33]
	v_min_f64 v[113:114], v[113:114], v[129:130]
	s_waitcnt vmcnt(0)
	s_delay_alu instid0(VALU_DEP_1) | instskip(SKIP_4) | instid1(VALU_DEP_1)
	v_add_f64 v[113:114], v[113:114], v[115:116]
	v_mov_b32_e32 v116, 0x160
	scratch_store_b64 v112, v[113:114], off
	scratch_load_b64 v[114:115], v111, off
	v_max_f64 v[112:113], v[34:35], v[34:35]
	v_min_f64 v[112:113], v[112:113], v[129:130]
	s_waitcnt vmcnt(0)
	s_delay_alu instid0(VALU_DEP_1) | instskip(SKIP_4) | instid1(VALU_DEP_1)
	v_add_f64 v[112:113], v[112:113], v[114:115]
	v_mov_b32_e32 v115, 0x168
	scratch_store_b64 v111, v[112:113], off
	scratch_load_b64 v[113:114], v110, off
	v_max_f64 v[111:112], v[36:37], v[36:37]
	v_min_f64 v[111:112], v[111:112], v[129:130]
	s_waitcnt vmcnt(0)
	s_delay_alu instid0(VALU_DEP_1) | instskip(SKIP_4) | instid1(VALU_DEP_1)
	v_add_f64 v[111:112], v[111:112], v[113:114]
	v_mov_b32_e32 v114, 0x170
	scratch_store_b64 v110, v[111:112], off
	scratch_load_b64 v[112:113], v109, off
	v_max_f64 v[110:111], v[38:39], v[38:39]
	v_min_f64 v[110:111], v[110:111], v[129:130]
	s_waitcnt vmcnt(0)
	s_delay_alu instid0(VALU_DEP_1) | instskip(SKIP_4) | instid1(VALU_DEP_1)
	v_add_f64 v[110:111], v[110:111], v[112:113]
	v_mov_b32_e32 v113, 0x178
	scratch_store_b64 v109, v[110:111], off
	scratch_load_b64 v[111:112], v108, off
	v_max_f64 v[109:110], v[40:41], v[40:41]
	v_min_f64 v[109:110], v[109:110], v[129:130]
	s_waitcnt vmcnt(0)
	s_delay_alu instid0(VALU_DEP_1) | instskip(SKIP_4) | instid1(VALU_DEP_1)
	v_add_f64 v[109:110], v[109:110], v[111:112]
	v_mov_b32_e32 v112, 0x180
	scratch_store_b64 v108, v[109:110], off
	scratch_load_b64 v[110:111], v107, off
	v_max_f64 v[108:109], v[42:43], v[42:43]
	v_min_f64 v[108:109], v[108:109], v[129:130]
	s_waitcnt vmcnt(0)
	s_delay_alu instid0(VALU_DEP_1) | instskip(SKIP_4) | instid1(VALU_DEP_1)
	v_add_f64 v[108:109], v[108:109], v[110:111]
	v_mov_b32_e32 v111, 0x188
	scratch_store_b64 v107, v[108:109], off
	scratch_load_b64 v[109:110], v106, off
	v_max_f64 v[107:108], v[44:45], v[44:45]
	v_min_f64 v[107:108], v[107:108], v[129:130]
	s_waitcnt vmcnt(0)
	s_delay_alu instid0(VALU_DEP_1) | instskip(SKIP_4) | instid1(VALU_DEP_1)
	v_add_f64 v[107:108], v[107:108], v[109:110]
	v_mov_b32_e32 v110, 0x190
	scratch_store_b64 v106, v[107:108], off
	scratch_load_b64 v[108:109], v105, off
	v_max_f64 v[106:107], v[46:47], v[46:47]
	v_min_f64 v[106:107], v[106:107], v[129:130]
	s_waitcnt vmcnt(0)
	s_delay_alu instid0(VALU_DEP_1) | instskip(SKIP_4) | instid1(VALU_DEP_1)
	v_add_f64 v[106:107], v[106:107], v[108:109]
	v_mov_b32_e32 v109, 0x198
	scratch_store_b64 v105, v[106:107], off
	scratch_load_b64 v[107:108], v104, off
	v_max_f64 v[105:106], v[48:49], v[48:49]
	v_min_f64 v[105:106], v[105:106], v[129:130]
	s_waitcnt vmcnt(0)
	s_delay_alu instid0(VALU_DEP_1) | instskip(SKIP_4) | instid1(VALU_DEP_1)
	v_add_f64 v[105:106], v[105:106], v[107:108]
	v_mov_b32_e32 v108, 0x1a0
	scratch_store_b64 v104, v[105:106], off
	scratch_load_b64 v[106:107], v103, off
	v_max_f64 v[104:105], v[50:51], v[50:51]
	v_min_f64 v[104:105], v[104:105], v[129:130]
	s_waitcnt vmcnt(0)
	s_delay_alu instid0(VALU_DEP_1) | instskip(SKIP_4) | instid1(VALU_DEP_1)
	v_add_f64 v[104:105], v[104:105], v[106:107]
	v_mov_b32_e32 v107, 0x1a8
	scratch_store_b64 v103, v[104:105], off
	scratch_load_b64 v[105:106], v102, off
	v_max_f64 v[103:104], v[52:53], v[52:53]
	v_min_f64 v[103:104], v[103:104], v[129:130]
	s_waitcnt vmcnt(0)
	s_delay_alu instid0(VALU_DEP_1) | instskip(SKIP_4) | instid1(VALU_DEP_1)
	v_add_f64 v[103:104], v[103:104], v[105:106]
	v_mov_b32_e32 v106, 0x1b0
	scratch_store_b64 v102, v[103:104], off
	scratch_load_b64 v[104:105], v101, off
	v_max_f64 v[102:103], v[54:55], v[54:55]
	v_min_f64 v[102:103], v[102:103], v[129:130]
	s_waitcnt vmcnt(0)
	s_delay_alu instid0(VALU_DEP_1) | instskip(SKIP_4) | instid1(VALU_DEP_1)
	v_add_f64 v[102:103], v[102:103], v[104:105]
	v_mov_b32_e32 v105, 0x1b8
	scratch_store_b64 v101, v[102:103], off
	scratch_load_b64 v[103:104], v100, off
	v_max_f64 v[101:102], v[56:57], v[56:57]
	v_min_f64 v[101:102], v[101:102], v[129:130]
	s_waitcnt vmcnt(0)
	s_delay_alu instid0(VALU_DEP_1) | instskip(SKIP_4) | instid1(VALU_DEP_1)
	v_add_f64 v[101:102], v[101:102], v[103:104]
	v_mov_b32_e32 v104, 0x1c0
	scratch_store_b64 v100, v[101:102], off
	scratch_load_b64 v[102:103], v99, off
	v_max_f64 v[100:101], v[58:59], v[58:59]
	v_min_f64 v[100:101], v[100:101], v[129:130]
	s_waitcnt vmcnt(0)
	s_delay_alu instid0(VALU_DEP_1) | instskip(SKIP_4) | instid1(VALU_DEP_1)
	v_add_f64 v[100:101], v[100:101], v[102:103]
	v_mov_b32_e32 v103, 0x1c8
	scratch_store_b64 v99, v[100:101], off
	scratch_load_b64 v[101:102], v98, off
	v_max_f64 v[99:100], v[60:61], v[60:61]
	v_min_f64 v[99:100], v[99:100], v[129:130]
	s_waitcnt vmcnt(0)
	s_delay_alu instid0(VALU_DEP_1) | instskip(SKIP_4) | instid1(VALU_DEP_1)
	v_add_f64 v[99:100], v[99:100], v[101:102]
	v_mov_b32_e32 v102, 0x1d0
	scratch_store_b64 v98, v[99:100], off
	scratch_load_b64 v[100:101], v97, off
	v_max_f64 v[98:99], v[62:63], v[62:63]
	v_min_f64 v[98:99], v[98:99], v[129:130]
	s_waitcnt vmcnt(0)
	s_delay_alu instid0(VALU_DEP_1)
	v_add_f64 v[98:99], v[98:99], v[100:101]
	v_mov_b32_e32 v101, 0x1d8
	v_mov_b32_e32 v100, 0x1e0
	scratch_store_b64 v97, v[98:99], off
	v_mov_b32_e32 v99, 0x1e8
	v_mov_b32_e32 v98, 0x1f0
	;; [unrolled: 1-line block ×3, first 2 shown]
	s_cbranch_vccnz .LBB191_65
; %bb.66:                               ;   in Loop: Header=BB191_34 Depth=1
	s_add_i32 s24, s24, 8
	s_add_i32 s22, s22, 8
	s_cmp_ge_i32 s24, s23
	ds_store_2addr_stride64_b64 v92, v[78:79], v[76:77] offset1:4
	ds_store_2addr_stride64_b64 v93, v[82:83], v[80:81] offset1:4
	s_waitcnt lgkmcnt(0)
	s_waitcnt_vscnt null, 0x0
	s_barrier
	buffer_gl0_inv
	s_cbranch_scc0 .LBB191_34
.LBB191_67:
	v_dual_mov_b32 v71, 8 :: v_dual_add_nc_u32 v28, 0x1000, v87
	v_dual_mov_b32 v75, 40 :: v_dual_add_nc_u32 v60, 0x1800, v87
	;; [unrolled: 1-line block ×3, first 2 shown]
	ds_load_2addr_b64 v[0:3], v28 offset1:16
	ds_load_2addr_b64 v[4:7], v28 offset0:32 offset1:48
	ds_load_2addr_b64 v[8:11], v28 offset0:64 offset1:80
	;; [unrolled: 1-line block ×7, first 2 shown]
	ds_load_2addr_b64 v[32:35], v60 offset1:16
	ds_load_2addr_b64 v[36:39], v60 offset0:32 offset1:48
	ds_load_2addr_b64 v[40:43], v60 offset0:64 offset1:80
	;; [unrolled: 1-line block ×7, first 2 shown]
	ds_load_2addr_stride64_b64 v[64:67], v89 offset0:24 offset1:28
	v_dual_mov_b32 v70, 0 :: v_dual_add_nc_u32 v69, 0x3000, v89
	v_dual_mov_b32 v72, 16 :: v_dual_mov_b32 v77, 56
	v_dual_mov_b32 v74, 32 :: v_dual_mov_b32 v79, 0x48
	v_dual_mov_b32 v76, 48 :: v_dual_mov_b32 v81, 0x58
	v_dual_mov_b32 v78, 64 :: v_dual_mov_b32 v83, 0x68
	v_mov_b32_e32 v80, 0x50
	v_mov_b32_e32 v82, 0x60
	;; [unrolled: 1-line block ×20, first 2 shown]
	s_mov_b64 s[2:3], 0
	s_mov_b32 s4, -1
.LBB191_68:                             ; =>This Inner Loop Header: Depth=1
	scratch_load_b64 v[104:105], v70, off
	scratch_load_b64 v[106:107], v71, off
	;; [unrolled: 1-line block ×32, first 2 shown]
	s_cmp_eq_u32 s2, 1
	s_waitcnt lgkmcnt(16)
	v_max_f64 v[170:171], v[0:1], v[0:1]
	s_cselect_b32 vcc_lo, -1, 0
	v_max_f64 v[172:173], v[2:3], v[2:3]
	s_waitcnt lgkmcnt(0)
	v_dual_cndmask_b32 v169, v65, v67 :: v_dual_cndmask_b32 v168, v64, v66
	v_max_f64 v[174:175], v[4:5], v[4:5]
	v_max_f64 v[176:177], v[6:7], v[6:7]
	;; [unrolled: 1-line block ×31, first 2 shown]
	s_mov_b64 s[2:3], 1
	s_and_b32 vcc_lo, exec_lo, s4
	s_mov_b32 s4, 0
	v_min_f64 v[170:171], v[170:171], v[168:169]
	v_min_f64 v[172:173], v[172:173], v[168:169]
	;; [unrolled: 1-line block ×32, first 2 shown]
	s_waitcnt vmcnt(31)
	v_add_f64 v[104:105], v[104:105], v[170:171]
	s_waitcnt vmcnt(30)
	v_add_f64 v[106:107], v[172:173], v[106:107]
	;; [unrolled: 2-line block ×32, first 2 shown]
	scratch_store_b64 v70, v[104:105], off
	scratch_store_b64 v71, v[106:107], off
	scratch_store_b64 v72, v[108:109], off
	scratch_store_b64 v73, v[110:111], off
	scratch_store_b64 v74, v[112:113], off
	scratch_store_b64 v75, v[114:115], off
	scratch_store_b64 v76, v[116:117], off
	scratch_store_b64 v77, v[118:119], off
	scratch_store_b64 v78, v[120:121], off
	scratch_store_b64 v79, v[122:123], off
	scratch_store_b64 v80, v[124:125], off
	scratch_store_b64 v81, v[126:127], off
	scratch_store_b64 v82, v[128:129], off
	scratch_store_b64 v83, v[130:131], off
	scratch_store_b64 v86, v[132:133], off
	scratch_store_b64 v87, v[134:135], off
	scratch_store_b64 v88, v[136:137], off
	scratch_store_b64 v89, v[138:139], off
	scratch_store_b64 v90, v[140:141], off
	scratch_store_b64 v91, v[142:143], off
	scratch_store_b64 v92, v[144:145], off
	scratch_store_b64 v93, v[146:147], off
	scratch_store_b64 v94, v[148:149], off
	scratch_store_b64 v95, v[150:151], off
	scratch_store_b64 v96, v[152:153], off
	scratch_store_b64 v97, v[154:155], off
	scratch_store_b64 v98, v[156:157], off
	scratch_store_b64 v99, v[158:159], off
	scratch_store_b64 v100, v[160:161], off
	scratch_store_b64 v101, v[162:163], off
	scratch_store_b64 v102, v[164:165], off
	scratch_store_b64 v103, v[166:167], off
	v_mov_b32_e32 v70, 0x100
	v_mov_b32_e32 v71, 0x108
	v_mov_b32_e32 v72, 0x110
	v_mov_b32_e32 v73, 0x118
	v_mov_b32_e32 v74, 0x120
	v_mov_b32_e32 v75, 0x128
	v_mov_b32_e32 v76, 0x130
	v_mov_b32_e32 v77, 0x138
	v_mov_b32_e32 v78, 0x140
	v_mov_b32_e32 v79, 0x148
	v_mov_b32_e32 v80, 0x150
	v_mov_b32_e32 v81, 0x158
	v_mov_b32_e32 v82, 0x160
	v_mov_b32_e32 v83, 0x168
	v_mov_b32_e32 v86, 0x170
	v_mov_b32_e32 v87, 0x178
	v_mov_b32_e32 v88, 0x180
	v_mov_b32_e32 v89, 0x188
	v_mov_b32_e32 v90, 0x190
	v_mov_b32_e32 v91, 0x198
	v_mov_b32_e32 v92, 0x1a0
	v_mov_b32_e32 v93, 0x1a8
	v_mov_b32_e32 v94, 0x1b0
	v_mov_b32_e32 v95, 0x1b8
	v_mov_b32_e32 v96, 0x1c0
	v_mov_b32_e32 v97, 0x1c8
	v_mov_b32_e32 v98, 0x1d0
	v_mov_b32_e32 v99, 0x1d8
	v_mov_b32_e32 v100, 0x1e0
	v_mov_b32_e32 v101, 0x1e8
	v_mov_b32_e32 v102, 0x1f0
	v_mov_b32_e32 v103, 0x1f8
	s_cbranch_vccnz .LBB191_68
; %bb.69:
	v_dual_mov_b32 v71, 8 :: v_dual_add_nc_u32 v60, 0x800, v68
	ds_load_2addr_b64 v[0:3], v68 offset0:1 offset1:17
	ds_load_2addr_b64 v[4:7], v68 offset0:33 offset1:49
	;; [unrolled: 1-line block ×12, first 2 shown]
	v_dual_mov_b32 v73, 24 :: v_dual_add_nc_u32 v64, 8, v69
	ds_load_2addr_b64 v[48:51], v60 offset0:129 offset1:145
	ds_load_2addr_b64 v[52:55], v60 offset0:161 offset1:177
	;; [unrolled: 1-line block ×4, first 2 shown]
	ds_load_2addr_stride64_b64 v[64:67], v64 offset1:4
	v_dual_mov_b32 v70, 0 :: v_dual_mov_b32 v75, 40
	v_dual_mov_b32 v72, 16 :: v_dual_mov_b32 v77, 56
	;; [unrolled: 1-line block ×5, first 2 shown]
	v_mov_b32_e32 v80, 0x50
	v_mov_b32_e32 v82, 0x60
	;; [unrolled: 1-line block ×20, first 2 shown]
	s_mov_b64 s[2:3], 0
	s_mov_b32 s4, -1
.LBB191_70:                             ; =>This Inner Loop Header: Depth=1
	scratch_load_b64 v[104:105], v70, off
	scratch_load_b64 v[106:107], v71, off
	;; [unrolled: 1-line block ×32, first 2 shown]
	s_cmp_eq_u32 s2, 1
	s_waitcnt lgkmcnt(16)
	v_max_f64 v[170:171], v[0:1], v[0:1]
	s_cselect_b32 vcc_lo, -1, 0
	v_max_f64 v[172:173], v[2:3], v[2:3]
	s_waitcnt lgkmcnt(0)
	v_dual_cndmask_b32 v169, v65, v67 :: v_dual_cndmask_b32 v168, v64, v66
	v_max_f64 v[174:175], v[4:5], v[4:5]
	v_max_f64 v[176:177], v[6:7], v[6:7]
	;; [unrolled: 1-line block ×31, first 2 shown]
	s_mov_b64 s[2:3], 1
	s_and_b32 vcc_lo, exec_lo, s4
	s_mov_b32 s4, 0
	v_min_f64 v[170:171], v[170:171], v[168:169]
	v_min_f64 v[172:173], v[172:173], v[168:169]
	;; [unrolled: 1-line block ×32, first 2 shown]
	s_waitcnt vmcnt(31)
	v_add_f64 v[104:105], v[104:105], v[170:171]
	s_waitcnt vmcnt(30)
	v_add_f64 v[106:107], v[172:173], v[106:107]
	;; [unrolled: 2-line block ×32, first 2 shown]
	scratch_store_b64 v70, v[104:105], off
	scratch_store_b64 v71, v[106:107], off
	;; [unrolled: 1-line block ×32, first 2 shown]
	v_mov_b32_e32 v70, 0x100
	v_mov_b32_e32 v71, 0x108
	;; [unrolled: 1-line block ×32, first 2 shown]
	s_cbranch_vccnz .LBB191_70
; %bb.71:
	v_dual_mov_b32 v71, 8 :: v_dual_add_nc_u32 v60, 0x800, v68
	ds_load_2addr_b64 v[0:3], v68 offset0:2 offset1:18
	ds_load_2addr_b64 v[4:7], v68 offset0:34 offset1:50
	;; [unrolled: 1-line block ×12, first 2 shown]
	v_dual_mov_b32 v73, 24 :: v_dual_add_nc_u32 v64, 16, v69
	ds_load_2addr_b64 v[48:51], v60 offset0:130 offset1:146
	ds_load_2addr_b64 v[52:55], v60 offset0:162 offset1:178
	;; [unrolled: 1-line block ×4, first 2 shown]
	ds_load_2addr_stride64_b64 v[64:67], v64 offset1:4
	v_dual_mov_b32 v70, 0 :: v_dual_mov_b32 v75, 40
	v_dual_mov_b32 v72, 16 :: v_dual_mov_b32 v77, 56
	;; [unrolled: 1-line block ×5, first 2 shown]
	v_mov_b32_e32 v80, 0x50
	v_mov_b32_e32 v82, 0x60
	;; [unrolled: 1-line block ×20, first 2 shown]
	s_mov_b64 s[2:3], 0
	s_mov_b32 s4, -1
.LBB191_72:                             ; =>This Inner Loop Header: Depth=1
	scratch_load_b64 v[104:105], v70, off
	scratch_load_b64 v[106:107], v71, off
	;; [unrolled: 1-line block ×32, first 2 shown]
	s_cmp_eq_u32 s2, 1
	s_waitcnt lgkmcnt(16)
	v_max_f64 v[170:171], v[0:1], v[0:1]
	s_cselect_b32 vcc_lo, -1, 0
	v_max_f64 v[172:173], v[2:3], v[2:3]
	s_waitcnt lgkmcnt(0)
	v_dual_cndmask_b32 v169, v65, v67 :: v_dual_cndmask_b32 v168, v64, v66
	v_max_f64 v[174:175], v[4:5], v[4:5]
	v_max_f64 v[176:177], v[6:7], v[6:7]
	;; [unrolled: 1-line block ×31, first 2 shown]
	s_mov_b64 s[2:3], 1
	s_and_b32 vcc_lo, exec_lo, s4
	s_mov_b32 s4, 0
	v_min_f64 v[170:171], v[170:171], v[168:169]
	v_min_f64 v[172:173], v[172:173], v[168:169]
	;; [unrolled: 1-line block ×32, first 2 shown]
	s_waitcnt vmcnt(31)
	v_add_f64 v[104:105], v[104:105], v[170:171]
	s_waitcnt vmcnt(30)
	v_add_f64 v[106:107], v[172:173], v[106:107]
	;; [unrolled: 2-line block ×32, first 2 shown]
	scratch_store_b64 v70, v[104:105], off
	scratch_store_b64 v71, v[106:107], off
	;; [unrolled: 1-line block ×32, first 2 shown]
	v_mov_b32_e32 v70, 0x100
	v_mov_b32_e32 v71, 0x108
	;; [unrolled: 1-line block ×32, first 2 shown]
	s_cbranch_vccnz .LBB191_72
; %bb.73:
	v_add_nc_u32_e32 v60, 0x800, v68
	ds_load_2addr_b64 v[0:3], v68 offset0:3 offset1:19
	ds_load_2addr_b64 v[4:7], v68 offset0:35 offset1:51
	;; [unrolled: 1-line block ×4, first 2 shown]
	v_dual_mov_b32 v71, 24 :: v_dual_add_nc_u32 v64, 24, v69
	v_mov_b32_e32 v69, 8
	ds_load_2addr_b64 v[16:19], v68 offset0:131 offset1:147
	ds_load_2addr_b64 v[20:23], v68 offset0:163 offset1:179
	;; [unrolled: 1-line block ×12, first 2 shown]
	ds_load_2addr_stride64_b64 v[64:67], v64 offset1:4
	v_dual_mov_b32 v68, 0 :: v_dual_mov_b32 v73, 40
	v_dual_mov_b32 v70, 16 :: v_dual_mov_b32 v75, 56
	;; [unrolled: 1-line block ×5, first 2 shown]
	v_mov_b32_e32 v78, 0x50
	v_mov_b32_e32 v80, 0x60
	;; [unrolled: 1-line block ×20, first 2 shown]
	s_mov_b64 s[2:3], 0
	s_mov_b32 s4, -1
.LBB191_74:                             ; =>This Inner Loop Header: Depth=1
	scratch_load_b64 v[102:103], v68, off
	scratch_load_b64 v[104:105], v69, off
	;; [unrolled: 1-line block ×32, first 2 shown]
	s_cmp_eq_u32 s2, 1
	s_waitcnt lgkmcnt(16)
	v_max_f64 v[168:169], v[0:1], v[0:1]
	s_cselect_b32 vcc_lo, -1, 0
	v_max_f64 v[170:171], v[2:3], v[2:3]
	s_waitcnt lgkmcnt(0)
	v_dual_cndmask_b32 v167, v65, v67 :: v_dual_cndmask_b32 v166, v64, v66
	v_max_f64 v[172:173], v[4:5], v[4:5]
	v_max_f64 v[174:175], v[6:7], v[6:7]
	v_max_f64 v[176:177], v[8:9], v[8:9]
	v_max_f64 v[178:179], v[10:11], v[10:11]
	v_max_f64 v[166:167], v[166:167], v[166:167]
	v_max_f64 v[180:181], v[12:13], v[12:13]
	v_max_f64 v[182:183], v[14:15], v[14:15]
	v_max_f64 v[184:185], v[16:17], v[16:17]
	v_max_f64 v[186:187], v[18:19], v[18:19]
	v_max_f64 v[188:189], v[20:21], v[20:21]
	v_max_f64 v[190:191], v[22:23], v[22:23]
	v_max_f64 v[192:193], v[24:25], v[24:25]
	v_max_f64 v[194:195], v[26:27], v[26:27]
	v_max_f64 v[196:197], v[28:29], v[28:29]
	v_max_f64 v[198:199], v[30:31], v[30:31]
	v_max_f64 v[200:201], v[32:33], v[32:33]
	v_max_f64 v[202:203], v[34:35], v[34:35]
	v_max_f64 v[204:205], v[36:37], v[36:37]
	v_max_f64 v[206:207], v[38:39], v[38:39]
	v_max_f64 v[208:209], v[40:41], v[40:41]
	v_max_f64 v[210:211], v[42:43], v[42:43]
	v_max_f64 v[212:213], v[44:45], v[44:45]
	v_max_f64 v[214:215], v[46:47], v[46:47]
	v_max_f64 v[216:217], v[48:49], v[48:49]
	v_max_f64 v[218:219], v[50:51], v[50:51]
	v_max_f64 v[220:221], v[52:53], v[52:53]
	v_max_f64 v[222:223], v[54:55], v[54:55]
	v_max_f64 v[224:225], v[56:57], v[56:57]
	v_max_f64 v[226:227], v[58:59], v[58:59]
	v_max_f64 v[228:229], v[60:61], v[60:61]
	v_max_f64 v[230:231], v[62:63], v[62:63]
	s_mov_b64 s[2:3], 1
	s_and_b32 vcc_lo, exec_lo, s4
	s_mov_b32 s4, 0
	v_min_f64 v[168:169], v[168:169], v[166:167]
	v_min_f64 v[170:171], v[170:171], v[166:167]
	;; [unrolled: 1-line block ×32, first 2 shown]
	s_waitcnt vmcnt(31)
	v_add_f64 v[102:103], v[102:103], v[168:169]
	s_waitcnt vmcnt(30)
	v_add_f64 v[104:105], v[170:171], v[104:105]
	;; [unrolled: 2-line block ×32, first 2 shown]
	scratch_store_b64 v68, v[102:103], off
	scratch_store_b64 v69, v[104:105], off
	;; [unrolled: 1-line block ×32, first 2 shown]
	v_mov_b32_e32 v68, 0x100
	v_mov_b32_e32 v69, 0x108
	;; [unrolled: 1-line block ×32, first 2 shown]
	s_cbranch_vccnz .LBB191_74
; %bb.75:
	s_clause 0x2
	s_load_b64 s[2:3], s[0:1], 0x78
	s_load_b32 s42, s[0:1], 0x58
	s_load_b32 s37, s[0:1], 0x70
	v_add_nc_u32_e32 v71, s9, v85
	v_add_nc_u32_e32 v0, s8, v84
	v_cndmask_b32_e64 v70, 0, 1, s36
	s_delay_alu instid0(VALU_DEP_3)
	v_cmp_gt_i32_e64 s8, s41, v71
	s_waitcnt lgkmcnt(0)
	s_mul_i32 s0, s15, s3
	v_mad_i64_i32 v[1:2], null, v71, s42, 0
	v_mad_i64_i32 v[3:4], null, v71, s37, 0
	s_mul_hi_u32 s1, s15, s2
	s_mul_i32 s3, s20, s2
	s_add_i32 s0, s1, s0
	s_mul_i32 s2, s15, s2
	s_delay_alu instid0(VALU_DEP_2) | instskip(SKIP_1) | instid1(VALU_DEP_2)
	v_lshlrev_b64 v[5:6], 3, v[1:2]
	s_add_i32 s3, s0, s3
	v_lshlrev_b64 v[2:3], 3, v[3:4]
	s_lshl_b64 s[2:3], s[2:3], 3
	v_cmp_gt_i32_e64 s0, s40, v0
	s_add_u32 s43, s10, s2
	v_add_co_u32 v68, vcc_lo, s34, v5
	v_add_co_ci_u32_e32 v69, vcc_lo, s35, v6, vcc_lo
	s_addc_u32 s44, s11, s3
	v_add_co_u32 v72, vcc_lo, s43, v2
	v_ashrrev_i32_e32 v1, 31, v0
	v_add_co_ci_u32_e32 v73, vcc_lo, s44, v3, vcc_lo
	s_and_b32 s1, s8, s0
	s_delay_alu instid0(SALU_CYCLE_1) | instskip(NEXT) | instid1(SALU_CYCLE_1)
	s_and_saveexec_b32 s2, s1
	s_xor_b32 s1, exec_lo, s2
	s_cbranch_execz .LBB191_80
; %bb.76:
	scratch_load_b64 v[2:3], off, off
	v_lshlrev_b64 v[4:5], 3, v[0:1]
	s_and_not1_b32 vcc_lo, exec_lo, s36
	s_cbranch_vccnz .LBB191_78
; %bb.77:
	s_delay_alu instid0(VALU_DEP_1) | instskip(NEXT) | instid1(VALU_DEP_2)
	v_add_co_u32 v6, vcc_lo, v68, v4
	v_add_co_ci_u32_e32 v7, vcc_lo, v69, v5, vcc_lo
	flat_load_b64 v[6:7], v[6:7]
	s_waitcnt vmcnt(0) lgkmcnt(0)
	v_mul_f64 v[6:7], v[6:7], s[38:39]
	s_branch .LBB191_79
.LBB191_78:
	v_mov_b32_e32 v6, 0
	v_mov_b32_e32 v7, 0
.LBB191_79:
	s_waitcnt vmcnt(0)
	s_delay_alu instid0(VALU_DEP_1)
	v_add_f64 v[2:3], v[2:3], v[6:7]
	v_add_co_u32 v4, vcc_lo, v72, v4
	v_add_co_ci_u32_e32 v5, vcc_lo, v73, v5, vcc_lo
	global_store_b64 v[4:5], v[2:3], off
.LBB191_80:
	s_or_b32 exec_lo, exec_lo, s1
	v_add_nc_u32_e32 v2, 4, v0
	s_delay_alu instid0(VALU_DEP_1) | instskip(SKIP_1) | instid1(VALU_DEP_2)
	v_cmp_gt_i32_e64 s1, s40, v2
	v_ashrrev_i32_e32 v3, 31, v2
	s_and_b32 s3, s8, s1
	s_delay_alu instid0(SALU_CYCLE_1)
	s_and_saveexec_b32 s2, s3
	s_cbranch_execz .LBB191_85
; %bb.81:
	scratch_load_b64 v[4:5], off, off offset:8
	v_lshlrev_b64 v[6:7], 3, v[2:3]
	s_and_not1_b32 vcc_lo, exec_lo, s36
	s_cbranch_vccnz .LBB191_83
; %bb.82:
	s_delay_alu instid0(VALU_DEP_1) | instskip(NEXT) | instid1(VALU_DEP_2)
	v_add_co_u32 v8, vcc_lo, v68, v6
	v_add_co_ci_u32_e32 v9, vcc_lo, v69, v7, vcc_lo
	flat_load_b64 v[8:9], v[8:9]
	s_waitcnt vmcnt(0) lgkmcnt(0)
	v_mul_f64 v[8:9], v[8:9], s[38:39]
	s_branch .LBB191_84
.LBB191_83:
	v_mov_b32_e32 v8, 0
	v_mov_b32_e32 v9, 0
.LBB191_84:
	s_waitcnt vmcnt(0)
	s_delay_alu instid0(VALU_DEP_1)
	v_add_f64 v[4:5], v[4:5], v[8:9]
	v_add_co_u32 v6, vcc_lo, v72, v6
	v_add_co_ci_u32_e32 v7, vcc_lo, v73, v7, vcc_lo
	global_store_b64 v[6:7], v[4:5], off
.LBB191_85:
	s_or_b32 exec_lo, exec_lo, s2
	v_add_nc_u32_e32 v4, 8, v0
	s_delay_alu instid0(VALU_DEP_1) | instskip(SKIP_1) | instid1(VALU_DEP_2)
	v_cmp_gt_i32_e64 s2, s40, v4
	v_ashrrev_i32_e32 v5, 31, v4
	s_and_b32 s4, s8, s2
	s_delay_alu instid0(SALU_CYCLE_1)
	s_and_saveexec_b32 s3, s4
	s_cbranch_execz .LBB191_90
; %bb.86:
	scratch_load_b64 v[6:7], off, off offset:16
	v_lshlrev_b64 v[8:9], 3, v[4:5]
	s_and_not1_b32 vcc_lo, exec_lo, s36
	s_cbranch_vccnz .LBB191_88
; %bb.87:
	s_delay_alu instid0(VALU_DEP_1) | instskip(NEXT) | instid1(VALU_DEP_2)
	v_add_co_u32 v10, vcc_lo, v68, v8
	v_add_co_ci_u32_e32 v11, vcc_lo, v69, v9, vcc_lo
	flat_load_b64 v[10:11], v[10:11]
	s_waitcnt vmcnt(0) lgkmcnt(0)
	v_mul_f64 v[10:11], v[10:11], s[38:39]
	s_branch .LBB191_89
.LBB191_88:
	v_mov_b32_e32 v10, 0
	v_mov_b32_e32 v11, 0
.LBB191_89:
	s_waitcnt vmcnt(0)
	s_delay_alu instid0(VALU_DEP_1)
	v_add_f64 v[6:7], v[6:7], v[10:11]
	v_add_co_u32 v8, vcc_lo, v72, v8
	v_add_co_ci_u32_e32 v9, vcc_lo, v73, v9, vcc_lo
	global_store_b64 v[8:9], v[6:7], off
.LBB191_90:
	;; [unrolled: 33-line block ×31, first 2 shown]
	s_or_b32 exec_lo, exec_lo, s8
	v_add_nc_u32_e32 v68, 64, v71
	s_delay_alu instid0(VALU_DEP_1) | instskip(SKIP_2) | instid1(VALU_DEP_3)
	v_mad_i64_i32 v[64:65], null, v68, s42, 0
	v_mad_i64_i32 v[66:67], null, v68, s37, 0
	v_cmp_gt_i32_e64 s8, s41, v68
	v_lshlrev_b64 v[64:65], 3, v[64:65]
	s_delay_alu instid0(VALU_DEP_2) | instskip(NEXT) | instid1(VALU_DEP_3)
	s_and_b32 s0, s8, s0
	v_lshlrev_b64 v[66:67], 3, v[66:67]
	s_delay_alu instid0(VALU_DEP_2) | instskip(NEXT) | instid1(VALU_DEP_3)
	v_add_co_u32 v71, vcc_lo, s34, v64
	v_add_co_ci_u32_e32 v72, vcc_lo, s35, v65, vcc_lo
	s_delay_alu instid0(VALU_DEP_3) | instskip(NEXT) | instid1(VALU_DEP_4)
	v_add_co_u32 v68, vcc_lo, s43, v66
	v_add_co_ci_u32_e32 v69, vcc_lo, s44, v67, vcc_lo
	s_and_saveexec_b32 s34, s0
	s_delay_alu instid0(SALU_CYCLE_1)
	s_xor_b32 s0, exec_lo, s34
	s_cbranch_execnz .LBB191_268
; %bb.236:
	s_or_b32 exec_lo, exec_lo, s0
	s_and_b32 s1, s8, s1
	s_delay_alu instid0(SALU_CYCLE_1)
	s_and_saveexec_b32 s0, s1
	s_cbranch_execnz .LBB191_272
.LBB191_237:
	s_or_b32 exec_lo, exec_lo, s0
	s_and_b32 s1, s8, s2
	s_delay_alu instid0(SALU_CYCLE_1)
	s_and_saveexec_b32 s0, s1
	s_cbranch_execnz .LBB191_276
.LBB191_238:
	s_or_b32 exec_lo, exec_lo, s0
	s_and_b32 s1, s8, s3
	s_delay_alu instid0(SALU_CYCLE_1)
	s_and_saveexec_b32 s0, s1
	s_cbranch_execnz .LBB191_280
.LBB191_239:
	s_or_b32 exec_lo, exec_lo, s0
	s_and_b32 s1, s8, s4
	s_delay_alu instid0(SALU_CYCLE_1)
	s_and_saveexec_b32 s0, s1
	s_cbranch_execnz .LBB191_284
.LBB191_240:
	s_or_b32 exec_lo, exec_lo, s0
	s_and_b32 s1, s8, s5
	s_delay_alu instid0(SALU_CYCLE_1)
	s_and_saveexec_b32 s0, s1
	s_cbranch_execnz .LBB191_288
.LBB191_241:
	s_or_b32 exec_lo, exec_lo, s0
	s_and_b32 s1, s8, s6
	s_delay_alu instid0(SALU_CYCLE_1)
	s_and_saveexec_b32 s0, s1
	s_cbranch_execnz .LBB191_292
.LBB191_242:
	s_or_b32 exec_lo, exec_lo, s0
	s_and_b32 s1, s8, s7
	s_delay_alu instid0(SALU_CYCLE_1)
	s_and_saveexec_b32 s0, s1
	s_cbranch_execnz .LBB191_296
.LBB191_243:
	s_or_b32 exec_lo, exec_lo, s0
	s_and_b32 s1, s8, s9
	s_delay_alu instid0(SALU_CYCLE_1)
	s_and_saveexec_b32 s0, s1
	s_cbranch_execnz .LBB191_300
.LBB191_244:
	s_or_b32 exec_lo, exec_lo, s0
	s_and_b32 s1, s8, s10
	s_delay_alu instid0(SALU_CYCLE_1)
	s_and_saveexec_b32 s0, s1
	s_cbranch_execnz .LBB191_304
.LBB191_245:
	s_or_b32 exec_lo, exec_lo, s0
	s_and_b32 s1, s8, s11
	s_delay_alu instid0(SALU_CYCLE_1)
	s_and_saveexec_b32 s0, s1
	s_cbranch_execnz .LBB191_308
.LBB191_246:
	s_or_b32 exec_lo, exec_lo, s0
	s_and_b32 s1, s8, s12
	s_delay_alu instid0(SALU_CYCLE_1)
	s_and_saveexec_b32 s0, s1
	s_cbranch_execnz .LBB191_312
.LBB191_247:
	s_or_b32 exec_lo, exec_lo, s0
	s_and_b32 s1, s8, s13
	s_delay_alu instid0(SALU_CYCLE_1)
	s_and_saveexec_b32 s0, s1
	s_cbranch_execnz .LBB191_316
.LBB191_248:
	s_or_b32 exec_lo, exec_lo, s0
	s_and_b32 s1, s8, s14
	s_delay_alu instid0(SALU_CYCLE_1)
	s_and_saveexec_b32 s0, s1
	s_cbranch_execnz .LBB191_320
.LBB191_249:
	s_or_b32 exec_lo, exec_lo, s0
	s_and_b32 s1, s8, s15
	s_delay_alu instid0(SALU_CYCLE_1)
	s_and_saveexec_b32 s0, s1
	s_cbranch_execnz .LBB191_324
.LBB191_250:
	s_or_b32 exec_lo, exec_lo, s0
	s_and_b32 s1, s8, s16
	s_delay_alu instid0(SALU_CYCLE_1)
	s_and_saveexec_b32 s0, s1
	s_cbranch_execnz .LBB191_328
.LBB191_251:
	s_or_b32 exec_lo, exec_lo, s0
	s_and_b32 s1, s8, s17
	s_delay_alu instid0(SALU_CYCLE_1)
	s_and_saveexec_b32 s0, s1
	s_cbranch_execnz .LBB191_332
.LBB191_252:
	s_or_b32 exec_lo, exec_lo, s0
	s_and_b32 s1, s8, s18
	s_delay_alu instid0(SALU_CYCLE_1)
	s_and_saveexec_b32 s0, s1
	s_cbranch_execnz .LBB191_336
.LBB191_253:
	s_or_b32 exec_lo, exec_lo, s0
	s_and_b32 s1, s8, s19
	s_delay_alu instid0(SALU_CYCLE_1)
	s_and_saveexec_b32 s0, s1
	s_cbranch_execnz .LBB191_340
.LBB191_254:
	s_or_b32 exec_lo, exec_lo, s0
	s_and_b32 s1, s8, s20
	s_delay_alu instid0(SALU_CYCLE_1)
	s_and_saveexec_b32 s0, s1
	s_cbranch_execnz .LBB191_344
.LBB191_255:
	s_or_b32 exec_lo, exec_lo, s0
	s_and_b32 s1, s8, s21
	s_delay_alu instid0(SALU_CYCLE_1)
	s_and_saveexec_b32 s0, s1
	s_cbranch_execnz .LBB191_348
.LBB191_256:
	s_or_b32 exec_lo, exec_lo, s0
	s_and_b32 s1, s8, s22
	s_delay_alu instid0(SALU_CYCLE_1)
	s_and_saveexec_b32 s0, s1
	s_cbranch_execnz .LBB191_352
.LBB191_257:
	s_or_b32 exec_lo, exec_lo, s0
	s_and_b32 s1, s8, s23
	s_delay_alu instid0(SALU_CYCLE_1)
	s_and_saveexec_b32 s0, s1
	s_cbranch_execnz .LBB191_356
.LBB191_258:
	s_or_b32 exec_lo, exec_lo, s0
	s_and_b32 s1, s8, s24
	s_delay_alu instid0(SALU_CYCLE_1)
	s_and_saveexec_b32 s0, s1
	s_cbranch_execnz .LBB191_360
.LBB191_259:
	s_or_b32 exec_lo, exec_lo, s0
	s_and_b32 s1, s8, s25
	s_delay_alu instid0(SALU_CYCLE_1)
	s_and_saveexec_b32 s0, s1
	s_cbranch_execnz .LBB191_364
.LBB191_260:
	s_or_b32 exec_lo, exec_lo, s0
	s_and_b32 s1, s8, s26
	s_delay_alu instid0(SALU_CYCLE_1)
	s_and_saveexec_b32 s0, s1
	s_cbranch_execnz .LBB191_368
.LBB191_261:
	s_or_b32 exec_lo, exec_lo, s0
	s_and_b32 s1, s8, s27
	s_delay_alu instid0(SALU_CYCLE_1)
	s_and_saveexec_b32 s0, s1
	s_cbranch_execnz .LBB191_372
.LBB191_262:
	s_or_b32 exec_lo, exec_lo, s0
	s_and_b32 s1, s8, s28
	s_delay_alu instid0(SALU_CYCLE_1)
	s_and_saveexec_b32 s0, s1
	s_cbranch_execnz .LBB191_376
.LBB191_263:
	s_or_b32 exec_lo, exec_lo, s0
	s_and_b32 s1, s8, s29
	s_delay_alu instid0(SALU_CYCLE_1)
	s_and_saveexec_b32 s0, s1
	s_cbranch_execnz .LBB191_380
.LBB191_264:
	s_or_b32 exec_lo, exec_lo, s0
	s_and_b32 s1, s8, s30
	s_delay_alu instid0(SALU_CYCLE_1)
	s_and_saveexec_b32 s0, s1
	s_cbranch_execnz .LBB191_384
.LBB191_265:
	s_or_b32 exec_lo, exec_lo, s0
	s_and_b32 s1, s8, s31
	s_delay_alu instid0(SALU_CYCLE_1)
	s_and_saveexec_b32 s0, s1
	s_cbranch_execnz .LBB191_388
.LBB191_266:
	s_or_b32 exec_lo, exec_lo, s0
	s_and_b32 s0, s8, s33
	s_delay_alu instid0(SALU_CYCLE_1)
	s_and_saveexec_b32 s1, s0
	s_cbranch_execnz .LBB191_392
.LBB191_267:
	s_endpgm
.LBB191_268:
	scratch_load_b64 v[64:65], off, off offset:256
	v_lshlrev_b64 v[0:1], 3, v[0:1]
	s_and_not1_b32 vcc_lo, exec_lo, s36
	s_cbranch_vccnz .LBB191_270
; %bb.269:
	s_delay_alu instid0(VALU_DEP_1) | instskip(NEXT) | instid1(VALU_DEP_2)
	v_add_co_u32 v66, vcc_lo, v71, v0
	v_add_co_ci_u32_e32 v67, vcc_lo, v72, v1, vcc_lo
	flat_load_b64 v[66:67], v[66:67]
	s_waitcnt vmcnt(0) lgkmcnt(0)
	v_mul_f64 v[66:67], v[66:67], s[38:39]
	s_branch .LBB191_271
.LBB191_270:
	v_mov_b32_e32 v66, 0
	v_mov_b32_e32 v67, 0
.LBB191_271:
	s_waitcnt vmcnt(0)
	s_delay_alu instid0(VALU_DEP_1)
	v_add_f64 v[64:65], v[64:65], v[66:67]
	v_add_co_u32 v0, vcc_lo, v68, v0
	v_add_co_ci_u32_e32 v1, vcc_lo, v69, v1, vcc_lo
	global_store_b64 v[0:1], v[64:65], off
	s_or_b32 exec_lo, exec_lo, s0
	s_and_b32 s1, s8, s1
	s_delay_alu instid0(SALU_CYCLE_1)
	s_and_saveexec_b32 s0, s1
	s_cbranch_execz .LBB191_237
.LBB191_272:
	scratch_load_b64 v[0:1], off, off offset:264
	v_cmp_ne_u32_e32 vcc_lo, 1, v70
	v_lshlrev_b64 v[2:3], 3, v[2:3]
	s_cbranch_vccnz .LBB191_274
; %bb.273:
	s_delay_alu instid0(VALU_DEP_1) | instskip(NEXT) | instid1(VALU_DEP_2)
	v_add_co_u32 v64, vcc_lo, v71, v2
	v_add_co_ci_u32_e32 v65, vcc_lo, v72, v3, vcc_lo
	flat_load_b64 v[64:65], v[64:65]
	s_waitcnt vmcnt(0) lgkmcnt(0)
	v_mul_f64 v[64:65], v[64:65], s[38:39]
	s_branch .LBB191_275
.LBB191_274:
	v_mov_b32_e32 v64, 0
	v_mov_b32_e32 v65, 0
.LBB191_275:
	s_waitcnt vmcnt(0)
	s_delay_alu instid0(VALU_DEP_1)
	v_add_f64 v[0:1], v[0:1], v[64:65]
	v_add_co_u32 v2, vcc_lo, v68, v2
	v_add_co_ci_u32_e32 v3, vcc_lo, v69, v3, vcc_lo
	global_store_b64 v[2:3], v[0:1], off
	s_or_b32 exec_lo, exec_lo, s0
	s_and_b32 s1, s8, s2
	s_delay_alu instid0(SALU_CYCLE_1)
	s_and_saveexec_b32 s0, s1
	s_cbranch_execz .LBB191_238
.LBB191_276:
	scratch_load_b64 v[0:1], off, off offset:272
	v_cmp_ne_u32_e32 vcc_lo, 1, v70
	v_lshlrev_b64 v[2:3], 3, v[4:5]
	s_cbranch_vccnz .LBB191_278
; %bb.277:
	s_delay_alu instid0(VALU_DEP_1) | instskip(NEXT) | instid1(VALU_DEP_2)
	v_add_co_u32 v4, vcc_lo, v71, v2
	v_add_co_ci_u32_e32 v5, vcc_lo, v72, v3, vcc_lo
	flat_load_b64 v[4:5], v[4:5]
	s_waitcnt vmcnt(0) lgkmcnt(0)
	v_mul_f64 v[4:5], v[4:5], s[38:39]
	s_branch .LBB191_279
.LBB191_278:
	v_mov_b32_e32 v4, 0
	v_mov_b32_e32 v5, 0
.LBB191_279:
	s_waitcnt vmcnt(0)
	s_delay_alu instid0(VALU_DEP_1)
	v_add_f64 v[0:1], v[0:1], v[4:5]
	v_add_co_u32 v2, vcc_lo, v68, v2
	v_add_co_ci_u32_e32 v3, vcc_lo, v69, v3, vcc_lo
	global_store_b64 v[2:3], v[0:1], off
	s_or_b32 exec_lo, exec_lo, s0
	s_and_b32 s1, s8, s3
	s_delay_alu instid0(SALU_CYCLE_1)
	s_and_saveexec_b32 s0, s1
	s_cbranch_execz .LBB191_239
.LBB191_280:
	scratch_load_b64 v[0:1], off, off offset:280
	v_cmp_ne_u32_e32 vcc_lo, 1, v70
	v_lshlrev_b64 v[2:3], 3, v[6:7]
	s_cbranch_vccnz .LBB191_282
; %bb.281:
	s_delay_alu instid0(VALU_DEP_1) | instskip(NEXT) | instid1(VALU_DEP_2)
	v_add_co_u32 v4, vcc_lo, v71, v2
	v_add_co_ci_u32_e32 v5, vcc_lo, v72, v3, vcc_lo
	flat_load_b64 v[4:5], v[4:5]
	s_waitcnt vmcnt(0) lgkmcnt(0)
	v_mul_f64 v[4:5], v[4:5], s[38:39]
	s_branch .LBB191_283
.LBB191_282:
	v_mov_b32_e32 v4, 0
	v_mov_b32_e32 v5, 0
.LBB191_283:
	s_waitcnt vmcnt(0)
	s_delay_alu instid0(VALU_DEP_1)
	v_add_f64 v[0:1], v[0:1], v[4:5]
	v_add_co_u32 v2, vcc_lo, v68, v2
	v_add_co_ci_u32_e32 v3, vcc_lo, v69, v3, vcc_lo
	global_store_b64 v[2:3], v[0:1], off
	s_or_b32 exec_lo, exec_lo, s0
	s_and_b32 s1, s8, s4
	s_delay_alu instid0(SALU_CYCLE_1)
	s_and_saveexec_b32 s0, s1
	s_cbranch_execz .LBB191_240
.LBB191_284:
	scratch_load_b64 v[0:1], off, off offset:288
	v_cmp_ne_u32_e32 vcc_lo, 1, v70
	v_lshlrev_b64 v[2:3], 3, v[8:9]
	s_cbranch_vccnz .LBB191_286
; %bb.285:
	s_delay_alu instid0(VALU_DEP_1) | instskip(NEXT) | instid1(VALU_DEP_2)
	v_add_co_u32 v4, vcc_lo, v71, v2
	v_add_co_ci_u32_e32 v5, vcc_lo, v72, v3, vcc_lo
	flat_load_b64 v[4:5], v[4:5]
	s_waitcnt vmcnt(0) lgkmcnt(0)
	v_mul_f64 v[4:5], v[4:5], s[38:39]
	s_branch .LBB191_287
.LBB191_286:
	v_mov_b32_e32 v4, 0
	v_mov_b32_e32 v5, 0
.LBB191_287:
	s_waitcnt vmcnt(0)
	s_delay_alu instid0(VALU_DEP_1)
	v_add_f64 v[0:1], v[0:1], v[4:5]
	v_add_co_u32 v2, vcc_lo, v68, v2
	v_add_co_ci_u32_e32 v3, vcc_lo, v69, v3, vcc_lo
	global_store_b64 v[2:3], v[0:1], off
	s_or_b32 exec_lo, exec_lo, s0
	s_and_b32 s1, s8, s5
	s_delay_alu instid0(SALU_CYCLE_1)
	s_and_saveexec_b32 s0, s1
	s_cbranch_execz .LBB191_241
.LBB191_288:
	scratch_load_b64 v[0:1], off, off offset:296
	v_cmp_ne_u32_e32 vcc_lo, 1, v70
	v_lshlrev_b64 v[2:3], 3, v[10:11]
	s_cbranch_vccnz .LBB191_290
; %bb.289:
	s_delay_alu instid0(VALU_DEP_1) | instskip(NEXT) | instid1(VALU_DEP_2)
	v_add_co_u32 v4, vcc_lo, v71, v2
	v_add_co_ci_u32_e32 v5, vcc_lo, v72, v3, vcc_lo
	flat_load_b64 v[4:5], v[4:5]
	s_waitcnt vmcnt(0) lgkmcnt(0)
	v_mul_f64 v[4:5], v[4:5], s[38:39]
	s_branch .LBB191_291
.LBB191_290:
	v_mov_b32_e32 v4, 0
	v_mov_b32_e32 v5, 0
.LBB191_291:
	s_waitcnt vmcnt(0)
	s_delay_alu instid0(VALU_DEP_1)
	v_add_f64 v[0:1], v[0:1], v[4:5]
	v_add_co_u32 v2, vcc_lo, v68, v2
	v_add_co_ci_u32_e32 v3, vcc_lo, v69, v3, vcc_lo
	global_store_b64 v[2:3], v[0:1], off
	s_or_b32 exec_lo, exec_lo, s0
	s_and_b32 s1, s8, s6
	s_delay_alu instid0(SALU_CYCLE_1)
	s_and_saveexec_b32 s0, s1
	s_cbranch_execz .LBB191_242
.LBB191_292:
	scratch_load_b64 v[0:1], off, off offset:304
	v_cmp_ne_u32_e32 vcc_lo, 1, v70
	v_lshlrev_b64 v[2:3], 3, v[12:13]
	s_cbranch_vccnz .LBB191_294
; %bb.293:
	s_delay_alu instid0(VALU_DEP_1) | instskip(NEXT) | instid1(VALU_DEP_2)
	v_add_co_u32 v4, vcc_lo, v71, v2
	v_add_co_ci_u32_e32 v5, vcc_lo, v72, v3, vcc_lo
	flat_load_b64 v[4:5], v[4:5]
	s_waitcnt vmcnt(0) lgkmcnt(0)
	v_mul_f64 v[4:5], v[4:5], s[38:39]
	s_branch .LBB191_295
.LBB191_294:
	v_mov_b32_e32 v4, 0
	v_mov_b32_e32 v5, 0
.LBB191_295:
	s_waitcnt vmcnt(0)
	s_delay_alu instid0(VALU_DEP_1)
	v_add_f64 v[0:1], v[0:1], v[4:5]
	v_add_co_u32 v2, vcc_lo, v68, v2
	v_add_co_ci_u32_e32 v3, vcc_lo, v69, v3, vcc_lo
	global_store_b64 v[2:3], v[0:1], off
	s_or_b32 exec_lo, exec_lo, s0
	s_and_b32 s1, s8, s7
	s_delay_alu instid0(SALU_CYCLE_1)
	s_and_saveexec_b32 s0, s1
	s_cbranch_execz .LBB191_243
.LBB191_296:
	scratch_load_b64 v[0:1], off, off offset:312
	v_cmp_ne_u32_e32 vcc_lo, 1, v70
	v_lshlrev_b64 v[2:3], 3, v[14:15]
	s_cbranch_vccnz .LBB191_298
; %bb.297:
	s_delay_alu instid0(VALU_DEP_1) | instskip(NEXT) | instid1(VALU_DEP_2)
	v_add_co_u32 v4, vcc_lo, v71, v2
	v_add_co_ci_u32_e32 v5, vcc_lo, v72, v3, vcc_lo
	flat_load_b64 v[4:5], v[4:5]
	s_waitcnt vmcnt(0) lgkmcnt(0)
	v_mul_f64 v[4:5], v[4:5], s[38:39]
	s_branch .LBB191_299
.LBB191_298:
	v_mov_b32_e32 v4, 0
	v_mov_b32_e32 v5, 0
.LBB191_299:
	s_waitcnt vmcnt(0)
	s_delay_alu instid0(VALU_DEP_1)
	v_add_f64 v[0:1], v[0:1], v[4:5]
	v_add_co_u32 v2, vcc_lo, v68, v2
	v_add_co_ci_u32_e32 v3, vcc_lo, v69, v3, vcc_lo
	global_store_b64 v[2:3], v[0:1], off
	s_or_b32 exec_lo, exec_lo, s0
	s_and_b32 s1, s8, s9
	s_delay_alu instid0(SALU_CYCLE_1)
	s_and_saveexec_b32 s0, s1
	s_cbranch_execz .LBB191_244
.LBB191_300:
	scratch_load_b64 v[0:1], off, off offset:320
	v_cmp_ne_u32_e32 vcc_lo, 1, v70
	v_lshlrev_b64 v[2:3], 3, v[16:17]
	s_cbranch_vccnz .LBB191_302
; %bb.301:
	s_delay_alu instid0(VALU_DEP_1) | instskip(NEXT) | instid1(VALU_DEP_2)
	v_add_co_u32 v4, vcc_lo, v71, v2
	v_add_co_ci_u32_e32 v5, vcc_lo, v72, v3, vcc_lo
	flat_load_b64 v[4:5], v[4:5]
	s_waitcnt vmcnt(0) lgkmcnt(0)
	v_mul_f64 v[4:5], v[4:5], s[38:39]
	s_branch .LBB191_303
.LBB191_302:
	v_mov_b32_e32 v4, 0
	v_mov_b32_e32 v5, 0
.LBB191_303:
	s_waitcnt vmcnt(0)
	s_delay_alu instid0(VALU_DEP_1)
	v_add_f64 v[0:1], v[0:1], v[4:5]
	v_add_co_u32 v2, vcc_lo, v68, v2
	v_add_co_ci_u32_e32 v3, vcc_lo, v69, v3, vcc_lo
	global_store_b64 v[2:3], v[0:1], off
	s_or_b32 exec_lo, exec_lo, s0
	s_and_b32 s1, s8, s10
	s_delay_alu instid0(SALU_CYCLE_1)
	s_and_saveexec_b32 s0, s1
	s_cbranch_execz .LBB191_245
.LBB191_304:
	scratch_load_b64 v[0:1], off, off offset:328
	v_cmp_ne_u32_e32 vcc_lo, 1, v70
	v_lshlrev_b64 v[2:3], 3, v[18:19]
	s_cbranch_vccnz .LBB191_306
; %bb.305:
	s_delay_alu instid0(VALU_DEP_1) | instskip(NEXT) | instid1(VALU_DEP_2)
	v_add_co_u32 v4, vcc_lo, v71, v2
	v_add_co_ci_u32_e32 v5, vcc_lo, v72, v3, vcc_lo
	flat_load_b64 v[4:5], v[4:5]
	s_waitcnt vmcnt(0) lgkmcnt(0)
	v_mul_f64 v[4:5], v[4:5], s[38:39]
	s_branch .LBB191_307
.LBB191_306:
	v_mov_b32_e32 v4, 0
	v_mov_b32_e32 v5, 0
.LBB191_307:
	s_waitcnt vmcnt(0)
	s_delay_alu instid0(VALU_DEP_1)
	v_add_f64 v[0:1], v[0:1], v[4:5]
	v_add_co_u32 v2, vcc_lo, v68, v2
	v_add_co_ci_u32_e32 v3, vcc_lo, v69, v3, vcc_lo
	global_store_b64 v[2:3], v[0:1], off
	s_or_b32 exec_lo, exec_lo, s0
	s_and_b32 s1, s8, s11
	s_delay_alu instid0(SALU_CYCLE_1)
	s_and_saveexec_b32 s0, s1
	s_cbranch_execz .LBB191_246
.LBB191_308:
	scratch_load_b64 v[0:1], off, off offset:336
	v_cmp_ne_u32_e32 vcc_lo, 1, v70
	v_lshlrev_b64 v[2:3], 3, v[20:21]
	s_cbranch_vccnz .LBB191_310
; %bb.309:
	s_delay_alu instid0(VALU_DEP_1) | instskip(NEXT) | instid1(VALU_DEP_2)
	v_add_co_u32 v4, vcc_lo, v71, v2
	v_add_co_ci_u32_e32 v5, vcc_lo, v72, v3, vcc_lo
	flat_load_b64 v[4:5], v[4:5]
	s_waitcnt vmcnt(0) lgkmcnt(0)
	v_mul_f64 v[4:5], v[4:5], s[38:39]
	s_branch .LBB191_311
.LBB191_310:
	v_mov_b32_e32 v4, 0
	v_mov_b32_e32 v5, 0
.LBB191_311:
	s_waitcnt vmcnt(0)
	s_delay_alu instid0(VALU_DEP_1)
	v_add_f64 v[0:1], v[0:1], v[4:5]
	v_add_co_u32 v2, vcc_lo, v68, v2
	v_add_co_ci_u32_e32 v3, vcc_lo, v69, v3, vcc_lo
	global_store_b64 v[2:3], v[0:1], off
	s_or_b32 exec_lo, exec_lo, s0
	s_and_b32 s1, s8, s12
	s_delay_alu instid0(SALU_CYCLE_1)
	s_and_saveexec_b32 s0, s1
	s_cbranch_execz .LBB191_247
.LBB191_312:
	scratch_load_b64 v[0:1], off, off offset:344
	v_cmp_ne_u32_e32 vcc_lo, 1, v70
	v_lshlrev_b64 v[2:3], 3, v[22:23]
	s_cbranch_vccnz .LBB191_314
; %bb.313:
	s_delay_alu instid0(VALU_DEP_1) | instskip(NEXT) | instid1(VALU_DEP_2)
	v_add_co_u32 v4, vcc_lo, v71, v2
	v_add_co_ci_u32_e32 v5, vcc_lo, v72, v3, vcc_lo
	flat_load_b64 v[4:5], v[4:5]
	s_waitcnt vmcnt(0) lgkmcnt(0)
	v_mul_f64 v[4:5], v[4:5], s[38:39]
	s_branch .LBB191_315
.LBB191_314:
	v_mov_b32_e32 v4, 0
	v_mov_b32_e32 v5, 0
.LBB191_315:
	s_waitcnt vmcnt(0)
	s_delay_alu instid0(VALU_DEP_1)
	v_add_f64 v[0:1], v[0:1], v[4:5]
	v_add_co_u32 v2, vcc_lo, v68, v2
	v_add_co_ci_u32_e32 v3, vcc_lo, v69, v3, vcc_lo
	global_store_b64 v[2:3], v[0:1], off
	s_or_b32 exec_lo, exec_lo, s0
	s_and_b32 s1, s8, s13
	s_delay_alu instid0(SALU_CYCLE_1)
	s_and_saveexec_b32 s0, s1
	s_cbranch_execz .LBB191_248
.LBB191_316:
	scratch_load_b64 v[0:1], off, off offset:352
	v_cmp_ne_u32_e32 vcc_lo, 1, v70
	v_lshlrev_b64 v[2:3], 3, v[24:25]
	s_cbranch_vccnz .LBB191_318
; %bb.317:
	s_delay_alu instid0(VALU_DEP_1) | instskip(NEXT) | instid1(VALU_DEP_2)
	v_add_co_u32 v4, vcc_lo, v71, v2
	v_add_co_ci_u32_e32 v5, vcc_lo, v72, v3, vcc_lo
	flat_load_b64 v[4:5], v[4:5]
	s_waitcnt vmcnt(0) lgkmcnt(0)
	v_mul_f64 v[4:5], v[4:5], s[38:39]
	s_branch .LBB191_319
.LBB191_318:
	v_mov_b32_e32 v4, 0
	v_mov_b32_e32 v5, 0
.LBB191_319:
	s_waitcnt vmcnt(0)
	s_delay_alu instid0(VALU_DEP_1)
	v_add_f64 v[0:1], v[0:1], v[4:5]
	v_add_co_u32 v2, vcc_lo, v68, v2
	v_add_co_ci_u32_e32 v3, vcc_lo, v69, v3, vcc_lo
	global_store_b64 v[2:3], v[0:1], off
	s_or_b32 exec_lo, exec_lo, s0
	s_and_b32 s1, s8, s14
	s_delay_alu instid0(SALU_CYCLE_1)
	s_and_saveexec_b32 s0, s1
	s_cbranch_execz .LBB191_249
.LBB191_320:
	scratch_load_b64 v[0:1], off, off offset:360
	v_cmp_ne_u32_e32 vcc_lo, 1, v70
	v_lshlrev_b64 v[2:3], 3, v[26:27]
	s_cbranch_vccnz .LBB191_322
; %bb.321:
	s_delay_alu instid0(VALU_DEP_1) | instskip(NEXT) | instid1(VALU_DEP_2)
	v_add_co_u32 v4, vcc_lo, v71, v2
	v_add_co_ci_u32_e32 v5, vcc_lo, v72, v3, vcc_lo
	flat_load_b64 v[4:5], v[4:5]
	s_waitcnt vmcnt(0) lgkmcnt(0)
	v_mul_f64 v[4:5], v[4:5], s[38:39]
	s_branch .LBB191_323
.LBB191_322:
	v_mov_b32_e32 v4, 0
	v_mov_b32_e32 v5, 0
.LBB191_323:
	s_waitcnt vmcnt(0)
	s_delay_alu instid0(VALU_DEP_1)
	v_add_f64 v[0:1], v[0:1], v[4:5]
	v_add_co_u32 v2, vcc_lo, v68, v2
	v_add_co_ci_u32_e32 v3, vcc_lo, v69, v3, vcc_lo
	global_store_b64 v[2:3], v[0:1], off
	s_or_b32 exec_lo, exec_lo, s0
	s_and_b32 s1, s8, s15
	s_delay_alu instid0(SALU_CYCLE_1)
	s_and_saveexec_b32 s0, s1
	s_cbranch_execz .LBB191_250
.LBB191_324:
	scratch_load_b64 v[0:1], off, off offset:368
	v_cmp_ne_u32_e32 vcc_lo, 1, v70
	v_lshlrev_b64 v[2:3], 3, v[28:29]
	s_cbranch_vccnz .LBB191_326
; %bb.325:
	s_delay_alu instid0(VALU_DEP_1) | instskip(NEXT) | instid1(VALU_DEP_2)
	v_add_co_u32 v4, vcc_lo, v71, v2
	v_add_co_ci_u32_e32 v5, vcc_lo, v72, v3, vcc_lo
	flat_load_b64 v[4:5], v[4:5]
	s_waitcnt vmcnt(0) lgkmcnt(0)
	v_mul_f64 v[4:5], v[4:5], s[38:39]
	s_branch .LBB191_327
.LBB191_326:
	v_mov_b32_e32 v4, 0
	v_mov_b32_e32 v5, 0
.LBB191_327:
	s_waitcnt vmcnt(0)
	s_delay_alu instid0(VALU_DEP_1)
	v_add_f64 v[0:1], v[0:1], v[4:5]
	v_add_co_u32 v2, vcc_lo, v68, v2
	v_add_co_ci_u32_e32 v3, vcc_lo, v69, v3, vcc_lo
	global_store_b64 v[2:3], v[0:1], off
	s_or_b32 exec_lo, exec_lo, s0
	s_and_b32 s1, s8, s16
	s_delay_alu instid0(SALU_CYCLE_1)
	s_and_saveexec_b32 s0, s1
	s_cbranch_execz .LBB191_251
.LBB191_328:
	scratch_load_b64 v[0:1], off, off offset:376
	v_cmp_ne_u32_e32 vcc_lo, 1, v70
	v_lshlrev_b64 v[2:3], 3, v[30:31]
	s_cbranch_vccnz .LBB191_330
; %bb.329:
	s_delay_alu instid0(VALU_DEP_1) | instskip(NEXT) | instid1(VALU_DEP_2)
	v_add_co_u32 v4, vcc_lo, v71, v2
	v_add_co_ci_u32_e32 v5, vcc_lo, v72, v3, vcc_lo
	flat_load_b64 v[4:5], v[4:5]
	s_waitcnt vmcnt(0) lgkmcnt(0)
	v_mul_f64 v[4:5], v[4:5], s[38:39]
	s_branch .LBB191_331
.LBB191_330:
	v_mov_b32_e32 v4, 0
	v_mov_b32_e32 v5, 0
.LBB191_331:
	s_waitcnt vmcnt(0)
	s_delay_alu instid0(VALU_DEP_1)
	v_add_f64 v[0:1], v[0:1], v[4:5]
	v_add_co_u32 v2, vcc_lo, v68, v2
	v_add_co_ci_u32_e32 v3, vcc_lo, v69, v3, vcc_lo
	global_store_b64 v[2:3], v[0:1], off
	s_or_b32 exec_lo, exec_lo, s0
	s_and_b32 s1, s8, s17
	s_delay_alu instid0(SALU_CYCLE_1)
	s_and_saveexec_b32 s0, s1
	s_cbranch_execz .LBB191_252
.LBB191_332:
	scratch_load_b64 v[0:1], off, off offset:384
	v_cmp_ne_u32_e32 vcc_lo, 1, v70
	v_lshlrev_b64 v[2:3], 3, v[32:33]
	s_cbranch_vccnz .LBB191_334
; %bb.333:
	s_delay_alu instid0(VALU_DEP_1) | instskip(NEXT) | instid1(VALU_DEP_2)
	v_add_co_u32 v4, vcc_lo, v71, v2
	v_add_co_ci_u32_e32 v5, vcc_lo, v72, v3, vcc_lo
	flat_load_b64 v[4:5], v[4:5]
	s_waitcnt vmcnt(0) lgkmcnt(0)
	v_mul_f64 v[4:5], v[4:5], s[38:39]
	s_branch .LBB191_335
.LBB191_334:
	v_mov_b32_e32 v4, 0
	v_mov_b32_e32 v5, 0
.LBB191_335:
	s_waitcnt vmcnt(0)
	s_delay_alu instid0(VALU_DEP_1)
	v_add_f64 v[0:1], v[0:1], v[4:5]
	v_add_co_u32 v2, vcc_lo, v68, v2
	v_add_co_ci_u32_e32 v3, vcc_lo, v69, v3, vcc_lo
	global_store_b64 v[2:3], v[0:1], off
	s_or_b32 exec_lo, exec_lo, s0
	s_and_b32 s1, s8, s18
	s_delay_alu instid0(SALU_CYCLE_1)
	s_and_saveexec_b32 s0, s1
	s_cbranch_execz .LBB191_253
.LBB191_336:
	scratch_load_b64 v[0:1], off, off offset:392
	v_cmp_ne_u32_e32 vcc_lo, 1, v70
	v_lshlrev_b64 v[2:3], 3, v[34:35]
	s_cbranch_vccnz .LBB191_338
; %bb.337:
	s_delay_alu instid0(VALU_DEP_1) | instskip(NEXT) | instid1(VALU_DEP_2)
	v_add_co_u32 v4, vcc_lo, v71, v2
	v_add_co_ci_u32_e32 v5, vcc_lo, v72, v3, vcc_lo
	flat_load_b64 v[4:5], v[4:5]
	s_waitcnt vmcnt(0) lgkmcnt(0)
	v_mul_f64 v[4:5], v[4:5], s[38:39]
	s_branch .LBB191_339
.LBB191_338:
	v_mov_b32_e32 v4, 0
	v_mov_b32_e32 v5, 0
.LBB191_339:
	s_waitcnt vmcnt(0)
	s_delay_alu instid0(VALU_DEP_1)
	v_add_f64 v[0:1], v[0:1], v[4:5]
	v_add_co_u32 v2, vcc_lo, v68, v2
	v_add_co_ci_u32_e32 v3, vcc_lo, v69, v3, vcc_lo
	global_store_b64 v[2:3], v[0:1], off
	s_or_b32 exec_lo, exec_lo, s0
	s_and_b32 s1, s8, s19
	s_delay_alu instid0(SALU_CYCLE_1)
	s_and_saveexec_b32 s0, s1
	s_cbranch_execz .LBB191_254
.LBB191_340:
	scratch_load_b64 v[0:1], off, off offset:400
	v_cmp_ne_u32_e32 vcc_lo, 1, v70
	v_lshlrev_b64 v[2:3], 3, v[36:37]
	s_cbranch_vccnz .LBB191_342
; %bb.341:
	s_delay_alu instid0(VALU_DEP_1) | instskip(NEXT) | instid1(VALU_DEP_2)
	v_add_co_u32 v4, vcc_lo, v71, v2
	v_add_co_ci_u32_e32 v5, vcc_lo, v72, v3, vcc_lo
	flat_load_b64 v[4:5], v[4:5]
	s_waitcnt vmcnt(0) lgkmcnt(0)
	v_mul_f64 v[4:5], v[4:5], s[38:39]
	s_branch .LBB191_343
.LBB191_342:
	v_mov_b32_e32 v4, 0
	v_mov_b32_e32 v5, 0
.LBB191_343:
	s_waitcnt vmcnt(0)
	s_delay_alu instid0(VALU_DEP_1)
	v_add_f64 v[0:1], v[0:1], v[4:5]
	v_add_co_u32 v2, vcc_lo, v68, v2
	v_add_co_ci_u32_e32 v3, vcc_lo, v69, v3, vcc_lo
	global_store_b64 v[2:3], v[0:1], off
	s_or_b32 exec_lo, exec_lo, s0
	s_and_b32 s1, s8, s20
	s_delay_alu instid0(SALU_CYCLE_1)
	s_and_saveexec_b32 s0, s1
	s_cbranch_execz .LBB191_255
.LBB191_344:
	scratch_load_b64 v[0:1], off, off offset:408
	v_cmp_ne_u32_e32 vcc_lo, 1, v70
	v_lshlrev_b64 v[2:3], 3, v[38:39]
	s_cbranch_vccnz .LBB191_346
; %bb.345:
	s_delay_alu instid0(VALU_DEP_1) | instskip(NEXT) | instid1(VALU_DEP_2)
	v_add_co_u32 v4, vcc_lo, v71, v2
	v_add_co_ci_u32_e32 v5, vcc_lo, v72, v3, vcc_lo
	flat_load_b64 v[4:5], v[4:5]
	s_waitcnt vmcnt(0) lgkmcnt(0)
	v_mul_f64 v[4:5], v[4:5], s[38:39]
	s_branch .LBB191_347
.LBB191_346:
	v_mov_b32_e32 v4, 0
	v_mov_b32_e32 v5, 0
.LBB191_347:
	s_waitcnt vmcnt(0)
	s_delay_alu instid0(VALU_DEP_1)
	v_add_f64 v[0:1], v[0:1], v[4:5]
	v_add_co_u32 v2, vcc_lo, v68, v2
	v_add_co_ci_u32_e32 v3, vcc_lo, v69, v3, vcc_lo
	global_store_b64 v[2:3], v[0:1], off
	s_or_b32 exec_lo, exec_lo, s0
	s_and_b32 s1, s8, s21
	s_delay_alu instid0(SALU_CYCLE_1)
	s_and_saveexec_b32 s0, s1
	s_cbranch_execz .LBB191_256
.LBB191_348:
	scratch_load_b64 v[0:1], off, off offset:416
	v_cmp_ne_u32_e32 vcc_lo, 1, v70
	v_lshlrev_b64 v[2:3], 3, v[40:41]
	s_cbranch_vccnz .LBB191_350
; %bb.349:
	s_delay_alu instid0(VALU_DEP_1) | instskip(NEXT) | instid1(VALU_DEP_2)
	v_add_co_u32 v4, vcc_lo, v71, v2
	v_add_co_ci_u32_e32 v5, vcc_lo, v72, v3, vcc_lo
	flat_load_b64 v[4:5], v[4:5]
	s_waitcnt vmcnt(0) lgkmcnt(0)
	v_mul_f64 v[4:5], v[4:5], s[38:39]
	s_branch .LBB191_351
.LBB191_350:
	v_mov_b32_e32 v4, 0
	v_mov_b32_e32 v5, 0
.LBB191_351:
	s_waitcnt vmcnt(0)
	s_delay_alu instid0(VALU_DEP_1)
	v_add_f64 v[0:1], v[0:1], v[4:5]
	v_add_co_u32 v2, vcc_lo, v68, v2
	v_add_co_ci_u32_e32 v3, vcc_lo, v69, v3, vcc_lo
	global_store_b64 v[2:3], v[0:1], off
	s_or_b32 exec_lo, exec_lo, s0
	s_and_b32 s1, s8, s22
	s_delay_alu instid0(SALU_CYCLE_1)
	s_and_saveexec_b32 s0, s1
	s_cbranch_execz .LBB191_257
.LBB191_352:
	scratch_load_b64 v[0:1], off, off offset:424
	v_cmp_ne_u32_e32 vcc_lo, 1, v70
	v_lshlrev_b64 v[2:3], 3, v[42:43]
	s_cbranch_vccnz .LBB191_354
; %bb.353:
	s_delay_alu instid0(VALU_DEP_1) | instskip(NEXT) | instid1(VALU_DEP_2)
	v_add_co_u32 v4, vcc_lo, v71, v2
	v_add_co_ci_u32_e32 v5, vcc_lo, v72, v3, vcc_lo
	flat_load_b64 v[4:5], v[4:5]
	s_waitcnt vmcnt(0) lgkmcnt(0)
	v_mul_f64 v[4:5], v[4:5], s[38:39]
	s_branch .LBB191_355
.LBB191_354:
	v_mov_b32_e32 v4, 0
	v_mov_b32_e32 v5, 0
.LBB191_355:
	s_waitcnt vmcnt(0)
	s_delay_alu instid0(VALU_DEP_1)
	v_add_f64 v[0:1], v[0:1], v[4:5]
	v_add_co_u32 v2, vcc_lo, v68, v2
	v_add_co_ci_u32_e32 v3, vcc_lo, v69, v3, vcc_lo
	global_store_b64 v[2:3], v[0:1], off
	s_or_b32 exec_lo, exec_lo, s0
	s_and_b32 s1, s8, s23
	s_delay_alu instid0(SALU_CYCLE_1)
	s_and_saveexec_b32 s0, s1
	s_cbranch_execz .LBB191_258
.LBB191_356:
	scratch_load_b64 v[0:1], off, off offset:432
	v_cmp_ne_u32_e32 vcc_lo, 1, v70
	v_lshlrev_b64 v[2:3], 3, v[44:45]
	s_cbranch_vccnz .LBB191_358
; %bb.357:
	s_delay_alu instid0(VALU_DEP_1) | instskip(NEXT) | instid1(VALU_DEP_2)
	v_add_co_u32 v4, vcc_lo, v71, v2
	v_add_co_ci_u32_e32 v5, vcc_lo, v72, v3, vcc_lo
	flat_load_b64 v[4:5], v[4:5]
	s_waitcnt vmcnt(0) lgkmcnt(0)
	v_mul_f64 v[4:5], v[4:5], s[38:39]
	s_branch .LBB191_359
.LBB191_358:
	v_mov_b32_e32 v4, 0
	v_mov_b32_e32 v5, 0
.LBB191_359:
	s_waitcnt vmcnt(0)
	s_delay_alu instid0(VALU_DEP_1)
	v_add_f64 v[0:1], v[0:1], v[4:5]
	v_add_co_u32 v2, vcc_lo, v68, v2
	v_add_co_ci_u32_e32 v3, vcc_lo, v69, v3, vcc_lo
	global_store_b64 v[2:3], v[0:1], off
	s_or_b32 exec_lo, exec_lo, s0
	s_and_b32 s1, s8, s24
	s_delay_alu instid0(SALU_CYCLE_1)
	s_and_saveexec_b32 s0, s1
	s_cbranch_execz .LBB191_259
.LBB191_360:
	scratch_load_b64 v[0:1], off, off offset:440
	v_cmp_ne_u32_e32 vcc_lo, 1, v70
	v_lshlrev_b64 v[2:3], 3, v[46:47]
	s_cbranch_vccnz .LBB191_362
; %bb.361:
	s_delay_alu instid0(VALU_DEP_1) | instskip(NEXT) | instid1(VALU_DEP_2)
	v_add_co_u32 v4, vcc_lo, v71, v2
	v_add_co_ci_u32_e32 v5, vcc_lo, v72, v3, vcc_lo
	flat_load_b64 v[4:5], v[4:5]
	s_waitcnt vmcnt(0) lgkmcnt(0)
	v_mul_f64 v[4:5], v[4:5], s[38:39]
	s_branch .LBB191_363
.LBB191_362:
	v_mov_b32_e32 v4, 0
	v_mov_b32_e32 v5, 0
.LBB191_363:
	s_waitcnt vmcnt(0)
	s_delay_alu instid0(VALU_DEP_1)
	v_add_f64 v[0:1], v[0:1], v[4:5]
	v_add_co_u32 v2, vcc_lo, v68, v2
	v_add_co_ci_u32_e32 v3, vcc_lo, v69, v3, vcc_lo
	global_store_b64 v[2:3], v[0:1], off
	s_or_b32 exec_lo, exec_lo, s0
	s_and_b32 s1, s8, s25
	s_delay_alu instid0(SALU_CYCLE_1)
	s_and_saveexec_b32 s0, s1
	s_cbranch_execz .LBB191_260
.LBB191_364:
	scratch_load_b64 v[0:1], off, off offset:448
	v_cmp_ne_u32_e32 vcc_lo, 1, v70
	v_lshlrev_b64 v[2:3], 3, v[48:49]
	s_cbranch_vccnz .LBB191_366
; %bb.365:
	s_delay_alu instid0(VALU_DEP_1) | instskip(NEXT) | instid1(VALU_DEP_2)
	v_add_co_u32 v4, vcc_lo, v71, v2
	v_add_co_ci_u32_e32 v5, vcc_lo, v72, v3, vcc_lo
	flat_load_b64 v[4:5], v[4:5]
	s_waitcnt vmcnt(0) lgkmcnt(0)
	v_mul_f64 v[4:5], v[4:5], s[38:39]
	s_branch .LBB191_367
.LBB191_366:
	v_mov_b32_e32 v4, 0
	v_mov_b32_e32 v5, 0
.LBB191_367:
	s_waitcnt vmcnt(0)
	s_delay_alu instid0(VALU_DEP_1)
	v_add_f64 v[0:1], v[0:1], v[4:5]
	v_add_co_u32 v2, vcc_lo, v68, v2
	v_add_co_ci_u32_e32 v3, vcc_lo, v69, v3, vcc_lo
	global_store_b64 v[2:3], v[0:1], off
	s_or_b32 exec_lo, exec_lo, s0
	s_and_b32 s1, s8, s26
	s_delay_alu instid0(SALU_CYCLE_1)
	s_and_saveexec_b32 s0, s1
	s_cbranch_execz .LBB191_261
.LBB191_368:
	scratch_load_b64 v[0:1], off, off offset:456
	v_cmp_ne_u32_e32 vcc_lo, 1, v70
	v_lshlrev_b64 v[2:3], 3, v[50:51]
	s_cbranch_vccnz .LBB191_370
; %bb.369:
	s_delay_alu instid0(VALU_DEP_1) | instskip(NEXT) | instid1(VALU_DEP_2)
	v_add_co_u32 v4, vcc_lo, v71, v2
	v_add_co_ci_u32_e32 v5, vcc_lo, v72, v3, vcc_lo
	flat_load_b64 v[4:5], v[4:5]
	s_waitcnt vmcnt(0) lgkmcnt(0)
	v_mul_f64 v[4:5], v[4:5], s[38:39]
	s_branch .LBB191_371
.LBB191_370:
	v_mov_b32_e32 v4, 0
	v_mov_b32_e32 v5, 0
.LBB191_371:
	s_waitcnt vmcnt(0)
	s_delay_alu instid0(VALU_DEP_1)
	v_add_f64 v[0:1], v[0:1], v[4:5]
	v_add_co_u32 v2, vcc_lo, v68, v2
	v_add_co_ci_u32_e32 v3, vcc_lo, v69, v3, vcc_lo
	global_store_b64 v[2:3], v[0:1], off
	s_or_b32 exec_lo, exec_lo, s0
	s_and_b32 s1, s8, s27
	s_delay_alu instid0(SALU_CYCLE_1)
	s_and_saveexec_b32 s0, s1
	s_cbranch_execz .LBB191_262
.LBB191_372:
	scratch_load_b64 v[0:1], off, off offset:464
	v_cmp_ne_u32_e32 vcc_lo, 1, v70
	v_lshlrev_b64 v[2:3], 3, v[52:53]
	s_cbranch_vccnz .LBB191_374
; %bb.373:
	s_delay_alu instid0(VALU_DEP_1) | instskip(NEXT) | instid1(VALU_DEP_2)
	v_add_co_u32 v4, vcc_lo, v71, v2
	v_add_co_ci_u32_e32 v5, vcc_lo, v72, v3, vcc_lo
	flat_load_b64 v[4:5], v[4:5]
	s_waitcnt vmcnt(0) lgkmcnt(0)
	v_mul_f64 v[4:5], v[4:5], s[38:39]
	s_branch .LBB191_375
.LBB191_374:
	v_mov_b32_e32 v4, 0
	v_mov_b32_e32 v5, 0
.LBB191_375:
	s_waitcnt vmcnt(0)
	s_delay_alu instid0(VALU_DEP_1)
	v_add_f64 v[0:1], v[0:1], v[4:5]
	v_add_co_u32 v2, vcc_lo, v68, v2
	v_add_co_ci_u32_e32 v3, vcc_lo, v69, v3, vcc_lo
	global_store_b64 v[2:3], v[0:1], off
	s_or_b32 exec_lo, exec_lo, s0
	s_and_b32 s1, s8, s28
	s_delay_alu instid0(SALU_CYCLE_1)
	s_and_saveexec_b32 s0, s1
	s_cbranch_execz .LBB191_263
.LBB191_376:
	scratch_load_b64 v[0:1], off, off offset:472
	v_cmp_ne_u32_e32 vcc_lo, 1, v70
	v_lshlrev_b64 v[2:3], 3, v[54:55]
	s_cbranch_vccnz .LBB191_378
; %bb.377:
	s_delay_alu instid0(VALU_DEP_1) | instskip(NEXT) | instid1(VALU_DEP_2)
	v_add_co_u32 v4, vcc_lo, v71, v2
	v_add_co_ci_u32_e32 v5, vcc_lo, v72, v3, vcc_lo
	flat_load_b64 v[4:5], v[4:5]
	s_waitcnt vmcnt(0) lgkmcnt(0)
	v_mul_f64 v[4:5], v[4:5], s[38:39]
	s_branch .LBB191_379
.LBB191_378:
	v_mov_b32_e32 v4, 0
	v_mov_b32_e32 v5, 0
.LBB191_379:
	s_waitcnt vmcnt(0)
	s_delay_alu instid0(VALU_DEP_1)
	v_add_f64 v[0:1], v[0:1], v[4:5]
	v_add_co_u32 v2, vcc_lo, v68, v2
	v_add_co_ci_u32_e32 v3, vcc_lo, v69, v3, vcc_lo
	global_store_b64 v[2:3], v[0:1], off
	s_or_b32 exec_lo, exec_lo, s0
	s_and_b32 s1, s8, s29
	s_delay_alu instid0(SALU_CYCLE_1)
	s_and_saveexec_b32 s0, s1
	s_cbranch_execz .LBB191_264
.LBB191_380:
	scratch_load_b64 v[0:1], off, off offset:480
	v_cmp_ne_u32_e32 vcc_lo, 1, v70
	v_lshlrev_b64 v[2:3], 3, v[56:57]
	s_cbranch_vccnz .LBB191_382
; %bb.381:
	s_delay_alu instid0(VALU_DEP_1) | instskip(NEXT) | instid1(VALU_DEP_2)
	v_add_co_u32 v4, vcc_lo, v71, v2
	v_add_co_ci_u32_e32 v5, vcc_lo, v72, v3, vcc_lo
	flat_load_b64 v[4:5], v[4:5]
	s_waitcnt vmcnt(0) lgkmcnt(0)
	v_mul_f64 v[4:5], v[4:5], s[38:39]
	s_branch .LBB191_383
.LBB191_382:
	v_mov_b32_e32 v4, 0
	v_mov_b32_e32 v5, 0
.LBB191_383:
	s_waitcnt vmcnt(0)
	s_delay_alu instid0(VALU_DEP_1)
	v_add_f64 v[0:1], v[0:1], v[4:5]
	v_add_co_u32 v2, vcc_lo, v68, v2
	v_add_co_ci_u32_e32 v3, vcc_lo, v69, v3, vcc_lo
	global_store_b64 v[2:3], v[0:1], off
	s_or_b32 exec_lo, exec_lo, s0
	s_and_b32 s1, s8, s30
	s_delay_alu instid0(SALU_CYCLE_1)
	s_and_saveexec_b32 s0, s1
	s_cbranch_execz .LBB191_265
.LBB191_384:
	scratch_load_b64 v[0:1], off, off offset:488
	v_cmp_ne_u32_e32 vcc_lo, 1, v70
	v_lshlrev_b64 v[2:3], 3, v[58:59]
	s_cbranch_vccnz .LBB191_386
; %bb.385:
	s_delay_alu instid0(VALU_DEP_1) | instskip(NEXT) | instid1(VALU_DEP_2)
	v_add_co_u32 v4, vcc_lo, v71, v2
	v_add_co_ci_u32_e32 v5, vcc_lo, v72, v3, vcc_lo
	flat_load_b64 v[4:5], v[4:5]
	s_waitcnt vmcnt(0) lgkmcnt(0)
	v_mul_f64 v[4:5], v[4:5], s[38:39]
	s_branch .LBB191_387
.LBB191_386:
	v_mov_b32_e32 v4, 0
	v_mov_b32_e32 v5, 0
.LBB191_387:
	s_waitcnt vmcnt(0)
	s_delay_alu instid0(VALU_DEP_1)
	v_add_f64 v[0:1], v[0:1], v[4:5]
	v_add_co_u32 v2, vcc_lo, v68, v2
	v_add_co_ci_u32_e32 v3, vcc_lo, v69, v3, vcc_lo
	global_store_b64 v[2:3], v[0:1], off
	s_or_b32 exec_lo, exec_lo, s0
	s_and_b32 s1, s8, s31
	s_delay_alu instid0(SALU_CYCLE_1)
	s_and_saveexec_b32 s0, s1
	s_cbranch_execz .LBB191_266
.LBB191_388:
	scratch_load_b64 v[0:1], off, off offset:496
	v_cmp_ne_u32_e32 vcc_lo, 1, v70
	v_lshlrev_b64 v[2:3], 3, v[60:61]
	s_cbranch_vccnz .LBB191_390
; %bb.389:
	s_delay_alu instid0(VALU_DEP_1) | instskip(NEXT) | instid1(VALU_DEP_2)
	v_add_co_u32 v4, vcc_lo, v71, v2
	v_add_co_ci_u32_e32 v5, vcc_lo, v72, v3, vcc_lo
	flat_load_b64 v[4:5], v[4:5]
	s_waitcnt vmcnt(0) lgkmcnt(0)
	v_mul_f64 v[4:5], v[4:5], s[38:39]
	s_branch .LBB191_391
.LBB191_390:
	v_mov_b32_e32 v4, 0
	v_mov_b32_e32 v5, 0
.LBB191_391:
	s_waitcnt vmcnt(0)
	s_delay_alu instid0(VALU_DEP_1)
	v_add_f64 v[0:1], v[0:1], v[4:5]
	v_add_co_u32 v2, vcc_lo, v68, v2
	v_add_co_ci_u32_e32 v3, vcc_lo, v69, v3, vcc_lo
	global_store_b64 v[2:3], v[0:1], off
	s_or_b32 exec_lo, exec_lo, s0
	s_and_b32 s0, s8, s33
	s_delay_alu instid0(SALU_CYCLE_1)
	s_and_saveexec_b32 s1, s0
	s_cbranch_execz .LBB191_267
.LBB191_392:
	scratch_load_b64 v[0:1], off, off offset:504
	v_cmp_ne_u32_e32 vcc_lo, 1, v70
	v_lshlrev_b64 v[2:3], 3, v[62:63]
	s_cbranch_vccnz .LBB191_394
; %bb.393:
	s_delay_alu instid0(VALU_DEP_1) | instskip(NEXT) | instid1(VALU_DEP_2)
	v_add_co_u32 v4, vcc_lo, v71, v2
	v_add_co_ci_u32_e32 v5, vcc_lo, v72, v3, vcc_lo
	flat_load_b64 v[4:5], v[4:5]
	s_waitcnt vmcnt(0) lgkmcnt(0)
	v_mul_f64 v[4:5], v[4:5], s[38:39]
	s_branch .LBB191_395
.LBB191_394:
	v_mov_b32_e32 v4, 0
	v_mov_b32_e32 v5, 0
.LBB191_395:
	s_waitcnt vmcnt(0)
	s_delay_alu instid0(VALU_DEP_1)
	v_add_f64 v[0:1], v[0:1], v[4:5]
	v_add_co_u32 v2, vcc_lo, v68, v2
	v_add_co_ci_u32_e32 v3, vcc_lo, v69, v3, vcc_lo
	global_store_b64 v[2:3], v[0:1], off
	s_endpgm
	.section	.rodata,"a",@progbits
	.p2align	6, 0x0
	.amdhsa_kernel _ZN12_GLOBAL__N_120geam_min_plus_kernelIdddLi4ELi64ELi128ELi128ELi4ELi4ELi64ELi4ELi64ELc84ELc78ELb0ELb1ELb0EdKddEEviiiT16_PT17_ilS4_ilS2_S4_ilPT18_ili26rocblas_geam_ex_operation_
		.amdhsa_group_segment_fixed_size 16384
		.amdhsa_private_segment_fixed_size 528
		.amdhsa_kernarg_size 136
		.amdhsa_user_sgpr_count 14
		.amdhsa_user_sgpr_dispatch_ptr 0
		.amdhsa_user_sgpr_queue_ptr 0
		.amdhsa_user_sgpr_kernarg_segment_ptr 1
		.amdhsa_user_sgpr_dispatch_id 0
		.amdhsa_user_sgpr_private_segment_size 0
		.amdhsa_wavefront_size32 1
		.amdhsa_uses_dynamic_stack 0
		.amdhsa_enable_private_segment 1
		.amdhsa_system_sgpr_workgroup_id_x 1
		.amdhsa_system_sgpr_workgroup_id_y 0
		.amdhsa_system_sgpr_workgroup_id_z 1
		.amdhsa_system_sgpr_workgroup_info 0
		.amdhsa_system_vgpr_workitem_id 1
		.amdhsa_next_free_vgpr 250
		.amdhsa_next_free_sgpr 46
		.amdhsa_reserve_vcc 1
		.amdhsa_float_round_mode_32 0
		.amdhsa_float_round_mode_16_64 0
		.amdhsa_float_denorm_mode_32 3
		.amdhsa_float_denorm_mode_16_64 3
		.amdhsa_dx10_clamp 1
		.amdhsa_ieee_mode 1
		.amdhsa_fp16_overflow 0
		.amdhsa_workgroup_processor_mode 1
		.amdhsa_memory_ordered 1
		.amdhsa_forward_progress 0
		.amdhsa_shared_vgpr_count 0
		.amdhsa_exception_fp_ieee_invalid_op 0
		.amdhsa_exception_fp_denorm_src 0
		.amdhsa_exception_fp_ieee_div_zero 0
		.amdhsa_exception_fp_ieee_overflow 0
		.amdhsa_exception_fp_ieee_underflow 0
		.amdhsa_exception_fp_ieee_inexact 0
		.amdhsa_exception_int_div_zero 0
	.end_amdhsa_kernel
	.section	.text._ZN12_GLOBAL__N_120geam_min_plus_kernelIdddLi4ELi64ELi128ELi128ELi4ELi4ELi64ELi4ELi64ELc84ELc78ELb0ELb1ELb0EdKddEEviiiT16_PT17_ilS4_ilS2_S4_ilPT18_ili26rocblas_geam_ex_operation_,"axG",@progbits,_ZN12_GLOBAL__N_120geam_min_plus_kernelIdddLi4ELi64ELi128ELi128ELi4ELi4ELi64ELi4ELi64ELc84ELc78ELb0ELb1ELb0EdKddEEviiiT16_PT17_ilS4_ilS2_S4_ilPT18_ili26rocblas_geam_ex_operation_,comdat
.Lfunc_end191:
	.size	_ZN12_GLOBAL__N_120geam_min_plus_kernelIdddLi4ELi64ELi128ELi128ELi4ELi4ELi64ELi4ELi64ELc84ELc78ELb0ELb1ELb0EdKddEEviiiT16_PT17_ilS4_ilS2_S4_ilPT18_ili26rocblas_geam_ex_operation_, .Lfunc_end191-_ZN12_GLOBAL__N_120geam_min_plus_kernelIdddLi4ELi64ELi128ELi128ELi4ELi4ELi64ELi4ELi64ELc84ELc78ELb0ELb1ELb0EdKddEEviiiT16_PT17_ilS4_ilS2_S4_ilPT18_ili26rocblas_geam_ex_operation_
                                        ; -- End function
	.section	.AMDGPU.csdata,"",@progbits
; Kernel info:
; codeLenInByte = 47304
; NumSgprs: 48
; NumVgprs: 250
; ScratchSize: 528
; MemoryBound: 1
; FloatMode: 240
; IeeeMode: 1
; LDSByteSize: 16384 bytes/workgroup (compile time only)
; SGPRBlocks: 5
; VGPRBlocks: 31
; NumSGPRsForWavesPerEU: 48
; NumVGPRsForWavesPerEU: 250
; Occupancy: 5
; WaveLimiterHint : 1
; COMPUTE_PGM_RSRC2:SCRATCH_EN: 1
; COMPUTE_PGM_RSRC2:USER_SGPR: 14
; COMPUTE_PGM_RSRC2:TRAP_HANDLER: 0
; COMPUTE_PGM_RSRC2:TGID_X_EN: 1
; COMPUTE_PGM_RSRC2:TGID_Y_EN: 0
; COMPUTE_PGM_RSRC2:TGID_Z_EN: 1
; COMPUTE_PGM_RSRC2:TIDIG_COMP_CNT: 1
	.section	.text._ZN12_GLOBAL__N_120geam_min_plus_kernelIdddLi4ELi64ELi128ELi128ELi4ELi64ELi4ELi64ELi4ELc78ELc84ELb0ELb0ELb0EPKdS1_dEEviiiT16_PT17_ilS5_ilS3_S5_ilPT18_ili26rocblas_geam_ex_operation_,"axG",@progbits,_ZN12_GLOBAL__N_120geam_min_plus_kernelIdddLi4ELi64ELi128ELi128ELi4ELi64ELi4ELi64ELi4ELc78ELc84ELb0ELb0ELb0EPKdS1_dEEviiiT16_PT17_ilS5_ilS3_S5_ilPT18_ili26rocblas_geam_ex_operation_,comdat
	.globl	_ZN12_GLOBAL__N_120geam_min_plus_kernelIdddLi4ELi64ELi128ELi128ELi4ELi64ELi4ELi64ELi4ELc78ELc84ELb0ELb0ELb0EPKdS1_dEEviiiT16_PT17_ilS5_ilS3_S5_ilPT18_ili26rocblas_geam_ex_operation_ ; -- Begin function _ZN12_GLOBAL__N_120geam_min_plus_kernelIdddLi4ELi64ELi128ELi128ELi4ELi64ELi4ELi64ELi4ELc78ELc84ELb0ELb0ELb0EPKdS1_dEEviiiT16_PT17_ilS5_ilS3_S5_ilPT18_ili26rocblas_geam_ex_operation_
	.p2align	8
	.type	_ZN12_GLOBAL__N_120geam_min_plus_kernelIdddLi4ELi64ELi128ELi128ELi4ELi64ELi4ELi64ELi4ELc78ELc84ELb0ELb0ELb0EPKdS1_dEEviiiT16_PT17_ilS5_ilS3_S5_ilPT18_ili26rocblas_geam_ex_operation_,@function
_ZN12_GLOBAL__N_120geam_min_plus_kernelIdddLi4ELi64ELi128ELi128ELi4ELi64ELi4ELi64ELi4ELc78ELc84ELb0ELb0ELb0EPKdS1_dEEviiiT16_PT17_ilS5_ilS3_S5_ilPT18_ili26rocblas_geam_ex_operation_: ; @_ZN12_GLOBAL__N_120geam_min_plus_kernelIdddLi4ELi64ELi128ELi128ELi4ELi64ELi4ELi64ELi4ELc78ELc84ELb0ELb0ELb0EPKdS1_dEEviiiT16_PT17_ilS5_ilS3_S5_ilPT18_ili26rocblas_geam_ex_operation_
; %bb.0:
	s_clause 0x1
	s_load_b128 s[8:11], s[0:1], 0x10
	s_load_b128 s[4:7], s[0:1], 0x28
	s_mov_b32 s12, s15
	s_mov_b32 s13, 0
	s_mov_b64 s[22:23], 0
	s_lshl_b64 s[2:3], s[12:13], 3
	s_waitcnt lgkmcnt(0)
	s_add_u32 s8, s8, s2
	s_addc_u32 s9, s9, s3
	s_load_b64 s[20:21], s[8:9], 0x0
	s_clause 0x1
	s_load_b128 s[16:19], s[0:1], 0x40
	s_load_b64 s[24:25], s[0:1], 0x50
	s_waitcnt lgkmcnt(0)
	s_add_u32 s2, s18, s2
	v_cmp_eq_f64_e64 s8, s[20:21], 0
	v_cmp_neq_f64_e64 s27, s[20:21], 0
	s_addc_u32 s3, s19, s3
	s_mov_b64 s[18:19], 0
	s_delay_alu instid0(VALU_DEP_2)
	s_and_b32 vcc_lo, exec_lo, s8
	s_cbranch_vccnz .LBB192_2
; %bb.1:
	s_mul_i32 s5, s12, s5
	s_mul_hi_u32 s8, s12, s4
	s_mul_i32 s4, s12, s4
	s_add_i32 s5, s8, s5
	s_delay_alu instid0(SALU_CYCLE_1) | instskip(NEXT) | instid1(SALU_CYCLE_1)
	s_lshl_b64 s[4:5], s[4:5], 3
	s_add_u32 s22, s10, s4
	s_addc_u32 s23, s11, s5
.LBB192_2:
	s_load_b64 s[8:9], s[2:3], 0x0
	s_delay_alu instid0(VALU_DEP_1) | instskip(SKIP_1) | instid1(VALU_DEP_1)
	v_cndmask_b32_e64 v1, 0, 1, s27
	s_and_not1_b32 vcc_lo, exec_lo, s27
	v_cmp_ne_u32_e64 s2, 1, v1
	s_cbranch_vccnz .LBB192_4
; %bb.3:
	s_mul_i32 s3, s12, s17
	s_mul_hi_u32 s4, s12, s16
	s_delay_alu instid0(SALU_CYCLE_1) | instskip(SKIP_1) | instid1(SALU_CYCLE_1)
	s_add_i32 s5, s4, s3
	s_mul_i32 s4, s12, s16
	s_lshl_b64 s[4:5], s[4:5], 3
	s_delay_alu instid0(SALU_CYCLE_1)
	s_add_u32 s18, s6, s4
	s_addc_u32 s19, s7, s5
.LBB192_4:
	s_waitcnt lgkmcnt(0)
	v_cmp_eq_f64_e64 s3, s[8:9], 0
	s_load_b128 s[4:7], s[0:1], 0x60
	s_mov_b64 s[10:11], 0
	s_delay_alu instid0(VALU_DEP_1)
	s_and_b32 vcc_lo, exec_lo, s3
	s_cbranch_vccnz .LBB192_6
; %bb.5:
	s_waitcnt lgkmcnt(0)
	s_mul_i32 s3, s12, s5
	s_mul_hi_u32 s5, s12, s4
	s_mul_i32 s4, s12, s4
	s_add_i32 s5, s5, s3
	s_delay_alu instid0(SALU_CYCLE_1) | instskip(NEXT) | instid1(SALU_CYCLE_1)
	s_lshl_b64 s[4:5], s[4:5], 3
	s_add_u32 s10, s24, s4
	s_addc_u32 s11, s25, s5
.LBB192_6:
	s_clause 0x1
	s_load_b32 s3, s[0:1], 0x0
	s_load_b32 s16, s[0:1], 0x20
	s_waitcnt lgkmcnt(0)
	s_mov_b32 s4, 0
	v_bfe_u32 v81, v0, 10, 10
	s_mov_b32 s5, s4
	v_and_b32_e32 v80, 0x3ff, v0
	v_dual_mov_b32 v0, s4 :: v_dual_mov_b32 v1, s5
	s_delay_alu instid0(VALU_DEP_2) | instskip(NEXT) | instid1(VALU_DEP_1)
	v_lshl_add_u32 v2, v81, 2, v80
	v_and_b32_e32 v89, 63, v2
	v_lshrrev_b32_e32 v82, 6, v2
	s_add_i32 s3, s3, -1
	s_ashr_i32 s17, s16, 31
	s_ashr_i32 s4, s3, 31
	s_delay_alu instid0(SALU_CYCLE_1) | instskip(NEXT) | instid1(SALU_CYCLE_1)
	s_lshr_b32 s4, s4, 25
	s_add_i32 s3, s3, s4
	s_delay_alu instid0(SALU_CYCLE_1) | instskip(NEXT) | instid1(SALU_CYCLE_1)
	s_ashr_i32 s3, s3, 7
	s_add_i32 s4, s3, 1
	s_not_b32 s3, s3
	v_cvt_f32_u32_e32 v3, s4
	s_delay_alu instid0(VALU_DEP_1)
	v_rcp_iflag_f32_e32 v3, v3
	s_waitcnt_depctr 0xfff
	v_mul_f32_e32 v3, 0x4f7ffffe, v3
	s_clause 0xf
	scratch_store_b64 off, v[0:1], off
	scratch_store_b64 off, v[0:1], off offset:8
	scratch_store_b64 off, v[0:1], off offset:16
	;; [unrolled: 1-line block ×15, first 2 shown]
	v_cvt_u32_f32_e32 v3, v3
	s_clause 0xe
	scratch_store_b64 off, v[0:1], off offset:128
	scratch_store_b64 off, v[0:1], off offset:136
	;; [unrolled: 1-line block ×15, first 2 shown]
	v_readfirstlane_b32 s5, v3
	s_clause 0xd
	scratch_store_b64 off, v[0:1], off offset:248
	scratch_store_b64 off, v[0:1], off offset:256
	scratch_store_b64 off, v[0:1], off offset:264
	scratch_store_b64 off, v[0:1], off offset:272
	scratch_store_b64 off, v[0:1], off offset:280
	scratch_store_b64 off, v[0:1], off offset:288
	scratch_store_b64 off, v[0:1], off offset:296
	scratch_store_b64 off, v[0:1], off offset:304
	scratch_store_b64 off, v[0:1], off offset:312
	scratch_store_b64 off, v[0:1], off offset:320
	scratch_store_b64 off, v[0:1], off offset:328
	scratch_store_b64 off, v[0:1], off offset:336
	scratch_store_b64 off, v[0:1], off offset:344
	scratch_store_b64 off, v[0:1], off offset:352
	s_mul_i32 s3, s3, s5
	s_clause 0x3
	scratch_store_b64 off, v[0:1], off offset:360
	scratch_store_b64 off, v[0:1], off offset:368
	;; [unrolled: 1-line block ×4, first 2 shown]
	s_mul_hi_u32 s3, s5, s3
	s_clause 0x7
	scratch_store_b64 off, v[0:1], off offset:392
	scratch_store_b64 off, v[0:1], off offset:400
	;; [unrolled: 1-line block ×8, first 2 shown]
	s_add_i32 s5, s5, s3
	s_clause 0x3
	scratch_store_b64 off, v[0:1], off offset:456
	scratch_store_b64 off, v[0:1], off offset:464
	;; [unrolled: 1-line block ×4, first 2 shown]
	s_mul_hi_u32 s3, s14, s5
	scratch_store_b64 off, v[0:1], off offset:488
	s_mul_i32 s5, s3, s4
	s_add_i32 s13, s3, 1
	s_sub_i32 s5, s14, s5
	s_clause 0x1
	scratch_store_b64 off, v[0:1], off offset:496
	scratch_store_b64 off, v[0:1], off offset:504
	s_sub_i32 s15, s5, s4
	s_cmp_ge_u32 s5, s4
	s_cselect_b32 s3, s13, s3
	s_cselect_b32 s5, s15, s5
	s_add_i32 s13, s3, 1
	s_cmp_ge_u32 s5, s4
	s_cselect_b32 s3, s13, s3
	s_and_b32 vcc_lo, exec_lo, s2
	s_mul_i32 s4, s3, s4
	s_delay_alu instid0(SALU_CYCLE_1) | instskip(NEXT) | instid1(SALU_CYCLE_1)
	s_sub_i32 s4, s14, s4
	s_lshl_b32 s13, s4, 7
	s_delay_alu instid0(SALU_CYCLE_1) | instskip(NEXT) | instid1(VALU_DEP_1)
	v_or_b32_e32 v68, s13, v89
	v_ashrrev_i32_e32 v69, 31, v68
	s_cbranch_vccnz .LBB192_8
; %bb.7:
	v_mad_i64_i32 v[0:1], null, s16, v82, 0
	s_delay_alu instid0(VALU_DEP_2) | instskip(NEXT) | instid1(VALU_DEP_2)
	v_lshlrev_b64 v[2:3], 3, v[68:69]
	v_lshlrev_b64 v[0:1], 3, v[0:1]
	s_delay_alu instid0(VALU_DEP_1) | instskip(NEXT) | instid1(VALU_DEP_2)
	v_add_co_u32 v0, vcc_lo, s22, v0
	v_add_co_ci_u32_e32 v1, vcc_lo, s23, v1, vcc_lo
	s_delay_alu instid0(VALU_DEP_2) | instskip(NEXT) | instid1(VALU_DEP_2)
	v_add_co_u32 v0, vcc_lo, v0, v2
	v_add_co_ci_u32_e32 v1, vcc_lo, v1, v3, vcc_lo
	s_clause 0x1
	flat_load_b64 v[2:3], v[0:1]
	flat_load_b64 v[4:5], v[0:1] offset:512
	s_waitcnt vmcnt(1) lgkmcnt(1)
	v_mul_f64 v[0:1], s[20:21], v[2:3]
	s_waitcnt vmcnt(0) lgkmcnt(0)
	v_mul_f64 v[2:3], s[20:21], v[4:5]
	s_branch .LBB192_9
.LBB192_8:
	v_mov_b32_e32 v0, 0
	v_dual_mov_b32 v1, 0 :: v_dual_mov_b32 v2, 0
	v_mov_b32_e32 v3, 0
.LBB192_9:
	s_load_b32 s24, s[0:1], 0x38
	s_lshl_b32 s14, s3, 7
	s_and_b32 vcc_lo, exec_lo, s2
	v_or_b32_e32 v70, s14, v89
	s_delay_alu instid0(VALU_DEP_1)
	v_ashrrev_i32_e32 v71, 31, v70
	s_waitcnt lgkmcnt(0)
	s_ashr_i32 s25, s24, 31
	s_cbranch_vccnz .LBB192_13
; %bb.10:
	v_mad_i64_i32 v[4:5], null, s24, v82, 0
	v_lshlrev_b64 v[6:7], 3, v[70:71]
	s_delay_alu instid0(VALU_DEP_2) | instskip(NEXT) | instid1(VALU_DEP_1)
	v_lshlrev_b64 v[4:5], 3, v[4:5]
	v_add_co_u32 v4, vcc_lo, s18, v4
	s_delay_alu instid0(VALU_DEP_2) | instskip(NEXT) | instid1(VALU_DEP_2)
	v_add_co_ci_u32_e32 v5, vcc_lo, s19, v5, vcc_lo
	v_add_co_u32 v4, vcc_lo, v4, v6
	s_delay_alu instid0(VALU_DEP_2)
	v_add_co_ci_u32_e32 v5, vcc_lo, v5, v7, vcc_lo
	s_clause 0x1
	flat_load_b64 v[6:7], v[4:5]
	flat_load_b64 v[8:9], v[4:5] offset:512
	s_waitcnt vmcnt(1) lgkmcnt(1)
	v_mul_f64 v[4:5], s[20:21], v[6:7]
	s_waitcnt vmcnt(0) lgkmcnt(0)
	v_mul_f64 v[6:7], s[20:21], v[8:9]
	v_add_nc_u32_e32 v83, 4, v82
	s_and_b32 vcc_lo, exec_lo, s2
	s_cbranch_vccnz .LBB192_14
.LBB192_11:
	s_delay_alu instid0(VALU_DEP_1) | instskip(SKIP_1) | instid1(VALU_DEP_2)
	v_mad_i64_i32 v[8:9], null, s16, v83, 0
	v_lshlrev_b64 v[10:11], 3, v[68:69]
	v_lshlrev_b64 v[8:9], 3, v[8:9]
	s_delay_alu instid0(VALU_DEP_1) | instskip(NEXT) | instid1(VALU_DEP_2)
	v_add_co_u32 v8, vcc_lo, s22, v8
	v_add_co_ci_u32_e32 v9, vcc_lo, s23, v9, vcc_lo
	s_delay_alu instid0(VALU_DEP_2) | instskip(NEXT) | instid1(VALU_DEP_2)
	v_add_co_u32 v8, vcc_lo, v8, v10
	v_add_co_ci_u32_e32 v9, vcc_lo, v9, v11, vcc_lo
	s_clause 0x1
	flat_load_b64 v[10:11], v[8:9]
	flat_load_b64 v[8:9], v[8:9] offset:512
	s_waitcnt vmcnt(1) lgkmcnt(1)
	v_mul_f64 v[72:73], s[20:21], v[10:11]
	s_waitcnt vmcnt(0) lgkmcnt(0)
	v_mul_f64 v[74:75], s[20:21], v[8:9]
	s_and_b32 vcc_lo, exec_lo, s2
	s_mov_b64 s[4:5], 0
	s_cbranch_vccnz .LBB192_15
.LBB192_12:
	v_mad_i64_i32 v[8:9], null, s24, v83, 0
	v_lshlrev_b64 v[10:11], 3, v[70:71]
	s_delay_alu instid0(VALU_DEP_2) | instskip(NEXT) | instid1(VALU_DEP_1)
	v_lshlrev_b64 v[8:9], 3, v[8:9]
	v_add_co_u32 v8, vcc_lo, s18, v8
	s_delay_alu instid0(VALU_DEP_2) | instskip(NEXT) | instid1(VALU_DEP_2)
	v_add_co_ci_u32_e32 v9, vcc_lo, s19, v9, vcc_lo
	v_add_co_u32 v8, vcc_lo, v8, v10
	s_delay_alu instid0(VALU_DEP_2)
	v_add_co_ci_u32_e32 v9, vcc_lo, v9, v11, vcc_lo
	s_clause 0x1
	flat_load_b64 v[10:11], v[8:9]
	flat_load_b64 v[8:9], v[8:9] offset:512
	s_waitcnt vmcnt(1) lgkmcnt(1)
	v_mul_f64 v[76:77], s[20:21], v[10:11]
	s_waitcnt vmcnt(0) lgkmcnt(0)
	v_mul_f64 v[78:79], s[20:21], v[8:9]
	s_branch .LBB192_16
.LBB192_13:
	v_mov_b32_e32 v4, 0
	v_dual_mov_b32 v5, 0 :: v_dual_mov_b32 v6, 0
	v_mov_b32_e32 v7, 0
	v_add_nc_u32_e32 v83, 4, v82
	s_and_b32 vcc_lo, exec_lo, s2
	s_cbranch_vccz .LBB192_11
.LBB192_14:
	v_mov_b32_e32 v72, 0
	v_dual_mov_b32 v73, 0 :: v_dual_mov_b32 v74, 0
	v_mov_b32_e32 v75, 0
	s_and_b32 vcc_lo, exec_lo, s2
	s_mov_b64 s[4:5], 0
	s_cbranch_vccz .LBB192_12
.LBB192_15:
	v_mov_b32_e32 v76, 0
	v_dual_mov_b32 v77, 0 :: v_dual_mov_b32 v78, 0
	v_mov_b32_e32 v79, 0
.LBB192_16:
	v_cmp_neq_f64_e64 s15, s[8:9], 0
	v_dual_mov_b32 v91, 8 :: v_dual_lshlrev_b32 v8, 3, v82
	v_dual_mov_b32 v93, 24 :: v_dual_lshlrev_b32 v84, 5, v80
	v_mov_b32_e32 v95, 40
	s_delay_alu instid0(VALU_DEP_3) | instskip(SKIP_1) | instid1(VALU_DEP_4)
	v_lshl_add_u32 v85, v89, 5, v8
	v_dual_mov_b32 v97, 56 :: v_dual_lshlrev_b32 v86, 5, v81
	v_add_nc_u32_e32 v48, 0x800, v84
	v_dual_mov_b32 v90, 0 :: v_dual_mov_b32 v99, 0x48
	ds_store_2addr_stride64_b64 v85, v[0:1], v[2:3] offset1:4
	ds_store_2addr_stride64_b64 v85, v[4:5], v[6:7] offset0:16 offset1:20
	s_waitcnt lgkmcnt(0)
	s_waitcnt_vscnt null, 0x0
	s_barrier
	buffer_gl0_inv
	ds_load_2addr_b64 v[0:3], v84 offset1:16
	ds_load_2addr_b64 v[4:7], v84 offset0:32 offset1:48
	ds_load_2addr_b64 v[8:11], v84 offset0:64 offset1:80
	;; [unrolled: 1-line block ×4, first 2 shown]
	ds_load_2addr_b64 v[20:23], v48 offset1:16
	ds_load_2addr_b64 v[24:27], v48 offset0:32 offset1:48
	ds_load_2addr_b64 v[28:31], v48 offset0:64 offset1:80
	;; [unrolled: 1-line block ×10, first 2 shown]
	ds_load_2addr_stride64_b64 v[64:67], v86 offset0:16 offset1:20
	v_or_b32_e32 v87, 0x2000, v85
	v_add_nc_u32_e32 v88, 0x2000, v86
	v_dual_mov_b32 v92, 16 :: v_dual_mov_b32 v101, 0x58
	v_dual_mov_b32 v94, 32 :: v_dual_mov_b32 v103, 0x68
	v_dual_mov_b32 v96, 48 :: v_dual_mov_b32 v105, 0x78
	v_dual_mov_b32 v98, 64 :: v_dual_mov_b32 v107, 0x88
	v_mov_b32_e32 v100, 0x50
	v_mov_b32_e32 v102, 0x60
	;; [unrolled: 1-line block ×18, first 2 shown]
	s_mov_b32 s3, -1
.LBB192_17:                             ; =>This Inner Loop Header: Depth=1
	scratch_load_b64 v[122:123], v90, off
	scratch_load_b64 v[124:125], v91, off
	;; [unrolled: 1-line block ×32, first 2 shown]
	s_cmp_eq_u32 s4, 1
	s_waitcnt lgkmcnt(16)
	v_max_f64 v[188:189], v[0:1], v[0:1]
	s_cselect_b32 vcc_lo, -1, 0
	v_max_f64 v[190:191], v[2:3], v[2:3]
	s_waitcnt lgkmcnt(0)
	v_dual_cndmask_b32 v187, v65, v67 :: v_dual_cndmask_b32 v186, v64, v66
	v_max_f64 v[192:193], v[4:5], v[4:5]
	v_max_f64 v[194:195], v[6:7], v[6:7]
	;; [unrolled: 1-line block ×31, first 2 shown]
	s_mov_b64 s[4:5], 1
	s_and_b32 vcc_lo, exec_lo, s3
	s_mov_b32 s3, 0
	v_min_f64 v[188:189], v[188:189], v[186:187]
	v_min_f64 v[190:191], v[190:191], v[186:187]
	v_min_f64 v[192:193], v[192:193], v[186:187]
	v_min_f64 v[194:195], v[194:195], v[186:187]
	v_min_f64 v[196:197], v[196:197], v[186:187]
	v_min_f64 v[198:199], v[198:199], v[186:187]
	v_min_f64 v[200:201], v[200:201], v[186:187]
	v_min_f64 v[202:203], v[202:203], v[186:187]
	v_min_f64 v[204:205], v[204:205], v[186:187]
	v_min_f64 v[206:207], v[206:207], v[186:187]
	v_min_f64 v[208:209], v[208:209], v[186:187]
	v_min_f64 v[210:211], v[210:211], v[186:187]
	v_min_f64 v[212:213], v[212:213], v[186:187]
	v_min_f64 v[214:215], v[214:215], v[186:187]
	v_min_f64 v[216:217], v[216:217], v[186:187]
	v_min_f64 v[218:219], v[218:219], v[186:187]
	v_min_f64 v[220:221], v[220:221], v[186:187]
	v_min_f64 v[222:223], v[222:223], v[186:187]
	v_min_f64 v[224:225], v[224:225], v[186:187]
	v_min_f64 v[226:227], v[226:227], v[186:187]
	v_min_f64 v[228:229], v[228:229], v[186:187]
	v_min_f64 v[230:231], v[230:231], v[186:187]
	v_min_f64 v[232:233], v[232:233], v[186:187]
	v_min_f64 v[234:235], v[234:235], v[186:187]
	v_min_f64 v[236:237], v[236:237], v[186:187]
	v_min_f64 v[238:239], v[238:239], v[186:187]
	v_min_f64 v[240:241], v[240:241], v[186:187]
	v_min_f64 v[242:243], v[242:243], v[186:187]
	v_min_f64 v[244:245], v[244:245], v[186:187]
	v_min_f64 v[246:247], v[246:247], v[186:187]
	v_min_f64 v[248:249], v[248:249], v[186:187]
	v_min_f64 v[186:187], v[250:251], v[186:187]
	s_waitcnt vmcnt(31)
	v_add_f64 v[122:123], v[122:123], v[188:189]
	s_waitcnt vmcnt(30)
	v_add_f64 v[124:125], v[190:191], v[124:125]
	s_waitcnt vmcnt(29)
	v_add_f64 v[126:127], v[192:193], v[126:127]
	s_waitcnt vmcnt(28)
	v_add_f64 v[128:129], v[194:195], v[128:129]
	s_waitcnt vmcnt(27)
	v_add_f64 v[130:131], v[196:197], v[130:131]
	s_waitcnt vmcnt(26)
	v_add_f64 v[132:133], v[198:199], v[132:133]
	s_waitcnt vmcnt(25)
	v_add_f64 v[134:135], v[200:201], v[134:135]
	s_waitcnt vmcnt(24)
	v_add_f64 v[136:137], v[202:203], v[136:137]
	s_waitcnt vmcnt(23)
	v_add_f64 v[138:139], v[204:205], v[138:139]
	s_waitcnt vmcnt(22)
	v_add_f64 v[140:141], v[206:207], v[140:141]
	s_waitcnt vmcnt(21)
	v_add_f64 v[142:143], v[208:209], v[142:143]
	s_waitcnt vmcnt(20)
	v_add_f64 v[144:145], v[210:211], v[144:145]
	s_waitcnt vmcnt(19)
	v_add_f64 v[146:147], v[212:213], v[146:147]
	s_waitcnt vmcnt(18)
	v_add_f64 v[148:149], v[214:215], v[148:149]
	s_waitcnt vmcnt(17)
	v_add_f64 v[150:151], v[216:217], v[150:151]
	s_waitcnt vmcnt(16)
	v_add_f64 v[152:153], v[218:219], v[152:153]
	s_waitcnt vmcnt(15)
	v_add_f64 v[154:155], v[220:221], v[154:155]
	s_waitcnt vmcnt(14)
	v_add_f64 v[156:157], v[222:223], v[156:157]
	s_waitcnt vmcnt(13)
	v_add_f64 v[158:159], v[224:225], v[158:159]
	s_waitcnt vmcnt(12)
	v_add_f64 v[160:161], v[226:227], v[160:161]
	s_waitcnt vmcnt(11)
	v_add_f64 v[162:163], v[228:229], v[162:163]
	s_waitcnt vmcnt(10)
	v_add_f64 v[164:165], v[230:231], v[164:165]
	s_waitcnt vmcnt(9)
	v_add_f64 v[166:167], v[232:233], v[166:167]
	s_waitcnt vmcnt(8)
	v_add_f64 v[168:169], v[234:235], v[168:169]
	s_waitcnt vmcnt(7)
	v_add_f64 v[170:171], v[236:237], v[170:171]
	s_waitcnt vmcnt(6)
	v_add_f64 v[172:173], v[238:239], v[172:173]
	s_waitcnt vmcnt(5)
	v_add_f64 v[174:175], v[240:241], v[174:175]
	s_waitcnt vmcnt(4)
	v_add_f64 v[176:177], v[242:243], v[176:177]
	s_waitcnt vmcnt(3)
	v_add_f64 v[178:179], v[244:245], v[178:179]
	s_waitcnt vmcnt(2)
	v_add_f64 v[180:181], v[246:247], v[180:181]
	s_waitcnt vmcnt(1)
	v_add_f64 v[182:183], v[248:249], v[182:183]
	s_waitcnt vmcnt(0)
	v_add_f64 v[184:185], v[186:187], v[184:185]
	scratch_store_b64 v90, v[122:123], off
	scratch_store_b64 v91, v[124:125], off
	;; [unrolled: 1-line block ×32, first 2 shown]
	v_mov_b32_e32 v90, 0x100
	v_mov_b32_e32 v91, 0x108
	;; [unrolled: 1-line block ×32, first 2 shown]
	s_cbranch_vccnz .LBB192_17
; %bb.18:
	v_dual_mov_b32 v91, 8 :: v_dual_add_nc_u32 v60, 0x800, v84
	ds_load_2addr_b64 v[0:3], v84 offset0:1 offset1:17
	ds_load_2addr_b64 v[4:7], v84 offset0:33 offset1:49
	;; [unrolled: 1-line block ×12, first 2 shown]
	v_dual_mov_b32 v93, 24 :: v_dual_add_nc_u32 v64, 8, v88
	ds_load_2addr_b64 v[48:51], v60 offset0:129 offset1:145
	ds_load_2addr_b64 v[52:55], v60 offset0:161 offset1:177
	;; [unrolled: 1-line block ×4, first 2 shown]
	ds_load_2addr_stride64_b64 v[64:67], v64 offset1:4
	v_dual_mov_b32 v90, 0 :: v_dual_mov_b32 v95, 40
	v_dual_mov_b32 v92, 16 :: v_dual_mov_b32 v97, 56
	;; [unrolled: 1-line block ×5, first 2 shown]
	v_mov_b32_e32 v100, 0x50
	v_mov_b32_e32 v102, 0x60
	;; [unrolled: 1-line block ×20, first 2 shown]
	s_mov_b64 s[4:5], 0
	s_mov_b32 s3, -1
.LBB192_19:                             ; =>This Inner Loop Header: Depth=1
	scratch_load_b64 v[122:123], v90, off
	scratch_load_b64 v[124:125], v91, off
	;; [unrolled: 1-line block ×32, first 2 shown]
	s_cmp_eq_u32 s4, 1
	s_waitcnt lgkmcnt(16)
	v_max_f64 v[188:189], v[0:1], v[0:1]
	s_cselect_b32 vcc_lo, -1, 0
	v_max_f64 v[190:191], v[2:3], v[2:3]
	s_waitcnt lgkmcnt(0)
	v_dual_cndmask_b32 v187, v65, v67 :: v_dual_cndmask_b32 v186, v64, v66
	v_max_f64 v[192:193], v[4:5], v[4:5]
	v_max_f64 v[194:195], v[6:7], v[6:7]
	;; [unrolled: 1-line block ×31, first 2 shown]
	s_mov_b64 s[4:5], 1
	s_and_b32 vcc_lo, exec_lo, s3
	s_mov_b32 s3, 0
	v_min_f64 v[188:189], v[188:189], v[186:187]
	v_min_f64 v[190:191], v[190:191], v[186:187]
	;; [unrolled: 1-line block ×32, first 2 shown]
	s_waitcnt vmcnt(31)
	v_add_f64 v[122:123], v[122:123], v[188:189]
	s_waitcnt vmcnt(30)
	v_add_f64 v[124:125], v[190:191], v[124:125]
	;; [unrolled: 2-line block ×32, first 2 shown]
	scratch_store_b64 v90, v[122:123], off
	scratch_store_b64 v91, v[124:125], off
	scratch_store_b64 v92, v[126:127], off
	scratch_store_b64 v93, v[128:129], off
	scratch_store_b64 v94, v[130:131], off
	scratch_store_b64 v95, v[132:133], off
	scratch_store_b64 v96, v[134:135], off
	scratch_store_b64 v97, v[136:137], off
	scratch_store_b64 v98, v[138:139], off
	scratch_store_b64 v99, v[140:141], off
	scratch_store_b64 v100, v[142:143], off
	scratch_store_b64 v101, v[144:145], off
	scratch_store_b64 v102, v[146:147], off
	scratch_store_b64 v103, v[148:149], off
	scratch_store_b64 v104, v[150:151], off
	scratch_store_b64 v105, v[152:153], off
	scratch_store_b64 v106, v[154:155], off
	scratch_store_b64 v107, v[156:157], off
	scratch_store_b64 v108, v[158:159], off
	scratch_store_b64 v109, v[160:161], off
	scratch_store_b64 v110, v[162:163], off
	scratch_store_b64 v111, v[164:165], off
	scratch_store_b64 v112, v[166:167], off
	scratch_store_b64 v113, v[168:169], off
	scratch_store_b64 v114, v[170:171], off
	scratch_store_b64 v115, v[172:173], off
	scratch_store_b64 v116, v[174:175], off
	scratch_store_b64 v117, v[176:177], off
	scratch_store_b64 v118, v[178:179], off
	scratch_store_b64 v119, v[180:181], off
	scratch_store_b64 v120, v[182:183], off
	scratch_store_b64 v121, v[184:185], off
	v_mov_b32_e32 v90, 0x100
	v_mov_b32_e32 v91, 0x108
	v_mov_b32_e32 v92, 0x110
	v_mov_b32_e32 v93, 0x118
	v_mov_b32_e32 v94, 0x120
	v_mov_b32_e32 v95, 0x128
	v_mov_b32_e32 v96, 0x130
	v_mov_b32_e32 v97, 0x138
	v_mov_b32_e32 v98, 0x140
	v_mov_b32_e32 v99, 0x148
	v_mov_b32_e32 v100, 0x150
	v_mov_b32_e32 v101, 0x158
	v_mov_b32_e32 v102, 0x160
	v_mov_b32_e32 v103, 0x168
	v_mov_b32_e32 v104, 0x170
	v_mov_b32_e32 v105, 0x178
	v_mov_b32_e32 v106, 0x180
	v_mov_b32_e32 v107, 0x188
	v_mov_b32_e32 v108, 0x190
	v_mov_b32_e32 v109, 0x198
	v_mov_b32_e32 v110, 0x1a0
	v_mov_b32_e32 v111, 0x1a8
	v_mov_b32_e32 v112, 0x1b0
	v_mov_b32_e32 v113, 0x1b8
	v_mov_b32_e32 v114, 0x1c0
	v_mov_b32_e32 v115, 0x1c8
	v_mov_b32_e32 v116, 0x1d0
	v_mov_b32_e32 v117, 0x1d8
	v_mov_b32_e32 v118, 0x1e0
	v_mov_b32_e32 v119, 0x1e8
	v_mov_b32_e32 v120, 0x1f0
	v_mov_b32_e32 v121, 0x1f8
	s_cbranch_vccnz .LBB192_19
; %bb.20:
	v_dual_mov_b32 v91, 8 :: v_dual_add_nc_u32 v60, 0x800, v84
	ds_load_2addr_b64 v[0:3], v84 offset0:2 offset1:18
	ds_load_2addr_b64 v[4:7], v84 offset0:34 offset1:50
	;; [unrolled: 1-line block ×12, first 2 shown]
	v_dual_mov_b32 v93, 24 :: v_dual_add_nc_u32 v64, 16, v88
	ds_load_2addr_b64 v[48:51], v60 offset0:130 offset1:146
	ds_load_2addr_b64 v[52:55], v60 offset0:162 offset1:178
	;; [unrolled: 1-line block ×4, first 2 shown]
	ds_load_2addr_stride64_b64 v[64:67], v64 offset1:4
	v_dual_mov_b32 v90, 0 :: v_dual_mov_b32 v95, 40
	v_dual_mov_b32 v92, 16 :: v_dual_mov_b32 v97, 56
	v_dual_mov_b32 v94, 32 :: v_dual_mov_b32 v99, 0x48
	v_dual_mov_b32 v96, 48 :: v_dual_mov_b32 v101, 0x58
	v_dual_mov_b32 v98, 64 :: v_dual_mov_b32 v103, 0x68
	v_mov_b32_e32 v100, 0x50
	v_mov_b32_e32 v102, 0x60
	;; [unrolled: 1-line block ×20, first 2 shown]
	s_mov_b64 s[4:5], 0
	s_mov_b32 s3, -1
.LBB192_21:                             ; =>This Inner Loop Header: Depth=1
	scratch_load_b64 v[122:123], v90, off
	scratch_load_b64 v[124:125], v91, off
	scratch_load_b64 v[126:127], v92, off
	scratch_load_b64 v[128:129], v93, off
	scratch_load_b64 v[130:131], v94, off
	scratch_load_b64 v[132:133], v95, off
	scratch_load_b64 v[134:135], v96, off
	scratch_load_b64 v[136:137], v97, off
	scratch_load_b64 v[138:139], v98, off
	scratch_load_b64 v[140:141], v99, off
	scratch_load_b64 v[142:143], v100, off
	scratch_load_b64 v[144:145], v101, off
	scratch_load_b64 v[146:147], v102, off
	scratch_load_b64 v[148:149], v103, off
	scratch_load_b64 v[150:151], v104, off
	scratch_load_b64 v[152:153], v105, off
	scratch_load_b64 v[154:155], v106, off
	scratch_load_b64 v[156:157], v107, off
	scratch_load_b64 v[158:159], v108, off
	scratch_load_b64 v[160:161], v109, off
	scratch_load_b64 v[162:163], v110, off
	scratch_load_b64 v[164:165], v111, off
	scratch_load_b64 v[166:167], v112, off
	scratch_load_b64 v[168:169], v113, off
	scratch_load_b64 v[170:171], v114, off
	scratch_load_b64 v[172:173], v115, off
	scratch_load_b64 v[174:175], v116, off
	scratch_load_b64 v[176:177], v117, off
	scratch_load_b64 v[178:179], v118, off
	scratch_load_b64 v[180:181], v119, off
	scratch_load_b64 v[182:183], v120, off
	scratch_load_b64 v[184:185], v121, off
	s_cmp_eq_u32 s4, 1
	s_waitcnt lgkmcnt(16)
	v_max_f64 v[188:189], v[0:1], v[0:1]
	s_cselect_b32 vcc_lo, -1, 0
	v_max_f64 v[190:191], v[2:3], v[2:3]
	s_waitcnt lgkmcnt(0)
	v_dual_cndmask_b32 v187, v65, v67 :: v_dual_cndmask_b32 v186, v64, v66
	v_max_f64 v[192:193], v[4:5], v[4:5]
	v_max_f64 v[194:195], v[6:7], v[6:7]
	;; [unrolled: 1-line block ×31, first 2 shown]
	s_mov_b64 s[4:5], 1
	s_and_b32 vcc_lo, exec_lo, s3
	s_mov_b32 s3, 0
	v_min_f64 v[188:189], v[188:189], v[186:187]
	v_min_f64 v[190:191], v[190:191], v[186:187]
	;; [unrolled: 1-line block ×32, first 2 shown]
	s_waitcnt vmcnt(31)
	v_add_f64 v[122:123], v[122:123], v[188:189]
	s_waitcnt vmcnt(30)
	v_add_f64 v[124:125], v[190:191], v[124:125]
	;; [unrolled: 2-line block ×32, first 2 shown]
	scratch_store_b64 v90, v[122:123], off
	scratch_store_b64 v91, v[124:125], off
	;; [unrolled: 1-line block ×32, first 2 shown]
	v_mov_b32_e32 v90, 0x100
	v_mov_b32_e32 v91, 0x108
	;; [unrolled: 1-line block ×32, first 2 shown]
	s_cbranch_vccnz .LBB192_21
; %bb.22:
	v_dual_mov_b32 v91, 8 :: v_dual_add_nc_u32 v60, 0x800, v84
	ds_load_2addr_b64 v[0:3], v84 offset0:3 offset1:19
	ds_load_2addr_b64 v[4:7], v84 offset0:35 offset1:51
	;; [unrolled: 1-line block ×12, first 2 shown]
	v_dual_mov_b32 v93, 24 :: v_dual_add_nc_u32 v64, 24, v88
	ds_load_2addr_b64 v[48:51], v60 offset0:131 offset1:147
	ds_load_2addr_b64 v[52:55], v60 offset0:163 offset1:179
	ds_load_2addr_b64 v[56:59], v60 offset0:195 offset1:211
	ds_load_2addr_b64 v[60:63], v60 offset0:227 offset1:243
	ds_load_2addr_stride64_b64 v[64:67], v64 offset1:4
	v_dual_mov_b32 v90, 0 :: v_dual_mov_b32 v95, 40
	v_dual_mov_b32 v92, 16 :: v_dual_mov_b32 v97, 56
	;; [unrolled: 1-line block ×5, first 2 shown]
	v_mov_b32_e32 v100, 0x50
	v_mov_b32_e32 v102, 0x60
	;; [unrolled: 1-line block ×20, first 2 shown]
	s_mov_b64 s[4:5], 0
	s_mov_b32 s3, -1
.LBB192_23:                             ; =>This Inner Loop Header: Depth=1
	scratch_load_b64 v[122:123], v90, off
	scratch_load_b64 v[124:125], v91, off
	;; [unrolled: 1-line block ×32, first 2 shown]
	s_cmp_eq_u32 s4, 1
	s_waitcnt lgkmcnt(16)
	v_max_f64 v[188:189], v[0:1], v[0:1]
	s_cselect_b32 vcc_lo, -1, 0
	v_max_f64 v[190:191], v[2:3], v[2:3]
	s_waitcnt lgkmcnt(0)
	v_dual_cndmask_b32 v187, v65, v67 :: v_dual_cndmask_b32 v186, v64, v66
	v_max_f64 v[192:193], v[4:5], v[4:5]
	v_max_f64 v[194:195], v[6:7], v[6:7]
	;; [unrolled: 1-line block ×31, first 2 shown]
	s_mov_b64 s[4:5], 1
	s_and_b32 vcc_lo, exec_lo, s3
	s_mov_b32 s3, 0
	v_min_f64 v[188:189], v[188:189], v[186:187]
	v_min_f64 v[190:191], v[190:191], v[186:187]
	;; [unrolled: 1-line block ×32, first 2 shown]
	s_waitcnt vmcnt(31)
	v_add_f64 v[122:123], v[122:123], v[188:189]
	s_waitcnt vmcnt(30)
	v_add_f64 v[124:125], v[190:191], v[124:125]
	;; [unrolled: 2-line block ×32, first 2 shown]
	scratch_store_b64 v90, v[122:123], off
	scratch_store_b64 v91, v[124:125], off
	;; [unrolled: 1-line block ×32, first 2 shown]
	v_mov_b32_e32 v90, 0x100
	v_mov_b32_e32 v91, 0x108
	;; [unrolled: 1-line block ×32, first 2 shown]
	s_cbranch_vccnz .LBB192_23
; %bb.24:
	s_load_b32 s3, s[0:1], 0x8
	v_lshlrev_b32_e32 v0, 5, v89
	s_mov_b32 s26, 8
	s_delay_alu instid0(VALU_DEP_1)
	v_lshl_add_u32 v0, v82, 3, v0
	ds_store_2addr_stride64_b64 v0, v[72:73], v[74:75] offset0:8 offset1:12
	ds_store_2addr_stride64_b64 v0, v[76:77], v[78:79] offset0:24 offset1:28
	s_waitcnt lgkmcnt(0)
	s_waitcnt_vscnt null, 0x0
	s_barrier
	buffer_gl0_inv
	s_cmp_gt_i32 s3, 8
	s_cbranch_scc0 .LBB192_53
; %bb.25:
	v_lshlrev_b64 v[1:2], 3, v[68:69]
	v_lshlrev_b64 v[3:4], 3, v[70:71]
	v_lshl_add_u32 v78, v80, 5, 0x1000
	v_or_b32_e32 v76, 0x1000, v0
	v_or_b32_e32 v77, 0x3000, v0
	v_lshl_add_u32 v79, v81, 5, 0x3000
	v_add_co_u32 v89, vcc_lo, s22, v1
	v_add_co_ci_u32_e32 v90, vcc_lo, s23, v2, vcc_lo
	v_add_co_u32 v91, vcc_lo, s18, v3
	v_add_co_ci_u32_e32 v92, vcc_lo, s19, v4, vcc_lo
	v_add_nc_u32_e32 v93, 0x800, v78
	s_add_i32 s18, s3, -8
	s_mov_b32 s19, 0
	s_and_b32 s3, exec_lo, s27
.LBB192_26:                             ; =>This Loop Header: Depth=1
                                        ;     Child Loop BB192_32 Depth 2
                                        ;     Child Loop BB192_34 Depth 2
	;; [unrolled: 1-line block ×8, first 2 shown]
	v_add_nc_u32_e32 v0, s26, v82
	s_and_b32 vcc_lo, exec_lo, s2
	s_cbranch_vccnz .LBB192_29
; %bb.27:                               ;   in Loop: Header=BB192_26 Depth=1
	s_delay_alu instid0(VALU_DEP_1) | instskip(NEXT) | instid1(VALU_DEP_1)
	v_mad_u64_u32 v[1:2], null, v0, s16, 0
	v_mad_u64_u32 v[3:4], null, v0, s17, v[2:3]
	s_delay_alu instid0(VALU_DEP_1) | instskip(NEXT) | instid1(VALU_DEP_1)
	v_mov_b32_e32 v2, v3
	v_lshlrev_b64 v[1:2], 3, v[1:2]
	s_delay_alu instid0(VALU_DEP_1) | instskip(NEXT) | instid1(VALU_DEP_2)
	v_add_co_u32 v1, vcc_lo, v89, v1
	v_add_co_ci_u32_e32 v2, vcc_lo, v90, v2, vcc_lo
	s_clause 0x1
	flat_load_b64 v[3:4], v[1:2]
	flat_load_b64 v[1:2], v[1:2] offset:512
	s_waitcnt vmcnt(1) lgkmcnt(1)
	v_mul_f64 v[68:69], s[20:21], v[3:4]
	s_waitcnt vmcnt(0) lgkmcnt(0)
	v_mul_f64 v[70:71], s[20:21], v[1:2]
	s_and_b32 vcc_lo, exec_lo, s2
	s_mov_b64 s[4:5], 0
	s_cbranch_vccnz .LBB192_30
.LBB192_28:                             ;   in Loop: Header=BB192_26 Depth=1
	v_mad_u64_u32 v[1:2], null, v0, s24, 0
	s_delay_alu instid0(VALU_DEP_1) | instskip(NEXT) | instid1(VALU_DEP_1)
	v_mad_u64_u32 v[3:4], null, v0, s25, v[2:3]
	v_mov_b32_e32 v2, v3
	s_delay_alu instid0(VALU_DEP_1) | instskip(NEXT) | instid1(VALU_DEP_1)
	v_lshlrev_b64 v[0:1], 3, v[1:2]
	v_add_co_u32 v0, vcc_lo, v91, v0
	s_delay_alu instid0(VALU_DEP_2)
	v_add_co_ci_u32_e32 v1, vcc_lo, v92, v1, vcc_lo
	s_clause 0x1
	flat_load_b64 v[2:3], v[0:1]
	flat_load_b64 v[0:1], v[0:1] offset:512
	s_waitcnt vmcnt(1) lgkmcnt(1)
	v_mul_f64 v[72:73], s[20:21], v[2:3]
	s_waitcnt vmcnt(0) lgkmcnt(0)
	v_mul_f64 v[74:75], s[20:21], v[0:1]
	s_branch .LBB192_31
.LBB192_29:                             ;   in Loop: Header=BB192_26 Depth=1
	v_mov_b32_e32 v68, 0
	v_dual_mov_b32 v69, 0 :: v_dual_mov_b32 v70, 0
	v_mov_b32_e32 v71, 0
	s_and_b32 vcc_lo, exec_lo, s2
	s_mov_b64 s[4:5], 0
	s_cbranch_vccz .LBB192_28
.LBB192_30:                             ;   in Loop: Header=BB192_26 Depth=1
	v_mov_b32_e32 v72, 0
	v_dual_mov_b32 v73, 0 :: v_dual_mov_b32 v74, 0
	v_mov_b32_e32 v75, 0
.LBB192_31:                             ;   in Loop: Header=BB192_26 Depth=1
	ds_load_2addr_b64 v[0:3], v78 offset1:16
	ds_load_2addr_b64 v[4:7], v78 offset0:32 offset1:48
	ds_load_2addr_b64 v[8:11], v78 offset0:64 offset1:80
	ds_load_2addr_b64 v[12:15], v78 offset0:96 offset1:112
	ds_load_2addr_b64 v[16:19], v78 offset0:128 offset1:144
	ds_load_2addr_b64 v[20:23], v78 offset0:160 offset1:176
	ds_load_2addr_b64 v[24:27], v78 offset0:192 offset1:208
	ds_load_2addr_b64 v[28:31], v78 offset0:224 offset1:240
	ds_load_2addr_b64 v[32:35], v93 offset1:16
	ds_load_2addr_b64 v[36:39], v93 offset0:32 offset1:48
	ds_load_2addr_b64 v[40:43], v93 offset0:64 offset1:80
	;; [unrolled: 1-line block ×7, first 2 shown]
	ds_load_2addr_stride64_b64 v[64:67], v79 offset1:4
	v_dual_mov_b32 v125, 0 :: v_dual_mov_b32 v124, 8
	v_dual_mov_b32 v123, 16 :: v_dual_mov_b32 v122, 24
	;; [unrolled: 1-line block ×5, first 2 shown]
	v_mov_b32_e32 v115, 0x50
	v_mov_b32_e32 v114, 0x58
	;; [unrolled: 1-line block ×22, first 2 shown]
	s_mov_b32 s22, -1
.LBB192_32:                             ;   Parent Loop BB192_26 Depth=1
                                        ; =>  This Inner Loop Header: Depth=2
	scratch_load_b64 v[130:131], v125, off
	s_cmp_eq_u32 s4, 1
	s_waitcnt lgkmcnt(16)
	v_max_f64 v[128:129], v[0:1], v[0:1]
	s_cselect_b32 vcc_lo, -1, 0
	s_mov_b64 s[4:5], 1
	s_waitcnt lgkmcnt(0)
	v_dual_cndmask_b32 v127, v65, v67 :: v_dual_cndmask_b32 v126, v64, v66
	s_and_b32 vcc_lo, exec_lo, s22
	s_mov_b32 s22, 0
	s_delay_alu instid0(VALU_DEP_1) | instskip(NEXT) | instid1(VALU_DEP_1)
	v_max_f64 v[126:127], v[126:127], v[126:127]
	v_min_f64 v[128:129], v[128:129], v[126:127]
	s_waitcnt vmcnt(0)
	s_delay_alu instid0(VALU_DEP_1) | instskip(SKIP_3) | instid1(VALU_DEP_1)
	v_add_f64 v[128:129], v[130:131], v[128:129]
	scratch_load_b64 v[130:131], v124, off
	scratch_store_b64 v125, v[128:129], off
	v_max_f64 v[128:129], v[2:3], v[2:3]
	v_min_f64 v[128:129], v[128:129], v[126:127]
	s_waitcnt vmcnt(0)
	s_delay_alu instid0(VALU_DEP_1) | instskip(SKIP_3) | instid1(VALU_DEP_1)
	v_add_f64 v[128:129], v[128:129], v[130:131]
	scratch_store_b64 v124, v[128:129], off
	scratch_load_b64 v[128:129], v123, off
	v_max_f64 v[124:125], v[4:5], v[4:5]
	v_min_f64 v[124:125], v[124:125], v[126:127]
	s_waitcnt vmcnt(0)
	s_delay_alu instid0(VALU_DEP_1) | instskip(SKIP_3) | instid1(VALU_DEP_1)
	v_add_f64 v[124:125], v[124:125], v[128:129]
	scratch_load_b64 v[128:129], v122, off
	scratch_store_b64 v123, v[124:125], off
	v_max_f64 v[123:124], v[6:7], v[6:7]
	v_min_f64 v[123:124], v[123:124], v[126:127]
	s_waitcnt vmcnt(0)
	s_delay_alu instid0(VALU_DEP_1) | instskip(SKIP_3) | instid1(VALU_DEP_1)
	v_add_f64 v[123:124], v[123:124], v[128:129]
	scratch_store_b64 v122, v[123:124], off
	scratch_load_b64 v[124:125], v121, off
	v_max_f64 v[122:123], v[8:9], v[8:9]
	v_min_f64 v[122:123], v[122:123], v[126:127]
	s_waitcnt vmcnt(0)
	s_delay_alu instid0(VALU_DEP_1) | instskip(SKIP_4) | instid1(VALU_DEP_1)
	v_add_f64 v[122:123], v[122:123], v[124:125]
	v_mov_b32_e32 v125, 0x100
	scratch_store_b64 v121, v[122:123], off
	scratch_load_b64 v[123:124], v120, off
	v_max_f64 v[121:122], v[10:11], v[10:11]
	v_min_f64 v[121:122], v[121:122], v[126:127]
	s_waitcnt vmcnt(0)
	s_delay_alu instid0(VALU_DEP_1) | instskip(SKIP_4) | instid1(VALU_DEP_1)
	v_add_f64 v[121:122], v[121:122], v[123:124]
	v_mov_b32_e32 v124, 0x108
	scratch_store_b64 v120, v[121:122], off
	scratch_load_b64 v[122:123], v119, off
	v_max_f64 v[120:121], v[12:13], v[12:13]
	v_min_f64 v[120:121], v[120:121], v[126:127]
	s_waitcnt vmcnt(0)
	s_delay_alu instid0(VALU_DEP_1) | instskip(SKIP_4) | instid1(VALU_DEP_1)
	v_add_f64 v[120:121], v[120:121], v[122:123]
	v_mov_b32_e32 v123, 0x110
	scratch_store_b64 v119, v[120:121], off
	scratch_load_b64 v[121:122], v118, off
	v_max_f64 v[119:120], v[14:15], v[14:15]
	v_min_f64 v[119:120], v[119:120], v[126:127]
	s_waitcnt vmcnt(0)
	s_delay_alu instid0(VALU_DEP_1) | instskip(SKIP_4) | instid1(VALU_DEP_1)
	v_add_f64 v[119:120], v[119:120], v[121:122]
	v_mov_b32_e32 v122, 0x118
	scratch_store_b64 v118, v[119:120], off
	scratch_load_b64 v[120:121], v117, off
	v_max_f64 v[118:119], v[16:17], v[16:17]
	v_min_f64 v[118:119], v[118:119], v[126:127]
	s_waitcnt vmcnt(0)
	s_delay_alu instid0(VALU_DEP_1) | instskip(SKIP_4) | instid1(VALU_DEP_1)
	v_add_f64 v[118:119], v[118:119], v[120:121]
	v_mov_b32_e32 v121, 0x120
	scratch_store_b64 v117, v[118:119], off
	scratch_load_b64 v[119:120], v116, off
	v_max_f64 v[117:118], v[18:19], v[18:19]
	v_min_f64 v[117:118], v[117:118], v[126:127]
	s_waitcnt vmcnt(0)
	s_delay_alu instid0(VALU_DEP_1) | instskip(SKIP_4) | instid1(VALU_DEP_1)
	v_add_f64 v[117:118], v[117:118], v[119:120]
	v_mov_b32_e32 v120, 0x128
	scratch_store_b64 v116, v[117:118], off
	scratch_load_b64 v[118:119], v115, off
	v_max_f64 v[116:117], v[20:21], v[20:21]
	v_min_f64 v[116:117], v[116:117], v[126:127]
	s_waitcnt vmcnt(0)
	s_delay_alu instid0(VALU_DEP_1) | instskip(SKIP_4) | instid1(VALU_DEP_1)
	v_add_f64 v[116:117], v[116:117], v[118:119]
	v_mov_b32_e32 v119, 0x130
	scratch_store_b64 v115, v[116:117], off
	scratch_load_b64 v[117:118], v114, off
	v_max_f64 v[115:116], v[22:23], v[22:23]
	v_min_f64 v[115:116], v[115:116], v[126:127]
	s_waitcnt vmcnt(0)
	s_delay_alu instid0(VALU_DEP_1) | instskip(SKIP_4) | instid1(VALU_DEP_1)
	v_add_f64 v[115:116], v[115:116], v[117:118]
	v_mov_b32_e32 v118, 0x138
	scratch_store_b64 v114, v[115:116], off
	scratch_load_b64 v[116:117], v113, off
	v_max_f64 v[114:115], v[24:25], v[24:25]
	v_min_f64 v[114:115], v[114:115], v[126:127]
	s_waitcnt vmcnt(0)
	s_delay_alu instid0(VALU_DEP_1) | instskip(SKIP_4) | instid1(VALU_DEP_1)
	v_add_f64 v[114:115], v[114:115], v[116:117]
	v_mov_b32_e32 v117, 0x140
	scratch_store_b64 v113, v[114:115], off
	scratch_load_b64 v[115:116], v112, off
	v_max_f64 v[113:114], v[26:27], v[26:27]
	v_min_f64 v[113:114], v[113:114], v[126:127]
	s_waitcnt vmcnt(0)
	s_delay_alu instid0(VALU_DEP_1) | instskip(SKIP_4) | instid1(VALU_DEP_1)
	v_add_f64 v[113:114], v[113:114], v[115:116]
	v_mov_b32_e32 v116, 0x148
	scratch_store_b64 v112, v[113:114], off
	scratch_load_b64 v[114:115], v111, off
	v_max_f64 v[112:113], v[28:29], v[28:29]
	v_min_f64 v[112:113], v[112:113], v[126:127]
	s_waitcnt vmcnt(0)
	s_delay_alu instid0(VALU_DEP_1) | instskip(SKIP_4) | instid1(VALU_DEP_1)
	v_add_f64 v[112:113], v[112:113], v[114:115]
	v_mov_b32_e32 v115, 0x150
	scratch_store_b64 v111, v[112:113], off
	scratch_load_b64 v[113:114], v110, off
	v_max_f64 v[111:112], v[30:31], v[30:31]
	v_min_f64 v[111:112], v[111:112], v[126:127]
	s_waitcnt vmcnt(0)
	s_delay_alu instid0(VALU_DEP_1) | instskip(SKIP_4) | instid1(VALU_DEP_1)
	v_add_f64 v[111:112], v[111:112], v[113:114]
	v_mov_b32_e32 v114, 0x158
	scratch_store_b64 v110, v[111:112], off
	scratch_load_b64 v[112:113], v109, off
	v_max_f64 v[110:111], v[32:33], v[32:33]
	v_min_f64 v[110:111], v[110:111], v[126:127]
	s_waitcnt vmcnt(0)
	s_delay_alu instid0(VALU_DEP_1) | instskip(SKIP_4) | instid1(VALU_DEP_1)
	v_add_f64 v[110:111], v[110:111], v[112:113]
	v_mov_b32_e32 v113, 0x160
	scratch_store_b64 v109, v[110:111], off
	scratch_load_b64 v[111:112], v108, off
	v_max_f64 v[109:110], v[34:35], v[34:35]
	v_min_f64 v[109:110], v[109:110], v[126:127]
	s_waitcnt vmcnt(0)
	s_delay_alu instid0(VALU_DEP_1) | instskip(SKIP_4) | instid1(VALU_DEP_1)
	v_add_f64 v[109:110], v[109:110], v[111:112]
	v_mov_b32_e32 v112, 0x168
	scratch_store_b64 v108, v[109:110], off
	scratch_load_b64 v[110:111], v107, off
	v_max_f64 v[108:109], v[36:37], v[36:37]
	v_min_f64 v[108:109], v[108:109], v[126:127]
	s_waitcnt vmcnt(0)
	s_delay_alu instid0(VALU_DEP_1) | instskip(SKIP_4) | instid1(VALU_DEP_1)
	v_add_f64 v[108:109], v[108:109], v[110:111]
	v_mov_b32_e32 v111, 0x170
	scratch_store_b64 v107, v[108:109], off
	scratch_load_b64 v[109:110], v106, off
	v_max_f64 v[107:108], v[38:39], v[38:39]
	v_min_f64 v[107:108], v[107:108], v[126:127]
	s_waitcnt vmcnt(0)
	s_delay_alu instid0(VALU_DEP_1) | instskip(SKIP_4) | instid1(VALU_DEP_1)
	v_add_f64 v[107:108], v[107:108], v[109:110]
	v_mov_b32_e32 v110, 0x178
	scratch_store_b64 v106, v[107:108], off
	scratch_load_b64 v[108:109], v105, off
	v_max_f64 v[106:107], v[40:41], v[40:41]
	v_min_f64 v[106:107], v[106:107], v[126:127]
	s_waitcnt vmcnt(0)
	s_delay_alu instid0(VALU_DEP_1) | instskip(SKIP_4) | instid1(VALU_DEP_1)
	v_add_f64 v[106:107], v[106:107], v[108:109]
	v_mov_b32_e32 v109, 0x180
	scratch_store_b64 v105, v[106:107], off
	scratch_load_b64 v[107:108], v104, off
	v_max_f64 v[105:106], v[42:43], v[42:43]
	v_min_f64 v[105:106], v[105:106], v[126:127]
	s_waitcnt vmcnt(0)
	s_delay_alu instid0(VALU_DEP_1) | instskip(SKIP_4) | instid1(VALU_DEP_1)
	v_add_f64 v[105:106], v[105:106], v[107:108]
	v_mov_b32_e32 v108, 0x188
	scratch_store_b64 v104, v[105:106], off
	scratch_load_b64 v[106:107], v103, off
	v_max_f64 v[104:105], v[44:45], v[44:45]
	v_min_f64 v[104:105], v[104:105], v[126:127]
	s_waitcnt vmcnt(0)
	s_delay_alu instid0(VALU_DEP_1) | instskip(SKIP_4) | instid1(VALU_DEP_1)
	v_add_f64 v[104:105], v[104:105], v[106:107]
	v_mov_b32_e32 v107, 0x190
	scratch_store_b64 v103, v[104:105], off
	scratch_load_b64 v[105:106], v102, off
	v_max_f64 v[103:104], v[46:47], v[46:47]
	v_min_f64 v[103:104], v[103:104], v[126:127]
	s_waitcnt vmcnt(0)
	s_delay_alu instid0(VALU_DEP_1) | instskip(SKIP_4) | instid1(VALU_DEP_1)
	v_add_f64 v[103:104], v[103:104], v[105:106]
	v_mov_b32_e32 v106, 0x198
	scratch_store_b64 v102, v[103:104], off
	scratch_load_b64 v[104:105], v101, off
	v_max_f64 v[102:103], v[48:49], v[48:49]
	v_min_f64 v[102:103], v[102:103], v[126:127]
	s_waitcnt vmcnt(0)
	s_delay_alu instid0(VALU_DEP_1) | instskip(SKIP_4) | instid1(VALU_DEP_1)
	v_add_f64 v[102:103], v[102:103], v[104:105]
	v_mov_b32_e32 v105, 0x1a0
	scratch_store_b64 v101, v[102:103], off
	scratch_load_b64 v[103:104], v100, off
	v_max_f64 v[101:102], v[50:51], v[50:51]
	v_min_f64 v[101:102], v[101:102], v[126:127]
	s_waitcnt vmcnt(0)
	s_delay_alu instid0(VALU_DEP_1) | instskip(SKIP_4) | instid1(VALU_DEP_1)
	v_add_f64 v[101:102], v[101:102], v[103:104]
	v_mov_b32_e32 v104, 0x1a8
	scratch_store_b64 v100, v[101:102], off
	scratch_load_b64 v[102:103], v99, off
	v_max_f64 v[100:101], v[52:53], v[52:53]
	v_min_f64 v[100:101], v[100:101], v[126:127]
	s_waitcnt vmcnt(0)
	s_delay_alu instid0(VALU_DEP_1) | instskip(SKIP_4) | instid1(VALU_DEP_1)
	v_add_f64 v[100:101], v[100:101], v[102:103]
	v_mov_b32_e32 v103, 0x1b0
	scratch_store_b64 v99, v[100:101], off
	scratch_load_b64 v[101:102], v98, off
	v_max_f64 v[99:100], v[54:55], v[54:55]
	v_min_f64 v[99:100], v[99:100], v[126:127]
	s_waitcnt vmcnt(0)
	s_delay_alu instid0(VALU_DEP_1) | instskip(SKIP_4) | instid1(VALU_DEP_1)
	v_add_f64 v[99:100], v[99:100], v[101:102]
	v_mov_b32_e32 v102, 0x1b8
	scratch_store_b64 v98, v[99:100], off
	scratch_load_b64 v[100:101], v97, off
	v_max_f64 v[98:99], v[56:57], v[56:57]
	v_min_f64 v[98:99], v[98:99], v[126:127]
	s_waitcnt vmcnt(0)
	s_delay_alu instid0(VALU_DEP_1) | instskip(SKIP_4) | instid1(VALU_DEP_1)
	v_add_f64 v[98:99], v[98:99], v[100:101]
	v_mov_b32_e32 v101, 0x1c0
	scratch_store_b64 v97, v[98:99], off
	scratch_load_b64 v[99:100], v96, off
	v_max_f64 v[97:98], v[58:59], v[58:59]
	v_min_f64 v[97:98], v[97:98], v[126:127]
	s_waitcnt vmcnt(0)
	s_delay_alu instid0(VALU_DEP_1) | instskip(SKIP_4) | instid1(VALU_DEP_1)
	v_add_f64 v[97:98], v[97:98], v[99:100]
	v_mov_b32_e32 v100, 0x1c8
	scratch_store_b64 v96, v[97:98], off
	scratch_load_b64 v[98:99], v95, off
	v_max_f64 v[96:97], v[60:61], v[60:61]
	v_min_f64 v[96:97], v[96:97], v[126:127]
	s_waitcnt vmcnt(0)
	s_delay_alu instid0(VALU_DEP_1) | instskip(SKIP_4) | instid1(VALU_DEP_1)
	v_add_f64 v[96:97], v[96:97], v[98:99]
	v_mov_b32_e32 v99, 0x1d0
	scratch_store_b64 v95, v[96:97], off
	scratch_load_b64 v[97:98], v94, off
	v_max_f64 v[95:96], v[62:63], v[62:63]
	v_min_f64 v[95:96], v[95:96], v[126:127]
	s_waitcnt vmcnt(0)
	s_delay_alu instid0(VALU_DEP_1)
	v_add_f64 v[95:96], v[95:96], v[97:98]
	v_mov_b32_e32 v98, 0x1d8
	v_mov_b32_e32 v97, 0x1e0
	scratch_store_b64 v94, v[95:96], off
	v_mov_b32_e32 v96, 0x1e8
	v_mov_b32_e32 v95, 0x1f0
	;; [unrolled: 1-line block ×3, first 2 shown]
	s_cbranch_vccnz .LBB192_32
; %bb.33:                               ;   in Loop: Header=BB192_26 Depth=1
	ds_load_2addr_b64 v[0:3], v78 offset0:1 offset1:17
	ds_load_2addr_b64 v[4:7], v78 offset0:33 offset1:49
	;; [unrolled: 1-line block ×12, first 2 shown]
	v_dual_mov_b32 v125, 0 :: v_dual_add_nc_u32 v64, 8, v79
	ds_load_2addr_b64 v[48:51], v93 offset0:129 offset1:145
	ds_load_2addr_b64 v[52:55], v93 offset0:161 offset1:177
	;; [unrolled: 1-line block ×4, first 2 shown]
	ds_load_2addr_stride64_b64 v[64:67], v64 offset1:4
	v_dual_mov_b32 v124, 8 :: v_dual_mov_b32 v123, 16
	v_dual_mov_b32 v122, 24 :: v_dual_mov_b32 v121, 32
	;; [unrolled: 1-line block ×4, first 2 shown]
	v_mov_b32_e32 v116, 0x48
	v_mov_b32_e32 v115, 0x50
	;; [unrolled: 1-line block ×23, first 2 shown]
	s_mov_b64 s[4:5], 0
	s_mov_b32 s22, -1
.LBB192_34:                             ;   Parent Loop BB192_26 Depth=1
                                        ; =>  This Inner Loop Header: Depth=2
	scratch_load_b64 v[130:131], v125, off
	s_cmp_eq_u32 s4, 1
	s_waitcnt lgkmcnt(16)
	v_max_f64 v[128:129], v[0:1], v[0:1]
	s_cselect_b32 vcc_lo, -1, 0
	s_mov_b64 s[4:5], 1
	s_waitcnt lgkmcnt(0)
	v_dual_cndmask_b32 v127, v65, v67 :: v_dual_cndmask_b32 v126, v64, v66
	s_and_b32 vcc_lo, exec_lo, s22
	s_mov_b32 s22, 0
	s_delay_alu instid0(VALU_DEP_1) | instskip(NEXT) | instid1(VALU_DEP_1)
	v_max_f64 v[126:127], v[126:127], v[126:127]
	v_min_f64 v[128:129], v[128:129], v[126:127]
	s_waitcnt vmcnt(0)
	s_delay_alu instid0(VALU_DEP_1) | instskip(SKIP_3) | instid1(VALU_DEP_1)
	v_add_f64 v[128:129], v[130:131], v[128:129]
	scratch_load_b64 v[130:131], v124, off
	scratch_store_b64 v125, v[128:129], off
	v_max_f64 v[128:129], v[2:3], v[2:3]
	v_min_f64 v[128:129], v[128:129], v[126:127]
	s_waitcnt vmcnt(0)
	s_delay_alu instid0(VALU_DEP_1) | instskip(SKIP_3) | instid1(VALU_DEP_1)
	v_add_f64 v[128:129], v[128:129], v[130:131]
	scratch_store_b64 v124, v[128:129], off
	scratch_load_b64 v[128:129], v123, off
	v_max_f64 v[124:125], v[4:5], v[4:5]
	v_min_f64 v[124:125], v[124:125], v[126:127]
	s_waitcnt vmcnt(0)
	s_delay_alu instid0(VALU_DEP_1) | instskip(SKIP_3) | instid1(VALU_DEP_1)
	v_add_f64 v[124:125], v[124:125], v[128:129]
	scratch_load_b64 v[128:129], v122, off
	scratch_store_b64 v123, v[124:125], off
	v_max_f64 v[123:124], v[6:7], v[6:7]
	v_min_f64 v[123:124], v[123:124], v[126:127]
	s_waitcnt vmcnt(0)
	s_delay_alu instid0(VALU_DEP_1) | instskip(SKIP_3) | instid1(VALU_DEP_1)
	v_add_f64 v[123:124], v[123:124], v[128:129]
	scratch_store_b64 v122, v[123:124], off
	scratch_load_b64 v[124:125], v121, off
	v_max_f64 v[122:123], v[8:9], v[8:9]
	v_min_f64 v[122:123], v[122:123], v[126:127]
	s_waitcnt vmcnt(0)
	s_delay_alu instid0(VALU_DEP_1) | instskip(SKIP_4) | instid1(VALU_DEP_1)
	v_add_f64 v[122:123], v[122:123], v[124:125]
	v_mov_b32_e32 v125, 0x100
	scratch_store_b64 v121, v[122:123], off
	scratch_load_b64 v[123:124], v120, off
	v_max_f64 v[121:122], v[10:11], v[10:11]
	v_min_f64 v[121:122], v[121:122], v[126:127]
	s_waitcnt vmcnt(0)
	s_delay_alu instid0(VALU_DEP_1) | instskip(SKIP_4) | instid1(VALU_DEP_1)
	v_add_f64 v[121:122], v[121:122], v[123:124]
	v_mov_b32_e32 v124, 0x108
	;; [unrolled: 8-line block ×27, first 2 shown]
	scratch_store_b64 v95, v[96:97], off
	scratch_load_b64 v[97:98], v94, off
	v_max_f64 v[95:96], v[62:63], v[62:63]
	v_min_f64 v[95:96], v[95:96], v[126:127]
	s_waitcnt vmcnt(0)
	s_delay_alu instid0(VALU_DEP_1)
	v_add_f64 v[95:96], v[95:96], v[97:98]
	v_mov_b32_e32 v98, 0x1d8
	v_mov_b32_e32 v97, 0x1e0
	scratch_store_b64 v94, v[95:96], off
	v_mov_b32_e32 v96, 0x1e8
	v_mov_b32_e32 v95, 0x1f0
	;; [unrolled: 1-line block ×3, first 2 shown]
	s_cbranch_vccnz .LBB192_34
; %bb.35:                               ;   in Loop: Header=BB192_26 Depth=1
	ds_load_2addr_b64 v[0:3], v78 offset0:2 offset1:18
	ds_load_2addr_b64 v[4:7], v78 offset0:34 offset1:50
	;; [unrolled: 1-line block ×12, first 2 shown]
	v_dual_mov_b32 v125, 0 :: v_dual_add_nc_u32 v64, 16, v79
	ds_load_2addr_b64 v[48:51], v93 offset0:130 offset1:146
	ds_load_2addr_b64 v[52:55], v93 offset0:162 offset1:178
	;; [unrolled: 1-line block ×4, first 2 shown]
	ds_load_2addr_stride64_b64 v[64:67], v64 offset1:4
	v_dual_mov_b32 v124, 8 :: v_dual_mov_b32 v123, 16
	v_dual_mov_b32 v122, 24 :: v_dual_mov_b32 v121, 32
	;; [unrolled: 1-line block ×4, first 2 shown]
	v_mov_b32_e32 v116, 0x48
	v_mov_b32_e32 v115, 0x50
	;; [unrolled: 1-line block ×23, first 2 shown]
	s_mov_b64 s[4:5], 0
	s_mov_b32 s22, -1
.LBB192_36:                             ;   Parent Loop BB192_26 Depth=1
                                        ; =>  This Inner Loop Header: Depth=2
	scratch_load_b64 v[130:131], v125, off
	s_cmp_eq_u32 s4, 1
	s_waitcnt lgkmcnt(16)
	v_max_f64 v[128:129], v[0:1], v[0:1]
	s_cselect_b32 vcc_lo, -1, 0
	s_mov_b64 s[4:5], 1
	s_waitcnt lgkmcnt(0)
	v_dual_cndmask_b32 v127, v65, v67 :: v_dual_cndmask_b32 v126, v64, v66
	s_and_b32 vcc_lo, exec_lo, s22
	s_mov_b32 s22, 0
	s_delay_alu instid0(VALU_DEP_1) | instskip(NEXT) | instid1(VALU_DEP_1)
	v_max_f64 v[126:127], v[126:127], v[126:127]
	v_min_f64 v[128:129], v[128:129], v[126:127]
	s_waitcnt vmcnt(0)
	s_delay_alu instid0(VALU_DEP_1) | instskip(SKIP_3) | instid1(VALU_DEP_1)
	v_add_f64 v[128:129], v[130:131], v[128:129]
	scratch_load_b64 v[130:131], v124, off
	scratch_store_b64 v125, v[128:129], off
	v_max_f64 v[128:129], v[2:3], v[2:3]
	v_min_f64 v[128:129], v[128:129], v[126:127]
	s_waitcnt vmcnt(0)
	s_delay_alu instid0(VALU_DEP_1) | instskip(SKIP_3) | instid1(VALU_DEP_1)
	v_add_f64 v[128:129], v[128:129], v[130:131]
	scratch_store_b64 v124, v[128:129], off
	scratch_load_b64 v[128:129], v123, off
	v_max_f64 v[124:125], v[4:5], v[4:5]
	v_min_f64 v[124:125], v[124:125], v[126:127]
	s_waitcnt vmcnt(0)
	s_delay_alu instid0(VALU_DEP_1) | instskip(SKIP_3) | instid1(VALU_DEP_1)
	v_add_f64 v[124:125], v[124:125], v[128:129]
	scratch_load_b64 v[128:129], v122, off
	scratch_store_b64 v123, v[124:125], off
	v_max_f64 v[123:124], v[6:7], v[6:7]
	v_min_f64 v[123:124], v[123:124], v[126:127]
	s_waitcnt vmcnt(0)
	s_delay_alu instid0(VALU_DEP_1) | instskip(SKIP_3) | instid1(VALU_DEP_1)
	v_add_f64 v[123:124], v[123:124], v[128:129]
	scratch_store_b64 v122, v[123:124], off
	scratch_load_b64 v[124:125], v121, off
	v_max_f64 v[122:123], v[8:9], v[8:9]
	v_min_f64 v[122:123], v[122:123], v[126:127]
	s_waitcnt vmcnt(0)
	s_delay_alu instid0(VALU_DEP_1) | instskip(SKIP_4) | instid1(VALU_DEP_1)
	v_add_f64 v[122:123], v[122:123], v[124:125]
	v_mov_b32_e32 v125, 0x100
	scratch_store_b64 v121, v[122:123], off
	scratch_load_b64 v[123:124], v120, off
	v_max_f64 v[121:122], v[10:11], v[10:11]
	v_min_f64 v[121:122], v[121:122], v[126:127]
	s_waitcnt vmcnt(0)
	s_delay_alu instid0(VALU_DEP_1) | instskip(SKIP_4) | instid1(VALU_DEP_1)
	v_add_f64 v[121:122], v[121:122], v[123:124]
	v_mov_b32_e32 v124, 0x108
	;; [unrolled: 8-line block ×27, first 2 shown]
	scratch_store_b64 v95, v[96:97], off
	scratch_load_b64 v[97:98], v94, off
	v_max_f64 v[95:96], v[62:63], v[62:63]
	v_min_f64 v[95:96], v[95:96], v[126:127]
	s_waitcnt vmcnt(0)
	s_delay_alu instid0(VALU_DEP_1)
	v_add_f64 v[95:96], v[95:96], v[97:98]
	v_mov_b32_e32 v98, 0x1d8
	v_mov_b32_e32 v97, 0x1e0
	scratch_store_b64 v94, v[95:96], off
	v_mov_b32_e32 v96, 0x1e8
	v_mov_b32_e32 v95, 0x1f0
	;; [unrolled: 1-line block ×3, first 2 shown]
	s_cbranch_vccnz .LBB192_36
; %bb.37:                               ;   in Loop: Header=BB192_26 Depth=1
	ds_load_2addr_b64 v[0:3], v78 offset0:3 offset1:19
	ds_load_2addr_b64 v[4:7], v78 offset0:35 offset1:51
	;; [unrolled: 1-line block ×12, first 2 shown]
	v_dual_mov_b32 v125, 0 :: v_dual_add_nc_u32 v64, 24, v79
	ds_load_2addr_b64 v[48:51], v93 offset0:131 offset1:147
	ds_load_2addr_b64 v[52:55], v93 offset0:163 offset1:179
	;; [unrolled: 1-line block ×4, first 2 shown]
	ds_load_2addr_stride64_b64 v[64:67], v64 offset1:4
	v_dual_mov_b32 v124, 8 :: v_dual_mov_b32 v123, 16
	v_dual_mov_b32 v122, 24 :: v_dual_mov_b32 v121, 32
	;; [unrolled: 1-line block ×4, first 2 shown]
	v_mov_b32_e32 v116, 0x48
	v_mov_b32_e32 v115, 0x50
	;; [unrolled: 1-line block ×23, first 2 shown]
	s_mov_b64 s[4:5], 0
	s_mov_b32 s22, -1
.LBB192_38:                             ;   Parent Loop BB192_26 Depth=1
                                        ; =>  This Inner Loop Header: Depth=2
	scratch_load_b64 v[130:131], v125, off
	s_cmp_eq_u32 s4, 1
	s_waitcnt lgkmcnt(16)
	v_max_f64 v[128:129], v[0:1], v[0:1]
	s_cselect_b32 vcc_lo, -1, 0
	s_mov_b64 s[4:5], 1
	s_waitcnt lgkmcnt(0)
	v_dual_cndmask_b32 v127, v65, v67 :: v_dual_cndmask_b32 v126, v64, v66
	s_and_b32 vcc_lo, exec_lo, s22
	s_mov_b32 s22, 0
	s_delay_alu instid0(VALU_DEP_1) | instskip(NEXT) | instid1(VALU_DEP_1)
	v_max_f64 v[126:127], v[126:127], v[126:127]
	v_min_f64 v[128:129], v[128:129], v[126:127]
	s_waitcnt vmcnt(0)
	s_delay_alu instid0(VALU_DEP_1) | instskip(SKIP_3) | instid1(VALU_DEP_1)
	v_add_f64 v[128:129], v[130:131], v[128:129]
	scratch_load_b64 v[130:131], v124, off
	scratch_store_b64 v125, v[128:129], off
	v_max_f64 v[128:129], v[2:3], v[2:3]
	v_min_f64 v[128:129], v[128:129], v[126:127]
	s_waitcnt vmcnt(0)
	s_delay_alu instid0(VALU_DEP_1) | instskip(SKIP_3) | instid1(VALU_DEP_1)
	v_add_f64 v[128:129], v[128:129], v[130:131]
	scratch_store_b64 v124, v[128:129], off
	scratch_load_b64 v[128:129], v123, off
	v_max_f64 v[124:125], v[4:5], v[4:5]
	v_min_f64 v[124:125], v[124:125], v[126:127]
	s_waitcnt vmcnt(0)
	s_delay_alu instid0(VALU_DEP_1) | instskip(SKIP_3) | instid1(VALU_DEP_1)
	v_add_f64 v[124:125], v[124:125], v[128:129]
	scratch_load_b64 v[128:129], v122, off
	scratch_store_b64 v123, v[124:125], off
	v_max_f64 v[123:124], v[6:7], v[6:7]
	v_min_f64 v[123:124], v[123:124], v[126:127]
	s_waitcnt vmcnt(0)
	s_delay_alu instid0(VALU_DEP_1) | instskip(SKIP_3) | instid1(VALU_DEP_1)
	v_add_f64 v[123:124], v[123:124], v[128:129]
	scratch_store_b64 v122, v[123:124], off
	scratch_load_b64 v[124:125], v121, off
	v_max_f64 v[122:123], v[8:9], v[8:9]
	v_min_f64 v[122:123], v[122:123], v[126:127]
	s_waitcnt vmcnt(0)
	s_delay_alu instid0(VALU_DEP_1) | instskip(SKIP_4) | instid1(VALU_DEP_1)
	v_add_f64 v[122:123], v[122:123], v[124:125]
	v_mov_b32_e32 v125, 0x100
	scratch_store_b64 v121, v[122:123], off
	scratch_load_b64 v[123:124], v120, off
	v_max_f64 v[121:122], v[10:11], v[10:11]
	v_min_f64 v[121:122], v[121:122], v[126:127]
	s_waitcnt vmcnt(0)
	s_delay_alu instid0(VALU_DEP_1) | instskip(SKIP_4) | instid1(VALU_DEP_1)
	v_add_f64 v[121:122], v[121:122], v[123:124]
	v_mov_b32_e32 v124, 0x108
	;; [unrolled: 8-line block ×27, first 2 shown]
	scratch_store_b64 v95, v[96:97], off
	scratch_load_b64 v[97:98], v94, off
	v_max_f64 v[95:96], v[62:63], v[62:63]
	v_min_f64 v[95:96], v[95:96], v[126:127]
	s_waitcnt vmcnt(0)
	s_delay_alu instid0(VALU_DEP_1)
	v_add_f64 v[95:96], v[95:96], v[97:98]
	v_mov_b32_e32 v98, 0x1d8
	v_mov_b32_e32 v97, 0x1e0
	scratch_store_b64 v94, v[95:96], off
	v_mov_b32_e32 v96, 0x1e8
	v_mov_b32_e32 v95, 0x1f0
	;; [unrolled: 1-line block ×3, first 2 shown]
	s_cbranch_vccnz .LBB192_38
; %bb.39:                               ;   in Loop: Header=BB192_26 Depth=1
	v_add_nc_u32_e32 v0, s26, v83
	s_mov_b32 vcc_lo, s3
	ds_store_2addr_stride64_b64 v85, v[68:69], v[70:71] offset1:4
	ds_store_2addr_stride64_b64 v87, v[72:73], v[74:75] offset1:4
	s_waitcnt lgkmcnt(0)
	s_waitcnt_vscnt null, 0x0
	s_barrier
	buffer_gl0_inv
	s_cbranch_vccz .LBB192_42
; %bb.40:                               ;   in Loop: Header=BB192_26 Depth=1
	v_mad_u64_u32 v[1:2], null, v0, s16, 0
	s_delay_alu instid0(VALU_DEP_1) | instskip(NEXT) | instid1(VALU_DEP_1)
	v_mad_u64_u32 v[3:4], null, v0, s17, v[2:3]
	v_mov_b32_e32 v2, v3
	s_delay_alu instid0(VALU_DEP_1) | instskip(NEXT) | instid1(VALU_DEP_1)
	v_lshlrev_b64 v[1:2], 3, v[1:2]
	v_add_co_u32 v1, vcc_lo, v89, v1
	s_delay_alu instid0(VALU_DEP_2)
	v_add_co_ci_u32_e32 v2, vcc_lo, v90, v2, vcc_lo
	s_clause 0x1
	flat_load_b64 v[3:4], v[1:2]
	flat_load_b64 v[1:2], v[1:2] offset:512
	s_waitcnt vmcnt(1) lgkmcnt(1)
	v_mul_f64 v[68:69], s[20:21], v[3:4]
	s_waitcnt vmcnt(0) lgkmcnt(0)
	v_mul_f64 v[70:71], s[20:21], v[1:2]
	s_and_b32 vcc_lo, exec_lo, s2
	s_mov_b64 s[4:5], 0
	s_cbranch_vccnz .LBB192_43
.LBB192_41:                             ;   in Loop: Header=BB192_26 Depth=1
	v_mad_u64_u32 v[1:2], null, v0, s24, 0
	s_delay_alu instid0(VALU_DEP_1) | instskip(NEXT) | instid1(VALU_DEP_1)
	v_mad_u64_u32 v[3:4], null, v0, s25, v[2:3]
	v_mov_b32_e32 v2, v3
	s_delay_alu instid0(VALU_DEP_1) | instskip(NEXT) | instid1(VALU_DEP_1)
	v_lshlrev_b64 v[0:1], 3, v[1:2]
	v_add_co_u32 v0, vcc_lo, v91, v0
	s_delay_alu instid0(VALU_DEP_2)
	v_add_co_ci_u32_e32 v1, vcc_lo, v92, v1, vcc_lo
	s_clause 0x1
	flat_load_b64 v[2:3], v[0:1]
	flat_load_b64 v[0:1], v[0:1] offset:512
	s_waitcnt vmcnt(1) lgkmcnt(1)
	v_mul_f64 v[72:73], s[20:21], v[2:3]
	s_waitcnt vmcnt(0) lgkmcnt(0)
	v_mul_f64 v[74:75], s[20:21], v[0:1]
	s_branch .LBB192_44
.LBB192_42:                             ;   in Loop: Header=BB192_26 Depth=1
	v_mov_b32_e32 v68, 0
	v_dual_mov_b32 v69, 0 :: v_dual_mov_b32 v70, 0
	v_mov_b32_e32 v71, 0
	s_and_b32 vcc_lo, exec_lo, s2
	s_mov_b64 s[4:5], 0
	s_cbranch_vccz .LBB192_41
.LBB192_43:                             ;   in Loop: Header=BB192_26 Depth=1
	v_mov_b32_e32 v72, 0
	v_dual_mov_b32 v73, 0 :: v_dual_mov_b32 v74, 0
	v_mov_b32_e32 v75, 0
.LBB192_44:                             ;   in Loop: Header=BB192_26 Depth=1
	v_dual_mov_b32 v125, 8 :: v_dual_add_nc_u32 v94, 0x800, v84
	ds_load_2addr_b64 v[0:3], v84 offset1:16
	ds_load_2addr_b64 v[4:7], v84 offset0:32 offset1:48
	ds_load_2addr_b64 v[8:11], v84 offset0:64 offset1:80
	;; [unrolled: 1-line block ×7, first 2 shown]
	ds_load_2addr_b64 v[32:35], v94 offset1:16
	ds_load_2addr_b64 v[36:39], v94 offset0:32 offset1:48
	ds_load_2addr_b64 v[40:43], v94 offset0:64 offset1:80
	;; [unrolled: 1-line block ×7, first 2 shown]
	ds_load_2addr_stride64_b64 v[64:67], v88 offset1:4
	v_dual_mov_b32 v126, 0 :: v_dual_mov_b32 v123, 24
	v_dual_mov_b32 v124, 16 :: v_dual_mov_b32 v121, 40
	v_dual_mov_b32 v122, 32 :: v_dual_mov_b32 v119, 56
	v_dual_mov_b32 v120, 48 :: v_dual_mov_b32 v117, 0x48
	v_dual_mov_b32 v118, 64 :: v_dual_mov_b32 v115, 0x58
	v_mov_b32_e32 v116, 0x50
	v_mov_b32_e32 v114, 0x60
	v_mov_b32_e32 v113, 0x68
	v_mov_b32_e32 v112, 0x70
	v_mov_b32_e32 v111, 0x78
	v_mov_b32_e32 v110, 0x80
	v_mov_b32_e32 v109, 0x88
	v_mov_b32_e32 v108, 0x90
	v_mov_b32_e32 v107, 0x98
	v_mov_b32_e32 v106, 0xa0
	v_mov_b32_e32 v105, 0xa8
	v_mov_b32_e32 v104, 0xb0
	v_mov_b32_e32 v103, 0xb8
	v_mov_b32_e32 v102, 0xc0
	v_mov_b32_e32 v101, 0xc8
	v_mov_b32_e32 v100, 0xd0
	v_mov_b32_e32 v99, 0xd8
	v_mov_b32_e32 v98, 0xe0
	v_mov_b32_e32 v97, 0xe8
	v_mov_b32_e32 v96, 0xf0
	v_mov_b32_e32 v95, 0xf8
	s_mov_b32 s22, -1
.LBB192_45:                             ;   Parent Loop BB192_26 Depth=1
                                        ; =>  This Inner Loop Header: Depth=2
	scratch_load_b64 v[131:132], v126, off
	s_cmp_eq_u32 s4, 1
	s_waitcnt lgkmcnt(16)
	v_max_f64 v[129:130], v[0:1], v[0:1]
	s_cselect_b32 vcc_lo, -1, 0
	s_mov_b64 s[4:5], 1
	s_waitcnt lgkmcnt(0)
	v_dual_cndmask_b32 v128, v65, v67 :: v_dual_cndmask_b32 v127, v64, v66
	s_and_b32 vcc_lo, exec_lo, s22
	s_mov_b32 s22, 0
	s_delay_alu instid0(VALU_DEP_1) | instskip(NEXT) | instid1(VALU_DEP_1)
	v_max_f64 v[127:128], v[127:128], v[127:128]
	v_min_f64 v[129:130], v[129:130], v[127:128]
	s_waitcnt vmcnt(0)
	s_delay_alu instid0(VALU_DEP_1) | instskip(SKIP_3) | instid1(VALU_DEP_1)
	v_add_f64 v[129:130], v[131:132], v[129:130]
	scratch_load_b64 v[131:132], v125, off
	scratch_store_b64 v126, v[129:130], off
	v_max_f64 v[129:130], v[2:3], v[2:3]
	v_min_f64 v[129:130], v[129:130], v[127:128]
	s_waitcnt vmcnt(0)
	s_delay_alu instid0(VALU_DEP_1) | instskip(SKIP_3) | instid1(VALU_DEP_1)
	v_add_f64 v[129:130], v[129:130], v[131:132]
	scratch_store_b64 v125, v[129:130], off
	scratch_load_b64 v[129:130], v124, off
	v_max_f64 v[125:126], v[4:5], v[4:5]
	v_min_f64 v[125:126], v[125:126], v[127:128]
	s_waitcnt vmcnt(0)
	s_delay_alu instid0(VALU_DEP_1) | instskip(SKIP_3) | instid1(VALU_DEP_1)
	v_add_f64 v[125:126], v[125:126], v[129:130]
	scratch_load_b64 v[129:130], v123, off
	scratch_store_b64 v124, v[125:126], off
	v_max_f64 v[124:125], v[6:7], v[6:7]
	v_min_f64 v[124:125], v[124:125], v[127:128]
	s_waitcnt vmcnt(0)
	s_delay_alu instid0(VALU_DEP_1) | instskip(SKIP_3) | instid1(VALU_DEP_1)
	v_add_f64 v[124:125], v[124:125], v[129:130]
	scratch_store_b64 v123, v[124:125], off
	scratch_load_b64 v[125:126], v122, off
	v_max_f64 v[123:124], v[8:9], v[8:9]
	v_min_f64 v[123:124], v[123:124], v[127:128]
	s_waitcnt vmcnt(0)
	s_delay_alu instid0(VALU_DEP_1) | instskip(SKIP_4) | instid1(VALU_DEP_1)
	v_add_f64 v[123:124], v[123:124], v[125:126]
	v_mov_b32_e32 v126, 0x100
	scratch_store_b64 v122, v[123:124], off
	scratch_load_b64 v[124:125], v121, off
	v_max_f64 v[122:123], v[10:11], v[10:11]
	v_min_f64 v[122:123], v[122:123], v[127:128]
	s_waitcnt vmcnt(0)
	s_delay_alu instid0(VALU_DEP_1) | instskip(SKIP_4) | instid1(VALU_DEP_1)
	v_add_f64 v[122:123], v[122:123], v[124:125]
	v_mov_b32_e32 v125, 0x108
	;; [unrolled: 8-line block ×27, first 2 shown]
	scratch_store_b64 v96, v[97:98], off
	scratch_load_b64 v[98:99], v95, off
	v_max_f64 v[96:97], v[62:63], v[62:63]
	v_min_f64 v[96:97], v[96:97], v[127:128]
	s_waitcnt vmcnt(0)
	s_delay_alu instid0(VALU_DEP_1)
	v_add_f64 v[96:97], v[96:97], v[98:99]
	v_mov_b32_e32 v99, 0x1d8
	v_mov_b32_e32 v98, 0x1e0
	scratch_store_b64 v95, v[96:97], off
	v_mov_b32_e32 v97, 0x1e8
	v_mov_b32_e32 v96, 0x1f0
	;; [unrolled: 1-line block ×3, first 2 shown]
	s_cbranch_vccnz .LBB192_45
; %bb.46:                               ;   in Loop: Header=BB192_26 Depth=1
	ds_load_2addr_b64 v[0:3], v84 offset0:1 offset1:17
	ds_load_2addr_b64 v[4:7], v84 offset0:33 offset1:49
	ds_load_2addr_b64 v[8:11], v84 offset0:65 offset1:81
	ds_load_2addr_b64 v[12:15], v84 offset0:97 offset1:113
	ds_load_2addr_b64 v[16:19], v84 offset0:129 offset1:145
	ds_load_2addr_b64 v[20:23], v84 offset0:161 offset1:177
	ds_load_2addr_b64 v[24:27], v84 offset0:193 offset1:209
	ds_load_2addr_b64 v[28:31], v84 offset0:225 offset1:241
	ds_load_2addr_b64 v[32:35], v94 offset0:1 offset1:17
	ds_load_2addr_b64 v[36:39], v94 offset0:33 offset1:49
	ds_load_2addr_b64 v[40:43], v94 offset0:65 offset1:81
	ds_load_2addr_b64 v[44:47], v94 offset0:97 offset1:113
	v_dual_mov_b32 v125, 8 :: v_dual_add_nc_u32 v64, 8, v88
	ds_load_2addr_b64 v[48:51], v94 offset0:129 offset1:145
	ds_load_2addr_b64 v[52:55], v94 offset0:161 offset1:177
	ds_load_2addr_b64 v[56:59], v94 offset0:193 offset1:209
	ds_load_2addr_b64 v[60:63], v94 offset0:225 offset1:241
	ds_load_2addr_stride64_b64 v[64:67], v64 offset1:4
	v_dual_mov_b32 v126, 0 :: v_dual_mov_b32 v123, 24
	v_dual_mov_b32 v124, 16 :: v_dual_mov_b32 v121, 40
	v_dual_mov_b32 v122, 32 :: v_dual_mov_b32 v119, 56
	v_dual_mov_b32 v120, 48 :: v_dual_mov_b32 v117, 0x48
	v_dual_mov_b32 v118, 64 :: v_dual_mov_b32 v115, 0x58
	v_mov_b32_e32 v116, 0x50
	v_mov_b32_e32 v114, 0x60
	;; [unrolled: 1-line block ×21, first 2 shown]
	s_mov_b64 s[4:5], 0
	s_mov_b32 s22, -1
.LBB192_47:                             ;   Parent Loop BB192_26 Depth=1
                                        ; =>  This Inner Loop Header: Depth=2
	scratch_load_b64 v[131:132], v126, off
	s_cmp_eq_u32 s4, 1
	s_waitcnt lgkmcnt(16)
	v_max_f64 v[129:130], v[0:1], v[0:1]
	s_cselect_b32 vcc_lo, -1, 0
	s_mov_b64 s[4:5], 1
	s_waitcnt lgkmcnt(0)
	v_dual_cndmask_b32 v128, v65, v67 :: v_dual_cndmask_b32 v127, v64, v66
	s_and_b32 vcc_lo, exec_lo, s22
	s_mov_b32 s22, 0
	s_delay_alu instid0(VALU_DEP_1) | instskip(NEXT) | instid1(VALU_DEP_1)
	v_max_f64 v[127:128], v[127:128], v[127:128]
	v_min_f64 v[129:130], v[129:130], v[127:128]
	s_waitcnt vmcnt(0)
	s_delay_alu instid0(VALU_DEP_1) | instskip(SKIP_3) | instid1(VALU_DEP_1)
	v_add_f64 v[129:130], v[131:132], v[129:130]
	scratch_load_b64 v[131:132], v125, off
	scratch_store_b64 v126, v[129:130], off
	v_max_f64 v[129:130], v[2:3], v[2:3]
	v_min_f64 v[129:130], v[129:130], v[127:128]
	s_waitcnt vmcnt(0)
	s_delay_alu instid0(VALU_DEP_1) | instskip(SKIP_3) | instid1(VALU_DEP_1)
	v_add_f64 v[129:130], v[129:130], v[131:132]
	scratch_store_b64 v125, v[129:130], off
	scratch_load_b64 v[129:130], v124, off
	v_max_f64 v[125:126], v[4:5], v[4:5]
	v_min_f64 v[125:126], v[125:126], v[127:128]
	s_waitcnt vmcnt(0)
	s_delay_alu instid0(VALU_DEP_1) | instskip(SKIP_3) | instid1(VALU_DEP_1)
	v_add_f64 v[125:126], v[125:126], v[129:130]
	scratch_load_b64 v[129:130], v123, off
	scratch_store_b64 v124, v[125:126], off
	v_max_f64 v[124:125], v[6:7], v[6:7]
	v_min_f64 v[124:125], v[124:125], v[127:128]
	s_waitcnt vmcnt(0)
	s_delay_alu instid0(VALU_DEP_1) | instskip(SKIP_3) | instid1(VALU_DEP_1)
	v_add_f64 v[124:125], v[124:125], v[129:130]
	scratch_store_b64 v123, v[124:125], off
	scratch_load_b64 v[125:126], v122, off
	v_max_f64 v[123:124], v[8:9], v[8:9]
	v_min_f64 v[123:124], v[123:124], v[127:128]
	s_waitcnt vmcnt(0)
	s_delay_alu instid0(VALU_DEP_1) | instskip(SKIP_4) | instid1(VALU_DEP_1)
	v_add_f64 v[123:124], v[123:124], v[125:126]
	v_mov_b32_e32 v126, 0x100
	scratch_store_b64 v122, v[123:124], off
	scratch_load_b64 v[124:125], v121, off
	v_max_f64 v[122:123], v[10:11], v[10:11]
	v_min_f64 v[122:123], v[122:123], v[127:128]
	s_waitcnt vmcnt(0)
	s_delay_alu instid0(VALU_DEP_1) | instskip(SKIP_4) | instid1(VALU_DEP_1)
	v_add_f64 v[122:123], v[122:123], v[124:125]
	v_mov_b32_e32 v125, 0x108
	scratch_store_b64 v121, v[122:123], off
	scratch_load_b64 v[123:124], v120, off
	v_max_f64 v[121:122], v[12:13], v[12:13]
	v_min_f64 v[121:122], v[121:122], v[127:128]
	s_waitcnt vmcnt(0)
	s_delay_alu instid0(VALU_DEP_1) | instskip(SKIP_4) | instid1(VALU_DEP_1)
	v_add_f64 v[121:122], v[121:122], v[123:124]
	v_mov_b32_e32 v124, 0x110
	scratch_store_b64 v120, v[121:122], off
	scratch_load_b64 v[122:123], v119, off
	v_max_f64 v[120:121], v[14:15], v[14:15]
	v_min_f64 v[120:121], v[120:121], v[127:128]
	s_waitcnt vmcnt(0)
	s_delay_alu instid0(VALU_DEP_1) | instskip(SKIP_4) | instid1(VALU_DEP_1)
	v_add_f64 v[120:121], v[120:121], v[122:123]
	v_mov_b32_e32 v123, 0x118
	scratch_store_b64 v119, v[120:121], off
	scratch_load_b64 v[121:122], v118, off
	v_max_f64 v[119:120], v[16:17], v[16:17]
	v_min_f64 v[119:120], v[119:120], v[127:128]
	s_waitcnt vmcnt(0)
	s_delay_alu instid0(VALU_DEP_1) | instskip(SKIP_4) | instid1(VALU_DEP_1)
	v_add_f64 v[119:120], v[119:120], v[121:122]
	v_mov_b32_e32 v122, 0x120
	scratch_store_b64 v118, v[119:120], off
	scratch_load_b64 v[120:121], v117, off
	v_max_f64 v[118:119], v[18:19], v[18:19]
	v_min_f64 v[118:119], v[118:119], v[127:128]
	s_waitcnt vmcnt(0)
	s_delay_alu instid0(VALU_DEP_1) | instskip(SKIP_4) | instid1(VALU_DEP_1)
	v_add_f64 v[118:119], v[118:119], v[120:121]
	v_mov_b32_e32 v121, 0x128
	scratch_store_b64 v117, v[118:119], off
	scratch_load_b64 v[119:120], v116, off
	v_max_f64 v[117:118], v[20:21], v[20:21]
	v_min_f64 v[117:118], v[117:118], v[127:128]
	s_waitcnt vmcnt(0)
	s_delay_alu instid0(VALU_DEP_1) | instskip(SKIP_4) | instid1(VALU_DEP_1)
	v_add_f64 v[117:118], v[117:118], v[119:120]
	v_mov_b32_e32 v120, 0x130
	scratch_store_b64 v116, v[117:118], off
	scratch_load_b64 v[118:119], v115, off
	v_max_f64 v[116:117], v[22:23], v[22:23]
	v_min_f64 v[116:117], v[116:117], v[127:128]
	s_waitcnt vmcnt(0)
	s_delay_alu instid0(VALU_DEP_1) | instskip(SKIP_4) | instid1(VALU_DEP_1)
	v_add_f64 v[116:117], v[116:117], v[118:119]
	v_mov_b32_e32 v119, 0x138
	scratch_store_b64 v115, v[116:117], off
	scratch_load_b64 v[117:118], v114, off
	v_max_f64 v[115:116], v[24:25], v[24:25]
	v_min_f64 v[115:116], v[115:116], v[127:128]
	s_waitcnt vmcnt(0)
	s_delay_alu instid0(VALU_DEP_1) | instskip(SKIP_4) | instid1(VALU_DEP_1)
	v_add_f64 v[115:116], v[115:116], v[117:118]
	v_mov_b32_e32 v118, 0x140
	scratch_store_b64 v114, v[115:116], off
	scratch_load_b64 v[116:117], v113, off
	v_max_f64 v[114:115], v[26:27], v[26:27]
	v_min_f64 v[114:115], v[114:115], v[127:128]
	s_waitcnt vmcnt(0)
	s_delay_alu instid0(VALU_DEP_1) | instskip(SKIP_4) | instid1(VALU_DEP_1)
	v_add_f64 v[114:115], v[114:115], v[116:117]
	v_mov_b32_e32 v117, 0x148
	scratch_store_b64 v113, v[114:115], off
	scratch_load_b64 v[115:116], v112, off
	v_max_f64 v[113:114], v[28:29], v[28:29]
	v_min_f64 v[113:114], v[113:114], v[127:128]
	s_waitcnt vmcnt(0)
	s_delay_alu instid0(VALU_DEP_1) | instskip(SKIP_4) | instid1(VALU_DEP_1)
	v_add_f64 v[113:114], v[113:114], v[115:116]
	v_mov_b32_e32 v116, 0x150
	scratch_store_b64 v112, v[113:114], off
	scratch_load_b64 v[114:115], v111, off
	v_max_f64 v[112:113], v[30:31], v[30:31]
	v_min_f64 v[112:113], v[112:113], v[127:128]
	s_waitcnt vmcnt(0)
	s_delay_alu instid0(VALU_DEP_1) | instskip(SKIP_4) | instid1(VALU_DEP_1)
	v_add_f64 v[112:113], v[112:113], v[114:115]
	v_mov_b32_e32 v115, 0x158
	scratch_store_b64 v111, v[112:113], off
	scratch_load_b64 v[113:114], v110, off
	v_max_f64 v[111:112], v[32:33], v[32:33]
	v_min_f64 v[111:112], v[111:112], v[127:128]
	s_waitcnt vmcnt(0)
	s_delay_alu instid0(VALU_DEP_1) | instskip(SKIP_4) | instid1(VALU_DEP_1)
	v_add_f64 v[111:112], v[111:112], v[113:114]
	v_mov_b32_e32 v114, 0x160
	scratch_store_b64 v110, v[111:112], off
	scratch_load_b64 v[112:113], v109, off
	v_max_f64 v[110:111], v[34:35], v[34:35]
	v_min_f64 v[110:111], v[110:111], v[127:128]
	s_waitcnt vmcnt(0)
	s_delay_alu instid0(VALU_DEP_1) | instskip(SKIP_4) | instid1(VALU_DEP_1)
	v_add_f64 v[110:111], v[110:111], v[112:113]
	v_mov_b32_e32 v113, 0x168
	scratch_store_b64 v109, v[110:111], off
	scratch_load_b64 v[111:112], v108, off
	v_max_f64 v[109:110], v[36:37], v[36:37]
	v_min_f64 v[109:110], v[109:110], v[127:128]
	s_waitcnt vmcnt(0)
	s_delay_alu instid0(VALU_DEP_1) | instskip(SKIP_4) | instid1(VALU_DEP_1)
	v_add_f64 v[109:110], v[109:110], v[111:112]
	v_mov_b32_e32 v112, 0x170
	scratch_store_b64 v108, v[109:110], off
	scratch_load_b64 v[110:111], v107, off
	v_max_f64 v[108:109], v[38:39], v[38:39]
	v_min_f64 v[108:109], v[108:109], v[127:128]
	s_waitcnt vmcnt(0)
	s_delay_alu instid0(VALU_DEP_1) | instskip(SKIP_4) | instid1(VALU_DEP_1)
	v_add_f64 v[108:109], v[108:109], v[110:111]
	v_mov_b32_e32 v111, 0x178
	scratch_store_b64 v107, v[108:109], off
	scratch_load_b64 v[109:110], v106, off
	v_max_f64 v[107:108], v[40:41], v[40:41]
	v_min_f64 v[107:108], v[107:108], v[127:128]
	s_waitcnt vmcnt(0)
	s_delay_alu instid0(VALU_DEP_1) | instskip(SKIP_4) | instid1(VALU_DEP_1)
	v_add_f64 v[107:108], v[107:108], v[109:110]
	v_mov_b32_e32 v110, 0x180
	scratch_store_b64 v106, v[107:108], off
	scratch_load_b64 v[108:109], v105, off
	v_max_f64 v[106:107], v[42:43], v[42:43]
	v_min_f64 v[106:107], v[106:107], v[127:128]
	s_waitcnt vmcnt(0)
	s_delay_alu instid0(VALU_DEP_1) | instskip(SKIP_4) | instid1(VALU_DEP_1)
	v_add_f64 v[106:107], v[106:107], v[108:109]
	v_mov_b32_e32 v109, 0x188
	scratch_store_b64 v105, v[106:107], off
	scratch_load_b64 v[107:108], v104, off
	v_max_f64 v[105:106], v[44:45], v[44:45]
	v_min_f64 v[105:106], v[105:106], v[127:128]
	s_waitcnt vmcnt(0)
	s_delay_alu instid0(VALU_DEP_1) | instskip(SKIP_4) | instid1(VALU_DEP_1)
	v_add_f64 v[105:106], v[105:106], v[107:108]
	v_mov_b32_e32 v108, 0x190
	scratch_store_b64 v104, v[105:106], off
	scratch_load_b64 v[106:107], v103, off
	v_max_f64 v[104:105], v[46:47], v[46:47]
	v_min_f64 v[104:105], v[104:105], v[127:128]
	s_waitcnt vmcnt(0)
	s_delay_alu instid0(VALU_DEP_1) | instskip(SKIP_4) | instid1(VALU_DEP_1)
	v_add_f64 v[104:105], v[104:105], v[106:107]
	v_mov_b32_e32 v107, 0x198
	scratch_store_b64 v103, v[104:105], off
	scratch_load_b64 v[105:106], v102, off
	v_max_f64 v[103:104], v[48:49], v[48:49]
	v_min_f64 v[103:104], v[103:104], v[127:128]
	s_waitcnt vmcnt(0)
	s_delay_alu instid0(VALU_DEP_1) | instskip(SKIP_4) | instid1(VALU_DEP_1)
	v_add_f64 v[103:104], v[103:104], v[105:106]
	v_mov_b32_e32 v106, 0x1a0
	scratch_store_b64 v102, v[103:104], off
	scratch_load_b64 v[104:105], v101, off
	v_max_f64 v[102:103], v[50:51], v[50:51]
	v_min_f64 v[102:103], v[102:103], v[127:128]
	s_waitcnt vmcnt(0)
	s_delay_alu instid0(VALU_DEP_1) | instskip(SKIP_4) | instid1(VALU_DEP_1)
	v_add_f64 v[102:103], v[102:103], v[104:105]
	v_mov_b32_e32 v105, 0x1a8
	scratch_store_b64 v101, v[102:103], off
	scratch_load_b64 v[103:104], v100, off
	v_max_f64 v[101:102], v[52:53], v[52:53]
	v_min_f64 v[101:102], v[101:102], v[127:128]
	s_waitcnt vmcnt(0)
	s_delay_alu instid0(VALU_DEP_1) | instskip(SKIP_4) | instid1(VALU_DEP_1)
	v_add_f64 v[101:102], v[101:102], v[103:104]
	v_mov_b32_e32 v104, 0x1b0
	scratch_store_b64 v100, v[101:102], off
	scratch_load_b64 v[102:103], v99, off
	v_max_f64 v[100:101], v[54:55], v[54:55]
	v_min_f64 v[100:101], v[100:101], v[127:128]
	s_waitcnt vmcnt(0)
	s_delay_alu instid0(VALU_DEP_1) | instskip(SKIP_4) | instid1(VALU_DEP_1)
	v_add_f64 v[100:101], v[100:101], v[102:103]
	v_mov_b32_e32 v103, 0x1b8
	scratch_store_b64 v99, v[100:101], off
	scratch_load_b64 v[101:102], v98, off
	v_max_f64 v[99:100], v[56:57], v[56:57]
	v_min_f64 v[99:100], v[99:100], v[127:128]
	s_waitcnt vmcnt(0)
	s_delay_alu instid0(VALU_DEP_1) | instskip(SKIP_4) | instid1(VALU_DEP_1)
	v_add_f64 v[99:100], v[99:100], v[101:102]
	v_mov_b32_e32 v102, 0x1c0
	scratch_store_b64 v98, v[99:100], off
	scratch_load_b64 v[100:101], v97, off
	v_max_f64 v[98:99], v[58:59], v[58:59]
	v_min_f64 v[98:99], v[98:99], v[127:128]
	s_waitcnt vmcnt(0)
	s_delay_alu instid0(VALU_DEP_1) | instskip(SKIP_4) | instid1(VALU_DEP_1)
	v_add_f64 v[98:99], v[98:99], v[100:101]
	v_mov_b32_e32 v101, 0x1c8
	scratch_store_b64 v97, v[98:99], off
	scratch_load_b64 v[99:100], v96, off
	v_max_f64 v[97:98], v[60:61], v[60:61]
	v_min_f64 v[97:98], v[97:98], v[127:128]
	s_waitcnt vmcnt(0)
	s_delay_alu instid0(VALU_DEP_1) | instskip(SKIP_4) | instid1(VALU_DEP_1)
	v_add_f64 v[97:98], v[97:98], v[99:100]
	v_mov_b32_e32 v100, 0x1d0
	scratch_store_b64 v96, v[97:98], off
	scratch_load_b64 v[98:99], v95, off
	v_max_f64 v[96:97], v[62:63], v[62:63]
	v_min_f64 v[96:97], v[96:97], v[127:128]
	s_waitcnt vmcnt(0)
	s_delay_alu instid0(VALU_DEP_1)
	v_add_f64 v[96:97], v[96:97], v[98:99]
	v_mov_b32_e32 v99, 0x1d8
	v_mov_b32_e32 v98, 0x1e0
	scratch_store_b64 v95, v[96:97], off
	v_mov_b32_e32 v97, 0x1e8
	v_mov_b32_e32 v96, 0x1f0
	;; [unrolled: 1-line block ×3, first 2 shown]
	s_cbranch_vccnz .LBB192_47
; %bb.48:                               ;   in Loop: Header=BB192_26 Depth=1
	ds_load_2addr_b64 v[0:3], v84 offset0:2 offset1:18
	ds_load_2addr_b64 v[4:7], v84 offset0:34 offset1:50
	ds_load_2addr_b64 v[8:11], v84 offset0:66 offset1:82
	ds_load_2addr_b64 v[12:15], v84 offset0:98 offset1:114
	ds_load_2addr_b64 v[16:19], v84 offset0:130 offset1:146
	ds_load_2addr_b64 v[20:23], v84 offset0:162 offset1:178
	ds_load_2addr_b64 v[24:27], v84 offset0:194 offset1:210
	ds_load_2addr_b64 v[28:31], v84 offset0:226 offset1:242
	ds_load_2addr_b64 v[32:35], v94 offset0:2 offset1:18
	ds_load_2addr_b64 v[36:39], v94 offset0:34 offset1:50
	ds_load_2addr_b64 v[40:43], v94 offset0:66 offset1:82
	ds_load_2addr_b64 v[44:47], v94 offset0:98 offset1:114
	v_dual_mov_b32 v125, 8 :: v_dual_add_nc_u32 v64, 16, v88
	ds_load_2addr_b64 v[48:51], v94 offset0:130 offset1:146
	ds_load_2addr_b64 v[52:55], v94 offset0:162 offset1:178
	;; [unrolled: 1-line block ×4, first 2 shown]
	ds_load_2addr_stride64_b64 v[64:67], v64 offset1:4
	v_dual_mov_b32 v126, 0 :: v_dual_mov_b32 v123, 24
	v_dual_mov_b32 v124, 16 :: v_dual_mov_b32 v121, 40
	;; [unrolled: 1-line block ×5, first 2 shown]
	v_mov_b32_e32 v116, 0x50
	v_mov_b32_e32 v114, 0x60
	;; [unrolled: 1-line block ×21, first 2 shown]
	s_mov_b64 s[4:5], 0
	s_mov_b32 s22, -1
.LBB192_49:                             ;   Parent Loop BB192_26 Depth=1
                                        ; =>  This Inner Loop Header: Depth=2
	scratch_load_b64 v[131:132], v126, off
	s_cmp_eq_u32 s4, 1
	s_waitcnt lgkmcnt(16)
	v_max_f64 v[129:130], v[0:1], v[0:1]
	s_cselect_b32 vcc_lo, -1, 0
	s_mov_b64 s[4:5], 1
	s_waitcnt lgkmcnt(0)
	v_dual_cndmask_b32 v128, v65, v67 :: v_dual_cndmask_b32 v127, v64, v66
	s_and_b32 vcc_lo, exec_lo, s22
	s_mov_b32 s22, 0
	s_delay_alu instid0(VALU_DEP_1) | instskip(NEXT) | instid1(VALU_DEP_1)
	v_max_f64 v[127:128], v[127:128], v[127:128]
	v_min_f64 v[129:130], v[129:130], v[127:128]
	s_waitcnt vmcnt(0)
	s_delay_alu instid0(VALU_DEP_1) | instskip(SKIP_3) | instid1(VALU_DEP_1)
	v_add_f64 v[129:130], v[131:132], v[129:130]
	scratch_load_b64 v[131:132], v125, off
	scratch_store_b64 v126, v[129:130], off
	v_max_f64 v[129:130], v[2:3], v[2:3]
	v_min_f64 v[129:130], v[129:130], v[127:128]
	s_waitcnt vmcnt(0)
	s_delay_alu instid0(VALU_DEP_1) | instskip(SKIP_3) | instid1(VALU_DEP_1)
	v_add_f64 v[129:130], v[129:130], v[131:132]
	scratch_store_b64 v125, v[129:130], off
	scratch_load_b64 v[129:130], v124, off
	v_max_f64 v[125:126], v[4:5], v[4:5]
	v_min_f64 v[125:126], v[125:126], v[127:128]
	s_waitcnt vmcnt(0)
	s_delay_alu instid0(VALU_DEP_1) | instskip(SKIP_3) | instid1(VALU_DEP_1)
	v_add_f64 v[125:126], v[125:126], v[129:130]
	scratch_load_b64 v[129:130], v123, off
	scratch_store_b64 v124, v[125:126], off
	v_max_f64 v[124:125], v[6:7], v[6:7]
	v_min_f64 v[124:125], v[124:125], v[127:128]
	s_waitcnt vmcnt(0)
	s_delay_alu instid0(VALU_DEP_1) | instskip(SKIP_3) | instid1(VALU_DEP_1)
	v_add_f64 v[124:125], v[124:125], v[129:130]
	scratch_store_b64 v123, v[124:125], off
	scratch_load_b64 v[125:126], v122, off
	v_max_f64 v[123:124], v[8:9], v[8:9]
	v_min_f64 v[123:124], v[123:124], v[127:128]
	s_waitcnt vmcnt(0)
	s_delay_alu instid0(VALU_DEP_1) | instskip(SKIP_4) | instid1(VALU_DEP_1)
	v_add_f64 v[123:124], v[123:124], v[125:126]
	v_mov_b32_e32 v126, 0x100
	scratch_store_b64 v122, v[123:124], off
	scratch_load_b64 v[124:125], v121, off
	v_max_f64 v[122:123], v[10:11], v[10:11]
	v_min_f64 v[122:123], v[122:123], v[127:128]
	s_waitcnt vmcnt(0)
	s_delay_alu instid0(VALU_DEP_1) | instskip(SKIP_4) | instid1(VALU_DEP_1)
	v_add_f64 v[122:123], v[122:123], v[124:125]
	v_mov_b32_e32 v125, 0x108
	;; [unrolled: 8-line block ×27, first 2 shown]
	scratch_store_b64 v96, v[97:98], off
	scratch_load_b64 v[98:99], v95, off
	v_max_f64 v[96:97], v[62:63], v[62:63]
	v_min_f64 v[96:97], v[96:97], v[127:128]
	s_waitcnt vmcnt(0)
	s_delay_alu instid0(VALU_DEP_1)
	v_add_f64 v[96:97], v[96:97], v[98:99]
	v_mov_b32_e32 v99, 0x1d8
	v_mov_b32_e32 v98, 0x1e0
	scratch_store_b64 v95, v[96:97], off
	v_mov_b32_e32 v97, 0x1e8
	v_mov_b32_e32 v96, 0x1f0
	;; [unrolled: 1-line block ×3, first 2 shown]
	s_cbranch_vccnz .LBB192_49
; %bb.50:                               ;   in Loop: Header=BB192_26 Depth=1
	ds_load_2addr_b64 v[0:3], v84 offset0:3 offset1:19
	ds_load_2addr_b64 v[4:7], v84 offset0:35 offset1:51
	;; [unrolled: 1-line block ×12, first 2 shown]
	v_dual_mov_b32 v125, 0 :: v_dual_add_nc_u32 v64, 24, v88
	ds_load_2addr_b64 v[48:51], v94 offset0:131 offset1:147
	ds_load_2addr_b64 v[52:55], v94 offset0:163 offset1:179
	;; [unrolled: 1-line block ×4, first 2 shown]
	ds_load_2addr_stride64_b64 v[64:67], v64 offset1:4
	v_dual_mov_b32 v124, 8 :: v_dual_mov_b32 v123, 16
	v_dual_mov_b32 v122, 24 :: v_dual_mov_b32 v121, 32
	v_dual_mov_b32 v120, 40 :: v_dual_mov_b32 v119, 48
	v_dual_mov_b32 v118, 56 :: v_dual_mov_b32 v117, 64
	v_mov_b32_e32 v116, 0x48
	v_mov_b32_e32 v115, 0x50
	;; [unrolled: 1-line block ×23, first 2 shown]
	s_mov_b64 s[4:5], 0
	s_mov_b32 s22, -1
.LBB192_51:                             ;   Parent Loop BB192_26 Depth=1
                                        ; =>  This Inner Loop Header: Depth=2
	scratch_load_b64 v[130:131], v125, off
	s_cmp_eq_u32 s4, 1
	s_waitcnt lgkmcnt(16)
	v_max_f64 v[128:129], v[0:1], v[0:1]
	s_cselect_b32 vcc_lo, -1, 0
	s_mov_b64 s[4:5], 1
	s_waitcnt lgkmcnt(0)
	v_dual_cndmask_b32 v127, v65, v67 :: v_dual_cndmask_b32 v126, v64, v66
	s_and_b32 vcc_lo, exec_lo, s22
	s_mov_b32 s22, 0
	s_delay_alu instid0(VALU_DEP_1) | instskip(NEXT) | instid1(VALU_DEP_1)
	v_max_f64 v[126:127], v[126:127], v[126:127]
	v_min_f64 v[128:129], v[128:129], v[126:127]
	s_waitcnt vmcnt(0)
	s_delay_alu instid0(VALU_DEP_1) | instskip(SKIP_3) | instid1(VALU_DEP_1)
	v_add_f64 v[128:129], v[130:131], v[128:129]
	scratch_load_b64 v[130:131], v124, off
	scratch_store_b64 v125, v[128:129], off
	v_max_f64 v[128:129], v[2:3], v[2:3]
	v_min_f64 v[128:129], v[128:129], v[126:127]
	s_waitcnt vmcnt(0)
	s_delay_alu instid0(VALU_DEP_1) | instskip(SKIP_3) | instid1(VALU_DEP_1)
	v_add_f64 v[128:129], v[128:129], v[130:131]
	scratch_store_b64 v124, v[128:129], off
	scratch_load_b64 v[128:129], v123, off
	v_max_f64 v[124:125], v[4:5], v[4:5]
	v_min_f64 v[124:125], v[124:125], v[126:127]
	s_waitcnt vmcnt(0)
	s_delay_alu instid0(VALU_DEP_1) | instskip(SKIP_3) | instid1(VALU_DEP_1)
	v_add_f64 v[124:125], v[124:125], v[128:129]
	scratch_load_b64 v[128:129], v122, off
	scratch_store_b64 v123, v[124:125], off
	v_max_f64 v[123:124], v[6:7], v[6:7]
	v_min_f64 v[123:124], v[123:124], v[126:127]
	s_waitcnt vmcnt(0)
	s_delay_alu instid0(VALU_DEP_1) | instskip(SKIP_3) | instid1(VALU_DEP_1)
	v_add_f64 v[123:124], v[123:124], v[128:129]
	scratch_store_b64 v122, v[123:124], off
	scratch_load_b64 v[124:125], v121, off
	v_max_f64 v[122:123], v[8:9], v[8:9]
	v_min_f64 v[122:123], v[122:123], v[126:127]
	s_waitcnt vmcnt(0)
	s_delay_alu instid0(VALU_DEP_1) | instskip(SKIP_4) | instid1(VALU_DEP_1)
	v_add_f64 v[122:123], v[122:123], v[124:125]
	v_mov_b32_e32 v125, 0x100
	scratch_store_b64 v121, v[122:123], off
	scratch_load_b64 v[123:124], v120, off
	v_max_f64 v[121:122], v[10:11], v[10:11]
	v_min_f64 v[121:122], v[121:122], v[126:127]
	s_waitcnt vmcnt(0)
	s_delay_alu instid0(VALU_DEP_1) | instskip(SKIP_4) | instid1(VALU_DEP_1)
	v_add_f64 v[121:122], v[121:122], v[123:124]
	v_mov_b32_e32 v124, 0x108
	;; [unrolled: 8-line block ×27, first 2 shown]
	scratch_store_b64 v95, v[96:97], off
	scratch_load_b64 v[97:98], v94, off
	v_max_f64 v[95:96], v[62:63], v[62:63]
	v_min_f64 v[95:96], v[95:96], v[126:127]
	s_waitcnt vmcnt(0)
	s_delay_alu instid0(VALU_DEP_1)
	v_add_f64 v[95:96], v[95:96], v[97:98]
	v_mov_b32_e32 v98, 0x1d8
	v_mov_b32_e32 v97, 0x1e0
	scratch_store_b64 v94, v[95:96], off
	v_mov_b32_e32 v96, 0x1e8
	v_mov_b32_e32 v95, 0x1f0
	;; [unrolled: 1-line block ×3, first 2 shown]
	s_cbranch_vccnz .LBB192_51
; %bb.52:                               ;   in Loop: Header=BB192_26 Depth=1
	s_add_i32 s19, s19, 8
	s_add_i32 s26, s26, 8
	s_cmp_ge_i32 s19, s18
	ds_store_2addr_stride64_b64 v76, v[68:69], v[70:71] offset1:4
	ds_store_2addr_stride64_b64 v77, v[72:73], v[74:75] offset1:4
	s_waitcnt lgkmcnt(0)
	s_waitcnt_vscnt null, 0x0
	s_barrier
	buffer_gl0_inv
	s_cbranch_scc0 .LBB192_26
.LBB192_53:
	v_dual_mov_b32 v71, 8 :: v_dual_add_nc_u32 v28, 0x1000, v84
	v_dual_mov_b32 v75, 40 :: v_dual_add_nc_u32 v60, 0x1800, v84
	;; [unrolled: 1-line block ×3, first 2 shown]
	ds_load_2addr_b64 v[0:3], v28 offset1:16
	ds_load_2addr_b64 v[4:7], v28 offset0:32 offset1:48
	ds_load_2addr_b64 v[8:11], v28 offset0:64 offset1:80
	;; [unrolled: 1-line block ×7, first 2 shown]
	ds_load_2addr_b64 v[32:35], v60 offset1:16
	ds_load_2addr_b64 v[36:39], v60 offset0:32 offset1:48
	ds_load_2addr_b64 v[40:43], v60 offset0:64 offset1:80
	;; [unrolled: 1-line block ×7, first 2 shown]
	ds_load_2addr_stride64_b64 v[64:67], v86 offset0:24 offset1:28
	v_dual_mov_b32 v70, 0 :: v_dual_add_nc_u32 v69, 0x3000, v86
	v_dual_mov_b32 v72, 16 :: v_dual_mov_b32 v77, 56
	v_dual_mov_b32 v74, 32 :: v_dual_mov_b32 v79, 0x48
	;; [unrolled: 1-line block ×4, first 2 shown]
	v_mov_b32_e32 v82, 0x50
	v_mov_b32_e32 v84, 0x60
	;; [unrolled: 1-line block ×20, first 2 shown]
	s_mov_b64 s[2:3], 0
	s_mov_b32 s4, -1
.LBB192_54:                             ; =>This Inner Loop Header: Depth=1
	scratch_load_b64 v[104:105], v70, off
	scratch_load_b64 v[106:107], v71, off
	;; [unrolled: 1-line block ×32, first 2 shown]
	s_cmp_eq_u32 s2, 1
	s_waitcnt lgkmcnt(16)
	v_max_f64 v[170:171], v[0:1], v[0:1]
	s_cselect_b32 vcc_lo, -1, 0
	v_max_f64 v[172:173], v[2:3], v[2:3]
	s_waitcnt lgkmcnt(0)
	v_dual_cndmask_b32 v169, v65, v67 :: v_dual_cndmask_b32 v168, v64, v66
	v_max_f64 v[174:175], v[4:5], v[4:5]
	v_max_f64 v[176:177], v[6:7], v[6:7]
	;; [unrolled: 1-line block ×31, first 2 shown]
	s_mov_b64 s[2:3], 1
	s_and_b32 vcc_lo, exec_lo, s4
	s_mov_b32 s4, 0
	v_min_f64 v[170:171], v[170:171], v[168:169]
	v_min_f64 v[172:173], v[172:173], v[168:169]
	;; [unrolled: 1-line block ×32, first 2 shown]
	s_waitcnt vmcnt(31)
	v_add_f64 v[104:105], v[104:105], v[170:171]
	s_waitcnt vmcnt(30)
	v_add_f64 v[106:107], v[172:173], v[106:107]
	;; [unrolled: 2-line block ×32, first 2 shown]
	scratch_store_b64 v70, v[104:105], off
	scratch_store_b64 v71, v[106:107], off
	;; [unrolled: 1-line block ×32, first 2 shown]
	v_mov_b32_e32 v70, 0x100
	v_mov_b32_e32 v71, 0x108
	;; [unrolled: 1-line block ×32, first 2 shown]
	s_cbranch_vccnz .LBB192_54
; %bb.55:
	v_dual_mov_b32 v71, 8 :: v_dual_add_nc_u32 v60, 0x800, v68
	ds_load_2addr_b64 v[0:3], v68 offset0:1 offset1:17
	ds_load_2addr_b64 v[4:7], v68 offset0:33 offset1:49
	;; [unrolled: 1-line block ×12, first 2 shown]
	v_dual_mov_b32 v73, 24 :: v_dual_add_nc_u32 v64, 8, v69
	ds_load_2addr_b64 v[48:51], v60 offset0:129 offset1:145
	ds_load_2addr_b64 v[52:55], v60 offset0:161 offset1:177
	;; [unrolled: 1-line block ×4, first 2 shown]
	ds_load_2addr_stride64_b64 v[64:67], v64 offset1:4
	v_dual_mov_b32 v70, 0 :: v_dual_mov_b32 v75, 40
	v_dual_mov_b32 v72, 16 :: v_dual_mov_b32 v77, 56
	;; [unrolled: 1-line block ×5, first 2 shown]
	v_mov_b32_e32 v82, 0x50
	v_mov_b32_e32 v84, 0x60
	;; [unrolled: 1-line block ×20, first 2 shown]
	s_mov_b64 s[2:3], 0
	s_mov_b32 s4, -1
.LBB192_56:                             ; =>This Inner Loop Header: Depth=1
	scratch_load_b64 v[104:105], v70, off
	scratch_load_b64 v[106:107], v71, off
	scratch_load_b64 v[108:109], v72, off
	scratch_load_b64 v[110:111], v73, off
	scratch_load_b64 v[112:113], v74, off
	scratch_load_b64 v[114:115], v75, off
	scratch_load_b64 v[116:117], v76, off
	scratch_load_b64 v[118:119], v77, off
	scratch_load_b64 v[120:121], v78, off
	scratch_load_b64 v[122:123], v79, off
	scratch_load_b64 v[124:125], v82, off
	scratch_load_b64 v[126:127], v83, off
	scratch_load_b64 v[128:129], v84, off
	scratch_load_b64 v[130:131], v85, off
	scratch_load_b64 v[132:133], v86, off
	scratch_load_b64 v[134:135], v87, off
	scratch_load_b64 v[136:137], v88, off
	scratch_load_b64 v[138:139], v89, off
	scratch_load_b64 v[140:141], v90, off
	scratch_load_b64 v[142:143], v91, off
	scratch_load_b64 v[144:145], v92, off
	scratch_load_b64 v[146:147], v93, off
	scratch_load_b64 v[148:149], v94, off
	scratch_load_b64 v[150:151], v95, off
	scratch_load_b64 v[152:153], v96, off
	scratch_load_b64 v[154:155], v97, off
	scratch_load_b64 v[156:157], v98, off
	scratch_load_b64 v[158:159], v99, off
	scratch_load_b64 v[160:161], v100, off
	scratch_load_b64 v[162:163], v101, off
	scratch_load_b64 v[164:165], v102, off
	scratch_load_b64 v[166:167], v103, off
	s_cmp_eq_u32 s2, 1
	s_waitcnt lgkmcnt(16)
	v_max_f64 v[170:171], v[0:1], v[0:1]
	s_cselect_b32 vcc_lo, -1, 0
	v_max_f64 v[172:173], v[2:3], v[2:3]
	s_waitcnt lgkmcnt(0)
	v_dual_cndmask_b32 v169, v65, v67 :: v_dual_cndmask_b32 v168, v64, v66
	v_max_f64 v[174:175], v[4:5], v[4:5]
	v_max_f64 v[176:177], v[6:7], v[6:7]
	;; [unrolled: 1-line block ×31, first 2 shown]
	s_mov_b64 s[2:3], 1
	s_and_b32 vcc_lo, exec_lo, s4
	s_mov_b32 s4, 0
	v_min_f64 v[170:171], v[170:171], v[168:169]
	v_min_f64 v[172:173], v[172:173], v[168:169]
	;; [unrolled: 1-line block ×32, first 2 shown]
	s_waitcnt vmcnt(31)
	v_add_f64 v[104:105], v[104:105], v[170:171]
	s_waitcnt vmcnt(30)
	v_add_f64 v[106:107], v[172:173], v[106:107]
	;; [unrolled: 2-line block ×32, first 2 shown]
	scratch_store_b64 v70, v[104:105], off
	scratch_store_b64 v71, v[106:107], off
	;; [unrolled: 1-line block ×32, first 2 shown]
	v_mov_b32_e32 v70, 0x100
	v_mov_b32_e32 v71, 0x108
	;; [unrolled: 1-line block ×32, first 2 shown]
	s_cbranch_vccnz .LBB192_56
; %bb.57:
	v_dual_mov_b32 v71, 8 :: v_dual_add_nc_u32 v60, 0x800, v68
	ds_load_2addr_b64 v[0:3], v68 offset0:2 offset1:18
	ds_load_2addr_b64 v[4:7], v68 offset0:34 offset1:50
	;; [unrolled: 1-line block ×12, first 2 shown]
	v_dual_mov_b32 v73, 24 :: v_dual_add_nc_u32 v64, 16, v69
	ds_load_2addr_b64 v[48:51], v60 offset0:130 offset1:146
	ds_load_2addr_b64 v[52:55], v60 offset0:162 offset1:178
	;; [unrolled: 1-line block ×4, first 2 shown]
	ds_load_2addr_stride64_b64 v[64:67], v64 offset1:4
	v_dual_mov_b32 v70, 0 :: v_dual_mov_b32 v75, 40
	v_dual_mov_b32 v72, 16 :: v_dual_mov_b32 v77, 56
	;; [unrolled: 1-line block ×5, first 2 shown]
	v_mov_b32_e32 v82, 0x50
	v_mov_b32_e32 v84, 0x60
	;; [unrolled: 1-line block ×20, first 2 shown]
	s_mov_b64 s[2:3], 0
	s_mov_b32 s4, -1
.LBB192_58:                             ; =>This Inner Loop Header: Depth=1
	scratch_load_b64 v[104:105], v70, off
	scratch_load_b64 v[106:107], v71, off
	;; [unrolled: 1-line block ×32, first 2 shown]
	s_cmp_eq_u32 s2, 1
	s_waitcnt lgkmcnt(16)
	v_max_f64 v[170:171], v[0:1], v[0:1]
	s_cselect_b32 vcc_lo, -1, 0
	v_max_f64 v[172:173], v[2:3], v[2:3]
	s_waitcnt lgkmcnt(0)
	v_dual_cndmask_b32 v169, v65, v67 :: v_dual_cndmask_b32 v168, v64, v66
	v_max_f64 v[174:175], v[4:5], v[4:5]
	v_max_f64 v[176:177], v[6:7], v[6:7]
	;; [unrolled: 1-line block ×31, first 2 shown]
	s_mov_b64 s[2:3], 1
	s_and_b32 vcc_lo, exec_lo, s4
	s_mov_b32 s4, 0
	v_min_f64 v[170:171], v[170:171], v[168:169]
	v_min_f64 v[172:173], v[172:173], v[168:169]
	;; [unrolled: 1-line block ×32, first 2 shown]
	s_waitcnt vmcnt(31)
	v_add_f64 v[104:105], v[104:105], v[170:171]
	s_waitcnt vmcnt(30)
	v_add_f64 v[106:107], v[172:173], v[106:107]
	;; [unrolled: 2-line block ×32, first 2 shown]
	scratch_store_b64 v70, v[104:105], off
	scratch_store_b64 v71, v[106:107], off
	;; [unrolled: 1-line block ×32, first 2 shown]
	v_mov_b32_e32 v70, 0x100
	v_mov_b32_e32 v71, 0x108
	;; [unrolled: 1-line block ×32, first 2 shown]
	s_cbranch_vccnz .LBB192_58
; %bb.59:
	v_add_nc_u32_e32 v60, 0x800, v68
	ds_load_2addr_b64 v[0:3], v68 offset0:3 offset1:19
	ds_load_2addr_b64 v[4:7], v68 offset0:35 offset1:51
	;; [unrolled: 1-line block ×4, first 2 shown]
	v_dual_mov_b32 v71, 24 :: v_dual_add_nc_u32 v64, 24, v69
	v_mov_b32_e32 v69, 8
	ds_load_2addr_b64 v[16:19], v68 offset0:131 offset1:147
	ds_load_2addr_b64 v[20:23], v68 offset0:163 offset1:179
	;; [unrolled: 1-line block ×12, first 2 shown]
	ds_load_2addr_stride64_b64 v[64:67], v64 offset1:4
	v_dual_mov_b32 v68, 0 :: v_dual_mov_b32 v73, 40
	v_dual_mov_b32 v70, 16 :: v_dual_mov_b32 v75, 56
	;; [unrolled: 1-line block ×5, first 2 shown]
	v_mov_b32_e32 v78, 0x50
	v_mov_b32_e32 v82, 0x60
	;; [unrolled: 1-line block ×20, first 2 shown]
	s_mov_b64 s[2:3], 0
	s_mov_b32 s4, -1
.LBB192_60:                             ; =>This Inner Loop Header: Depth=1
	scratch_load_b64 v[102:103], v68, off
	scratch_load_b64 v[104:105], v69, off
	;; [unrolled: 1-line block ×32, first 2 shown]
	s_cmp_eq_u32 s2, 1
	s_waitcnt lgkmcnt(16)
	v_max_f64 v[168:169], v[0:1], v[0:1]
	s_cselect_b32 vcc_lo, -1, 0
	v_max_f64 v[170:171], v[2:3], v[2:3]
	s_waitcnt lgkmcnt(0)
	v_dual_cndmask_b32 v167, v65, v67 :: v_dual_cndmask_b32 v166, v64, v66
	v_max_f64 v[172:173], v[4:5], v[4:5]
	v_max_f64 v[174:175], v[6:7], v[6:7]
	;; [unrolled: 1-line block ×31, first 2 shown]
	s_mov_b64 s[2:3], 1
	s_and_b32 vcc_lo, exec_lo, s4
	s_mov_b32 s4, 0
	v_min_f64 v[168:169], v[168:169], v[166:167]
	v_min_f64 v[170:171], v[170:171], v[166:167]
	;; [unrolled: 1-line block ×32, first 2 shown]
	s_waitcnt vmcnt(31)
	v_add_f64 v[102:103], v[102:103], v[168:169]
	s_waitcnt vmcnt(30)
	v_add_f64 v[104:105], v[170:171], v[104:105]
	;; [unrolled: 2-line block ×32, first 2 shown]
	scratch_store_b64 v68, v[102:103], off
	scratch_store_b64 v69, v[104:105], off
	;; [unrolled: 1-line block ×32, first 2 shown]
	v_mov_b32_e32 v68, 0x100
	v_mov_b32_e32 v69, 0x108
	;; [unrolled: 1-line block ×32, first 2 shown]
	s_cbranch_vccnz .LBB192_60
; %bb.61:
	scratch_load_b64 v[2:3], off, off
	s_load_b32 s3, s[0:1], 0x58
	v_dual_mov_b32 v4, 0 :: v_dual_add_nc_u32 v71, s14, v81
	v_dual_mov_b32 v5, 0 :: v_dual_add_nc_u32 v12, s13, v80
	v_mov_b32_e32 v8, 0
	v_mov_b32_e32 v9, 0
	s_and_b32 s2, exec_lo, s15
	s_delay_alu instid0(VALU_DEP_3) | instskip(SKIP_2) | instid1(VALU_DEP_1)
	v_ashrrev_i32_e32 v13, 31, v12
	s_waitcnt lgkmcnt(0)
	v_mad_i64_i32 v[0:1], null, v71, s3, 0
	v_lshlrev_b64 v[0:1], 3, v[0:1]
	s_delay_alu instid0(VALU_DEP_1) | instskip(NEXT) | instid1(VALU_DEP_2)
	v_add_co_u32 v72, vcc_lo, s10, v0
	v_add_co_ci_u32_e32 v73, vcc_lo, s11, v1, vcc_lo
	v_lshlrev_b64 v[0:1], 3, v[12:13]
	s_mov_b32 vcc_lo, s2
	s_cbranch_vccz .LBB192_63
; %bb.62:
	s_delay_alu instid0(VALU_DEP_1) | instskip(NEXT) | instid1(VALU_DEP_2)
	v_add_co_u32 v6, vcc_lo, v72, v0
	v_add_co_ci_u32_e32 v7, vcc_lo, v73, v1, vcc_lo
	flat_load_b64 v[6:7], v[6:7]
	s_waitcnt vmcnt(0) lgkmcnt(0)
	v_mul_f64 v[8:9], s[8:9], v[6:7]
.LBB192_63:
	scratch_load_b64 v[6:7], off, off offset:8
	s_clause 0x1
	s_load_b32 s4, s[0:1], 0x70
	s_load_b64 s[0:1], s[0:1], 0x78
	s_waitcnt vmcnt(1)
	v_add_f64 v[8:9], v[2:3], v[8:9]
	v_add_nc_u32_e32 v10, 4, v12
	v_cndmask_b32_e64 v13, 0, 1, s15
	s_delay_alu instid0(VALU_DEP_2)
	v_ashrrev_i32_e32 v11, 31, v10
	s_waitcnt lgkmcnt(0)
	v_mad_i64_i32 v[2:3], null, v71, s4, 0
	s_mul_i32 s1, s12, s1
	s_mul_hi_u32 s5, s12, s0
	s_mul_i32 s0, s12, s0
	s_add_i32 s1, s5, s1
	s_delay_alu instid0(SALU_CYCLE_1) | instskip(NEXT) | instid1(VALU_DEP_1)
	s_lshl_b64 s[12:13], s[0:1], 3
	v_lshlrev_b64 v[2:3], 3, v[2:3]
	s_add_u32 s1, s6, s12
	s_addc_u32 s5, s7, s13
	v_cmp_ne_u32_e64 s0, 1, v13
	s_delay_alu instid0(VALU_DEP_2) | instskip(NEXT) | instid1(VALU_DEP_3)
	v_add_co_u32 v74, vcc_lo, s1, v2
	v_add_co_ci_u32_e32 v75, vcc_lo, s5, v3, vcc_lo
	v_lshlrev_b64 v[2:3], 3, v[10:11]
	s_delay_alu instid0(VALU_DEP_3) | instskip(NEXT) | instid1(VALU_DEP_3)
	v_add_co_u32 v13, vcc_lo, v74, v0
	v_add_co_ci_u32_e32 v14, vcc_lo, v75, v1, vcc_lo
	s_and_not1_b32 vcc_lo, exec_lo, s15
	global_store_b64 v[13:14], v[8:9], off
	s_cbranch_vccnz .LBB192_65
; %bb.64:
	v_add_co_u32 v4, vcc_lo, v72, v2
	v_add_co_ci_u32_e32 v5, vcc_lo, v73, v3, vcc_lo
	flat_load_b64 v[4:5], v[4:5]
	s_waitcnt vmcnt(0) lgkmcnt(0)
	v_mul_f64 v[4:5], s[8:9], v[4:5]
.LBB192_65:
	scratch_load_b64 v[10:11], off, off offset:16
	s_waitcnt vmcnt(1)
	v_add_f64 v[13:14], v[6:7], v[4:5]
	v_add_nc_u32_e32 v4, 8, v12
	v_mov_b32_e32 v8, 0
	v_mov_b32_e32 v9, 0
	v_add_co_u32 v15, vcc_lo, v74, v2
	s_delay_alu instid0(VALU_DEP_4) | instskip(SKIP_3) | instid1(VALU_DEP_4)
	v_ashrrev_i32_e32 v5, 31, v4
	v_mov_b32_e32 v6, 0
	v_mov_b32_e32 v7, 0
	v_add_co_ci_u32_e32 v16, vcc_lo, v75, v3, vcc_lo
	v_lshlrev_b64 v[4:5], 3, v[4:5]
	s_and_b32 vcc_lo, exec_lo, s0
	global_store_b64 v[15:16], v[13:14], off
	s_cbranch_vccnz .LBB192_67
; %bb.66:
	v_add_co_u32 v6, vcc_lo, v72, v4
	v_add_co_ci_u32_e32 v7, vcc_lo, v73, v5, vcc_lo
	flat_load_b64 v[6:7], v[6:7]
	s_waitcnt vmcnt(0) lgkmcnt(0)
	v_mul_f64 v[6:7], s[8:9], v[6:7]
.LBB192_67:
	scratch_load_b64 v[13:14], off, off offset:24
	s_waitcnt vmcnt(1)
	v_add_f64 v[10:11], v[10:11], v[6:7]
	v_add_nc_u32_e32 v6, 12, v12
	v_add_co_u32 v15, vcc_lo, v74, v4
	v_add_co_ci_u32_e32 v16, vcc_lo, v75, v5, vcc_lo
	s_delay_alu instid0(VALU_DEP_3) | instskip(SKIP_1) | instid1(VALU_DEP_1)
	v_ashrrev_i32_e32 v7, 31, v6
	s_and_b32 vcc_lo, exec_lo, s0
	v_lshlrev_b64 v[6:7], 3, v[6:7]
	global_store_b64 v[15:16], v[10:11], off
	s_cbranch_vccnz .LBB192_69
; %bb.68:
	v_add_co_u32 v8, vcc_lo, v72, v6
	v_add_co_ci_u32_e32 v9, vcc_lo, v73, v7, vcc_lo
	flat_load_b64 v[8:9], v[8:9]
	s_waitcnt vmcnt(0) lgkmcnt(0)
	v_mul_f64 v[8:9], s[8:9], v[8:9]
.LBB192_69:
	scratch_load_b64 v[10:11], off, off offset:32
	s_waitcnt vmcnt(1)
	v_add_f64 v[17:18], v[13:14], v[8:9]
	v_dual_mov_b32 v13, 0 :: v_dual_add_nc_u32 v8, 16, v12
	v_add_co_u32 v19, vcc_lo, v74, v6
	v_dual_mov_b32 v14, 0 :: v_dual_mov_b32 v15, 0
	s_delay_alu instid0(VALU_DEP_3) | instskip(SKIP_3) | instid1(VALU_DEP_3)
	v_ashrrev_i32_e32 v9, 31, v8
	v_add_co_ci_u32_e32 v20, vcc_lo, v75, v7, vcc_lo
	v_mov_b32_e32 v16, 0
	s_and_b32 vcc_lo, exec_lo, s0
	v_lshlrev_b64 v[8:9], 3, v[8:9]
	global_store_b64 v[19:20], v[17:18], off
	s_cbranch_vccnz .LBB192_71
; %bb.70:
	v_add_co_u32 v15, vcc_lo, v72, v8
	v_add_co_ci_u32_e32 v16, vcc_lo, v73, v9, vcc_lo
	flat_load_b64 v[15:16], v[15:16]
	s_waitcnt vmcnt(0) lgkmcnt(0)
	v_mul_f64 v[15:16], s[8:9], v[15:16]
.LBB192_71:
	scratch_load_b64 v[17:18], off, off offset:40
	s_waitcnt vmcnt(1)
	v_add_f64 v[15:16], v[10:11], v[15:16]
	v_add_nc_u32_e32 v10, 20, v12
	v_add_co_u32 v19, vcc_lo, v74, v8
	v_add_co_ci_u32_e32 v20, vcc_lo, v75, v9, vcc_lo
	s_delay_alu instid0(VALU_DEP_3) | instskip(SKIP_1) | instid1(VALU_DEP_1)
	v_ashrrev_i32_e32 v11, 31, v10
	s_and_b32 vcc_lo, exec_lo, s0
	v_lshlrev_b64 v[10:11], 3, v[10:11]
	global_store_b64 v[19:20], v[15:16], off
	s_cbranch_vccnz .LBB192_73
; %bb.72:
	v_add_co_u32 v13, vcc_lo, v72, v10
	v_add_co_ci_u32_e32 v14, vcc_lo, v73, v11, vcc_lo
	flat_load_b64 v[13:14], v[13:14]
	s_waitcnt vmcnt(0) lgkmcnt(0)
	v_mul_f64 v[13:14], s[8:9], v[13:14]
.LBB192_73:
	scratch_load_b64 v[15:16], off, off offset:48
	s_waitcnt vmcnt(1)
	v_add_f64 v[21:22], v[17:18], v[13:14]
	v_add_nc_u32_e32 v13, 24, v12
	v_mov_b32_e32 v17, 0
	v_mov_b32_e32 v18, 0
	v_add_co_u32 v23, vcc_lo, v74, v10
	s_delay_alu instid0(VALU_DEP_4) | instskip(SKIP_3) | instid1(VALU_DEP_4)
	v_ashrrev_i32_e32 v14, 31, v13
	v_mov_b32_e32 v19, 0
	v_mov_b32_e32 v20, 0
	v_add_co_ci_u32_e32 v24, vcc_lo, v75, v11, vcc_lo
	v_lshlrev_b64 v[13:14], 3, v[13:14]
	s_and_b32 vcc_lo, exec_lo, s0
	global_store_b64 v[23:24], v[21:22], off
	s_cbranch_vccnz .LBB192_75
; %bb.74:
	v_add_co_u32 v19, vcc_lo, v72, v13
	v_add_co_ci_u32_e32 v20, vcc_lo, v73, v14, vcc_lo
	flat_load_b64 v[19:20], v[19:20]
	s_waitcnt vmcnt(0) lgkmcnt(0)
	v_mul_f64 v[19:20], s[8:9], v[19:20]
.LBB192_75:
	scratch_load_b64 v[21:22], off, off offset:56
	s_waitcnt vmcnt(1)
	v_add_f64 v[19:20], v[15:16], v[19:20]
	v_add_nc_u32_e32 v15, 28, v12
	v_add_co_u32 v23, vcc_lo, v74, v13
	v_add_co_ci_u32_e32 v24, vcc_lo, v75, v14, vcc_lo
	s_delay_alu instid0(VALU_DEP_3) | instskip(SKIP_1) | instid1(VALU_DEP_1)
	v_ashrrev_i32_e32 v16, 31, v15
	s_and_b32 vcc_lo, exec_lo, s0
	v_lshlrev_b64 v[15:16], 3, v[15:16]
	global_store_b64 v[23:24], v[19:20], off
	s_cbranch_vccnz .LBB192_77
; %bb.76:
	v_add_co_u32 v17, vcc_lo, v72, v15
	v_add_co_ci_u32_e32 v18, vcc_lo, v73, v16, vcc_lo
	flat_load_b64 v[17:18], v[17:18]
	s_waitcnt vmcnt(0) lgkmcnt(0)
	v_mul_f64 v[17:18], s[8:9], v[17:18]
.LBB192_77:
	scratch_load_b64 v[19:20], off, off offset:64
	s_waitcnt vmcnt(1)
	v_add_f64 v[25:26], v[21:22], v[17:18]
	v_add_nc_u32_e32 v17, 32, v12
	v_mov_b32_e32 v21, 0
	v_mov_b32_e32 v22, 0
	v_add_co_u32 v27, vcc_lo, v74, v15
	s_delay_alu instid0(VALU_DEP_4) | instskip(SKIP_3) | instid1(VALU_DEP_4)
	v_ashrrev_i32_e32 v18, 31, v17
	v_mov_b32_e32 v23, 0
	v_mov_b32_e32 v24, 0
	v_add_co_ci_u32_e32 v28, vcc_lo, v75, v16, vcc_lo
	v_lshlrev_b64 v[17:18], 3, v[17:18]
	s_and_b32 vcc_lo, exec_lo, s0
	;; [unrolled: 42-line block ×13, first 2 shown]
	global_store_b64 v[76:77], v[67:68], off
	s_cbranch_vccnz .LBB192_123
; %bb.122:
	v_add_co_u32 v67, vcc_lo, v72, v61
	v_add_co_ci_u32_e32 v68, vcc_lo, v73, v62, vcc_lo
	flat_load_b64 v[67:68], v[67:68]
	s_waitcnt vmcnt(0) lgkmcnt(0)
	v_mul_f64 v[69:70], s[8:9], v[67:68]
.LBB192_123:
	scratch_load_b64 v[67:68], off, off offset:248
	s_waitcnt vmcnt(1)
	v_add_f64 v[69:70], v[63:64], v[69:70]
	v_add_nc_u32_e32 v63, 0x7c, v12
	v_add_co_u32 v76, vcc_lo, v74, v61
	v_add_co_ci_u32_e32 v77, vcc_lo, v75, v62, vcc_lo
	s_delay_alu instid0(VALU_DEP_3) | instskip(SKIP_1) | instid1(VALU_DEP_1)
	v_ashrrev_i32_e32 v64, 31, v63
	s_and_b32 vcc_lo, exec_lo, s0
	v_lshlrev_b64 v[63:64], 3, v[63:64]
	global_store_b64 v[76:77], v[69:70], off
	s_cbranch_vccnz .LBB192_125
; %bb.124:
	v_add_co_u32 v65, vcc_lo, v72, v63
	v_add_co_ci_u32_e32 v66, vcc_lo, v73, v64, vcc_lo
	flat_load_b64 v[65:66], v[65:66]
	s_waitcnt vmcnt(0) lgkmcnt(0)
	v_mul_f64 v[65:66], s[8:9], v[65:66]
.LBB192_125:
	scratch_load_b64 v[69:70], off, off offset:256
	s_waitcnt vmcnt(1)
	v_add_f64 v[67:68], v[67:68], v[65:66]
	v_add_nc_u32_e32 v76, 64, v71
	v_add_co_u32 v74, vcc_lo, v74, v63
	v_add_co_ci_u32_e32 v75, vcc_lo, v75, v64, vcc_lo
	s_delay_alu instid0(VALU_DEP_3) | instskip(SKIP_2) | instid1(VALU_DEP_3)
	v_mad_i64_i32 v[65:66], null, v76, s3, 0
	v_mov_b32_e32 v71, 0
	v_mov_b32_e32 v72, 0
	v_lshlrev_b64 v[77:78], 3, v[65:66]
	v_mov_b32_e32 v65, 0
	v_mov_b32_e32 v66, 0
	s_delay_alu instid0(VALU_DEP_3) | instskip(NEXT) | instid1(VALU_DEP_4)
	v_add_co_u32 v12, vcc_lo, s10, v77
	v_add_co_ci_u32_e32 v73, vcc_lo, s11, v78, vcc_lo
	s_mov_b32 vcc_lo, s2
	global_store_b64 v[74:75], v[67:68], off
	s_cbranch_vccz .LBB192_127
; %bb.126:
	v_add_co_u32 v67, vcc_lo, v12, v0
	v_add_co_ci_u32_e32 v68, vcc_lo, v73, v1, vcc_lo
	flat_load_b64 v[67:68], v[67:68]
	s_waitcnt vmcnt(0) lgkmcnt(0)
	v_mul_f64 v[71:72], s[8:9], v[67:68]
.LBB192_127:
	scratch_load_b64 v[67:68], off, off offset:264
	s_waitcnt vmcnt(1)
	v_add_f64 v[69:70], v[69:70], v[71:72]
	v_mad_i64_i32 v[71:72], null, v76, s4, 0
	s_delay_alu instid0(VALU_DEP_1) | instskip(NEXT) | instid1(VALU_DEP_1)
	v_lshlrev_b64 v[71:72], 3, v[71:72]
	v_add_co_u32 v71, vcc_lo, s1, v71
	s_delay_alu instid0(VALU_DEP_2) | instskip(NEXT) | instid1(VALU_DEP_2)
	v_add_co_ci_u32_e32 v72, vcc_lo, s5, v72, vcc_lo
	v_add_co_u32 v0, vcc_lo, v71, v0
	s_delay_alu instid0(VALU_DEP_2)
	v_add_co_ci_u32_e32 v1, vcc_lo, v72, v1, vcc_lo
	s_and_b32 vcc_lo, exec_lo, s0
	global_store_b64 v[0:1], v[69:70], off
	s_cbranch_vccnz .LBB192_129
; %bb.128:
	v_add_co_u32 v0, vcc_lo, v12, v2
	v_add_co_ci_u32_e32 v1, vcc_lo, v73, v3, vcc_lo
	flat_load_b64 v[0:1], v[0:1]
	s_waitcnt vmcnt(0) lgkmcnt(0)
	v_mul_f64 v[65:66], s[8:9], v[0:1]
.LBB192_129:
	scratch_load_b64 v[69:70], off, off offset:272
	s_waitcnt vmcnt(1)
	v_add_f64 v[65:66], v[67:68], v[65:66]
	v_add_co_u32 v67, vcc_lo, v71, v2
	v_mov_b32_e32 v0, 0
	v_add_co_ci_u32_e32 v68, vcc_lo, v72, v3, vcc_lo
	v_dual_mov_b32 v1, 0 :: v_dual_mov_b32 v2, 0
	v_mov_b32_e32 v3, 0
	s_and_b32 vcc_lo, exec_lo, s0
	global_store_b64 v[67:68], v[65:66], off
	s_cbranch_vccnz .LBB192_131
; %bb.130:
	v_add_co_u32 v2, vcc_lo, v12, v4
	v_add_co_ci_u32_e32 v3, vcc_lo, v73, v5, vcc_lo
	flat_load_b64 v[2:3], v[2:3]
	s_waitcnt vmcnt(0) lgkmcnt(0)
	v_mul_f64 v[2:3], s[8:9], v[2:3]
.LBB192_131:
	scratch_load_b64 v[65:66], off, off offset:280
	s_waitcnt vmcnt(1)
	v_add_f64 v[2:3], v[69:70], v[2:3]
	v_add_co_u32 v4, vcc_lo, v71, v4
	v_add_co_ci_u32_e32 v5, vcc_lo, v72, v5, vcc_lo
	s_and_b32 vcc_lo, exec_lo, s0
	global_store_b64 v[4:5], v[2:3], off
	s_cbranch_vccnz .LBB192_133
; %bb.132:
	v_add_co_u32 v0, vcc_lo, v12, v6
	v_add_co_ci_u32_e32 v1, vcc_lo, v73, v7, vcc_lo
	flat_load_b64 v[0:1], v[0:1]
	s_waitcnt vmcnt(0) lgkmcnt(0)
	v_mul_f64 v[0:1], s[8:9], v[0:1]
.LBB192_133:
	scratch_load_b64 v[2:3], off, off offset:288
	s_waitcnt vmcnt(1)
	v_add_f64 v[4:5], v[65:66], v[0:1]
	v_add_co_u32 v65, vcc_lo, v71, v6
	v_mov_b32_e32 v0, 0
	v_add_co_ci_u32_e32 v66, vcc_lo, v72, v7, vcc_lo
	v_dual_mov_b32 v1, 0 :: v_dual_mov_b32 v6, 0
	v_mov_b32_e32 v7, 0
	s_and_b32 vcc_lo, exec_lo, s0
	global_store_b64 v[65:66], v[4:5], off
	s_cbranch_vccnz .LBB192_135
; %bb.134:
	v_add_co_u32 v4, vcc_lo, v12, v8
	v_add_co_ci_u32_e32 v5, vcc_lo, v73, v9, vcc_lo
	flat_load_b64 v[4:5], v[4:5]
	s_waitcnt vmcnt(0) lgkmcnt(0)
	v_mul_f64 v[6:7], s[8:9], v[4:5]
.LBB192_135:
	scratch_load_b64 v[4:5], off, off offset:296
	s_waitcnt vmcnt(1)
	v_add_f64 v[2:3], v[2:3], v[6:7]
	v_add_co_u32 v6, vcc_lo, v71, v8
	v_add_co_ci_u32_e32 v7, vcc_lo, v72, v9, vcc_lo
	s_and_b32 vcc_lo, exec_lo, s0
	global_store_b64 v[6:7], v[2:3], off
	s_cbranch_vccnz .LBB192_137
; %bb.136:
	v_add_co_u32 v0, vcc_lo, v12, v10
	v_add_co_ci_u32_e32 v1, vcc_lo, v73, v11, vcc_lo
	flat_load_b64 v[0:1], v[0:1]
	s_waitcnt vmcnt(0) lgkmcnt(0)
	v_mul_f64 v[0:1], s[8:9], v[0:1]
.LBB192_137:
	scratch_load_b64 v[2:3], off, off offset:304
	s_waitcnt vmcnt(1)
	v_add_f64 v[4:5], v[4:5], v[0:1]
	v_add_co_u32 v8, vcc_lo, v71, v10
	v_mov_b32_e32 v0, 0
	v_dual_mov_b32 v1, 0 :: v_dual_mov_b32 v6, 0
	v_add_co_ci_u32_e32 v9, vcc_lo, v72, v11, vcc_lo
	v_mov_b32_e32 v7, 0
	s_and_b32 vcc_lo, exec_lo, s0
	global_store_b64 v[8:9], v[4:5], off
	s_cbranch_vccnz .LBB192_139
; %bb.138:
	v_add_co_u32 v4, vcc_lo, v12, v13
	v_add_co_ci_u32_e32 v5, vcc_lo, v73, v14, vcc_lo
	flat_load_b64 v[4:5], v[4:5]
	s_waitcnt vmcnt(0) lgkmcnt(0)
	v_mul_f64 v[6:7], s[8:9], v[4:5]
.LBB192_139:
	scratch_load_b64 v[4:5], off, off offset:312
	s_waitcnt vmcnt(1)
	v_add_f64 v[2:3], v[2:3], v[6:7]
	v_add_co_u32 v6, vcc_lo, v71, v13
	v_add_co_ci_u32_e32 v7, vcc_lo, v72, v14, vcc_lo
	s_and_b32 vcc_lo, exec_lo, s0
	global_store_b64 v[6:7], v[2:3], off
	s_cbranch_vccnz .LBB192_141
; %bb.140:
	v_add_co_u32 v0, vcc_lo, v12, v15
	v_add_co_ci_u32_e32 v1, vcc_lo, v73, v16, vcc_lo
	flat_load_b64 v[0:1], v[0:1]
	s_waitcnt vmcnt(0) lgkmcnt(0)
	v_mul_f64 v[0:1], s[8:9], v[0:1]
.LBB192_141:
	scratch_load_b64 v[2:3], off, off offset:320
	s_waitcnt vmcnt(1)
	v_add_f64 v[4:5], v[4:5], v[0:1]
	v_add_co_u32 v8, vcc_lo, v71, v15
	v_mov_b32_e32 v0, 0
	v_dual_mov_b32 v1, 0 :: v_dual_mov_b32 v6, 0
	v_add_co_ci_u32_e32 v9, vcc_lo, v72, v16, vcc_lo
	;; [unrolled: 33-line block ×13, first 2 shown]
	v_mov_b32_e32 v7, 0
	s_and_b32 vcc_lo, exec_lo, s0
	global_store_b64 v[8:9], v[4:5], off
	s_cbranch_vccnz .LBB192_187
; %bb.186:
	v_add_co_u32 v4, vcc_lo, v12, v61
	v_add_co_ci_u32_e32 v5, vcc_lo, v73, v62, vcc_lo
	flat_load_b64 v[4:5], v[4:5]
	s_waitcnt vmcnt(0) lgkmcnt(0)
	v_mul_f64 v[6:7], s[8:9], v[4:5]
.LBB192_187:
	scratch_load_b64 v[4:5], off, off offset:504
	s_waitcnt vmcnt(1)
	v_add_f64 v[2:3], v[2:3], v[6:7]
	v_add_co_u32 v6, vcc_lo, v71, v61
	v_add_co_ci_u32_e32 v7, vcc_lo, v72, v62, vcc_lo
	s_and_b32 vcc_lo, exec_lo, s0
	global_store_b64 v[6:7], v[2:3], off
	s_cbranch_vccnz .LBB192_189
; %bb.188:
	v_add_co_u32 v0, vcc_lo, v12, v63
	v_add_co_ci_u32_e32 v1, vcc_lo, v73, v64, vcc_lo
	flat_load_b64 v[0:1], v[0:1]
	s_waitcnt vmcnt(0) lgkmcnt(0)
	v_mul_f64 v[0:1], s[8:9], v[0:1]
.LBB192_189:
	s_waitcnt vmcnt(0)
	s_delay_alu instid0(VALU_DEP_1)
	v_add_f64 v[0:1], v[4:5], v[0:1]
	v_add_co_u32 v2, vcc_lo, v71, v63
	v_add_co_ci_u32_e32 v3, vcc_lo, v72, v64, vcc_lo
	global_store_b64 v[2:3], v[0:1], off
	s_endpgm
	.section	.rodata,"a",@progbits
	.p2align	6, 0x0
	.amdhsa_kernel _ZN12_GLOBAL__N_120geam_min_plus_kernelIdddLi4ELi64ELi128ELi128ELi4ELi64ELi4ELi64ELi4ELc78ELc84ELb0ELb0ELb0EPKdS1_dEEviiiT16_PT17_ilS5_ilS3_S5_ilPT18_ili26rocblas_geam_ex_operation_
		.amdhsa_group_segment_fixed_size 16384
		.amdhsa_private_segment_fixed_size 528
		.amdhsa_kernarg_size 136
		.amdhsa_user_sgpr_count 14
		.amdhsa_user_sgpr_dispatch_ptr 0
		.amdhsa_user_sgpr_queue_ptr 0
		.amdhsa_user_sgpr_kernarg_segment_ptr 1
		.amdhsa_user_sgpr_dispatch_id 0
		.amdhsa_user_sgpr_private_segment_size 0
		.amdhsa_wavefront_size32 1
		.amdhsa_uses_dynamic_stack 0
		.amdhsa_enable_private_segment 1
		.amdhsa_system_sgpr_workgroup_id_x 1
		.amdhsa_system_sgpr_workgroup_id_y 0
		.amdhsa_system_sgpr_workgroup_id_z 1
		.amdhsa_system_sgpr_workgroup_info 0
		.amdhsa_system_vgpr_workitem_id 1
		.amdhsa_next_free_vgpr 252
		.amdhsa_next_free_sgpr 28
		.amdhsa_reserve_vcc 1
		.amdhsa_float_round_mode_32 0
		.amdhsa_float_round_mode_16_64 0
		.amdhsa_float_denorm_mode_32 3
		.amdhsa_float_denorm_mode_16_64 3
		.amdhsa_dx10_clamp 1
		.amdhsa_ieee_mode 1
		.amdhsa_fp16_overflow 0
		.amdhsa_workgroup_processor_mode 1
		.amdhsa_memory_ordered 1
		.amdhsa_forward_progress 0
		.amdhsa_shared_vgpr_count 0
		.amdhsa_exception_fp_ieee_invalid_op 0
		.amdhsa_exception_fp_denorm_src 0
		.amdhsa_exception_fp_ieee_div_zero 0
		.amdhsa_exception_fp_ieee_overflow 0
		.amdhsa_exception_fp_ieee_underflow 0
		.amdhsa_exception_fp_ieee_inexact 0
		.amdhsa_exception_int_div_zero 0
	.end_amdhsa_kernel
	.section	.text._ZN12_GLOBAL__N_120geam_min_plus_kernelIdddLi4ELi64ELi128ELi128ELi4ELi64ELi4ELi64ELi4ELc78ELc84ELb0ELb0ELb0EPKdS1_dEEviiiT16_PT17_ilS5_ilS3_S5_ilPT18_ili26rocblas_geam_ex_operation_,"axG",@progbits,_ZN12_GLOBAL__N_120geam_min_plus_kernelIdddLi4ELi64ELi128ELi128ELi4ELi64ELi4ELi64ELi4ELc78ELc84ELb0ELb0ELb0EPKdS1_dEEviiiT16_PT17_ilS5_ilS3_S5_ilPT18_ili26rocblas_geam_ex_operation_,comdat
.Lfunc_end192:
	.size	_ZN12_GLOBAL__N_120geam_min_plus_kernelIdddLi4ELi64ELi128ELi128ELi4ELi64ELi4ELi64ELi4ELc78ELc84ELb0ELb0ELb0EPKdS1_dEEviiiT16_PT17_ilS5_ilS3_S5_ilPT18_ili26rocblas_geam_ex_operation_, .Lfunc_end192-_ZN12_GLOBAL__N_120geam_min_plus_kernelIdddLi4ELi64ELi128ELi128ELi4ELi64ELi4ELi64ELi4ELc78ELc84ELb0ELb0ELb0EPKdS1_dEEviiiT16_PT17_ilS5_ilS3_S5_ilPT18_ili26rocblas_geam_ex_operation_
                                        ; -- End function
	.section	.AMDGPU.csdata,"",@progbits
; Kernel info:
; codeLenInByte = 43512
; NumSgprs: 30
; NumVgprs: 252
; ScratchSize: 528
; MemoryBound: 1
; FloatMode: 240
; IeeeMode: 1
; LDSByteSize: 16384 bytes/workgroup (compile time only)
; SGPRBlocks: 3
; VGPRBlocks: 31
; NumSGPRsForWavesPerEU: 30
; NumVGPRsForWavesPerEU: 252
; Occupancy: 5
; WaveLimiterHint : 1
; COMPUTE_PGM_RSRC2:SCRATCH_EN: 1
; COMPUTE_PGM_RSRC2:USER_SGPR: 14
; COMPUTE_PGM_RSRC2:TRAP_HANDLER: 0
; COMPUTE_PGM_RSRC2:TGID_X_EN: 1
; COMPUTE_PGM_RSRC2:TGID_Y_EN: 0
; COMPUTE_PGM_RSRC2:TGID_Z_EN: 1
; COMPUTE_PGM_RSRC2:TIDIG_COMP_CNT: 1
	.section	.text._ZN12_GLOBAL__N_120geam_min_plus_kernelIdddLi4ELi64ELi128ELi128ELi4ELi64ELi4ELi64ELi4ELc78ELc84ELb1ELb0ELb0EdKddEEviiiT16_PT17_ilS4_ilS2_S4_ilPT18_ili26rocblas_geam_ex_operation_,"axG",@progbits,_ZN12_GLOBAL__N_120geam_min_plus_kernelIdddLi4ELi64ELi128ELi128ELi4ELi64ELi4ELi64ELi4ELc78ELc84ELb1ELb0ELb0EdKddEEviiiT16_PT17_ilS4_ilS2_S4_ilPT18_ili26rocblas_geam_ex_operation_,comdat
	.globl	_ZN12_GLOBAL__N_120geam_min_plus_kernelIdddLi4ELi64ELi128ELi128ELi4ELi64ELi4ELi64ELi4ELc78ELc84ELb1ELb0ELb0EdKddEEviiiT16_PT17_ilS4_ilS2_S4_ilPT18_ili26rocblas_geam_ex_operation_ ; -- Begin function _ZN12_GLOBAL__N_120geam_min_plus_kernelIdddLi4ELi64ELi128ELi128ELi4ELi64ELi4ELi64ELi4ELc78ELc84ELb1ELb0ELb0EdKddEEviiiT16_PT17_ilS4_ilS2_S4_ilPT18_ili26rocblas_geam_ex_operation_
	.p2align	8
	.type	_ZN12_GLOBAL__N_120geam_min_plus_kernelIdddLi4ELi64ELi128ELi128ELi4ELi64ELi4ELi64ELi4ELc78ELc84ELb1ELb0ELb0EdKddEEviiiT16_PT17_ilS4_ilS2_S4_ilPT18_ili26rocblas_geam_ex_operation_,@function
_ZN12_GLOBAL__N_120geam_min_plus_kernelIdddLi4ELi64ELi128ELi128ELi4ELi64ELi4ELi64ELi4ELc78ELc84ELb1ELb0ELb0EdKddEEviiiT16_PT17_ilS4_ilS2_S4_ilPT18_ili26rocblas_geam_ex_operation_: ; @_ZN12_GLOBAL__N_120geam_min_plus_kernelIdddLi4ELi64ELi128ELi128ELi4ELi64ELi4ELi64ELi4ELc78ELc84ELb1ELb0ELb0EdKddEEviiiT16_PT17_ilS4_ilS2_S4_ilPT18_ili26rocblas_geam_ex_operation_
; %bb.0:
	s_clause 0x1
	s_load_b128 s[4:7], s[0:1], 0x10
	s_load_b128 s[8:11], s[0:1], 0x28
	s_mov_b64 s[2:3], 0
	s_waitcnt lgkmcnt(0)
	v_cmp_eq_f64_e64 s12, s[4:5], 0
	s_delay_alu instid0(VALU_DEP_1)
	s_and_b32 vcc_lo, exec_lo, s12
	s_cbranch_vccnz .LBB193_2
; %bb.1:
	s_mul_i32 s2, s15, s9
	s_mul_hi_u32 s3, s15, s8
	s_delay_alu instid0(SALU_CYCLE_1) | instskip(SKIP_1) | instid1(SALU_CYCLE_1)
	s_add_i32 s3, s3, s2
	s_mul_i32 s2, s15, s8
	s_lshl_b64 s[2:3], s[2:3], 3
	s_delay_alu instid0(SALU_CYCLE_1)
	s_add_u32 s2, s6, s2
	s_addc_u32 s3, s7, s3
.LBB193_2:
	s_clause 0x1
	s_load_b128 s[4:7], s[0:1], 0x40
	s_load_b64 s[18:19], s[0:1], 0x50
	s_and_not1_b32 vcc_lo, exec_lo, s12
	s_cbranch_vccnz .LBB193_4
; %bb.3:
	s_mov_b32 s20, 0
	s_mov_b64 s[12:13], 0
	s_cbranch_execz .LBB193_5
	s_branch .LBB193_6
.LBB193_4:
	s_mov_b32 s20, -1
                                        ; implicit-def: $sgpr12_sgpr13
.LBB193_5:
	s_waitcnt lgkmcnt(0)
	s_mul_i32 s5, s15, s5
	s_mul_hi_u32 s8, s15, s4
	s_mul_i32 s4, s15, s4
	s_add_i32 s5, s8, s5
	s_mov_b32 s20, 0
	s_lshl_b64 s[4:5], s[4:5], 3
	s_delay_alu instid0(SALU_CYCLE_1)
	s_add_u32 s12, s10, s4
	s_addc_u32 s13, s11, s5
.LBB193_6:
	s_waitcnt lgkmcnt(0)
	v_cmp_eq_f64_e64 s4, s[6:7], 0
	s_load_b128 s[8:11], s[0:1], 0x60
	s_mov_b64 s[16:17], 0
	s_delay_alu instid0(VALU_DEP_1)
	s_and_b32 vcc_lo, exec_lo, s4
	s_mov_b64 s[4:5], 0
	s_cbranch_vccnz .LBB193_8
; %bb.7:
	s_waitcnt lgkmcnt(0)
	s_mul_i32 s4, s15, s9
	s_mul_hi_u32 s5, s15, s8
	s_mul_i32 s9, s20, s8
	s_add_i32 s4, s5, s4
	s_delay_alu instid0(SALU_CYCLE_1) | instskip(SKIP_1) | instid1(SALU_CYCLE_1)
	s_add_i32 s5, s4, s9
	s_mul_i32 s4, s15, s8
	s_lshl_b64 s[4:5], s[4:5], 3
	s_delay_alu instid0(SALU_CYCLE_1)
	s_add_u32 s4, s18, s4
	s_addc_u32 s5, s19, s5
.LBB193_8:
	s_load_b32 s17, s[0:1], 0x0
	s_waitcnt lgkmcnt(0)
	s_mov_b32 s8, 0
	v_bfe_u32 v81, v0, 10, 10
	s_mov_b32 s9, s8
	v_and_b32_e32 v80, 0x3ff, v0
	v_dual_mov_b32 v0, s8 :: v_dual_mov_b32 v1, s9
	s_clause 0x1
	s_load_b32 s21, s[0:1], 0x20
	s_load_b32 s22, s[0:1], 0x38
	v_dual_mov_b32 v102, 0x60 :: v_dual_lshlrev_b32 v85, 5, v80
	v_lshl_add_u32 v2, v81, 2, v80
	v_dual_mov_b32 v101, 0x58 :: v_dual_lshlrev_b32 v84, 5, v81
	v_mov_b32_e32 v90, 0
	s_delay_alu instid0(VALU_DEP_4) | instskip(NEXT) | instid1(VALU_DEP_4)
	v_add_nc_u32_e32 v36, 0x800, v85
	v_lshrrev_b32_e32 v82, 6, v2
	v_dual_mov_b32 v92, 16 :: v_dual_and_b32 v89, 63, v2
	v_mov_b32_e32 v99, 0x48
	v_dual_mov_b32 v91, 8 :: v_dual_mov_b32 v94, 32
	s_add_i32 s8, s17, -1
	v_add_nc_u32_e32 v83, 4, v82
	s_ashr_i32 s9, s8, 31
	v_dual_mov_b32 v93, 24 :: v_dual_mov_b32 v96, 48
	s_lshr_b32 s9, s9, 25
	s_waitcnt lgkmcnt(0)
	s_ashr_i32 s23, s21, 31
	s_add_i32 s8, s8, s9
	s_ashr_i32 s24, s22, 31
	s_ashr_i32 s8, s8, 7
	v_mad_i64_i32 v[4:5], null, s22, v82, 0
	s_add_i32 s9, s8, 1
	s_not_b32 s8, s8
	v_cvt_f32_u32_e32 v3, s9
	v_dual_mov_b32 v95, 40 :: v_dual_mov_b32 v98, 64
	v_dual_mov_b32 v97, 56 :: v_dual_mov_b32 v100, 0x50
	s_delay_alu instid0(VALU_DEP_3) | instskip(NEXT) | instid1(VALU_DEP_4)
	v_rcp_iflag_f32_e32 v3, v3
	v_lshlrev_b64 v[4:5], 3, v[4:5]
	v_mov_b32_e32 v103, 0x68
	v_mov_b32_e32 v104, 0x70
	v_mov_b32_e32 v105, 0x78
	v_mov_b32_e32 v106, 0x80
	v_mov_b32_e32 v107, 0x88
	v_mov_b32_e32 v108, 0x90
	v_mov_b32_e32 v109, 0x98
	v_mov_b32_e32 v110, 0xa0
	v_mul_f32_e32 v3, 0x4f7ffffe, v3
	s_clause 0xe
	scratch_store_b64 off, v[0:1], off
	scratch_store_b64 off, v[0:1], off offset:8
	scratch_store_b64 off, v[0:1], off offset:16
	;; [unrolled: 1-line block ×14, first 2 shown]
	v_cvt_u32_f32_e32 v3, v3
	s_clause 0xe
	scratch_store_b64 off, v[0:1], off offset:120
	scratch_store_b64 off, v[0:1], off offset:128
	;; [unrolled: 1-line block ×15, first 2 shown]
	v_readfirstlane_b32 s17, v3
	v_mad_i64_i32 v[2:3], null, s21, v82, 0
	s_clause 0x7
	scratch_store_b64 off, v[0:1], off offset:240
	scratch_store_b64 off, v[0:1], off offset:248
	;; [unrolled: 1-line block ×8, first 2 shown]
	s_mul_i32 s8, s8, s17
	s_clause 0x1
	scratch_store_b64 off, v[0:1], off offset:304
	scratch_store_b64 off, v[0:1], off offset:312
	s_mul_hi_u32 s8, s17, s8
	s_clause 0x3
	scratch_store_b64 off, v[0:1], off offset:320
	scratch_store_b64 off, v[0:1], off offset:328
	;; [unrolled: 1-line block ×4, first 2 shown]
	s_add_i32 s17, s17, s8
	v_lshlrev_b64 v[2:3], 3, v[2:3]
	s_mul_hi_u32 s8, s14, s17
	s_clause 0x1
	scratch_store_b64 off, v[0:1], off offset:352
	scratch_store_b64 off, v[0:1], off offset:360
	s_mul_i32 s17, s8, s9
	s_add_i32 s18, s8, 1
	s_sub_i32 s17, s14, s17
	v_add_co_u32 v10, vcc_lo, s2, v2
	s_sub_i32 s19, s17, s9
	s_cmp_ge_u32 s17, s9
	v_add_co_ci_u32_e32 v11, vcc_lo, s3, v3, vcc_lo
	s_cselect_b32 s8, s18, s8
	s_cselect_b32 s17, s19, s17
	s_add_i32 s18, s8, 1
	s_cmp_ge_u32 s17, s9
	v_add_co_u32 v2, vcc_lo, s12, v4
	s_cselect_b32 s8, s18, s8
	v_add_co_ci_u32_e32 v3, vcc_lo, s13, v5, vcc_lo
	s_mul_i32 s9, s8, s9
	s_lshl_b32 s18, s8, 7
	s_sub_i32 s9, s14, s9
	v_or_b32_e32 v6, s18, v89
	s_lshl_b32 s14, s9, 7
	s_clause 0xa
	scratch_store_b64 off, v[0:1], off offset:368
	scratch_store_b64 off, v[0:1], off offset:376
	;; [unrolled: 1-line block ×11, first 2 shown]
	v_or_b32_e32 v8, s14, v89
	scratch_store_b64 off, v[0:1], off offset:456
	v_ashrrev_i32_e32 v7, 31, v6
	s_clause 0x3
	scratch_store_b64 off, v[0:1], off offset:464
	scratch_store_b64 off, v[0:1], off offset:472
	scratch_store_b64 off, v[0:1], off offset:480
	scratch_store_b64 off, v[0:1], off offset:488
	v_ashrrev_i32_e32 v9, 31, v8
	s_clause 0x1
	scratch_store_b64 off, v[0:1], off offset:496
	scratch_store_b64 off, v[0:1], off offset:504
	v_lshlrev_b64 v[68:69], 3, v[6:7]
	v_cmp_neq_f64_e64 s19, s[6:7], 0
	v_mov_b32_e32 v111, 0xa8
	v_lshlrev_b64 v[70:71], 3, v[8:9]
	v_mad_i64_i32 v[8:9], null, s22, v83, 0
	v_add_co_u32 v2, vcc_lo, v2, v68
	v_add_co_ci_u32_e32 v3, vcc_lo, v3, v69, vcc_lo
	s_delay_alu instid0(VALU_DEP_4)
	v_add_co_u32 v4, vcc_lo, v10, v70
	v_add_co_ci_u32_e32 v5, vcc_lo, v11, v71, vcc_lo
	s_clause 0x1
	flat_load_b64 v[0:1], v[2:3]
	flat_load_b64 v[2:3], v[2:3] offset:512
	s_clause 0x1
	flat_load_b64 v[6:7], v[4:5]
	flat_load_b64 v[4:5], v[4:5] offset:512
	v_mad_i64_i32 v[10:11], null, s21, v83, 0
	v_lshlrev_b64 v[8:9], 3, v[8:9]
	v_mov_b32_e32 v112, 0xb0
	v_mov_b32_e32 v113, 0xb8
	;; [unrolled: 1-line block ×5, first 2 shown]
	v_lshlrev_b64 v[10:11], 3, v[10:11]
	v_add_co_u32 v8, vcc_lo, s12, v8
	v_add_co_ci_u32_e32 v9, vcc_lo, s13, v9, vcc_lo
	v_mov_b32_e32 v117, 0xd8
	s_delay_alu instid0(VALU_DEP_4) | instskip(SKIP_3) | instid1(VALU_DEP_4)
	v_add_co_u32 v10, vcc_lo, s2, v10
	v_add_co_ci_u32_e32 v11, vcc_lo, s3, v11, vcc_lo
	v_add_co_u32 v8, vcc_lo, v8, v68
	v_add_co_ci_u32_e32 v9, vcc_lo, v9, v69, vcc_lo
	v_add_co_u32 v10, vcc_lo, v10, v70
	s_delay_alu instid0(VALU_DEP_4)
	v_add_co_ci_u32_e32 v11, vcc_lo, v11, v71, vcc_lo
	s_clause 0x1
	flat_load_b64 v[72:73], v[8:9]
	flat_load_b64 v[74:75], v[8:9] offset:512
	s_clause 0x1
	flat_load_b64 v[76:77], v[10:11]
	flat_load_b64 v[78:79], v[10:11] offset:512
	v_lshlrev_b32_e32 v8, 3, v82
	v_mov_b32_e32 v118, 0xe0
	v_mov_b32_e32 v119, 0xe8
	;; [unrolled: 1-line block ×4, first 2 shown]
	v_lshl_add_u32 v86, v89, 5, v8
	v_add_nc_u32_e32 v87, 0x2000, v84
	s_mov_b32 s8, -1
	s_waitcnt vmcnt(6) lgkmcnt(6)
	ds_store_2addr_stride64_b64 v86, v[0:1], v[2:3] offset0:16 offset1:20
	s_waitcnt vmcnt(4) lgkmcnt(5)
	ds_store_2addr_stride64_b64 v86, v[6:7], v[4:5] offset1:4
	s_waitcnt vmcnt(0) lgkmcnt(0)
	s_waitcnt_vscnt null, 0x0
	s_barrier
	buffer_gl0_inv
	ds_load_2addr_b64 v[0:3], v85 offset1:16
	ds_load_2addr_b64 v[4:7], v85 offset0:32 offset1:48
	ds_load_2addr_b64 v[8:11], v36 offset1:16
	ds_load_2addr_b64 v[12:15], v36 offset0:32 offset1:48
	ds_load_2addr_b64 v[16:19], v36 offset0:64 offset1:80
	;; [unrolled: 1-line block ×13, first 2 shown]
	ds_load_2addr_stride64_b64 v[64:67], v84 offset0:16 offset1:20
	v_or_b32_e32 v88, 0x2000, v86
.LBB193_9:                              ; =>This Inner Loop Header: Depth=1
	scratch_load_b64 v[122:123], v90, off
	scratch_load_b64 v[124:125], v91, off
	;; [unrolled: 1-line block ×32, first 2 shown]
	s_cmp_eq_u32 s16, 1
	s_waitcnt lgkmcnt(16)
	v_max_f64 v[188:189], v[0:1], v[0:1]
	s_cselect_b32 vcc_lo, -1, 0
	v_max_f64 v[190:191], v[2:3], v[2:3]
	s_waitcnt lgkmcnt(0)
	v_dual_cndmask_b32 v187, v65, v67 :: v_dual_cndmask_b32 v186, v64, v66
	v_max_f64 v[192:193], v[4:5], v[4:5]
	v_max_f64 v[194:195], v[6:7], v[6:7]
	;; [unrolled: 1-line block ×31, first 2 shown]
	s_mov_b64 s[16:17], 1
	s_and_b32 vcc_lo, exec_lo, s8
	s_mov_b32 s8, 0
	v_min_f64 v[188:189], v[188:189], v[186:187]
	v_min_f64 v[190:191], v[190:191], v[186:187]
	;; [unrolled: 1-line block ×32, first 2 shown]
	s_waitcnt vmcnt(31)
	v_add_f64 v[122:123], v[122:123], v[188:189]
	s_waitcnt vmcnt(30)
	v_add_f64 v[124:125], v[190:191], v[124:125]
	;; [unrolled: 2-line block ×32, first 2 shown]
	scratch_store_b64 v90, v[122:123], off
	scratch_store_b64 v91, v[124:125], off
	;; [unrolled: 1-line block ×32, first 2 shown]
	v_mov_b32_e32 v90, 0x100
	v_mov_b32_e32 v91, 0x108
	;; [unrolled: 1-line block ×32, first 2 shown]
	s_cbranch_vccnz .LBB193_9
; %bb.10:
	v_dual_mov_b32 v91, 8 :: v_dual_add_nc_u32 v60, 0x800, v85
	ds_load_2addr_b64 v[0:3], v85 offset0:1 offset1:17
	ds_load_2addr_b64 v[4:7], v85 offset0:33 offset1:49
	;; [unrolled: 1-line block ×12, first 2 shown]
	v_dual_mov_b32 v93, 24 :: v_dual_add_nc_u32 v64, 8, v87
	ds_load_2addr_b64 v[48:51], v60 offset0:129 offset1:145
	ds_load_2addr_b64 v[52:55], v60 offset0:161 offset1:177
	;; [unrolled: 1-line block ×4, first 2 shown]
	ds_load_2addr_stride64_b64 v[64:67], v64 offset1:4
	v_dual_mov_b32 v90, 0 :: v_dual_mov_b32 v95, 40
	v_dual_mov_b32 v92, 16 :: v_dual_mov_b32 v97, 56
	;; [unrolled: 1-line block ×5, first 2 shown]
	v_mov_b32_e32 v100, 0x50
	v_mov_b32_e32 v102, 0x60
	;; [unrolled: 1-line block ×20, first 2 shown]
	s_mov_b64 s[8:9], 0
	s_mov_b32 s16, -1
.LBB193_11:                             ; =>This Inner Loop Header: Depth=1
	scratch_load_b64 v[122:123], v90, off
	scratch_load_b64 v[124:125], v91, off
	;; [unrolled: 1-line block ×32, first 2 shown]
	s_cmp_eq_u32 s8, 1
	s_waitcnt lgkmcnt(16)
	v_max_f64 v[188:189], v[0:1], v[0:1]
	s_cselect_b32 vcc_lo, -1, 0
	v_max_f64 v[190:191], v[2:3], v[2:3]
	s_waitcnt lgkmcnt(0)
	v_dual_cndmask_b32 v187, v65, v67 :: v_dual_cndmask_b32 v186, v64, v66
	v_max_f64 v[192:193], v[4:5], v[4:5]
	v_max_f64 v[194:195], v[6:7], v[6:7]
	;; [unrolled: 1-line block ×31, first 2 shown]
	s_mov_b64 s[8:9], 1
	s_and_b32 vcc_lo, exec_lo, s16
	s_mov_b32 s16, 0
	v_min_f64 v[188:189], v[188:189], v[186:187]
	v_min_f64 v[190:191], v[190:191], v[186:187]
	;; [unrolled: 1-line block ×32, first 2 shown]
	s_waitcnt vmcnt(31)
	v_add_f64 v[122:123], v[122:123], v[188:189]
	s_waitcnt vmcnt(30)
	v_add_f64 v[124:125], v[190:191], v[124:125]
	;; [unrolled: 2-line block ×32, first 2 shown]
	scratch_store_b64 v90, v[122:123], off
	scratch_store_b64 v91, v[124:125], off
	;; [unrolled: 1-line block ×32, first 2 shown]
	v_mov_b32_e32 v90, 0x100
	v_mov_b32_e32 v91, 0x108
	;; [unrolled: 1-line block ×32, first 2 shown]
	s_cbranch_vccnz .LBB193_11
; %bb.12:
	v_dual_mov_b32 v91, 8 :: v_dual_add_nc_u32 v60, 0x800, v85
	ds_load_2addr_b64 v[0:3], v85 offset0:2 offset1:18
	ds_load_2addr_b64 v[4:7], v85 offset0:34 offset1:50
	;; [unrolled: 1-line block ×12, first 2 shown]
	v_dual_mov_b32 v93, 24 :: v_dual_add_nc_u32 v64, 16, v87
	ds_load_2addr_b64 v[48:51], v60 offset0:130 offset1:146
	ds_load_2addr_b64 v[52:55], v60 offset0:162 offset1:178
	;; [unrolled: 1-line block ×4, first 2 shown]
	ds_load_2addr_stride64_b64 v[64:67], v64 offset1:4
	v_dual_mov_b32 v90, 0 :: v_dual_mov_b32 v95, 40
	v_dual_mov_b32 v92, 16 :: v_dual_mov_b32 v97, 56
	;; [unrolled: 1-line block ×5, first 2 shown]
	v_mov_b32_e32 v100, 0x50
	v_mov_b32_e32 v102, 0x60
	;; [unrolled: 1-line block ×20, first 2 shown]
	s_mov_b64 s[8:9], 0
	s_mov_b32 s16, -1
.LBB193_13:                             ; =>This Inner Loop Header: Depth=1
	scratch_load_b64 v[122:123], v90, off
	scratch_load_b64 v[124:125], v91, off
	;; [unrolled: 1-line block ×32, first 2 shown]
	s_cmp_eq_u32 s8, 1
	s_waitcnt lgkmcnt(16)
	v_max_f64 v[188:189], v[0:1], v[0:1]
	s_cselect_b32 vcc_lo, -1, 0
	v_max_f64 v[190:191], v[2:3], v[2:3]
	s_waitcnt lgkmcnt(0)
	v_dual_cndmask_b32 v187, v65, v67 :: v_dual_cndmask_b32 v186, v64, v66
	v_max_f64 v[192:193], v[4:5], v[4:5]
	v_max_f64 v[194:195], v[6:7], v[6:7]
	;; [unrolled: 1-line block ×31, first 2 shown]
	s_mov_b64 s[8:9], 1
	s_and_b32 vcc_lo, exec_lo, s16
	s_mov_b32 s16, 0
	v_min_f64 v[188:189], v[188:189], v[186:187]
	v_min_f64 v[190:191], v[190:191], v[186:187]
	;; [unrolled: 1-line block ×32, first 2 shown]
	s_waitcnt vmcnt(31)
	v_add_f64 v[122:123], v[122:123], v[188:189]
	s_waitcnt vmcnt(30)
	v_add_f64 v[124:125], v[190:191], v[124:125]
	;; [unrolled: 2-line block ×32, first 2 shown]
	scratch_store_b64 v90, v[122:123], off
	scratch_store_b64 v91, v[124:125], off
	;; [unrolled: 1-line block ×32, first 2 shown]
	v_mov_b32_e32 v90, 0x100
	v_mov_b32_e32 v91, 0x108
	;; [unrolled: 1-line block ×32, first 2 shown]
	s_cbranch_vccnz .LBB193_13
; %bb.14:
	v_dual_mov_b32 v91, 8 :: v_dual_add_nc_u32 v60, 0x800, v85
	ds_load_2addr_b64 v[0:3], v85 offset0:3 offset1:19
	ds_load_2addr_b64 v[4:7], v85 offset0:35 offset1:51
	;; [unrolled: 1-line block ×12, first 2 shown]
	v_dual_mov_b32 v93, 24 :: v_dual_add_nc_u32 v64, 24, v87
	ds_load_2addr_b64 v[48:51], v60 offset0:131 offset1:147
	ds_load_2addr_b64 v[52:55], v60 offset0:163 offset1:179
	;; [unrolled: 1-line block ×4, first 2 shown]
	ds_load_2addr_stride64_b64 v[64:67], v64 offset1:4
	v_dual_mov_b32 v90, 0 :: v_dual_mov_b32 v95, 40
	v_dual_mov_b32 v92, 16 :: v_dual_mov_b32 v97, 56
	;; [unrolled: 1-line block ×5, first 2 shown]
	v_mov_b32_e32 v100, 0x50
	v_mov_b32_e32 v102, 0x60
	;; [unrolled: 1-line block ×20, first 2 shown]
	s_mov_b64 s[8:9], 0
	s_mov_b32 s16, -1
.LBB193_15:                             ; =>This Inner Loop Header: Depth=1
	scratch_load_b64 v[122:123], v90, off
	scratch_load_b64 v[124:125], v91, off
	;; [unrolled: 1-line block ×32, first 2 shown]
	s_cmp_eq_u32 s8, 1
	s_waitcnt lgkmcnt(16)
	v_max_f64 v[188:189], v[0:1], v[0:1]
	s_cselect_b32 vcc_lo, -1, 0
	v_max_f64 v[190:191], v[2:3], v[2:3]
	s_waitcnt lgkmcnt(0)
	v_dual_cndmask_b32 v187, v65, v67 :: v_dual_cndmask_b32 v186, v64, v66
	v_max_f64 v[192:193], v[4:5], v[4:5]
	v_max_f64 v[194:195], v[6:7], v[6:7]
	;; [unrolled: 1-line block ×31, first 2 shown]
	s_mov_b64 s[8:9], 1
	s_and_b32 vcc_lo, exec_lo, s16
	s_mov_b32 s16, 0
	v_min_f64 v[188:189], v[188:189], v[186:187]
	v_min_f64 v[190:191], v[190:191], v[186:187]
	;; [unrolled: 1-line block ×32, first 2 shown]
	s_waitcnt vmcnt(31)
	v_add_f64 v[122:123], v[122:123], v[188:189]
	s_waitcnt vmcnt(30)
	v_add_f64 v[124:125], v[190:191], v[124:125]
	s_waitcnt vmcnt(29)
	v_add_f64 v[126:127], v[192:193], v[126:127]
	s_waitcnt vmcnt(28)
	v_add_f64 v[128:129], v[194:195], v[128:129]
	s_waitcnt vmcnt(27)
	v_add_f64 v[130:131], v[196:197], v[130:131]
	s_waitcnt vmcnt(26)
	v_add_f64 v[132:133], v[198:199], v[132:133]
	s_waitcnt vmcnt(25)
	v_add_f64 v[134:135], v[200:201], v[134:135]
	s_waitcnt vmcnt(24)
	v_add_f64 v[136:137], v[202:203], v[136:137]
	s_waitcnt vmcnt(23)
	v_add_f64 v[138:139], v[204:205], v[138:139]
	s_waitcnt vmcnt(22)
	v_add_f64 v[140:141], v[206:207], v[140:141]
	s_waitcnt vmcnt(21)
	v_add_f64 v[142:143], v[208:209], v[142:143]
	s_waitcnt vmcnt(20)
	v_add_f64 v[144:145], v[210:211], v[144:145]
	s_waitcnt vmcnt(19)
	v_add_f64 v[146:147], v[212:213], v[146:147]
	s_waitcnt vmcnt(18)
	v_add_f64 v[148:149], v[214:215], v[148:149]
	s_waitcnt vmcnt(17)
	v_add_f64 v[150:151], v[216:217], v[150:151]
	s_waitcnt vmcnt(16)
	v_add_f64 v[152:153], v[218:219], v[152:153]
	s_waitcnt vmcnt(15)
	v_add_f64 v[154:155], v[220:221], v[154:155]
	s_waitcnt vmcnt(14)
	v_add_f64 v[156:157], v[222:223], v[156:157]
	s_waitcnt vmcnt(13)
	v_add_f64 v[158:159], v[224:225], v[158:159]
	s_waitcnt vmcnt(12)
	v_add_f64 v[160:161], v[226:227], v[160:161]
	s_waitcnt vmcnt(11)
	v_add_f64 v[162:163], v[228:229], v[162:163]
	s_waitcnt vmcnt(10)
	v_add_f64 v[164:165], v[230:231], v[164:165]
	s_waitcnt vmcnt(9)
	v_add_f64 v[166:167], v[232:233], v[166:167]
	s_waitcnt vmcnt(8)
	v_add_f64 v[168:169], v[234:235], v[168:169]
	s_waitcnt vmcnt(7)
	v_add_f64 v[170:171], v[236:237], v[170:171]
	s_waitcnt vmcnt(6)
	v_add_f64 v[172:173], v[238:239], v[172:173]
	s_waitcnt vmcnt(5)
	v_add_f64 v[174:175], v[240:241], v[174:175]
	s_waitcnt vmcnt(4)
	v_add_f64 v[176:177], v[242:243], v[176:177]
	s_waitcnt vmcnt(3)
	v_add_f64 v[178:179], v[244:245], v[178:179]
	s_waitcnt vmcnt(2)
	v_add_f64 v[180:181], v[246:247], v[180:181]
	s_waitcnt vmcnt(1)
	v_add_f64 v[182:183], v[248:249], v[182:183]
	s_waitcnt vmcnt(0)
	v_add_f64 v[184:185], v[186:187], v[184:185]
	scratch_store_b64 v90, v[122:123], off
	scratch_store_b64 v91, v[124:125], off
	;; [unrolled: 1-line block ×32, first 2 shown]
	v_mov_b32_e32 v90, 0x100
	v_mov_b32_e32 v91, 0x108
	v_mov_b32_e32 v92, 0x110
	v_mov_b32_e32 v93, 0x118
	v_mov_b32_e32 v94, 0x120
	v_mov_b32_e32 v95, 0x128
	v_mov_b32_e32 v96, 0x130
	v_mov_b32_e32 v97, 0x138
	v_mov_b32_e32 v98, 0x140
	v_mov_b32_e32 v99, 0x148
	v_mov_b32_e32 v100, 0x150
	v_mov_b32_e32 v101, 0x158
	v_mov_b32_e32 v102, 0x160
	v_mov_b32_e32 v103, 0x168
	v_mov_b32_e32 v104, 0x170
	v_mov_b32_e32 v105, 0x178
	v_mov_b32_e32 v106, 0x180
	v_mov_b32_e32 v107, 0x188
	v_mov_b32_e32 v108, 0x190
	v_mov_b32_e32 v109, 0x198
	v_mov_b32_e32 v110, 0x1a0
	v_mov_b32_e32 v111, 0x1a8
	v_mov_b32_e32 v112, 0x1b0
	v_mov_b32_e32 v113, 0x1b8
	v_mov_b32_e32 v114, 0x1c0
	v_mov_b32_e32 v115, 0x1c8
	v_mov_b32_e32 v116, 0x1d0
	v_mov_b32_e32 v117, 0x1d8
	v_mov_b32_e32 v118, 0x1e0
	v_mov_b32_e32 v119, 0x1e8
	v_mov_b32_e32 v120, 0x1f0
	v_mov_b32_e32 v121, 0x1f8
	s_cbranch_vccnz .LBB193_15
; %bb.16:
	s_load_b32 s9, s[0:1], 0x8
	v_lshlrev_b32_e32 v0, 5, v89
	s_mov_b32 s8, 8
	s_delay_alu instid0(VALU_DEP_1)
	v_lshl_add_u32 v0, v82, 3, v0
	ds_store_2addr_stride64_b64 v0, v[76:77], v[78:79] offset0:8 offset1:12
	ds_store_2addr_stride64_b64 v0, v[72:73], v[74:75] offset0:24 offset1:28
	s_waitcnt lgkmcnt(0)
	s_waitcnt_vscnt null, 0x0
	s_barrier
	buffer_gl0_inv
	s_cmp_gt_i32 s9, 8
	s_cbranch_scc0 .LBB193_35
; %bb.17:
	v_lshl_add_u32 v78, v80, 5, 0x1000
	v_add_co_u32 v89, vcc_lo, s2, v70
	v_add_co_ci_u32_e32 v90, vcc_lo, s3, v71, vcc_lo
	v_add_co_u32 v91, vcc_lo, s12, v68
	v_or_b32_e32 v76, 0x1000, v0
	v_or_b32_e32 v77, 0x3000, v0
	v_lshl_add_u32 v79, v81, 5, 0x3000
	v_add_co_ci_u32_e32 v92, vcc_lo, s13, v69, vcc_lo
	v_add_nc_u32_e32 v93, 0x800, v78
	s_add_i32 s9, s9, -8
	s_mov_b32 s12, 0
.LBB193_18:                             ; =>This Loop Header: Depth=1
                                        ;     Child Loop BB193_19 Depth 2
                                        ;     Child Loop BB193_21 Depth 2
	;; [unrolled: 1-line block ×8, first 2 shown]
	v_dual_mov_b32 v124, 8 :: v_dual_add_nc_u32 v7, s8, v82
	v_dual_mov_b32 v125, 0 :: v_dual_mov_b32 v118, 56
	v_dual_mov_b32 v123, 16 :: v_dual_mov_b32 v116, 0x48
	s_delay_alu instid0(VALU_DEP_3) | instskip(SKIP_4) | instid1(VALU_DEP_4)
	v_mad_u64_u32 v[0:1], null, v7, s21, 0
	v_mad_u64_u32 v[2:3], null, v7, s22, 0
	v_dual_mov_b32 v121, 32 :: v_dual_mov_b32 v114, 0x58
	v_dual_mov_b32 v119, 48 :: v_dual_mov_b32 v112, 0x68
	;; [unrolled: 1-line block ×3, first 2 shown]
	v_mad_u64_u32 v[4:5], null, v7, s23, v[1:2]
	v_mov_b32_e32 v115, 0x50
	v_mov_b32_e32 v113, 0x60
	v_dual_mov_b32 v111, 0x70 :: v_dual_mov_b32 v122, 24
	v_mov_b32_e32 v109, 0x80
	v_mov_b32_e32 v108, 0x88
	v_mad_u64_u32 v[5:6], null, v7, s24, v[3:4]
	v_mov_b32_e32 v1, v4
	v_mov_b32_e32 v107, 0x90
	v_mov_b32_e32 v106, 0x98
	v_dual_mov_b32 v120, 40 :: v_dual_mov_b32 v105, 0xa0
	s_delay_alu instid0(VALU_DEP_4) | instskip(SKIP_4) | instid1(VALU_DEP_4)
	v_lshlrev_b64 v[0:1], 3, v[0:1]
	v_dual_mov_b32 v3, v5 :: v_dual_mov_b32 v104, 0xa8
	v_mov_b32_e32 v103, 0xb0
	v_mov_b32_e32 v102, 0xb8
	;; [unrolled: 1-line block ×3, first 2 shown]
	v_lshlrev_b64 v[2:3], 3, v[2:3]
	v_add_co_u32 v0, vcc_lo, v89, v0
	v_add_co_ci_u32_e32 v1, vcc_lo, v90, v1, vcc_lo
	v_mov_b32_e32 v100, 0xc8
	s_delay_alu instid0(VALU_DEP_4)
	v_add_co_u32 v2, vcc_lo, v91, v2
	v_add_co_ci_u32_e32 v3, vcc_lo, v92, v3, vcc_lo
	s_clause 0x1
	flat_load_b64 v[68:69], v[0:1]
	flat_load_b64 v[70:71], v[0:1] offset:512
	s_clause 0x1
	flat_load_b64 v[72:73], v[2:3]
	flat_load_b64 v[74:75], v[2:3] offset:512
	ds_load_2addr_b64 v[0:3], v78 offset1:16
	ds_load_2addr_b64 v[4:7], v78 offset0:32 offset1:48
	ds_load_2addr_b64 v[8:11], v78 offset0:64 offset1:80
	;; [unrolled: 1-line block ×7, first 2 shown]
	ds_load_2addr_b64 v[32:35], v93 offset1:16
	ds_load_2addr_b64 v[36:39], v93 offset0:32 offset1:48
	ds_load_2addr_b64 v[40:43], v93 offset0:64 offset1:80
	;; [unrolled: 1-line block ×7, first 2 shown]
	ds_load_2addr_stride64_b64 v[64:67], v79 offset1:4
	v_mov_b32_e32 v99, 0xd0
	v_mov_b32_e32 v98, 0xd8
	v_mov_b32_e32 v97, 0xe0
	v_mov_b32_e32 v96, 0xe8
	v_mov_b32_e32 v95, 0xf0
	v_mov_b32_e32 v94, 0xf8
	s_mov_b64 s[2:3], 0
	s_mov_b32 s13, -1
.LBB193_19:                             ;   Parent Loop BB193_18 Depth=1
                                        ; =>  This Inner Loop Header: Depth=2
	scratch_load_b64 v[130:131], v125, off
	s_cmp_eq_u32 s2, 1
	s_waitcnt lgkmcnt(16)
	v_max_f64 v[128:129], v[0:1], v[0:1]
	s_cselect_b32 vcc_lo, -1, 0
	s_mov_b64 s[2:3], 1
	s_waitcnt lgkmcnt(0)
	v_dual_cndmask_b32 v127, v65, v67 :: v_dual_cndmask_b32 v126, v64, v66
	s_and_b32 vcc_lo, exec_lo, s13
	s_mov_b32 s13, 0
	s_delay_alu instid0(VALU_DEP_1) | instskip(NEXT) | instid1(VALU_DEP_1)
	v_max_f64 v[126:127], v[126:127], v[126:127]
	v_min_f64 v[128:129], v[128:129], v[126:127]
	s_waitcnt vmcnt(0)
	s_delay_alu instid0(VALU_DEP_1) | instskip(SKIP_3) | instid1(VALU_DEP_1)
	v_add_f64 v[128:129], v[130:131], v[128:129]
	scratch_load_b64 v[130:131], v124, off
	scratch_store_b64 v125, v[128:129], off
	v_max_f64 v[128:129], v[2:3], v[2:3]
	v_min_f64 v[128:129], v[128:129], v[126:127]
	s_waitcnt vmcnt(0)
	s_delay_alu instid0(VALU_DEP_1) | instskip(SKIP_3) | instid1(VALU_DEP_1)
	v_add_f64 v[128:129], v[128:129], v[130:131]
	scratch_store_b64 v124, v[128:129], off
	scratch_load_b64 v[128:129], v123, off
	v_max_f64 v[124:125], v[4:5], v[4:5]
	v_min_f64 v[124:125], v[124:125], v[126:127]
	s_waitcnt vmcnt(0)
	s_delay_alu instid0(VALU_DEP_1) | instskip(SKIP_3) | instid1(VALU_DEP_1)
	v_add_f64 v[124:125], v[124:125], v[128:129]
	scratch_load_b64 v[128:129], v122, off
	scratch_store_b64 v123, v[124:125], off
	v_max_f64 v[123:124], v[6:7], v[6:7]
	v_min_f64 v[123:124], v[123:124], v[126:127]
	s_waitcnt vmcnt(0)
	s_delay_alu instid0(VALU_DEP_1) | instskip(SKIP_3) | instid1(VALU_DEP_1)
	v_add_f64 v[123:124], v[123:124], v[128:129]
	scratch_store_b64 v122, v[123:124], off
	scratch_load_b64 v[124:125], v121, off
	v_max_f64 v[122:123], v[8:9], v[8:9]
	v_min_f64 v[122:123], v[122:123], v[126:127]
	s_waitcnt vmcnt(0)
	s_delay_alu instid0(VALU_DEP_1) | instskip(SKIP_4) | instid1(VALU_DEP_1)
	v_add_f64 v[122:123], v[122:123], v[124:125]
	v_mov_b32_e32 v125, 0x100
	scratch_store_b64 v121, v[122:123], off
	scratch_load_b64 v[123:124], v120, off
	v_max_f64 v[121:122], v[10:11], v[10:11]
	v_min_f64 v[121:122], v[121:122], v[126:127]
	s_waitcnt vmcnt(0)
	s_delay_alu instid0(VALU_DEP_1) | instskip(SKIP_4) | instid1(VALU_DEP_1)
	v_add_f64 v[121:122], v[121:122], v[123:124]
	v_mov_b32_e32 v124, 0x108
	;; [unrolled: 8-line block ×27, first 2 shown]
	scratch_store_b64 v95, v[96:97], off
	scratch_load_b64 v[97:98], v94, off
	v_max_f64 v[95:96], v[62:63], v[62:63]
	v_min_f64 v[95:96], v[95:96], v[126:127]
	s_waitcnt vmcnt(0)
	s_delay_alu instid0(VALU_DEP_1)
	v_add_f64 v[95:96], v[95:96], v[97:98]
	v_mov_b32_e32 v98, 0x1d8
	v_mov_b32_e32 v97, 0x1e0
	scratch_store_b64 v94, v[95:96], off
	v_mov_b32_e32 v96, 0x1e8
	v_mov_b32_e32 v95, 0x1f0
	;; [unrolled: 1-line block ×3, first 2 shown]
	s_cbranch_vccnz .LBB193_19
; %bb.20:                               ;   in Loop: Header=BB193_18 Depth=1
	ds_load_2addr_b64 v[0:3], v78 offset0:1 offset1:17
	ds_load_2addr_b64 v[4:7], v78 offset0:33 offset1:49
	;; [unrolled: 1-line block ×12, first 2 shown]
	v_dual_mov_b32 v125, 0 :: v_dual_add_nc_u32 v64, 8, v79
	ds_load_2addr_b64 v[48:51], v93 offset0:129 offset1:145
	ds_load_2addr_b64 v[52:55], v93 offset0:161 offset1:177
	;; [unrolled: 1-line block ×4, first 2 shown]
	ds_load_2addr_stride64_b64 v[64:67], v64 offset1:4
	v_dual_mov_b32 v124, 8 :: v_dual_mov_b32 v123, 16
	v_dual_mov_b32 v122, 24 :: v_dual_mov_b32 v121, 32
	;; [unrolled: 1-line block ×4, first 2 shown]
	v_mov_b32_e32 v116, 0x48
	v_mov_b32_e32 v115, 0x50
	v_mov_b32_e32 v114, 0x58
	v_mov_b32_e32 v113, 0x60
	v_mov_b32_e32 v112, 0x68
	v_mov_b32_e32 v111, 0x70
	v_mov_b32_e32 v110, 0x78
	v_mov_b32_e32 v109, 0x80
	v_mov_b32_e32 v108, 0x88
	v_mov_b32_e32 v107, 0x90
	v_mov_b32_e32 v106, 0x98
	v_mov_b32_e32 v105, 0xa0
	v_mov_b32_e32 v104, 0xa8
	v_mov_b32_e32 v103, 0xb0
	v_mov_b32_e32 v102, 0xb8
	v_mov_b32_e32 v101, 0xc0
	v_mov_b32_e32 v100, 0xc8
	v_mov_b32_e32 v99, 0xd0
	v_mov_b32_e32 v98, 0xd8
	v_mov_b32_e32 v97, 0xe0
	v_mov_b32_e32 v96, 0xe8
	v_mov_b32_e32 v95, 0xf0
	v_mov_b32_e32 v94, 0xf8
	s_mov_b64 s[2:3], 0
	s_mov_b32 s13, -1
.LBB193_21:                             ;   Parent Loop BB193_18 Depth=1
                                        ; =>  This Inner Loop Header: Depth=2
	scratch_load_b64 v[130:131], v125, off
	s_cmp_eq_u32 s2, 1
	s_waitcnt lgkmcnt(16)
	v_max_f64 v[128:129], v[0:1], v[0:1]
	s_cselect_b32 vcc_lo, -1, 0
	s_mov_b64 s[2:3], 1
	s_waitcnt lgkmcnt(0)
	v_dual_cndmask_b32 v127, v65, v67 :: v_dual_cndmask_b32 v126, v64, v66
	s_and_b32 vcc_lo, exec_lo, s13
	s_mov_b32 s13, 0
	s_delay_alu instid0(VALU_DEP_1) | instskip(NEXT) | instid1(VALU_DEP_1)
	v_max_f64 v[126:127], v[126:127], v[126:127]
	v_min_f64 v[128:129], v[128:129], v[126:127]
	s_waitcnt vmcnt(0)
	s_delay_alu instid0(VALU_DEP_1) | instskip(SKIP_3) | instid1(VALU_DEP_1)
	v_add_f64 v[128:129], v[130:131], v[128:129]
	scratch_load_b64 v[130:131], v124, off
	scratch_store_b64 v125, v[128:129], off
	v_max_f64 v[128:129], v[2:3], v[2:3]
	v_min_f64 v[128:129], v[128:129], v[126:127]
	s_waitcnt vmcnt(0)
	s_delay_alu instid0(VALU_DEP_1) | instskip(SKIP_3) | instid1(VALU_DEP_1)
	v_add_f64 v[128:129], v[128:129], v[130:131]
	scratch_store_b64 v124, v[128:129], off
	scratch_load_b64 v[128:129], v123, off
	v_max_f64 v[124:125], v[4:5], v[4:5]
	v_min_f64 v[124:125], v[124:125], v[126:127]
	s_waitcnt vmcnt(0)
	s_delay_alu instid0(VALU_DEP_1) | instskip(SKIP_3) | instid1(VALU_DEP_1)
	v_add_f64 v[124:125], v[124:125], v[128:129]
	scratch_load_b64 v[128:129], v122, off
	scratch_store_b64 v123, v[124:125], off
	v_max_f64 v[123:124], v[6:7], v[6:7]
	v_min_f64 v[123:124], v[123:124], v[126:127]
	s_waitcnt vmcnt(0)
	s_delay_alu instid0(VALU_DEP_1) | instskip(SKIP_3) | instid1(VALU_DEP_1)
	v_add_f64 v[123:124], v[123:124], v[128:129]
	scratch_store_b64 v122, v[123:124], off
	scratch_load_b64 v[124:125], v121, off
	v_max_f64 v[122:123], v[8:9], v[8:9]
	v_min_f64 v[122:123], v[122:123], v[126:127]
	s_waitcnt vmcnt(0)
	s_delay_alu instid0(VALU_DEP_1) | instskip(SKIP_4) | instid1(VALU_DEP_1)
	v_add_f64 v[122:123], v[122:123], v[124:125]
	v_mov_b32_e32 v125, 0x100
	scratch_store_b64 v121, v[122:123], off
	scratch_load_b64 v[123:124], v120, off
	v_max_f64 v[121:122], v[10:11], v[10:11]
	v_min_f64 v[121:122], v[121:122], v[126:127]
	s_waitcnt vmcnt(0)
	s_delay_alu instid0(VALU_DEP_1) | instskip(SKIP_4) | instid1(VALU_DEP_1)
	v_add_f64 v[121:122], v[121:122], v[123:124]
	v_mov_b32_e32 v124, 0x108
	;; [unrolled: 8-line block ×27, first 2 shown]
	scratch_store_b64 v95, v[96:97], off
	scratch_load_b64 v[97:98], v94, off
	v_max_f64 v[95:96], v[62:63], v[62:63]
	v_min_f64 v[95:96], v[95:96], v[126:127]
	s_waitcnt vmcnt(0)
	s_delay_alu instid0(VALU_DEP_1)
	v_add_f64 v[95:96], v[95:96], v[97:98]
	v_mov_b32_e32 v98, 0x1d8
	v_mov_b32_e32 v97, 0x1e0
	scratch_store_b64 v94, v[95:96], off
	v_mov_b32_e32 v96, 0x1e8
	v_mov_b32_e32 v95, 0x1f0
	;; [unrolled: 1-line block ×3, first 2 shown]
	s_cbranch_vccnz .LBB193_21
; %bb.22:                               ;   in Loop: Header=BB193_18 Depth=1
	ds_load_2addr_b64 v[0:3], v78 offset0:2 offset1:18
	ds_load_2addr_b64 v[4:7], v78 offset0:34 offset1:50
	;; [unrolled: 1-line block ×12, first 2 shown]
	v_dual_mov_b32 v125, 0 :: v_dual_add_nc_u32 v64, 16, v79
	ds_load_2addr_b64 v[48:51], v93 offset0:130 offset1:146
	ds_load_2addr_b64 v[52:55], v93 offset0:162 offset1:178
	;; [unrolled: 1-line block ×4, first 2 shown]
	ds_load_2addr_stride64_b64 v[64:67], v64 offset1:4
	v_dual_mov_b32 v124, 8 :: v_dual_mov_b32 v123, 16
	v_dual_mov_b32 v122, 24 :: v_dual_mov_b32 v121, 32
	;; [unrolled: 1-line block ×4, first 2 shown]
	v_mov_b32_e32 v116, 0x48
	v_mov_b32_e32 v115, 0x50
	v_mov_b32_e32 v114, 0x58
	v_mov_b32_e32 v113, 0x60
	v_mov_b32_e32 v112, 0x68
	v_mov_b32_e32 v111, 0x70
	v_mov_b32_e32 v110, 0x78
	v_mov_b32_e32 v109, 0x80
	v_mov_b32_e32 v108, 0x88
	v_mov_b32_e32 v107, 0x90
	v_mov_b32_e32 v106, 0x98
	v_mov_b32_e32 v105, 0xa0
	v_mov_b32_e32 v104, 0xa8
	v_mov_b32_e32 v103, 0xb0
	v_mov_b32_e32 v102, 0xb8
	v_mov_b32_e32 v101, 0xc0
	v_mov_b32_e32 v100, 0xc8
	v_mov_b32_e32 v99, 0xd0
	v_mov_b32_e32 v98, 0xd8
	v_mov_b32_e32 v97, 0xe0
	v_mov_b32_e32 v96, 0xe8
	v_mov_b32_e32 v95, 0xf0
	v_mov_b32_e32 v94, 0xf8
	s_mov_b64 s[2:3], 0
	s_mov_b32 s13, -1
.LBB193_23:                             ;   Parent Loop BB193_18 Depth=1
                                        ; =>  This Inner Loop Header: Depth=2
	scratch_load_b64 v[130:131], v125, off
	s_cmp_eq_u32 s2, 1
	s_waitcnt lgkmcnt(16)
	v_max_f64 v[128:129], v[0:1], v[0:1]
	s_cselect_b32 vcc_lo, -1, 0
	s_mov_b64 s[2:3], 1
	s_waitcnt lgkmcnt(0)
	v_dual_cndmask_b32 v127, v65, v67 :: v_dual_cndmask_b32 v126, v64, v66
	s_and_b32 vcc_lo, exec_lo, s13
	s_mov_b32 s13, 0
	s_delay_alu instid0(VALU_DEP_1) | instskip(NEXT) | instid1(VALU_DEP_1)
	v_max_f64 v[126:127], v[126:127], v[126:127]
	v_min_f64 v[128:129], v[128:129], v[126:127]
	s_waitcnt vmcnt(0)
	s_delay_alu instid0(VALU_DEP_1) | instskip(SKIP_3) | instid1(VALU_DEP_1)
	v_add_f64 v[128:129], v[130:131], v[128:129]
	scratch_load_b64 v[130:131], v124, off
	scratch_store_b64 v125, v[128:129], off
	v_max_f64 v[128:129], v[2:3], v[2:3]
	v_min_f64 v[128:129], v[128:129], v[126:127]
	s_waitcnt vmcnt(0)
	s_delay_alu instid0(VALU_DEP_1) | instskip(SKIP_3) | instid1(VALU_DEP_1)
	v_add_f64 v[128:129], v[128:129], v[130:131]
	scratch_store_b64 v124, v[128:129], off
	scratch_load_b64 v[128:129], v123, off
	v_max_f64 v[124:125], v[4:5], v[4:5]
	v_min_f64 v[124:125], v[124:125], v[126:127]
	s_waitcnt vmcnt(0)
	s_delay_alu instid0(VALU_DEP_1) | instskip(SKIP_3) | instid1(VALU_DEP_1)
	v_add_f64 v[124:125], v[124:125], v[128:129]
	scratch_load_b64 v[128:129], v122, off
	scratch_store_b64 v123, v[124:125], off
	v_max_f64 v[123:124], v[6:7], v[6:7]
	v_min_f64 v[123:124], v[123:124], v[126:127]
	s_waitcnt vmcnt(0)
	s_delay_alu instid0(VALU_DEP_1) | instskip(SKIP_3) | instid1(VALU_DEP_1)
	v_add_f64 v[123:124], v[123:124], v[128:129]
	scratch_store_b64 v122, v[123:124], off
	scratch_load_b64 v[124:125], v121, off
	v_max_f64 v[122:123], v[8:9], v[8:9]
	v_min_f64 v[122:123], v[122:123], v[126:127]
	s_waitcnt vmcnt(0)
	s_delay_alu instid0(VALU_DEP_1) | instskip(SKIP_4) | instid1(VALU_DEP_1)
	v_add_f64 v[122:123], v[122:123], v[124:125]
	v_mov_b32_e32 v125, 0x100
	scratch_store_b64 v121, v[122:123], off
	scratch_load_b64 v[123:124], v120, off
	v_max_f64 v[121:122], v[10:11], v[10:11]
	v_min_f64 v[121:122], v[121:122], v[126:127]
	s_waitcnt vmcnt(0)
	s_delay_alu instid0(VALU_DEP_1) | instskip(SKIP_4) | instid1(VALU_DEP_1)
	v_add_f64 v[121:122], v[121:122], v[123:124]
	v_mov_b32_e32 v124, 0x108
	scratch_store_b64 v120, v[121:122], off
	scratch_load_b64 v[122:123], v119, off
	v_max_f64 v[120:121], v[12:13], v[12:13]
	v_min_f64 v[120:121], v[120:121], v[126:127]
	s_waitcnt vmcnt(0)
	s_delay_alu instid0(VALU_DEP_1) | instskip(SKIP_4) | instid1(VALU_DEP_1)
	v_add_f64 v[120:121], v[120:121], v[122:123]
	v_mov_b32_e32 v123, 0x110
	scratch_store_b64 v119, v[120:121], off
	scratch_load_b64 v[121:122], v118, off
	v_max_f64 v[119:120], v[14:15], v[14:15]
	v_min_f64 v[119:120], v[119:120], v[126:127]
	s_waitcnt vmcnt(0)
	s_delay_alu instid0(VALU_DEP_1) | instskip(SKIP_4) | instid1(VALU_DEP_1)
	v_add_f64 v[119:120], v[119:120], v[121:122]
	v_mov_b32_e32 v122, 0x118
	scratch_store_b64 v118, v[119:120], off
	scratch_load_b64 v[120:121], v117, off
	v_max_f64 v[118:119], v[16:17], v[16:17]
	v_min_f64 v[118:119], v[118:119], v[126:127]
	s_waitcnt vmcnt(0)
	s_delay_alu instid0(VALU_DEP_1) | instskip(SKIP_4) | instid1(VALU_DEP_1)
	v_add_f64 v[118:119], v[118:119], v[120:121]
	v_mov_b32_e32 v121, 0x120
	scratch_store_b64 v117, v[118:119], off
	scratch_load_b64 v[119:120], v116, off
	v_max_f64 v[117:118], v[18:19], v[18:19]
	v_min_f64 v[117:118], v[117:118], v[126:127]
	s_waitcnt vmcnt(0)
	s_delay_alu instid0(VALU_DEP_1) | instskip(SKIP_4) | instid1(VALU_DEP_1)
	v_add_f64 v[117:118], v[117:118], v[119:120]
	v_mov_b32_e32 v120, 0x128
	scratch_store_b64 v116, v[117:118], off
	scratch_load_b64 v[118:119], v115, off
	v_max_f64 v[116:117], v[20:21], v[20:21]
	v_min_f64 v[116:117], v[116:117], v[126:127]
	s_waitcnt vmcnt(0)
	s_delay_alu instid0(VALU_DEP_1) | instskip(SKIP_4) | instid1(VALU_DEP_1)
	v_add_f64 v[116:117], v[116:117], v[118:119]
	v_mov_b32_e32 v119, 0x130
	scratch_store_b64 v115, v[116:117], off
	scratch_load_b64 v[117:118], v114, off
	v_max_f64 v[115:116], v[22:23], v[22:23]
	v_min_f64 v[115:116], v[115:116], v[126:127]
	s_waitcnt vmcnt(0)
	s_delay_alu instid0(VALU_DEP_1) | instskip(SKIP_4) | instid1(VALU_DEP_1)
	v_add_f64 v[115:116], v[115:116], v[117:118]
	v_mov_b32_e32 v118, 0x138
	scratch_store_b64 v114, v[115:116], off
	scratch_load_b64 v[116:117], v113, off
	v_max_f64 v[114:115], v[24:25], v[24:25]
	v_min_f64 v[114:115], v[114:115], v[126:127]
	s_waitcnt vmcnt(0)
	s_delay_alu instid0(VALU_DEP_1) | instskip(SKIP_4) | instid1(VALU_DEP_1)
	v_add_f64 v[114:115], v[114:115], v[116:117]
	v_mov_b32_e32 v117, 0x140
	scratch_store_b64 v113, v[114:115], off
	scratch_load_b64 v[115:116], v112, off
	v_max_f64 v[113:114], v[26:27], v[26:27]
	v_min_f64 v[113:114], v[113:114], v[126:127]
	s_waitcnt vmcnt(0)
	s_delay_alu instid0(VALU_DEP_1) | instskip(SKIP_4) | instid1(VALU_DEP_1)
	v_add_f64 v[113:114], v[113:114], v[115:116]
	v_mov_b32_e32 v116, 0x148
	scratch_store_b64 v112, v[113:114], off
	scratch_load_b64 v[114:115], v111, off
	v_max_f64 v[112:113], v[28:29], v[28:29]
	v_min_f64 v[112:113], v[112:113], v[126:127]
	s_waitcnt vmcnt(0)
	s_delay_alu instid0(VALU_DEP_1) | instskip(SKIP_4) | instid1(VALU_DEP_1)
	v_add_f64 v[112:113], v[112:113], v[114:115]
	v_mov_b32_e32 v115, 0x150
	scratch_store_b64 v111, v[112:113], off
	scratch_load_b64 v[113:114], v110, off
	v_max_f64 v[111:112], v[30:31], v[30:31]
	v_min_f64 v[111:112], v[111:112], v[126:127]
	s_waitcnt vmcnt(0)
	s_delay_alu instid0(VALU_DEP_1) | instskip(SKIP_4) | instid1(VALU_DEP_1)
	v_add_f64 v[111:112], v[111:112], v[113:114]
	v_mov_b32_e32 v114, 0x158
	scratch_store_b64 v110, v[111:112], off
	scratch_load_b64 v[112:113], v109, off
	v_max_f64 v[110:111], v[32:33], v[32:33]
	v_min_f64 v[110:111], v[110:111], v[126:127]
	s_waitcnt vmcnt(0)
	s_delay_alu instid0(VALU_DEP_1) | instskip(SKIP_4) | instid1(VALU_DEP_1)
	v_add_f64 v[110:111], v[110:111], v[112:113]
	v_mov_b32_e32 v113, 0x160
	scratch_store_b64 v109, v[110:111], off
	scratch_load_b64 v[111:112], v108, off
	v_max_f64 v[109:110], v[34:35], v[34:35]
	v_min_f64 v[109:110], v[109:110], v[126:127]
	s_waitcnt vmcnt(0)
	s_delay_alu instid0(VALU_DEP_1) | instskip(SKIP_4) | instid1(VALU_DEP_1)
	v_add_f64 v[109:110], v[109:110], v[111:112]
	v_mov_b32_e32 v112, 0x168
	scratch_store_b64 v108, v[109:110], off
	scratch_load_b64 v[110:111], v107, off
	v_max_f64 v[108:109], v[36:37], v[36:37]
	v_min_f64 v[108:109], v[108:109], v[126:127]
	s_waitcnt vmcnt(0)
	s_delay_alu instid0(VALU_DEP_1) | instskip(SKIP_4) | instid1(VALU_DEP_1)
	v_add_f64 v[108:109], v[108:109], v[110:111]
	v_mov_b32_e32 v111, 0x170
	scratch_store_b64 v107, v[108:109], off
	scratch_load_b64 v[109:110], v106, off
	v_max_f64 v[107:108], v[38:39], v[38:39]
	v_min_f64 v[107:108], v[107:108], v[126:127]
	s_waitcnt vmcnt(0)
	s_delay_alu instid0(VALU_DEP_1) | instskip(SKIP_4) | instid1(VALU_DEP_1)
	v_add_f64 v[107:108], v[107:108], v[109:110]
	v_mov_b32_e32 v110, 0x178
	scratch_store_b64 v106, v[107:108], off
	scratch_load_b64 v[108:109], v105, off
	v_max_f64 v[106:107], v[40:41], v[40:41]
	v_min_f64 v[106:107], v[106:107], v[126:127]
	s_waitcnt vmcnt(0)
	s_delay_alu instid0(VALU_DEP_1) | instskip(SKIP_4) | instid1(VALU_DEP_1)
	v_add_f64 v[106:107], v[106:107], v[108:109]
	v_mov_b32_e32 v109, 0x180
	scratch_store_b64 v105, v[106:107], off
	scratch_load_b64 v[107:108], v104, off
	v_max_f64 v[105:106], v[42:43], v[42:43]
	v_min_f64 v[105:106], v[105:106], v[126:127]
	s_waitcnt vmcnt(0)
	s_delay_alu instid0(VALU_DEP_1) | instskip(SKIP_4) | instid1(VALU_DEP_1)
	v_add_f64 v[105:106], v[105:106], v[107:108]
	v_mov_b32_e32 v108, 0x188
	scratch_store_b64 v104, v[105:106], off
	scratch_load_b64 v[106:107], v103, off
	v_max_f64 v[104:105], v[44:45], v[44:45]
	v_min_f64 v[104:105], v[104:105], v[126:127]
	s_waitcnt vmcnt(0)
	s_delay_alu instid0(VALU_DEP_1) | instskip(SKIP_4) | instid1(VALU_DEP_1)
	v_add_f64 v[104:105], v[104:105], v[106:107]
	v_mov_b32_e32 v107, 0x190
	scratch_store_b64 v103, v[104:105], off
	scratch_load_b64 v[105:106], v102, off
	v_max_f64 v[103:104], v[46:47], v[46:47]
	v_min_f64 v[103:104], v[103:104], v[126:127]
	s_waitcnt vmcnt(0)
	s_delay_alu instid0(VALU_DEP_1) | instskip(SKIP_4) | instid1(VALU_DEP_1)
	v_add_f64 v[103:104], v[103:104], v[105:106]
	v_mov_b32_e32 v106, 0x198
	scratch_store_b64 v102, v[103:104], off
	scratch_load_b64 v[104:105], v101, off
	v_max_f64 v[102:103], v[48:49], v[48:49]
	v_min_f64 v[102:103], v[102:103], v[126:127]
	s_waitcnt vmcnt(0)
	s_delay_alu instid0(VALU_DEP_1) | instskip(SKIP_4) | instid1(VALU_DEP_1)
	v_add_f64 v[102:103], v[102:103], v[104:105]
	v_mov_b32_e32 v105, 0x1a0
	scratch_store_b64 v101, v[102:103], off
	scratch_load_b64 v[103:104], v100, off
	v_max_f64 v[101:102], v[50:51], v[50:51]
	v_min_f64 v[101:102], v[101:102], v[126:127]
	s_waitcnt vmcnt(0)
	s_delay_alu instid0(VALU_DEP_1) | instskip(SKIP_4) | instid1(VALU_DEP_1)
	v_add_f64 v[101:102], v[101:102], v[103:104]
	v_mov_b32_e32 v104, 0x1a8
	scratch_store_b64 v100, v[101:102], off
	scratch_load_b64 v[102:103], v99, off
	v_max_f64 v[100:101], v[52:53], v[52:53]
	v_min_f64 v[100:101], v[100:101], v[126:127]
	s_waitcnt vmcnt(0)
	s_delay_alu instid0(VALU_DEP_1) | instskip(SKIP_4) | instid1(VALU_DEP_1)
	v_add_f64 v[100:101], v[100:101], v[102:103]
	v_mov_b32_e32 v103, 0x1b0
	scratch_store_b64 v99, v[100:101], off
	scratch_load_b64 v[101:102], v98, off
	v_max_f64 v[99:100], v[54:55], v[54:55]
	v_min_f64 v[99:100], v[99:100], v[126:127]
	s_waitcnt vmcnt(0)
	s_delay_alu instid0(VALU_DEP_1) | instskip(SKIP_4) | instid1(VALU_DEP_1)
	v_add_f64 v[99:100], v[99:100], v[101:102]
	v_mov_b32_e32 v102, 0x1b8
	scratch_store_b64 v98, v[99:100], off
	scratch_load_b64 v[100:101], v97, off
	v_max_f64 v[98:99], v[56:57], v[56:57]
	v_min_f64 v[98:99], v[98:99], v[126:127]
	s_waitcnt vmcnt(0)
	s_delay_alu instid0(VALU_DEP_1) | instskip(SKIP_4) | instid1(VALU_DEP_1)
	v_add_f64 v[98:99], v[98:99], v[100:101]
	v_mov_b32_e32 v101, 0x1c0
	scratch_store_b64 v97, v[98:99], off
	scratch_load_b64 v[99:100], v96, off
	v_max_f64 v[97:98], v[58:59], v[58:59]
	v_min_f64 v[97:98], v[97:98], v[126:127]
	s_waitcnt vmcnt(0)
	s_delay_alu instid0(VALU_DEP_1) | instskip(SKIP_4) | instid1(VALU_DEP_1)
	v_add_f64 v[97:98], v[97:98], v[99:100]
	v_mov_b32_e32 v100, 0x1c8
	scratch_store_b64 v96, v[97:98], off
	scratch_load_b64 v[98:99], v95, off
	v_max_f64 v[96:97], v[60:61], v[60:61]
	v_min_f64 v[96:97], v[96:97], v[126:127]
	s_waitcnt vmcnt(0)
	s_delay_alu instid0(VALU_DEP_1) | instskip(SKIP_4) | instid1(VALU_DEP_1)
	v_add_f64 v[96:97], v[96:97], v[98:99]
	v_mov_b32_e32 v99, 0x1d0
	scratch_store_b64 v95, v[96:97], off
	scratch_load_b64 v[97:98], v94, off
	v_max_f64 v[95:96], v[62:63], v[62:63]
	v_min_f64 v[95:96], v[95:96], v[126:127]
	s_waitcnt vmcnt(0)
	s_delay_alu instid0(VALU_DEP_1)
	v_add_f64 v[95:96], v[95:96], v[97:98]
	v_mov_b32_e32 v98, 0x1d8
	v_mov_b32_e32 v97, 0x1e0
	scratch_store_b64 v94, v[95:96], off
	v_mov_b32_e32 v96, 0x1e8
	v_mov_b32_e32 v95, 0x1f0
	;; [unrolled: 1-line block ×3, first 2 shown]
	s_cbranch_vccnz .LBB193_23
; %bb.24:                               ;   in Loop: Header=BB193_18 Depth=1
	ds_load_2addr_b64 v[0:3], v78 offset0:3 offset1:19
	ds_load_2addr_b64 v[4:7], v78 offset0:35 offset1:51
	;; [unrolled: 1-line block ×12, first 2 shown]
	v_dual_mov_b32 v125, 0 :: v_dual_add_nc_u32 v64, 24, v79
	ds_load_2addr_b64 v[48:51], v93 offset0:131 offset1:147
	ds_load_2addr_b64 v[52:55], v93 offset0:163 offset1:179
	;; [unrolled: 1-line block ×4, first 2 shown]
	ds_load_2addr_stride64_b64 v[64:67], v64 offset1:4
	v_dual_mov_b32 v124, 8 :: v_dual_mov_b32 v123, 16
	v_dual_mov_b32 v122, 24 :: v_dual_mov_b32 v121, 32
	;; [unrolled: 1-line block ×4, first 2 shown]
	v_mov_b32_e32 v116, 0x48
	v_mov_b32_e32 v115, 0x50
	;; [unrolled: 1-line block ×23, first 2 shown]
	s_mov_b64 s[2:3], 0
	s_mov_b32 s13, -1
.LBB193_25:                             ;   Parent Loop BB193_18 Depth=1
                                        ; =>  This Inner Loop Header: Depth=2
	scratch_load_b64 v[130:131], v125, off
	s_cmp_eq_u32 s2, 1
	s_waitcnt lgkmcnt(16)
	v_max_f64 v[128:129], v[0:1], v[0:1]
	s_cselect_b32 vcc_lo, -1, 0
	s_mov_b64 s[2:3], 1
	s_waitcnt lgkmcnt(0)
	v_dual_cndmask_b32 v127, v65, v67 :: v_dual_cndmask_b32 v126, v64, v66
	s_and_b32 vcc_lo, exec_lo, s13
	s_mov_b32 s13, 0
	s_delay_alu instid0(VALU_DEP_1) | instskip(NEXT) | instid1(VALU_DEP_1)
	v_max_f64 v[126:127], v[126:127], v[126:127]
	v_min_f64 v[128:129], v[128:129], v[126:127]
	s_waitcnt vmcnt(0)
	s_delay_alu instid0(VALU_DEP_1) | instskip(SKIP_3) | instid1(VALU_DEP_1)
	v_add_f64 v[128:129], v[130:131], v[128:129]
	scratch_load_b64 v[130:131], v124, off
	scratch_store_b64 v125, v[128:129], off
	v_max_f64 v[128:129], v[2:3], v[2:3]
	v_min_f64 v[128:129], v[128:129], v[126:127]
	s_waitcnt vmcnt(0)
	s_delay_alu instid0(VALU_DEP_1) | instskip(SKIP_3) | instid1(VALU_DEP_1)
	v_add_f64 v[128:129], v[128:129], v[130:131]
	scratch_store_b64 v124, v[128:129], off
	scratch_load_b64 v[128:129], v123, off
	v_max_f64 v[124:125], v[4:5], v[4:5]
	v_min_f64 v[124:125], v[124:125], v[126:127]
	s_waitcnt vmcnt(0)
	s_delay_alu instid0(VALU_DEP_1) | instskip(SKIP_3) | instid1(VALU_DEP_1)
	v_add_f64 v[124:125], v[124:125], v[128:129]
	scratch_load_b64 v[128:129], v122, off
	scratch_store_b64 v123, v[124:125], off
	v_max_f64 v[123:124], v[6:7], v[6:7]
	v_min_f64 v[123:124], v[123:124], v[126:127]
	s_waitcnt vmcnt(0)
	s_delay_alu instid0(VALU_DEP_1) | instskip(SKIP_3) | instid1(VALU_DEP_1)
	v_add_f64 v[123:124], v[123:124], v[128:129]
	scratch_store_b64 v122, v[123:124], off
	scratch_load_b64 v[124:125], v121, off
	v_max_f64 v[122:123], v[8:9], v[8:9]
	v_min_f64 v[122:123], v[122:123], v[126:127]
	s_waitcnt vmcnt(0)
	s_delay_alu instid0(VALU_DEP_1) | instskip(SKIP_4) | instid1(VALU_DEP_1)
	v_add_f64 v[122:123], v[122:123], v[124:125]
	v_mov_b32_e32 v125, 0x100
	scratch_store_b64 v121, v[122:123], off
	scratch_load_b64 v[123:124], v120, off
	v_max_f64 v[121:122], v[10:11], v[10:11]
	v_min_f64 v[121:122], v[121:122], v[126:127]
	s_waitcnt vmcnt(0)
	s_delay_alu instid0(VALU_DEP_1) | instskip(SKIP_4) | instid1(VALU_DEP_1)
	v_add_f64 v[121:122], v[121:122], v[123:124]
	v_mov_b32_e32 v124, 0x108
	;; [unrolled: 8-line block ×27, first 2 shown]
	scratch_store_b64 v95, v[96:97], off
	scratch_load_b64 v[97:98], v94, off
	v_max_f64 v[95:96], v[62:63], v[62:63]
	v_min_f64 v[95:96], v[95:96], v[126:127]
	s_waitcnt vmcnt(0)
	s_delay_alu instid0(VALU_DEP_1)
	v_add_f64 v[95:96], v[95:96], v[97:98]
	v_mov_b32_e32 v98, 0x1d8
	v_mov_b32_e32 v97, 0x1e0
	scratch_store_b64 v94, v[95:96], off
	v_mov_b32_e32 v96, 0x1e8
	v_mov_b32_e32 v95, 0x1f0
	;; [unrolled: 1-line block ×3, first 2 shown]
	s_cbranch_vccnz .LBB193_25
; %bb.26:                               ;   in Loop: Header=BB193_18 Depth=1
	v_dual_mov_b32 v126, 0 :: v_dual_add_nc_u32 v7, s8, v83
	ds_store_2addr_stride64_b64 v86, v[68:69], v[70:71] offset1:4
	ds_store_2addr_stride64_b64 v88, v[72:73], v[74:75] offset1:4
	s_waitcnt lgkmcnt(0)
	s_waitcnt_vscnt null, 0x0
	s_barrier
	v_mad_u64_u32 v[0:1], null, v7, s21, 0
	v_mad_u64_u32 v[2:3], null, v7, s22, 0
	buffer_gl0_inv
	v_dual_mov_b32 v125, 8 :: v_dual_mov_b32 v122, 32
	v_dual_mov_b32 v123, 24 :: v_dual_mov_b32 v120, 48
	;; [unrolled: 1-line block ×3, first 2 shown]
	v_mad_u64_u32 v[4:5], null, v7, s23, v[1:2]
	v_dual_mov_b32 v119, 56 :: v_dual_mov_b32 v116, 0x50
	v_mov_b32_e32 v117, 0x48
	v_add_nc_u32_e32 v94, 0x800, v85
	v_mov_b32_e32 v115, 0x58
	v_mov_b32_e32 v114, 0x60
	v_mad_u64_u32 v[5:6], null, v7, s24, v[3:4]
	v_mov_b32_e32 v1, v4
	v_mov_b32_e32 v113, 0x68
	;; [unrolled: 1-line block ×3, first 2 shown]
	v_dual_mov_b32 v124, 16 :: v_dual_mov_b32 v111, 0x78
	s_delay_alu instid0(VALU_DEP_4) | instskip(SKIP_4) | instid1(VALU_DEP_4)
	v_lshlrev_b64 v[0:1], 3, v[0:1]
	v_dual_mov_b32 v3, v5 :: v_dual_mov_b32 v110, 0x80
	v_mov_b32_e32 v109, 0x88
	v_mov_b32_e32 v108, 0x90
	;; [unrolled: 1-line block ×3, first 2 shown]
	v_lshlrev_b64 v[2:3], 3, v[2:3]
	v_add_co_u32 v0, vcc_lo, v89, v0
	v_add_co_ci_u32_e32 v1, vcc_lo, v90, v1, vcc_lo
	v_mov_b32_e32 v106, 0xa0
	s_delay_alu instid0(VALU_DEP_4)
	v_add_co_u32 v2, vcc_lo, v91, v2
	v_add_co_ci_u32_e32 v3, vcc_lo, v92, v3, vcc_lo
	s_clause 0x1
	flat_load_b64 v[68:69], v[0:1]
	flat_load_b64 v[70:71], v[0:1] offset:512
	s_clause 0x1
	flat_load_b64 v[72:73], v[2:3]
	flat_load_b64 v[74:75], v[2:3] offset:512
	ds_load_2addr_b64 v[0:3], v85 offset1:16
	ds_load_2addr_b64 v[4:7], v85 offset0:32 offset1:48
	ds_load_2addr_b64 v[8:11], v85 offset0:64 offset1:80
	;; [unrolled: 1-line block ×7, first 2 shown]
	ds_load_2addr_b64 v[32:35], v94 offset1:16
	ds_load_2addr_b64 v[36:39], v94 offset0:32 offset1:48
	ds_load_2addr_b64 v[40:43], v94 offset0:64 offset1:80
	;; [unrolled: 1-line block ×7, first 2 shown]
	ds_load_2addr_stride64_b64 v[64:67], v87 offset1:4
	v_mov_b32_e32 v105, 0xa8
	v_mov_b32_e32 v104, 0xb0
	v_mov_b32_e32 v103, 0xb8
	v_mov_b32_e32 v102, 0xc0
	v_mov_b32_e32 v101, 0xc8
	v_mov_b32_e32 v100, 0xd0
	v_mov_b32_e32 v99, 0xd8
	v_mov_b32_e32 v98, 0xe0
	v_mov_b32_e32 v97, 0xe8
	v_mov_b32_e32 v96, 0xf0
	v_mov_b32_e32 v95, 0xf8
	s_mov_b64 s[2:3], 0
	s_mov_b32 s13, -1
.LBB193_27:                             ;   Parent Loop BB193_18 Depth=1
                                        ; =>  This Inner Loop Header: Depth=2
	scratch_load_b64 v[131:132], v126, off
	s_cmp_eq_u32 s2, 1
	s_waitcnt lgkmcnt(16)
	v_max_f64 v[129:130], v[0:1], v[0:1]
	s_cselect_b32 vcc_lo, -1, 0
	s_mov_b64 s[2:3], 1
	s_waitcnt lgkmcnt(0)
	v_dual_cndmask_b32 v128, v65, v67 :: v_dual_cndmask_b32 v127, v64, v66
	s_and_b32 vcc_lo, exec_lo, s13
	s_mov_b32 s13, 0
	s_delay_alu instid0(VALU_DEP_1) | instskip(NEXT) | instid1(VALU_DEP_1)
	v_max_f64 v[127:128], v[127:128], v[127:128]
	v_min_f64 v[129:130], v[129:130], v[127:128]
	s_waitcnt vmcnt(0)
	s_delay_alu instid0(VALU_DEP_1) | instskip(SKIP_3) | instid1(VALU_DEP_1)
	v_add_f64 v[129:130], v[131:132], v[129:130]
	scratch_load_b64 v[131:132], v125, off
	scratch_store_b64 v126, v[129:130], off
	v_max_f64 v[129:130], v[2:3], v[2:3]
	v_min_f64 v[129:130], v[129:130], v[127:128]
	s_waitcnt vmcnt(0)
	s_delay_alu instid0(VALU_DEP_1) | instskip(SKIP_3) | instid1(VALU_DEP_1)
	v_add_f64 v[129:130], v[129:130], v[131:132]
	scratch_store_b64 v125, v[129:130], off
	scratch_load_b64 v[129:130], v124, off
	v_max_f64 v[125:126], v[4:5], v[4:5]
	v_min_f64 v[125:126], v[125:126], v[127:128]
	s_waitcnt vmcnt(0)
	s_delay_alu instid0(VALU_DEP_1) | instskip(SKIP_3) | instid1(VALU_DEP_1)
	v_add_f64 v[125:126], v[125:126], v[129:130]
	scratch_load_b64 v[129:130], v123, off
	scratch_store_b64 v124, v[125:126], off
	v_max_f64 v[124:125], v[6:7], v[6:7]
	v_min_f64 v[124:125], v[124:125], v[127:128]
	s_waitcnt vmcnt(0)
	s_delay_alu instid0(VALU_DEP_1) | instskip(SKIP_3) | instid1(VALU_DEP_1)
	v_add_f64 v[124:125], v[124:125], v[129:130]
	scratch_store_b64 v123, v[124:125], off
	scratch_load_b64 v[125:126], v122, off
	v_max_f64 v[123:124], v[8:9], v[8:9]
	v_min_f64 v[123:124], v[123:124], v[127:128]
	s_waitcnt vmcnt(0)
	s_delay_alu instid0(VALU_DEP_1) | instskip(SKIP_4) | instid1(VALU_DEP_1)
	v_add_f64 v[123:124], v[123:124], v[125:126]
	v_mov_b32_e32 v126, 0x100
	scratch_store_b64 v122, v[123:124], off
	scratch_load_b64 v[124:125], v121, off
	v_max_f64 v[122:123], v[10:11], v[10:11]
	v_min_f64 v[122:123], v[122:123], v[127:128]
	s_waitcnt vmcnt(0)
	s_delay_alu instid0(VALU_DEP_1) | instskip(SKIP_4) | instid1(VALU_DEP_1)
	v_add_f64 v[122:123], v[122:123], v[124:125]
	v_mov_b32_e32 v125, 0x108
	;; [unrolled: 8-line block ×27, first 2 shown]
	scratch_store_b64 v96, v[97:98], off
	scratch_load_b64 v[98:99], v95, off
	v_max_f64 v[96:97], v[62:63], v[62:63]
	v_min_f64 v[96:97], v[96:97], v[127:128]
	s_waitcnt vmcnt(0)
	s_delay_alu instid0(VALU_DEP_1)
	v_add_f64 v[96:97], v[96:97], v[98:99]
	v_mov_b32_e32 v99, 0x1d8
	v_mov_b32_e32 v98, 0x1e0
	scratch_store_b64 v95, v[96:97], off
	v_mov_b32_e32 v97, 0x1e8
	v_mov_b32_e32 v96, 0x1f0
	;; [unrolled: 1-line block ×3, first 2 shown]
	s_cbranch_vccnz .LBB193_27
; %bb.28:                               ;   in Loop: Header=BB193_18 Depth=1
	ds_load_2addr_b64 v[0:3], v85 offset0:1 offset1:17
	ds_load_2addr_b64 v[4:7], v85 offset0:33 offset1:49
	;; [unrolled: 1-line block ×12, first 2 shown]
	v_dual_mov_b32 v125, 8 :: v_dual_add_nc_u32 v64, 8, v87
	ds_load_2addr_b64 v[48:51], v94 offset0:129 offset1:145
	ds_load_2addr_b64 v[52:55], v94 offset0:161 offset1:177
	;; [unrolled: 1-line block ×4, first 2 shown]
	ds_load_2addr_stride64_b64 v[64:67], v64 offset1:4
	v_dual_mov_b32 v126, 0 :: v_dual_mov_b32 v123, 24
	v_dual_mov_b32 v124, 16 :: v_dual_mov_b32 v121, 40
	;; [unrolled: 1-line block ×5, first 2 shown]
	v_mov_b32_e32 v116, 0x50
	v_mov_b32_e32 v114, 0x60
	;; [unrolled: 1-line block ×21, first 2 shown]
	s_mov_b64 s[2:3], 0
	s_mov_b32 s13, -1
.LBB193_29:                             ;   Parent Loop BB193_18 Depth=1
                                        ; =>  This Inner Loop Header: Depth=2
	scratch_load_b64 v[131:132], v126, off
	s_cmp_eq_u32 s2, 1
	s_waitcnt lgkmcnt(16)
	v_max_f64 v[129:130], v[0:1], v[0:1]
	s_cselect_b32 vcc_lo, -1, 0
	s_mov_b64 s[2:3], 1
	s_waitcnt lgkmcnt(0)
	v_dual_cndmask_b32 v128, v65, v67 :: v_dual_cndmask_b32 v127, v64, v66
	s_and_b32 vcc_lo, exec_lo, s13
	s_mov_b32 s13, 0
	s_delay_alu instid0(VALU_DEP_1) | instskip(NEXT) | instid1(VALU_DEP_1)
	v_max_f64 v[127:128], v[127:128], v[127:128]
	v_min_f64 v[129:130], v[129:130], v[127:128]
	s_waitcnt vmcnt(0)
	s_delay_alu instid0(VALU_DEP_1) | instskip(SKIP_3) | instid1(VALU_DEP_1)
	v_add_f64 v[129:130], v[131:132], v[129:130]
	scratch_load_b64 v[131:132], v125, off
	scratch_store_b64 v126, v[129:130], off
	v_max_f64 v[129:130], v[2:3], v[2:3]
	v_min_f64 v[129:130], v[129:130], v[127:128]
	s_waitcnt vmcnt(0)
	s_delay_alu instid0(VALU_DEP_1) | instskip(SKIP_3) | instid1(VALU_DEP_1)
	v_add_f64 v[129:130], v[129:130], v[131:132]
	scratch_store_b64 v125, v[129:130], off
	scratch_load_b64 v[129:130], v124, off
	v_max_f64 v[125:126], v[4:5], v[4:5]
	v_min_f64 v[125:126], v[125:126], v[127:128]
	s_waitcnt vmcnt(0)
	s_delay_alu instid0(VALU_DEP_1) | instskip(SKIP_3) | instid1(VALU_DEP_1)
	v_add_f64 v[125:126], v[125:126], v[129:130]
	scratch_load_b64 v[129:130], v123, off
	scratch_store_b64 v124, v[125:126], off
	v_max_f64 v[124:125], v[6:7], v[6:7]
	v_min_f64 v[124:125], v[124:125], v[127:128]
	s_waitcnt vmcnt(0)
	s_delay_alu instid0(VALU_DEP_1) | instskip(SKIP_3) | instid1(VALU_DEP_1)
	v_add_f64 v[124:125], v[124:125], v[129:130]
	scratch_store_b64 v123, v[124:125], off
	scratch_load_b64 v[125:126], v122, off
	v_max_f64 v[123:124], v[8:9], v[8:9]
	v_min_f64 v[123:124], v[123:124], v[127:128]
	s_waitcnt vmcnt(0)
	s_delay_alu instid0(VALU_DEP_1) | instskip(SKIP_4) | instid1(VALU_DEP_1)
	v_add_f64 v[123:124], v[123:124], v[125:126]
	v_mov_b32_e32 v126, 0x100
	scratch_store_b64 v122, v[123:124], off
	scratch_load_b64 v[124:125], v121, off
	v_max_f64 v[122:123], v[10:11], v[10:11]
	v_min_f64 v[122:123], v[122:123], v[127:128]
	s_waitcnt vmcnt(0)
	s_delay_alu instid0(VALU_DEP_1) | instskip(SKIP_4) | instid1(VALU_DEP_1)
	v_add_f64 v[122:123], v[122:123], v[124:125]
	v_mov_b32_e32 v125, 0x108
	scratch_store_b64 v121, v[122:123], off
	scratch_load_b64 v[123:124], v120, off
	v_max_f64 v[121:122], v[12:13], v[12:13]
	v_min_f64 v[121:122], v[121:122], v[127:128]
	s_waitcnt vmcnt(0)
	s_delay_alu instid0(VALU_DEP_1) | instskip(SKIP_4) | instid1(VALU_DEP_1)
	v_add_f64 v[121:122], v[121:122], v[123:124]
	v_mov_b32_e32 v124, 0x110
	scratch_store_b64 v120, v[121:122], off
	scratch_load_b64 v[122:123], v119, off
	v_max_f64 v[120:121], v[14:15], v[14:15]
	v_min_f64 v[120:121], v[120:121], v[127:128]
	s_waitcnt vmcnt(0)
	s_delay_alu instid0(VALU_DEP_1) | instskip(SKIP_4) | instid1(VALU_DEP_1)
	v_add_f64 v[120:121], v[120:121], v[122:123]
	v_mov_b32_e32 v123, 0x118
	scratch_store_b64 v119, v[120:121], off
	scratch_load_b64 v[121:122], v118, off
	v_max_f64 v[119:120], v[16:17], v[16:17]
	v_min_f64 v[119:120], v[119:120], v[127:128]
	s_waitcnt vmcnt(0)
	s_delay_alu instid0(VALU_DEP_1) | instskip(SKIP_4) | instid1(VALU_DEP_1)
	v_add_f64 v[119:120], v[119:120], v[121:122]
	v_mov_b32_e32 v122, 0x120
	scratch_store_b64 v118, v[119:120], off
	scratch_load_b64 v[120:121], v117, off
	v_max_f64 v[118:119], v[18:19], v[18:19]
	v_min_f64 v[118:119], v[118:119], v[127:128]
	s_waitcnt vmcnt(0)
	s_delay_alu instid0(VALU_DEP_1) | instskip(SKIP_4) | instid1(VALU_DEP_1)
	v_add_f64 v[118:119], v[118:119], v[120:121]
	v_mov_b32_e32 v121, 0x128
	scratch_store_b64 v117, v[118:119], off
	scratch_load_b64 v[119:120], v116, off
	v_max_f64 v[117:118], v[20:21], v[20:21]
	v_min_f64 v[117:118], v[117:118], v[127:128]
	s_waitcnt vmcnt(0)
	s_delay_alu instid0(VALU_DEP_1) | instskip(SKIP_4) | instid1(VALU_DEP_1)
	v_add_f64 v[117:118], v[117:118], v[119:120]
	v_mov_b32_e32 v120, 0x130
	scratch_store_b64 v116, v[117:118], off
	scratch_load_b64 v[118:119], v115, off
	v_max_f64 v[116:117], v[22:23], v[22:23]
	v_min_f64 v[116:117], v[116:117], v[127:128]
	s_waitcnt vmcnt(0)
	s_delay_alu instid0(VALU_DEP_1) | instskip(SKIP_4) | instid1(VALU_DEP_1)
	v_add_f64 v[116:117], v[116:117], v[118:119]
	v_mov_b32_e32 v119, 0x138
	scratch_store_b64 v115, v[116:117], off
	scratch_load_b64 v[117:118], v114, off
	v_max_f64 v[115:116], v[24:25], v[24:25]
	v_min_f64 v[115:116], v[115:116], v[127:128]
	s_waitcnt vmcnt(0)
	s_delay_alu instid0(VALU_DEP_1) | instskip(SKIP_4) | instid1(VALU_DEP_1)
	v_add_f64 v[115:116], v[115:116], v[117:118]
	v_mov_b32_e32 v118, 0x140
	scratch_store_b64 v114, v[115:116], off
	scratch_load_b64 v[116:117], v113, off
	v_max_f64 v[114:115], v[26:27], v[26:27]
	v_min_f64 v[114:115], v[114:115], v[127:128]
	s_waitcnt vmcnt(0)
	s_delay_alu instid0(VALU_DEP_1) | instskip(SKIP_4) | instid1(VALU_DEP_1)
	v_add_f64 v[114:115], v[114:115], v[116:117]
	v_mov_b32_e32 v117, 0x148
	scratch_store_b64 v113, v[114:115], off
	scratch_load_b64 v[115:116], v112, off
	v_max_f64 v[113:114], v[28:29], v[28:29]
	v_min_f64 v[113:114], v[113:114], v[127:128]
	s_waitcnt vmcnt(0)
	s_delay_alu instid0(VALU_DEP_1) | instskip(SKIP_4) | instid1(VALU_DEP_1)
	v_add_f64 v[113:114], v[113:114], v[115:116]
	v_mov_b32_e32 v116, 0x150
	scratch_store_b64 v112, v[113:114], off
	scratch_load_b64 v[114:115], v111, off
	v_max_f64 v[112:113], v[30:31], v[30:31]
	v_min_f64 v[112:113], v[112:113], v[127:128]
	s_waitcnt vmcnt(0)
	s_delay_alu instid0(VALU_DEP_1) | instskip(SKIP_4) | instid1(VALU_DEP_1)
	v_add_f64 v[112:113], v[112:113], v[114:115]
	v_mov_b32_e32 v115, 0x158
	scratch_store_b64 v111, v[112:113], off
	scratch_load_b64 v[113:114], v110, off
	v_max_f64 v[111:112], v[32:33], v[32:33]
	v_min_f64 v[111:112], v[111:112], v[127:128]
	s_waitcnt vmcnt(0)
	s_delay_alu instid0(VALU_DEP_1) | instskip(SKIP_4) | instid1(VALU_DEP_1)
	v_add_f64 v[111:112], v[111:112], v[113:114]
	v_mov_b32_e32 v114, 0x160
	scratch_store_b64 v110, v[111:112], off
	scratch_load_b64 v[112:113], v109, off
	v_max_f64 v[110:111], v[34:35], v[34:35]
	v_min_f64 v[110:111], v[110:111], v[127:128]
	s_waitcnt vmcnt(0)
	s_delay_alu instid0(VALU_DEP_1) | instskip(SKIP_4) | instid1(VALU_DEP_1)
	v_add_f64 v[110:111], v[110:111], v[112:113]
	v_mov_b32_e32 v113, 0x168
	scratch_store_b64 v109, v[110:111], off
	scratch_load_b64 v[111:112], v108, off
	v_max_f64 v[109:110], v[36:37], v[36:37]
	v_min_f64 v[109:110], v[109:110], v[127:128]
	s_waitcnt vmcnt(0)
	s_delay_alu instid0(VALU_DEP_1) | instskip(SKIP_4) | instid1(VALU_DEP_1)
	v_add_f64 v[109:110], v[109:110], v[111:112]
	v_mov_b32_e32 v112, 0x170
	scratch_store_b64 v108, v[109:110], off
	scratch_load_b64 v[110:111], v107, off
	v_max_f64 v[108:109], v[38:39], v[38:39]
	v_min_f64 v[108:109], v[108:109], v[127:128]
	s_waitcnt vmcnt(0)
	s_delay_alu instid0(VALU_DEP_1) | instskip(SKIP_4) | instid1(VALU_DEP_1)
	v_add_f64 v[108:109], v[108:109], v[110:111]
	v_mov_b32_e32 v111, 0x178
	scratch_store_b64 v107, v[108:109], off
	scratch_load_b64 v[109:110], v106, off
	v_max_f64 v[107:108], v[40:41], v[40:41]
	v_min_f64 v[107:108], v[107:108], v[127:128]
	s_waitcnt vmcnt(0)
	s_delay_alu instid0(VALU_DEP_1) | instskip(SKIP_4) | instid1(VALU_DEP_1)
	v_add_f64 v[107:108], v[107:108], v[109:110]
	v_mov_b32_e32 v110, 0x180
	scratch_store_b64 v106, v[107:108], off
	scratch_load_b64 v[108:109], v105, off
	v_max_f64 v[106:107], v[42:43], v[42:43]
	v_min_f64 v[106:107], v[106:107], v[127:128]
	s_waitcnt vmcnt(0)
	s_delay_alu instid0(VALU_DEP_1) | instskip(SKIP_4) | instid1(VALU_DEP_1)
	v_add_f64 v[106:107], v[106:107], v[108:109]
	v_mov_b32_e32 v109, 0x188
	scratch_store_b64 v105, v[106:107], off
	scratch_load_b64 v[107:108], v104, off
	v_max_f64 v[105:106], v[44:45], v[44:45]
	v_min_f64 v[105:106], v[105:106], v[127:128]
	s_waitcnt vmcnt(0)
	s_delay_alu instid0(VALU_DEP_1) | instskip(SKIP_4) | instid1(VALU_DEP_1)
	v_add_f64 v[105:106], v[105:106], v[107:108]
	v_mov_b32_e32 v108, 0x190
	scratch_store_b64 v104, v[105:106], off
	scratch_load_b64 v[106:107], v103, off
	v_max_f64 v[104:105], v[46:47], v[46:47]
	v_min_f64 v[104:105], v[104:105], v[127:128]
	s_waitcnt vmcnt(0)
	s_delay_alu instid0(VALU_DEP_1) | instskip(SKIP_4) | instid1(VALU_DEP_1)
	v_add_f64 v[104:105], v[104:105], v[106:107]
	v_mov_b32_e32 v107, 0x198
	scratch_store_b64 v103, v[104:105], off
	scratch_load_b64 v[105:106], v102, off
	v_max_f64 v[103:104], v[48:49], v[48:49]
	v_min_f64 v[103:104], v[103:104], v[127:128]
	s_waitcnt vmcnt(0)
	s_delay_alu instid0(VALU_DEP_1) | instskip(SKIP_4) | instid1(VALU_DEP_1)
	v_add_f64 v[103:104], v[103:104], v[105:106]
	v_mov_b32_e32 v106, 0x1a0
	scratch_store_b64 v102, v[103:104], off
	scratch_load_b64 v[104:105], v101, off
	v_max_f64 v[102:103], v[50:51], v[50:51]
	v_min_f64 v[102:103], v[102:103], v[127:128]
	s_waitcnt vmcnt(0)
	s_delay_alu instid0(VALU_DEP_1) | instskip(SKIP_4) | instid1(VALU_DEP_1)
	v_add_f64 v[102:103], v[102:103], v[104:105]
	v_mov_b32_e32 v105, 0x1a8
	scratch_store_b64 v101, v[102:103], off
	scratch_load_b64 v[103:104], v100, off
	v_max_f64 v[101:102], v[52:53], v[52:53]
	v_min_f64 v[101:102], v[101:102], v[127:128]
	s_waitcnt vmcnt(0)
	s_delay_alu instid0(VALU_DEP_1) | instskip(SKIP_4) | instid1(VALU_DEP_1)
	v_add_f64 v[101:102], v[101:102], v[103:104]
	v_mov_b32_e32 v104, 0x1b0
	scratch_store_b64 v100, v[101:102], off
	scratch_load_b64 v[102:103], v99, off
	v_max_f64 v[100:101], v[54:55], v[54:55]
	v_min_f64 v[100:101], v[100:101], v[127:128]
	s_waitcnt vmcnt(0)
	s_delay_alu instid0(VALU_DEP_1) | instskip(SKIP_4) | instid1(VALU_DEP_1)
	v_add_f64 v[100:101], v[100:101], v[102:103]
	v_mov_b32_e32 v103, 0x1b8
	scratch_store_b64 v99, v[100:101], off
	scratch_load_b64 v[101:102], v98, off
	v_max_f64 v[99:100], v[56:57], v[56:57]
	v_min_f64 v[99:100], v[99:100], v[127:128]
	s_waitcnt vmcnt(0)
	s_delay_alu instid0(VALU_DEP_1) | instskip(SKIP_4) | instid1(VALU_DEP_1)
	v_add_f64 v[99:100], v[99:100], v[101:102]
	v_mov_b32_e32 v102, 0x1c0
	scratch_store_b64 v98, v[99:100], off
	scratch_load_b64 v[100:101], v97, off
	v_max_f64 v[98:99], v[58:59], v[58:59]
	v_min_f64 v[98:99], v[98:99], v[127:128]
	s_waitcnt vmcnt(0)
	s_delay_alu instid0(VALU_DEP_1) | instskip(SKIP_4) | instid1(VALU_DEP_1)
	v_add_f64 v[98:99], v[98:99], v[100:101]
	v_mov_b32_e32 v101, 0x1c8
	scratch_store_b64 v97, v[98:99], off
	scratch_load_b64 v[99:100], v96, off
	v_max_f64 v[97:98], v[60:61], v[60:61]
	v_min_f64 v[97:98], v[97:98], v[127:128]
	s_waitcnt vmcnt(0)
	s_delay_alu instid0(VALU_DEP_1) | instskip(SKIP_4) | instid1(VALU_DEP_1)
	v_add_f64 v[97:98], v[97:98], v[99:100]
	v_mov_b32_e32 v100, 0x1d0
	scratch_store_b64 v96, v[97:98], off
	scratch_load_b64 v[98:99], v95, off
	v_max_f64 v[96:97], v[62:63], v[62:63]
	v_min_f64 v[96:97], v[96:97], v[127:128]
	s_waitcnt vmcnt(0)
	s_delay_alu instid0(VALU_DEP_1)
	v_add_f64 v[96:97], v[96:97], v[98:99]
	v_mov_b32_e32 v99, 0x1d8
	v_mov_b32_e32 v98, 0x1e0
	scratch_store_b64 v95, v[96:97], off
	v_mov_b32_e32 v97, 0x1e8
	v_mov_b32_e32 v96, 0x1f0
	;; [unrolled: 1-line block ×3, first 2 shown]
	s_cbranch_vccnz .LBB193_29
; %bb.30:                               ;   in Loop: Header=BB193_18 Depth=1
	ds_load_2addr_b64 v[0:3], v85 offset0:2 offset1:18
	ds_load_2addr_b64 v[4:7], v85 offset0:34 offset1:50
	;; [unrolled: 1-line block ×12, first 2 shown]
	v_dual_mov_b32 v125, 8 :: v_dual_add_nc_u32 v64, 16, v87
	ds_load_2addr_b64 v[48:51], v94 offset0:130 offset1:146
	ds_load_2addr_b64 v[52:55], v94 offset0:162 offset1:178
	;; [unrolled: 1-line block ×4, first 2 shown]
	ds_load_2addr_stride64_b64 v[64:67], v64 offset1:4
	v_dual_mov_b32 v126, 0 :: v_dual_mov_b32 v123, 24
	v_dual_mov_b32 v124, 16 :: v_dual_mov_b32 v121, 40
	;; [unrolled: 1-line block ×5, first 2 shown]
	v_mov_b32_e32 v116, 0x50
	v_mov_b32_e32 v114, 0x60
	;; [unrolled: 1-line block ×21, first 2 shown]
	s_mov_b64 s[2:3], 0
	s_mov_b32 s13, -1
.LBB193_31:                             ;   Parent Loop BB193_18 Depth=1
                                        ; =>  This Inner Loop Header: Depth=2
	scratch_load_b64 v[131:132], v126, off
	s_cmp_eq_u32 s2, 1
	s_waitcnt lgkmcnt(16)
	v_max_f64 v[129:130], v[0:1], v[0:1]
	s_cselect_b32 vcc_lo, -1, 0
	s_mov_b64 s[2:3], 1
	s_waitcnt lgkmcnt(0)
	v_dual_cndmask_b32 v128, v65, v67 :: v_dual_cndmask_b32 v127, v64, v66
	s_and_b32 vcc_lo, exec_lo, s13
	s_mov_b32 s13, 0
	s_delay_alu instid0(VALU_DEP_1) | instskip(NEXT) | instid1(VALU_DEP_1)
	v_max_f64 v[127:128], v[127:128], v[127:128]
	v_min_f64 v[129:130], v[129:130], v[127:128]
	s_waitcnt vmcnt(0)
	s_delay_alu instid0(VALU_DEP_1) | instskip(SKIP_3) | instid1(VALU_DEP_1)
	v_add_f64 v[129:130], v[131:132], v[129:130]
	scratch_load_b64 v[131:132], v125, off
	scratch_store_b64 v126, v[129:130], off
	v_max_f64 v[129:130], v[2:3], v[2:3]
	v_min_f64 v[129:130], v[129:130], v[127:128]
	s_waitcnt vmcnt(0)
	s_delay_alu instid0(VALU_DEP_1) | instskip(SKIP_3) | instid1(VALU_DEP_1)
	v_add_f64 v[129:130], v[129:130], v[131:132]
	scratch_store_b64 v125, v[129:130], off
	scratch_load_b64 v[129:130], v124, off
	v_max_f64 v[125:126], v[4:5], v[4:5]
	v_min_f64 v[125:126], v[125:126], v[127:128]
	s_waitcnt vmcnt(0)
	s_delay_alu instid0(VALU_DEP_1) | instskip(SKIP_3) | instid1(VALU_DEP_1)
	v_add_f64 v[125:126], v[125:126], v[129:130]
	scratch_load_b64 v[129:130], v123, off
	scratch_store_b64 v124, v[125:126], off
	v_max_f64 v[124:125], v[6:7], v[6:7]
	v_min_f64 v[124:125], v[124:125], v[127:128]
	s_waitcnt vmcnt(0)
	s_delay_alu instid0(VALU_DEP_1) | instskip(SKIP_3) | instid1(VALU_DEP_1)
	v_add_f64 v[124:125], v[124:125], v[129:130]
	scratch_store_b64 v123, v[124:125], off
	scratch_load_b64 v[125:126], v122, off
	v_max_f64 v[123:124], v[8:9], v[8:9]
	v_min_f64 v[123:124], v[123:124], v[127:128]
	s_waitcnt vmcnt(0)
	s_delay_alu instid0(VALU_DEP_1) | instskip(SKIP_4) | instid1(VALU_DEP_1)
	v_add_f64 v[123:124], v[123:124], v[125:126]
	v_mov_b32_e32 v126, 0x100
	scratch_store_b64 v122, v[123:124], off
	scratch_load_b64 v[124:125], v121, off
	v_max_f64 v[122:123], v[10:11], v[10:11]
	v_min_f64 v[122:123], v[122:123], v[127:128]
	s_waitcnt vmcnt(0)
	s_delay_alu instid0(VALU_DEP_1) | instskip(SKIP_4) | instid1(VALU_DEP_1)
	v_add_f64 v[122:123], v[122:123], v[124:125]
	v_mov_b32_e32 v125, 0x108
	;; [unrolled: 8-line block ×27, first 2 shown]
	scratch_store_b64 v96, v[97:98], off
	scratch_load_b64 v[98:99], v95, off
	v_max_f64 v[96:97], v[62:63], v[62:63]
	v_min_f64 v[96:97], v[96:97], v[127:128]
	s_waitcnt vmcnt(0)
	s_delay_alu instid0(VALU_DEP_1)
	v_add_f64 v[96:97], v[96:97], v[98:99]
	v_mov_b32_e32 v99, 0x1d8
	v_mov_b32_e32 v98, 0x1e0
	scratch_store_b64 v95, v[96:97], off
	v_mov_b32_e32 v97, 0x1e8
	v_mov_b32_e32 v96, 0x1f0
	;; [unrolled: 1-line block ×3, first 2 shown]
	s_cbranch_vccnz .LBB193_31
; %bb.32:                               ;   in Loop: Header=BB193_18 Depth=1
	ds_load_2addr_b64 v[0:3], v85 offset0:3 offset1:19
	ds_load_2addr_b64 v[4:7], v85 offset0:35 offset1:51
	;; [unrolled: 1-line block ×12, first 2 shown]
	v_dual_mov_b32 v125, 0 :: v_dual_add_nc_u32 v64, 24, v87
	ds_load_2addr_b64 v[48:51], v94 offset0:131 offset1:147
	ds_load_2addr_b64 v[52:55], v94 offset0:163 offset1:179
	;; [unrolled: 1-line block ×4, first 2 shown]
	ds_load_2addr_stride64_b64 v[64:67], v64 offset1:4
	v_dual_mov_b32 v124, 8 :: v_dual_mov_b32 v123, 16
	v_dual_mov_b32 v122, 24 :: v_dual_mov_b32 v121, 32
	;; [unrolled: 1-line block ×4, first 2 shown]
	v_mov_b32_e32 v116, 0x48
	v_mov_b32_e32 v115, 0x50
	;; [unrolled: 1-line block ×23, first 2 shown]
	s_mov_b64 s[2:3], 0
	s_mov_b32 s13, -1
.LBB193_33:                             ;   Parent Loop BB193_18 Depth=1
                                        ; =>  This Inner Loop Header: Depth=2
	scratch_load_b64 v[130:131], v125, off
	s_cmp_eq_u32 s2, 1
	s_waitcnt lgkmcnt(16)
	v_max_f64 v[128:129], v[0:1], v[0:1]
	s_cselect_b32 vcc_lo, -1, 0
	s_mov_b64 s[2:3], 1
	s_waitcnt lgkmcnt(0)
	v_dual_cndmask_b32 v127, v65, v67 :: v_dual_cndmask_b32 v126, v64, v66
	s_and_b32 vcc_lo, exec_lo, s13
	s_mov_b32 s13, 0
	s_delay_alu instid0(VALU_DEP_1) | instskip(NEXT) | instid1(VALU_DEP_1)
	v_max_f64 v[126:127], v[126:127], v[126:127]
	v_min_f64 v[128:129], v[128:129], v[126:127]
	s_waitcnt vmcnt(0)
	s_delay_alu instid0(VALU_DEP_1) | instskip(SKIP_3) | instid1(VALU_DEP_1)
	v_add_f64 v[128:129], v[130:131], v[128:129]
	scratch_load_b64 v[130:131], v124, off
	scratch_store_b64 v125, v[128:129], off
	v_max_f64 v[128:129], v[2:3], v[2:3]
	v_min_f64 v[128:129], v[128:129], v[126:127]
	s_waitcnt vmcnt(0)
	s_delay_alu instid0(VALU_DEP_1) | instskip(SKIP_3) | instid1(VALU_DEP_1)
	v_add_f64 v[128:129], v[128:129], v[130:131]
	scratch_store_b64 v124, v[128:129], off
	scratch_load_b64 v[128:129], v123, off
	v_max_f64 v[124:125], v[4:5], v[4:5]
	v_min_f64 v[124:125], v[124:125], v[126:127]
	s_waitcnt vmcnt(0)
	s_delay_alu instid0(VALU_DEP_1) | instskip(SKIP_3) | instid1(VALU_DEP_1)
	v_add_f64 v[124:125], v[124:125], v[128:129]
	scratch_load_b64 v[128:129], v122, off
	scratch_store_b64 v123, v[124:125], off
	v_max_f64 v[123:124], v[6:7], v[6:7]
	v_min_f64 v[123:124], v[123:124], v[126:127]
	s_waitcnt vmcnt(0)
	s_delay_alu instid0(VALU_DEP_1) | instskip(SKIP_3) | instid1(VALU_DEP_1)
	v_add_f64 v[123:124], v[123:124], v[128:129]
	scratch_store_b64 v122, v[123:124], off
	scratch_load_b64 v[124:125], v121, off
	v_max_f64 v[122:123], v[8:9], v[8:9]
	v_min_f64 v[122:123], v[122:123], v[126:127]
	s_waitcnt vmcnt(0)
	s_delay_alu instid0(VALU_DEP_1) | instskip(SKIP_4) | instid1(VALU_DEP_1)
	v_add_f64 v[122:123], v[122:123], v[124:125]
	v_mov_b32_e32 v125, 0x100
	scratch_store_b64 v121, v[122:123], off
	scratch_load_b64 v[123:124], v120, off
	v_max_f64 v[121:122], v[10:11], v[10:11]
	v_min_f64 v[121:122], v[121:122], v[126:127]
	s_waitcnt vmcnt(0)
	s_delay_alu instid0(VALU_DEP_1) | instskip(SKIP_4) | instid1(VALU_DEP_1)
	v_add_f64 v[121:122], v[121:122], v[123:124]
	v_mov_b32_e32 v124, 0x108
	;; [unrolled: 8-line block ×27, first 2 shown]
	scratch_store_b64 v95, v[96:97], off
	scratch_load_b64 v[97:98], v94, off
	v_max_f64 v[95:96], v[62:63], v[62:63]
	v_min_f64 v[95:96], v[95:96], v[126:127]
	s_waitcnt vmcnt(0)
	s_delay_alu instid0(VALU_DEP_1)
	v_add_f64 v[95:96], v[95:96], v[97:98]
	v_mov_b32_e32 v98, 0x1d8
	v_mov_b32_e32 v97, 0x1e0
	scratch_store_b64 v94, v[95:96], off
	v_mov_b32_e32 v96, 0x1e8
	v_mov_b32_e32 v95, 0x1f0
	;; [unrolled: 1-line block ×3, first 2 shown]
	s_cbranch_vccnz .LBB193_33
; %bb.34:                               ;   in Loop: Header=BB193_18 Depth=1
	s_add_i32 s12, s12, 8
	s_add_i32 s8, s8, 8
	s_cmp_ge_i32 s12, s9
	ds_store_2addr_stride64_b64 v76, v[68:69], v[70:71] offset1:4
	ds_store_2addr_stride64_b64 v77, v[72:73], v[74:75] offset1:4
	s_waitcnt lgkmcnt(0)
	s_waitcnt_vscnt null, 0x0
	s_barrier
	buffer_gl0_inv
	s_cbranch_scc0 .LBB193_18
.LBB193_35:
	v_dual_mov_b32 v71, 8 :: v_dual_add_nc_u32 v28, 0x1000, v85
	v_dual_mov_b32 v75, 40 :: v_dual_add_nc_u32 v60, 0x1800, v85
	;; [unrolled: 1-line block ×3, first 2 shown]
	ds_load_2addr_b64 v[0:3], v28 offset1:16
	ds_load_2addr_b64 v[4:7], v28 offset0:32 offset1:48
	ds_load_2addr_b64 v[8:11], v28 offset0:64 offset1:80
	;; [unrolled: 1-line block ×7, first 2 shown]
	ds_load_2addr_b64 v[32:35], v60 offset1:16
	ds_load_2addr_b64 v[36:39], v60 offset0:32 offset1:48
	ds_load_2addr_b64 v[40:43], v60 offset0:64 offset1:80
	ds_load_2addr_b64 v[44:47], v60 offset0:96 offset1:112
	ds_load_2addr_b64 v[48:51], v60 offset0:128 offset1:144
	ds_load_2addr_b64 v[52:55], v60 offset0:160 offset1:176
	ds_load_2addr_b64 v[56:59], v60 offset0:192 offset1:208
	ds_load_2addr_b64 v[60:63], v60 offset0:224 offset1:240
	ds_load_2addr_stride64_b64 v[64:67], v84 offset0:24 offset1:28
	v_dual_mov_b32 v70, 0 :: v_dual_add_nc_u32 v69, 0x3000, v84
	v_dual_mov_b32 v72, 16 :: v_dual_mov_b32 v77, 56
	v_dual_mov_b32 v74, 32 :: v_dual_mov_b32 v79, 0x48
	;; [unrolled: 1-line block ×4, first 2 shown]
	v_mov_b32_e32 v82, 0x50
	v_mov_b32_e32 v84, 0x60
	;; [unrolled: 1-line block ×20, first 2 shown]
	s_mov_b64 s[2:3], 0
	s_mov_b32 s8, -1
.LBB193_36:                             ; =>This Inner Loop Header: Depth=1
	scratch_load_b64 v[104:105], v70, off
	scratch_load_b64 v[106:107], v71, off
	;; [unrolled: 1-line block ×32, first 2 shown]
	s_cmp_eq_u32 s2, 1
	s_waitcnt lgkmcnt(16)
	v_max_f64 v[170:171], v[0:1], v[0:1]
	s_cselect_b32 vcc_lo, -1, 0
	v_max_f64 v[172:173], v[2:3], v[2:3]
	s_waitcnt lgkmcnt(0)
	v_dual_cndmask_b32 v169, v65, v67 :: v_dual_cndmask_b32 v168, v64, v66
	v_max_f64 v[174:175], v[4:5], v[4:5]
	v_max_f64 v[176:177], v[6:7], v[6:7]
	;; [unrolled: 1-line block ×31, first 2 shown]
	s_mov_b64 s[2:3], 1
	s_and_b32 vcc_lo, exec_lo, s8
	s_mov_b32 s8, 0
	v_min_f64 v[170:171], v[170:171], v[168:169]
	v_min_f64 v[172:173], v[172:173], v[168:169]
	;; [unrolled: 1-line block ×32, first 2 shown]
	s_waitcnt vmcnt(31)
	v_add_f64 v[104:105], v[104:105], v[170:171]
	s_waitcnt vmcnt(30)
	v_add_f64 v[106:107], v[172:173], v[106:107]
	;; [unrolled: 2-line block ×32, first 2 shown]
	scratch_store_b64 v70, v[104:105], off
	scratch_store_b64 v71, v[106:107], off
	scratch_store_b64 v72, v[108:109], off
	scratch_store_b64 v73, v[110:111], off
	scratch_store_b64 v74, v[112:113], off
	scratch_store_b64 v75, v[114:115], off
	scratch_store_b64 v76, v[116:117], off
	scratch_store_b64 v77, v[118:119], off
	scratch_store_b64 v78, v[120:121], off
	scratch_store_b64 v79, v[122:123], off
	scratch_store_b64 v82, v[124:125], off
	scratch_store_b64 v83, v[126:127], off
	scratch_store_b64 v84, v[128:129], off
	scratch_store_b64 v85, v[130:131], off
	scratch_store_b64 v86, v[132:133], off
	scratch_store_b64 v87, v[134:135], off
	scratch_store_b64 v88, v[136:137], off
	scratch_store_b64 v89, v[138:139], off
	scratch_store_b64 v90, v[140:141], off
	scratch_store_b64 v91, v[142:143], off
	scratch_store_b64 v92, v[144:145], off
	scratch_store_b64 v93, v[146:147], off
	scratch_store_b64 v94, v[148:149], off
	scratch_store_b64 v95, v[150:151], off
	scratch_store_b64 v96, v[152:153], off
	scratch_store_b64 v97, v[154:155], off
	scratch_store_b64 v98, v[156:157], off
	scratch_store_b64 v99, v[158:159], off
	scratch_store_b64 v100, v[160:161], off
	scratch_store_b64 v101, v[162:163], off
	scratch_store_b64 v102, v[164:165], off
	scratch_store_b64 v103, v[166:167], off
	v_mov_b32_e32 v70, 0x100
	v_mov_b32_e32 v71, 0x108
	;; [unrolled: 1-line block ×32, first 2 shown]
	s_cbranch_vccnz .LBB193_36
; %bb.37:
	v_dual_mov_b32 v71, 8 :: v_dual_add_nc_u32 v60, 0x800, v68
	ds_load_2addr_b64 v[0:3], v68 offset0:1 offset1:17
	ds_load_2addr_b64 v[4:7], v68 offset0:33 offset1:49
	;; [unrolled: 1-line block ×12, first 2 shown]
	v_dual_mov_b32 v73, 24 :: v_dual_add_nc_u32 v64, 8, v69
	ds_load_2addr_b64 v[48:51], v60 offset0:129 offset1:145
	ds_load_2addr_b64 v[52:55], v60 offset0:161 offset1:177
	;; [unrolled: 1-line block ×4, first 2 shown]
	ds_load_2addr_stride64_b64 v[64:67], v64 offset1:4
	v_dual_mov_b32 v70, 0 :: v_dual_mov_b32 v75, 40
	v_dual_mov_b32 v72, 16 :: v_dual_mov_b32 v77, 56
	;; [unrolled: 1-line block ×5, first 2 shown]
	v_mov_b32_e32 v82, 0x50
	v_mov_b32_e32 v84, 0x60
	;; [unrolled: 1-line block ×20, first 2 shown]
	s_mov_b64 s[2:3], 0
	s_mov_b32 s8, -1
.LBB193_38:                             ; =>This Inner Loop Header: Depth=1
	scratch_load_b64 v[104:105], v70, off
	scratch_load_b64 v[106:107], v71, off
	;; [unrolled: 1-line block ×32, first 2 shown]
	s_cmp_eq_u32 s2, 1
	s_waitcnt lgkmcnt(16)
	v_max_f64 v[170:171], v[0:1], v[0:1]
	s_cselect_b32 vcc_lo, -1, 0
	v_max_f64 v[172:173], v[2:3], v[2:3]
	s_waitcnt lgkmcnt(0)
	v_dual_cndmask_b32 v169, v65, v67 :: v_dual_cndmask_b32 v168, v64, v66
	v_max_f64 v[174:175], v[4:5], v[4:5]
	v_max_f64 v[176:177], v[6:7], v[6:7]
	;; [unrolled: 1-line block ×31, first 2 shown]
	s_mov_b64 s[2:3], 1
	s_and_b32 vcc_lo, exec_lo, s8
	s_mov_b32 s8, 0
	v_min_f64 v[170:171], v[170:171], v[168:169]
	v_min_f64 v[172:173], v[172:173], v[168:169]
	;; [unrolled: 1-line block ×32, first 2 shown]
	s_waitcnt vmcnt(31)
	v_add_f64 v[104:105], v[104:105], v[170:171]
	s_waitcnt vmcnt(30)
	v_add_f64 v[106:107], v[172:173], v[106:107]
	;; [unrolled: 2-line block ×32, first 2 shown]
	scratch_store_b64 v70, v[104:105], off
	scratch_store_b64 v71, v[106:107], off
	;; [unrolled: 1-line block ×32, first 2 shown]
	v_mov_b32_e32 v70, 0x100
	v_mov_b32_e32 v71, 0x108
	;; [unrolled: 1-line block ×32, first 2 shown]
	s_cbranch_vccnz .LBB193_38
; %bb.39:
	v_dual_mov_b32 v71, 8 :: v_dual_add_nc_u32 v60, 0x800, v68
	ds_load_2addr_b64 v[0:3], v68 offset0:2 offset1:18
	ds_load_2addr_b64 v[4:7], v68 offset0:34 offset1:50
	;; [unrolled: 1-line block ×12, first 2 shown]
	v_dual_mov_b32 v73, 24 :: v_dual_add_nc_u32 v64, 16, v69
	ds_load_2addr_b64 v[48:51], v60 offset0:130 offset1:146
	ds_load_2addr_b64 v[52:55], v60 offset0:162 offset1:178
	;; [unrolled: 1-line block ×4, first 2 shown]
	ds_load_2addr_stride64_b64 v[64:67], v64 offset1:4
	v_dual_mov_b32 v70, 0 :: v_dual_mov_b32 v75, 40
	v_dual_mov_b32 v72, 16 :: v_dual_mov_b32 v77, 56
	;; [unrolled: 1-line block ×5, first 2 shown]
	v_mov_b32_e32 v82, 0x50
	v_mov_b32_e32 v84, 0x60
	;; [unrolled: 1-line block ×20, first 2 shown]
	s_mov_b64 s[2:3], 0
	s_mov_b32 s8, -1
.LBB193_40:                             ; =>This Inner Loop Header: Depth=1
	scratch_load_b64 v[104:105], v70, off
	scratch_load_b64 v[106:107], v71, off
	;; [unrolled: 1-line block ×32, first 2 shown]
	s_cmp_eq_u32 s2, 1
	s_waitcnt lgkmcnt(16)
	v_max_f64 v[170:171], v[0:1], v[0:1]
	s_cselect_b32 vcc_lo, -1, 0
	v_max_f64 v[172:173], v[2:3], v[2:3]
	s_waitcnt lgkmcnt(0)
	v_dual_cndmask_b32 v169, v65, v67 :: v_dual_cndmask_b32 v168, v64, v66
	v_max_f64 v[174:175], v[4:5], v[4:5]
	v_max_f64 v[176:177], v[6:7], v[6:7]
	;; [unrolled: 1-line block ×31, first 2 shown]
	s_mov_b64 s[2:3], 1
	s_and_b32 vcc_lo, exec_lo, s8
	s_mov_b32 s8, 0
	v_min_f64 v[170:171], v[170:171], v[168:169]
	v_min_f64 v[172:173], v[172:173], v[168:169]
	;; [unrolled: 1-line block ×32, first 2 shown]
	s_waitcnt vmcnt(31)
	v_add_f64 v[104:105], v[104:105], v[170:171]
	s_waitcnt vmcnt(30)
	v_add_f64 v[106:107], v[172:173], v[106:107]
	s_waitcnt vmcnt(29)
	v_add_f64 v[108:109], v[174:175], v[108:109]
	s_waitcnt vmcnt(28)
	v_add_f64 v[110:111], v[176:177], v[110:111]
	s_waitcnt vmcnt(27)
	v_add_f64 v[112:113], v[178:179], v[112:113]
	s_waitcnt vmcnt(26)
	v_add_f64 v[114:115], v[180:181], v[114:115]
	s_waitcnt vmcnt(25)
	v_add_f64 v[116:117], v[182:183], v[116:117]
	s_waitcnt vmcnt(24)
	v_add_f64 v[118:119], v[184:185], v[118:119]
	s_waitcnt vmcnt(23)
	v_add_f64 v[120:121], v[186:187], v[120:121]
	s_waitcnt vmcnt(22)
	v_add_f64 v[122:123], v[188:189], v[122:123]
	s_waitcnt vmcnt(21)
	v_add_f64 v[124:125], v[190:191], v[124:125]
	s_waitcnt vmcnt(20)
	v_add_f64 v[126:127], v[192:193], v[126:127]
	s_waitcnt vmcnt(19)
	v_add_f64 v[128:129], v[194:195], v[128:129]
	s_waitcnt vmcnt(18)
	v_add_f64 v[130:131], v[196:197], v[130:131]
	s_waitcnt vmcnt(17)
	v_add_f64 v[132:133], v[198:199], v[132:133]
	s_waitcnt vmcnt(16)
	v_add_f64 v[134:135], v[200:201], v[134:135]
	s_waitcnt vmcnt(15)
	v_add_f64 v[136:137], v[202:203], v[136:137]
	s_waitcnt vmcnt(14)
	v_add_f64 v[138:139], v[204:205], v[138:139]
	s_waitcnt vmcnt(13)
	v_add_f64 v[140:141], v[206:207], v[140:141]
	s_waitcnt vmcnt(12)
	v_add_f64 v[142:143], v[208:209], v[142:143]
	s_waitcnt vmcnt(11)
	v_add_f64 v[144:145], v[210:211], v[144:145]
	s_waitcnt vmcnt(10)
	v_add_f64 v[146:147], v[212:213], v[146:147]
	s_waitcnt vmcnt(9)
	v_add_f64 v[148:149], v[214:215], v[148:149]
	s_waitcnt vmcnt(8)
	v_add_f64 v[150:151], v[216:217], v[150:151]
	s_waitcnt vmcnt(7)
	v_add_f64 v[152:153], v[218:219], v[152:153]
	s_waitcnt vmcnt(6)
	v_add_f64 v[154:155], v[220:221], v[154:155]
	s_waitcnt vmcnt(5)
	v_add_f64 v[156:157], v[222:223], v[156:157]
	s_waitcnt vmcnt(4)
	v_add_f64 v[158:159], v[224:225], v[158:159]
	s_waitcnt vmcnt(3)
	v_add_f64 v[160:161], v[226:227], v[160:161]
	s_waitcnt vmcnt(2)
	v_add_f64 v[162:163], v[228:229], v[162:163]
	s_waitcnt vmcnt(1)
	v_add_f64 v[164:165], v[230:231], v[164:165]
	s_waitcnt vmcnt(0)
	v_add_f64 v[166:167], v[168:169], v[166:167]
	scratch_store_b64 v70, v[104:105], off
	scratch_store_b64 v71, v[106:107], off
	;; [unrolled: 1-line block ×32, first 2 shown]
	v_mov_b32_e32 v70, 0x100
	v_mov_b32_e32 v71, 0x108
	;; [unrolled: 1-line block ×32, first 2 shown]
	s_cbranch_vccnz .LBB193_40
; %bb.41:
	v_add_nc_u32_e32 v60, 0x800, v68
	ds_load_2addr_b64 v[0:3], v68 offset0:3 offset1:19
	ds_load_2addr_b64 v[4:7], v68 offset0:35 offset1:51
	;; [unrolled: 1-line block ×4, first 2 shown]
	v_dual_mov_b32 v71, 24 :: v_dual_add_nc_u32 v64, 24, v69
	v_mov_b32_e32 v69, 8
	ds_load_2addr_b64 v[16:19], v68 offset0:131 offset1:147
	ds_load_2addr_b64 v[20:23], v68 offset0:163 offset1:179
	;; [unrolled: 1-line block ×12, first 2 shown]
	ds_load_2addr_stride64_b64 v[64:67], v64 offset1:4
	v_dual_mov_b32 v68, 0 :: v_dual_mov_b32 v73, 40
	v_dual_mov_b32 v70, 16 :: v_dual_mov_b32 v75, 56
	;; [unrolled: 1-line block ×5, first 2 shown]
	v_mov_b32_e32 v78, 0x50
	v_mov_b32_e32 v82, 0x60
	;; [unrolled: 1-line block ×20, first 2 shown]
	s_mov_b64 s[2:3], 0
	s_mov_b32 s8, -1
.LBB193_42:                             ; =>This Inner Loop Header: Depth=1
	scratch_load_b64 v[102:103], v68, off
	scratch_load_b64 v[104:105], v69, off
	;; [unrolled: 1-line block ×32, first 2 shown]
	s_cmp_eq_u32 s2, 1
	s_waitcnt lgkmcnt(16)
	v_max_f64 v[168:169], v[0:1], v[0:1]
	s_cselect_b32 vcc_lo, -1, 0
	v_max_f64 v[170:171], v[2:3], v[2:3]
	s_waitcnt lgkmcnt(0)
	v_dual_cndmask_b32 v167, v65, v67 :: v_dual_cndmask_b32 v166, v64, v66
	v_max_f64 v[172:173], v[4:5], v[4:5]
	v_max_f64 v[174:175], v[6:7], v[6:7]
	;; [unrolled: 1-line block ×31, first 2 shown]
	s_mov_b64 s[2:3], 1
	s_and_b32 vcc_lo, exec_lo, s8
	s_mov_b32 s8, 0
	v_min_f64 v[168:169], v[168:169], v[166:167]
	v_min_f64 v[170:171], v[170:171], v[166:167]
	;; [unrolled: 1-line block ×32, first 2 shown]
	s_waitcnt vmcnt(31)
	v_add_f64 v[102:103], v[102:103], v[168:169]
	s_waitcnt vmcnt(30)
	v_add_f64 v[104:105], v[170:171], v[104:105]
	s_waitcnt vmcnt(29)
	v_add_f64 v[106:107], v[172:173], v[106:107]
	s_waitcnt vmcnt(28)
	v_add_f64 v[108:109], v[174:175], v[108:109]
	s_waitcnt vmcnt(27)
	v_add_f64 v[110:111], v[176:177], v[110:111]
	s_waitcnt vmcnt(26)
	v_add_f64 v[112:113], v[178:179], v[112:113]
	s_waitcnt vmcnt(25)
	v_add_f64 v[114:115], v[180:181], v[114:115]
	s_waitcnt vmcnt(24)
	v_add_f64 v[116:117], v[182:183], v[116:117]
	s_waitcnt vmcnt(23)
	v_add_f64 v[118:119], v[184:185], v[118:119]
	s_waitcnt vmcnt(22)
	v_add_f64 v[120:121], v[186:187], v[120:121]
	s_waitcnt vmcnt(21)
	v_add_f64 v[122:123], v[188:189], v[122:123]
	s_waitcnt vmcnt(20)
	v_add_f64 v[124:125], v[190:191], v[124:125]
	s_waitcnt vmcnt(19)
	v_add_f64 v[126:127], v[192:193], v[126:127]
	s_waitcnt vmcnt(18)
	v_add_f64 v[128:129], v[194:195], v[128:129]
	s_waitcnt vmcnt(17)
	v_add_f64 v[130:131], v[196:197], v[130:131]
	s_waitcnt vmcnt(16)
	v_add_f64 v[132:133], v[198:199], v[132:133]
	s_waitcnt vmcnt(15)
	v_add_f64 v[134:135], v[200:201], v[134:135]
	s_waitcnt vmcnt(14)
	v_add_f64 v[136:137], v[202:203], v[136:137]
	s_waitcnt vmcnt(13)
	v_add_f64 v[138:139], v[204:205], v[138:139]
	s_waitcnt vmcnt(12)
	v_add_f64 v[140:141], v[206:207], v[140:141]
	s_waitcnt vmcnt(11)
	v_add_f64 v[142:143], v[208:209], v[142:143]
	s_waitcnt vmcnt(10)
	v_add_f64 v[144:145], v[210:211], v[144:145]
	s_waitcnt vmcnt(9)
	v_add_f64 v[146:147], v[212:213], v[146:147]
	s_waitcnt vmcnt(8)
	v_add_f64 v[148:149], v[214:215], v[148:149]
	s_waitcnt vmcnt(7)
	v_add_f64 v[150:151], v[216:217], v[150:151]
	s_waitcnt vmcnt(6)
	v_add_f64 v[152:153], v[218:219], v[152:153]
	s_waitcnt vmcnt(5)
	v_add_f64 v[154:155], v[220:221], v[154:155]
	s_waitcnt vmcnt(4)
	v_add_f64 v[156:157], v[222:223], v[156:157]
	s_waitcnt vmcnt(3)
	v_add_f64 v[158:159], v[224:225], v[158:159]
	s_waitcnt vmcnt(2)
	v_add_f64 v[160:161], v[226:227], v[160:161]
	s_waitcnt vmcnt(1)
	v_add_f64 v[162:163], v[228:229], v[162:163]
	s_waitcnt vmcnt(0)
	v_add_f64 v[164:165], v[166:167], v[164:165]
	scratch_store_b64 v68, v[102:103], off
	scratch_store_b64 v69, v[104:105], off
	;; [unrolled: 1-line block ×32, first 2 shown]
	v_mov_b32_e32 v68, 0x100
	v_mov_b32_e32 v69, 0x108
	;; [unrolled: 1-line block ×32, first 2 shown]
	s_cbranch_vccnz .LBB193_42
; %bb.43:
	scratch_load_b64 v[2:3], off, off
	s_load_b32 s3, s[0:1], 0x58
	v_dual_mov_b32 v4, 0 :: v_dual_add_nc_u32 v71, s18, v81
	v_dual_mov_b32 v5, 0 :: v_dual_add_nc_u32 v12, s14, v80
	v_mov_b32_e32 v8, 0
	v_mov_b32_e32 v9, 0
	s_and_b32 s2, exec_lo, s19
	s_delay_alu instid0(VALU_DEP_3) | instskip(SKIP_2) | instid1(VALU_DEP_1)
	v_ashrrev_i32_e32 v13, 31, v12
	s_waitcnt lgkmcnt(0)
	v_mad_i64_i32 v[0:1], null, v71, s3, 0
	v_lshlrev_b64 v[0:1], 3, v[0:1]
	s_delay_alu instid0(VALU_DEP_1) | instskip(NEXT) | instid1(VALU_DEP_2)
	v_add_co_u32 v72, vcc_lo, s4, v0
	v_add_co_ci_u32_e32 v73, vcc_lo, s5, v1, vcc_lo
	v_lshlrev_b64 v[0:1], 3, v[12:13]
	s_mov_b32 vcc_lo, s2
	s_cbranch_vccz .LBB193_45
; %bb.44:
	s_delay_alu instid0(VALU_DEP_1) | instskip(NEXT) | instid1(VALU_DEP_2)
	v_add_co_u32 v6, vcc_lo, v72, v0
	v_add_co_ci_u32_e32 v7, vcc_lo, v73, v1, vcc_lo
	flat_load_b64 v[6:7], v[6:7]
	s_waitcnt vmcnt(0) lgkmcnt(0)
	v_mul_f64 v[8:9], v[6:7], s[6:7]
.LBB193_45:
	scratch_load_b64 v[6:7], off, off offset:8
	s_clause 0x1
	s_load_b64 s[8:9], s[0:1], 0x78
	s_load_b32 s1, s[0:1], 0x70
	s_waitcnt vmcnt(1)
	v_add_f64 v[8:9], v[2:3], v[8:9]
	v_add_nc_u32_e32 v10, 4, v12
	v_cndmask_b32_e64 v13, 0, 1, s19
	s_delay_alu instid0(VALU_DEP_2) | instskip(SKIP_4) | instid1(SALU_CYCLE_1)
	v_ashrrev_i32_e32 v11, 31, v10
	s_waitcnt lgkmcnt(0)
	s_mul_i32 s0, s15, s9
	v_mad_i64_i32 v[2:3], null, v71, s1, 0
	s_mul_hi_u32 s9, s15, s8
	s_add_i32 s0, s9, s0
	s_mul_i32 s9, s20, s8
	s_mul_i32 s8, s15, s8
	s_add_i32 s9, s0, s9
	s_delay_alu instid0(VALU_DEP_1) | instskip(SKIP_4) | instid1(VALU_DEP_2)
	v_lshlrev_b64 v[2:3], 3, v[2:3]
	s_lshl_b64 s[8:9], s[8:9], 3
	v_cmp_ne_u32_e64 s0, 1, v13
	s_add_u32 s8, s10, s8
	s_addc_u32 s9, s11, s9
	v_add_co_u32 v74, vcc_lo, s8, v2
	v_add_co_ci_u32_e32 v75, vcc_lo, s9, v3, vcc_lo
	v_lshlrev_b64 v[2:3], 3, v[10:11]
	s_delay_alu instid0(VALU_DEP_3) | instskip(NEXT) | instid1(VALU_DEP_3)
	v_add_co_u32 v13, vcc_lo, v74, v0
	v_add_co_ci_u32_e32 v14, vcc_lo, v75, v1, vcc_lo
	s_and_not1_b32 vcc_lo, exec_lo, s19
	global_store_b64 v[13:14], v[8:9], off
	s_cbranch_vccnz .LBB193_47
; %bb.46:
	v_add_co_u32 v4, vcc_lo, v72, v2
	v_add_co_ci_u32_e32 v5, vcc_lo, v73, v3, vcc_lo
	flat_load_b64 v[4:5], v[4:5]
	s_waitcnt vmcnt(0) lgkmcnt(0)
	v_mul_f64 v[4:5], v[4:5], s[6:7]
.LBB193_47:
	scratch_load_b64 v[10:11], off, off offset:16
	s_waitcnt vmcnt(1)
	v_add_f64 v[13:14], v[6:7], v[4:5]
	v_add_nc_u32_e32 v4, 8, v12
	v_mov_b32_e32 v8, 0
	v_mov_b32_e32 v9, 0
	v_add_co_u32 v15, vcc_lo, v74, v2
	s_delay_alu instid0(VALU_DEP_4) | instskip(SKIP_3) | instid1(VALU_DEP_4)
	v_ashrrev_i32_e32 v5, 31, v4
	v_mov_b32_e32 v6, 0
	v_mov_b32_e32 v7, 0
	v_add_co_ci_u32_e32 v16, vcc_lo, v75, v3, vcc_lo
	v_lshlrev_b64 v[4:5], 3, v[4:5]
	s_and_b32 vcc_lo, exec_lo, s0
	global_store_b64 v[15:16], v[13:14], off
	s_cbranch_vccnz .LBB193_49
; %bb.48:
	v_add_co_u32 v6, vcc_lo, v72, v4
	v_add_co_ci_u32_e32 v7, vcc_lo, v73, v5, vcc_lo
	flat_load_b64 v[6:7], v[6:7]
	s_waitcnt vmcnt(0) lgkmcnt(0)
	v_mul_f64 v[6:7], v[6:7], s[6:7]
.LBB193_49:
	scratch_load_b64 v[13:14], off, off offset:24
	s_waitcnt vmcnt(1)
	v_add_f64 v[10:11], v[10:11], v[6:7]
	v_add_nc_u32_e32 v6, 12, v12
	v_add_co_u32 v15, vcc_lo, v74, v4
	v_add_co_ci_u32_e32 v16, vcc_lo, v75, v5, vcc_lo
	s_delay_alu instid0(VALU_DEP_3) | instskip(SKIP_1) | instid1(VALU_DEP_1)
	v_ashrrev_i32_e32 v7, 31, v6
	s_and_b32 vcc_lo, exec_lo, s0
	v_lshlrev_b64 v[6:7], 3, v[6:7]
	global_store_b64 v[15:16], v[10:11], off
	s_cbranch_vccnz .LBB193_51
; %bb.50:
	v_add_co_u32 v8, vcc_lo, v72, v6
	v_add_co_ci_u32_e32 v9, vcc_lo, v73, v7, vcc_lo
	flat_load_b64 v[8:9], v[8:9]
	s_waitcnt vmcnt(0) lgkmcnt(0)
	v_mul_f64 v[8:9], v[8:9], s[6:7]
.LBB193_51:
	scratch_load_b64 v[10:11], off, off offset:32
	s_waitcnt vmcnt(1)
	v_add_f64 v[17:18], v[13:14], v[8:9]
	v_dual_mov_b32 v13, 0 :: v_dual_add_nc_u32 v8, 16, v12
	v_add_co_u32 v19, vcc_lo, v74, v6
	v_dual_mov_b32 v14, 0 :: v_dual_mov_b32 v15, 0
	s_delay_alu instid0(VALU_DEP_3) | instskip(SKIP_3) | instid1(VALU_DEP_3)
	v_ashrrev_i32_e32 v9, 31, v8
	v_add_co_ci_u32_e32 v20, vcc_lo, v75, v7, vcc_lo
	v_mov_b32_e32 v16, 0
	s_and_b32 vcc_lo, exec_lo, s0
	v_lshlrev_b64 v[8:9], 3, v[8:9]
	global_store_b64 v[19:20], v[17:18], off
	s_cbranch_vccnz .LBB193_53
; %bb.52:
	v_add_co_u32 v15, vcc_lo, v72, v8
	v_add_co_ci_u32_e32 v16, vcc_lo, v73, v9, vcc_lo
	flat_load_b64 v[15:16], v[15:16]
	s_waitcnt vmcnt(0) lgkmcnt(0)
	v_mul_f64 v[15:16], v[15:16], s[6:7]
.LBB193_53:
	scratch_load_b64 v[17:18], off, off offset:40
	s_waitcnt vmcnt(1)
	v_add_f64 v[15:16], v[10:11], v[15:16]
	v_add_nc_u32_e32 v10, 20, v12
	v_add_co_u32 v19, vcc_lo, v74, v8
	v_add_co_ci_u32_e32 v20, vcc_lo, v75, v9, vcc_lo
	s_delay_alu instid0(VALU_DEP_3) | instskip(SKIP_1) | instid1(VALU_DEP_1)
	v_ashrrev_i32_e32 v11, 31, v10
	s_and_b32 vcc_lo, exec_lo, s0
	v_lshlrev_b64 v[10:11], 3, v[10:11]
	global_store_b64 v[19:20], v[15:16], off
	s_cbranch_vccnz .LBB193_55
; %bb.54:
	v_add_co_u32 v13, vcc_lo, v72, v10
	v_add_co_ci_u32_e32 v14, vcc_lo, v73, v11, vcc_lo
	flat_load_b64 v[13:14], v[13:14]
	s_waitcnt vmcnt(0) lgkmcnt(0)
	v_mul_f64 v[13:14], v[13:14], s[6:7]
.LBB193_55:
	scratch_load_b64 v[15:16], off, off offset:48
	s_waitcnt vmcnt(1)
	v_add_f64 v[21:22], v[17:18], v[13:14]
	v_add_nc_u32_e32 v13, 24, v12
	v_mov_b32_e32 v17, 0
	v_mov_b32_e32 v18, 0
	v_add_co_u32 v23, vcc_lo, v74, v10
	s_delay_alu instid0(VALU_DEP_4) | instskip(SKIP_3) | instid1(VALU_DEP_4)
	v_ashrrev_i32_e32 v14, 31, v13
	v_mov_b32_e32 v19, 0
	v_mov_b32_e32 v20, 0
	v_add_co_ci_u32_e32 v24, vcc_lo, v75, v11, vcc_lo
	v_lshlrev_b64 v[13:14], 3, v[13:14]
	s_and_b32 vcc_lo, exec_lo, s0
	global_store_b64 v[23:24], v[21:22], off
	s_cbranch_vccnz .LBB193_57
; %bb.56:
	v_add_co_u32 v19, vcc_lo, v72, v13
	v_add_co_ci_u32_e32 v20, vcc_lo, v73, v14, vcc_lo
	flat_load_b64 v[19:20], v[19:20]
	s_waitcnt vmcnt(0) lgkmcnt(0)
	v_mul_f64 v[19:20], v[19:20], s[6:7]
.LBB193_57:
	scratch_load_b64 v[21:22], off, off offset:56
	s_waitcnt vmcnt(1)
	v_add_f64 v[19:20], v[15:16], v[19:20]
	v_add_nc_u32_e32 v15, 28, v12
	v_add_co_u32 v23, vcc_lo, v74, v13
	v_add_co_ci_u32_e32 v24, vcc_lo, v75, v14, vcc_lo
	s_delay_alu instid0(VALU_DEP_3) | instskip(SKIP_1) | instid1(VALU_DEP_1)
	v_ashrrev_i32_e32 v16, 31, v15
	s_and_b32 vcc_lo, exec_lo, s0
	v_lshlrev_b64 v[15:16], 3, v[15:16]
	global_store_b64 v[23:24], v[19:20], off
	s_cbranch_vccnz .LBB193_59
; %bb.58:
	v_add_co_u32 v17, vcc_lo, v72, v15
	v_add_co_ci_u32_e32 v18, vcc_lo, v73, v16, vcc_lo
	flat_load_b64 v[17:18], v[17:18]
	s_waitcnt vmcnt(0) lgkmcnt(0)
	v_mul_f64 v[17:18], v[17:18], s[6:7]
.LBB193_59:
	scratch_load_b64 v[19:20], off, off offset:64
	s_waitcnt vmcnt(1)
	v_add_f64 v[25:26], v[21:22], v[17:18]
	v_add_nc_u32_e32 v17, 32, v12
	v_mov_b32_e32 v21, 0
	v_mov_b32_e32 v22, 0
	v_add_co_u32 v27, vcc_lo, v74, v15
	s_delay_alu instid0(VALU_DEP_4) | instskip(SKIP_3) | instid1(VALU_DEP_4)
	v_ashrrev_i32_e32 v18, 31, v17
	v_mov_b32_e32 v23, 0
	v_mov_b32_e32 v24, 0
	v_add_co_ci_u32_e32 v28, vcc_lo, v75, v16, vcc_lo
	v_lshlrev_b64 v[17:18], 3, v[17:18]
	s_and_b32 vcc_lo, exec_lo, s0
	;; [unrolled: 42-line block ×13, first 2 shown]
	global_store_b64 v[76:77], v[67:68], off
	s_cbranch_vccnz .LBB193_105
; %bb.104:
	v_add_co_u32 v67, vcc_lo, v72, v61
	v_add_co_ci_u32_e32 v68, vcc_lo, v73, v62, vcc_lo
	flat_load_b64 v[67:68], v[67:68]
	s_waitcnt vmcnt(0) lgkmcnt(0)
	v_mul_f64 v[69:70], v[67:68], s[6:7]
.LBB193_105:
	scratch_load_b64 v[67:68], off, off offset:248
	s_waitcnt vmcnt(1)
	v_add_f64 v[69:70], v[63:64], v[69:70]
	v_add_nc_u32_e32 v63, 0x7c, v12
	v_add_co_u32 v76, vcc_lo, v74, v61
	v_add_co_ci_u32_e32 v77, vcc_lo, v75, v62, vcc_lo
	s_delay_alu instid0(VALU_DEP_3) | instskip(SKIP_1) | instid1(VALU_DEP_1)
	v_ashrrev_i32_e32 v64, 31, v63
	s_and_b32 vcc_lo, exec_lo, s0
	v_lshlrev_b64 v[63:64], 3, v[63:64]
	global_store_b64 v[76:77], v[69:70], off
	s_cbranch_vccnz .LBB193_107
; %bb.106:
	v_add_co_u32 v65, vcc_lo, v72, v63
	v_add_co_ci_u32_e32 v66, vcc_lo, v73, v64, vcc_lo
	flat_load_b64 v[65:66], v[65:66]
	s_waitcnt vmcnt(0) lgkmcnt(0)
	v_mul_f64 v[65:66], v[65:66], s[6:7]
.LBB193_107:
	scratch_load_b64 v[69:70], off, off offset:256
	s_waitcnt vmcnt(1)
	v_add_f64 v[67:68], v[67:68], v[65:66]
	v_add_nc_u32_e32 v76, 64, v71
	v_add_co_u32 v74, vcc_lo, v74, v63
	v_add_co_ci_u32_e32 v75, vcc_lo, v75, v64, vcc_lo
	s_delay_alu instid0(VALU_DEP_3) | instskip(SKIP_2) | instid1(VALU_DEP_3)
	v_mad_i64_i32 v[65:66], null, v76, s3, 0
	v_mov_b32_e32 v71, 0
	v_mov_b32_e32 v72, 0
	v_lshlrev_b64 v[77:78], 3, v[65:66]
	v_mov_b32_e32 v65, 0
	v_mov_b32_e32 v66, 0
	s_delay_alu instid0(VALU_DEP_3) | instskip(NEXT) | instid1(VALU_DEP_4)
	v_add_co_u32 v12, vcc_lo, s4, v77
	v_add_co_ci_u32_e32 v73, vcc_lo, s5, v78, vcc_lo
	s_mov_b32 vcc_lo, s2
	global_store_b64 v[74:75], v[67:68], off
	s_cbranch_vccz .LBB193_109
; %bb.108:
	v_add_co_u32 v67, vcc_lo, v12, v0
	v_add_co_ci_u32_e32 v68, vcc_lo, v73, v1, vcc_lo
	flat_load_b64 v[67:68], v[67:68]
	s_waitcnt vmcnt(0) lgkmcnt(0)
	v_mul_f64 v[71:72], v[67:68], s[6:7]
.LBB193_109:
	scratch_load_b64 v[67:68], off, off offset:264
	s_waitcnt vmcnt(1)
	v_add_f64 v[69:70], v[69:70], v[71:72]
	v_mad_i64_i32 v[71:72], null, v76, s1, 0
	s_delay_alu instid0(VALU_DEP_1) | instskip(NEXT) | instid1(VALU_DEP_1)
	v_lshlrev_b64 v[71:72], 3, v[71:72]
	v_add_co_u32 v71, vcc_lo, s8, v71
	s_delay_alu instid0(VALU_DEP_2) | instskip(NEXT) | instid1(VALU_DEP_2)
	v_add_co_ci_u32_e32 v72, vcc_lo, s9, v72, vcc_lo
	v_add_co_u32 v0, vcc_lo, v71, v0
	s_delay_alu instid0(VALU_DEP_2)
	v_add_co_ci_u32_e32 v1, vcc_lo, v72, v1, vcc_lo
	s_and_b32 vcc_lo, exec_lo, s0
	global_store_b64 v[0:1], v[69:70], off
	s_cbranch_vccnz .LBB193_111
; %bb.110:
	v_add_co_u32 v0, vcc_lo, v12, v2
	v_add_co_ci_u32_e32 v1, vcc_lo, v73, v3, vcc_lo
	flat_load_b64 v[0:1], v[0:1]
	s_waitcnt vmcnt(0) lgkmcnt(0)
	v_mul_f64 v[65:66], v[0:1], s[6:7]
.LBB193_111:
	scratch_load_b64 v[69:70], off, off offset:272
	s_waitcnt vmcnt(1)
	v_add_f64 v[65:66], v[67:68], v[65:66]
	v_add_co_u32 v67, vcc_lo, v71, v2
	v_mov_b32_e32 v0, 0
	v_add_co_ci_u32_e32 v68, vcc_lo, v72, v3, vcc_lo
	v_dual_mov_b32 v1, 0 :: v_dual_mov_b32 v2, 0
	v_mov_b32_e32 v3, 0
	s_and_b32 vcc_lo, exec_lo, s0
	global_store_b64 v[67:68], v[65:66], off
	s_cbranch_vccnz .LBB193_113
; %bb.112:
	v_add_co_u32 v2, vcc_lo, v12, v4
	v_add_co_ci_u32_e32 v3, vcc_lo, v73, v5, vcc_lo
	flat_load_b64 v[2:3], v[2:3]
	s_waitcnt vmcnt(0) lgkmcnt(0)
	v_mul_f64 v[2:3], v[2:3], s[6:7]
.LBB193_113:
	scratch_load_b64 v[65:66], off, off offset:280
	s_waitcnt vmcnt(1)
	v_add_f64 v[2:3], v[69:70], v[2:3]
	v_add_co_u32 v4, vcc_lo, v71, v4
	v_add_co_ci_u32_e32 v5, vcc_lo, v72, v5, vcc_lo
	s_and_b32 vcc_lo, exec_lo, s0
	global_store_b64 v[4:5], v[2:3], off
	s_cbranch_vccnz .LBB193_115
; %bb.114:
	v_add_co_u32 v0, vcc_lo, v12, v6
	v_add_co_ci_u32_e32 v1, vcc_lo, v73, v7, vcc_lo
	flat_load_b64 v[0:1], v[0:1]
	s_waitcnt vmcnt(0) lgkmcnt(0)
	v_mul_f64 v[0:1], v[0:1], s[6:7]
.LBB193_115:
	scratch_load_b64 v[2:3], off, off offset:288
	s_waitcnt vmcnt(1)
	v_add_f64 v[4:5], v[65:66], v[0:1]
	v_add_co_u32 v65, vcc_lo, v71, v6
	v_mov_b32_e32 v0, 0
	v_add_co_ci_u32_e32 v66, vcc_lo, v72, v7, vcc_lo
	v_dual_mov_b32 v1, 0 :: v_dual_mov_b32 v6, 0
	v_mov_b32_e32 v7, 0
	s_and_b32 vcc_lo, exec_lo, s0
	global_store_b64 v[65:66], v[4:5], off
	s_cbranch_vccnz .LBB193_117
; %bb.116:
	v_add_co_u32 v4, vcc_lo, v12, v8
	v_add_co_ci_u32_e32 v5, vcc_lo, v73, v9, vcc_lo
	flat_load_b64 v[4:5], v[4:5]
	s_waitcnt vmcnt(0) lgkmcnt(0)
	v_mul_f64 v[6:7], v[4:5], s[6:7]
.LBB193_117:
	scratch_load_b64 v[4:5], off, off offset:296
	s_waitcnt vmcnt(1)
	v_add_f64 v[2:3], v[2:3], v[6:7]
	v_add_co_u32 v6, vcc_lo, v71, v8
	v_add_co_ci_u32_e32 v7, vcc_lo, v72, v9, vcc_lo
	s_and_b32 vcc_lo, exec_lo, s0
	global_store_b64 v[6:7], v[2:3], off
	s_cbranch_vccnz .LBB193_119
; %bb.118:
	v_add_co_u32 v0, vcc_lo, v12, v10
	v_add_co_ci_u32_e32 v1, vcc_lo, v73, v11, vcc_lo
	flat_load_b64 v[0:1], v[0:1]
	s_waitcnt vmcnt(0) lgkmcnt(0)
	v_mul_f64 v[0:1], v[0:1], s[6:7]
.LBB193_119:
	scratch_load_b64 v[2:3], off, off offset:304
	s_waitcnt vmcnt(1)
	v_add_f64 v[4:5], v[4:5], v[0:1]
	v_add_co_u32 v8, vcc_lo, v71, v10
	v_mov_b32_e32 v0, 0
	v_dual_mov_b32 v1, 0 :: v_dual_mov_b32 v6, 0
	v_add_co_ci_u32_e32 v9, vcc_lo, v72, v11, vcc_lo
	v_mov_b32_e32 v7, 0
	s_and_b32 vcc_lo, exec_lo, s0
	global_store_b64 v[8:9], v[4:5], off
	s_cbranch_vccnz .LBB193_121
; %bb.120:
	v_add_co_u32 v4, vcc_lo, v12, v13
	v_add_co_ci_u32_e32 v5, vcc_lo, v73, v14, vcc_lo
	flat_load_b64 v[4:5], v[4:5]
	s_waitcnt vmcnt(0) lgkmcnt(0)
	v_mul_f64 v[6:7], v[4:5], s[6:7]
.LBB193_121:
	scratch_load_b64 v[4:5], off, off offset:312
	s_waitcnt vmcnt(1)
	v_add_f64 v[2:3], v[2:3], v[6:7]
	v_add_co_u32 v6, vcc_lo, v71, v13
	v_add_co_ci_u32_e32 v7, vcc_lo, v72, v14, vcc_lo
	s_and_b32 vcc_lo, exec_lo, s0
	global_store_b64 v[6:7], v[2:3], off
	s_cbranch_vccnz .LBB193_123
; %bb.122:
	v_add_co_u32 v0, vcc_lo, v12, v15
	v_add_co_ci_u32_e32 v1, vcc_lo, v73, v16, vcc_lo
	flat_load_b64 v[0:1], v[0:1]
	s_waitcnt vmcnt(0) lgkmcnt(0)
	v_mul_f64 v[0:1], v[0:1], s[6:7]
.LBB193_123:
	scratch_load_b64 v[2:3], off, off offset:320
	s_waitcnt vmcnt(1)
	v_add_f64 v[4:5], v[4:5], v[0:1]
	v_add_co_u32 v8, vcc_lo, v71, v15
	v_mov_b32_e32 v0, 0
	v_dual_mov_b32 v1, 0 :: v_dual_mov_b32 v6, 0
	v_add_co_ci_u32_e32 v9, vcc_lo, v72, v16, vcc_lo
	;; [unrolled: 33-line block ×13, first 2 shown]
	v_mov_b32_e32 v7, 0
	s_and_b32 vcc_lo, exec_lo, s0
	global_store_b64 v[8:9], v[4:5], off
	s_cbranch_vccnz .LBB193_169
; %bb.168:
	v_add_co_u32 v4, vcc_lo, v12, v61
	v_add_co_ci_u32_e32 v5, vcc_lo, v73, v62, vcc_lo
	flat_load_b64 v[4:5], v[4:5]
	s_waitcnt vmcnt(0) lgkmcnt(0)
	v_mul_f64 v[6:7], v[4:5], s[6:7]
.LBB193_169:
	scratch_load_b64 v[4:5], off, off offset:504
	s_waitcnt vmcnt(1)
	v_add_f64 v[2:3], v[2:3], v[6:7]
	v_add_co_u32 v6, vcc_lo, v71, v61
	v_add_co_ci_u32_e32 v7, vcc_lo, v72, v62, vcc_lo
	s_and_b32 vcc_lo, exec_lo, s0
	global_store_b64 v[6:7], v[2:3], off
	s_cbranch_vccnz .LBB193_171
; %bb.170:
	v_add_co_u32 v0, vcc_lo, v12, v63
	v_add_co_ci_u32_e32 v1, vcc_lo, v73, v64, vcc_lo
	flat_load_b64 v[0:1], v[0:1]
	s_waitcnt vmcnt(0) lgkmcnt(0)
	v_mul_f64 v[0:1], v[0:1], s[6:7]
.LBB193_171:
	s_waitcnt vmcnt(0)
	s_delay_alu instid0(VALU_DEP_1)
	v_add_f64 v[0:1], v[4:5], v[0:1]
	v_add_co_u32 v2, vcc_lo, v71, v63
	v_add_co_ci_u32_e32 v3, vcc_lo, v72, v64, vcc_lo
	global_store_b64 v[2:3], v[0:1], off
	s_endpgm
	.section	.rodata,"a",@progbits
	.p2align	6, 0x0
	.amdhsa_kernel _ZN12_GLOBAL__N_120geam_min_plus_kernelIdddLi4ELi64ELi128ELi128ELi4ELi64ELi4ELi64ELi4ELc78ELc84ELb1ELb0ELb0EdKddEEviiiT16_PT17_ilS4_ilS2_S4_ilPT18_ili26rocblas_geam_ex_operation_
		.amdhsa_group_segment_fixed_size 16384
		.amdhsa_private_segment_fixed_size 528
		.amdhsa_kernarg_size 136
		.amdhsa_user_sgpr_count 14
		.amdhsa_user_sgpr_dispatch_ptr 0
		.amdhsa_user_sgpr_queue_ptr 0
		.amdhsa_user_sgpr_kernarg_segment_ptr 1
		.amdhsa_user_sgpr_dispatch_id 0
		.amdhsa_user_sgpr_private_segment_size 0
		.amdhsa_wavefront_size32 1
		.amdhsa_uses_dynamic_stack 0
		.amdhsa_enable_private_segment 1
		.amdhsa_system_sgpr_workgroup_id_x 1
		.amdhsa_system_sgpr_workgroup_id_y 0
		.amdhsa_system_sgpr_workgroup_id_z 1
		.amdhsa_system_sgpr_workgroup_info 0
		.amdhsa_system_vgpr_workitem_id 1
		.amdhsa_next_free_vgpr 252
		.amdhsa_next_free_sgpr 25
		.amdhsa_reserve_vcc 1
		.amdhsa_float_round_mode_32 0
		.amdhsa_float_round_mode_16_64 0
		.amdhsa_float_denorm_mode_32 3
		.amdhsa_float_denorm_mode_16_64 3
		.amdhsa_dx10_clamp 1
		.amdhsa_ieee_mode 1
		.amdhsa_fp16_overflow 0
		.amdhsa_workgroup_processor_mode 1
		.amdhsa_memory_ordered 1
		.amdhsa_forward_progress 0
		.amdhsa_shared_vgpr_count 0
		.amdhsa_exception_fp_ieee_invalid_op 0
		.amdhsa_exception_fp_denorm_src 0
		.amdhsa_exception_fp_ieee_div_zero 0
		.amdhsa_exception_fp_ieee_overflow 0
		.amdhsa_exception_fp_ieee_underflow 0
		.amdhsa_exception_fp_ieee_inexact 0
		.amdhsa_exception_int_div_zero 0
	.end_amdhsa_kernel
	.section	.text._ZN12_GLOBAL__N_120geam_min_plus_kernelIdddLi4ELi64ELi128ELi128ELi4ELi64ELi4ELi64ELi4ELc78ELc84ELb1ELb0ELb0EdKddEEviiiT16_PT17_ilS4_ilS2_S4_ilPT18_ili26rocblas_geam_ex_operation_,"axG",@progbits,_ZN12_GLOBAL__N_120geam_min_plus_kernelIdddLi4ELi64ELi128ELi128ELi4ELi64ELi4ELi64ELi4ELc78ELc84ELb1ELb0ELb0EdKddEEviiiT16_PT17_ilS4_ilS2_S4_ilPT18_ili26rocblas_geam_ex_operation_,comdat
.Lfunc_end193:
	.size	_ZN12_GLOBAL__N_120geam_min_plus_kernelIdddLi4ELi64ELi128ELi128ELi4ELi64ELi4ELi64ELi4ELc78ELc84ELb1ELb0ELb0EdKddEEviiiT16_PT17_ilS4_ilS2_S4_ilPT18_ili26rocblas_geam_ex_operation_, .Lfunc_end193-_ZN12_GLOBAL__N_120geam_min_plus_kernelIdddLi4ELi64ELi128ELi128ELi4ELi64ELi4ELi64ELi4ELc78ELc84ELb1ELb0ELb0EdKddEEviiiT16_PT17_ilS4_ilS2_S4_ilPT18_ili26rocblas_geam_ex_operation_
                                        ; -- End function
	.section	.AMDGPU.csdata,"",@progbits
; Kernel info:
; codeLenInByte = 42916
; NumSgprs: 27
; NumVgprs: 252
; ScratchSize: 528
; MemoryBound: 1
; FloatMode: 240
; IeeeMode: 1
; LDSByteSize: 16384 bytes/workgroup (compile time only)
; SGPRBlocks: 3
; VGPRBlocks: 31
; NumSGPRsForWavesPerEU: 27
; NumVGPRsForWavesPerEU: 252
; Occupancy: 5
; WaveLimiterHint : 1
; COMPUTE_PGM_RSRC2:SCRATCH_EN: 1
; COMPUTE_PGM_RSRC2:USER_SGPR: 14
; COMPUTE_PGM_RSRC2:TRAP_HANDLER: 0
; COMPUTE_PGM_RSRC2:TGID_X_EN: 1
; COMPUTE_PGM_RSRC2:TGID_Y_EN: 0
; COMPUTE_PGM_RSRC2:TGID_Z_EN: 1
; COMPUTE_PGM_RSRC2:TIDIG_COMP_CNT: 1
	.section	.text._ZN12_GLOBAL__N_120geam_min_plus_kernelIdddLi4ELi64ELi128ELi128ELi4ELi64ELi4ELi64ELi4ELc78ELc84ELb0ELb0ELb0EdKddEEviiiT16_PT17_ilS4_ilS2_S4_ilPT18_ili26rocblas_geam_ex_operation_,"axG",@progbits,_ZN12_GLOBAL__N_120geam_min_plus_kernelIdddLi4ELi64ELi128ELi128ELi4ELi64ELi4ELi64ELi4ELc78ELc84ELb0ELb0ELb0EdKddEEviiiT16_PT17_ilS4_ilS2_S4_ilPT18_ili26rocblas_geam_ex_operation_,comdat
	.globl	_ZN12_GLOBAL__N_120geam_min_plus_kernelIdddLi4ELi64ELi128ELi128ELi4ELi64ELi4ELi64ELi4ELc78ELc84ELb0ELb0ELb0EdKddEEviiiT16_PT17_ilS4_ilS2_S4_ilPT18_ili26rocblas_geam_ex_operation_ ; -- Begin function _ZN12_GLOBAL__N_120geam_min_plus_kernelIdddLi4ELi64ELi128ELi128ELi4ELi64ELi4ELi64ELi4ELc78ELc84ELb0ELb0ELb0EdKddEEviiiT16_PT17_ilS4_ilS2_S4_ilPT18_ili26rocblas_geam_ex_operation_
	.p2align	8
	.type	_ZN12_GLOBAL__N_120geam_min_plus_kernelIdddLi4ELi64ELi128ELi128ELi4ELi64ELi4ELi64ELi4ELc78ELc84ELb0ELb0ELb0EdKddEEviiiT16_PT17_ilS4_ilS2_S4_ilPT18_ili26rocblas_geam_ex_operation_,@function
_ZN12_GLOBAL__N_120geam_min_plus_kernelIdddLi4ELi64ELi128ELi128ELi4ELi64ELi4ELi64ELi4ELc78ELc84ELb0ELb0ELb0EdKddEEviiiT16_PT17_ilS4_ilS2_S4_ilPT18_ili26rocblas_geam_ex_operation_: ; @_ZN12_GLOBAL__N_120geam_min_plus_kernelIdddLi4ELi64ELi128ELi128ELi4ELi64ELi4ELi64ELi4ELc78ELc84ELb0ELb0ELb0EdKddEEviiiT16_PT17_ilS4_ilS2_S4_ilPT18_ili26rocblas_geam_ex_operation_
; %bb.0:
	s_clause 0x1
	s_load_b128 s[16:19], s[0:1], 0x10
	s_load_b128 s[8:11], s[0:1], 0x28
	s_mov_b64 s[12:13], 0
	s_waitcnt lgkmcnt(0)
	v_cmp_eq_f64_e64 s20, s[16:17], 0
	s_delay_alu instid0(VALU_DEP_1)
	s_and_b32 vcc_lo, exec_lo, s20
	s_cbranch_vccnz .LBB194_2
; %bb.1:
	s_mul_i32 s2, s15, s9
	s_mul_hi_u32 s3, s15, s8
	s_delay_alu instid0(SALU_CYCLE_1) | instskip(SKIP_1) | instid1(SALU_CYCLE_1)
	s_add_i32 s3, s3, s2
	s_mul_i32 s2, s15, s8
	s_lshl_b64 s[2:3], s[2:3], 3
	s_delay_alu instid0(SALU_CYCLE_1)
	s_add_u32 s12, s18, s2
	s_addc_u32 s13, s19, s3
.LBB194_2:
	s_clause 0x1
	s_load_b128 s[4:7], s[0:1], 0x40
	s_load_b64 s[2:3], s[0:1], 0x50
	s_and_not1_b32 vcc_lo, exec_lo, s20
	s_cbranch_vccnz .LBB194_4
; %bb.3:
	s_mov_b32 s20, 0
	s_mov_b64 s[18:19], 0
	s_cbranch_execz .LBB194_5
	s_branch .LBB194_6
.LBB194_4:
	s_mov_b32 s20, -1
                                        ; implicit-def: $sgpr18_sgpr19
.LBB194_5:
	s_waitcnt lgkmcnt(0)
	s_mul_i32 s5, s15, s5
	s_mul_hi_u32 s8, s15, s4
	s_mul_i32 s4, s15, s4
	s_add_i32 s5, s8, s5
	s_mov_b32 s20, 0
	s_lshl_b64 s[4:5], s[4:5], 3
	s_delay_alu instid0(SALU_CYCLE_1)
	s_add_u32 s18, s10, s4
	s_addc_u32 s19, s11, s5
.LBB194_6:
	s_waitcnt lgkmcnt(0)
	v_cmp_eq_f64_e64 s4, s[6:7], 0
	v_cmp_neq_f64_e64 s28, s[16:17], 0
	s_load_b128 s[8:11], s[0:1], 0x60
	s_delay_alu instid0(VALU_DEP_2)
	s_and_b32 vcc_lo, exec_lo, s4
	s_mov_b64 s[4:5], 0
	s_cbranch_vccnz .LBB194_8
; %bb.7:
	s_waitcnt lgkmcnt(0)
	s_mul_i32 s4, s15, s9
	s_mul_hi_u32 s5, s15, s8
	s_mul_i32 s9, s20, s8
	s_add_i32 s4, s5, s4
	s_delay_alu instid0(SALU_CYCLE_1) | instskip(SKIP_1) | instid1(SALU_CYCLE_1)
	s_add_i32 s5, s4, s9
	s_mul_i32 s4, s15, s8
	s_lshl_b64 s[4:5], s[4:5], 3
	s_delay_alu instid0(SALU_CYCLE_1)
	s_add_u32 s4, s2, s4
	s_addc_u32 s5, s3, s5
.LBB194_8:
	s_waitcnt lgkmcnt(0)
	s_clause 0x1
	s_load_b32 s8, s[0:1], 0x0
	s_load_b32 s23, s[0:1], 0x20
	s_mov_b32 s2, 0
	v_bfe_u32 v81, v0, 10, 10
	s_mov_b32 s3, s2
	v_and_b32_e32 v80, 0x3ff, v0
	v_dual_mov_b32 v0, s2 :: v_dual_mov_b32 v1, s3
	s_delay_alu instid0(VALU_DEP_2) | instskip(NEXT) | instid1(VALU_DEP_1)
	v_lshl_add_u32 v2, v81, 2, v80
	v_and_b32_e32 v89, 63, v2
	v_lshrrev_b32_e32 v82, 6, v2
	v_cndmask_b32_e64 v2, 0, 1, s28
	s_waitcnt lgkmcnt(0)
	s_add_i32 s2, s8, -1
	s_ashr_i32 s24, s23, 31
	s_ashr_i32 s3, s2, 31
	s_delay_alu instid0(SALU_CYCLE_1) | instskip(NEXT) | instid1(SALU_CYCLE_1)
	s_lshr_b32 s3, s3, 25
	s_add_i32 s2, s2, s3
	s_delay_alu instid0(SALU_CYCLE_1) | instskip(NEXT) | instid1(SALU_CYCLE_1)
	s_ashr_i32 s2, s2, 7
	s_add_i32 s8, s2, 1
	s_not_b32 s2, s2
	v_cvt_f32_u32_e32 v3, s8
	s_delay_alu instid0(VALU_DEP_1)
	v_rcp_iflag_f32_e32 v3, v3
	s_waitcnt_depctr 0xfff
	v_mul_f32_e32 v3, 0x4f7ffffe, v3
	s_clause 0xf
	scratch_store_b64 off, v[0:1], off
	scratch_store_b64 off, v[0:1], off offset:8
	scratch_store_b64 off, v[0:1], off offset:16
	;; [unrolled: 1-line block ×15, first 2 shown]
	v_cvt_u32_f32_e32 v3, v3
	s_clause 0xe
	scratch_store_b64 off, v[0:1], off offset:128
	scratch_store_b64 off, v[0:1], off offset:136
	;; [unrolled: 1-line block ×15, first 2 shown]
	v_readfirstlane_b32 s3, v3
	s_clause 0xd
	scratch_store_b64 off, v[0:1], off offset:248
	scratch_store_b64 off, v[0:1], off offset:256
	;; [unrolled: 1-line block ×14, first 2 shown]
	s_mul_i32 s2, s2, s3
	s_clause 0x3
	scratch_store_b64 off, v[0:1], off offset:360
	scratch_store_b64 off, v[0:1], off offset:368
	;; [unrolled: 1-line block ×4, first 2 shown]
	s_mul_hi_u32 s2, s3, s2
	s_clause 0x6
	scratch_store_b64 off, v[0:1], off offset:392
	scratch_store_b64 off, v[0:1], off offset:400
	;; [unrolled: 1-line block ×7, first 2 shown]
	s_add_i32 s3, s3, s2
	s_clause 0x1
	scratch_store_b64 off, v[0:1], off offset:448
	scratch_store_b64 off, v[0:1], off offset:456
	s_mul_hi_u32 s2, s14, s3
	scratch_store_b64 off, v[0:1], off offset:464
	s_mul_i32 s3, s2, s8
	s_add_i32 s9, s2, 1
	s_sub_i32 s3, s14, s3
	s_clause 0x1
	scratch_store_b64 off, v[0:1], off offset:472
	scratch_store_b64 off, v[0:1], off offset:480
	s_sub_i32 s21, s3, s8
	s_cmp_ge_u32 s3, s8
	scratch_store_b64 off, v[0:1], off offset:488
	s_cselect_b32 s2, s9, s2
	s_cselect_b32 s3, s21, s3
	s_add_i32 s9, s2, 1
	s_cmp_ge_u32 s3, s8
	s_clause 0x1
	scratch_store_b64 off, v[0:1], off offset:496
	scratch_store_b64 off, v[0:1], off offset:504
	s_cselect_b32 s3, s9, s2
	s_and_not1_b32 vcc_lo, exec_lo, s28
	s_mul_i32 s2, s3, s8
	s_delay_alu instid0(SALU_CYCLE_1) | instskip(NEXT) | instid1(SALU_CYCLE_1)
	s_sub_i32 s2, s14, s2
	s_lshl_b32 s14, s2, 7
	v_cmp_ne_u32_e64 s2, 1, v2
	v_or_b32_e32 v68, s14, v89
	s_delay_alu instid0(VALU_DEP_1)
	v_ashrrev_i32_e32 v69, 31, v68
	s_cbranch_vccnz .LBB194_10
; %bb.9:
	v_mad_i64_i32 v[0:1], null, s23, v82, 0
	s_delay_alu instid0(VALU_DEP_2) | instskip(NEXT) | instid1(VALU_DEP_2)
	v_lshlrev_b64 v[2:3], 3, v[68:69]
	v_lshlrev_b64 v[0:1], 3, v[0:1]
	s_delay_alu instid0(VALU_DEP_1) | instskip(NEXT) | instid1(VALU_DEP_2)
	v_add_co_u32 v0, vcc_lo, s12, v0
	v_add_co_ci_u32_e32 v1, vcc_lo, s13, v1, vcc_lo
	s_delay_alu instid0(VALU_DEP_2) | instskip(NEXT) | instid1(VALU_DEP_2)
	v_add_co_u32 v0, vcc_lo, v0, v2
	v_add_co_ci_u32_e32 v1, vcc_lo, v1, v3, vcc_lo
	s_clause 0x1
	flat_load_b64 v[2:3], v[0:1]
	flat_load_b64 v[4:5], v[0:1] offset:512
	s_waitcnt vmcnt(1) lgkmcnt(1)
	v_mul_f64 v[0:1], v[2:3], s[16:17]
	s_waitcnt vmcnt(0) lgkmcnt(0)
	v_mul_f64 v[2:3], v[4:5], s[16:17]
	s_branch .LBB194_11
.LBB194_10:
	v_mov_b32_e32 v0, 0
	v_dual_mov_b32 v1, 0 :: v_dual_mov_b32 v2, 0
	v_mov_b32_e32 v3, 0
.LBB194_11:
	s_load_b32 s25, s[0:1], 0x38
	s_lshl_b32 s21, s3, 7
	s_and_b32 vcc_lo, exec_lo, s2
	v_or_b32_e32 v70, s21, v89
	s_delay_alu instid0(VALU_DEP_1)
	v_ashrrev_i32_e32 v71, 31, v70
	s_waitcnt lgkmcnt(0)
	s_ashr_i32 s26, s25, 31
	s_cbranch_vccnz .LBB194_15
; %bb.12:
	v_mad_i64_i32 v[4:5], null, s25, v82, 0
	v_lshlrev_b64 v[6:7], 3, v[70:71]
	s_delay_alu instid0(VALU_DEP_2) | instskip(NEXT) | instid1(VALU_DEP_1)
	v_lshlrev_b64 v[4:5], 3, v[4:5]
	v_add_co_u32 v4, vcc_lo, s18, v4
	s_delay_alu instid0(VALU_DEP_2) | instskip(NEXT) | instid1(VALU_DEP_2)
	v_add_co_ci_u32_e32 v5, vcc_lo, s19, v5, vcc_lo
	v_add_co_u32 v4, vcc_lo, v4, v6
	s_delay_alu instid0(VALU_DEP_2)
	v_add_co_ci_u32_e32 v5, vcc_lo, v5, v7, vcc_lo
	s_clause 0x1
	flat_load_b64 v[6:7], v[4:5]
	flat_load_b64 v[8:9], v[4:5] offset:512
	s_waitcnt vmcnt(1) lgkmcnt(1)
	v_mul_f64 v[4:5], v[6:7], s[16:17]
	s_waitcnt vmcnt(0) lgkmcnt(0)
	v_mul_f64 v[6:7], v[8:9], s[16:17]
	v_add_nc_u32_e32 v83, 4, v82
	s_and_b32 vcc_lo, exec_lo, s2
	s_cbranch_vccnz .LBB194_16
.LBB194_13:
	s_delay_alu instid0(VALU_DEP_1) | instskip(SKIP_1) | instid1(VALU_DEP_2)
	v_mad_i64_i32 v[8:9], null, s23, v83, 0
	v_lshlrev_b64 v[10:11], 3, v[68:69]
	v_lshlrev_b64 v[8:9], 3, v[8:9]
	s_delay_alu instid0(VALU_DEP_1) | instskip(NEXT) | instid1(VALU_DEP_2)
	v_add_co_u32 v8, vcc_lo, s12, v8
	v_add_co_ci_u32_e32 v9, vcc_lo, s13, v9, vcc_lo
	s_delay_alu instid0(VALU_DEP_2) | instskip(NEXT) | instid1(VALU_DEP_2)
	v_add_co_u32 v8, vcc_lo, v8, v10
	v_add_co_ci_u32_e32 v9, vcc_lo, v9, v11, vcc_lo
	s_clause 0x1
	flat_load_b64 v[10:11], v[8:9]
	flat_load_b64 v[8:9], v[8:9] offset:512
	s_waitcnt vmcnt(1) lgkmcnt(1)
	v_mul_f64 v[72:73], v[10:11], s[16:17]
	s_waitcnt vmcnt(0) lgkmcnt(0)
	v_mul_f64 v[74:75], v[8:9], s[16:17]
	s_and_b32 vcc_lo, exec_lo, s2
	s_mov_b64 s[8:9], 0
	s_cbranch_vccnz .LBB194_17
.LBB194_14:
	v_mad_i64_i32 v[8:9], null, s25, v83, 0
	v_lshlrev_b64 v[10:11], 3, v[70:71]
	s_delay_alu instid0(VALU_DEP_2) | instskip(NEXT) | instid1(VALU_DEP_1)
	v_lshlrev_b64 v[8:9], 3, v[8:9]
	v_add_co_u32 v8, vcc_lo, s18, v8
	s_delay_alu instid0(VALU_DEP_2) | instskip(NEXT) | instid1(VALU_DEP_2)
	v_add_co_ci_u32_e32 v9, vcc_lo, s19, v9, vcc_lo
	v_add_co_u32 v8, vcc_lo, v8, v10
	s_delay_alu instid0(VALU_DEP_2)
	v_add_co_ci_u32_e32 v9, vcc_lo, v9, v11, vcc_lo
	s_clause 0x1
	flat_load_b64 v[10:11], v[8:9]
	flat_load_b64 v[8:9], v[8:9] offset:512
	s_waitcnt vmcnt(1) lgkmcnt(1)
	v_mul_f64 v[76:77], v[10:11], s[16:17]
	s_waitcnt vmcnt(0) lgkmcnt(0)
	v_mul_f64 v[78:79], v[8:9], s[16:17]
	s_branch .LBB194_18
.LBB194_15:
	v_mov_b32_e32 v4, 0
	v_dual_mov_b32 v5, 0 :: v_dual_mov_b32 v6, 0
	v_mov_b32_e32 v7, 0
	v_add_nc_u32_e32 v83, 4, v82
	s_and_b32 vcc_lo, exec_lo, s2
	s_cbranch_vccz .LBB194_13
.LBB194_16:
	v_mov_b32_e32 v72, 0
	v_dual_mov_b32 v73, 0 :: v_dual_mov_b32 v74, 0
	v_mov_b32_e32 v75, 0
	s_and_b32 vcc_lo, exec_lo, s2
	s_mov_b64 s[8:9], 0
	s_cbranch_vccz .LBB194_14
.LBB194_17:
	v_mov_b32_e32 v76, 0
	v_dual_mov_b32 v77, 0 :: v_dual_mov_b32 v78, 0
	v_mov_b32_e32 v79, 0
.LBB194_18:
	v_cmp_neq_f64_e64 s22, s[6:7], 0
	v_dual_mov_b32 v91, 8 :: v_dual_lshlrev_b32 v8, 3, v82
	v_dual_mov_b32 v93, 24 :: v_dual_lshlrev_b32 v84, 5, v80
	v_mov_b32_e32 v95, 40
	s_delay_alu instid0(VALU_DEP_3) | instskip(SKIP_1) | instid1(VALU_DEP_4)
	v_lshl_add_u32 v85, v89, 5, v8
	v_dual_mov_b32 v97, 56 :: v_dual_lshlrev_b32 v86, 5, v81
	v_add_nc_u32_e32 v48, 0x800, v84
	v_dual_mov_b32 v90, 0 :: v_dual_mov_b32 v99, 0x48
	ds_store_2addr_stride64_b64 v85, v[0:1], v[2:3] offset1:4
	ds_store_2addr_stride64_b64 v85, v[4:5], v[6:7] offset0:16 offset1:20
	s_waitcnt lgkmcnt(0)
	s_waitcnt_vscnt null, 0x0
	s_barrier
	buffer_gl0_inv
	ds_load_2addr_b64 v[0:3], v84 offset1:16
	ds_load_2addr_b64 v[4:7], v84 offset0:32 offset1:48
	ds_load_2addr_b64 v[8:11], v84 offset0:64 offset1:80
	;; [unrolled: 1-line block ×4, first 2 shown]
	ds_load_2addr_b64 v[20:23], v48 offset1:16
	ds_load_2addr_b64 v[24:27], v48 offset0:32 offset1:48
	ds_load_2addr_b64 v[28:31], v48 offset0:64 offset1:80
	ds_load_2addr_b64 v[32:35], v48 offset0:96 offset1:112
	ds_load_2addr_b64 v[36:39], v48 offset0:128 offset1:144
	ds_load_2addr_b64 v[40:43], v48 offset0:160 offset1:176
	ds_load_2addr_b64 v[44:47], v48 offset0:192 offset1:208
	ds_load_2addr_b64 v[48:51], v48 offset0:224 offset1:240
	ds_load_2addr_b64 v[52:55], v84 offset0:160 offset1:176
	ds_load_2addr_b64 v[56:59], v84 offset0:192 offset1:208
	ds_load_2addr_b64 v[60:63], v84 offset0:224 offset1:240
	ds_load_2addr_stride64_b64 v[64:67], v86 offset0:16 offset1:20
	v_or_b32_e32 v87, 0x2000, v85
	v_add_nc_u32_e32 v88, 0x2000, v86
	v_dual_mov_b32 v92, 16 :: v_dual_mov_b32 v101, 0x58
	v_dual_mov_b32 v94, 32 :: v_dual_mov_b32 v103, 0x68
	;; [unrolled: 1-line block ×4, first 2 shown]
	v_mov_b32_e32 v100, 0x50
	v_mov_b32_e32 v102, 0x60
	;; [unrolled: 1-line block ×18, first 2 shown]
	s_mov_b32 s3, -1
.LBB194_19:                             ; =>This Inner Loop Header: Depth=1
	scratch_load_b64 v[122:123], v90, off
	scratch_load_b64 v[124:125], v91, off
	;; [unrolled: 1-line block ×32, first 2 shown]
	s_cmp_eq_u32 s8, 1
	s_waitcnt lgkmcnt(16)
	v_max_f64 v[188:189], v[0:1], v[0:1]
	s_cselect_b32 vcc_lo, -1, 0
	v_max_f64 v[190:191], v[2:3], v[2:3]
	s_waitcnt lgkmcnt(0)
	v_dual_cndmask_b32 v187, v65, v67 :: v_dual_cndmask_b32 v186, v64, v66
	v_max_f64 v[192:193], v[4:5], v[4:5]
	v_max_f64 v[194:195], v[6:7], v[6:7]
	;; [unrolled: 1-line block ×31, first 2 shown]
	s_mov_b64 s[8:9], 1
	s_and_b32 vcc_lo, exec_lo, s3
	s_mov_b32 s3, 0
	v_min_f64 v[188:189], v[188:189], v[186:187]
	v_min_f64 v[190:191], v[190:191], v[186:187]
	;; [unrolled: 1-line block ×32, first 2 shown]
	s_waitcnt vmcnt(31)
	v_add_f64 v[122:123], v[122:123], v[188:189]
	s_waitcnt vmcnt(30)
	v_add_f64 v[124:125], v[190:191], v[124:125]
	;; [unrolled: 2-line block ×32, first 2 shown]
	scratch_store_b64 v90, v[122:123], off
	scratch_store_b64 v91, v[124:125], off
	;; [unrolled: 1-line block ×32, first 2 shown]
	v_mov_b32_e32 v90, 0x100
	v_mov_b32_e32 v91, 0x108
	v_mov_b32_e32 v92, 0x110
	v_mov_b32_e32 v93, 0x118
	v_mov_b32_e32 v94, 0x120
	v_mov_b32_e32 v95, 0x128
	v_mov_b32_e32 v96, 0x130
	v_mov_b32_e32 v97, 0x138
	v_mov_b32_e32 v98, 0x140
	v_mov_b32_e32 v99, 0x148
	v_mov_b32_e32 v100, 0x150
	v_mov_b32_e32 v101, 0x158
	v_mov_b32_e32 v102, 0x160
	v_mov_b32_e32 v103, 0x168
	v_mov_b32_e32 v104, 0x170
	v_mov_b32_e32 v105, 0x178
	v_mov_b32_e32 v106, 0x180
	v_mov_b32_e32 v107, 0x188
	v_mov_b32_e32 v108, 0x190
	v_mov_b32_e32 v109, 0x198
	v_mov_b32_e32 v110, 0x1a0
	v_mov_b32_e32 v111, 0x1a8
	v_mov_b32_e32 v112, 0x1b0
	v_mov_b32_e32 v113, 0x1b8
	v_mov_b32_e32 v114, 0x1c0
	v_mov_b32_e32 v115, 0x1c8
	v_mov_b32_e32 v116, 0x1d0
	v_mov_b32_e32 v117, 0x1d8
	v_mov_b32_e32 v118, 0x1e0
	v_mov_b32_e32 v119, 0x1e8
	v_mov_b32_e32 v120, 0x1f0
	v_mov_b32_e32 v121, 0x1f8
	s_cbranch_vccnz .LBB194_19
; %bb.20:
	v_dual_mov_b32 v91, 8 :: v_dual_add_nc_u32 v60, 0x800, v84
	ds_load_2addr_b64 v[0:3], v84 offset0:1 offset1:17
	ds_load_2addr_b64 v[4:7], v84 offset0:33 offset1:49
	;; [unrolled: 1-line block ×12, first 2 shown]
	v_dual_mov_b32 v93, 24 :: v_dual_add_nc_u32 v64, 8, v88
	ds_load_2addr_b64 v[48:51], v60 offset0:129 offset1:145
	ds_load_2addr_b64 v[52:55], v60 offset0:161 offset1:177
	;; [unrolled: 1-line block ×4, first 2 shown]
	ds_load_2addr_stride64_b64 v[64:67], v64 offset1:4
	v_dual_mov_b32 v90, 0 :: v_dual_mov_b32 v95, 40
	v_dual_mov_b32 v92, 16 :: v_dual_mov_b32 v97, 56
	;; [unrolled: 1-line block ×5, first 2 shown]
	v_mov_b32_e32 v100, 0x50
	v_mov_b32_e32 v102, 0x60
	;; [unrolled: 1-line block ×20, first 2 shown]
	s_mov_b64 s[8:9], 0
	s_mov_b32 s3, -1
.LBB194_21:                             ; =>This Inner Loop Header: Depth=1
	scratch_load_b64 v[122:123], v90, off
	scratch_load_b64 v[124:125], v91, off
	;; [unrolled: 1-line block ×32, first 2 shown]
	s_cmp_eq_u32 s8, 1
	s_waitcnt lgkmcnt(16)
	v_max_f64 v[188:189], v[0:1], v[0:1]
	s_cselect_b32 vcc_lo, -1, 0
	v_max_f64 v[190:191], v[2:3], v[2:3]
	s_waitcnt lgkmcnt(0)
	v_dual_cndmask_b32 v187, v65, v67 :: v_dual_cndmask_b32 v186, v64, v66
	v_max_f64 v[192:193], v[4:5], v[4:5]
	v_max_f64 v[194:195], v[6:7], v[6:7]
	;; [unrolled: 1-line block ×31, first 2 shown]
	s_mov_b64 s[8:9], 1
	s_and_b32 vcc_lo, exec_lo, s3
	s_mov_b32 s3, 0
	v_min_f64 v[188:189], v[188:189], v[186:187]
	v_min_f64 v[190:191], v[190:191], v[186:187]
	v_min_f64 v[192:193], v[192:193], v[186:187]
	v_min_f64 v[194:195], v[194:195], v[186:187]
	v_min_f64 v[196:197], v[196:197], v[186:187]
	v_min_f64 v[198:199], v[198:199], v[186:187]
	v_min_f64 v[200:201], v[200:201], v[186:187]
	v_min_f64 v[202:203], v[202:203], v[186:187]
	v_min_f64 v[204:205], v[204:205], v[186:187]
	v_min_f64 v[206:207], v[206:207], v[186:187]
	v_min_f64 v[208:209], v[208:209], v[186:187]
	v_min_f64 v[210:211], v[210:211], v[186:187]
	v_min_f64 v[212:213], v[212:213], v[186:187]
	v_min_f64 v[214:215], v[214:215], v[186:187]
	v_min_f64 v[216:217], v[216:217], v[186:187]
	v_min_f64 v[218:219], v[218:219], v[186:187]
	v_min_f64 v[220:221], v[220:221], v[186:187]
	v_min_f64 v[222:223], v[222:223], v[186:187]
	v_min_f64 v[224:225], v[224:225], v[186:187]
	v_min_f64 v[226:227], v[226:227], v[186:187]
	v_min_f64 v[228:229], v[228:229], v[186:187]
	v_min_f64 v[230:231], v[230:231], v[186:187]
	v_min_f64 v[232:233], v[232:233], v[186:187]
	v_min_f64 v[234:235], v[234:235], v[186:187]
	v_min_f64 v[236:237], v[236:237], v[186:187]
	v_min_f64 v[238:239], v[238:239], v[186:187]
	v_min_f64 v[240:241], v[240:241], v[186:187]
	v_min_f64 v[242:243], v[242:243], v[186:187]
	v_min_f64 v[244:245], v[244:245], v[186:187]
	v_min_f64 v[246:247], v[246:247], v[186:187]
	v_min_f64 v[248:249], v[248:249], v[186:187]
	v_min_f64 v[186:187], v[250:251], v[186:187]
	s_waitcnt vmcnt(31)
	v_add_f64 v[122:123], v[122:123], v[188:189]
	s_waitcnt vmcnt(30)
	v_add_f64 v[124:125], v[190:191], v[124:125]
	;; [unrolled: 2-line block ×32, first 2 shown]
	scratch_store_b64 v90, v[122:123], off
	scratch_store_b64 v91, v[124:125], off
	;; [unrolled: 1-line block ×32, first 2 shown]
	v_mov_b32_e32 v90, 0x100
	v_mov_b32_e32 v91, 0x108
	;; [unrolled: 1-line block ×32, first 2 shown]
	s_cbranch_vccnz .LBB194_21
; %bb.22:
	v_dual_mov_b32 v91, 8 :: v_dual_add_nc_u32 v60, 0x800, v84
	ds_load_2addr_b64 v[0:3], v84 offset0:2 offset1:18
	ds_load_2addr_b64 v[4:7], v84 offset0:34 offset1:50
	;; [unrolled: 1-line block ×12, first 2 shown]
	v_dual_mov_b32 v93, 24 :: v_dual_add_nc_u32 v64, 16, v88
	ds_load_2addr_b64 v[48:51], v60 offset0:130 offset1:146
	ds_load_2addr_b64 v[52:55], v60 offset0:162 offset1:178
	;; [unrolled: 1-line block ×4, first 2 shown]
	ds_load_2addr_stride64_b64 v[64:67], v64 offset1:4
	v_dual_mov_b32 v90, 0 :: v_dual_mov_b32 v95, 40
	v_dual_mov_b32 v92, 16 :: v_dual_mov_b32 v97, 56
	;; [unrolled: 1-line block ×5, first 2 shown]
	v_mov_b32_e32 v100, 0x50
	v_mov_b32_e32 v102, 0x60
	;; [unrolled: 1-line block ×20, first 2 shown]
	s_mov_b64 s[8:9], 0
	s_mov_b32 s3, -1
.LBB194_23:                             ; =>This Inner Loop Header: Depth=1
	scratch_load_b64 v[122:123], v90, off
	scratch_load_b64 v[124:125], v91, off
	;; [unrolled: 1-line block ×32, first 2 shown]
	s_cmp_eq_u32 s8, 1
	s_waitcnt lgkmcnt(16)
	v_max_f64 v[188:189], v[0:1], v[0:1]
	s_cselect_b32 vcc_lo, -1, 0
	v_max_f64 v[190:191], v[2:3], v[2:3]
	s_waitcnt lgkmcnt(0)
	v_dual_cndmask_b32 v187, v65, v67 :: v_dual_cndmask_b32 v186, v64, v66
	v_max_f64 v[192:193], v[4:5], v[4:5]
	v_max_f64 v[194:195], v[6:7], v[6:7]
	;; [unrolled: 1-line block ×31, first 2 shown]
	s_mov_b64 s[8:9], 1
	s_and_b32 vcc_lo, exec_lo, s3
	s_mov_b32 s3, 0
	v_min_f64 v[188:189], v[188:189], v[186:187]
	v_min_f64 v[190:191], v[190:191], v[186:187]
	v_min_f64 v[192:193], v[192:193], v[186:187]
	v_min_f64 v[194:195], v[194:195], v[186:187]
	v_min_f64 v[196:197], v[196:197], v[186:187]
	v_min_f64 v[198:199], v[198:199], v[186:187]
	v_min_f64 v[200:201], v[200:201], v[186:187]
	v_min_f64 v[202:203], v[202:203], v[186:187]
	v_min_f64 v[204:205], v[204:205], v[186:187]
	v_min_f64 v[206:207], v[206:207], v[186:187]
	v_min_f64 v[208:209], v[208:209], v[186:187]
	v_min_f64 v[210:211], v[210:211], v[186:187]
	v_min_f64 v[212:213], v[212:213], v[186:187]
	v_min_f64 v[214:215], v[214:215], v[186:187]
	v_min_f64 v[216:217], v[216:217], v[186:187]
	v_min_f64 v[218:219], v[218:219], v[186:187]
	v_min_f64 v[220:221], v[220:221], v[186:187]
	v_min_f64 v[222:223], v[222:223], v[186:187]
	v_min_f64 v[224:225], v[224:225], v[186:187]
	v_min_f64 v[226:227], v[226:227], v[186:187]
	v_min_f64 v[228:229], v[228:229], v[186:187]
	v_min_f64 v[230:231], v[230:231], v[186:187]
	v_min_f64 v[232:233], v[232:233], v[186:187]
	v_min_f64 v[234:235], v[234:235], v[186:187]
	v_min_f64 v[236:237], v[236:237], v[186:187]
	v_min_f64 v[238:239], v[238:239], v[186:187]
	v_min_f64 v[240:241], v[240:241], v[186:187]
	v_min_f64 v[242:243], v[242:243], v[186:187]
	v_min_f64 v[244:245], v[244:245], v[186:187]
	v_min_f64 v[246:247], v[246:247], v[186:187]
	v_min_f64 v[248:249], v[248:249], v[186:187]
	v_min_f64 v[186:187], v[250:251], v[186:187]
	s_waitcnt vmcnt(31)
	v_add_f64 v[122:123], v[122:123], v[188:189]
	s_waitcnt vmcnt(30)
	v_add_f64 v[124:125], v[190:191], v[124:125]
	;; [unrolled: 2-line block ×32, first 2 shown]
	scratch_store_b64 v90, v[122:123], off
	scratch_store_b64 v91, v[124:125], off
	;; [unrolled: 1-line block ×32, first 2 shown]
	v_mov_b32_e32 v90, 0x100
	v_mov_b32_e32 v91, 0x108
	;; [unrolled: 1-line block ×32, first 2 shown]
	s_cbranch_vccnz .LBB194_23
; %bb.24:
	v_dual_mov_b32 v91, 8 :: v_dual_add_nc_u32 v60, 0x800, v84
	ds_load_2addr_b64 v[0:3], v84 offset0:3 offset1:19
	ds_load_2addr_b64 v[4:7], v84 offset0:35 offset1:51
	;; [unrolled: 1-line block ×12, first 2 shown]
	v_dual_mov_b32 v93, 24 :: v_dual_add_nc_u32 v64, 24, v88
	ds_load_2addr_b64 v[48:51], v60 offset0:131 offset1:147
	ds_load_2addr_b64 v[52:55], v60 offset0:163 offset1:179
	;; [unrolled: 1-line block ×4, first 2 shown]
	ds_load_2addr_stride64_b64 v[64:67], v64 offset1:4
	v_dual_mov_b32 v90, 0 :: v_dual_mov_b32 v95, 40
	v_dual_mov_b32 v92, 16 :: v_dual_mov_b32 v97, 56
	;; [unrolled: 1-line block ×5, first 2 shown]
	v_mov_b32_e32 v100, 0x50
	v_mov_b32_e32 v102, 0x60
	;; [unrolled: 1-line block ×20, first 2 shown]
	s_mov_b64 s[8:9], 0
	s_mov_b32 s3, -1
.LBB194_25:                             ; =>This Inner Loop Header: Depth=1
	scratch_load_b64 v[122:123], v90, off
	scratch_load_b64 v[124:125], v91, off
	;; [unrolled: 1-line block ×32, first 2 shown]
	s_cmp_eq_u32 s8, 1
	s_waitcnt lgkmcnt(16)
	v_max_f64 v[188:189], v[0:1], v[0:1]
	s_cselect_b32 vcc_lo, -1, 0
	v_max_f64 v[190:191], v[2:3], v[2:3]
	s_waitcnt lgkmcnt(0)
	v_dual_cndmask_b32 v187, v65, v67 :: v_dual_cndmask_b32 v186, v64, v66
	v_max_f64 v[192:193], v[4:5], v[4:5]
	v_max_f64 v[194:195], v[6:7], v[6:7]
	;; [unrolled: 1-line block ×31, first 2 shown]
	s_mov_b64 s[8:9], 1
	s_and_b32 vcc_lo, exec_lo, s3
	s_mov_b32 s3, 0
	v_min_f64 v[188:189], v[188:189], v[186:187]
	v_min_f64 v[190:191], v[190:191], v[186:187]
	v_min_f64 v[192:193], v[192:193], v[186:187]
	v_min_f64 v[194:195], v[194:195], v[186:187]
	v_min_f64 v[196:197], v[196:197], v[186:187]
	v_min_f64 v[198:199], v[198:199], v[186:187]
	v_min_f64 v[200:201], v[200:201], v[186:187]
	v_min_f64 v[202:203], v[202:203], v[186:187]
	v_min_f64 v[204:205], v[204:205], v[186:187]
	v_min_f64 v[206:207], v[206:207], v[186:187]
	v_min_f64 v[208:209], v[208:209], v[186:187]
	v_min_f64 v[210:211], v[210:211], v[186:187]
	v_min_f64 v[212:213], v[212:213], v[186:187]
	v_min_f64 v[214:215], v[214:215], v[186:187]
	v_min_f64 v[216:217], v[216:217], v[186:187]
	v_min_f64 v[218:219], v[218:219], v[186:187]
	v_min_f64 v[220:221], v[220:221], v[186:187]
	v_min_f64 v[222:223], v[222:223], v[186:187]
	v_min_f64 v[224:225], v[224:225], v[186:187]
	v_min_f64 v[226:227], v[226:227], v[186:187]
	v_min_f64 v[228:229], v[228:229], v[186:187]
	v_min_f64 v[230:231], v[230:231], v[186:187]
	v_min_f64 v[232:233], v[232:233], v[186:187]
	v_min_f64 v[234:235], v[234:235], v[186:187]
	v_min_f64 v[236:237], v[236:237], v[186:187]
	v_min_f64 v[238:239], v[238:239], v[186:187]
	v_min_f64 v[240:241], v[240:241], v[186:187]
	v_min_f64 v[242:243], v[242:243], v[186:187]
	v_min_f64 v[244:245], v[244:245], v[186:187]
	v_min_f64 v[246:247], v[246:247], v[186:187]
	v_min_f64 v[248:249], v[248:249], v[186:187]
	v_min_f64 v[186:187], v[250:251], v[186:187]
	s_waitcnt vmcnt(31)
	v_add_f64 v[122:123], v[122:123], v[188:189]
	s_waitcnt vmcnt(30)
	v_add_f64 v[124:125], v[190:191], v[124:125]
	;; [unrolled: 2-line block ×32, first 2 shown]
	scratch_store_b64 v90, v[122:123], off
	scratch_store_b64 v91, v[124:125], off
	scratch_store_b64 v92, v[126:127], off
	scratch_store_b64 v93, v[128:129], off
	scratch_store_b64 v94, v[130:131], off
	scratch_store_b64 v95, v[132:133], off
	scratch_store_b64 v96, v[134:135], off
	scratch_store_b64 v97, v[136:137], off
	scratch_store_b64 v98, v[138:139], off
	scratch_store_b64 v99, v[140:141], off
	scratch_store_b64 v100, v[142:143], off
	scratch_store_b64 v101, v[144:145], off
	scratch_store_b64 v102, v[146:147], off
	scratch_store_b64 v103, v[148:149], off
	scratch_store_b64 v104, v[150:151], off
	scratch_store_b64 v105, v[152:153], off
	scratch_store_b64 v106, v[154:155], off
	scratch_store_b64 v107, v[156:157], off
	scratch_store_b64 v108, v[158:159], off
	scratch_store_b64 v109, v[160:161], off
	scratch_store_b64 v110, v[162:163], off
	scratch_store_b64 v111, v[164:165], off
	scratch_store_b64 v112, v[166:167], off
	scratch_store_b64 v113, v[168:169], off
	scratch_store_b64 v114, v[170:171], off
	scratch_store_b64 v115, v[172:173], off
	scratch_store_b64 v116, v[174:175], off
	scratch_store_b64 v117, v[176:177], off
	scratch_store_b64 v118, v[178:179], off
	scratch_store_b64 v119, v[180:181], off
	scratch_store_b64 v120, v[182:183], off
	scratch_store_b64 v121, v[184:185], off
	v_mov_b32_e32 v90, 0x100
	v_mov_b32_e32 v91, 0x108
	;; [unrolled: 1-line block ×32, first 2 shown]
	s_cbranch_vccnz .LBB194_25
; %bb.26:
	s_load_b32 s3, s[0:1], 0x8
	v_lshlrev_b32_e32 v0, 5, v89
	s_mov_b32 s27, 8
	s_delay_alu instid0(VALU_DEP_1)
	v_lshl_add_u32 v0, v82, 3, v0
	ds_store_2addr_stride64_b64 v0, v[72:73], v[74:75] offset0:8 offset1:12
	ds_store_2addr_stride64_b64 v0, v[76:77], v[78:79] offset0:24 offset1:28
	s_waitcnt lgkmcnt(0)
	s_waitcnt_vscnt null, 0x0
	s_barrier
	buffer_gl0_inv
	s_cmp_gt_i32 s3, 8
	s_cbranch_scc0 .LBB194_55
; %bb.27:
	v_lshlrev_b64 v[1:2], 3, v[68:69]
	v_lshlrev_b64 v[3:4], 3, v[70:71]
	v_lshl_add_u32 v78, v80, 5, 0x1000
	v_or_b32_e32 v76, 0x1000, v0
	v_or_b32_e32 v77, 0x3000, v0
	v_lshl_add_u32 v79, v81, 5, 0x3000
	v_add_co_u32 v89, vcc_lo, s12, v1
	v_add_co_ci_u32_e32 v90, vcc_lo, s13, v2, vcc_lo
	v_add_co_u32 v91, vcc_lo, s18, v3
	v_add_co_ci_u32_e32 v92, vcc_lo, s19, v4, vcc_lo
	v_add_nc_u32_e32 v93, 0x800, v78
	s_add_i32 s12, s3, -8
	s_mov_b32 s13, 0
	s_and_b32 s3, exec_lo, s28
.LBB194_28:                             ; =>This Loop Header: Depth=1
                                        ;     Child Loop BB194_34 Depth 2
                                        ;     Child Loop BB194_36 Depth 2
	;; [unrolled: 1-line block ×8, first 2 shown]
	v_add_nc_u32_e32 v0, s27, v82
	s_and_b32 vcc_lo, exec_lo, s2
	s_cbranch_vccnz .LBB194_31
; %bb.29:                               ;   in Loop: Header=BB194_28 Depth=1
	s_delay_alu instid0(VALU_DEP_1) | instskip(NEXT) | instid1(VALU_DEP_1)
	v_mad_u64_u32 v[1:2], null, v0, s23, 0
	v_mad_u64_u32 v[3:4], null, v0, s24, v[2:3]
	s_delay_alu instid0(VALU_DEP_1) | instskip(NEXT) | instid1(VALU_DEP_1)
	v_mov_b32_e32 v2, v3
	v_lshlrev_b64 v[1:2], 3, v[1:2]
	s_delay_alu instid0(VALU_DEP_1) | instskip(NEXT) | instid1(VALU_DEP_2)
	v_add_co_u32 v1, vcc_lo, v89, v1
	v_add_co_ci_u32_e32 v2, vcc_lo, v90, v2, vcc_lo
	s_clause 0x1
	flat_load_b64 v[3:4], v[1:2]
	flat_load_b64 v[1:2], v[1:2] offset:512
	s_waitcnt vmcnt(1) lgkmcnt(1)
	v_mul_f64 v[68:69], v[3:4], s[16:17]
	s_waitcnt vmcnt(0) lgkmcnt(0)
	v_mul_f64 v[70:71], v[1:2], s[16:17]
	s_and_b32 vcc_lo, exec_lo, s2
	s_mov_b64 s[8:9], 0
	s_cbranch_vccnz .LBB194_32
.LBB194_30:                             ;   in Loop: Header=BB194_28 Depth=1
	v_mad_u64_u32 v[1:2], null, v0, s25, 0
	s_delay_alu instid0(VALU_DEP_1) | instskip(NEXT) | instid1(VALU_DEP_1)
	v_mad_u64_u32 v[3:4], null, v0, s26, v[2:3]
	v_mov_b32_e32 v2, v3
	s_delay_alu instid0(VALU_DEP_1) | instskip(NEXT) | instid1(VALU_DEP_1)
	v_lshlrev_b64 v[0:1], 3, v[1:2]
	v_add_co_u32 v0, vcc_lo, v91, v0
	s_delay_alu instid0(VALU_DEP_2)
	v_add_co_ci_u32_e32 v1, vcc_lo, v92, v1, vcc_lo
	s_clause 0x1
	flat_load_b64 v[2:3], v[0:1]
	flat_load_b64 v[0:1], v[0:1] offset:512
	s_waitcnt vmcnt(1) lgkmcnt(1)
	v_mul_f64 v[72:73], v[2:3], s[16:17]
	s_waitcnt vmcnt(0) lgkmcnt(0)
	v_mul_f64 v[74:75], v[0:1], s[16:17]
	s_branch .LBB194_33
.LBB194_31:                             ;   in Loop: Header=BB194_28 Depth=1
	v_mov_b32_e32 v68, 0
	v_dual_mov_b32 v69, 0 :: v_dual_mov_b32 v70, 0
	v_mov_b32_e32 v71, 0
	s_and_b32 vcc_lo, exec_lo, s2
	s_mov_b64 s[8:9], 0
	s_cbranch_vccz .LBB194_30
.LBB194_32:                             ;   in Loop: Header=BB194_28 Depth=1
	v_mov_b32_e32 v72, 0
	v_dual_mov_b32 v73, 0 :: v_dual_mov_b32 v74, 0
	v_mov_b32_e32 v75, 0
.LBB194_33:                             ;   in Loop: Header=BB194_28 Depth=1
	ds_load_2addr_b64 v[0:3], v78 offset1:16
	ds_load_2addr_b64 v[4:7], v78 offset0:32 offset1:48
	ds_load_2addr_b64 v[8:11], v78 offset0:64 offset1:80
	;; [unrolled: 1-line block ×7, first 2 shown]
	ds_load_2addr_b64 v[32:35], v93 offset1:16
	ds_load_2addr_b64 v[36:39], v93 offset0:32 offset1:48
	ds_load_2addr_b64 v[40:43], v93 offset0:64 offset1:80
	;; [unrolled: 1-line block ×7, first 2 shown]
	ds_load_2addr_stride64_b64 v[64:67], v79 offset1:4
	v_dual_mov_b32 v125, 0 :: v_dual_mov_b32 v124, 8
	v_dual_mov_b32 v123, 16 :: v_dual_mov_b32 v122, 24
	;; [unrolled: 1-line block ×5, first 2 shown]
	v_mov_b32_e32 v115, 0x50
	v_mov_b32_e32 v114, 0x58
	;; [unrolled: 1-line block ×22, first 2 shown]
	s_mov_b32 s18, -1
.LBB194_34:                             ;   Parent Loop BB194_28 Depth=1
                                        ; =>  This Inner Loop Header: Depth=2
	scratch_load_b64 v[130:131], v125, off
	s_cmp_eq_u32 s8, 1
	s_waitcnt lgkmcnt(16)
	v_max_f64 v[128:129], v[0:1], v[0:1]
	s_cselect_b32 vcc_lo, -1, 0
	s_mov_b64 s[8:9], 1
	s_waitcnt lgkmcnt(0)
	v_dual_cndmask_b32 v127, v65, v67 :: v_dual_cndmask_b32 v126, v64, v66
	s_and_b32 vcc_lo, exec_lo, s18
	s_mov_b32 s18, 0
	s_delay_alu instid0(VALU_DEP_1) | instskip(NEXT) | instid1(VALU_DEP_1)
	v_max_f64 v[126:127], v[126:127], v[126:127]
	v_min_f64 v[128:129], v[128:129], v[126:127]
	s_waitcnt vmcnt(0)
	s_delay_alu instid0(VALU_DEP_1) | instskip(SKIP_3) | instid1(VALU_DEP_1)
	v_add_f64 v[128:129], v[130:131], v[128:129]
	scratch_load_b64 v[130:131], v124, off
	scratch_store_b64 v125, v[128:129], off
	v_max_f64 v[128:129], v[2:3], v[2:3]
	v_min_f64 v[128:129], v[128:129], v[126:127]
	s_waitcnt vmcnt(0)
	s_delay_alu instid0(VALU_DEP_1) | instskip(SKIP_3) | instid1(VALU_DEP_1)
	v_add_f64 v[128:129], v[128:129], v[130:131]
	scratch_store_b64 v124, v[128:129], off
	scratch_load_b64 v[128:129], v123, off
	v_max_f64 v[124:125], v[4:5], v[4:5]
	v_min_f64 v[124:125], v[124:125], v[126:127]
	s_waitcnt vmcnt(0)
	s_delay_alu instid0(VALU_DEP_1) | instskip(SKIP_3) | instid1(VALU_DEP_1)
	v_add_f64 v[124:125], v[124:125], v[128:129]
	scratch_load_b64 v[128:129], v122, off
	scratch_store_b64 v123, v[124:125], off
	v_max_f64 v[123:124], v[6:7], v[6:7]
	v_min_f64 v[123:124], v[123:124], v[126:127]
	s_waitcnt vmcnt(0)
	s_delay_alu instid0(VALU_DEP_1) | instskip(SKIP_3) | instid1(VALU_DEP_1)
	v_add_f64 v[123:124], v[123:124], v[128:129]
	scratch_store_b64 v122, v[123:124], off
	scratch_load_b64 v[124:125], v121, off
	v_max_f64 v[122:123], v[8:9], v[8:9]
	v_min_f64 v[122:123], v[122:123], v[126:127]
	s_waitcnt vmcnt(0)
	s_delay_alu instid0(VALU_DEP_1) | instskip(SKIP_4) | instid1(VALU_DEP_1)
	v_add_f64 v[122:123], v[122:123], v[124:125]
	v_mov_b32_e32 v125, 0x100
	scratch_store_b64 v121, v[122:123], off
	scratch_load_b64 v[123:124], v120, off
	v_max_f64 v[121:122], v[10:11], v[10:11]
	v_min_f64 v[121:122], v[121:122], v[126:127]
	s_waitcnt vmcnt(0)
	s_delay_alu instid0(VALU_DEP_1) | instskip(SKIP_4) | instid1(VALU_DEP_1)
	v_add_f64 v[121:122], v[121:122], v[123:124]
	v_mov_b32_e32 v124, 0x108
	;; [unrolled: 8-line block ×27, first 2 shown]
	scratch_store_b64 v95, v[96:97], off
	scratch_load_b64 v[97:98], v94, off
	v_max_f64 v[95:96], v[62:63], v[62:63]
	v_min_f64 v[95:96], v[95:96], v[126:127]
	s_waitcnt vmcnt(0)
	s_delay_alu instid0(VALU_DEP_1)
	v_add_f64 v[95:96], v[95:96], v[97:98]
	v_mov_b32_e32 v98, 0x1d8
	v_mov_b32_e32 v97, 0x1e0
	scratch_store_b64 v94, v[95:96], off
	v_mov_b32_e32 v96, 0x1e8
	v_mov_b32_e32 v95, 0x1f0
	;; [unrolled: 1-line block ×3, first 2 shown]
	s_cbranch_vccnz .LBB194_34
; %bb.35:                               ;   in Loop: Header=BB194_28 Depth=1
	ds_load_2addr_b64 v[0:3], v78 offset0:1 offset1:17
	ds_load_2addr_b64 v[4:7], v78 offset0:33 offset1:49
	ds_load_2addr_b64 v[8:11], v78 offset0:65 offset1:81
	ds_load_2addr_b64 v[12:15], v78 offset0:97 offset1:113
	ds_load_2addr_b64 v[16:19], v78 offset0:129 offset1:145
	ds_load_2addr_b64 v[20:23], v78 offset0:161 offset1:177
	ds_load_2addr_b64 v[24:27], v78 offset0:193 offset1:209
	ds_load_2addr_b64 v[28:31], v78 offset0:225 offset1:241
	ds_load_2addr_b64 v[32:35], v93 offset0:1 offset1:17
	ds_load_2addr_b64 v[36:39], v93 offset0:33 offset1:49
	ds_load_2addr_b64 v[40:43], v93 offset0:65 offset1:81
	ds_load_2addr_b64 v[44:47], v93 offset0:97 offset1:113
	v_dual_mov_b32 v125, 0 :: v_dual_add_nc_u32 v64, 8, v79
	ds_load_2addr_b64 v[48:51], v93 offset0:129 offset1:145
	ds_load_2addr_b64 v[52:55], v93 offset0:161 offset1:177
	;; [unrolled: 1-line block ×4, first 2 shown]
	ds_load_2addr_stride64_b64 v[64:67], v64 offset1:4
	v_dual_mov_b32 v124, 8 :: v_dual_mov_b32 v123, 16
	v_dual_mov_b32 v122, 24 :: v_dual_mov_b32 v121, 32
	;; [unrolled: 1-line block ×4, first 2 shown]
	v_mov_b32_e32 v116, 0x48
	v_mov_b32_e32 v115, 0x50
	v_mov_b32_e32 v114, 0x58
	v_mov_b32_e32 v113, 0x60
	v_mov_b32_e32 v112, 0x68
	v_mov_b32_e32 v111, 0x70
	v_mov_b32_e32 v110, 0x78
	v_mov_b32_e32 v109, 0x80
	v_mov_b32_e32 v108, 0x88
	v_mov_b32_e32 v107, 0x90
	v_mov_b32_e32 v106, 0x98
	v_mov_b32_e32 v105, 0xa0
	v_mov_b32_e32 v104, 0xa8
	v_mov_b32_e32 v103, 0xb0
	v_mov_b32_e32 v102, 0xb8
	v_mov_b32_e32 v101, 0xc0
	v_mov_b32_e32 v100, 0xc8
	v_mov_b32_e32 v99, 0xd0
	v_mov_b32_e32 v98, 0xd8
	v_mov_b32_e32 v97, 0xe0
	v_mov_b32_e32 v96, 0xe8
	v_mov_b32_e32 v95, 0xf0
	v_mov_b32_e32 v94, 0xf8
	s_mov_b64 s[8:9], 0
	s_mov_b32 s18, -1
.LBB194_36:                             ;   Parent Loop BB194_28 Depth=1
                                        ; =>  This Inner Loop Header: Depth=2
	scratch_load_b64 v[130:131], v125, off
	s_cmp_eq_u32 s8, 1
	s_waitcnt lgkmcnt(16)
	v_max_f64 v[128:129], v[0:1], v[0:1]
	s_cselect_b32 vcc_lo, -1, 0
	s_mov_b64 s[8:9], 1
	s_waitcnt lgkmcnt(0)
	v_dual_cndmask_b32 v127, v65, v67 :: v_dual_cndmask_b32 v126, v64, v66
	s_and_b32 vcc_lo, exec_lo, s18
	s_mov_b32 s18, 0
	s_delay_alu instid0(VALU_DEP_1) | instskip(NEXT) | instid1(VALU_DEP_1)
	v_max_f64 v[126:127], v[126:127], v[126:127]
	v_min_f64 v[128:129], v[128:129], v[126:127]
	s_waitcnt vmcnt(0)
	s_delay_alu instid0(VALU_DEP_1) | instskip(SKIP_3) | instid1(VALU_DEP_1)
	v_add_f64 v[128:129], v[130:131], v[128:129]
	scratch_load_b64 v[130:131], v124, off
	scratch_store_b64 v125, v[128:129], off
	v_max_f64 v[128:129], v[2:3], v[2:3]
	v_min_f64 v[128:129], v[128:129], v[126:127]
	s_waitcnt vmcnt(0)
	s_delay_alu instid0(VALU_DEP_1) | instskip(SKIP_3) | instid1(VALU_DEP_1)
	v_add_f64 v[128:129], v[128:129], v[130:131]
	scratch_store_b64 v124, v[128:129], off
	scratch_load_b64 v[128:129], v123, off
	v_max_f64 v[124:125], v[4:5], v[4:5]
	v_min_f64 v[124:125], v[124:125], v[126:127]
	s_waitcnt vmcnt(0)
	s_delay_alu instid0(VALU_DEP_1) | instskip(SKIP_3) | instid1(VALU_DEP_1)
	v_add_f64 v[124:125], v[124:125], v[128:129]
	scratch_load_b64 v[128:129], v122, off
	scratch_store_b64 v123, v[124:125], off
	v_max_f64 v[123:124], v[6:7], v[6:7]
	v_min_f64 v[123:124], v[123:124], v[126:127]
	s_waitcnt vmcnt(0)
	s_delay_alu instid0(VALU_DEP_1) | instskip(SKIP_3) | instid1(VALU_DEP_1)
	v_add_f64 v[123:124], v[123:124], v[128:129]
	scratch_store_b64 v122, v[123:124], off
	scratch_load_b64 v[124:125], v121, off
	v_max_f64 v[122:123], v[8:9], v[8:9]
	v_min_f64 v[122:123], v[122:123], v[126:127]
	s_waitcnt vmcnt(0)
	s_delay_alu instid0(VALU_DEP_1) | instskip(SKIP_4) | instid1(VALU_DEP_1)
	v_add_f64 v[122:123], v[122:123], v[124:125]
	v_mov_b32_e32 v125, 0x100
	scratch_store_b64 v121, v[122:123], off
	scratch_load_b64 v[123:124], v120, off
	v_max_f64 v[121:122], v[10:11], v[10:11]
	v_min_f64 v[121:122], v[121:122], v[126:127]
	s_waitcnt vmcnt(0)
	s_delay_alu instid0(VALU_DEP_1) | instskip(SKIP_4) | instid1(VALU_DEP_1)
	v_add_f64 v[121:122], v[121:122], v[123:124]
	v_mov_b32_e32 v124, 0x108
	scratch_store_b64 v120, v[121:122], off
	scratch_load_b64 v[122:123], v119, off
	v_max_f64 v[120:121], v[12:13], v[12:13]
	v_min_f64 v[120:121], v[120:121], v[126:127]
	s_waitcnt vmcnt(0)
	s_delay_alu instid0(VALU_DEP_1) | instskip(SKIP_4) | instid1(VALU_DEP_1)
	v_add_f64 v[120:121], v[120:121], v[122:123]
	v_mov_b32_e32 v123, 0x110
	scratch_store_b64 v119, v[120:121], off
	scratch_load_b64 v[121:122], v118, off
	v_max_f64 v[119:120], v[14:15], v[14:15]
	v_min_f64 v[119:120], v[119:120], v[126:127]
	s_waitcnt vmcnt(0)
	s_delay_alu instid0(VALU_DEP_1) | instskip(SKIP_4) | instid1(VALU_DEP_1)
	v_add_f64 v[119:120], v[119:120], v[121:122]
	v_mov_b32_e32 v122, 0x118
	scratch_store_b64 v118, v[119:120], off
	scratch_load_b64 v[120:121], v117, off
	v_max_f64 v[118:119], v[16:17], v[16:17]
	v_min_f64 v[118:119], v[118:119], v[126:127]
	s_waitcnt vmcnt(0)
	s_delay_alu instid0(VALU_DEP_1) | instskip(SKIP_4) | instid1(VALU_DEP_1)
	v_add_f64 v[118:119], v[118:119], v[120:121]
	v_mov_b32_e32 v121, 0x120
	scratch_store_b64 v117, v[118:119], off
	scratch_load_b64 v[119:120], v116, off
	v_max_f64 v[117:118], v[18:19], v[18:19]
	v_min_f64 v[117:118], v[117:118], v[126:127]
	s_waitcnt vmcnt(0)
	s_delay_alu instid0(VALU_DEP_1) | instskip(SKIP_4) | instid1(VALU_DEP_1)
	v_add_f64 v[117:118], v[117:118], v[119:120]
	v_mov_b32_e32 v120, 0x128
	scratch_store_b64 v116, v[117:118], off
	scratch_load_b64 v[118:119], v115, off
	v_max_f64 v[116:117], v[20:21], v[20:21]
	v_min_f64 v[116:117], v[116:117], v[126:127]
	s_waitcnt vmcnt(0)
	s_delay_alu instid0(VALU_DEP_1) | instskip(SKIP_4) | instid1(VALU_DEP_1)
	v_add_f64 v[116:117], v[116:117], v[118:119]
	v_mov_b32_e32 v119, 0x130
	scratch_store_b64 v115, v[116:117], off
	scratch_load_b64 v[117:118], v114, off
	v_max_f64 v[115:116], v[22:23], v[22:23]
	v_min_f64 v[115:116], v[115:116], v[126:127]
	s_waitcnt vmcnt(0)
	s_delay_alu instid0(VALU_DEP_1) | instskip(SKIP_4) | instid1(VALU_DEP_1)
	v_add_f64 v[115:116], v[115:116], v[117:118]
	v_mov_b32_e32 v118, 0x138
	scratch_store_b64 v114, v[115:116], off
	scratch_load_b64 v[116:117], v113, off
	v_max_f64 v[114:115], v[24:25], v[24:25]
	v_min_f64 v[114:115], v[114:115], v[126:127]
	s_waitcnt vmcnt(0)
	s_delay_alu instid0(VALU_DEP_1) | instskip(SKIP_4) | instid1(VALU_DEP_1)
	v_add_f64 v[114:115], v[114:115], v[116:117]
	v_mov_b32_e32 v117, 0x140
	scratch_store_b64 v113, v[114:115], off
	scratch_load_b64 v[115:116], v112, off
	v_max_f64 v[113:114], v[26:27], v[26:27]
	v_min_f64 v[113:114], v[113:114], v[126:127]
	s_waitcnt vmcnt(0)
	s_delay_alu instid0(VALU_DEP_1) | instskip(SKIP_4) | instid1(VALU_DEP_1)
	v_add_f64 v[113:114], v[113:114], v[115:116]
	v_mov_b32_e32 v116, 0x148
	scratch_store_b64 v112, v[113:114], off
	scratch_load_b64 v[114:115], v111, off
	v_max_f64 v[112:113], v[28:29], v[28:29]
	v_min_f64 v[112:113], v[112:113], v[126:127]
	s_waitcnt vmcnt(0)
	s_delay_alu instid0(VALU_DEP_1) | instskip(SKIP_4) | instid1(VALU_DEP_1)
	v_add_f64 v[112:113], v[112:113], v[114:115]
	v_mov_b32_e32 v115, 0x150
	scratch_store_b64 v111, v[112:113], off
	scratch_load_b64 v[113:114], v110, off
	v_max_f64 v[111:112], v[30:31], v[30:31]
	v_min_f64 v[111:112], v[111:112], v[126:127]
	s_waitcnt vmcnt(0)
	s_delay_alu instid0(VALU_DEP_1) | instskip(SKIP_4) | instid1(VALU_DEP_1)
	v_add_f64 v[111:112], v[111:112], v[113:114]
	v_mov_b32_e32 v114, 0x158
	scratch_store_b64 v110, v[111:112], off
	scratch_load_b64 v[112:113], v109, off
	v_max_f64 v[110:111], v[32:33], v[32:33]
	v_min_f64 v[110:111], v[110:111], v[126:127]
	s_waitcnt vmcnt(0)
	s_delay_alu instid0(VALU_DEP_1) | instskip(SKIP_4) | instid1(VALU_DEP_1)
	v_add_f64 v[110:111], v[110:111], v[112:113]
	v_mov_b32_e32 v113, 0x160
	scratch_store_b64 v109, v[110:111], off
	scratch_load_b64 v[111:112], v108, off
	v_max_f64 v[109:110], v[34:35], v[34:35]
	v_min_f64 v[109:110], v[109:110], v[126:127]
	s_waitcnt vmcnt(0)
	s_delay_alu instid0(VALU_DEP_1) | instskip(SKIP_4) | instid1(VALU_DEP_1)
	v_add_f64 v[109:110], v[109:110], v[111:112]
	v_mov_b32_e32 v112, 0x168
	scratch_store_b64 v108, v[109:110], off
	scratch_load_b64 v[110:111], v107, off
	v_max_f64 v[108:109], v[36:37], v[36:37]
	v_min_f64 v[108:109], v[108:109], v[126:127]
	s_waitcnt vmcnt(0)
	s_delay_alu instid0(VALU_DEP_1) | instskip(SKIP_4) | instid1(VALU_DEP_1)
	v_add_f64 v[108:109], v[108:109], v[110:111]
	v_mov_b32_e32 v111, 0x170
	scratch_store_b64 v107, v[108:109], off
	scratch_load_b64 v[109:110], v106, off
	v_max_f64 v[107:108], v[38:39], v[38:39]
	v_min_f64 v[107:108], v[107:108], v[126:127]
	s_waitcnt vmcnt(0)
	s_delay_alu instid0(VALU_DEP_1) | instskip(SKIP_4) | instid1(VALU_DEP_1)
	v_add_f64 v[107:108], v[107:108], v[109:110]
	v_mov_b32_e32 v110, 0x178
	scratch_store_b64 v106, v[107:108], off
	scratch_load_b64 v[108:109], v105, off
	v_max_f64 v[106:107], v[40:41], v[40:41]
	v_min_f64 v[106:107], v[106:107], v[126:127]
	s_waitcnt vmcnt(0)
	s_delay_alu instid0(VALU_DEP_1) | instskip(SKIP_4) | instid1(VALU_DEP_1)
	v_add_f64 v[106:107], v[106:107], v[108:109]
	v_mov_b32_e32 v109, 0x180
	scratch_store_b64 v105, v[106:107], off
	scratch_load_b64 v[107:108], v104, off
	v_max_f64 v[105:106], v[42:43], v[42:43]
	v_min_f64 v[105:106], v[105:106], v[126:127]
	s_waitcnt vmcnt(0)
	s_delay_alu instid0(VALU_DEP_1) | instskip(SKIP_4) | instid1(VALU_DEP_1)
	v_add_f64 v[105:106], v[105:106], v[107:108]
	v_mov_b32_e32 v108, 0x188
	scratch_store_b64 v104, v[105:106], off
	scratch_load_b64 v[106:107], v103, off
	v_max_f64 v[104:105], v[44:45], v[44:45]
	v_min_f64 v[104:105], v[104:105], v[126:127]
	s_waitcnt vmcnt(0)
	s_delay_alu instid0(VALU_DEP_1) | instskip(SKIP_4) | instid1(VALU_DEP_1)
	v_add_f64 v[104:105], v[104:105], v[106:107]
	v_mov_b32_e32 v107, 0x190
	scratch_store_b64 v103, v[104:105], off
	scratch_load_b64 v[105:106], v102, off
	v_max_f64 v[103:104], v[46:47], v[46:47]
	v_min_f64 v[103:104], v[103:104], v[126:127]
	s_waitcnt vmcnt(0)
	s_delay_alu instid0(VALU_DEP_1) | instskip(SKIP_4) | instid1(VALU_DEP_1)
	v_add_f64 v[103:104], v[103:104], v[105:106]
	v_mov_b32_e32 v106, 0x198
	scratch_store_b64 v102, v[103:104], off
	scratch_load_b64 v[104:105], v101, off
	v_max_f64 v[102:103], v[48:49], v[48:49]
	v_min_f64 v[102:103], v[102:103], v[126:127]
	s_waitcnt vmcnt(0)
	s_delay_alu instid0(VALU_DEP_1) | instskip(SKIP_4) | instid1(VALU_DEP_1)
	v_add_f64 v[102:103], v[102:103], v[104:105]
	v_mov_b32_e32 v105, 0x1a0
	scratch_store_b64 v101, v[102:103], off
	scratch_load_b64 v[103:104], v100, off
	v_max_f64 v[101:102], v[50:51], v[50:51]
	v_min_f64 v[101:102], v[101:102], v[126:127]
	s_waitcnt vmcnt(0)
	s_delay_alu instid0(VALU_DEP_1) | instskip(SKIP_4) | instid1(VALU_DEP_1)
	v_add_f64 v[101:102], v[101:102], v[103:104]
	v_mov_b32_e32 v104, 0x1a8
	scratch_store_b64 v100, v[101:102], off
	scratch_load_b64 v[102:103], v99, off
	v_max_f64 v[100:101], v[52:53], v[52:53]
	v_min_f64 v[100:101], v[100:101], v[126:127]
	s_waitcnt vmcnt(0)
	s_delay_alu instid0(VALU_DEP_1) | instskip(SKIP_4) | instid1(VALU_DEP_1)
	v_add_f64 v[100:101], v[100:101], v[102:103]
	v_mov_b32_e32 v103, 0x1b0
	scratch_store_b64 v99, v[100:101], off
	scratch_load_b64 v[101:102], v98, off
	v_max_f64 v[99:100], v[54:55], v[54:55]
	v_min_f64 v[99:100], v[99:100], v[126:127]
	s_waitcnt vmcnt(0)
	s_delay_alu instid0(VALU_DEP_1) | instskip(SKIP_4) | instid1(VALU_DEP_1)
	v_add_f64 v[99:100], v[99:100], v[101:102]
	v_mov_b32_e32 v102, 0x1b8
	scratch_store_b64 v98, v[99:100], off
	scratch_load_b64 v[100:101], v97, off
	v_max_f64 v[98:99], v[56:57], v[56:57]
	v_min_f64 v[98:99], v[98:99], v[126:127]
	s_waitcnt vmcnt(0)
	s_delay_alu instid0(VALU_DEP_1) | instskip(SKIP_4) | instid1(VALU_DEP_1)
	v_add_f64 v[98:99], v[98:99], v[100:101]
	v_mov_b32_e32 v101, 0x1c0
	scratch_store_b64 v97, v[98:99], off
	scratch_load_b64 v[99:100], v96, off
	v_max_f64 v[97:98], v[58:59], v[58:59]
	v_min_f64 v[97:98], v[97:98], v[126:127]
	s_waitcnt vmcnt(0)
	s_delay_alu instid0(VALU_DEP_1) | instskip(SKIP_4) | instid1(VALU_DEP_1)
	v_add_f64 v[97:98], v[97:98], v[99:100]
	v_mov_b32_e32 v100, 0x1c8
	scratch_store_b64 v96, v[97:98], off
	scratch_load_b64 v[98:99], v95, off
	v_max_f64 v[96:97], v[60:61], v[60:61]
	v_min_f64 v[96:97], v[96:97], v[126:127]
	s_waitcnt vmcnt(0)
	s_delay_alu instid0(VALU_DEP_1) | instskip(SKIP_4) | instid1(VALU_DEP_1)
	v_add_f64 v[96:97], v[96:97], v[98:99]
	v_mov_b32_e32 v99, 0x1d0
	scratch_store_b64 v95, v[96:97], off
	scratch_load_b64 v[97:98], v94, off
	v_max_f64 v[95:96], v[62:63], v[62:63]
	v_min_f64 v[95:96], v[95:96], v[126:127]
	s_waitcnt vmcnt(0)
	s_delay_alu instid0(VALU_DEP_1)
	v_add_f64 v[95:96], v[95:96], v[97:98]
	v_mov_b32_e32 v98, 0x1d8
	v_mov_b32_e32 v97, 0x1e0
	scratch_store_b64 v94, v[95:96], off
	v_mov_b32_e32 v96, 0x1e8
	v_mov_b32_e32 v95, 0x1f0
	;; [unrolled: 1-line block ×3, first 2 shown]
	s_cbranch_vccnz .LBB194_36
; %bb.37:                               ;   in Loop: Header=BB194_28 Depth=1
	ds_load_2addr_b64 v[0:3], v78 offset0:2 offset1:18
	ds_load_2addr_b64 v[4:7], v78 offset0:34 offset1:50
	;; [unrolled: 1-line block ×12, first 2 shown]
	v_dual_mov_b32 v125, 0 :: v_dual_add_nc_u32 v64, 16, v79
	ds_load_2addr_b64 v[48:51], v93 offset0:130 offset1:146
	ds_load_2addr_b64 v[52:55], v93 offset0:162 offset1:178
	;; [unrolled: 1-line block ×4, first 2 shown]
	ds_load_2addr_stride64_b64 v[64:67], v64 offset1:4
	v_dual_mov_b32 v124, 8 :: v_dual_mov_b32 v123, 16
	v_dual_mov_b32 v122, 24 :: v_dual_mov_b32 v121, 32
	v_dual_mov_b32 v120, 40 :: v_dual_mov_b32 v119, 48
	v_dual_mov_b32 v118, 56 :: v_dual_mov_b32 v117, 64
	v_mov_b32_e32 v116, 0x48
	v_mov_b32_e32 v115, 0x50
	;; [unrolled: 1-line block ×23, first 2 shown]
	s_mov_b64 s[8:9], 0
	s_mov_b32 s18, -1
.LBB194_38:                             ;   Parent Loop BB194_28 Depth=1
                                        ; =>  This Inner Loop Header: Depth=2
	scratch_load_b64 v[130:131], v125, off
	s_cmp_eq_u32 s8, 1
	s_waitcnt lgkmcnt(16)
	v_max_f64 v[128:129], v[0:1], v[0:1]
	s_cselect_b32 vcc_lo, -1, 0
	s_mov_b64 s[8:9], 1
	s_waitcnt lgkmcnt(0)
	v_dual_cndmask_b32 v127, v65, v67 :: v_dual_cndmask_b32 v126, v64, v66
	s_and_b32 vcc_lo, exec_lo, s18
	s_mov_b32 s18, 0
	s_delay_alu instid0(VALU_DEP_1) | instskip(NEXT) | instid1(VALU_DEP_1)
	v_max_f64 v[126:127], v[126:127], v[126:127]
	v_min_f64 v[128:129], v[128:129], v[126:127]
	s_waitcnt vmcnt(0)
	s_delay_alu instid0(VALU_DEP_1) | instskip(SKIP_3) | instid1(VALU_DEP_1)
	v_add_f64 v[128:129], v[130:131], v[128:129]
	scratch_load_b64 v[130:131], v124, off
	scratch_store_b64 v125, v[128:129], off
	v_max_f64 v[128:129], v[2:3], v[2:3]
	v_min_f64 v[128:129], v[128:129], v[126:127]
	s_waitcnt vmcnt(0)
	s_delay_alu instid0(VALU_DEP_1) | instskip(SKIP_3) | instid1(VALU_DEP_1)
	v_add_f64 v[128:129], v[128:129], v[130:131]
	scratch_store_b64 v124, v[128:129], off
	scratch_load_b64 v[128:129], v123, off
	v_max_f64 v[124:125], v[4:5], v[4:5]
	v_min_f64 v[124:125], v[124:125], v[126:127]
	s_waitcnt vmcnt(0)
	s_delay_alu instid0(VALU_DEP_1) | instskip(SKIP_3) | instid1(VALU_DEP_1)
	v_add_f64 v[124:125], v[124:125], v[128:129]
	scratch_load_b64 v[128:129], v122, off
	scratch_store_b64 v123, v[124:125], off
	v_max_f64 v[123:124], v[6:7], v[6:7]
	v_min_f64 v[123:124], v[123:124], v[126:127]
	s_waitcnt vmcnt(0)
	s_delay_alu instid0(VALU_DEP_1) | instskip(SKIP_3) | instid1(VALU_DEP_1)
	v_add_f64 v[123:124], v[123:124], v[128:129]
	scratch_store_b64 v122, v[123:124], off
	scratch_load_b64 v[124:125], v121, off
	v_max_f64 v[122:123], v[8:9], v[8:9]
	v_min_f64 v[122:123], v[122:123], v[126:127]
	s_waitcnt vmcnt(0)
	s_delay_alu instid0(VALU_DEP_1) | instskip(SKIP_4) | instid1(VALU_DEP_1)
	v_add_f64 v[122:123], v[122:123], v[124:125]
	v_mov_b32_e32 v125, 0x100
	scratch_store_b64 v121, v[122:123], off
	scratch_load_b64 v[123:124], v120, off
	v_max_f64 v[121:122], v[10:11], v[10:11]
	v_min_f64 v[121:122], v[121:122], v[126:127]
	s_waitcnt vmcnt(0)
	s_delay_alu instid0(VALU_DEP_1) | instskip(SKIP_4) | instid1(VALU_DEP_1)
	v_add_f64 v[121:122], v[121:122], v[123:124]
	v_mov_b32_e32 v124, 0x108
	;; [unrolled: 8-line block ×27, first 2 shown]
	scratch_store_b64 v95, v[96:97], off
	scratch_load_b64 v[97:98], v94, off
	v_max_f64 v[95:96], v[62:63], v[62:63]
	v_min_f64 v[95:96], v[95:96], v[126:127]
	s_waitcnt vmcnt(0)
	s_delay_alu instid0(VALU_DEP_1)
	v_add_f64 v[95:96], v[95:96], v[97:98]
	v_mov_b32_e32 v98, 0x1d8
	v_mov_b32_e32 v97, 0x1e0
	scratch_store_b64 v94, v[95:96], off
	v_mov_b32_e32 v96, 0x1e8
	v_mov_b32_e32 v95, 0x1f0
	v_mov_b32_e32 v94, 0x1f8
	s_cbranch_vccnz .LBB194_38
; %bb.39:                               ;   in Loop: Header=BB194_28 Depth=1
	ds_load_2addr_b64 v[0:3], v78 offset0:3 offset1:19
	ds_load_2addr_b64 v[4:7], v78 offset0:35 offset1:51
	;; [unrolled: 1-line block ×12, first 2 shown]
	v_dual_mov_b32 v125, 0 :: v_dual_add_nc_u32 v64, 24, v79
	ds_load_2addr_b64 v[48:51], v93 offset0:131 offset1:147
	ds_load_2addr_b64 v[52:55], v93 offset0:163 offset1:179
	;; [unrolled: 1-line block ×4, first 2 shown]
	ds_load_2addr_stride64_b64 v[64:67], v64 offset1:4
	v_dual_mov_b32 v124, 8 :: v_dual_mov_b32 v123, 16
	v_dual_mov_b32 v122, 24 :: v_dual_mov_b32 v121, 32
	;; [unrolled: 1-line block ×4, first 2 shown]
	v_mov_b32_e32 v116, 0x48
	v_mov_b32_e32 v115, 0x50
	;; [unrolled: 1-line block ×23, first 2 shown]
	s_mov_b64 s[8:9], 0
	s_mov_b32 s18, -1
.LBB194_40:                             ;   Parent Loop BB194_28 Depth=1
                                        ; =>  This Inner Loop Header: Depth=2
	scratch_load_b64 v[130:131], v125, off
	s_cmp_eq_u32 s8, 1
	s_waitcnt lgkmcnt(16)
	v_max_f64 v[128:129], v[0:1], v[0:1]
	s_cselect_b32 vcc_lo, -1, 0
	s_mov_b64 s[8:9], 1
	s_waitcnt lgkmcnt(0)
	v_dual_cndmask_b32 v127, v65, v67 :: v_dual_cndmask_b32 v126, v64, v66
	s_and_b32 vcc_lo, exec_lo, s18
	s_mov_b32 s18, 0
	s_delay_alu instid0(VALU_DEP_1) | instskip(NEXT) | instid1(VALU_DEP_1)
	v_max_f64 v[126:127], v[126:127], v[126:127]
	v_min_f64 v[128:129], v[128:129], v[126:127]
	s_waitcnt vmcnt(0)
	s_delay_alu instid0(VALU_DEP_1) | instskip(SKIP_3) | instid1(VALU_DEP_1)
	v_add_f64 v[128:129], v[130:131], v[128:129]
	scratch_load_b64 v[130:131], v124, off
	scratch_store_b64 v125, v[128:129], off
	v_max_f64 v[128:129], v[2:3], v[2:3]
	v_min_f64 v[128:129], v[128:129], v[126:127]
	s_waitcnt vmcnt(0)
	s_delay_alu instid0(VALU_DEP_1) | instskip(SKIP_3) | instid1(VALU_DEP_1)
	v_add_f64 v[128:129], v[128:129], v[130:131]
	scratch_store_b64 v124, v[128:129], off
	scratch_load_b64 v[128:129], v123, off
	v_max_f64 v[124:125], v[4:5], v[4:5]
	v_min_f64 v[124:125], v[124:125], v[126:127]
	s_waitcnt vmcnt(0)
	s_delay_alu instid0(VALU_DEP_1) | instskip(SKIP_3) | instid1(VALU_DEP_1)
	v_add_f64 v[124:125], v[124:125], v[128:129]
	scratch_load_b64 v[128:129], v122, off
	scratch_store_b64 v123, v[124:125], off
	v_max_f64 v[123:124], v[6:7], v[6:7]
	v_min_f64 v[123:124], v[123:124], v[126:127]
	s_waitcnt vmcnt(0)
	s_delay_alu instid0(VALU_DEP_1) | instskip(SKIP_3) | instid1(VALU_DEP_1)
	v_add_f64 v[123:124], v[123:124], v[128:129]
	scratch_store_b64 v122, v[123:124], off
	scratch_load_b64 v[124:125], v121, off
	v_max_f64 v[122:123], v[8:9], v[8:9]
	v_min_f64 v[122:123], v[122:123], v[126:127]
	s_waitcnt vmcnt(0)
	s_delay_alu instid0(VALU_DEP_1) | instskip(SKIP_4) | instid1(VALU_DEP_1)
	v_add_f64 v[122:123], v[122:123], v[124:125]
	v_mov_b32_e32 v125, 0x100
	scratch_store_b64 v121, v[122:123], off
	scratch_load_b64 v[123:124], v120, off
	v_max_f64 v[121:122], v[10:11], v[10:11]
	v_min_f64 v[121:122], v[121:122], v[126:127]
	s_waitcnt vmcnt(0)
	s_delay_alu instid0(VALU_DEP_1) | instskip(SKIP_4) | instid1(VALU_DEP_1)
	v_add_f64 v[121:122], v[121:122], v[123:124]
	v_mov_b32_e32 v124, 0x108
	scratch_store_b64 v120, v[121:122], off
	scratch_load_b64 v[122:123], v119, off
	v_max_f64 v[120:121], v[12:13], v[12:13]
	v_min_f64 v[120:121], v[120:121], v[126:127]
	s_waitcnt vmcnt(0)
	s_delay_alu instid0(VALU_DEP_1) | instskip(SKIP_4) | instid1(VALU_DEP_1)
	v_add_f64 v[120:121], v[120:121], v[122:123]
	v_mov_b32_e32 v123, 0x110
	scratch_store_b64 v119, v[120:121], off
	scratch_load_b64 v[121:122], v118, off
	v_max_f64 v[119:120], v[14:15], v[14:15]
	v_min_f64 v[119:120], v[119:120], v[126:127]
	s_waitcnt vmcnt(0)
	s_delay_alu instid0(VALU_DEP_1) | instskip(SKIP_4) | instid1(VALU_DEP_1)
	v_add_f64 v[119:120], v[119:120], v[121:122]
	v_mov_b32_e32 v122, 0x118
	scratch_store_b64 v118, v[119:120], off
	scratch_load_b64 v[120:121], v117, off
	v_max_f64 v[118:119], v[16:17], v[16:17]
	v_min_f64 v[118:119], v[118:119], v[126:127]
	s_waitcnt vmcnt(0)
	s_delay_alu instid0(VALU_DEP_1) | instskip(SKIP_4) | instid1(VALU_DEP_1)
	v_add_f64 v[118:119], v[118:119], v[120:121]
	v_mov_b32_e32 v121, 0x120
	scratch_store_b64 v117, v[118:119], off
	scratch_load_b64 v[119:120], v116, off
	v_max_f64 v[117:118], v[18:19], v[18:19]
	v_min_f64 v[117:118], v[117:118], v[126:127]
	s_waitcnt vmcnt(0)
	s_delay_alu instid0(VALU_DEP_1) | instskip(SKIP_4) | instid1(VALU_DEP_1)
	v_add_f64 v[117:118], v[117:118], v[119:120]
	v_mov_b32_e32 v120, 0x128
	scratch_store_b64 v116, v[117:118], off
	scratch_load_b64 v[118:119], v115, off
	v_max_f64 v[116:117], v[20:21], v[20:21]
	v_min_f64 v[116:117], v[116:117], v[126:127]
	s_waitcnt vmcnt(0)
	s_delay_alu instid0(VALU_DEP_1) | instskip(SKIP_4) | instid1(VALU_DEP_1)
	v_add_f64 v[116:117], v[116:117], v[118:119]
	v_mov_b32_e32 v119, 0x130
	scratch_store_b64 v115, v[116:117], off
	scratch_load_b64 v[117:118], v114, off
	v_max_f64 v[115:116], v[22:23], v[22:23]
	v_min_f64 v[115:116], v[115:116], v[126:127]
	s_waitcnt vmcnt(0)
	s_delay_alu instid0(VALU_DEP_1) | instskip(SKIP_4) | instid1(VALU_DEP_1)
	v_add_f64 v[115:116], v[115:116], v[117:118]
	v_mov_b32_e32 v118, 0x138
	scratch_store_b64 v114, v[115:116], off
	scratch_load_b64 v[116:117], v113, off
	v_max_f64 v[114:115], v[24:25], v[24:25]
	v_min_f64 v[114:115], v[114:115], v[126:127]
	s_waitcnt vmcnt(0)
	s_delay_alu instid0(VALU_DEP_1) | instskip(SKIP_4) | instid1(VALU_DEP_1)
	v_add_f64 v[114:115], v[114:115], v[116:117]
	v_mov_b32_e32 v117, 0x140
	scratch_store_b64 v113, v[114:115], off
	scratch_load_b64 v[115:116], v112, off
	v_max_f64 v[113:114], v[26:27], v[26:27]
	v_min_f64 v[113:114], v[113:114], v[126:127]
	s_waitcnt vmcnt(0)
	s_delay_alu instid0(VALU_DEP_1) | instskip(SKIP_4) | instid1(VALU_DEP_1)
	v_add_f64 v[113:114], v[113:114], v[115:116]
	v_mov_b32_e32 v116, 0x148
	scratch_store_b64 v112, v[113:114], off
	scratch_load_b64 v[114:115], v111, off
	v_max_f64 v[112:113], v[28:29], v[28:29]
	v_min_f64 v[112:113], v[112:113], v[126:127]
	s_waitcnt vmcnt(0)
	s_delay_alu instid0(VALU_DEP_1) | instskip(SKIP_4) | instid1(VALU_DEP_1)
	v_add_f64 v[112:113], v[112:113], v[114:115]
	v_mov_b32_e32 v115, 0x150
	scratch_store_b64 v111, v[112:113], off
	scratch_load_b64 v[113:114], v110, off
	v_max_f64 v[111:112], v[30:31], v[30:31]
	v_min_f64 v[111:112], v[111:112], v[126:127]
	s_waitcnt vmcnt(0)
	s_delay_alu instid0(VALU_DEP_1) | instskip(SKIP_4) | instid1(VALU_DEP_1)
	v_add_f64 v[111:112], v[111:112], v[113:114]
	v_mov_b32_e32 v114, 0x158
	scratch_store_b64 v110, v[111:112], off
	scratch_load_b64 v[112:113], v109, off
	v_max_f64 v[110:111], v[32:33], v[32:33]
	v_min_f64 v[110:111], v[110:111], v[126:127]
	s_waitcnt vmcnt(0)
	s_delay_alu instid0(VALU_DEP_1) | instskip(SKIP_4) | instid1(VALU_DEP_1)
	v_add_f64 v[110:111], v[110:111], v[112:113]
	v_mov_b32_e32 v113, 0x160
	scratch_store_b64 v109, v[110:111], off
	scratch_load_b64 v[111:112], v108, off
	v_max_f64 v[109:110], v[34:35], v[34:35]
	v_min_f64 v[109:110], v[109:110], v[126:127]
	s_waitcnt vmcnt(0)
	s_delay_alu instid0(VALU_DEP_1) | instskip(SKIP_4) | instid1(VALU_DEP_1)
	v_add_f64 v[109:110], v[109:110], v[111:112]
	v_mov_b32_e32 v112, 0x168
	scratch_store_b64 v108, v[109:110], off
	scratch_load_b64 v[110:111], v107, off
	v_max_f64 v[108:109], v[36:37], v[36:37]
	v_min_f64 v[108:109], v[108:109], v[126:127]
	s_waitcnt vmcnt(0)
	s_delay_alu instid0(VALU_DEP_1) | instskip(SKIP_4) | instid1(VALU_DEP_1)
	v_add_f64 v[108:109], v[108:109], v[110:111]
	v_mov_b32_e32 v111, 0x170
	scratch_store_b64 v107, v[108:109], off
	scratch_load_b64 v[109:110], v106, off
	v_max_f64 v[107:108], v[38:39], v[38:39]
	v_min_f64 v[107:108], v[107:108], v[126:127]
	s_waitcnt vmcnt(0)
	s_delay_alu instid0(VALU_DEP_1) | instskip(SKIP_4) | instid1(VALU_DEP_1)
	v_add_f64 v[107:108], v[107:108], v[109:110]
	v_mov_b32_e32 v110, 0x178
	scratch_store_b64 v106, v[107:108], off
	scratch_load_b64 v[108:109], v105, off
	v_max_f64 v[106:107], v[40:41], v[40:41]
	v_min_f64 v[106:107], v[106:107], v[126:127]
	s_waitcnt vmcnt(0)
	s_delay_alu instid0(VALU_DEP_1) | instskip(SKIP_4) | instid1(VALU_DEP_1)
	v_add_f64 v[106:107], v[106:107], v[108:109]
	v_mov_b32_e32 v109, 0x180
	scratch_store_b64 v105, v[106:107], off
	scratch_load_b64 v[107:108], v104, off
	v_max_f64 v[105:106], v[42:43], v[42:43]
	v_min_f64 v[105:106], v[105:106], v[126:127]
	s_waitcnt vmcnt(0)
	s_delay_alu instid0(VALU_DEP_1) | instskip(SKIP_4) | instid1(VALU_DEP_1)
	v_add_f64 v[105:106], v[105:106], v[107:108]
	v_mov_b32_e32 v108, 0x188
	scratch_store_b64 v104, v[105:106], off
	scratch_load_b64 v[106:107], v103, off
	v_max_f64 v[104:105], v[44:45], v[44:45]
	v_min_f64 v[104:105], v[104:105], v[126:127]
	s_waitcnt vmcnt(0)
	s_delay_alu instid0(VALU_DEP_1) | instskip(SKIP_4) | instid1(VALU_DEP_1)
	v_add_f64 v[104:105], v[104:105], v[106:107]
	v_mov_b32_e32 v107, 0x190
	scratch_store_b64 v103, v[104:105], off
	scratch_load_b64 v[105:106], v102, off
	v_max_f64 v[103:104], v[46:47], v[46:47]
	v_min_f64 v[103:104], v[103:104], v[126:127]
	s_waitcnt vmcnt(0)
	s_delay_alu instid0(VALU_DEP_1) | instskip(SKIP_4) | instid1(VALU_DEP_1)
	v_add_f64 v[103:104], v[103:104], v[105:106]
	v_mov_b32_e32 v106, 0x198
	scratch_store_b64 v102, v[103:104], off
	scratch_load_b64 v[104:105], v101, off
	v_max_f64 v[102:103], v[48:49], v[48:49]
	v_min_f64 v[102:103], v[102:103], v[126:127]
	s_waitcnt vmcnt(0)
	s_delay_alu instid0(VALU_DEP_1) | instskip(SKIP_4) | instid1(VALU_DEP_1)
	v_add_f64 v[102:103], v[102:103], v[104:105]
	v_mov_b32_e32 v105, 0x1a0
	scratch_store_b64 v101, v[102:103], off
	scratch_load_b64 v[103:104], v100, off
	v_max_f64 v[101:102], v[50:51], v[50:51]
	v_min_f64 v[101:102], v[101:102], v[126:127]
	s_waitcnt vmcnt(0)
	s_delay_alu instid0(VALU_DEP_1) | instskip(SKIP_4) | instid1(VALU_DEP_1)
	v_add_f64 v[101:102], v[101:102], v[103:104]
	v_mov_b32_e32 v104, 0x1a8
	scratch_store_b64 v100, v[101:102], off
	scratch_load_b64 v[102:103], v99, off
	v_max_f64 v[100:101], v[52:53], v[52:53]
	v_min_f64 v[100:101], v[100:101], v[126:127]
	s_waitcnt vmcnt(0)
	s_delay_alu instid0(VALU_DEP_1) | instskip(SKIP_4) | instid1(VALU_DEP_1)
	v_add_f64 v[100:101], v[100:101], v[102:103]
	v_mov_b32_e32 v103, 0x1b0
	scratch_store_b64 v99, v[100:101], off
	scratch_load_b64 v[101:102], v98, off
	v_max_f64 v[99:100], v[54:55], v[54:55]
	v_min_f64 v[99:100], v[99:100], v[126:127]
	s_waitcnt vmcnt(0)
	s_delay_alu instid0(VALU_DEP_1) | instskip(SKIP_4) | instid1(VALU_DEP_1)
	v_add_f64 v[99:100], v[99:100], v[101:102]
	v_mov_b32_e32 v102, 0x1b8
	scratch_store_b64 v98, v[99:100], off
	scratch_load_b64 v[100:101], v97, off
	v_max_f64 v[98:99], v[56:57], v[56:57]
	v_min_f64 v[98:99], v[98:99], v[126:127]
	s_waitcnt vmcnt(0)
	s_delay_alu instid0(VALU_DEP_1) | instskip(SKIP_4) | instid1(VALU_DEP_1)
	v_add_f64 v[98:99], v[98:99], v[100:101]
	v_mov_b32_e32 v101, 0x1c0
	scratch_store_b64 v97, v[98:99], off
	scratch_load_b64 v[99:100], v96, off
	v_max_f64 v[97:98], v[58:59], v[58:59]
	v_min_f64 v[97:98], v[97:98], v[126:127]
	s_waitcnt vmcnt(0)
	s_delay_alu instid0(VALU_DEP_1) | instskip(SKIP_4) | instid1(VALU_DEP_1)
	v_add_f64 v[97:98], v[97:98], v[99:100]
	v_mov_b32_e32 v100, 0x1c8
	scratch_store_b64 v96, v[97:98], off
	scratch_load_b64 v[98:99], v95, off
	v_max_f64 v[96:97], v[60:61], v[60:61]
	v_min_f64 v[96:97], v[96:97], v[126:127]
	s_waitcnt vmcnt(0)
	s_delay_alu instid0(VALU_DEP_1) | instskip(SKIP_4) | instid1(VALU_DEP_1)
	v_add_f64 v[96:97], v[96:97], v[98:99]
	v_mov_b32_e32 v99, 0x1d0
	scratch_store_b64 v95, v[96:97], off
	scratch_load_b64 v[97:98], v94, off
	v_max_f64 v[95:96], v[62:63], v[62:63]
	v_min_f64 v[95:96], v[95:96], v[126:127]
	s_waitcnt vmcnt(0)
	s_delay_alu instid0(VALU_DEP_1)
	v_add_f64 v[95:96], v[95:96], v[97:98]
	v_mov_b32_e32 v98, 0x1d8
	v_mov_b32_e32 v97, 0x1e0
	scratch_store_b64 v94, v[95:96], off
	v_mov_b32_e32 v96, 0x1e8
	v_mov_b32_e32 v95, 0x1f0
	v_mov_b32_e32 v94, 0x1f8
	s_cbranch_vccnz .LBB194_40
; %bb.41:                               ;   in Loop: Header=BB194_28 Depth=1
	v_add_nc_u32_e32 v0, s27, v83
	s_mov_b32 vcc_lo, s3
	ds_store_2addr_stride64_b64 v85, v[68:69], v[70:71] offset1:4
	ds_store_2addr_stride64_b64 v87, v[72:73], v[74:75] offset1:4
	s_waitcnt lgkmcnt(0)
	s_waitcnt_vscnt null, 0x0
	s_barrier
	buffer_gl0_inv
	s_cbranch_vccz .LBB194_44
; %bb.42:                               ;   in Loop: Header=BB194_28 Depth=1
	v_mad_u64_u32 v[1:2], null, v0, s23, 0
	s_delay_alu instid0(VALU_DEP_1) | instskip(NEXT) | instid1(VALU_DEP_1)
	v_mad_u64_u32 v[3:4], null, v0, s24, v[2:3]
	v_mov_b32_e32 v2, v3
	s_delay_alu instid0(VALU_DEP_1) | instskip(NEXT) | instid1(VALU_DEP_1)
	v_lshlrev_b64 v[1:2], 3, v[1:2]
	v_add_co_u32 v1, vcc_lo, v89, v1
	s_delay_alu instid0(VALU_DEP_2)
	v_add_co_ci_u32_e32 v2, vcc_lo, v90, v2, vcc_lo
	s_clause 0x1
	flat_load_b64 v[3:4], v[1:2]
	flat_load_b64 v[1:2], v[1:2] offset:512
	s_waitcnt vmcnt(1) lgkmcnt(1)
	v_mul_f64 v[68:69], v[3:4], s[16:17]
	s_waitcnt vmcnt(0) lgkmcnt(0)
	v_mul_f64 v[70:71], v[1:2], s[16:17]
	s_and_b32 vcc_lo, exec_lo, s2
	s_mov_b64 s[8:9], 0
	s_cbranch_vccnz .LBB194_45
.LBB194_43:                             ;   in Loop: Header=BB194_28 Depth=1
	v_mad_u64_u32 v[1:2], null, v0, s25, 0
	s_delay_alu instid0(VALU_DEP_1) | instskip(NEXT) | instid1(VALU_DEP_1)
	v_mad_u64_u32 v[3:4], null, v0, s26, v[2:3]
	v_mov_b32_e32 v2, v3
	s_delay_alu instid0(VALU_DEP_1) | instskip(NEXT) | instid1(VALU_DEP_1)
	v_lshlrev_b64 v[0:1], 3, v[1:2]
	v_add_co_u32 v0, vcc_lo, v91, v0
	s_delay_alu instid0(VALU_DEP_2)
	v_add_co_ci_u32_e32 v1, vcc_lo, v92, v1, vcc_lo
	s_clause 0x1
	flat_load_b64 v[2:3], v[0:1]
	flat_load_b64 v[0:1], v[0:1] offset:512
	s_waitcnt vmcnt(1) lgkmcnt(1)
	v_mul_f64 v[72:73], v[2:3], s[16:17]
	s_waitcnt vmcnt(0) lgkmcnt(0)
	v_mul_f64 v[74:75], v[0:1], s[16:17]
	s_branch .LBB194_46
.LBB194_44:                             ;   in Loop: Header=BB194_28 Depth=1
	v_mov_b32_e32 v68, 0
	v_dual_mov_b32 v69, 0 :: v_dual_mov_b32 v70, 0
	v_mov_b32_e32 v71, 0
	s_and_b32 vcc_lo, exec_lo, s2
	s_mov_b64 s[8:9], 0
	s_cbranch_vccz .LBB194_43
.LBB194_45:                             ;   in Loop: Header=BB194_28 Depth=1
	v_mov_b32_e32 v72, 0
	v_dual_mov_b32 v73, 0 :: v_dual_mov_b32 v74, 0
	v_mov_b32_e32 v75, 0
.LBB194_46:                             ;   in Loop: Header=BB194_28 Depth=1
	v_dual_mov_b32 v125, 8 :: v_dual_add_nc_u32 v94, 0x800, v84
	ds_load_2addr_b64 v[0:3], v84 offset1:16
	ds_load_2addr_b64 v[4:7], v84 offset0:32 offset1:48
	ds_load_2addr_b64 v[8:11], v84 offset0:64 offset1:80
	ds_load_2addr_b64 v[12:15], v84 offset0:96 offset1:112
	ds_load_2addr_b64 v[16:19], v84 offset0:128 offset1:144
	ds_load_2addr_b64 v[20:23], v84 offset0:160 offset1:176
	ds_load_2addr_b64 v[24:27], v84 offset0:192 offset1:208
	ds_load_2addr_b64 v[28:31], v84 offset0:224 offset1:240
	ds_load_2addr_b64 v[32:35], v94 offset1:16
	ds_load_2addr_b64 v[36:39], v94 offset0:32 offset1:48
	ds_load_2addr_b64 v[40:43], v94 offset0:64 offset1:80
	;; [unrolled: 1-line block ×7, first 2 shown]
	ds_load_2addr_stride64_b64 v[64:67], v88 offset1:4
	v_dual_mov_b32 v126, 0 :: v_dual_mov_b32 v123, 24
	v_dual_mov_b32 v124, 16 :: v_dual_mov_b32 v121, 40
	;; [unrolled: 1-line block ×5, first 2 shown]
	v_mov_b32_e32 v116, 0x50
	v_mov_b32_e32 v114, 0x60
	;; [unrolled: 1-line block ×21, first 2 shown]
	s_mov_b32 s18, -1
.LBB194_47:                             ;   Parent Loop BB194_28 Depth=1
                                        ; =>  This Inner Loop Header: Depth=2
	scratch_load_b64 v[131:132], v126, off
	s_cmp_eq_u32 s8, 1
	s_waitcnt lgkmcnt(16)
	v_max_f64 v[129:130], v[0:1], v[0:1]
	s_cselect_b32 vcc_lo, -1, 0
	s_mov_b64 s[8:9], 1
	s_waitcnt lgkmcnt(0)
	v_dual_cndmask_b32 v128, v65, v67 :: v_dual_cndmask_b32 v127, v64, v66
	s_and_b32 vcc_lo, exec_lo, s18
	s_mov_b32 s18, 0
	s_delay_alu instid0(VALU_DEP_1) | instskip(NEXT) | instid1(VALU_DEP_1)
	v_max_f64 v[127:128], v[127:128], v[127:128]
	v_min_f64 v[129:130], v[129:130], v[127:128]
	s_waitcnt vmcnt(0)
	s_delay_alu instid0(VALU_DEP_1) | instskip(SKIP_3) | instid1(VALU_DEP_1)
	v_add_f64 v[129:130], v[131:132], v[129:130]
	scratch_load_b64 v[131:132], v125, off
	scratch_store_b64 v126, v[129:130], off
	v_max_f64 v[129:130], v[2:3], v[2:3]
	v_min_f64 v[129:130], v[129:130], v[127:128]
	s_waitcnt vmcnt(0)
	s_delay_alu instid0(VALU_DEP_1) | instskip(SKIP_3) | instid1(VALU_DEP_1)
	v_add_f64 v[129:130], v[129:130], v[131:132]
	scratch_store_b64 v125, v[129:130], off
	scratch_load_b64 v[129:130], v124, off
	v_max_f64 v[125:126], v[4:5], v[4:5]
	v_min_f64 v[125:126], v[125:126], v[127:128]
	s_waitcnt vmcnt(0)
	s_delay_alu instid0(VALU_DEP_1) | instskip(SKIP_3) | instid1(VALU_DEP_1)
	v_add_f64 v[125:126], v[125:126], v[129:130]
	scratch_load_b64 v[129:130], v123, off
	scratch_store_b64 v124, v[125:126], off
	v_max_f64 v[124:125], v[6:7], v[6:7]
	v_min_f64 v[124:125], v[124:125], v[127:128]
	s_waitcnt vmcnt(0)
	s_delay_alu instid0(VALU_DEP_1) | instskip(SKIP_3) | instid1(VALU_DEP_1)
	v_add_f64 v[124:125], v[124:125], v[129:130]
	scratch_store_b64 v123, v[124:125], off
	scratch_load_b64 v[125:126], v122, off
	v_max_f64 v[123:124], v[8:9], v[8:9]
	v_min_f64 v[123:124], v[123:124], v[127:128]
	s_waitcnt vmcnt(0)
	s_delay_alu instid0(VALU_DEP_1) | instskip(SKIP_4) | instid1(VALU_DEP_1)
	v_add_f64 v[123:124], v[123:124], v[125:126]
	v_mov_b32_e32 v126, 0x100
	scratch_store_b64 v122, v[123:124], off
	scratch_load_b64 v[124:125], v121, off
	v_max_f64 v[122:123], v[10:11], v[10:11]
	v_min_f64 v[122:123], v[122:123], v[127:128]
	s_waitcnt vmcnt(0)
	s_delay_alu instid0(VALU_DEP_1) | instskip(SKIP_4) | instid1(VALU_DEP_1)
	v_add_f64 v[122:123], v[122:123], v[124:125]
	v_mov_b32_e32 v125, 0x108
	scratch_store_b64 v121, v[122:123], off
	scratch_load_b64 v[123:124], v120, off
	v_max_f64 v[121:122], v[12:13], v[12:13]
	v_min_f64 v[121:122], v[121:122], v[127:128]
	s_waitcnt vmcnt(0)
	s_delay_alu instid0(VALU_DEP_1) | instskip(SKIP_4) | instid1(VALU_DEP_1)
	v_add_f64 v[121:122], v[121:122], v[123:124]
	v_mov_b32_e32 v124, 0x110
	scratch_store_b64 v120, v[121:122], off
	scratch_load_b64 v[122:123], v119, off
	v_max_f64 v[120:121], v[14:15], v[14:15]
	v_min_f64 v[120:121], v[120:121], v[127:128]
	s_waitcnt vmcnt(0)
	s_delay_alu instid0(VALU_DEP_1) | instskip(SKIP_4) | instid1(VALU_DEP_1)
	v_add_f64 v[120:121], v[120:121], v[122:123]
	v_mov_b32_e32 v123, 0x118
	scratch_store_b64 v119, v[120:121], off
	scratch_load_b64 v[121:122], v118, off
	v_max_f64 v[119:120], v[16:17], v[16:17]
	v_min_f64 v[119:120], v[119:120], v[127:128]
	s_waitcnt vmcnt(0)
	s_delay_alu instid0(VALU_DEP_1) | instskip(SKIP_4) | instid1(VALU_DEP_1)
	v_add_f64 v[119:120], v[119:120], v[121:122]
	v_mov_b32_e32 v122, 0x120
	scratch_store_b64 v118, v[119:120], off
	scratch_load_b64 v[120:121], v117, off
	v_max_f64 v[118:119], v[18:19], v[18:19]
	v_min_f64 v[118:119], v[118:119], v[127:128]
	s_waitcnt vmcnt(0)
	s_delay_alu instid0(VALU_DEP_1) | instskip(SKIP_4) | instid1(VALU_DEP_1)
	v_add_f64 v[118:119], v[118:119], v[120:121]
	v_mov_b32_e32 v121, 0x128
	scratch_store_b64 v117, v[118:119], off
	scratch_load_b64 v[119:120], v116, off
	v_max_f64 v[117:118], v[20:21], v[20:21]
	v_min_f64 v[117:118], v[117:118], v[127:128]
	s_waitcnt vmcnt(0)
	s_delay_alu instid0(VALU_DEP_1) | instskip(SKIP_4) | instid1(VALU_DEP_1)
	v_add_f64 v[117:118], v[117:118], v[119:120]
	v_mov_b32_e32 v120, 0x130
	scratch_store_b64 v116, v[117:118], off
	scratch_load_b64 v[118:119], v115, off
	v_max_f64 v[116:117], v[22:23], v[22:23]
	v_min_f64 v[116:117], v[116:117], v[127:128]
	s_waitcnt vmcnt(0)
	s_delay_alu instid0(VALU_DEP_1) | instskip(SKIP_4) | instid1(VALU_DEP_1)
	v_add_f64 v[116:117], v[116:117], v[118:119]
	v_mov_b32_e32 v119, 0x138
	scratch_store_b64 v115, v[116:117], off
	scratch_load_b64 v[117:118], v114, off
	v_max_f64 v[115:116], v[24:25], v[24:25]
	v_min_f64 v[115:116], v[115:116], v[127:128]
	s_waitcnt vmcnt(0)
	s_delay_alu instid0(VALU_DEP_1) | instskip(SKIP_4) | instid1(VALU_DEP_1)
	v_add_f64 v[115:116], v[115:116], v[117:118]
	v_mov_b32_e32 v118, 0x140
	scratch_store_b64 v114, v[115:116], off
	scratch_load_b64 v[116:117], v113, off
	v_max_f64 v[114:115], v[26:27], v[26:27]
	v_min_f64 v[114:115], v[114:115], v[127:128]
	s_waitcnt vmcnt(0)
	s_delay_alu instid0(VALU_DEP_1) | instskip(SKIP_4) | instid1(VALU_DEP_1)
	v_add_f64 v[114:115], v[114:115], v[116:117]
	v_mov_b32_e32 v117, 0x148
	scratch_store_b64 v113, v[114:115], off
	scratch_load_b64 v[115:116], v112, off
	v_max_f64 v[113:114], v[28:29], v[28:29]
	v_min_f64 v[113:114], v[113:114], v[127:128]
	s_waitcnt vmcnt(0)
	s_delay_alu instid0(VALU_DEP_1) | instskip(SKIP_4) | instid1(VALU_DEP_1)
	v_add_f64 v[113:114], v[113:114], v[115:116]
	v_mov_b32_e32 v116, 0x150
	scratch_store_b64 v112, v[113:114], off
	scratch_load_b64 v[114:115], v111, off
	v_max_f64 v[112:113], v[30:31], v[30:31]
	v_min_f64 v[112:113], v[112:113], v[127:128]
	s_waitcnt vmcnt(0)
	s_delay_alu instid0(VALU_DEP_1) | instskip(SKIP_4) | instid1(VALU_DEP_1)
	v_add_f64 v[112:113], v[112:113], v[114:115]
	v_mov_b32_e32 v115, 0x158
	scratch_store_b64 v111, v[112:113], off
	scratch_load_b64 v[113:114], v110, off
	v_max_f64 v[111:112], v[32:33], v[32:33]
	v_min_f64 v[111:112], v[111:112], v[127:128]
	s_waitcnt vmcnt(0)
	s_delay_alu instid0(VALU_DEP_1) | instskip(SKIP_4) | instid1(VALU_DEP_1)
	v_add_f64 v[111:112], v[111:112], v[113:114]
	v_mov_b32_e32 v114, 0x160
	scratch_store_b64 v110, v[111:112], off
	scratch_load_b64 v[112:113], v109, off
	v_max_f64 v[110:111], v[34:35], v[34:35]
	v_min_f64 v[110:111], v[110:111], v[127:128]
	s_waitcnt vmcnt(0)
	s_delay_alu instid0(VALU_DEP_1) | instskip(SKIP_4) | instid1(VALU_DEP_1)
	v_add_f64 v[110:111], v[110:111], v[112:113]
	v_mov_b32_e32 v113, 0x168
	scratch_store_b64 v109, v[110:111], off
	scratch_load_b64 v[111:112], v108, off
	v_max_f64 v[109:110], v[36:37], v[36:37]
	v_min_f64 v[109:110], v[109:110], v[127:128]
	s_waitcnt vmcnt(0)
	s_delay_alu instid0(VALU_DEP_1) | instskip(SKIP_4) | instid1(VALU_DEP_1)
	v_add_f64 v[109:110], v[109:110], v[111:112]
	v_mov_b32_e32 v112, 0x170
	scratch_store_b64 v108, v[109:110], off
	scratch_load_b64 v[110:111], v107, off
	v_max_f64 v[108:109], v[38:39], v[38:39]
	v_min_f64 v[108:109], v[108:109], v[127:128]
	s_waitcnt vmcnt(0)
	s_delay_alu instid0(VALU_DEP_1) | instskip(SKIP_4) | instid1(VALU_DEP_1)
	v_add_f64 v[108:109], v[108:109], v[110:111]
	v_mov_b32_e32 v111, 0x178
	scratch_store_b64 v107, v[108:109], off
	scratch_load_b64 v[109:110], v106, off
	v_max_f64 v[107:108], v[40:41], v[40:41]
	v_min_f64 v[107:108], v[107:108], v[127:128]
	s_waitcnt vmcnt(0)
	s_delay_alu instid0(VALU_DEP_1) | instskip(SKIP_4) | instid1(VALU_DEP_1)
	v_add_f64 v[107:108], v[107:108], v[109:110]
	v_mov_b32_e32 v110, 0x180
	scratch_store_b64 v106, v[107:108], off
	scratch_load_b64 v[108:109], v105, off
	v_max_f64 v[106:107], v[42:43], v[42:43]
	v_min_f64 v[106:107], v[106:107], v[127:128]
	s_waitcnt vmcnt(0)
	s_delay_alu instid0(VALU_DEP_1) | instskip(SKIP_4) | instid1(VALU_DEP_1)
	v_add_f64 v[106:107], v[106:107], v[108:109]
	v_mov_b32_e32 v109, 0x188
	scratch_store_b64 v105, v[106:107], off
	scratch_load_b64 v[107:108], v104, off
	v_max_f64 v[105:106], v[44:45], v[44:45]
	v_min_f64 v[105:106], v[105:106], v[127:128]
	s_waitcnt vmcnt(0)
	s_delay_alu instid0(VALU_DEP_1) | instskip(SKIP_4) | instid1(VALU_DEP_1)
	v_add_f64 v[105:106], v[105:106], v[107:108]
	v_mov_b32_e32 v108, 0x190
	scratch_store_b64 v104, v[105:106], off
	scratch_load_b64 v[106:107], v103, off
	v_max_f64 v[104:105], v[46:47], v[46:47]
	v_min_f64 v[104:105], v[104:105], v[127:128]
	s_waitcnt vmcnt(0)
	s_delay_alu instid0(VALU_DEP_1) | instskip(SKIP_4) | instid1(VALU_DEP_1)
	v_add_f64 v[104:105], v[104:105], v[106:107]
	v_mov_b32_e32 v107, 0x198
	scratch_store_b64 v103, v[104:105], off
	scratch_load_b64 v[105:106], v102, off
	v_max_f64 v[103:104], v[48:49], v[48:49]
	v_min_f64 v[103:104], v[103:104], v[127:128]
	s_waitcnt vmcnt(0)
	s_delay_alu instid0(VALU_DEP_1) | instskip(SKIP_4) | instid1(VALU_DEP_1)
	v_add_f64 v[103:104], v[103:104], v[105:106]
	v_mov_b32_e32 v106, 0x1a0
	scratch_store_b64 v102, v[103:104], off
	scratch_load_b64 v[104:105], v101, off
	v_max_f64 v[102:103], v[50:51], v[50:51]
	v_min_f64 v[102:103], v[102:103], v[127:128]
	s_waitcnt vmcnt(0)
	s_delay_alu instid0(VALU_DEP_1) | instskip(SKIP_4) | instid1(VALU_DEP_1)
	v_add_f64 v[102:103], v[102:103], v[104:105]
	v_mov_b32_e32 v105, 0x1a8
	scratch_store_b64 v101, v[102:103], off
	scratch_load_b64 v[103:104], v100, off
	v_max_f64 v[101:102], v[52:53], v[52:53]
	v_min_f64 v[101:102], v[101:102], v[127:128]
	s_waitcnt vmcnt(0)
	s_delay_alu instid0(VALU_DEP_1) | instskip(SKIP_4) | instid1(VALU_DEP_1)
	v_add_f64 v[101:102], v[101:102], v[103:104]
	v_mov_b32_e32 v104, 0x1b0
	scratch_store_b64 v100, v[101:102], off
	scratch_load_b64 v[102:103], v99, off
	v_max_f64 v[100:101], v[54:55], v[54:55]
	v_min_f64 v[100:101], v[100:101], v[127:128]
	s_waitcnt vmcnt(0)
	s_delay_alu instid0(VALU_DEP_1) | instskip(SKIP_4) | instid1(VALU_DEP_1)
	v_add_f64 v[100:101], v[100:101], v[102:103]
	v_mov_b32_e32 v103, 0x1b8
	scratch_store_b64 v99, v[100:101], off
	scratch_load_b64 v[101:102], v98, off
	v_max_f64 v[99:100], v[56:57], v[56:57]
	v_min_f64 v[99:100], v[99:100], v[127:128]
	s_waitcnt vmcnt(0)
	s_delay_alu instid0(VALU_DEP_1) | instskip(SKIP_4) | instid1(VALU_DEP_1)
	v_add_f64 v[99:100], v[99:100], v[101:102]
	v_mov_b32_e32 v102, 0x1c0
	scratch_store_b64 v98, v[99:100], off
	scratch_load_b64 v[100:101], v97, off
	v_max_f64 v[98:99], v[58:59], v[58:59]
	v_min_f64 v[98:99], v[98:99], v[127:128]
	s_waitcnt vmcnt(0)
	s_delay_alu instid0(VALU_DEP_1) | instskip(SKIP_4) | instid1(VALU_DEP_1)
	v_add_f64 v[98:99], v[98:99], v[100:101]
	v_mov_b32_e32 v101, 0x1c8
	scratch_store_b64 v97, v[98:99], off
	scratch_load_b64 v[99:100], v96, off
	v_max_f64 v[97:98], v[60:61], v[60:61]
	v_min_f64 v[97:98], v[97:98], v[127:128]
	s_waitcnt vmcnt(0)
	s_delay_alu instid0(VALU_DEP_1) | instskip(SKIP_4) | instid1(VALU_DEP_1)
	v_add_f64 v[97:98], v[97:98], v[99:100]
	v_mov_b32_e32 v100, 0x1d0
	scratch_store_b64 v96, v[97:98], off
	scratch_load_b64 v[98:99], v95, off
	v_max_f64 v[96:97], v[62:63], v[62:63]
	v_min_f64 v[96:97], v[96:97], v[127:128]
	s_waitcnt vmcnt(0)
	s_delay_alu instid0(VALU_DEP_1)
	v_add_f64 v[96:97], v[96:97], v[98:99]
	v_mov_b32_e32 v99, 0x1d8
	v_mov_b32_e32 v98, 0x1e0
	scratch_store_b64 v95, v[96:97], off
	v_mov_b32_e32 v97, 0x1e8
	v_mov_b32_e32 v96, 0x1f0
	;; [unrolled: 1-line block ×3, first 2 shown]
	s_cbranch_vccnz .LBB194_47
; %bb.48:                               ;   in Loop: Header=BB194_28 Depth=1
	ds_load_2addr_b64 v[0:3], v84 offset0:1 offset1:17
	ds_load_2addr_b64 v[4:7], v84 offset0:33 offset1:49
	;; [unrolled: 1-line block ×12, first 2 shown]
	v_dual_mov_b32 v125, 8 :: v_dual_add_nc_u32 v64, 8, v88
	ds_load_2addr_b64 v[48:51], v94 offset0:129 offset1:145
	ds_load_2addr_b64 v[52:55], v94 offset0:161 offset1:177
	;; [unrolled: 1-line block ×4, first 2 shown]
	ds_load_2addr_stride64_b64 v[64:67], v64 offset1:4
	v_dual_mov_b32 v126, 0 :: v_dual_mov_b32 v123, 24
	v_dual_mov_b32 v124, 16 :: v_dual_mov_b32 v121, 40
	;; [unrolled: 1-line block ×5, first 2 shown]
	v_mov_b32_e32 v116, 0x50
	v_mov_b32_e32 v114, 0x60
	;; [unrolled: 1-line block ×21, first 2 shown]
	s_mov_b64 s[8:9], 0
	s_mov_b32 s18, -1
.LBB194_49:                             ;   Parent Loop BB194_28 Depth=1
                                        ; =>  This Inner Loop Header: Depth=2
	scratch_load_b64 v[131:132], v126, off
	s_cmp_eq_u32 s8, 1
	s_waitcnt lgkmcnt(16)
	v_max_f64 v[129:130], v[0:1], v[0:1]
	s_cselect_b32 vcc_lo, -1, 0
	s_mov_b64 s[8:9], 1
	s_waitcnt lgkmcnt(0)
	v_dual_cndmask_b32 v128, v65, v67 :: v_dual_cndmask_b32 v127, v64, v66
	s_and_b32 vcc_lo, exec_lo, s18
	s_mov_b32 s18, 0
	s_delay_alu instid0(VALU_DEP_1) | instskip(NEXT) | instid1(VALU_DEP_1)
	v_max_f64 v[127:128], v[127:128], v[127:128]
	v_min_f64 v[129:130], v[129:130], v[127:128]
	s_waitcnt vmcnt(0)
	s_delay_alu instid0(VALU_DEP_1) | instskip(SKIP_3) | instid1(VALU_DEP_1)
	v_add_f64 v[129:130], v[131:132], v[129:130]
	scratch_load_b64 v[131:132], v125, off
	scratch_store_b64 v126, v[129:130], off
	v_max_f64 v[129:130], v[2:3], v[2:3]
	v_min_f64 v[129:130], v[129:130], v[127:128]
	s_waitcnt vmcnt(0)
	s_delay_alu instid0(VALU_DEP_1) | instskip(SKIP_3) | instid1(VALU_DEP_1)
	v_add_f64 v[129:130], v[129:130], v[131:132]
	scratch_store_b64 v125, v[129:130], off
	scratch_load_b64 v[129:130], v124, off
	v_max_f64 v[125:126], v[4:5], v[4:5]
	v_min_f64 v[125:126], v[125:126], v[127:128]
	s_waitcnt vmcnt(0)
	s_delay_alu instid0(VALU_DEP_1) | instskip(SKIP_3) | instid1(VALU_DEP_1)
	v_add_f64 v[125:126], v[125:126], v[129:130]
	scratch_load_b64 v[129:130], v123, off
	scratch_store_b64 v124, v[125:126], off
	v_max_f64 v[124:125], v[6:7], v[6:7]
	v_min_f64 v[124:125], v[124:125], v[127:128]
	s_waitcnt vmcnt(0)
	s_delay_alu instid0(VALU_DEP_1) | instskip(SKIP_3) | instid1(VALU_DEP_1)
	v_add_f64 v[124:125], v[124:125], v[129:130]
	scratch_store_b64 v123, v[124:125], off
	scratch_load_b64 v[125:126], v122, off
	v_max_f64 v[123:124], v[8:9], v[8:9]
	v_min_f64 v[123:124], v[123:124], v[127:128]
	s_waitcnt vmcnt(0)
	s_delay_alu instid0(VALU_DEP_1) | instskip(SKIP_4) | instid1(VALU_DEP_1)
	v_add_f64 v[123:124], v[123:124], v[125:126]
	v_mov_b32_e32 v126, 0x100
	scratch_store_b64 v122, v[123:124], off
	scratch_load_b64 v[124:125], v121, off
	v_max_f64 v[122:123], v[10:11], v[10:11]
	v_min_f64 v[122:123], v[122:123], v[127:128]
	s_waitcnt vmcnt(0)
	s_delay_alu instid0(VALU_DEP_1) | instskip(SKIP_4) | instid1(VALU_DEP_1)
	v_add_f64 v[122:123], v[122:123], v[124:125]
	v_mov_b32_e32 v125, 0x108
	;; [unrolled: 8-line block ×27, first 2 shown]
	scratch_store_b64 v96, v[97:98], off
	scratch_load_b64 v[98:99], v95, off
	v_max_f64 v[96:97], v[62:63], v[62:63]
	v_min_f64 v[96:97], v[96:97], v[127:128]
	s_waitcnt vmcnt(0)
	s_delay_alu instid0(VALU_DEP_1)
	v_add_f64 v[96:97], v[96:97], v[98:99]
	v_mov_b32_e32 v99, 0x1d8
	v_mov_b32_e32 v98, 0x1e0
	scratch_store_b64 v95, v[96:97], off
	v_mov_b32_e32 v97, 0x1e8
	v_mov_b32_e32 v96, 0x1f0
	;; [unrolled: 1-line block ×3, first 2 shown]
	s_cbranch_vccnz .LBB194_49
; %bb.50:                               ;   in Loop: Header=BB194_28 Depth=1
	ds_load_2addr_b64 v[0:3], v84 offset0:2 offset1:18
	ds_load_2addr_b64 v[4:7], v84 offset0:34 offset1:50
	;; [unrolled: 1-line block ×12, first 2 shown]
	v_dual_mov_b32 v125, 8 :: v_dual_add_nc_u32 v64, 16, v88
	ds_load_2addr_b64 v[48:51], v94 offset0:130 offset1:146
	ds_load_2addr_b64 v[52:55], v94 offset0:162 offset1:178
	;; [unrolled: 1-line block ×4, first 2 shown]
	ds_load_2addr_stride64_b64 v[64:67], v64 offset1:4
	v_dual_mov_b32 v126, 0 :: v_dual_mov_b32 v123, 24
	v_dual_mov_b32 v124, 16 :: v_dual_mov_b32 v121, 40
	;; [unrolled: 1-line block ×5, first 2 shown]
	v_mov_b32_e32 v116, 0x50
	v_mov_b32_e32 v114, 0x60
	;; [unrolled: 1-line block ×21, first 2 shown]
	s_mov_b64 s[8:9], 0
	s_mov_b32 s18, -1
.LBB194_51:                             ;   Parent Loop BB194_28 Depth=1
                                        ; =>  This Inner Loop Header: Depth=2
	scratch_load_b64 v[131:132], v126, off
	s_cmp_eq_u32 s8, 1
	s_waitcnt lgkmcnt(16)
	v_max_f64 v[129:130], v[0:1], v[0:1]
	s_cselect_b32 vcc_lo, -1, 0
	s_mov_b64 s[8:9], 1
	s_waitcnt lgkmcnt(0)
	v_dual_cndmask_b32 v128, v65, v67 :: v_dual_cndmask_b32 v127, v64, v66
	s_and_b32 vcc_lo, exec_lo, s18
	s_mov_b32 s18, 0
	s_delay_alu instid0(VALU_DEP_1) | instskip(NEXT) | instid1(VALU_DEP_1)
	v_max_f64 v[127:128], v[127:128], v[127:128]
	v_min_f64 v[129:130], v[129:130], v[127:128]
	s_waitcnt vmcnt(0)
	s_delay_alu instid0(VALU_DEP_1) | instskip(SKIP_3) | instid1(VALU_DEP_1)
	v_add_f64 v[129:130], v[131:132], v[129:130]
	scratch_load_b64 v[131:132], v125, off
	scratch_store_b64 v126, v[129:130], off
	v_max_f64 v[129:130], v[2:3], v[2:3]
	v_min_f64 v[129:130], v[129:130], v[127:128]
	s_waitcnt vmcnt(0)
	s_delay_alu instid0(VALU_DEP_1) | instskip(SKIP_3) | instid1(VALU_DEP_1)
	v_add_f64 v[129:130], v[129:130], v[131:132]
	scratch_store_b64 v125, v[129:130], off
	scratch_load_b64 v[129:130], v124, off
	v_max_f64 v[125:126], v[4:5], v[4:5]
	v_min_f64 v[125:126], v[125:126], v[127:128]
	s_waitcnt vmcnt(0)
	s_delay_alu instid0(VALU_DEP_1) | instskip(SKIP_3) | instid1(VALU_DEP_1)
	v_add_f64 v[125:126], v[125:126], v[129:130]
	scratch_load_b64 v[129:130], v123, off
	scratch_store_b64 v124, v[125:126], off
	v_max_f64 v[124:125], v[6:7], v[6:7]
	v_min_f64 v[124:125], v[124:125], v[127:128]
	s_waitcnt vmcnt(0)
	s_delay_alu instid0(VALU_DEP_1) | instskip(SKIP_3) | instid1(VALU_DEP_1)
	v_add_f64 v[124:125], v[124:125], v[129:130]
	scratch_store_b64 v123, v[124:125], off
	scratch_load_b64 v[125:126], v122, off
	v_max_f64 v[123:124], v[8:9], v[8:9]
	v_min_f64 v[123:124], v[123:124], v[127:128]
	s_waitcnt vmcnt(0)
	s_delay_alu instid0(VALU_DEP_1) | instskip(SKIP_4) | instid1(VALU_DEP_1)
	v_add_f64 v[123:124], v[123:124], v[125:126]
	v_mov_b32_e32 v126, 0x100
	scratch_store_b64 v122, v[123:124], off
	scratch_load_b64 v[124:125], v121, off
	v_max_f64 v[122:123], v[10:11], v[10:11]
	v_min_f64 v[122:123], v[122:123], v[127:128]
	s_waitcnt vmcnt(0)
	s_delay_alu instid0(VALU_DEP_1) | instskip(SKIP_4) | instid1(VALU_DEP_1)
	v_add_f64 v[122:123], v[122:123], v[124:125]
	v_mov_b32_e32 v125, 0x108
	;; [unrolled: 8-line block ×27, first 2 shown]
	scratch_store_b64 v96, v[97:98], off
	scratch_load_b64 v[98:99], v95, off
	v_max_f64 v[96:97], v[62:63], v[62:63]
	v_min_f64 v[96:97], v[96:97], v[127:128]
	s_waitcnt vmcnt(0)
	s_delay_alu instid0(VALU_DEP_1)
	v_add_f64 v[96:97], v[96:97], v[98:99]
	v_mov_b32_e32 v99, 0x1d8
	v_mov_b32_e32 v98, 0x1e0
	scratch_store_b64 v95, v[96:97], off
	v_mov_b32_e32 v97, 0x1e8
	v_mov_b32_e32 v96, 0x1f0
	;; [unrolled: 1-line block ×3, first 2 shown]
	s_cbranch_vccnz .LBB194_51
; %bb.52:                               ;   in Loop: Header=BB194_28 Depth=1
	ds_load_2addr_b64 v[0:3], v84 offset0:3 offset1:19
	ds_load_2addr_b64 v[4:7], v84 offset0:35 offset1:51
	;; [unrolled: 1-line block ×12, first 2 shown]
	v_dual_mov_b32 v125, 0 :: v_dual_add_nc_u32 v64, 24, v88
	ds_load_2addr_b64 v[48:51], v94 offset0:131 offset1:147
	ds_load_2addr_b64 v[52:55], v94 offset0:163 offset1:179
	ds_load_2addr_b64 v[56:59], v94 offset0:195 offset1:211
	ds_load_2addr_b64 v[60:63], v94 offset0:227 offset1:243
	ds_load_2addr_stride64_b64 v[64:67], v64 offset1:4
	v_dual_mov_b32 v124, 8 :: v_dual_mov_b32 v123, 16
	v_dual_mov_b32 v122, 24 :: v_dual_mov_b32 v121, 32
	;; [unrolled: 1-line block ×4, first 2 shown]
	v_mov_b32_e32 v116, 0x48
	v_mov_b32_e32 v115, 0x50
	;; [unrolled: 1-line block ×23, first 2 shown]
	s_mov_b64 s[8:9], 0
	s_mov_b32 s18, -1
.LBB194_53:                             ;   Parent Loop BB194_28 Depth=1
                                        ; =>  This Inner Loop Header: Depth=2
	scratch_load_b64 v[130:131], v125, off
	s_cmp_eq_u32 s8, 1
	s_waitcnt lgkmcnt(16)
	v_max_f64 v[128:129], v[0:1], v[0:1]
	s_cselect_b32 vcc_lo, -1, 0
	s_mov_b64 s[8:9], 1
	s_waitcnt lgkmcnt(0)
	v_dual_cndmask_b32 v127, v65, v67 :: v_dual_cndmask_b32 v126, v64, v66
	s_and_b32 vcc_lo, exec_lo, s18
	s_mov_b32 s18, 0
	s_delay_alu instid0(VALU_DEP_1) | instskip(NEXT) | instid1(VALU_DEP_1)
	v_max_f64 v[126:127], v[126:127], v[126:127]
	v_min_f64 v[128:129], v[128:129], v[126:127]
	s_waitcnt vmcnt(0)
	s_delay_alu instid0(VALU_DEP_1) | instskip(SKIP_3) | instid1(VALU_DEP_1)
	v_add_f64 v[128:129], v[130:131], v[128:129]
	scratch_load_b64 v[130:131], v124, off
	scratch_store_b64 v125, v[128:129], off
	v_max_f64 v[128:129], v[2:3], v[2:3]
	v_min_f64 v[128:129], v[128:129], v[126:127]
	s_waitcnt vmcnt(0)
	s_delay_alu instid0(VALU_DEP_1) | instskip(SKIP_3) | instid1(VALU_DEP_1)
	v_add_f64 v[128:129], v[128:129], v[130:131]
	scratch_store_b64 v124, v[128:129], off
	scratch_load_b64 v[128:129], v123, off
	v_max_f64 v[124:125], v[4:5], v[4:5]
	v_min_f64 v[124:125], v[124:125], v[126:127]
	s_waitcnt vmcnt(0)
	s_delay_alu instid0(VALU_DEP_1) | instskip(SKIP_3) | instid1(VALU_DEP_1)
	v_add_f64 v[124:125], v[124:125], v[128:129]
	scratch_load_b64 v[128:129], v122, off
	scratch_store_b64 v123, v[124:125], off
	v_max_f64 v[123:124], v[6:7], v[6:7]
	v_min_f64 v[123:124], v[123:124], v[126:127]
	s_waitcnt vmcnt(0)
	s_delay_alu instid0(VALU_DEP_1) | instskip(SKIP_3) | instid1(VALU_DEP_1)
	v_add_f64 v[123:124], v[123:124], v[128:129]
	scratch_store_b64 v122, v[123:124], off
	scratch_load_b64 v[124:125], v121, off
	v_max_f64 v[122:123], v[8:9], v[8:9]
	v_min_f64 v[122:123], v[122:123], v[126:127]
	s_waitcnt vmcnt(0)
	s_delay_alu instid0(VALU_DEP_1) | instskip(SKIP_4) | instid1(VALU_DEP_1)
	v_add_f64 v[122:123], v[122:123], v[124:125]
	v_mov_b32_e32 v125, 0x100
	scratch_store_b64 v121, v[122:123], off
	scratch_load_b64 v[123:124], v120, off
	v_max_f64 v[121:122], v[10:11], v[10:11]
	v_min_f64 v[121:122], v[121:122], v[126:127]
	s_waitcnt vmcnt(0)
	s_delay_alu instid0(VALU_DEP_1) | instskip(SKIP_4) | instid1(VALU_DEP_1)
	v_add_f64 v[121:122], v[121:122], v[123:124]
	v_mov_b32_e32 v124, 0x108
	;; [unrolled: 8-line block ×27, first 2 shown]
	scratch_store_b64 v95, v[96:97], off
	scratch_load_b64 v[97:98], v94, off
	v_max_f64 v[95:96], v[62:63], v[62:63]
	v_min_f64 v[95:96], v[95:96], v[126:127]
	s_waitcnt vmcnt(0)
	s_delay_alu instid0(VALU_DEP_1)
	v_add_f64 v[95:96], v[95:96], v[97:98]
	v_mov_b32_e32 v98, 0x1d8
	v_mov_b32_e32 v97, 0x1e0
	scratch_store_b64 v94, v[95:96], off
	v_mov_b32_e32 v96, 0x1e8
	v_mov_b32_e32 v95, 0x1f0
	;; [unrolled: 1-line block ×3, first 2 shown]
	s_cbranch_vccnz .LBB194_53
; %bb.54:                               ;   in Loop: Header=BB194_28 Depth=1
	s_add_i32 s13, s13, 8
	s_add_i32 s27, s27, 8
	s_cmp_ge_i32 s13, s12
	ds_store_2addr_stride64_b64 v76, v[68:69], v[70:71] offset1:4
	ds_store_2addr_stride64_b64 v77, v[72:73], v[74:75] offset1:4
	s_waitcnt lgkmcnt(0)
	s_waitcnt_vscnt null, 0x0
	s_barrier
	buffer_gl0_inv
	s_cbranch_scc0 .LBB194_28
.LBB194_55:
	v_dual_mov_b32 v71, 8 :: v_dual_add_nc_u32 v28, 0x1000, v84
	v_dual_mov_b32 v75, 40 :: v_dual_add_nc_u32 v60, 0x1800, v84
	;; [unrolled: 1-line block ×3, first 2 shown]
	ds_load_2addr_b64 v[0:3], v28 offset1:16
	ds_load_2addr_b64 v[4:7], v28 offset0:32 offset1:48
	ds_load_2addr_b64 v[8:11], v28 offset0:64 offset1:80
	;; [unrolled: 1-line block ×7, first 2 shown]
	ds_load_2addr_b64 v[32:35], v60 offset1:16
	ds_load_2addr_b64 v[36:39], v60 offset0:32 offset1:48
	ds_load_2addr_b64 v[40:43], v60 offset0:64 offset1:80
	;; [unrolled: 1-line block ×7, first 2 shown]
	ds_load_2addr_stride64_b64 v[64:67], v86 offset0:24 offset1:28
	v_dual_mov_b32 v70, 0 :: v_dual_add_nc_u32 v69, 0x3000, v86
	v_dual_mov_b32 v72, 16 :: v_dual_mov_b32 v77, 56
	v_dual_mov_b32 v74, 32 :: v_dual_mov_b32 v79, 0x48
	;; [unrolled: 1-line block ×4, first 2 shown]
	v_mov_b32_e32 v82, 0x50
	v_mov_b32_e32 v84, 0x60
	;; [unrolled: 1-line block ×20, first 2 shown]
	s_mov_b64 s[2:3], 0
	s_mov_b32 s8, -1
.LBB194_56:                             ; =>This Inner Loop Header: Depth=1
	scratch_load_b64 v[104:105], v70, off
	scratch_load_b64 v[106:107], v71, off
	;; [unrolled: 1-line block ×32, first 2 shown]
	s_cmp_eq_u32 s2, 1
	s_waitcnt lgkmcnt(16)
	v_max_f64 v[170:171], v[0:1], v[0:1]
	s_cselect_b32 vcc_lo, -1, 0
	v_max_f64 v[172:173], v[2:3], v[2:3]
	s_waitcnt lgkmcnt(0)
	v_dual_cndmask_b32 v169, v65, v67 :: v_dual_cndmask_b32 v168, v64, v66
	v_max_f64 v[174:175], v[4:5], v[4:5]
	v_max_f64 v[176:177], v[6:7], v[6:7]
	;; [unrolled: 1-line block ×31, first 2 shown]
	s_mov_b64 s[2:3], 1
	s_and_b32 vcc_lo, exec_lo, s8
	s_mov_b32 s8, 0
	v_min_f64 v[170:171], v[170:171], v[168:169]
	v_min_f64 v[172:173], v[172:173], v[168:169]
	;; [unrolled: 1-line block ×32, first 2 shown]
	s_waitcnt vmcnt(31)
	v_add_f64 v[104:105], v[104:105], v[170:171]
	s_waitcnt vmcnt(30)
	v_add_f64 v[106:107], v[172:173], v[106:107]
	;; [unrolled: 2-line block ×32, first 2 shown]
	scratch_store_b64 v70, v[104:105], off
	scratch_store_b64 v71, v[106:107], off
	;; [unrolled: 1-line block ×32, first 2 shown]
	v_mov_b32_e32 v70, 0x100
	v_mov_b32_e32 v71, 0x108
	;; [unrolled: 1-line block ×32, first 2 shown]
	s_cbranch_vccnz .LBB194_56
; %bb.57:
	v_dual_mov_b32 v71, 8 :: v_dual_add_nc_u32 v60, 0x800, v68
	ds_load_2addr_b64 v[0:3], v68 offset0:1 offset1:17
	ds_load_2addr_b64 v[4:7], v68 offset0:33 offset1:49
	;; [unrolled: 1-line block ×12, first 2 shown]
	v_dual_mov_b32 v73, 24 :: v_dual_add_nc_u32 v64, 8, v69
	ds_load_2addr_b64 v[48:51], v60 offset0:129 offset1:145
	ds_load_2addr_b64 v[52:55], v60 offset0:161 offset1:177
	;; [unrolled: 1-line block ×4, first 2 shown]
	ds_load_2addr_stride64_b64 v[64:67], v64 offset1:4
	v_dual_mov_b32 v70, 0 :: v_dual_mov_b32 v75, 40
	v_dual_mov_b32 v72, 16 :: v_dual_mov_b32 v77, 56
	;; [unrolled: 1-line block ×5, first 2 shown]
	v_mov_b32_e32 v82, 0x50
	v_mov_b32_e32 v84, 0x60
	;; [unrolled: 1-line block ×20, first 2 shown]
	s_mov_b64 s[2:3], 0
	s_mov_b32 s8, -1
.LBB194_58:                             ; =>This Inner Loop Header: Depth=1
	scratch_load_b64 v[104:105], v70, off
	scratch_load_b64 v[106:107], v71, off
	scratch_load_b64 v[108:109], v72, off
	scratch_load_b64 v[110:111], v73, off
	scratch_load_b64 v[112:113], v74, off
	scratch_load_b64 v[114:115], v75, off
	scratch_load_b64 v[116:117], v76, off
	scratch_load_b64 v[118:119], v77, off
	scratch_load_b64 v[120:121], v78, off
	scratch_load_b64 v[122:123], v79, off
	scratch_load_b64 v[124:125], v82, off
	scratch_load_b64 v[126:127], v83, off
	scratch_load_b64 v[128:129], v84, off
	scratch_load_b64 v[130:131], v85, off
	scratch_load_b64 v[132:133], v86, off
	scratch_load_b64 v[134:135], v87, off
	scratch_load_b64 v[136:137], v88, off
	scratch_load_b64 v[138:139], v89, off
	scratch_load_b64 v[140:141], v90, off
	scratch_load_b64 v[142:143], v91, off
	scratch_load_b64 v[144:145], v92, off
	scratch_load_b64 v[146:147], v93, off
	scratch_load_b64 v[148:149], v94, off
	scratch_load_b64 v[150:151], v95, off
	scratch_load_b64 v[152:153], v96, off
	scratch_load_b64 v[154:155], v97, off
	scratch_load_b64 v[156:157], v98, off
	scratch_load_b64 v[158:159], v99, off
	scratch_load_b64 v[160:161], v100, off
	scratch_load_b64 v[162:163], v101, off
	scratch_load_b64 v[164:165], v102, off
	scratch_load_b64 v[166:167], v103, off
	s_cmp_eq_u32 s2, 1
	s_waitcnt lgkmcnt(16)
	v_max_f64 v[170:171], v[0:1], v[0:1]
	s_cselect_b32 vcc_lo, -1, 0
	v_max_f64 v[172:173], v[2:3], v[2:3]
	s_waitcnt lgkmcnt(0)
	v_dual_cndmask_b32 v169, v65, v67 :: v_dual_cndmask_b32 v168, v64, v66
	v_max_f64 v[174:175], v[4:5], v[4:5]
	v_max_f64 v[176:177], v[6:7], v[6:7]
	;; [unrolled: 1-line block ×31, first 2 shown]
	s_mov_b64 s[2:3], 1
	s_and_b32 vcc_lo, exec_lo, s8
	s_mov_b32 s8, 0
	v_min_f64 v[170:171], v[170:171], v[168:169]
	v_min_f64 v[172:173], v[172:173], v[168:169]
	;; [unrolled: 1-line block ×32, first 2 shown]
	s_waitcnt vmcnt(31)
	v_add_f64 v[104:105], v[104:105], v[170:171]
	s_waitcnt vmcnt(30)
	v_add_f64 v[106:107], v[172:173], v[106:107]
	;; [unrolled: 2-line block ×32, first 2 shown]
	scratch_store_b64 v70, v[104:105], off
	scratch_store_b64 v71, v[106:107], off
	scratch_store_b64 v72, v[108:109], off
	scratch_store_b64 v73, v[110:111], off
	scratch_store_b64 v74, v[112:113], off
	scratch_store_b64 v75, v[114:115], off
	scratch_store_b64 v76, v[116:117], off
	scratch_store_b64 v77, v[118:119], off
	scratch_store_b64 v78, v[120:121], off
	scratch_store_b64 v79, v[122:123], off
	scratch_store_b64 v82, v[124:125], off
	scratch_store_b64 v83, v[126:127], off
	scratch_store_b64 v84, v[128:129], off
	scratch_store_b64 v85, v[130:131], off
	scratch_store_b64 v86, v[132:133], off
	scratch_store_b64 v87, v[134:135], off
	scratch_store_b64 v88, v[136:137], off
	scratch_store_b64 v89, v[138:139], off
	scratch_store_b64 v90, v[140:141], off
	scratch_store_b64 v91, v[142:143], off
	scratch_store_b64 v92, v[144:145], off
	scratch_store_b64 v93, v[146:147], off
	scratch_store_b64 v94, v[148:149], off
	scratch_store_b64 v95, v[150:151], off
	scratch_store_b64 v96, v[152:153], off
	scratch_store_b64 v97, v[154:155], off
	scratch_store_b64 v98, v[156:157], off
	scratch_store_b64 v99, v[158:159], off
	scratch_store_b64 v100, v[160:161], off
	scratch_store_b64 v101, v[162:163], off
	scratch_store_b64 v102, v[164:165], off
	scratch_store_b64 v103, v[166:167], off
	v_mov_b32_e32 v70, 0x100
	v_mov_b32_e32 v71, 0x108
	;; [unrolled: 1-line block ×32, first 2 shown]
	s_cbranch_vccnz .LBB194_58
; %bb.59:
	v_dual_mov_b32 v71, 8 :: v_dual_add_nc_u32 v60, 0x800, v68
	ds_load_2addr_b64 v[0:3], v68 offset0:2 offset1:18
	ds_load_2addr_b64 v[4:7], v68 offset0:34 offset1:50
	;; [unrolled: 1-line block ×12, first 2 shown]
	v_dual_mov_b32 v73, 24 :: v_dual_add_nc_u32 v64, 16, v69
	ds_load_2addr_b64 v[48:51], v60 offset0:130 offset1:146
	ds_load_2addr_b64 v[52:55], v60 offset0:162 offset1:178
	;; [unrolled: 1-line block ×4, first 2 shown]
	ds_load_2addr_stride64_b64 v[64:67], v64 offset1:4
	v_dual_mov_b32 v70, 0 :: v_dual_mov_b32 v75, 40
	v_dual_mov_b32 v72, 16 :: v_dual_mov_b32 v77, 56
	;; [unrolled: 1-line block ×5, first 2 shown]
	v_mov_b32_e32 v82, 0x50
	v_mov_b32_e32 v84, 0x60
	;; [unrolled: 1-line block ×20, first 2 shown]
	s_mov_b64 s[2:3], 0
	s_mov_b32 s8, -1
.LBB194_60:                             ; =>This Inner Loop Header: Depth=1
	scratch_load_b64 v[104:105], v70, off
	scratch_load_b64 v[106:107], v71, off
	;; [unrolled: 1-line block ×32, first 2 shown]
	s_cmp_eq_u32 s2, 1
	s_waitcnt lgkmcnt(16)
	v_max_f64 v[170:171], v[0:1], v[0:1]
	s_cselect_b32 vcc_lo, -1, 0
	v_max_f64 v[172:173], v[2:3], v[2:3]
	s_waitcnt lgkmcnt(0)
	v_dual_cndmask_b32 v169, v65, v67 :: v_dual_cndmask_b32 v168, v64, v66
	v_max_f64 v[174:175], v[4:5], v[4:5]
	v_max_f64 v[176:177], v[6:7], v[6:7]
	v_max_f64 v[178:179], v[8:9], v[8:9]
	v_max_f64 v[180:181], v[10:11], v[10:11]
	v_max_f64 v[168:169], v[168:169], v[168:169]
	v_max_f64 v[182:183], v[12:13], v[12:13]
	v_max_f64 v[184:185], v[14:15], v[14:15]
	v_max_f64 v[186:187], v[16:17], v[16:17]
	v_max_f64 v[188:189], v[18:19], v[18:19]
	v_max_f64 v[190:191], v[20:21], v[20:21]
	v_max_f64 v[192:193], v[22:23], v[22:23]
	v_max_f64 v[194:195], v[24:25], v[24:25]
	v_max_f64 v[196:197], v[26:27], v[26:27]
	v_max_f64 v[198:199], v[28:29], v[28:29]
	v_max_f64 v[200:201], v[30:31], v[30:31]
	v_max_f64 v[202:203], v[32:33], v[32:33]
	v_max_f64 v[204:205], v[34:35], v[34:35]
	v_max_f64 v[206:207], v[36:37], v[36:37]
	v_max_f64 v[208:209], v[38:39], v[38:39]
	v_max_f64 v[210:211], v[40:41], v[40:41]
	v_max_f64 v[212:213], v[42:43], v[42:43]
	v_max_f64 v[214:215], v[44:45], v[44:45]
	v_max_f64 v[216:217], v[46:47], v[46:47]
	v_max_f64 v[218:219], v[48:49], v[48:49]
	v_max_f64 v[220:221], v[50:51], v[50:51]
	v_max_f64 v[222:223], v[52:53], v[52:53]
	v_max_f64 v[224:225], v[54:55], v[54:55]
	v_max_f64 v[226:227], v[56:57], v[56:57]
	v_max_f64 v[228:229], v[58:59], v[58:59]
	v_max_f64 v[230:231], v[60:61], v[60:61]
	v_max_f64 v[232:233], v[62:63], v[62:63]
	s_mov_b64 s[2:3], 1
	s_and_b32 vcc_lo, exec_lo, s8
	s_mov_b32 s8, 0
	v_min_f64 v[170:171], v[170:171], v[168:169]
	v_min_f64 v[172:173], v[172:173], v[168:169]
	;; [unrolled: 1-line block ×32, first 2 shown]
	s_waitcnt vmcnt(31)
	v_add_f64 v[104:105], v[104:105], v[170:171]
	s_waitcnt vmcnt(30)
	v_add_f64 v[106:107], v[172:173], v[106:107]
	;; [unrolled: 2-line block ×32, first 2 shown]
	scratch_store_b64 v70, v[104:105], off
	scratch_store_b64 v71, v[106:107], off
	;; [unrolled: 1-line block ×32, first 2 shown]
	v_mov_b32_e32 v70, 0x100
	v_mov_b32_e32 v71, 0x108
	;; [unrolled: 1-line block ×32, first 2 shown]
	s_cbranch_vccnz .LBB194_60
; %bb.61:
	v_add_nc_u32_e32 v60, 0x800, v68
	ds_load_2addr_b64 v[0:3], v68 offset0:3 offset1:19
	ds_load_2addr_b64 v[4:7], v68 offset0:35 offset1:51
	;; [unrolled: 1-line block ×4, first 2 shown]
	v_dual_mov_b32 v71, 24 :: v_dual_add_nc_u32 v64, 24, v69
	v_mov_b32_e32 v69, 8
	ds_load_2addr_b64 v[16:19], v68 offset0:131 offset1:147
	ds_load_2addr_b64 v[20:23], v68 offset0:163 offset1:179
	;; [unrolled: 1-line block ×12, first 2 shown]
	ds_load_2addr_stride64_b64 v[64:67], v64 offset1:4
	v_dual_mov_b32 v68, 0 :: v_dual_mov_b32 v73, 40
	v_dual_mov_b32 v70, 16 :: v_dual_mov_b32 v75, 56
	;; [unrolled: 1-line block ×5, first 2 shown]
	v_mov_b32_e32 v78, 0x50
	v_mov_b32_e32 v82, 0x60
	;; [unrolled: 1-line block ×20, first 2 shown]
	s_mov_b64 s[2:3], 0
	s_mov_b32 s8, -1
.LBB194_62:                             ; =>This Inner Loop Header: Depth=1
	scratch_load_b64 v[102:103], v68, off
	scratch_load_b64 v[104:105], v69, off
	;; [unrolled: 1-line block ×32, first 2 shown]
	s_cmp_eq_u32 s2, 1
	s_waitcnt lgkmcnt(16)
	v_max_f64 v[168:169], v[0:1], v[0:1]
	s_cselect_b32 vcc_lo, -1, 0
	v_max_f64 v[170:171], v[2:3], v[2:3]
	s_waitcnt lgkmcnt(0)
	v_dual_cndmask_b32 v167, v65, v67 :: v_dual_cndmask_b32 v166, v64, v66
	v_max_f64 v[172:173], v[4:5], v[4:5]
	v_max_f64 v[174:175], v[6:7], v[6:7]
	;; [unrolled: 1-line block ×31, first 2 shown]
	s_mov_b64 s[2:3], 1
	s_and_b32 vcc_lo, exec_lo, s8
	s_mov_b32 s8, 0
	v_min_f64 v[168:169], v[168:169], v[166:167]
	v_min_f64 v[170:171], v[170:171], v[166:167]
	;; [unrolled: 1-line block ×32, first 2 shown]
	s_waitcnt vmcnt(31)
	v_add_f64 v[102:103], v[102:103], v[168:169]
	s_waitcnt vmcnt(30)
	v_add_f64 v[104:105], v[170:171], v[104:105]
	;; [unrolled: 2-line block ×32, first 2 shown]
	scratch_store_b64 v68, v[102:103], off
	scratch_store_b64 v69, v[104:105], off
	;; [unrolled: 1-line block ×32, first 2 shown]
	v_mov_b32_e32 v68, 0x100
	v_mov_b32_e32 v69, 0x108
	;; [unrolled: 1-line block ×32, first 2 shown]
	s_cbranch_vccnz .LBB194_62
; %bb.63:
	scratch_load_b64 v[2:3], off, off
	s_load_b32 s3, s[0:1], 0x58
	v_dual_mov_b32 v4, 0 :: v_dual_add_nc_u32 v71, s21, v81
	v_dual_mov_b32 v5, 0 :: v_dual_add_nc_u32 v12, s14, v80
	v_mov_b32_e32 v8, 0
	v_mov_b32_e32 v9, 0
	s_and_b32 s2, exec_lo, s22
	s_delay_alu instid0(VALU_DEP_3) | instskip(SKIP_2) | instid1(VALU_DEP_1)
	v_ashrrev_i32_e32 v13, 31, v12
	s_waitcnt lgkmcnt(0)
	v_mad_i64_i32 v[0:1], null, v71, s3, 0
	v_lshlrev_b64 v[0:1], 3, v[0:1]
	s_delay_alu instid0(VALU_DEP_1) | instskip(NEXT) | instid1(VALU_DEP_2)
	v_add_co_u32 v72, vcc_lo, s4, v0
	v_add_co_ci_u32_e32 v73, vcc_lo, s5, v1, vcc_lo
	v_lshlrev_b64 v[0:1], 3, v[12:13]
	s_mov_b32 vcc_lo, s2
	s_cbranch_vccz .LBB194_65
; %bb.64:
	s_delay_alu instid0(VALU_DEP_1) | instskip(NEXT) | instid1(VALU_DEP_2)
	v_add_co_u32 v6, vcc_lo, v72, v0
	v_add_co_ci_u32_e32 v7, vcc_lo, v73, v1, vcc_lo
	flat_load_b64 v[6:7], v[6:7]
	s_waitcnt vmcnt(0) lgkmcnt(0)
	v_mul_f64 v[8:9], v[6:7], s[6:7]
.LBB194_65:
	scratch_load_b64 v[6:7], off, off offset:8
	s_clause 0x1
	s_load_b64 s[8:9], s[0:1], 0x78
	s_load_b32 s1, s[0:1], 0x70
	s_waitcnt vmcnt(1)
	v_add_f64 v[8:9], v[2:3], v[8:9]
	v_add_nc_u32_e32 v10, 4, v12
	v_cndmask_b32_e64 v13, 0, 1, s22
	s_delay_alu instid0(VALU_DEP_2) | instskip(SKIP_4) | instid1(SALU_CYCLE_1)
	v_ashrrev_i32_e32 v11, 31, v10
	s_waitcnt lgkmcnt(0)
	s_mul_i32 s0, s15, s9
	v_mad_i64_i32 v[2:3], null, v71, s1, 0
	s_mul_hi_u32 s9, s15, s8
	s_add_i32 s0, s9, s0
	s_mul_i32 s9, s20, s8
	s_mul_i32 s8, s15, s8
	s_add_i32 s9, s0, s9
	s_delay_alu instid0(VALU_DEP_1) | instskip(SKIP_4) | instid1(VALU_DEP_2)
	v_lshlrev_b64 v[2:3], 3, v[2:3]
	s_lshl_b64 s[8:9], s[8:9], 3
	v_cmp_ne_u32_e64 s0, 1, v13
	s_add_u32 s8, s10, s8
	s_addc_u32 s9, s11, s9
	v_add_co_u32 v74, vcc_lo, s8, v2
	v_add_co_ci_u32_e32 v75, vcc_lo, s9, v3, vcc_lo
	v_lshlrev_b64 v[2:3], 3, v[10:11]
	s_delay_alu instid0(VALU_DEP_3) | instskip(NEXT) | instid1(VALU_DEP_3)
	v_add_co_u32 v13, vcc_lo, v74, v0
	v_add_co_ci_u32_e32 v14, vcc_lo, v75, v1, vcc_lo
	s_and_not1_b32 vcc_lo, exec_lo, s22
	global_store_b64 v[13:14], v[8:9], off
	s_cbranch_vccnz .LBB194_67
; %bb.66:
	v_add_co_u32 v4, vcc_lo, v72, v2
	v_add_co_ci_u32_e32 v5, vcc_lo, v73, v3, vcc_lo
	flat_load_b64 v[4:5], v[4:5]
	s_waitcnt vmcnt(0) lgkmcnt(0)
	v_mul_f64 v[4:5], v[4:5], s[6:7]
.LBB194_67:
	scratch_load_b64 v[10:11], off, off offset:16
	s_waitcnt vmcnt(1)
	v_add_f64 v[13:14], v[6:7], v[4:5]
	v_add_nc_u32_e32 v4, 8, v12
	v_mov_b32_e32 v8, 0
	v_mov_b32_e32 v9, 0
	v_add_co_u32 v15, vcc_lo, v74, v2
	s_delay_alu instid0(VALU_DEP_4) | instskip(SKIP_3) | instid1(VALU_DEP_4)
	v_ashrrev_i32_e32 v5, 31, v4
	v_mov_b32_e32 v6, 0
	v_mov_b32_e32 v7, 0
	v_add_co_ci_u32_e32 v16, vcc_lo, v75, v3, vcc_lo
	v_lshlrev_b64 v[4:5], 3, v[4:5]
	s_and_b32 vcc_lo, exec_lo, s0
	global_store_b64 v[15:16], v[13:14], off
	s_cbranch_vccnz .LBB194_69
; %bb.68:
	v_add_co_u32 v6, vcc_lo, v72, v4
	v_add_co_ci_u32_e32 v7, vcc_lo, v73, v5, vcc_lo
	flat_load_b64 v[6:7], v[6:7]
	s_waitcnt vmcnt(0) lgkmcnt(0)
	v_mul_f64 v[6:7], v[6:7], s[6:7]
.LBB194_69:
	scratch_load_b64 v[13:14], off, off offset:24
	s_waitcnt vmcnt(1)
	v_add_f64 v[10:11], v[10:11], v[6:7]
	v_add_nc_u32_e32 v6, 12, v12
	v_add_co_u32 v15, vcc_lo, v74, v4
	v_add_co_ci_u32_e32 v16, vcc_lo, v75, v5, vcc_lo
	s_delay_alu instid0(VALU_DEP_3) | instskip(SKIP_1) | instid1(VALU_DEP_1)
	v_ashrrev_i32_e32 v7, 31, v6
	s_and_b32 vcc_lo, exec_lo, s0
	v_lshlrev_b64 v[6:7], 3, v[6:7]
	global_store_b64 v[15:16], v[10:11], off
	s_cbranch_vccnz .LBB194_71
; %bb.70:
	v_add_co_u32 v8, vcc_lo, v72, v6
	v_add_co_ci_u32_e32 v9, vcc_lo, v73, v7, vcc_lo
	flat_load_b64 v[8:9], v[8:9]
	s_waitcnt vmcnt(0) lgkmcnt(0)
	v_mul_f64 v[8:9], v[8:9], s[6:7]
.LBB194_71:
	scratch_load_b64 v[10:11], off, off offset:32
	s_waitcnt vmcnt(1)
	v_add_f64 v[17:18], v[13:14], v[8:9]
	v_dual_mov_b32 v13, 0 :: v_dual_add_nc_u32 v8, 16, v12
	v_add_co_u32 v19, vcc_lo, v74, v6
	v_dual_mov_b32 v14, 0 :: v_dual_mov_b32 v15, 0
	s_delay_alu instid0(VALU_DEP_3) | instskip(SKIP_3) | instid1(VALU_DEP_3)
	v_ashrrev_i32_e32 v9, 31, v8
	v_add_co_ci_u32_e32 v20, vcc_lo, v75, v7, vcc_lo
	v_mov_b32_e32 v16, 0
	s_and_b32 vcc_lo, exec_lo, s0
	v_lshlrev_b64 v[8:9], 3, v[8:9]
	global_store_b64 v[19:20], v[17:18], off
	s_cbranch_vccnz .LBB194_73
; %bb.72:
	v_add_co_u32 v15, vcc_lo, v72, v8
	v_add_co_ci_u32_e32 v16, vcc_lo, v73, v9, vcc_lo
	flat_load_b64 v[15:16], v[15:16]
	s_waitcnt vmcnt(0) lgkmcnt(0)
	v_mul_f64 v[15:16], v[15:16], s[6:7]
.LBB194_73:
	scratch_load_b64 v[17:18], off, off offset:40
	s_waitcnt vmcnt(1)
	v_add_f64 v[15:16], v[10:11], v[15:16]
	v_add_nc_u32_e32 v10, 20, v12
	v_add_co_u32 v19, vcc_lo, v74, v8
	v_add_co_ci_u32_e32 v20, vcc_lo, v75, v9, vcc_lo
	s_delay_alu instid0(VALU_DEP_3) | instskip(SKIP_1) | instid1(VALU_DEP_1)
	v_ashrrev_i32_e32 v11, 31, v10
	s_and_b32 vcc_lo, exec_lo, s0
	v_lshlrev_b64 v[10:11], 3, v[10:11]
	global_store_b64 v[19:20], v[15:16], off
	s_cbranch_vccnz .LBB194_75
; %bb.74:
	v_add_co_u32 v13, vcc_lo, v72, v10
	v_add_co_ci_u32_e32 v14, vcc_lo, v73, v11, vcc_lo
	flat_load_b64 v[13:14], v[13:14]
	s_waitcnt vmcnt(0) lgkmcnt(0)
	v_mul_f64 v[13:14], v[13:14], s[6:7]
.LBB194_75:
	scratch_load_b64 v[15:16], off, off offset:48
	s_waitcnt vmcnt(1)
	v_add_f64 v[21:22], v[17:18], v[13:14]
	v_add_nc_u32_e32 v13, 24, v12
	v_mov_b32_e32 v17, 0
	v_mov_b32_e32 v18, 0
	v_add_co_u32 v23, vcc_lo, v74, v10
	s_delay_alu instid0(VALU_DEP_4) | instskip(SKIP_3) | instid1(VALU_DEP_4)
	v_ashrrev_i32_e32 v14, 31, v13
	v_mov_b32_e32 v19, 0
	v_mov_b32_e32 v20, 0
	v_add_co_ci_u32_e32 v24, vcc_lo, v75, v11, vcc_lo
	v_lshlrev_b64 v[13:14], 3, v[13:14]
	s_and_b32 vcc_lo, exec_lo, s0
	global_store_b64 v[23:24], v[21:22], off
	s_cbranch_vccnz .LBB194_77
; %bb.76:
	v_add_co_u32 v19, vcc_lo, v72, v13
	v_add_co_ci_u32_e32 v20, vcc_lo, v73, v14, vcc_lo
	flat_load_b64 v[19:20], v[19:20]
	s_waitcnt vmcnt(0) lgkmcnt(0)
	v_mul_f64 v[19:20], v[19:20], s[6:7]
.LBB194_77:
	scratch_load_b64 v[21:22], off, off offset:56
	s_waitcnt vmcnt(1)
	v_add_f64 v[19:20], v[15:16], v[19:20]
	v_add_nc_u32_e32 v15, 28, v12
	v_add_co_u32 v23, vcc_lo, v74, v13
	v_add_co_ci_u32_e32 v24, vcc_lo, v75, v14, vcc_lo
	s_delay_alu instid0(VALU_DEP_3) | instskip(SKIP_1) | instid1(VALU_DEP_1)
	v_ashrrev_i32_e32 v16, 31, v15
	s_and_b32 vcc_lo, exec_lo, s0
	v_lshlrev_b64 v[15:16], 3, v[15:16]
	global_store_b64 v[23:24], v[19:20], off
	s_cbranch_vccnz .LBB194_79
; %bb.78:
	v_add_co_u32 v17, vcc_lo, v72, v15
	v_add_co_ci_u32_e32 v18, vcc_lo, v73, v16, vcc_lo
	flat_load_b64 v[17:18], v[17:18]
	s_waitcnt vmcnt(0) lgkmcnt(0)
	v_mul_f64 v[17:18], v[17:18], s[6:7]
.LBB194_79:
	scratch_load_b64 v[19:20], off, off offset:64
	s_waitcnt vmcnt(1)
	v_add_f64 v[25:26], v[21:22], v[17:18]
	v_add_nc_u32_e32 v17, 32, v12
	v_mov_b32_e32 v21, 0
	v_mov_b32_e32 v22, 0
	v_add_co_u32 v27, vcc_lo, v74, v15
	s_delay_alu instid0(VALU_DEP_4) | instskip(SKIP_3) | instid1(VALU_DEP_4)
	v_ashrrev_i32_e32 v18, 31, v17
	v_mov_b32_e32 v23, 0
	v_mov_b32_e32 v24, 0
	v_add_co_ci_u32_e32 v28, vcc_lo, v75, v16, vcc_lo
	v_lshlrev_b64 v[17:18], 3, v[17:18]
	s_and_b32 vcc_lo, exec_lo, s0
	;; [unrolled: 42-line block ×13, first 2 shown]
	global_store_b64 v[76:77], v[67:68], off
	s_cbranch_vccnz .LBB194_125
; %bb.124:
	v_add_co_u32 v67, vcc_lo, v72, v61
	v_add_co_ci_u32_e32 v68, vcc_lo, v73, v62, vcc_lo
	flat_load_b64 v[67:68], v[67:68]
	s_waitcnt vmcnt(0) lgkmcnt(0)
	v_mul_f64 v[69:70], v[67:68], s[6:7]
.LBB194_125:
	scratch_load_b64 v[67:68], off, off offset:248
	s_waitcnt vmcnt(1)
	v_add_f64 v[69:70], v[63:64], v[69:70]
	v_add_nc_u32_e32 v63, 0x7c, v12
	v_add_co_u32 v76, vcc_lo, v74, v61
	v_add_co_ci_u32_e32 v77, vcc_lo, v75, v62, vcc_lo
	s_delay_alu instid0(VALU_DEP_3) | instskip(SKIP_1) | instid1(VALU_DEP_1)
	v_ashrrev_i32_e32 v64, 31, v63
	s_and_b32 vcc_lo, exec_lo, s0
	v_lshlrev_b64 v[63:64], 3, v[63:64]
	global_store_b64 v[76:77], v[69:70], off
	s_cbranch_vccnz .LBB194_127
; %bb.126:
	v_add_co_u32 v65, vcc_lo, v72, v63
	v_add_co_ci_u32_e32 v66, vcc_lo, v73, v64, vcc_lo
	flat_load_b64 v[65:66], v[65:66]
	s_waitcnt vmcnt(0) lgkmcnt(0)
	v_mul_f64 v[65:66], v[65:66], s[6:7]
.LBB194_127:
	scratch_load_b64 v[69:70], off, off offset:256
	s_waitcnt vmcnt(1)
	v_add_f64 v[67:68], v[67:68], v[65:66]
	v_add_nc_u32_e32 v76, 64, v71
	v_add_co_u32 v74, vcc_lo, v74, v63
	v_add_co_ci_u32_e32 v75, vcc_lo, v75, v64, vcc_lo
	s_delay_alu instid0(VALU_DEP_3) | instskip(SKIP_2) | instid1(VALU_DEP_3)
	v_mad_i64_i32 v[65:66], null, v76, s3, 0
	v_mov_b32_e32 v71, 0
	v_mov_b32_e32 v72, 0
	v_lshlrev_b64 v[77:78], 3, v[65:66]
	v_mov_b32_e32 v65, 0
	v_mov_b32_e32 v66, 0
	s_delay_alu instid0(VALU_DEP_3) | instskip(NEXT) | instid1(VALU_DEP_4)
	v_add_co_u32 v12, vcc_lo, s4, v77
	v_add_co_ci_u32_e32 v73, vcc_lo, s5, v78, vcc_lo
	s_mov_b32 vcc_lo, s2
	global_store_b64 v[74:75], v[67:68], off
	s_cbranch_vccz .LBB194_129
; %bb.128:
	v_add_co_u32 v67, vcc_lo, v12, v0
	v_add_co_ci_u32_e32 v68, vcc_lo, v73, v1, vcc_lo
	flat_load_b64 v[67:68], v[67:68]
	s_waitcnt vmcnt(0) lgkmcnt(0)
	v_mul_f64 v[71:72], v[67:68], s[6:7]
.LBB194_129:
	scratch_load_b64 v[67:68], off, off offset:264
	s_waitcnt vmcnt(1)
	v_add_f64 v[69:70], v[69:70], v[71:72]
	v_mad_i64_i32 v[71:72], null, v76, s1, 0
	s_delay_alu instid0(VALU_DEP_1) | instskip(NEXT) | instid1(VALU_DEP_1)
	v_lshlrev_b64 v[71:72], 3, v[71:72]
	v_add_co_u32 v71, vcc_lo, s8, v71
	s_delay_alu instid0(VALU_DEP_2) | instskip(NEXT) | instid1(VALU_DEP_2)
	v_add_co_ci_u32_e32 v72, vcc_lo, s9, v72, vcc_lo
	v_add_co_u32 v0, vcc_lo, v71, v0
	s_delay_alu instid0(VALU_DEP_2)
	v_add_co_ci_u32_e32 v1, vcc_lo, v72, v1, vcc_lo
	s_and_b32 vcc_lo, exec_lo, s0
	global_store_b64 v[0:1], v[69:70], off
	s_cbranch_vccnz .LBB194_131
; %bb.130:
	v_add_co_u32 v0, vcc_lo, v12, v2
	v_add_co_ci_u32_e32 v1, vcc_lo, v73, v3, vcc_lo
	flat_load_b64 v[0:1], v[0:1]
	s_waitcnt vmcnt(0) lgkmcnt(0)
	v_mul_f64 v[65:66], v[0:1], s[6:7]
.LBB194_131:
	scratch_load_b64 v[69:70], off, off offset:272
	s_waitcnt vmcnt(1)
	v_add_f64 v[65:66], v[67:68], v[65:66]
	v_add_co_u32 v67, vcc_lo, v71, v2
	v_mov_b32_e32 v0, 0
	v_add_co_ci_u32_e32 v68, vcc_lo, v72, v3, vcc_lo
	v_dual_mov_b32 v1, 0 :: v_dual_mov_b32 v2, 0
	v_mov_b32_e32 v3, 0
	s_and_b32 vcc_lo, exec_lo, s0
	global_store_b64 v[67:68], v[65:66], off
	s_cbranch_vccnz .LBB194_133
; %bb.132:
	v_add_co_u32 v2, vcc_lo, v12, v4
	v_add_co_ci_u32_e32 v3, vcc_lo, v73, v5, vcc_lo
	flat_load_b64 v[2:3], v[2:3]
	s_waitcnt vmcnt(0) lgkmcnt(0)
	v_mul_f64 v[2:3], v[2:3], s[6:7]
.LBB194_133:
	scratch_load_b64 v[65:66], off, off offset:280
	s_waitcnt vmcnt(1)
	v_add_f64 v[2:3], v[69:70], v[2:3]
	v_add_co_u32 v4, vcc_lo, v71, v4
	v_add_co_ci_u32_e32 v5, vcc_lo, v72, v5, vcc_lo
	s_and_b32 vcc_lo, exec_lo, s0
	global_store_b64 v[4:5], v[2:3], off
	s_cbranch_vccnz .LBB194_135
; %bb.134:
	v_add_co_u32 v0, vcc_lo, v12, v6
	v_add_co_ci_u32_e32 v1, vcc_lo, v73, v7, vcc_lo
	flat_load_b64 v[0:1], v[0:1]
	s_waitcnt vmcnt(0) lgkmcnt(0)
	v_mul_f64 v[0:1], v[0:1], s[6:7]
.LBB194_135:
	scratch_load_b64 v[2:3], off, off offset:288
	s_waitcnt vmcnt(1)
	v_add_f64 v[4:5], v[65:66], v[0:1]
	v_add_co_u32 v65, vcc_lo, v71, v6
	v_mov_b32_e32 v0, 0
	v_add_co_ci_u32_e32 v66, vcc_lo, v72, v7, vcc_lo
	v_dual_mov_b32 v1, 0 :: v_dual_mov_b32 v6, 0
	v_mov_b32_e32 v7, 0
	s_and_b32 vcc_lo, exec_lo, s0
	global_store_b64 v[65:66], v[4:5], off
	s_cbranch_vccnz .LBB194_137
; %bb.136:
	v_add_co_u32 v4, vcc_lo, v12, v8
	v_add_co_ci_u32_e32 v5, vcc_lo, v73, v9, vcc_lo
	flat_load_b64 v[4:5], v[4:5]
	s_waitcnt vmcnt(0) lgkmcnt(0)
	v_mul_f64 v[6:7], v[4:5], s[6:7]
.LBB194_137:
	scratch_load_b64 v[4:5], off, off offset:296
	s_waitcnt vmcnt(1)
	v_add_f64 v[2:3], v[2:3], v[6:7]
	v_add_co_u32 v6, vcc_lo, v71, v8
	v_add_co_ci_u32_e32 v7, vcc_lo, v72, v9, vcc_lo
	s_and_b32 vcc_lo, exec_lo, s0
	global_store_b64 v[6:7], v[2:3], off
	s_cbranch_vccnz .LBB194_139
; %bb.138:
	v_add_co_u32 v0, vcc_lo, v12, v10
	v_add_co_ci_u32_e32 v1, vcc_lo, v73, v11, vcc_lo
	flat_load_b64 v[0:1], v[0:1]
	s_waitcnt vmcnt(0) lgkmcnt(0)
	v_mul_f64 v[0:1], v[0:1], s[6:7]
.LBB194_139:
	scratch_load_b64 v[2:3], off, off offset:304
	s_waitcnt vmcnt(1)
	v_add_f64 v[4:5], v[4:5], v[0:1]
	v_add_co_u32 v8, vcc_lo, v71, v10
	v_mov_b32_e32 v0, 0
	v_dual_mov_b32 v1, 0 :: v_dual_mov_b32 v6, 0
	v_add_co_ci_u32_e32 v9, vcc_lo, v72, v11, vcc_lo
	v_mov_b32_e32 v7, 0
	s_and_b32 vcc_lo, exec_lo, s0
	global_store_b64 v[8:9], v[4:5], off
	s_cbranch_vccnz .LBB194_141
; %bb.140:
	v_add_co_u32 v4, vcc_lo, v12, v13
	v_add_co_ci_u32_e32 v5, vcc_lo, v73, v14, vcc_lo
	flat_load_b64 v[4:5], v[4:5]
	s_waitcnt vmcnt(0) lgkmcnt(0)
	v_mul_f64 v[6:7], v[4:5], s[6:7]
.LBB194_141:
	scratch_load_b64 v[4:5], off, off offset:312
	s_waitcnt vmcnt(1)
	v_add_f64 v[2:3], v[2:3], v[6:7]
	v_add_co_u32 v6, vcc_lo, v71, v13
	v_add_co_ci_u32_e32 v7, vcc_lo, v72, v14, vcc_lo
	s_and_b32 vcc_lo, exec_lo, s0
	global_store_b64 v[6:7], v[2:3], off
	s_cbranch_vccnz .LBB194_143
; %bb.142:
	v_add_co_u32 v0, vcc_lo, v12, v15
	v_add_co_ci_u32_e32 v1, vcc_lo, v73, v16, vcc_lo
	flat_load_b64 v[0:1], v[0:1]
	s_waitcnt vmcnt(0) lgkmcnt(0)
	v_mul_f64 v[0:1], v[0:1], s[6:7]
.LBB194_143:
	scratch_load_b64 v[2:3], off, off offset:320
	s_waitcnt vmcnt(1)
	v_add_f64 v[4:5], v[4:5], v[0:1]
	v_add_co_u32 v8, vcc_lo, v71, v15
	v_mov_b32_e32 v0, 0
	v_dual_mov_b32 v1, 0 :: v_dual_mov_b32 v6, 0
	v_add_co_ci_u32_e32 v9, vcc_lo, v72, v16, vcc_lo
	;; [unrolled: 33-line block ×13, first 2 shown]
	v_mov_b32_e32 v7, 0
	s_and_b32 vcc_lo, exec_lo, s0
	global_store_b64 v[8:9], v[4:5], off
	s_cbranch_vccnz .LBB194_189
; %bb.188:
	v_add_co_u32 v4, vcc_lo, v12, v61
	v_add_co_ci_u32_e32 v5, vcc_lo, v73, v62, vcc_lo
	flat_load_b64 v[4:5], v[4:5]
	s_waitcnt vmcnt(0) lgkmcnt(0)
	v_mul_f64 v[6:7], v[4:5], s[6:7]
.LBB194_189:
	scratch_load_b64 v[4:5], off, off offset:504
	s_waitcnt vmcnt(1)
	v_add_f64 v[2:3], v[2:3], v[6:7]
	v_add_co_u32 v6, vcc_lo, v71, v61
	v_add_co_ci_u32_e32 v7, vcc_lo, v72, v62, vcc_lo
	s_and_b32 vcc_lo, exec_lo, s0
	global_store_b64 v[6:7], v[2:3], off
	s_cbranch_vccnz .LBB194_191
; %bb.190:
	v_add_co_u32 v0, vcc_lo, v12, v63
	v_add_co_ci_u32_e32 v1, vcc_lo, v73, v64, vcc_lo
	flat_load_b64 v[0:1], v[0:1]
	s_waitcnt vmcnt(0) lgkmcnt(0)
	v_mul_f64 v[0:1], v[0:1], s[6:7]
.LBB194_191:
	s_waitcnt vmcnt(0)
	s_delay_alu instid0(VALU_DEP_1)
	v_add_f64 v[0:1], v[4:5], v[0:1]
	v_add_co_u32 v2, vcc_lo, v71, v63
	v_add_co_ci_u32_e32 v3, vcc_lo, v72, v64, vcc_lo
	global_store_b64 v[2:3], v[0:1], off
	s_endpgm
	.section	.rodata,"a",@progbits
	.p2align	6, 0x0
	.amdhsa_kernel _ZN12_GLOBAL__N_120geam_min_plus_kernelIdddLi4ELi64ELi128ELi128ELi4ELi64ELi4ELi64ELi4ELc78ELc84ELb0ELb0ELb0EdKddEEviiiT16_PT17_ilS4_ilS2_S4_ilPT18_ili26rocblas_geam_ex_operation_
		.amdhsa_group_segment_fixed_size 16384
		.amdhsa_private_segment_fixed_size 528
		.amdhsa_kernarg_size 136
		.amdhsa_user_sgpr_count 14
		.amdhsa_user_sgpr_dispatch_ptr 0
		.amdhsa_user_sgpr_queue_ptr 0
		.amdhsa_user_sgpr_kernarg_segment_ptr 1
		.amdhsa_user_sgpr_dispatch_id 0
		.amdhsa_user_sgpr_private_segment_size 0
		.amdhsa_wavefront_size32 1
		.amdhsa_uses_dynamic_stack 0
		.amdhsa_enable_private_segment 1
		.amdhsa_system_sgpr_workgroup_id_x 1
		.amdhsa_system_sgpr_workgroup_id_y 0
		.amdhsa_system_sgpr_workgroup_id_z 1
		.amdhsa_system_sgpr_workgroup_info 0
		.amdhsa_system_vgpr_workitem_id 1
		.amdhsa_next_free_vgpr 252
		.amdhsa_next_free_sgpr 29
		.amdhsa_reserve_vcc 1
		.amdhsa_float_round_mode_32 0
		.amdhsa_float_round_mode_16_64 0
		.amdhsa_float_denorm_mode_32 3
		.amdhsa_float_denorm_mode_16_64 3
		.amdhsa_dx10_clamp 1
		.amdhsa_ieee_mode 1
		.amdhsa_fp16_overflow 0
		.amdhsa_workgroup_processor_mode 1
		.amdhsa_memory_ordered 1
		.amdhsa_forward_progress 0
		.amdhsa_shared_vgpr_count 0
		.amdhsa_exception_fp_ieee_invalid_op 0
		.amdhsa_exception_fp_denorm_src 0
		.amdhsa_exception_fp_ieee_div_zero 0
		.amdhsa_exception_fp_ieee_overflow 0
		.amdhsa_exception_fp_ieee_underflow 0
		.amdhsa_exception_fp_ieee_inexact 0
		.amdhsa_exception_int_div_zero 0
	.end_amdhsa_kernel
	.section	.text._ZN12_GLOBAL__N_120geam_min_plus_kernelIdddLi4ELi64ELi128ELi128ELi4ELi64ELi4ELi64ELi4ELc78ELc84ELb0ELb0ELb0EdKddEEviiiT16_PT17_ilS4_ilS2_S4_ilPT18_ili26rocblas_geam_ex_operation_,"axG",@progbits,_ZN12_GLOBAL__N_120geam_min_plus_kernelIdddLi4ELi64ELi128ELi128ELi4ELi64ELi4ELi64ELi4ELc78ELc84ELb0ELb0ELb0EdKddEEviiiT16_PT17_ilS4_ilS2_S4_ilPT18_ili26rocblas_geam_ex_operation_,comdat
.Lfunc_end194:
	.size	_ZN12_GLOBAL__N_120geam_min_plus_kernelIdddLi4ELi64ELi128ELi128ELi4ELi64ELi4ELi64ELi4ELc78ELc84ELb0ELb0ELb0EdKddEEviiiT16_PT17_ilS4_ilS2_S4_ilPT18_ili26rocblas_geam_ex_operation_, .Lfunc_end194-_ZN12_GLOBAL__N_120geam_min_plus_kernelIdddLi4ELi64ELi128ELi128ELi4ELi64ELi4ELi64ELi4ELc78ELc84ELb0ELb0ELb0EdKddEEviiiT16_PT17_ilS4_ilS2_S4_ilPT18_ili26rocblas_geam_ex_operation_
                                        ; -- End function
	.section	.AMDGPU.csdata,"",@progbits
; Kernel info:
; codeLenInByte = 43508
; NumSgprs: 31
; NumVgprs: 252
; ScratchSize: 528
; MemoryBound: 1
; FloatMode: 240
; IeeeMode: 1
; LDSByteSize: 16384 bytes/workgroup (compile time only)
; SGPRBlocks: 3
; VGPRBlocks: 31
; NumSGPRsForWavesPerEU: 31
; NumVGPRsForWavesPerEU: 252
; Occupancy: 5
; WaveLimiterHint : 1
; COMPUTE_PGM_RSRC2:SCRATCH_EN: 1
; COMPUTE_PGM_RSRC2:USER_SGPR: 14
; COMPUTE_PGM_RSRC2:TRAP_HANDLER: 0
; COMPUTE_PGM_RSRC2:TGID_X_EN: 1
; COMPUTE_PGM_RSRC2:TGID_Y_EN: 0
; COMPUTE_PGM_RSRC2:TGID_Z_EN: 1
; COMPUTE_PGM_RSRC2:TIDIG_COMP_CNT: 1
	.section	.text._ZN12_GLOBAL__N_120geam_min_plus_kernelIdddLi4ELi64ELi128ELi128ELi4ELi64ELi4ELi64ELi4ELc78ELc84ELb0ELb1ELb0EPKdS1_dEEviiiT16_PT17_ilS5_ilS3_S5_ilPT18_ili26rocblas_geam_ex_operation_,"axG",@progbits,_ZN12_GLOBAL__N_120geam_min_plus_kernelIdddLi4ELi64ELi128ELi128ELi4ELi64ELi4ELi64ELi4ELc78ELc84ELb0ELb1ELb0EPKdS1_dEEviiiT16_PT17_ilS5_ilS3_S5_ilPT18_ili26rocblas_geam_ex_operation_,comdat
	.globl	_ZN12_GLOBAL__N_120geam_min_plus_kernelIdddLi4ELi64ELi128ELi128ELi4ELi64ELi4ELi64ELi4ELc78ELc84ELb0ELb1ELb0EPKdS1_dEEviiiT16_PT17_ilS5_ilS3_S5_ilPT18_ili26rocblas_geam_ex_operation_ ; -- Begin function _ZN12_GLOBAL__N_120geam_min_plus_kernelIdddLi4ELi64ELi128ELi128ELi4ELi64ELi4ELi64ELi4ELc78ELc84ELb0ELb1ELb0EPKdS1_dEEviiiT16_PT17_ilS5_ilS3_S5_ilPT18_ili26rocblas_geam_ex_operation_
	.p2align	8
	.type	_ZN12_GLOBAL__N_120geam_min_plus_kernelIdddLi4ELi64ELi128ELi128ELi4ELi64ELi4ELi64ELi4ELc78ELc84ELb0ELb1ELb0EPKdS1_dEEviiiT16_PT17_ilS5_ilS3_S5_ilPT18_ili26rocblas_geam_ex_operation_,@function
_ZN12_GLOBAL__N_120geam_min_plus_kernelIdddLi4ELi64ELi128ELi128ELi4ELi64ELi4ELi64ELi4ELc78ELc84ELb0ELb1ELb0EPKdS1_dEEviiiT16_PT17_ilS5_ilS3_S5_ilPT18_ili26rocblas_geam_ex_operation_: ; @_ZN12_GLOBAL__N_120geam_min_plus_kernelIdddLi4ELi64ELi128ELi128ELi4ELi64ELi4ELi64ELi4ELc78ELc84ELb0ELb1ELb0EPKdS1_dEEviiiT16_PT17_ilS5_ilS3_S5_ilPT18_ili26rocblas_geam_ex_operation_
; %bb.0:
	s_clause 0x1
	s_load_b128 s[8:11], s[0:1], 0x10
	s_load_b128 s[4:7], s[0:1], 0x28
	s_mov_b32 s12, s15
	s_mov_b32 s13, 0
	s_delay_alu instid0(SALU_CYCLE_1)
	s_lshl_b64 s[22:23], s[12:13], 3
	s_waitcnt lgkmcnt(0)
	s_add_u32 s2, s8, s22
	s_addc_u32 s3, s9, s23
	s_load_b64 s[20:21], s[2:3], 0x0
	s_clause 0x1
	s_load_b128 s[16:19], s[0:1], 0x40
	s_load_b64 s[2:3], s[0:1], 0x50
	s_waitcnt lgkmcnt(0)
	s_add_u32 s8, s18, s22
	v_cmp_eq_f64_e64 s15, s[20:21], 0
	v_cmp_neq_f64_e64 s13, s[20:21], 0
	s_addc_u32 s9, s19, s23
	s_mov_b64 s[18:19], 0
	s_mov_b64 s[22:23], 0
	s_delay_alu instid0(VALU_DEP_2)
	s_and_b32 vcc_lo, exec_lo, s15
	s_cbranch_vccnz .LBB195_2
; %bb.1:
	s_mul_i32 s5, s12, s5
	s_mul_hi_u32 s15, s12, s4
	s_mul_i32 s4, s12, s4
	s_add_i32 s5, s15, s5
	s_delay_alu instid0(SALU_CYCLE_1) | instskip(NEXT) | instid1(SALU_CYCLE_1)
	s_lshl_b64 s[4:5], s[4:5], 3
	s_add_u32 s22, s10, s4
	s_addc_u32 s23, s11, s5
.LBB195_2:
	s_load_b64 s[34:35], s[8:9], 0x0
	s_delay_alu instid0(VALU_DEP_1)
	s_and_not1_b32 vcc_lo, exec_lo, s13
	s_cbranch_vccnz .LBB195_4
; %bb.3:
	s_mul_i32 s4, s12, s17
	s_mul_hi_u32 s5, s12, s16
	s_delay_alu instid0(SALU_CYCLE_1) | instskip(SKIP_1) | instid1(SALU_CYCLE_1)
	s_add_i32 s5, s5, s4
	s_mul_i32 s4, s12, s16
	s_lshl_b64 s[4:5], s[4:5], 3
	s_delay_alu instid0(SALU_CYCLE_1)
	s_add_u32 s18, s6, s4
	s_addc_u32 s19, s7, s5
.LBB195_4:
	s_waitcnt lgkmcnt(0)
	v_cmp_eq_f64_e64 s4, s[34:35], 0
	v_cmp_neq_f64_e64 s42, s[34:35], 0
	s_load_b128 s[8:11], s[0:1], 0x60
	s_mov_b64 s[40:41], 0
	s_delay_alu instid0(VALU_DEP_2)
	s_and_b32 vcc_lo, exec_lo, s4
	s_cbranch_vccnz .LBB195_6
; %bb.5:
	s_waitcnt lgkmcnt(0)
	s_mul_i32 s4, s12, s9
	s_mul_hi_u32 s5, s12, s8
	s_delay_alu instid0(SALU_CYCLE_1) | instskip(SKIP_1) | instid1(SALU_CYCLE_1)
	s_add_i32 s5, s5, s4
	s_mul_i32 s4, s12, s8
	s_lshl_b64 s[4:5], s[4:5], 3
	s_delay_alu instid0(SALU_CYCLE_1)
	s_add_u32 s40, s2, s4
	s_addc_u32 s41, s3, s5
.LBB195_6:
	s_clause 0x1
	s_load_b128 s[36:39], s[0:1], 0x0
	s_load_b32 s13, s[0:1], 0x20
	s_mov_b32 s2, 0
	v_bfe_u32 v81, v0, 10, 10
	s_mov_b32 s3, s2
	s_delay_alu instid0(SALU_CYCLE_1) | instskip(SKIP_2) | instid1(VALU_DEP_3)
	v_dual_mov_b32 v5, s3 :: v_dual_and_b32 v80, 0x3ff, v0
	v_mov_b32_e32 v4, s2
	v_cmp_eq_f64_e64 s15, s[20:21], 0
	v_lshl_add_u32 v0, v81, 2, v80
	s_delay_alu instid0(VALU_DEP_1) | instskip(SKIP_3) | instid1(VALU_DEP_2)
	v_lshrrev_b32_e32 v82, 6, v0
	v_and_b32_e32 v88, 63, v0
	s_waitcnt lgkmcnt(0)
	s_add_i32 s2, s36, -1
	v_cmp_le_i32_e32 vcc_lo, s38, v82
	s_ashr_i32 s3, s2, 31
	s_delay_alu instid0(SALU_CYCLE_1) | instskip(NEXT) | instid1(SALU_CYCLE_1)
	s_lshr_b32 s3, s3, 25
	s_add_i32 s2, s2, s3
	s_delay_alu instid0(SALU_CYCLE_1) | instskip(NEXT) | instid1(SALU_CYCLE_1)
	s_ashr_i32 s2, s2, 7
	s_add_i32 s3, s2, 1
	s_not_b32 s2, s2
	v_cvt_f32_u32_e32 v1, s3
	s_delay_alu instid0(VALU_DEP_1)
	v_rcp_iflag_f32_e32 v1, v1
	s_waitcnt_depctr 0xfff
	v_mul_f32_e32 v1, 0x4f7ffffe, v1
	s_clause 0xe
	scratch_store_b64 off, v[4:5], off
	scratch_store_b64 off, v[4:5], off offset:8
	scratch_store_b64 off, v[4:5], off offset:16
	;; [unrolled: 1-line block ×14, first 2 shown]
	v_cvt_u32_f32_e32 v1, v1
	s_clause 0xe
	scratch_store_b64 off, v[4:5], off offset:120
	scratch_store_b64 off, v[4:5], off offset:128
	;; [unrolled: 1-line block ×15, first 2 shown]
	v_readfirstlane_b32 s4, v1
	s_clause 0xd
	scratch_store_b64 off, v[4:5], off offset:240
	scratch_store_b64 off, v[4:5], off offset:248
	scratch_store_b64 off, v[4:5], off offset:256
	scratch_store_b64 off, v[4:5], off offset:264
	scratch_store_b64 off, v[4:5], off offset:272
	scratch_store_b64 off, v[4:5], off offset:280
	scratch_store_b64 off, v[4:5], off offset:288
	scratch_store_b64 off, v[4:5], off offset:296
	scratch_store_b64 off, v[4:5], off offset:304
	scratch_store_b64 off, v[4:5], off offset:312
	scratch_store_b64 off, v[4:5], off offset:320
	scratch_store_b64 off, v[4:5], off offset:328
	scratch_store_b64 off, v[4:5], off offset:336
	scratch_store_b64 off, v[4:5], off offset:344
	s_mul_i32 s2, s2, s4
	s_clause 0x3
	scratch_store_b64 off, v[4:5], off offset:352
	scratch_store_b64 off, v[4:5], off offset:360
	;; [unrolled: 1-line block ×4, first 2 shown]
	s_mul_hi_u32 s2, s4, s2
	scratch_store_b64 off, v[4:5], off offset:384
	s_add_i32 s4, s4, s2
	s_clause 0x1
	scratch_store_b64 off, v[4:5], off offset:392
	scratch_store_b64 off, v[4:5], off offset:400
	s_mul_hi_u32 s2, s14, s4
	scratch_store_b64 off, v[4:5], off offset:408
	s_mul_i32 s4, s2, s3
	s_add_i32 s5, s2, 1
	s_sub_i32 s4, s14, s4
	s_clause 0x2
	scratch_store_b64 off, v[4:5], off offset:416
	scratch_store_b64 off, v[4:5], off offset:424
	;; [unrolled: 1-line block ×3, first 2 shown]
	s_sub_i32 s6, s4, s3
	s_cmp_ge_u32 s4, s3
	s_clause 0x4
	scratch_store_b64 off, v[4:5], off offset:440
	scratch_store_b64 off, v[4:5], off offset:448
	;; [unrolled: 1-line block ×5, first 2 shown]
	s_cselect_b32 s2, s5, s2
	s_cselect_b32 s4, s6, s4
	s_add_i32 s5, s2, 1
	s_cmp_ge_u32 s4, s3
	s_clause 0x3
	scratch_store_b64 off, v[4:5], off offset:480
	scratch_store_b64 off, v[4:5], off offset:488
	;; [unrolled: 1-line block ×4, first 2 shown]
	s_cselect_b32 s5, s5, s2
	s_delay_alu instid0(SALU_CYCLE_1) | instskip(NEXT) | instid1(SALU_CYCLE_1)
	s_mul_i32 s2, s5, s3
	s_sub_i32 s2, s14, s2
	s_add_i32 s14, s38, -1
	s_lshl_b32 s8, s2, 7
	v_min_i32_e32 v6, s14, v82
	s_delay_alu instid0(VALU_DEP_1) | instskip(NEXT) | instid1(VALU_DEP_1)
	v_mad_i64_i32 v[0:1], null, s13, v6, 0
	v_lshlrev_b64 v[2:3], 3, v[0:1]
	v_mov_b32_e32 v0, 0
	v_mov_b32_e32 v1, 0
	v_or_b32_e32 v68, s8, v88
	s_delay_alu instid0(VALU_DEP_4) | instskip(NEXT) | instid1(VALU_DEP_2)
	v_add_co_u32 v7, s3, s22, v2
	v_cmp_le_i32_e64 s2, s36, v68
	v_add_co_ci_u32_e64 v8, s3, s23, v3, s3
	v_ashrrev_i32_e32 v69, 31, v68
	v_dual_mov_b32 v3, v1 :: v_dual_mov_b32 v2, v0
	s_delay_alu instid0(VALU_DEP_4) | instskip(NEXT) | instid1(SALU_CYCLE_1)
	s_or_b32 s3, s2, vcc_lo
	s_or_b32 s3, s15, s3
	s_delay_alu instid0(SALU_CYCLE_1) | instskip(NEXT) | instid1(SALU_CYCLE_1)
	s_xor_b32 s3, s3, -1
	s_and_saveexec_b32 s4, s3
	s_cbranch_execz .LBB195_8
; %bb.7:
	v_lshlrev_b64 v[2:3], 3, v[68:69]
	s_delay_alu instid0(VALU_DEP_1) | instskip(NEXT) | instid1(VALU_DEP_1)
	v_add_co_u32 v2, s3, v7, v2
	v_add_co_ci_u32_e64 v3, s3, v8, v3, s3
	flat_load_b64 v[2:3], v[2:3]
	s_waitcnt vmcnt(0) lgkmcnt(0)
	v_mul_f64 v[2:3], s[20:21], v[2:3]
.LBB195_8:
	s_or_b32 exec_lo, exec_lo, s4
	v_or_b32_e32 v4, 64, v68
	s_delay_alu instid0(VALU_DEP_1) | instskip(SKIP_1) | instid1(VALU_DEP_2)
	v_cmp_le_i32_e64 s3, s36, v4
	v_dual_mov_b32 v5, v1 :: v_dual_mov_b32 v4, v0
	s_or_b32 s4, s3, vcc_lo
	s_delay_alu instid0(SALU_CYCLE_1) | instskip(NEXT) | instid1(SALU_CYCLE_1)
	s_or_b32 s4, s15, s4
	s_xor_b32 s4, s4, -1
	s_delay_alu instid0(SALU_CYCLE_1)
	s_and_saveexec_b32 s6, s4
	s_cbranch_execz .LBB195_10
; %bb.9:
	v_lshlrev_b64 v[4:5], 3, v[68:69]
	s_delay_alu instid0(VALU_DEP_1) | instskip(NEXT) | instid1(VALU_DEP_1)
	v_add_co_u32 v4, s4, v7, v4
	v_add_co_ci_u32_e64 v5, s4, v8, v5, s4
	flat_load_b64 v[4:5], v[4:5] offset:512
	s_waitcnt vmcnt(0) lgkmcnt(0)
	v_mul_f64 v[4:5], s[20:21], v[4:5]
.LBB195_10:
	s_or_b32 exec_lo, exec_lo, s6
	s_load_b32 s16, s[0:1], 0x38
	s_lshl_b32 s9, s5, 7
	s_delay_alu instid0(SALU_CYCLE_1) | instskip(NEXT) | instid1(VALU_DEP_1)
	v_or_b32_e32 v70, s9, v88
	v_cmp_le_i32_e64 s4, s37, v70
	v_ashrrev_i32_e32 v71, 31, v70
	s_delay_alu instid0(VALU_DEP_2) | instskip(SKIP_2) | instid1(VALU_DEP_1)
	s_or_b32 s6, s4, vcc_lo
	s_waitcnt lgkmcnt(0)
	v_mad_i64_i32 v[7:8], null, s16, v6, 0
	v_lshlrev_b64 v[6:7], 3, v[7:8]
	s_delay_alu instid0(VALU_DEP_1) | instskip(NEXT) | instid1(VALU_DEP_1)
	v_add_co_u32 v8, s5, s18, v6
	v_add_co_ci_u32_e64 v9, s5, s19, v7, s5
	s_or_b32 s5, s15, s6
	s_delay_alu instid0(SALU_CYCLE_1) | instskip(NEXT) | instid1(SALU_CYCLE_1)
	s_xor_b32 s5, s5, -1
	s_and_saveexec_b32 s6, s5
	s_cbranch_execz .LBB195_12
; %bb.11:
	v_lshlrev_b64 v[0:1], 3, v[70:71]
	s_delay_alu instid0(VALU_DEP_1) | instskip(NEXT) | instid1(VALU_DEP_1)
	v_add_co_u32 v0, s5, v8, v0
	v_add_co_ci_u32_e64 v1, s5, v9, v1, s5
	flat_load_b64 v[0:1], v[0:1]
	s_waitcnt vmcnt(0) lgkmcnt(0)
	v_mul_f64 v[0:1], s[20:21], v[0:1]
.LBB195_12:
	s_or_b32 exec_lo, exec_lo, s6
	v_or_b32_e32 v6, 64, v70
	v_mov_b32_e32 v72, 0
	v_mov_b32_e32 v73, 0
	s_delay_alu instid0(VALU_DEP_3) | instskip(NEXT) | instid1(VALU_DEP_2)
	v_cmp_le_i32_e64 s5, s37, v6
	v_dual_mov_b32 v6, v72 :: v_dual_mov_b32 v7, v73
	s_delay_alu instid0(VALU_DEP_2) | instskip(NEXT) | instid1(SALU_CYCLE_1)
	s_or_b32 s6, s5, vcc_lo
	s_or_b32 s6, s15, s6
	s_delay_alu instid0(SALU_CYCLE_1) | instskip(NEXT) | instid1(SALU_CYCLE_1)
	s_xor_b32 s7, s6, -1
	s_and_saveexec_b32 s6, s7
	s_cbranch_execz .LBB195_14
; %bb.13:
	v_lshlrev_b64 v[6:7], 3, v[70:71]
	s_delay_alu instid0(VALU_DEP_1) | instskip(NEXT) | instid1(VALU_DEP_2)
	v_add_co_u32 v6, vcc_lo, v8, v6
	v_add_co_ci_u32_e32 v7, vcc_lo, v9, v7, vcc_lo
	flat_load_b64 v[6:7], v[6:7] offset:512
	s_waitcnt vmcnt(0) lgkmcnt(0)
	v_mul_f64 v[6:7], s[20:21], v[6:7]
.LBB195_14:
	s_or_b32 exec_lo, exec_lo, s6
	v_add_nc_u32_e32 v11, 4, v82
	s_delay_alu instid0(VALU_DEP_1) | instskip(SKIP_1) | instid1(VALU_DEP_2)
	v_min_i32_e32 v8, s14, v11
	v_cmp_le_i32_e32 vcc_lo, s38, v11
	v_mad_i64_i32 v[9:10], null, s13, v8, 0
	s_or_b32 s7, s2, vcc_lo
	s_delay_alu instid0(VALU_DEP_1) | instskip(NEXT) | instid1(VALU_DEP_1)
	v_lshlrev_b64 v[9:10], 3, v[9:10]
	v_add_co_u32 v9, s6, s22, v9
	s_delay_alu instid0(VALU_DEP_1) | instskip(SKIP_1) | instid1(SALU_CYCLE_1)
	v_add_co_ci_u32_e64 v10, s6, s23, v10, s6
	s_or_b32 s6, s15, s7
	s_xor_b32 s6, s6, -1
	s_delay_alu instid0(SALU_CYCLE_1)
	s_and_saveexec_b32 s7, s6
	s_cbranch_execz .LBB195_16
; %bb.15:
	v_lshlrev_b64 v[11:12], 3, v[68:69]
	s_delay_alu instid0(VALU_DEP_1) | instskip(NEXT) | instid1(VALU_DEP_1)
	v_add_co_u32 v11, s6, v9, v11
	v_add_co_ci_u32_e64 v12, s6, v10, v12, s6
	flat_load_b64 v[11:12], v[11:12]
	s_waitcnt vmcnt(0) lgkmcnt(0)
	v_mul_f64 v[72:73], s[20:21], v[11:12]
.LBB195_16:
	s_or_b32 exec_lo, exec_lo, s7
	v_mov_b32_e32 v74, 0
	v_mov_b32_e32 v75, 0
	s_or_b32 s6, s3, vcc_lo
	s_delay_alu instid0(SALU_CYCLE_1) | instskip(NEXT) | instid1(SALU_CYCLE_1)
	s_or_b32 s6, s15, s6
	s_xor_b32 s6, s6, -1
	s_delay_alu instid0(VALU_DEP_1)
	v_dual_mov_b32 v77, v75 :: v_dual_mov_b32 v76, v74
	s_and_saveexec_b32 s7, s6
	s_cbranch_execz .LBB195_18
; %bb.17:
	v_lshlrev_b64 v[11:12], 3, v[68:69]
	s_delay_alu instid0(VALU_DEP_1) | instskip(NEXT) | instid1(VALU_DEP_1)
	v_add_co_u32 v9, s6, v9, v11
	v_add_co_ci_u32_e64 v10, s6, v10, v12, s6
	flat_load_b64 v[9:10], v[9:10] offset:512
	s_waitcnt vmcnt(0) lgkmcnt(0)
	v_mul_f64 v[76:77], s[20:21], v[9:10]
.LBB195_18:
	s_or_b32 exec_lo, exec_lo, s7
	v_mad_i64_i32 v[9:10], null, s16, v8, 0
	s_or_b32 s7, s4, vcc_lo
	s_delay_alu instid0(VALU_DEP_1) | instskip(NEXT) | instid1(VALU_DEP_1)
	v_lshlrev_b64 v[8:9], 3, v[9:10]
	v_add_co_u32 v8, s6, s18, v8
	s_delay_alu instid0(VALU_DEP_1) | instskip(SKIP_1) | instid1(SALU_CYCLE_1)
	v_add_co_ci_u32_e64 v9, s6, s19, v9, s6
	s_or_b32 s6, s15, s7
	s_xor_b32 s6, s6, -1
	s_delay_alu instid0(SALU_CYCLE_1)
	s_and_saveexec_b32 s7, s6
	s_cbranch_execz .LBB195_20
; %bb.19:
	v_lshlrev_b64 v[10:11], 3, v[70:71]
	s_delay_alu instid0(VALU_DEP_1) | instskip(NEXT) | instid1(VALU_DEP_1)
	v_add_co_u32 v10, s6, v8, v10
	v_add_co_ci_u32_e64 v11, s6, v9, v11, s6
	flat_load_b64 v[10:11], v[10:11]
	s_waitcnt vmcnt(0) lgkmcnt(0)
	v_mul_f64 v[74:75], s[20:21], v[10:11]
.LBB195_20:
	s_or_b32 exec_lo, exec_lo, s7
	s_or_b32 s6, s5, vcc_lo
	v_mov_b32_e32 v78, 0
	v_mov_b32_e32 v79, 0
	s_or_b32 s6, s15, s6
	s_delay_alu instid0(SALU_CYCLE_1) | instskip(NEXT) | instid1(SALU_CYCLE_1)
	s_xor_b32 s7, s6, -1
	s_and_saveexec_b32 s6, s7
	s_cbranch_execz .LBB195_22
; %bb.21:
	v_lshlrev_b64 v[10:11], 3, v[70:71]
	s_delay_alu instid0(VALU_DEP_1) | instskip(NEXT) | instid1(VALU_DEP_2)
	v_add_co_u32 v8, vcc_lo, v8, v10
	v_add_co_ci_u32_e32 v9, vcc_lo, v9, v11, vcc_lo
	flat_load_b64 v[8:9], v[8:9] offset:512
	s_waitcnt vmcnt(0) lgkmcnt(0)
	v_mul_f64 v[78:79], s[20:21], v[8:9]
.LBB195_22:
	s_or_b32 exec_lo, exec_lo, s6
	v_dual_mov_b32 v89, 0 :: v_dual_lshlrev_b32 v8, 3, v82
	v_dual_mov_b32 v90, 8 :: v_dual_lshlrev_b32 v83, 5, v80
	;; [unrolled: 1-line block ×3, first 2 shown]
	s_delay_alu instid0(VALU_DEP_3) | instskip(NEXT) | instid1(VALU_DEP_3)
	v_lshl_add_u32 v84, v88, 5, v8
	v_dual_mov_b32 v91, 16 :: v_dual_add_nc_u32 v48, 0x800, v83
	s_delay_alu instid0(VALU_DEP_3)
	v_dual_mov_b32 v94, 40 :: v_dual_add_nc_u32 v87, 0x2000, v85
	ds_store_2addr_stride64_b64 v84, v[2:3], v[4:5] offset1:4
	ds_store_2addr_stride64_b64 v84, v[0:1], v[6:7] offset0:16 offset1:20
	s_waitcnt lgkmcnt(0)
	s_waitcnt_vscnt null, 0x0
	s_barrier
	buffer_gl0_inv
	ds_load_2addr_b64 v[0:3], v83 offset1:16
	ds_load_2addr_b64 v[4:7], v83 offset0:32 offset1:48
	ds_load_2addr_b64 v[8:11], v83 offset0:64 offset1:80
	;; [unrolled: 1-line block ×4, first 2 shown]
	ds_load_2addr_b64 v[20:23], v48 offset1:16
	ds_load_2addr_b64 v[24:27], v48 offset0:32 offset1:48
	ds_load_2addr_b64 v[28:31], v48 offset0:64 offset1:80
	ds_load_2addr_b64 v[32:35], v48 offset0:96 offset1:112
	ds_load_2addr_b64 v[36:39], v48 offset0:128 offset1:144
	ds_load_2addr_b64 v[40:43], v48 offset0:160 offset1:176
	ds_load_2addr_b64 v[44:47], v48 offset0:192 offset1:208
	ds_load_2addr_b64 v[48:51], v48 offset0:224 offset1:240
	ds_load_2addr_b64 v[52:55], v83 offset0:160 offset1:176
	ds_load_2addr_b64 v[56:59], v83 offset0:192 offset1:208
	ds_load_2addr_b64 v[60:63], v83 offset0:224 offset1:240
	ds_load_2addr_stride64_b64 v[64:67], v85 offset0:16 offset1:20
	v_or_b32_e32 v86, 0x2000, v84
	v_dual_mov_b32 v93, 32 :: v_dual_mov_b32 v96, 56
	v_dual_mov_b32 v95, 48 :: v_dual_mov_b32 v98, 0x48
	;; [unrolled: 1-line block ×3, first 2 shown]
	v_mov_b32_e32 v99, 0x50
	v_mov_b32_e32 v101, 0x60
	;; [unrolled: 1-line block ×21, first 2 shown]
	s_mov_b64 s[6:7], 0
	s_mov_b32 s17, -1
.LBB195_23:                             ; =>This Inner Loop Header: Depth=1
	scratch_load_b64 v[121:122], v89, off
	scratch_load_b64 v[123:124], v90, off
	;; [unrolled: 1-line block ×32, first 2 shown]
	s_cmp_eq_u32 s6, 1
	s_waitcnt lgkmcnt(16)
	v_max_f64 v[187:188], v[0:1], v[0:1]
	s_cselect_b32 vcc_lo, -1, 0
	v_max_f64 v[189:190], v[2:3], v[2:3]
	s_waitcnt lgkmcnt(0)
	v_dual_cndmask_b32 v186, v65, v67 :: v_dual_cndmask_b32 v185, v64, v66
	v_max_f64 v[191:192], v[4:5], v[4:5]
	v_max_f64 v[193:194], v[6:7], v[6:7]
	;; [unrolled: 1-line block ×31, first 2 shown]
	s_mov_b64 s[6:7], 1
	s_and_b32 vcc_lo, exec_lo, s17
	s_mov_b32 s17, 0
	v_min_f64 v[187:188], v[187:188], v[185:186]
	v_min_f64 v[189:190], v[189:190], v[185:186]
	;; [unrolled: 1-line block ×32, first 2 shown]
	s_waitcnt vmcnt(31)
	v_add_f64 v[121:122], v[121:122], v[187:188]
	s_waitcnt vmcnt(30)
	v_add_f64 v[123:124], v[189:190], v[123:124]
	;; [unrolled: 2-line block ×32, first 2 shown]
	scratch_store_b64 v89, v[121:122], off
	scratch_store_b64 v90, v[123:124], off
	;; [unrolled: 1-line block ×32, first 2 shown]
	v_mov_b32_e32 v89, 0x100
	v_mov_b32_e32 v90, 0x108
	;; [unrolled: 1-line block ×32, first 2 shown]
	s_cbranch_vccnz .LBB195_23
; %bb.24:
	v_dual_mov_b32 v89, 0 :: v_dual_add_nc_u32 v60, 0x800, v83
	ds_load_2addr_b64 v[0:3], v83 offset0:1 offset1:17
	ds_load_2addr_b64 v[4:7], v83 offset0:33 offset1:49
	;; [unrolled: 1-line block ×12, first 2 shown]
	v_dual_mov_b32 v91, 16 :: v_dual_add_nc_u32 v64, 8, v87
	ds_load_2addr_b64 v[48:51], v60 offset0:129 offset1:145
	ds_load_2addr_b64 v[52:55], v60 offset0:161 offset1:177
	;; [unrolled: 1-line block ×4, first 2 shown]
	ds_load_2addr_stride64_b64 v[64:67], v64 offset1:4
	v_dual_mov_b32 v90, 8 :: v_dual_mov_b32 v93, 32
	v_dual_mov_b32 v92, 24 :: v_dual_mov_b32 v95, 48
	;; [unrolled: 1-line block ×4, first 2 shown]
	v_mov_b32_e32 v98, 0x48
	v_mov_b32_e32 v100, 0x58
	;; [unrolled: 1-line block ×22, first 2 shown]
	s_mov_b64 s[6:7], 0
	s_mov_b32 s17, -1
.LBB195_25:                             ; =>This Inner Loop Header: Depth=1
	scratch_load_b64 v[121:122], v89, off
	scratch_load_b64 v[123:124], v90, off
	;; [unrolled: 1-line block ×32, first 2 shown]
	s_cmp_eq_u32 s6, 1
	s_waitcnt lgkmcnt(16)
	v_max_f64 v[187:188], v[0:1], v[0:1]
	s_cselect_b32 vcc_lo, -1, 0
	v_max_f64 v[189:190], v[2:3], v[2:3]
	s_waitcnt lgkmcnt(0)
	v_dual_cndmask_b32 v186, v65, v67 :: v_dual_cndmask_b32 v185, v64, v66
	v_max_f64 v[191:192], v[4:5], v[4:5]
	v_max_f64 v[193:194], v[6:7], v[6:7]
	;; [unrolled: 1-line block ×31, first 2 shown]
	s_mov_b64 s[6:7], 1
	s_and_b32 vcc_lo, exec_lo, s17
	s_mov_b32 s17, 0
	v_min_f64 v[187:188], v[187:188], v[185:186]
	v_min_f64 v[189:190], v[189:190], v[185:186]
	v_min_f64 v[191:192], v[191:192], v[185:186]
	v_min_f64 v[193:194], v[193:194], v[185:186]
	v_min_f64 v[195:196], v[195:196], v[185:186]
	v_min_f64 v[197:198], v[197:198], v[185:186]
	v_min_f64 v[199:200], v[199:200], v[185:186]
	v_min_f64 v[201:202], v[201:202], v[185:186]
	v_min_f64 v[203:204], v[203:204], v[185:186]
	v_min_f64 v[205:206], v[205:206], v[185:186]
	v_min_f64 v[207:208], v[207:208], v[185:186]
	v_min_f64 v[209:210], v[209:210], v[185:186]
	v_min_f64 v[211:212], v[211:212], v[185:186]
	v_min_f64 v[213:214], v[213:214], v[185:186]
	v_min_f64 v[215:216], v[215:216], v[185:186]
	v_min_f64 v[217:218], v[217:218], v[185:186]
	v_min_f64 v[219:220], v[219:220], v[185:186]
	v_min_f64 v[221:222], v[221:222], v[185:186]
	v_min_f64 v[223:224], v[223:224], v[185:186]
	v_min_f64 v[225:226], v[225:226], v[185:186]
	v_min_f64 v[227:228], v[227:228], v[185:186]
	v_min_f64 v[229:230], v[229:230], v[185:186]
	v_min_f64 v[231:232], v[231:232], v[185:186]
	v_min_f64 v[233:234], v[233:234], v[185:186]
	v_min_f64 v[235:236], v[235:236], v[185:186]
	v_min_f64 v[237:238], v[237:238], v[185:186]
	v_min_f64 v[239:240], v[239:240], v[185:186]
	v_min_f64 v[241:242], v[241:242], v[185:186]
	v_min_f64 v[243:244], v[243:244], v[185:186]
	v_min_f64 v[245:246], v[245:246], v[185:186]
	v_min_f64 v[247:248], v[247:248], v[185:186]
	v_min_f64 v[185:186], v[249:250], v[185:186]
	s_waitcnt vmcnt(31)
	v_add_f64 v[121:122], v[121:122], v[187:188]
	s_waitcnt vmcnt(30)
	v_add_f64 v[123:124], v[189:190], v[123:124]
	;; [unrolled: 2-line block ×32, first 2 shown]
	scratch_store_b64 v89, v[121:122], off
	scratch_store_b64 v90, v[123:124], off
	;; [unrolled: 1-line block ×32, first 2 shown]
	v_mov_b32_e32 v89, 0x100
	v_mov_b32_e32 v90, 0x108
	v_mov_b32_e32 v91, 0x110
	v_mov_b32_e32 v92, 0x118
	v_mov_b32_e32 v93, 0x120
	v_mov_b32_e32 v94, 0x128
	v_mov_b32_e32 v95, 0x130
	v_mov_b32_e32 v96, 0x138
	v_mov_b32_e32 v97, 0x140
	v_mov_b32_e32 v98, 0x148
	v_mov_b32_e32 v99, 0x150
	v_mov_b32_e32 v100, 0x158
	v_mov_b32_e32 v101, 0x160
	v_mov_b32_e32 v102, 0x168
	v_mov_b32_e32 v103, 0x170
	v_mov_b32_e32 v104, 0x178
	v_mov_b32_e32 v105, 0x180
	v_mov_b32_e32 v106, 0x188
	v_mov_b32_e32 v107, 0x190
	v_mov_b32_e32 v108, 0x198
	v_mov_b32_e32 v109, 0x1a0
	v_mov_b32_e32 v110, 0x1a8
	v_mov_b32_e32 v111, 0x1b0
	v_mov_b32_e32 v112, 0x1b8
	v_mov_b32_e32 v113, 0x1c0
	v_mov_b32_e32 v114, 0x1c8
	v_mov_b32_e32 v115, 0x1d0
	v_mov_b32_e32 v116, 0x1d8
	v_mov_b32_e32 v117, 0x1e0
	v_mov_b32_e32 v118, 0x1e8
	v_mov_b32_e32 v119, 0x1f0
	v_mov_b32_e32 v120, 0x1f8
	s_cbranch_vccnz .LBB195_25
; %bb.26:
	v_dual_mov_b32 v89, 0 :: v_dual_add_nc_u32 v60, 0x800, v83
	ds_load_2addr_b64 v[0:3], v83 offset0:2 offset1:18
	ds_load_2addr_b64 v[4:7], v83 offset0:34 offset1:50
	;; [unrolled: 1-line block ×12, first 2 shown]
	v_dual_mov_b32 v91, 16 :: v_dual_add_nc_u32 v64, 16, v87
	ds_load_2addr_b64 v[48:51], v60 offset0:130 offset1:146
	ds_load_2addr_b64 v[52:55], v60 offset0:162 offset1:178
	ds_load_2addr_b64 v[56:59], v60 offset0:194 offset1:210
	ds_load_2addr_b64 v[60:63], v60 offset0:226 offset1:242
	ds_load_2addr_stride64_b64 v[64:67], v64 offset1:4
	v_dual_mov_b32 v90, 8 :: v_dual_mov_b32 v93, 32
	v_dual_mov_b32 v92, 24 :: v_dual_mov_b32 v95, 48
	;; [unrolled: 1-line block ×4, first 2 shown]
	v_mov_b32_e32 v98, 0x48
	v_mov_b32_e32 v100, 0x58
	;; [unrolled: 1-line block ×22, first 2 shown]
	s_mov_b64 s[6:7], 0
	s_mov_b32 s17, -1
.LBB195_27:                             ; =>This Inner Loop Header: Depth=1
	scratch_load_b64 v[121:122], v89, off
	scratch_load_b64 v[123:124], v90, off
	;; [unrolled: 1-line block ×32, first 2 shown]
	s_cmp_eq_u32 s6, 1
	s_waitcnt lgkmcnt(16)
	v_max_f64 v[187:188], v[0:1], v[0:1]
	s_cselect_b32 vcc_lo, -1, 0
	v_max_f64 v[189:190], v[2:3], v[2:3]
	s_waitcnt lgkmcnt(0)
	v_dual_cndmask_b32 v186, v65, v67 :: v_dual_cndmask_b32 v185, v64, v66
	v_max_f64 v[191:192], v[4:5], v[4:5]
	v_max_f64 v[193:194], v[6:7], v[6:7]
	;; [unrolled: 1-line block ×31, first 2 shown]
	s_mov_b64 s[6:7], 1
	s_and_b32 vcc_lo, exec_lo, s17
	s_mov_b32 s17, 0
	v_min_f64 v[187:188], v[187:188], v[185:186]
	v_min_f64 v[189:190], v[189:190], v[185:186]
	;; [unrolled: 1-line block ×32, first 2 shown]
	s_waitcnt vmcnt(31)
	v_add_f64 v[121:122], v[121:122], v[187:188]
	s_waitcnt vmcnt(30)
	v_add_f64 v[123:124], v[189:190], v[123:124]
	;; [unrolled: 2-line block ×32, first 2 shown]
	scratch_store_b64 v89, v[121:122], off
	scratch_store_b64 v90, v[123:124], off
	;; [unrolled: 1-line block ×32, first 2 shown]
	v_mov_b32_e32 v89, 0x100
	v_mov_b32_e32 v90, 0x108
	;; [unrolled: 1-line block ×32, first 2 shown]
	s_cbranch_vccnz .LBB195_27
; %bb.28:
	v_dual_mov_b32 v89, 0 :: v_dual_add_nc_u32 v60, 0x800, v83
	ds_load_2addr_b64 v[0:3], v83 offset0:3 offset1:19
	ds_load_2addr_b64 v[4:7], v83 offset0:35 offset1:51
	;; [unrolled: 1-line block ×12, first 2 shown]
	v_dual_mov_b32 v91, 16 :: v_dual_add_nc_u32 v64, 24, v87
	ds_load_2addr_b64 v[48:51], v60 offset0:131 offset1:147
	ds_load_2addr_b64 v[52:55], v60 offset0:163 offset1:179
	;; [unrolled: 1-line block ×4, first 2 shown]
	ds_load_2addr_stride64_b64 v[64:67], v64 offset1:4
	v_dual_mov_b32 v90, 8 :: v_dual_mov_b32 v93, 32
	v_dual_mov_b32 v92, 24 :: v_dual_mov_b32 v95, 48
	;; [unrolled: 1-line block ×4, first 2 shown]
	v_mov_b32_e32 v98, 0x48
	v_mov_b32_e32 v100, 0x58
	;; [unrolled: 1-line block ×22, first 2 shown]
	s_mov_b64 s[6:7], 0
	s_mov_b32 s17, -1
.LBB195_29:                             ; =>This Inner Loop Header: Depth=1
	scratch_load_b64 v[121:122], v89, off
	scratch_load_b64 v[123:124], v90, off
	;; [unrolled: 1-line block ×32, first 2 shown]
	s_cmp_eq_u32 s6, 1
	s_waitcnt lgkmcnt(16)
	v_max_f64 v[187:188], v[0:1], v[0:1]
	s_cselect_b32 vcc_lo, -1, 0
	v_max_f64 v[189:190], v[2:3], v[2:3]
	s_waitcnt lgkmcnt(0)
	v_dual_cndmask_b32 v186, v65, v67 :: v_dual_cndmask_b32 v185, v64, v66
	v_max_f64 v[191:192], v[4:5], v[4:5]
	v_max_f64 v[193:194], v[6:7], v[6:7]
	;; [unrolled: 1-line block ×31, first 2 shown]
	s_mov_b64 s[6:7], 1
	s_and_b32 vcc_lo, exec_lo, s17
	s_mov_b32 s17, 0
	v_min_f64 v[187:188], v[187:188], v[185:186]
	v_min_f64 v[189:190], v[189:190], v[185:186]
	;; [unrolled: 1-line block ×32, first 2 shown]
	s_waitcnt vmcnt(31)
	v_add_f64 v[121:122], v[121:122], v[187:188]
	s_waitcnt vmcnt(30)
	v_add_f64 v[123:124], v[189:190], v[123:124]
	;; [unrolled: 2-line block ×32, first 2 shown]
	scratch_store_b64 v89, v[121:122], off
	scratch_store_b64 v90, v[123:124], off
	;; [unrolled: 1-line block ×32, first 2 shown]
	v_mov_b32_e32 v89, 0x100
	v_mov_b32_e32 v90, 0x108
	;; [unrolled: 1-line block ×32, first 2 shown]
	s_cbranch_vccnz .LBB195_29
; %bb.30:
	v_lshlrev_b32_e32 v0, 5, v88
	s_mov_b32 s17, 8
	s_cmp_gt_i32 s38, 8
	s_delay_alu instid0(VALU_DEP_1)
	v_lshl_add_u32 v0, v82, 3, v0
	ds_store_2addr_stride64_b64 v0, v[72:73], v[76:77] offset0:8 offset1:12
	ds_store_2addr_stride64_b64 v0, v[74:75], v[78:79] offset0:24 offset1:28
	s_waitcnt lgkmcnt(0)
	s_waitcnt_vscnt null, 0x0
	s_barrier
	buffer_gl0_inv
	s_cbranch_scc0 .LBB195_65
; %bb.31:
	v_lshl_add_u32 v89, v80, 5, 0x1000
	v_lshlrev_b64 v[68:69], 3, v[68:69]
	v_lshlrev_b64 v[70:71], 3, v[70:71]
	v_or_b32_e32 v88, 0x1000, v0
	v_or_b32_e32 v90, 0x3000, v0
	v_lshl_add_u32 v91, v81, 5, 0x3000
	v_add_nc_u32_e32 v92, 0x800, v89
	s_add_i32 s24, s38, -8
	s_mov_b32 s25, 0
.LBB195_32:                             ; =>This Loop Header: Depth=1
                                        ;     Child Loop BB195_41 Depth 2
                                        ;     Child Loop BB195_43 Depth 2
                                        ;     Child Loop BB195_45 Depth 2
                                        ;     Child Loop BB195_47 Depth 2
                                        ;     Child Loop BB195_57 Depth 2
                                        ;     Child Loop BB195_59 Depth 2
                                        ;     Child Loop BB195_61 Depth 2
                                        ;     Child Loop BB195_63 Depth 2
	v_dual_mov_b32 v72, 0 :: v_dual_add_nc_u32 v3, s17, v82
	v_mov_b32_e32 v73, 0
	s_delay_alu instid0(VALU_DEP_2) | instskip(SKIP_1) | instid1(VALU_DEP_3)
	v_min_i32_e32 v0, s14, v3
	v_cmp_le_i32_e32 vcc_lo, s38, v3
	v_dual_mov_b32 v75, v73 :: v_dual_mov_b32 v74, v72
	s_delay_alu instid0(VALU_DEP_3) | instskip(SKIP_1) | instid1(VALU_DEP_1)
	v_mad_i64_i32 v[1:2], null, v0, s13, 0
	s_or_b32 s7, s2, vcc_lo
	v_lshlrev_b64 v[1:2], 3, v[1:2]
	s_delay_alu instid0(VALU_DEP_1) | instskip(NEXT) | instid1(VALU_DEP_1)
	v_add_co_u32 v1, s6, s22, v1
	v_add_co_ci_u32_e64 v2, s6, s23, v2, s6
	s_or_b32 s6, s15, s7
	s_delay_alu instid0(SALU_CYCLE_1) | instskip(NEXT) | instid1(SALU_CYCLE_1)
	s_xor_b32 s6, s6, -1
	s_and_saveexec_b32 s7, s6
	s_cbranch_execz .LBB195_34
; %bb.33:                               ;   in Loop: Header=BB195_32 Depth=1
	v_add_co_u32 v3, s6, v1, v68
	s_delay_alu instid0(VALU_DEP_1)
	v_add_co_ci_u32_e64 v4, s6, v2, v69, s6
	flat_load_b64 v[3:4], v[3:4]
	s_waitcnt vmcnt(0) lgkmcnt(0)
	v_mul_f64 v[74:75], s[20:21], v[3:4]
.LBB195_34:                             ;   in Loop: Header=BB195_32 Depth=1
	s_or_b32 exec_lo, exec_lo, s7
	s_or_b32 s6, s3, vcc_lo
	s_delay_alu instid0(SALU_CYCLE_1) | instskip(NEXT) | instid1(SALU_CYCLE_1)
	s_or_b32 s6, s15, s6
	s_xor_b32 s6, s6, -1
	s_delay_alu instid0(SALU_CYCLE_1)
	s_and_saveexec_b32 s7, s6
	s_cbranch_execz .LBB195_36
; %bb.35:                               ;   in Loop: Header=BB195_32 Depth=1
	v_add_co_u32 v1, s6, v1, v68
	s_delay_alu instid0(VALU_DEP_1)
	v_add_co_ci_u32_e64 v2, s6, v2, v69, s6
	flat_load_b64 v[1:2], v[1:2] offset:512
	s_waitcnt vmcnt(0) lgkmcnt(0)
	v_mul_f64 v[72:73], s[20:21], v[1:2]
.LBB195_36:                             ;   in Loop: Header=BB195_32 Depth=1
	s_or_b32 exec_lo, exec_lo, s7
	v_mad_i64_i32 v[1:2], null, v0, s16, 0
	v_mov_b32_e32 v76, 0
	v_mov_b32_e32 v77, 0
	s_or_b32 s7, s4, vcc_lo
	s_delay_alu instid0(VALU_DEP_1) | instskip(NEXT) | instid1(VALU_DEP_4)
	v_dual_mov_b32 v79, v77 :: v_dual_mov_b32 v78, v76
	v_lshlrev_b64 v[0:1], 3, v[1:2]
	s_delay_alu instid0(VALU_DEP_1) | instskip(NEXT) | instid1(VALU_DEP_1)
	v_add_co_u32 v0, s6, s18, v0
	v_add_co_ci_u32_e64 v1, s6, s19, v1, s6
	s_or_b32 s6, s15, s7
	s_delay_alu instid0(SALU_CYCLE_1) | instskip(NEXT) | instid1(SALU_CYCLE_1)
	s_xor_b32 s6, s6, -1
	s_and_saveexec_b32 s7, s6
	s_cbranch_execz .LBB195_38
; %bb.37:                               ;   in Loop: Header=BB195_32 Depth=1
	v_add_co_u32 v2, s6, v0, v70
	s_delay_alu instid0(VALU_DEP_1)
	v_add_co_ci_u32_e64 v3, s6, v1, v71, s6
	flat_load_b64 v[2:3], v[2:3]
	s_waitcnt vmcnt(0) lgkmcnt(0)
	v_mul_f64 v[78:79], s[20:21], v[2:3]
.LBB195_38:                             ;   in Loop: Header=BB195_32 Depth=1
	s_or_b32 exec_lo, exec_lo, s7
	s_or_b32 s6, s5, vcc_lo
	s_delay_alu instid0(SALU_CYCLE_1) | instskip(NEXT) | instid1(SALU_CYCLE_1)
	s_or_b32 s6, s15, s6
	s_xor_b32 s7, s6, -1
	s_delay_alu instid0(SALU_CYCLE_1)
	s_and_saveexec_b32 s6, s7
	s_cbranch_execz .LBB195_40
; %bb.39:                               ;   in Loop: Header=BB195_32 Depth=1
	v_add_co_u32 v0, vcc_lo, v0, v70
	v_add_co_ci_u32_e32 v1, vcc_lo, v1, v71, vcc_lo
	flat_load_b64 v[0:1], v[0:1] offset:512
	s_waitcnt vmcnt(0) lgkmcnt(0)
	v_mul_f64 v[76:77], s[20:21], v[0:1]
.LBB195_40:                             ;   in Loop: Header=BB195_32 Depth=1
	s_or_b32 exec_lo, exec_lo, s6
	ds_load_2addr_b64 v[0:3], v89 offset1:16
	ds_load_2addr_b64 v[4:7], v89 offset0:32 offset1:48
	ds_load_2addr_b64 v[8:11], v89 offset0:64 offset1:80
	;; [unrolled: 1-line block ×7, first 2 shown]
	ds_load_2addr_b64 v[32:35], v92 offset1:16
	ds_load_2addr_b64 v[36:39], v92 offset0:32 offset1:48
	ds_load_2addr_b64 v[40:43], v92 offset0:64 offset1:80
	;; [unrolled: 1-line block ×7, first 2 shown]
	ds_load_2addr_stride64_b64 v[64:67], v91 offset1:4
	v_dual_mov_b32 v124, 0 :: v_dual_mov_b32 v123, 8
	v_dual_mov_b32 v122, 16 :: v_dual_mov_b32 v121, 24
	;; [unrolled: 1-line block ×5, first 2 shown]
	v_mov_b32_e32 v114, 0x50
	v_mov_b32_e32 v113, 0x58
	;; [unrolled: 1-line block ×22, first 2 shown]
	s_mov_b64 s[6:7], 0
	s_mov_b32 s26, -1
.LBB195_41:                             ;   Parent Loop BB195_32 Depth=1
                                        ; =>  This Inner Loop Header: Depth=2
	scratch_load_b64 v[129:130], v124, off
	s_cmp_eq_u32 s6, 1
	s_waitcnt lgkmcnt(16)
	v_max_f64 v[127:128], v[0:1], v[0:1]
	s_cselect_b32 vcc_lo, -1, 0
	s_mov_b64 s[6:7], 1
	s_waitcnt lgkmcnt(0)
	v_dual_cndmask_b32 v126, v65, v67 :: v_dual_cndmask_b32 v125, v64, v66
	s_and_b32 vcc_lo, exec_lo, s26
	s_mov_b32 s26, 0
	s_delay_alu instid0(VALU_DEP_1) | instskip(NEXT) | instid1(VALU_DEP_1)
	v_max_f64 v[125:126], v[125:126], v[125:126]
	v_min_f64 v[127:128], v[127:128], v[125:126]
	s_waitcnt vmcnt(0)
	s_delay_alu instid0(VALU_DEP_1) | instskip(SKIP_3) | instid1(VALU_DEP_1)
	v_add_f64 v[127:128], v[129:130], v[127:128]
	scratch_load_b64 v[129:130], v123, off
	scratch_store_b64 v124, v[127:128], off
	v_max_f64 v[127:128], v[2:3], v[2:3]
	v_min_f64 v[127:128], v[127:128], v[125:126]
	s_waitcnt vmcnt(0)
	s_delay_alu instid0(VALU_DEP_1) | instskip(SKIP_3) | instid1(VALU_DEP_1)
	v_add_f64 v[127:128], v[127:128], v[129:130]
	scratch_store_b64 v123, v[127:128], off
	scratch_load_b64 v[127:128], v122, off
	v_max_f64 v[123:124], v[4:5], v[4:5]
	v_min_f64 v[123:124], v[123:124], v[125:126]
	s_waitcnt vmcnt(0)
	s_delay_alu instid0(VALU_DEP_1) | instskip(SKIP_3) | instid1(VALU_DEP_1)
	v_add_f64 v[123:124], v[123:124], v[127:128]
	scratch_load_b64 v[127:128], v121, off
	scratch_store_b64 v122, v[123:124], off
	v_max_f64 v[122:123], v[6:7], v[6:7]
	v_min_f64 v[122:123], v[122:123], v[125:126]
	s_waitcnt vmcnt(0)
	s_delay_alu instid0(VALU_DEP_1) | instskip(SKIP_3) | instid1(VALU_DEP_1)
	v_add_f64 v[122:123], v[122:123], v[127:128]
	scratch_store_b64 v121, v[122:123], off
	scratch_load_b64 v[123:124], v120, off
	v_max_f64 v[121:122], v[8:9], v[8:9]
	v_min_f64 v[121:122], v[121:122], v[125:126]
	s_waitcnt vmcnt(0)
	s_delay_alu instid0(VALU_DEP_1) | instskip(SKIP_4) | instid1(VALU_DEP_1)
	v_add_f64 v[121:122], v[121:122], v[123:124]
	v_mov_b32_e32 v124, 0x100
	scratch_store_b64 v120, v[121:122], off
	scratch_load_b64 v[122:123], v119, off
	v_max_f64 v[120:121], v[10:11], v[10:11]
	v_min_f64 v[120:121], v[120:121], v[125:126]
	s_waitcnt vmcnt(0)
	s_delay_alu instid0(VALU_DEP_1) | instskip(SKIP_4) | instid1(VALU_DEP_1)
	v_add_f64 v[120:121], v[120:121], v[122:123]
	v_mov_b32_e32 v123, 0x108
	;; [unrolled: 8-line block ×27, first 2 shown]
	scratch_store_b64 v94, v[95:96], off
	scratch_load_b64 v[96:97], v93, off
	v_max_f64 v[94:95], v[62:63], v[62:63]
	v_min_f64 v[94:95], v[94:95], v[125:126]
	s_waitcnt vmcnt(0)
	s_delay_alu instid0(VALU_DEP_1)
	v_add_f64 v[94:95], v[94:95], v[96:97]
	v_mov_b32_e32 v97, 0x1d8
	v_mov_b32_e32 v96, 0x1e0
	scratch_store_b64 v93, v[94:95], off
	v_mov_b32_e32 v95, 0x1e8
	v_mov_b32_e32 v94, 0x1f0
	;; [unrolled: 1-line block ×3, first 2 shown]
	s_cbranch_vccnz .LBB195_41
; %bb.42:                               ;   in Loop: Header=BB195_32 Depth=1
	ds_load_2addr_b64 v[0:3], v89 offset0:1 offset1:17
	ds_load_2addr_b64 v[4:7], v89 offset0:33 offset1:49
	;; [unrolled: 1-line block ×12, first 2 shown]
	v_dual_mov_b32 v123, 8 :: v_dual_add_nc_u32 v64, 8, v91
	ds_load_2addr_b64 v[48:51], v92 offset0:129 offset1:145
	ds_load_2addr_b64 v[52:55], v92 offset0:161 offset1:177
	ds_load_2addr_b64 v[56:59], v92 offset0:193 offset1:209
	ds_load_2addr_b64 v[60:63], v92 offset0:225 offset1:241
	ds_load_2addr_stride64_b64 v[64:67], v64 offset1:4
	v_dual_mov_b32 v124, 0 :: v_dual_mov_b32 v121, 24
	v_dual_mov_b32 v122, 16 :: v_dual_mov_b32 v119, 40
	;; [unrolled: 1-line block ×5, first 2 shown]
	v_mov_b32_e32 v114, 0x50
	v_mov_b32_e32 v112, 0x60
	;; [unrolled: 1-line block ×21, first 2 shown]
	s_mov_b64 s[6:7], 0
	s_mov_b32 s26, -1
.LBB195_43:                             ;   Parent Loop BB195_32 Depth=1
                                        ; =>  This Inner Loop Header: Depth=2
	scratch_load_b64 v[129:130], v124, off
	s_cmp_eq_u32 s6, 1
	s_waitcnt lgkmcnt(16)
	v_max_f64 v[127:128], v[0:1], v[0:1]
	s_cselect_b32 vcc_lo, -1, 0
	s_mov_b64 s[6:7], 1
	s_waitcnt lgkmcnt(0)
	v_dual_cndmask_b32 v126, v65, v67 :: v_dual_cndmask_b32 v125, v64, v66
	s_and_b32 vcc_lo, exec_lo, s26
	s_mov_b32 s26, 0
	s_delay_alu instid0(VALU_DEP_1) | instskip(NEXT) | instid1(VALU_DEP_1)
	v_max_f64 v[125:126], v[125:126], v[125:126]
	v_min_f64 v[127:128], v[127:128], v[125:126]
	s_waitcnt vmcnt(0)
	s_delay_alu instid0(VALU_DEP_1) | instskip(SKIP_3) | instid1(VALU_DEP_1)
	v_add_f64 v[127:128], v[129:130], v[127:128]
	scratch_load_b64 v[129:130], v123, off
	scratch_store_b64 v124, v[127:128], off
	v_max_f64 v[127:128], v[2:3], v[2:3]
	v_min_f64 v[127:128], v[127:128], v[125:126]
	s_waitcnt vmcnt(0)
	s_delay_alu instid0(VALU_DEP_1) | instskip(SKIP_3) | instid1(VALU_DEP_1)
	v_add_f64 v[127:128], v[127:128], v[129:130]
	scratch_store_b64 v123, v[127:128], off
	scratch_load_b64 v[127:128], v122, off
	v_max_f64 v[123:124], v[4:5], v[4:5]
	v_min_f64 v[123:124], v[123:124], v[125:126]
	s_waitcnt vmcnt(0)
	s_delay_alu instid0(VALU_DEP_1) | instskip(SKIP_3) | instid1(VALU_DEP_1)
	v_add_f64 v[123:124], v[123:124], v[127:128]
	scratch_load_b64 v[127:128], v121, off
	scratch_store_b64 v122, v[123:124], off
	v_max_f64 v[122:123], v[6:7], v[6:7]
	v_min_f64 v[122:123], v[122:123], v[125:126]
	s_waitcnt vmcnt(0)
	s_delay_alu instid0(VALU_DEP_1) | instskip(SKIP_3) | instid1(VALU_DEP_1)
	v_add_f64 v[122:123], v[122:123], v[127:128]
	scratch_store_b64 v121, v[122:123], off
	scratch_load_b64 v[123:124], v120, off
	v_max_f64 v[121:122], v[8:9], v[8:9]
	v_min_f64 v[121:122], v[121:122], v[125:126]
	s_waitcnt vmcnt(0)
	s_delay_alu instid0(VALU_DEP_1) | instskip(SKIP_4) | instid1(VALU_DEP_1)
	v_add_f64 v[121:122], v[121:122], v[123:124]
	v_mov_b32_e32 v124, 0x100
	scratch_store_b64 v120, v[121:122], off
	scratch_load_b64 v[122:123], v119, off
	v_max_f64 v[120:121], v[10:11], v[10:11]
	v_min_f64 v[120:121], v[120:121], v[125:126]
	s_waitcnt vmcnt(0)
	s_delay_alu instid0(VALU_DEP_1) | instskip(SKIP_4) | instid1(VALU_DEP_1)
	v_add_f64 v[120:121], v[120:121], v[122:123]
	v_mov_b32_e32 v123, 0x108
	;; [unrolled: 8-line block ×27, first 2 shown]
	scratch_store_b64 v94, v[95:96], off
	scratch_load_b64 v[96:97], v93, off
	v_max_f64 v[94:95], v[62:63], v[62:63]
	v_min_f64 v[94:95], v[94:95], v[125:126]
	s_waitcnt vmcnt(0)
	s_delay_alu instid0(VALU_DEP_1)
	v_add_f64 v[94:95], v[94:95], v[96:97]
	v_mov_b32_e32 v97, 0x1d8
	v_mov_b32_e32 v96, 0x1e0
	scratch_store_b64 v93, v[94:95], off
	v_mov_b32_e32 v95, 0x1e8
	v_mov_b32_e32 v94, 0x1f0
	;; [unrolled: 1-line block ×3, first 2 shown]
	s_cbranch_vccnz .LBB195_43
; %bb.44:                               ;   in Loop: Header=BB195_32 Depth=1
	ds_load_2addr_b64 v[0:3], v89 offset0:2 offset1:18
	ds_load_2addr_b64 v[4:7], v89 offset0:34 offset1:50
	;; [unrolled: 1-line block ×12, first 2 shown]
	v_dual_mov_b32 v123, 8 :: v_dual_add_nc_u32 v64, 16, v91
	ds_load_2addr_b64 v[48:51], v92 offset0:130 offset1:146
	ds_load_2addr_b64 v[52:55], v92 offset0:162 offset1:178
	;; [unrolled: 1-line block ×4, first 2 shown]
	ds_load_2addr_stride64_b64 v[64:67], v64 offset1:4
	v_dual_mov_b32 v124, 0 :: v_dual_mov_b32 v121, 24
	v_dual_mov_b32 v122, 16 :: v_dual_mov_b32 v119, 40
	;; [unrolled: 1-line block ×5, first 2 shown]
	v_mov_b32_e32 v114, 0x50
	v_mov_b32_e32 v112, 0x60
	;; [unrolled: 1-line block ×21, first 2 shown]
	s_mov_b64 s[6:7], 0
	s_mov_b32 s26, -1
.LBB195_45:                             ;   Parent Loop BB195_32 Depth=1
                                        ; =>  This Inner Loop Header: Depth=2
	scratch_load_b64 v[129:130], v124, off
	s_cmp_eq_u32 s6, 1
	s_waitcnt lgkmcnt(16)
	v_max_f64 v[127:128], v[0:1], v[0:1]
	s_cselect_b32 vcc_lo, -1, 0
	s_mov_b64 s[6:7], 1
	s_waitcnt lgkmcnt(0)
	v_dual_cndmask_b32 v126, v65, v67 :: v_dual_cndmask_b32 v125, v64, v66
	s_and_b32 vcc_lo, exec_lo, s26
	s_mov_b32 s26, 0
	s_delay_alu instid0(VALU_DEP_1) | instskip(NEXT) | instid1(VALU_DEP_1)
	v_max_f64 v[125:126], v[125:126], v[125:126]
	v_min_f64 v[127:128], v[127:128], v[125:126]
	s_waitcnt vmcnt(0)
	s_delay_alu instid0(VALU_DEP_1) | instskip(SKIP_3) | instid1(VALU_DEP_1)
	v_add_f64 v[127:128], v[129:130], v[127:128]
	scratch_load_b64 v[129:130], v123, off
	scratch_store_b64 v124, v[127:128], off
	v_max_f64 v[127:128], v[2:3], v[2:3]
	v_min_f64 v[127:128], v[127:128], v[125:126]
	s_waitcnt vmcnt(0)
	s_delay_alu instid0(VALU_DEP_1) | instskip(SKIP_3) | instid1(VALU_DEP_1)
	v_add_f64 v[127:128], v[127:128], v[129:130]
	scratch_store_b64 v123, v[127:128], off
	scratch_load_b64 v[127:128], v122, off
	v_max_f64 v[123:124], v[4:5], v[4:5]
	v_min_f64 v[123:124], v[123:124], v[125:126]
	s_waitcnt vmcnt(0)
	s_delay_alu instid0(VALU_DEP_1) | instskip(SKIP_3) | instid1(VALU_DEP_1)
	v_add_f64 v[123:124], v[123:124], v[127:128]
	scratch_load_b64 v[127:128], v121, off
	scratch_store_b64 v122, v[123:124], off
	v_max_f64 v[122:123], v[6:7], v[6:7]
	v_min_f64 v[122:123], v[122:123], v[125:126]
	s_waitcnt vmcnt(0)
	s_delay_alu instid0(VALU_DEP_1) | instskip(SKIP_3) | instid1(VALU_DEP_1)
	v_add_f64 v[122:123], v[122:123], v[127:128]
	scratch_store_b64 v121, v[122:123], off
	scratch_load_b64 v[123:124], v120, off
	v_max_f64 v[121:122], v[8:9], v[8:9]
	v_min_f64 v[121:122], v[121:122], v[125:126]
	s_waitcnt vmcnt(0)
	s_delay_alu instid0(VALU_DEP_1) | instskip(SKIP_4) | instid1(VALU_DEP_1)
	v_add_f64 v[121:122], v[121:122], v[123:124]
	v_mov_b32_e32 v124, 0x100
	scratch_store_b64 v120, v[121:122], off
	scratch_load_b64 v[122:123], v119, off
	v_max_f64 v[120:121], v[10:11], v[10:11]
	v_min_f64 v[120:121], v[120:121], v[125:126]
	s_waitcnt vmcnt(0)
	s_delay_alu instid0(VALU_DEP_1) | instskip(SKIP_4) | instid1(VALU_DEP_1)
	v_add_f64 v[120:121], v[120:121], v[122:123]
	v_mov_b32_e32 v123, 0x108
	;; [unrolled: 8-line block ×27, first 2 shown]
	scratch_store_b64 v94, v[95:96], off
	scratch_load_b64 v[96:97], v93, off
	v_max_f64 v[94:95], v[62:63], v[62:63]
	v_min_f64 v[94:95], v[94:95], v[125:126]
	s_waitcnt vmcnt(0)
	s_delay_alu instid0(VALU_DEP_1)
	v_add_f64 v[94:95], v[94:95], v[96:97]
	v_mov_b32_e32 v97, 0x1d8
	v_mov_b32_e32 v96, 0x1e0
	scratch_store_b64 v93, v[94:95], off
	v_mov_b32_e32 v95, 0x1e8
	v_mov_b32_e32 v94, 0x1f0
	;; [unrolled: 1-line block ×3, first 2 shown]
	s_cbranch_vccnz .LBB195_45
; %bb.46:                               ;   in Loop: Header=BB195_32 Depth=1
	ds_load_2addr_b64 v[0:3], v89 offset0:3 offset1:19
	ds_load_2addr_b64 v[4:7], v89 offset0:35 offset1:51
	;; [unrolled: 1-line block ×12, first 2 shown]
	v_dual_mov_b32 v123, 8 :: v_dual_add_nc_u32 v64, 24, v91
	ds_load_2addr_b64 v[48:51], v92 offset0:131 offset1:147
	ds_load_2addr_b64 v[52:55], v92 offset0:163 offset1:179
	;; [unrolled: 1-line block ×4, first 2 shown]
	ds_load_2addr_stride64_b64 v[64:67], v64 offset1:4
	v_dual_mov_b32 v124, 0 :: v_dual_mov_b32 v121, 24
	v_dual_mov_b32 v122, 16 :: v_dual_mov_b32 v119, 40
	;; [unrolled: 1-line block ×5, first 2 shown]
	v_mov_b32_e32 v114, 0x50
	v_mov_b32_e32 v112, 0x60
	;; [unrolled: 1-line block ×21, first 2 shown]
	s_mov_b64 s[6:7], 0
	s_mov_b32 s26, -1
.LBB195_47:                             ;   Parent Loop BB195_32 Depth=1
                                        ; =>  This Inner Loop Header: Depth=2
	scratch_load_b64 v[129:130], v124, off
	s_cmp_eq_u32 s6, 1
	s_waitcnt lgkmcnt(16)
	v_max_f64 v[127:128], v[0:1], v[0:1]
	s_cselect_b32 vcc_lo, -1, 0
	s_mov_b64 s[6:7], 1
	s_waitcnt lgkmcnt(0)
	v_dual_cndmask_b32 v126, v65, v67 :: v_dual_cndmask_b32 v125, v64, v66
	s_and_b32 vcc_lo, exec_lo, s26
	s_mov_b32 s26, 0
	s_delay_alu instid0(VALU_DEP_1) | instskip(NEXT) | instid1(VALU_DEP_1)
	v_max_f64 v[125:126], v[125:126], v[125:126]
	v_min_f64 v[127:128], v[127:128], v[125:126]
	s_waitcnt vmcnt(0)
	s_delay_alu instid0(VALU_DEP_1) | instskip(SKIP_3) | instid1(VALU_DEP_1)
	v_add_f64 v[127:128], v[129:130], v[127:128]
	scratch_load_b64 v[129:130], v123, off
	scratch_store_b64 v124, v[127:128], off
	v_max_f64 v[127:128], v[2:3], v[2:3]
	v_min_f64 v[127:128], v[127:128], v[125:126]
	s_waitcnt vmcnt(0)
	s_delay_alu instid0(VALU_DEP_1) | instskip(SKIP_3) | instid1(VALU_DEP_1)
	v_add_f64 v[127:128], v[127:128], v[129:130]
	scratch_store_b64 v123, v[127:128], off
	scratch_load_b64 v[127:128], v122, off
	v_max_f64 v[123:124], v[4:5], v[4:5]
	v_min_f64 v[123:124], v[123:124], v[125:126]
	s_waitcnt vmcnt(0)
	s_delay_alu instid0(VALU_DEP_1) | instskip(SKIP_3) | instid1(VALU_DEP_1)
	v_add_f64 v[123:124], v[123:124], v[127:128]
	scratch_load_b64 v[127:128], v121, off
	scratch_store_b64 v122, v[123:124], off
	v_max_f64 v[122:123], v[6:7], v[6:7]
	v_min_f64 v[122:123], v[122:123], v[125:126]
	s_waitcnt vmcnt(0)
	s_delay_alu instid0(VALU_DEP_1) | instskip(SKIP_3) | instid1(VALU_DEP_1)
	v_add_f64 v[122:123], v[122:123], v[127:128]
	scratch_store_b64 v121, v[122:123], off
	scratch_load_b64 v[123:124], v120, off
	v_max_f64 v[121:122], v[8:9], v[8:9]
	v_min_f64 v[121:122], v[121:122], v[125:126]
	s_waitcnt vmcnt(0)
	s_delay_alu instid0(VALU_DEP_1) | instskip(SKIP_4) | instid1(VALU_DEP_1)
	v_add_f64 v[121:122], v[121:122], v[123:124]
	v_mov_b32_e32 v124, 0x100
	scratch_store_b64 v120, v[121:122], off
	scratch_load_b64 v[122:123], v119, off
	v_max_f64 v[120:121], v[10:11], v[10:11]
	v_min_f64 v[120:121], v[120:121], v[125:126]
	s_waitcnt vmcnt(0)
	s_delay_alu instid0(VALU_DEP_1) | instskip(SKIP_4) | instid1(VALU_DEP_1)
	v_add_f64 v[120:121], v[120:121], v[122:123]
	v_mov_b32_e32 v123, 0x108
	;; [unrolled: 8-line block ×27, first 2 shown]
	scratch_store_b64 v94, v[95:96], off
	scratch_load_b64 v[96:97], v93, off
	v_max_f64 v[94:95], v[62:63], v[62:63]
	v_min_f64 v[94:95], v[94:95], v[125:126]
	s_waitcnt vmcnt(0)
	s_delay_alu instid0(VALU_DEP_1)
	v_add_f64 v[94:95], v[94:95], v[96:97]
	v_mov_b32_e32 v97, 0x1d8
	v_mov_b32_e32 v96, 0x1e0
	scratch_store_b64 v93, v[94:95], off
	v_mov_b32_e32 v95, 0x1e8
	v_mov_b32_e32 v94, 0x1f0
	;; [unrolled: 1-line block ×3, first 2 shown]
	s_cbranch_vccnz .LBB195_47
; %bb.48:                               ;   in Loop: Header=BB195_32 Depth=1
	v_add3_u32 v3, v82, s17, 4
	ds_store_2addr_stride64_b64 v84, v[74:75], v[72:73] offset1:4
	v_mov_b32_e32 v72, 0
	v_mov_b32_e32 v73, 0
	ds_store_2addr_stride64_b64 v86, v[78:79], v[76:77] offset1:4
	v_min_i32_e32 v0, s14, v3
	v_cmp_le_i32_e32 vcc_lo, s38, v3
	s_waitcnt lgkmcnt(0)
	s_waitcnt_vscnt null, 0x0
	v_dual_mov_b32 v75, v73 :: v_dual_mov_b32 v74, v72
	v_mad_i64_i32 v[1:2], null, v0, s13, 0
	s_or_b32 s7, s2, vcc_lo
	s_barrier
	buffer_gl0_inv
	v_lshlrev_b64 v[1:2], 3, v[1:2]
	s_delay_alu instid0(VALU_DEP_1) | instskip(NEXT) | instid1(VALU_DEP_1)
	v_add_co_u32 v1, s6, s22, v1
	v_add_co_ci_u32_e64 v2, s6, s23, v2, s6
	s_or_b32 s6, s15, s7
	s_delay_alu instid0(SALU_CYCLE_1) | instskip(NEXT) | instid1(SALU_CYCLE_1)
	s_xor_b32 s6, s6, -1
	s_and_saveexec_b32 s7, s6
	s_delay_alu instid0(SALU_CYCLE_1)
	s_xor_b32 s7, exec_lo, s7
	s_cbranch_execz .LBB195_50
; %bb.49:                               ;   in Loop: Header=BB195_32 Depth=1
	v_add_co_u32 v3, s6, v1, v68
	s_delay_alu instid0(VALU_DEP_1)
	v_add_co_ci_u32_e64 v4, s6, v2, v69, s6
	flat_load_b64 v[3:4], v[3:4]
	s_waitcnt vmcnt(0) lgkmcnt(0)
	v_mul_f64 v[74:75], s[20:21], v[3:4]
.LBB195_50:                             ;   in Loop: Header=BB195_32 Depth=1
	s_or_b32 exec_lo, exec_lo, s7
	s_or_b32 s6, s3, vcc_lo
	s_delay_alu instid0(SALU_CYCLE_1) | instskip(NEXT) | instid1(SALU_CYCLE_1)
	s_or_b32 s6, s15, s6
	s_xor_b32 s6, s6, -1
	s_delay_alu instid0(SALU_CYCLE_1)
	s_and_saveexec_b32 s7, s6
	s_cbranch_execz .LBB195_52
; %bb.51:                               ;   in Loop: Header=BB195_32 Depth=1
	v_add_co_u32 v1, s6, v1, v68
	s_delay_alu instid0(VALU_DEP_1)
	v_add_co_ci_u32_e64 v2, s6, v2, v69, s6
	flat_load_b64 v[1:2], v[1:2] offset:512
	s_waitcnt vmcnt(0) lgkmcnt(0)
	v_mul_f64 v[72:73], s[20:21], v[1:2]
.LBB195_52:                             ;   in Loop: Header=BB195_32 Depth=1
	s_or_b32 exec_lo, exec_lo, s7
	v_mad_i64_i32 v[1:2], null, v0, s16, 0
	v_mov_b32_e32 v76, 0
	v_mov_b32_e32 v77, 0
	s_or_b32 s7, s4, vcc_lo
	s_delay_alu instid0(VALU_DEP_1) | instskip(NEXT) | instid1(VALU_DEP_4)
	v_dual_mov_b32 v79, v77 :: v_dual_mov_b32 v78, v76
	v_lshlrev_b64 v[0:1], 3, v[1:2]
	s_delay_alu instid0(VALU_DEP_1) | instskip(NEXT) | instid1(VALU_DEP_1)
	v_add_co_u32 v0, s6, s18, v0
	v_add_co_ci_u32_e64 v1, s6, s19, v1, s6
	s_or_b32 s6, s15, s7
	s_delay_alu instid0(SALU_CYCLE_1) | instskip(NEXT) | instid1(SALU_CYCLE_1)
	s_xor_b32 s6, s6, -1
	s_and_saveexec_b32 s7, s6
	s_cbranch_execz .LBB195_54
; %bb.53:                               ;   in Loop: Header=BB195_32 Depth=1
	v_add_co_u32 v2, s6, v0, v70
	s_delay_alu instid0(VALU_DEP_1)
	v_add_co_ci_u32_e64 v3, s6, v1, v71, s6
	flat_load_b64 v[2:3], v[2:3]
	s_waitcnt vmcnt(0) lgkmcnt(0)
	v_mul_f64 v[78:79], s[20:21], v[2:3]
.LBB195_54:                             ;   in Loop: Header=BB195_32 Depth=1
	s_or_b32 exec_lo, exec_lo, s7
	s_or_b32 s6, s5, vcc_lo
	s_delay_alu instid0(SALU_CYCLE_1) | instskip(NEXT) | instid1(SALU_CYCLE_1)
	s_or_b32 s6, s15, s6
	s_xor_b32 s7, s6, -1
	s_delay_alu instid0(SALU_CYCLE_1)
	s_and_saveexec_b32 s6, s7
	s_cbranch_execz .LBB195_56
; %bb.55:                               ;   in Loop: Header=BB195_32 Depth=1
	v_add_co_u32 v0, vcc_lo, v0, v70
	v_add_co_ci_u32_e32 v1, vcc_lo, v1, v71, vcc_lo
	flat_load_b64 v[0:1], v[0:1] offset:512
	s_waitcnt vmcnt(0) lgkmcnt(0)
	v_mul_f64 v[76:77], s[20:21], v[0:1]
.LBB195_56:                             ;   in Loop: Header=BB195_32 Depth=1
	s_or_b32 exec_lo, exec_lo, s6
	v_dual_mov_b32 v124, 8 :: v_dual_add_nc_u32 v93, 0x800, v83
	ds_load_2addr_b64 v[0:3], v83 offset1:16
	ds_load_2addr_b64 v[4:7], v83 offset0:32 offset1:48
	ds_load_2addr_b64 v[8:11], v83 offset0:64 offset1:80
	;; [unrolled: 1-line block ×7, first 2 shown]
	ds_load_2addr_b64 v[32:35], v93 offset1:16
	ds_load_2addr_b64 v[36:39], v93 offset0:32 offset1:48
	ds_load_2addr_b64 v[40:43], v93 offset0:64 offset1:80
	;; [unrolled: 1-line block ×7, first 2 shown]
	ds_load_2addr_stride64_b64 v[64:67], v87 offset1:4
	v_dual_mov_b32 v125, 0 :: v_dual_mov_b32 v122, 24
	v_dual_mov_b32 v123, 16 :: v_dual_mov_b32 v120, 40
	;; [unrolled: 1-line block ×5, first 2 shown]
	v_mov_b32_e32 v115, 0x50
	v_mov_b32_e32 v113, 0x60
	v_mov_b32_e32 v112, 0x68
	v_mov_b32_e32 v111, 0x70
	v_mov_b32_e32 v110, 0x78
	v_mov_b32_e32 v109, 0x80
	v_mov_b32_e32 v108, 0x88
	v_mov_b32_e32 v107, 0x90
	v_mov_b32_e32 v106, 0x98
	v_mov_b32_e32 v105, 0xa0
	v_mov_b32_e32 v104, 0xa8
	v_mov_b32_e32 v103, 0xb0
	v_mov_b32_e32 v102, 0xb8
	v_mov_b32_e32 v101, 0xc0
	v_mov_b32_e32 v100, 0xc8
	v_mov_b32_e32 v99, 0xd0
	v_mov_b32_e32 v98, 0xd8
	v_mov_b32_e32 v97, 0xe0
	v_mov_b32_e32 v96, 0xe8
	v_mov_b32_e32 v95, 0xf0
	v_mov_b32_e32 v94, 0xf8
	s_mov_b64 s[6:7], 0
	s_mov_b32 s26, -1
.LBB195_57:                             ;   Parent Loop BB195_32 Depth=1
                                        ; =>  This Inner Loop Header: Depth=2
	scratch_load_b64 v[130:131], v125, off
	s_cmp_eq_u32 s6, 1
	s_waitcnt lgkmcnt(16)
	v_max_f64 v[128:129], v[0:1], v[0:1]
	s_cselect_b32 vcc_lo, -1, 0
	s_mov_b64 s[6:7], 1
	s_waitcnt lgkmcnt(0)
	v_dual_cndmask_b32 v127, v65, v67 :: v_dual_cndmask_b32 v126, v64, v66
	s_and_b32 vcc_lo, exec_lo, s26
	s_mov_b32 s26, 0
	s_delay_alu instid0(VALU_DEP_1) | instskip(NEXT) | instid1(VALU_DEP_1)
	v_max_f64 v[126:127], v[126:127], v[126:127]
	v_min_f64 v[128:129], v[128:129], v[126:127]
	s_waitcnt vmcnt(0)
	s_delay_alu instid0(VALU_DEP_1) | instskip(SKIP_3) | instid1(VALU_DEP_1)
	v_add_f64 v[128:129], v[130:131], v[128:129]
	scratch_load_b64 v[130:131], v124, off
	scratch_store_b64 v125, v[128:129], off
	v_max_f64 v[128:129], v[2:3], v[2:3]
	v_min_f64 v[128:129], v[128:129], v[126:127]
	s_waitcnt vmcnt(0)
	s_delay_alu instid0(VALU_DEP_1) | instskip(SKIP_3) | instid1(VALU_DEP_1)
	v_add_f64 v[128:129], v[128:129], v[130:131]
	scratch_store_b64 v124, v[128:129], off
	scratch_load_b64 v[128:129], v123, off
	v_max_f64 v[124:125], v[4:5], v[4:5]
	v_min_f64 v[124:125], v[124:125], v[126:127]
	s_waitcnt vmcnt(0)
	s_delay_alu instid0(VALU_DEP_1) | instskip(SKIP_3) | instid1(VALU_DEP_1)
	v_add_f64 v[124:125], v[124:125], v[128:129]
	scratch_load_b64 v[128:129], v122, off
	scratch_store_b64 v123, v[124:125], off
	v_max_f64 v[123:124], v[6:7], v[6:7]
	v_min_f64 v[123:124], v[123:124], v[126:127]
	s_waitcnt vmcnt(0)
	s_delay_alu instid0(VALU_DEP_1) | instskip(SKIP_3) | instid1(VALU_DEP_1)
	v_add_f64 v[123:124], v[123:124], v[128:129]
	scratch_store_b64 v122, v[123:124], off
	scratch_load_b64 v[124:125], v121, off
	v_max_f64 v[122:123], v[8:9], v[8:9]
	v_min_f64 v[122:123], v[122:123], v[126:127]
	s_waitcnt vmcnt(0)
	s_delay_alu instid0(VALU_DEP_1) | instskip(SKIP_4) | instid1(VALU_DEP_1)
	v_add_f64 v[122:123], v[122:123], v[124:125]
	v_mov_b32_e32 v125, 0x100
	scratch_store_b64 v121, v[122:123], off
	scratch_load_b64 v[123:124], v120, off
	v_max_f64 v[121:122], v[10:11], v[10:11]
	v_min_f64 v[121:122], v[121:122], v[126:127]
	s_waitcnt vmcnt(0)
	s_delay_alu instid0(VALU_DEP_1) | instskip(SKIP_4) | instid1(VALU_DEP_1)
	v_add_f64 v[121:122], v[121:122], v[123:124]
	v_mov_b32_e32 v124, 0x108
	;; [unrolled: 8-line block ×27, first 2 shown]
	scratch_store_b64 v95, v[96:97], off
	scratch_load_b64 v[97:98], v94, off
	v_max_f64 v[95:96], v[62:63], v[62:63]
	v_min_f64 v[95:96], v[95:96], v[126:127]
	s_waitcnt vmcnt(0)
	s_delay_alu instid0(VALU_DEP_1)
	v_add_f64 v[95:96], v[95:96], v[97:98]
	v_mov_b32_e32 v98, 0x1d8
	v_mov_b32_e32 v97, 0x1e0
	scratch_store_b64 v94, v[95:96], off
	v_mov_b32_e32 v96, 0x1e8
	v_mov_b32_e32 v95, 0x1f0
	;; [unrolled: 1-line block ×3, first 2 shown]
	s_cbranch_vccnz .LBB195_57
; %bb.58:                               ;   in Loop: Header=BB195_32 Depth=1
	ds_load_2addr_b64 v[0:3], v83 offset0:1 offset1:17
	ds_load_2addr_b64 v[4:7], v83 offset0:33 offset1:49
	;; [unrolled: 1-line block ×12, first 2 shown]
	v_dual_mov_b32 v125, 0 :: v_dual_add_nc_u32 v64, 8, v87
	ds_load_2addr_b64 v[48:51], v93 offset0:129 offset1:145
	ds_load_2addr_b64 v[52:55], v93 offset0:161 offset1:177
	;; [unrolled: 1-line block ×4, first 2 shown]
	ds_load_2addr_stride64_b64 v[64:67], v64 offset1:4
	v_dual_mov_b32 v124, 8 :: v_dual_mov_b32 v123, 16
	v_dual_mov_b32 v122, 24 :: v_dual_mov_b32 v121, 32
	;; [unrolled: 1-line block ×4, first 2 shown]
	v_mov_b32_e32 v116, 0x48
	v_mov_b32_e32 v115, 0x50
	;; [unrolled: 1-line block ×23, first 2 shown]
	s_mov_b64 s[6:7], 0
	s_mov_b32 s26, -1
.LBB195_59:                             ;   Parent Loop BB195_32 Depth=1
                                        ; =>  This Inner Loop Header: Depth=2
	scratch_load_b64 v[130:131], v125, off
	s_cmp_eq_u32 s6, 1
	s_waitcnt lgkmcnt(16)
	v_max_f64 v[128:129], v[0:1], v[0:1]
	s_cselect_b32 vcc_lo, -1, 0
	s_mov_b64 s[6:7], 1
	s_waitcnt lgkmcnt(0)
	v_dual_cndmask_b32 v127, v65, v67 :: v_dual_cndmask_b32 v126, v64, v66
	s_and_b32 vcc_lo, exec_lo, s26
	s_mov_b32 s26, 0
	s_delay_alu instid0(VALU_DEP_1) | instskip(NEXT) | instid1(VALU_DEP_1)
	v_max_f64 v[126:127], v[126:127], v[126:127]
	v_min_f64 v[128:129], v[128:129], v[126:127]
	s_waitcnt vmcnt(0)
	s_delay_alu instid0(VALU_DEP_1) | instskip(SKIP_3) | instid1(VALU_DEP_1)
	v_add_f64 v[128:129], v[130:131], v[128:129]
	scratch_load_b64 v[130:131], v124, off
	scratch_store_b64 v125, v[128:129], off
	v_max_f64 v[128:129], v[2:3], v[2:3]
	v_min_f64 v[128:129], v[128:129], v[126:127]
	s_waitcnt vmcnt(0)
	s_delay_alu instid0(VALU_DEP_1) | instskip(SKIP_3) | instid1(VALU_DEP_1)
	v_add_f64 v[128:129], v[128:129], v[130:131]
	scratch_store_b64 v124, v[128:129], off
	scratch_load_b64 v[128:129], v123, off
	v_max_f64 v[124:125], v[4:5], v[4:5]
	v_min_f64 v[124:125], v[124:125], v[126:127]
	s_waitcnt vmcnt(0)
	s_delay_alu instid0(VALU_DEP_1) | instskip(SKIP_3) | instid1(VALU_DEP_1)
	v_add_f64 v[124:125], v[124:125], v[128:129]
	scratch_load_b64 v[128:129], v122, off
	scratch_store_b64 v123, v[124:125], off
	v_max_f64 v[123:124], v[6:7], v[6:7]
	v_min_f64 v[123:124], v[123:124], v[126:127]
	s_waitcnt vmcnt(0)
	s_delay_alu instid0(VALU_DEP_1) | instskip(SKIP_3) | instid1(VALU_DEP_1)
	v_add_f64 v[123:124], v[123:124], v[128:129]
	scratch_store_b64 v122, v[123:124], off
	scratch_load_b64 v[124:125], v121, off
	v_max_f64 v[122:123], v[8:9], v[8:9]
	v_min_f64 v[122:123], v[122:123], v[126:127]
	s_waitcnt vmcnt(0)
	s_delay_alu instid0(VALU_DEP_1) | instskip(SKIP_4) | instid1(VALU_DEP_1)
	v_add_f64 v[122:123], v[122:123], v[124:125]
	v_mov_b32_e32 v125, 0x100
	scratch_store_b64 v121, v[122:123], off
	scratch_load_b64 v[123:124], v120, off
	v_max_f64 v[121:122], v[10:11], v[10:11]
	v_min_f64 v[121:122], v[121:122], v[126:127]
	s_waitcnt vmcnt(0)
	s_delay_alu instid0(VALU_DEP_1) | instskip(SKIP_4) | instid1(VALU_DEP_1)
	v_add_f64 v[121:122], v[121:122], v[123:124]
	v_mov_b32_e32 v124, 0x108
	;; [unrolled: 8-line block ×27, first 2 shown]
	scratch_store_b64 v95, v[96:97], off
	scratch_load_b64 v[97:98], v94, off
	v_max_f64 v[95:96], v[62:63], v[62:63]
	v_min_f64 v[95:96], v[95:96], v[126:127]
	s_waitcnt vmcnt(0)
	s_delay_alu instid0(VALU_DEP_1)
	v_add_f64 v[95:96], v[95:96], v[97:98]
	v_mov_b32_e32 v98, 0x1d8
	v_mov_b32_e32 v97, 0x1e0
	scratch_store_b64 v94, v[95:96], off
	v_mov_b32_e32 v96, 0x1e8
	v_mov_b32_e32 v95, 0x1f0
	;; [unrolled: 1-line block ×3, first 2 shown]
	s_cbranch_vccnz .LBB195_59
; %bb.60:                               ;   in Loop: Header=BB195_32 Depth=1
	ds_load_2addr_b64 v[0:3], v83 offset0:2 offset1:18
	ds_load_2addr_b64 v[4:7], v83 offset0:34 offset1:50
	;; [unrolled: 1-line block ×12, first 2 shown]
	v_dual_mov_b32 v125, 0 :: v_dual_add_nc_u32 v64, 16, v87
	ds_load_2addr_b64 v[48:51], v93 offset0:130 offset1:146
	ds_load_2addr_b64 v[52:55], v93 offset0:162 offset1:178
	ds_load_2addr_b64 v[56:59], v93 offset0:194 offset1:210
	ds_load_2addr_b64 v[60:63], v93 offset0:226 offset1:242
	ds_load_2addr_stride64_b64 v[64:67], v64 offset1:4
	v_dual_mov_b32 v124, 8 :: v_dual_mov_b32 v123, 16
	v_dual_mov_b32 v122, 24 :: v_dual_mov_b32 v121, 32
	;; [unrolled: 1-line block ×4, first 2 shown]
	v_mov_b32_e32 v116, 0x48
	v_mov_b32_e32 v115, 0x50
	v_mov_b32_e32 v114, 0x58
	v_mov_b32_e32 v113, 0x60
	v_mov_b32_e32 v112, 0x68
	v_mov_b32_e32 v111, 0x70
	v_mov_b32_e32 v110, 0x78
	v_mov_b32_e32 v109, 0x80
	v_mov_b32_e32 v108, 0x88
	v_mov_b32_e32 v107, 0x90
	v_mov_b32_e32 v106, 0x98
	v_mov_b32_e32 v105, 0xa0
	v_mov_b32_e32 v104, 0xa8
	v_mov_b32_e32 v103, 0xb0
	v_mov_b32_e32 v102, 0xb8
	v_mov_b32_e32 v101, 0xc0
	v_mov_b32_e32 v100, 0xc8
	v_mov_b32_e32 v99, 0xd0
	v_mov_b32_e32 v98, 0xd8
	v_mov_b32_e32 v97, 0xe0
	v_mov_b32_e32 v96, 0xe8
	v_mov_b32_e32 v95, 0xf0
	v_mov_b32_e32 v94, 0xf8
	s_mov_b64 s[6:7], 0
	s_mov_b32 s26, -1
.LBB195_61:                             ;   Parent Loop BB195_32 Depth=1
                                        ; =>  This Inner Loop Header: Depth=2
	scratch_load_b64 v[130:131], v125, off
	s_cmp_eq_u32 s6, 1
	s_waitcnt lgkmcnt(16)
	v_max_f64 v[128:129], v[0:1], v[0:1]
	s_cselect_b32 vcc_lo, -1, 0
	s_mov_b64 s[6:7], 1
	s_waitcnt lgkmcnt(0)
	v_dual_cndmask_b32 v127, v65, v67 :: v_dual_cndmask_b32 v126, v64, v66
	s_and_b32 vcc_lo, exec_lo, s26
	s_mov_b32 s26, 0
	s_delay_alu instid0(VALU_DEP_1) | instskip(NEXT) | instid1(VALU_DEP_1)
	v_max_f64 v[126:127], v[126:127], v[126:127]
	v_min_f64 v[128:129], v[128:129], v[126:127]
	s_waitcnt vmcnt(0)
	s_delay_alu instid0(VALU_DEP_1) | instskip(SKIP_3) | instid1(VALU_DEP_1)
	v_add_f64 v[128:129], v[130:131], v[128:129]
	scratch_load_b64 v[130:131], v124, off
	scratch_store_b64 v125, v[128:129], off
	v_max_f64 v[128:129], v[2:3], v[2:3]
	v_min_f64 v[128:129], v[128:129], v[126:127]
	s_waitcnt vmcnt(0)
	s_delay_alu instid0(VALU_DEP_1) | instskip(SKIP_3) | instid1(VALU_DEP_1)
	v_add_f64 v[128:129], v[128:129], v[130:131]
	scratch_store_b64 v124, v[128:129], off
	scratch_load_b64 v[128:129], v123, off
	v_max_f64 v[124:125], v[4:5], v[4:5]
	v_min_f64 v[124:125], v[124:125], v[126:127]
	s_waitcnt vmcnt(0)
	s_delay_alu instid0(VALU_DEP_1) | instskip(SKIP_3) | instid1(VALU_DEP_1)
	v_add_f64 v[124:125], v[124:125], v[128:129]
	scratch_load_b64 v[128:129], v122, off
	scratch_store_b64 v123, v[124:125], off
	v_max_f64 v[123:124], v[6:7], v[6:7]
	v_min_f64 v[123:124], v[123:124], v[126:127]
	s_waitcnt vmcnt(0)
	s_delay_alu instid0(VALU_DEP_1) | instskip(SKIP_3) | instid1(VALU_DEP_1)
	v_add_f64 v[123:124], v[123:124], v[128:129]
	scratch_store_b64 v122, v[123:124], off
	scratch_load_b64 v[124:125], v121, off
	v_max_f64 v[122:123], v[8:9], v[8:9]
	v_min_f64 v[122:123], v[122:123], v[126:127]
	s_waitcnt vmcnt(0)
	s_delay_alu instid0(VALU_DEP_1) | instskip(SKIP_4) | instid1(VALU_DEP_1)
	v_add_f64 v[122:123], v[122:123], v[124:125]
	v_mov_b32_e32 v125, 0x100
	scratch_store_b64 v121, v[122:123], off
	scratch_load_b64 v[123:124], v120, off
	v_max_f64 v[121:122], v[10:11], v[10:11]
	v_min_f64 v[121:122], v[121:122], v[126:127]
	s_waitcnt vmcnt(0)
	s_delay_alu instid0(VALU_DEP_1) | instskip(SKIP_4) | instid1(VALU_DEP_1)
	v_add_f64 v[121:122], v[121:122], v[123:124]
	v_mov_b32_e32 v124, 0x108
	;; [unrolled: 8-line block ×27, first 2 shown]
	scratch_store_b64 v95, v[96:97], off
	scratch_load_b64 v[97:98], v94, off
	v_max_f64 v[95:96], v[62:63], v[62:63]
	v_min_f64 v[95:96], v[95:96], v[126:127]
	s_waitcnt vmcnt(0)
	s_delay_alu instid0(VALU_DEP_1)
	v_add_f64 v[95:96], v[95:96], v[97:98]
	v_mov_b32_e32 v98, 0x1d8
	v_mov_b32_e32 v97, 0x1e0
	scratch_store_b64 v94, v[95:96], off
	v_mov_b32_e32 v96, 0x1e8
	v_mov_b32_e32 v95, 0x1f0
	;; [unrolled: 1-line block ×3, first 2 shown]
	s_cbranch_vccnz .LBB195_61
; %bb.62:                               ;   in Loop: Header=BB195_32 Depth=1
	ds_load_2addr_b64 v[0:3], v83 offset0:3 offset1:19
	ds_load_2addr_b64 v[4:7], v83 offset0:35 offset1:51
	;; [unrolled: 1-line block ×12, first 2 shown]
	v_dual_mov_b32 v123, 8 :: v_dual_add_nc_u32 v64, 24, v87
	ds_load_2addr_b64 v[48:51], v93 offset0:131 offset1:147
	ds_load_2addr_b64 v[52:55], v93 offset0:163 offset1:179
	;; [unrolled: 1-line block ×4, first 2 shown]
	ds_load_2addr_stride64_b64 v[64:67], v64 offset1:4
	v_dual_mov_b32 v124, 0 :: v_dual_mov_b32 v121, 24
	v_dual_mov_b32 v122, 16 :: v_dual_mov_b32 v119, 40
	;; [unrolled: 1-line block ×5, first 2 shown]
	v_mov_b32_e32 v114, 0x50
	v_mov_b32_e32 v112, 0x60
	;; [unrolled: 1-line block ×21, first 2 shown]
	s_mov_b64 s[6:7], 0
	s_mov_b32 s26, -1
.LBB195_63:                             ;   Parent Loop BB195_32 Depth=1
                                        ; =>  This Inner Loop Header: Depth=2
	scratch_load_b64 v[129:130], v124, off
	s_cmp_eq_u32 s6, 1
	s_waitcnt lgkmcnt(16)
	v_max_f64 v[127:128], v[0:1], v[0:1]
	s_cselect_b32 vcc_lo, -1, 0
	s_mov_b64 s[6:7], 1
	s_waitcnt lgkmcnt(0)
	v_dual_cndmask_b32 v126, v65, v67 :: v_dual_cndmask_b32 v125, v64, v66
	s_and_b32 vcc_lo, exec_lo, s26
	s_mov_b32 s26, 0
	s_delay_alu instid0(VALU_DEP_1) | instskip(NEXT) | instid1(VALU_DEP_1)
	v_max_f64 v[125:126], v[125:126], v[125:126]
	v_min_f64 v[127:128], v[127:128], v[125:126]
	s_waitcnt vmcnt(0)
	s_delay_alu instid0(VALU_DEP_1) | instskip(SKIP_3) | instid1(VALU_DEP_1)
	v_add_f64 v[127:128], v[129:130], v[127:128]
	scratch_load_b64 v[129:130], v123, off
	scratch_store_b64 v124, v[127:128], off
	v_max_f64 v[127:128], v[2:3], v[2:3]
	v_min_f64 v[127:128], v[127:128], v[125:126]
	s_waitcnt vmcnt(0)
	s_delay_alu instid0(VALU_DEP_1) | instskip(SKIP_3) | instid1(VALU_DEP_1)
	v_add_f64 v[127:128], v[127:128], v[129:130]
	scratch_store_b64 v123, v[127:128], off
	scratch_load_b64 v[127:128], v122, off
	v_max_f64 v[123:124], v[4:5], v[4:5]
	v_min_f64 v[123:124], v[123:124], v[125:126]
	s_waitcnt vmcnt(0)
	s_delay_alu instid0(VALU_DEP_1) | instskip(SKIP_3) | instid1(VALU_DEP_1)
	v_add_f64 v[123:124], v[123:124], v[127:128]
	scratch_load_b64 v[127:128], v121, off
	scratch_store_b64 v122, v[123:124], off
	v_max_f64 v[122:123], v[6:7], v[6:7]
	v_min_f64 v[122:123], v[122:123], v[125:126]
	s_waitcnt vmcnt(0)
	s_delay_alu instid0(VALU_DEP_1) | instskip(SKIP_3) | instid1(VALU_DEP_1)
	v_add_f64 v[122:123], v[122:123], v[127:128]
	scratch_store_b64 v121, v[122:123], off
	scratch_load_b64 v[123:124], v120, off
	v_max_f64 v[121:122], v[8:9], v[8:9]
	v_min_f64 v[121:122], v[121:122], v[125:126]
	s_waitcnt vmcnt(0)
	s_delay_alu instid0(VALU_DEP_1) | instskip(SKIP_4) | instid1(VALU_DEP_1)
	v_add_f64 v[121:122], v[121:122], v[123:124]
	v_mov_b32_e32 v124, 0x100
	scratch_store_b64 v120, v[121:122], off
	scratch_load_b64 v[122:123], v119, off
	v_max_f64 v[120:121], v[10:11], v[10:11]
	v_min_f64 v[120:121], v[120:121], v[125:126]
	s_waitcnt vmcnt(0)
	s_delay_alu instid0(VALU_DEP_1) | instskip(SKIP_4) | instid1(VALU_DEP_1)
	v_add_f64 v[120:121], v[120:121], v[122:123]
	v_mov_b32_e32 v123, 0x108
	;; [unrolled: 8-line block ×27, first 2 shown]
	scratch_store_b64 v94, v[95:96], off
	scratch_load_b64 v[96:97], v93, off
	v_max_f64 v[94:95], v[62:63], v[62:63]
	v_min_f64 v[94:95], v[94:95], v[125:126]
	s_waitcnt vmcnt(0)
	s_delay_alu instid0(VALU_DEP_1)
	v_add_f64 v[94:95], v[94:95], v[96:97]
	v_mov_b32_e32 v97, 0x1d8
	v_mov_b32_e32 v96, 0x1e0
	scratch_store_b64 v93, v[94:95], off
	v_mov_b32_e32 v95, 0x1e8
	v_mov_b32_e32 v94, 0x1f0
	v_mov_b32_e32 v93, 0x1f8
	s_cbranch_vccnz .LBB195_63
; %bb.64:                               ;   in Loop: Header=BB195_32 Depth=1
	s_add_i32 s25, s25, 8
	s_add_i32 s17, s17, 8
	s_cmp_ge_i32 s25, s24
	ds_store_2addr_stride64_b64 v88, v[74:75], v[72:73] offset1:4
	ds_store_2addr_stride64_b64 v90, v[78:79], v[76:77] offset1:4
	s_waitcnt lgkmcnt(0)
	s_waitcnt_vscnt null, 0x0
	s_barrier
	buffer_gl0_inv
	s_cbranch_scc0 .LBB195_32
.LBB195_65:
	v_dual_mov_b32 v71, 8 :: v_dual_add_nc_u32 v28, 0x1000, v83
	v_dual_mov_b32 v75, 40 :: v_dual_add_nc_u32 v60, 0x1800, v83
	;; [unrolled: 1-line block ×3, first 2 shown]
	ds_load_2addr_b64 v[0:3], v28 offset1:16
	ds_load_2addr_b64 v[4:7], v28 offset0:32 offset1:48
	ds_load_2addr_b64 v[8:11], v28 offset0:64 offset1:80
	;; [unrolled: 1-line block ×7, first 2 shown]
	ds_load_2addr_b64 v[32:35], v60 offset1:16
	ds_load_2addr_b64 v[36:39], v60 offset0:32 offset1:48
	ds_load_2addr_b64 v[40:43], v60 offset0:64 offset1:80
	;; [unrolled: 1-line block ×7, first 2 shown]
	ds_load_2addr_stride64_b64 v[64:67], v85 offset0:24 offset1:28
	v_dual_mov_b32 v70, 0 :: v_dual_add_nc_u32 v69, 0x3000, v85
	v_dual_mov_b32 v72, 16 :: v_dual_mov_b32 v77, 56
	v_dual_mov_b32 v74, 32 :: v_dual_mov_b32 v79, 0x48
	;; [unrolled: 1-line block ×4, first 2 shown]
	v_mov_b32_e32 v82, 0x50
	v_mov_b32_e32 v84, 0x60
	;; [unrolled: 1-line block ×20, first 2 shown]
	s_mov_b64 s[2:3], 0
	s_mov_b32 s4, -1
.LBB195_66:                             ; =>This Inner Loop Header: Depth=1
	scratch_load_b64 v[104:105], v70, off
	scratch_load_b64 v[106:107], v71, off
	;; [unrolled: 1-line block ×32, first 2 shown]
	s_cmp_eq_u32 s2, 1
	s_waitcnt lgkmcnt(16)
	v_max_f64 v[170:171], v[0:1], v[0:1]
	s_cselect_b32 vcc_lo, -1, 0
	v_max_f64 v[172:173], v[2:3], v[2:3]
	s_waitcnt lgkmcnt(0)
	v_dual_cndmask_b32 v169, v65, v67 :: v_dual_cndmask_b32 v168, v64, v66
	v_max_f64 v[174:175], v[4:5], v[4:5]
	v_max_f64 v[176:177], v[6:7], v[6:7]
	;; [unrolled: 1-line block ×31, first 2 shown]
	s_mov_b64 s[2:3], 1
	s_and_b32 vcc_lo, exec_lo, s4
	s_mov_b32 s4, 0
	v_min_f64 v[170:171], v[170:171], v[168:169]
	v_min_f64 v[172:173], v[172:173], v[168:169]
	;; [unrolled: 1-line block ×32, first 2 shown]
	s_waitcnt vmcnt(31)
	v_add_f64 v[104:105], v[104:105], v[170:171]
	s_waitcnt vmcnt(30)
	v_add_f64 v[106:107], v[172:173], v[106:107]
	;; [unrolled: 2-line block ×32, first 2 shown]
	scratch_store_b64 v70, v[104:105], off
	scratch_store_b64 v71, v[106:107], off
	;; [unrolled: 1-line block ×32, first 2 shown]
	v_mov_b32_e32 v70, 0x100
	v_mov_b32_e32 v71, 0x108
	;; [unrolled: 1-line block ×32, first 2 shown]
	s_cbranch_vccnz .LBB195_66
; %bb.67:
	v_dual_mov_b32 v71, 8 :: v_dual_add_nc_u32 v60, 0x800, v68
	ds_load_2addr_b64 v[0:3], v68 offset0:1 offset1:17
	ds_load_2addr_b64 v[4:7], v68 offset0:33 offset1:49
	;; [unrolled: 1-line block ×12, first 2 shown]
	v_dual_mov_b32 v73, 24 :: v_dual_add_nc_u32 v64, 8, v69
	ds_load_2addr_b64 v[48:51], v60 offset0:129 offset1:145
	ds_load_2addr_b64 v[52:55], v60 offset0:161 offset1:177
	;; [unrolled: 1-line block ×4, first 2 shown]
	ds_load_2addr_stride64_b64 v[64:67], v64 offset1:4
	v_dual_mov_b32 v70, 0 :: v_dual_mov_b32 v75, 40
	v_dual_mov_b32 v72, 16 :: v_dual_mov_b32 v77, 56
	;; [unrolled: 1-line block ×5, first 2 shown]
	v_mov_b32_e32 v82, 0x50
	v_mov_b32_e32 v84, 0x60
	;; [unrolled: 1-line block ×20, first 2 shown]
	s_mov_b64 s[2:3], 0
	s_mov_b32 s4, -1
.LBB195_68:                             ; =>This Inner Loop Header: Depth=1
	scratch_load_b64 v[104:105], v70, off
	scratch_load_b64 v[106:107], v71, off
	scratch_load_b64 v[108:109], v72, off
	scratch_load_b64 v[110:111], v73, off
	scratch_load_b64 v[112:113], v74, off
	scratch_load_b64 v[114:115], v75, off
	scratch_load_b64 v[116:117], v76, off
	scratch_load_b64 v[118:119], v77, off
	scratch_load_b64 v[120:121], v78, off
	scratch_load_b64 v[122:123], v79, off
	scratch_load_b64 v[124:125], v82, off
	scratch_load_b64 v[126:127], v83, off
	scratch_load_b64 v[128:129], v84, off
	scratch_load_b64 v[130:131], v85, off
	scratch_load_b64 v[132:133], v86, off
	scratch_load_b64 v[134:135], v87, off
	scratch_load_b64 v[136:137], v88, off
	scratch_load_b64 v[138:139], v89, off
	scratch_load_b64 v[140:141], v90, off
	scratch_load_b64 v[142:143], v91, off
	scratch_load_b64 v[144:145], v92, off
	scratch_load_b64 v[146:147], v93, off
	scratch_load_b64 v[148:149], v94, off
	scratch_load_b64 v[150:151], v95, off
	scratch_load_b64 v[152:153], v96, off
	scratch_load_b64 v[154:155], v97, off
	scratch_load_b64 v[156:157], v98, off
	scratch_load_b64 v[158:159], v99, off
	scratch_load_b64 v[160:161], v100, off
	scratch_load_b64 v[162:163], v101, off
	scratch_load_b64 v[164:165], v102, off
	scratch_load_b64 v[166:167], v103, off
	s_cmp_eq_u32 s2, 1
	s_waitcnt lgkmcnt(16)
	v_max_f64 v[170:171], v[0:1], v[0:1]
	s_cselect_b32 vcc_lo, -1, 0
	v_max_f64 v[172:173], v[2:3], v[2:3]
	s_waitcnt lgkmcnt(0)
	v_dual_cndmask_b32 v169, v65, v67 :: v_dual_cndmask_b32 v168, v64, v66
	v_max_f64 v[174:175], v[4:5], v[4:5]
	v_max_f64 v[176:177], v[6:7], v[6:7]
	;; [unrolled: 1-line block ×31, first 2 shown]
	s_mov_b64 s[2:3], 1
	s_and_b32 vcc_lo, exec_lo, s4
	s_mov_b32 s4, 0
	v_min_f64 v[170:171], v[170:171], v[168:169]
	v_min_f64 v[172:173], v[172:173], v[168:169]
	;; [unrolled: 1-line block ×32, first 2 shown]
	s_waitcnt vmcnt(31)
	v_add_f64 v[104:105], v[104:105], v[170:171]
	s_waitcnt vmcnt(30)
	v_add_f64 v[106:107], v[172:173], v[106:107]
	;; [unrolled: 2-line block ×32, first 2 shown]
	scratch_store_b64 v70, v[104:105], off
	scratch_store_b64 v71, v[106:107], off
	;; [unrolled: 1-line block ×32, first 2 shown]
	v_mov_b32_e32 v70, 0x100
	v_mov_b32_e32 v71, 0x108
	;; [unrolled: 1-line block ×32, first 2 shown]
	s_cbranch_vccnz .LBB195_68
; %bb.69:
	v_dual_mov_b32 v71, 8 :: v_dual_add_nc_u32 v60, 0x800, v68
	ds_load_2addr_b64 v[0:3], v68 offset0:2 offset1:18
	ds_load_2addr_b64 v[4:7], v68 offset0:34 offset1:50
	ds_load_2addr_b64 v[8:11], v68 offset0:66 offset1:82
	ds_load_2addr_b64 v[12:15], v68 offset0:98 offset1:114
	ds_load_2addr_b64 v[16:19], v68 offset0:130 offset1:146
	ds_load_2addr_b64 v[20:23], v68 offset0:162 offset1:178
	ds_load_2addr_b64 v[24:27], v68 offset0:194 offset1:210
	ds_load_2addr_b64 v[28:31], v68 offset0:226 offset1:242
	ds_load_2addr_b64 v[32:35], v60 offset0:2 offset1:18
	ds_load_2addr_b64 v[36:39], v60 offset0:34 offset1:50
	ds_load_2addr_b64 v[40:43], v60 offset0:66 offset1:82
	ds_load_2addr_b64 v[44:47], v60 offset0:98 offset1:114
	v_dual_mov_b32 v73, 24 :: v_dual_add_nc_u32 v64, 16, v69
	ds_load_2addr_b64 v[48:51], v60 offset0:130 offset1:146
	ds_load_2addr_b64 v[52:55], v60 offset0:162 offset1:178
	;; [unrolled: 1-line block ×4, first 2 shown]
	ds_load_2addr_stride64_b64 v[64:67], v64 offset1:4
	v_dual_mov_b32 v70, 0 :: v_dual_mov_b32 v75, 40
	v_dual_mov_b32 v72, 16 :: v_dual_mov_b32 v77, 56
	;; [unrolled: 1-line block ×5, first 2 shown]
	v_mov_b32_e32 v82, 0x50
	v_mov_b32_e32 v84, 0x60
	;; [unrolled: 1-line block ×20, first 2 shown]
	s_mov_b64 s[2:3], 0
	s_mov_b32 s4, -1
.LBB195_70:                             ; =>This Inner Loop Header: Depth=1
	scratch_load_b64 v[104:105], v70, off
	scratch_load_b64 v[106:107], v71, off
	;; [unrolled: 1-line block ×32, first 2 shown]
	s_cmp_eq_u32 s2, 1
	s_waitcnt lgkmcnt(16)
	v_max_f64 v[170:171], v[0:1], v[0:1]
	s_cselect_b32 vcc_lo, -1, 0
	v_max_f64 v[172:173], v[2:3], v[2:3]
	s_waitcnt lgkmcnt(0)
	v_dual_cndmask_b32 v169, v65, v67 :: v_dual_cndmask_b32 v168, v64, v66
	v_max_f64 v[174:175], v[4:5], v[4:5]
	v_max_f64 v[176:177], v[6:7], v[6:7]
	;; [unrolled: 1-line block ×31, first 2 shown]
	s_mov_b64 s[2:3], 1
	s_and_b32 vcc_lo, exec_lo, s4
	s_mov_b32 s4, 0
	v_min_f64 v[170:171], v[170:171], v[168:169]
	v_min_f64 v[172:173], v[172:173], v[168:169]
	v_min_f64 v[174:175], v[174:175], v[168:169]
	v_min_f64 v[176:177], v[176:177], v[168:169]
	v_min_f64 v[178:179], v[178:179], v[168:169]
	v_min_f64 v[180:181], v[180:181], v[168:169]
	v_min_f64 v[182:183], v[182:183], v[168:169]
	v_min_f64 v[184:185], v[184:185], v[168:169]
	v_min_f64 v[186:187], v[186:187], v[168:169]
	v_min_f64 v[188:189], v[188:189], v[168:169]
	v_min_f64 v[190:191], v[190:191], v[168:169]
	v_min_f64 v[192:193], v[192:193], v[168:169]
	v_min_f64 v[194:195], v[194:195], v[168:169]
	v_min_f64 v[196:197], v[196:197], v[168:169]
	v_min_f64 v[198:199], v[198:199], v[168:169]
	v_min_f64 v[200:201], v[200:201], v[168:169]
	v_min_f64 v[202:203], v[202:203], v[168:169]
	v_min_f64 v[204:205], v[204:205], v[168:169]
	v_min_f64 v[206:207], v[206:207], v[168:169]
	v_min_f64 v[208:209], v[208:209], v[168:169]
	v_min_f64 v[210:211], v[210:211], v[168:169]
	v_min_f64 v[212:213], v[212:213], v[168:169]
	v_min_f64 v[214:215], v[214:215], v[168:169]
	v_min_f64 v[216:217], v[216:217], v[168:169]
	v_min_f64 v[218:219], v[218:219], v[168:169]
	v_min_f64 v[220:221], v[220:221], v[168:169]
	v_min_f64 v[222:223], v[222:223], v[168:169]
	v_min_f64 v[224:225], v[224:225], v[168:169]
	v_min_f64 v[226:227], v[226:227], v[168:169]
	v_min_f64 v[228:229], v[228:229], v[168:169]
	v_min_f64 v[230:231], v[230:231], v[168:169]
	v_min_f64 v[168:169], v[232:233], v[168:169]
	s_waitcnt vmcnt(31)
	v_add_f64 v[104:105], v[104:105], v[170:171]
	s_waitcnt vmcnt(30)
	v_add_f64 v[106:107], v[172:173], v[106:107]
	s_waitcnt vmcnt(29)
	v_add_f64 v[108:109], v[174:175], v[108:109]
	s_waitcnt vmcnt(28)
	v_add_f64 v[110:111], v[176:177], v[110:111]
	s_waitcnt vmcnt(27)
	v_add_f64 v[112:113], v[178:179], v[112:113]
	s_waitcnt vmcnt(26)
	v_add_f64 v[114:115], v[180:181], v[114:115]
	s_waitcnt vmcnt(25)
	v_add_f64 v[116:117], v[182:183], v[116:117]
	s_waitcnt vmcnt(24)
	v_add_f64 v[118:119], v[184:185], v[118:119]
	s_waitcnt vmcnt(23)
	v_add_f64 v[120:121], v[186:187], v[120:121]
	s_waitcnt vmcnt(22)
	v_add_f64 v[122:123], v[188:189], v[122:123]
	s_waitcnt vmcnt(21)
	v_add_f64 v[124:125], v[190:191], v[124:125]
	s_waitcnt vmcnt(20)
	v_add_f64 v[126:127], v[192:193], v[126:127]
	s_waitcnt vmcnt(19)
	v_add_f64 v[128:129], v[194:195], v[128:129]
	s_waitcnt vmcnt(18)
	v_add_f64 v[130:131], v[196:197], v[130:131]
	s_waitcnt vmcnt(17)
	v_add_f64 v[132:133], v[198:199], v[132:133]
	s_waitcnt vmcnt(16)
	v_add_f64 v[134:135], v[200:201], v[134:135]
	s_waitcnt vmcnt(15)
	v_add_f64 v[136:137], v[202:203], v[136:137]
	s_waitcnt vmcnt(14)
	v_add_f64 v[138:139], v[204:205], v[138:139]
	s_waitcnt vmcnt(13)
	v_add_f64 v[140:141], v[206:207], v[140:141]
	s_waitcnt vmcnt(12)
	v_add_f64 v[142:143], v[208:209], v[142:143]
	s_waitcnt vmcnt(11)
	v_add_f64 v[144:145], v[210:211], v[144:145]
	s_waitcnt vmcnt(10)
	v_add_f64 v[146:147], v[212:213], v[146:147]
	s_waitcnt vmcnt(9)
	v_add_f64 v[148:149], v[214:215], v[148:149]
	s_waitcnt vmcnt(8)
	v_add_f64 v[150:151], v[216:217], v[150:151]
	s_waitcnt vmcnt(7)
	v_add_f64 v[152:153], v[218:219], v[152:153]
	s_waitcnt vmcnt(6)
	v_add_f64 v[154:155], v[220:221], v[154:155]
	s_waitcnt vmcnt(5)
	v_add_f64 v[156:157], v[222:223], v[156:157]
	s_waitcnt vmcnt(4)
	v_add_f64 v[158:159], v[224:225], v[158:159]
	s_waitcnt vmcnt(3)
	v_add_f64 v[160:161], v[226:227], v[160:161]
	s_waitcnt vmcnt(2)
	v_add_f64 v[162:163], v[228:229], v[162:163]
	s_waitcnt vmcnt(1)
	v_add_f64 v[164:165], v[230:231], v[164:165]
	s_waitcnt vmcnt(0)
	v_add_f64 v[166:167], v[168:169], v[166:167]
	scratch_store_b64 v70, v[104:105], off
	scratch_store_b64 v71, v[106:107], off
	;; [unrolled: 1-line block ×32, first 2 shown]
	v_mov_b32_e32 v70, 0x100
	v_mov_b32_e32 v71, 0x108
	;; [unrolled: 1-line block ×32, first 2 shown]
	s_cbranch_vccnz .LBB195_70
; %bb.71:
	v_add_nc_u32_e32 v60, 0x800, v68
	ds_load_2addr_b64 v[0:3], v68 offset0:3 offset1:19
	ds_load_2addr_b64 v[4:7], v68 offset0:35 offset1:51
	;; [unrolled: 1-line block ×4, first 2 shown]
	v_dual_mov_b32 v71, 24 :: v_dual_add_nc_u32 v64, 24, v69
	v_mov_b32_e32 v69, 8
	ds_load_2addr_b64 v[16:19], v68 offset0:131 offset1:147
	ds_load_2addr_b64 v[20:23], v68 offset0:163 offset1:179
	;; [unrolled: 1-line block ×12, first 2 shown]
	ds_load_2addr_stride64_b64 v[64:67], v64 offset1:4
	v_dual_mov_b32 v68, 0 :: v_dual_mov_b32 v73, 40
	v_dual_mov_b32 v70, 16 :: v_dual_mov_b32 v75, 56
	;; [unrolled: 1-line block ×5, first 2 shown]
	v_mov_b32_e32 v78, 0x50
	v_mov_b32_e32 v82, 0x60
	v_mov_b32_e32 v84, 0x70
	v_mov_b32_e32 v85, 0x78
	v_mov_b32_e32 v86, 0x80
	v_mov_b32_e32 v87, 0x88
	v_mov_b32_e32 v88, 0x90
	v_mov_b32_e32 v89, 0x98
	v_mov_b32_e32 v90, 0xa0
	v_mov_b32_e32 v91, 0xa8
	v_mov_b32_e32 v92, 0xb0
	v_mov_b32_e32 v93, 0xb8
	v_mov_b32_e32 v94, 0xc0
	v_mov_b32_e32 v95, 0xc8
	v_mov_b32_e32 v96, 0xd0
	v_mov_b32_e32 v97, 0xd8
	v_mov_b32_e32 v98, 0xe0
	v_mov_b32_e32 v99, 0xe8
	v_mov_b32_e32 v100, 0xf0
	v_mov_b32_e32 v101, 0xf8
	s_mov_b64 s[2:3], 0
	s_mov_b32 s4, -1
.LBB195_72:                             ; =>This Inner Loop Header: Depth=1
	scratch_load_b64 v[102:103], v68, off
	scratch_load_b64 v[104:105], v69, off
	;; [unrolled: 1-line block ×32, first 2 shown]
	s_cmp_eq_u32 s2, 1
	s_waitcnt lgkmcnt(16)
	v_max_f64 v[168:169], v[0:1], v[0:1]
	s_cselect_b32 vcc_lo, -1, 0
	v_max_f64 v[170:171], v[2:3], v[2:3]
	s_waitcnt lgkmcnt(0)
	v_dual_cndmask_b32 v167, v65, v67 :: v_dual_cndmask_b32 v166, v64, v66
	v_max_f64 v[172:173], v[4:5], v[4:5]
	v_max_f64 v[174:175], v[6:7], v[6:7]
	;; [unrolled: 1-line block ×31, first 2 shown]
	s_mov_b64 s[2:3], 1
	s_and_b32 vcc_lo, exec_lo, s4
	s_mov_b32 s4, 0
	v_min_f64 v[168:169], v[168:169], v[166:167]
	v_min_f64 v[170:171], v[170:171], v[166:167]
	;; [unrolled: 1-line block ×32, first 2 shown]
	s_waitcnt vmcnt(31)
	v_add_f64 v[102:103], v[102:103], v[168:169]
	s_waitcnt vmcnt(30)
	v_add_f64 v[104:105], v[170:171], v[104:105]
	;; [unrolled: 2-line block ×32, first 2 shown]
	scratch_store_b64 v68, v[102:103], off
	scratch_store_b64 v69, v[104:105], off
	;; [unrolled: 1-line block ×32, first 2 shown]
	v_mov_b32_e32 v68, 0x100
	v_mov_b32_e32 v69, 0x108
	;; [unrolled: 1-line block ×32, first 2 shown]
	s_cbranch_vccnz .LBB195_72
; %bb.73:
	s_clause 0x2
	s_load_b64 s[2:3], s[0:1], 0x78
	s_load_b32 s39, s[0:1], 0x58
	s_load_b32 s38, s[0:1], 0x70
	v_add_nc_u32_e32 v71, s9, v81
	v_add_nc_u32_e32 v0, s8, v80
	v_cndmask_b32_e64 v70, 0, 1, s42
	s_delay_alu instid0(VALU_DEP_3)
	v_cmp_gt_i32_e64 s8, s37, v71
	s_waitcnt lgkmcnt(0)
	s_mul_i32 s0, s12, s3
	v_mad_i64_i32 v[1:2], null, v71, s39, 0
	v_mad_i64_i32 v[3:4], null, v71, s38, 0
	s_mul_hi_u32 s1, s12, s2
	s_mul_i32 s2, s12, s2
	s_add_i32 s3, s1, s0
	v_cmp_gt_i32_e64 s0, s36, v0
	s_delay_alu instid0(VALU_DEP_3) | instskip(SKIP_1) | instid1(VALU_DEP_3)
	v_lshlrev_b64 v[5:6], 3, v[1:2]
	s_lshl_b64 s[2:3], s[2:3], 3
	v_lshlrev_b64 v[2:3], 3, v[3:4]
	s_add_u32 s43, s10, s2
	s_addc_u32 s44, s11, s3
	v_ashrrev_i32_e32 v1, 31, v0
	v_add_co_u32 v68, vcc_lo, s40, v5
	v_add_co_ci_u32_e32 v69, vcc_lo, s41, v6, vcc_lo
	v_add_co_u32 v72, vcc_lo, s43, v2
	v_add_co_ci_u32_e32 v73, vcc_lo, s44, v3, vcc_lo
	s_and_b32 s1, s8, s0
	s_delay_alu instid0(SALU_CYCLE_1) | instskip(NEXT) | instid1(SALU_CYCLE_1)
	s_and_saveexec_b32 s2, s1
	s_xor_b32 s1, exec_lo, s2
	s_cbranch_execz .LBB195_78
; %bb.74:
	scratch_load_b64 v[2:3], off, off
	v_lshlrev_b64 v[4:5], 3, v[0:1]
	s_and_not1_b32 vcc_lo, exec_lo, s42
	s_cbranch_vccnz .LBB195_76
; %bb.75:
	s_delay_alu instid0(VALU_DEP_1) | instskip(NEXT) | instid1(VALU_DEP_2)
	v_add_co_u32 v6, vcc_lo, v68, v4
	v_add_co_ci_u32_e32 v7, vcc_lo, v69, v5, vcc_lo
	flat_load_b64 v[6:7], v[6:7]
	s_waitcnt vmcnt(0) lgkmcnt(0)
	v_mul_f64 v[6:7], s[34:35], v[6:7]
	s_branch .LBB195_77
.LBB195_76:
	v_mov_b32_e32 v6, 0
	v_mov_b32_e32 v7, 0
.LBB195_77:
	s_waitcnt vmcnt(0)
	s_delay_alu instid0(VALU_DEP_1)
	v_add_f64 v[2:3], v[2:3], v[6:7]
	v_add_co_u32 v4, vcc_lo, v72, v4
	v_add_co_ci_u32_e32 v5, vcc_lo, v73, v5, vcc_lo
	global_store_b64 v[4:5], v[2:3], off
.LBB195_78:
	s_or_b32 exec_lo, exec_lo, s1
	v_add_nc_u32_e32 v2, 4, v0
	s_delay_alu instid0(VALU_DEP_1) | instskip(SKIP_1) | instid1(VALU_DEP_2)
	v_cmp_gt_i32_e64 s1, s36, v2
	v_ashrrev_i32_e32 v3, 31, v2
	s_and_b32 s3, s8, s1
	s_delay_alu instid0(SALU_CYCLE_1)
	s_and_saveexec_b32 s2, s3
	s_cbranch_execz .LBB195_83
; %bb.79:
	scratch_load_b64 v[4:5], off, off offset:8
	v_lshlrev_b64 v[6:7], 3, v[2:3]
	s_and_not1_b32 vcc_lo, exec_lo, s42
	s_cbranch_vccnz .LBB195_81
; %bb.80:
	s_delay_alu instid0(VALU_DEP_1) | instskip(NEXT) | instid1(VALU_DEP_2)
	v_add_co_u32 v8, vcc_lo, v68, v6
	v_add_co_ci_u32_e32 v9, vcc_lo, v69, v7, vcc_lo
	flat_load_b64 v[8:9], v[8:9]
	s_waitcnt vmcnt(0) lgkmcnt(0)
	v_mul_f64 v[8:9], s[34:35], v[8:9]
	s_branch .LBB195_82
.LBB195_81:
	v_mov_b32_e32 v8, 0
	v_mov_b32_e32 v9, 0
.LBB195_82:
	s_waitcnt vmcnt(0)
	s_delay_alu instid0(VALU_DEP_1)
	v_add_f64 v[4:5], v[4:5], v[8:9]
	v_add_co_u32 v6, vcc_lo, v72, v6
	v_add_co_ci_u32_e32 v7, vcc_lo, v73, v7, vcc_lo
	global_store_b64 v[6:7], v[4:5], off
.LBB195_83:
	s_or_b32 exec_lo, exec_lo, s2
	v_add_nc_u32_e32 v4, 8, v0
	s_delay_alu instid0(VALU_DEP_1) | instskip(SKIP_1) | instid1(VALU_DEP_2)
	v_cmp_gt_i32_e64 s2, s36, v4
	v_ashrrev_i32_e32 v5, 31, v4
	s_and_b32 s4, s8, s2
	s_delay_alu instid0(SALU_CYCLE_1)
	s_and_saveexec_b32 s3, s4
	s_cbranch_execz .LBB195_88
; %bb.84:
	scratch_load_b64 v[6:7], off, off offset:16
	v_lshlrev_b64 v[8:9], 3, v[4:5]
	s_and_not1_b32 vcc_lo, exec_lo, s42
	s_cbranch_vccnz .LBB195_86
; %bb.85:
	s_delay_alu instid0(VALU_DEP_1) | instskip(NEXT) | instid1(VALU_DEP_2)
	v_add_co_u32 v10, vcc_lo, v68, v8
	v_add_co_ci_u32_e32 v11, vcc_lo, v69, v9, vcc_lo
	flat_load_b64 v[10:11], v[10:11]
	s_waitcnt vmcnt(0) lgkmcnt(0)
	v_mul_f64 v[10:11], s[34:35], v[10:11]
	s_branch .LBB195_87
.LBB195_86:
	v_mov_b32_e32 v10, 0
	v_mov_b32_e32 v11, 0
.LBB195_87:
	s_waitcnt vmcnt(0)
	s_delay_alu instid0(VALU_DEP_1)
	v_add_f64 v[6:7], v[6:7], v[10:11]
	v_add_co_u32 v8, vcc_lo, v72, v8
	v_add_co_ci_u32_e32 v9, vcc_lo, v73, v9, vcc_lo
	global_store_b64 v[8:9], v[6:7], off
.LBB195_88:
	;; [unrolled: 33-line block ×31, first 2 shown]
	s_or_b32 exec_lo, exec_lo, s8
	v_add_nc_u32_e32 v68, 64, v71
	s_delay_alu instid0(VALU_DEP_1) | instskip(SKIP_2) | instid1(VALU_DEP_3)
	v_mad_i64_i32 v[64:65], null, v68, s39, 0
	v_mad_i64_i32 v[66:67], null, v68, s38, 0
	v_cmp_gt_i32_e64 s8, s37, v68
	v_lshlrev_b64 v[64:65], 3, v[64:65]
	s_delay_alu instid0(VALU_DEP_2) | instskip(NEXT) | instid1(VALU_DEP_3)
	s_and_b32 s0, s8, s0
	v_lshlrev_b64 v[66:67], 3, v[66:67]
	s_delay_alu instid0(VALU_DEP_2) | instskip(NEXT) | instid1(VALU_DEP_3)
	v_add_co_u32 v71, vcc_lo, s40, v64
	v_add_co_ci_u32_e32 v72, vcc_lo, s41, v65, vcc_lo
	s_delay_alu instid0(VALU_DEP_3) | instskip(NEXT) | instid1(VALU_DEP_4)
	v_add_co_u32 v68, vcc_lo, s43, v66
	v_add_co_ci_u32_e32 v69, vcc_lo, s44, v67, vcc_lo
	s_and_saveexec_b32 s36, s0
	s_delay_alu instid0(SALU_CYCLE_1)
	s_xor_b32 s0, exec_lo, s36
	s_cbranch_execnz .LBB195_266
; %bb.234:
	s_or_b32 exec_lo, exec_lo, s0
	s_and_b32 s1, s8, s1
	s_delay_alu instid0(SALU_CYCLE_1)
	s_and_saveexec_b32 s0, s1
	s_cbranch_execnz .LBB195_270
.LBB195_235:
	s_or_b32 exec_lo, exec_lo, s0
	s_and_b32 s1, s8, s2
	s_delay_alu instid0(SALU_CYCLE_1)
	s_and_saveexec_b32 s0, s1
	s_cbranch_execnz .LBB195_274
.LBB195_236:
	s_or_b32 exec_lo, exec_lo, s0
	s_and_b32 s1, s8, s3
	s_delay_alu instid0(SALU_CYCLE_1)
	s_and_saveexec_b32 s0, s1
	s_cbranch_execnz .LBB195_278
.LBB195_237:
	s_or_b32 exec_lo, exec_lo, s0
	s_and_b32 s1, s8, s4
	s_delay_alu instid0(SALU_CYCLE_1)
	s_and_saveexec_b32 s0, s1
	s_cbranch_execnz .LBB195_282
.LBB195_238:
	s_or_b32 exec_lo, exec_lo, s0
	s_and_b32 s1, s8, s5
	s_delay_alu instid0(SALU_CYCLE_1)
	s_and_saveexec_b32 s0, s1
	s_cbranch_execnz .LBB195_286
.LBB195_239:
	s_or_b32 exec_lo, exec_lo, s0
	s_and_b32 s1, s8, s6
	s_delay_alu instid0(SALU_CYCLE_1)
	s_and_saveexec_b32 s0, s1
	s_cbranch_execnz .LBB195_290
.LBB195_240:
	s_or_b32 exec_lo, exec_lo, s0
	s_and_b32 s1, s8, s7
	s_delay_alu instid0(SALU_CYCLE_1)
	s_and_saveexec_b32 s0, s1
	s_cbranch_execnz .LBB195_294
.LBB195_241:
	s_or_b32 exec_lo, exec_lo, s0
	s_and_b32 s1, s8, s9
	s_delay_alu instid0(SALU_CYCLE_1)
	s_and_saveexec_b32 s0, s1
	s_cbranch_execnz .LBB195_298
.LBB195_242:
	s_or_b32 exec_lo, exec_lo, s0
	s_and_b32 s1, s8, s10
	s_delay_alu instid0(SALU_CYCLE_1)
	s_and_saveexec_b32 s0, s1
	s_cbranch_execnz .LBB195_302
.LBB195_243:
	s_or_b32 exec_lo, exec_lo, s0
	s_and_b32 s1, s8, s11
	s_delay_alu instid0(SALU_CYCLE_1)
	s_and_saveexec_b32 s0, s1
	s_cbranch_execnz .LBB195_306
.LBB195_244:
	s_or_b32 exec_lo, exec_lo, s0
	s_and_b32 s1, s8, s12
	s_delay_alu instid0(SALU_CYCLE_1)
	s_and_saveexec_b32 s0, s1
	s_cbranch_execnz .LBB195_310
.LBB195_245:
	s_or_b32 exec_lo, exec_lo, s0
	s_and_b32 s1, s8, s13
	s_delay_alu instid0(SALU_CYCLE_1)
	s_and_saveexec_b32 s0, s1
	s_cbranch_execnz .LBB195_314
.LBB195_246:
	s_or_b32 exec_lo, exec_lo, s0
	s_and_b32 s1, s8, s14
	s_delay_alu instid0(SALU_CYCLE_1)
	s_and_saveexec_b32 s0, s1
	s_cbranch_execnz .LBB195_318
.LBB195_247:
	s_or_b32 exec_lo, exec_lo, s0
	s_and_b32 s1, s8, s15
	s_delay_alu instid0(SALU_CYCLE_1)
	s_and_saveexec_b32 s0, s1
	s_cbranch_execnz .LBB195_322
.LBB195_248:
	s_or_b32 exec_lo, exec_lo, s0
	s_and_b32 s1, s8, s16
	s_delay_alu instid0(SALU_CYCLE_1)
	s_and_saveexec_b32 s0, s1
	s_cbranch_execnz .LBB195_326
.LBB195_249:
	s_or_b32 exec_lo, exec_lo, s0
	s_and_b32 s1, s8, s17
	s_delay_alu instid0(SALU_CYCLE_1)
	s_and_saveexec_b32 s0, s1
	s_cbranch_execnz .LBB195_330
.LBB195_250:
	s_or_b32 exec_lo, exec_lo, s0
	s_and_b32 s1, s8, s18
	s_delay_alu instid0(SALU_CYCLE_1)
	s_and_saveexec_b32 s0, s1
	s_cbranch_execnz .LBB195_334
.LBB195_251:
	s_or_b32 exec_lo, exec_lo, s0
	s_and_b32 s1, s8, s19
	s_delay_alu instid0(SALU_CYCLE_1)
	s_and_saveexec_b32 s0, s1
	s_cbranch_execnz .LBB195_338
.LBB195_252:
	s_or_b32 exec_lo, exec_lo, s0
	s_and_b32 s1, s8, s20
	s_delay_alu instid0(SALU_CYCLE_1)
	s_and_saveexec_b32 s0, s1
	s_cbranch_execnz .LBB195_342
.LBB195_253:
	s_or_b32 exec_lo, exec_lo, s0
	s_and_b32 s1, s8, s21
	s_delay_alu instid0(SALU_CYCLE_1)
	s_and_saveexec_b32 s0, s1
	s_cbranch_execnz .LBB195_346
.LBB195_254:
	s_or_b32 exec_lo, exec_lo, s0
	s_and_b32 s1, s8, s22
	s_delay_alu instid0(SALU_CYCLE_1)
	s_and_saveexec_b32 s0, s1
	s_cbranch_execnz .LBB195_350
.LBB195_255:
	s_or_b32 exec_lo, exec_lo, s0
	s_and_b32 s1, s8, s23
	s_delay_alu instid0(SALU_CYCLE_1)
	s_and_saveexec_b32 s0, s1
	s_cbranch_execnz .LBB195_354
.LBB195_256:
	s_or_b32 exec_lo, exec_lo, s0
	s_and_b32 s1, s8, s24
	s_delay_alu instid0(SALU_CYCLE_1)
	s_and_saveexec_b32 s0, s1
	s_cbranch_execnz .LBB195_358
.LBB195_257:
	s_or_b32 exec_lo, exec_lo, s0
	s_and_b32 s1, s8, s25
	s_delay_alu instid0(SALU_CYCLE_1)
	s_and_saveexec_b32 s0, s1
	s_cbranch_execnz .LBB195_362
.LBB195_258:
	s_or_b32 exec_lo, exec_lo, s0
	s_and_b32 s1, s8, s26
	s_delay_alu instid0(SALU_CYCLE_1)
	s_and_saveexec_b32 s0, s1
	s_cbranch_execnz .LBB195_366
.LBB195_259:
	s_or_b32 exec_lo, exec_lo, s0
	s_and_b32 s1, s8, s27
	s_delay_alu instid0(SALU_CYCLE_1)
	s_and_saveexec_b32 s0, s1
	s_cbranch_execnz .LBB195_370
.LBB195_260:
	s_or_b32 exec_lo, exec_lo, s0
	s_and_b32 s1, s8, s28
	s_delay_alu instid0(SALU_CYCLE_1)
	s_and_saveexec_b32 s0, s1
	s_cbranch_execnz .LBB195_374
.LBB195_261:
	s_or_b32 exec_lo, exec_lo, s0
	s_and_b32 s1, s8, s29
	s_delay_alu instid0(SALU_CYCLE_1)
	s_and_saveexec_b32 s0, s1
	s_cbranch_execnz .LBB195_378
.LBB195_262:
	s_or_b32 exec_lo, exec_lo, s0
	s_and_b32 s1, s8, s30
	s_delay_alu instid0(SALU_CYCLE_1)
	s_and_saveexec_b32 s0, s1
	s_cbranch_execnz .LBB195_382
.LBB195_263:
	s_or_b32 exec_lo, exec_lo, s0
	s_and_b32 s1, s8, s31
	s_delay_alu instid0(SALU_CYCLE_1)
	s_and_saveexec_b32 s0, s1
	s_cbranch_execnz .LBB195_386
.LBB195_264:
	s_or_b32 exec_lo, exec_lo, s0
	s_and_b32 s0, s8, s33
	s_delay_alu instid0(SALU_CYCLE_1)
	s_and_saveexec_b32 s1, s0
	s_cbranch_execnz .LBB195_390
.LBB195_265:
	s_endpgm
.LBB195_266:
	scratch_load_b64 v[64:65], off, off offset:256
	v_lshlrev_b64 v[0:1], 3, v[0:1]
	s_and_not1_b32 vcc_lo, exec_lo, s42
	s_cbranch_vccnz .LBB195_268
; %bb.267:
	s_delay_alu instid0(VALU_DEP_1) | instskip(NEXT) | instid1(VALU_DEP_2)
	v_add_co_u32 v66, vcc_lo, v71, v0
	v_add_co_ci_u32_e32 v67, vcc_lo, v72, v1, vcc_lo
	flat_load_b64 v[66:67], v[66:67]
	s_waitcnt vmcnt(0) lgkmcnt(0)
	v_mul_f64 v[66:67], s[34:35], v[66:67]
	s_branch .LBB195_269
.LBB195_268:
	v_mov_b32_e32 v66, 0
	v_mov_b32_e32 v67, 0
.LBB195_269:
	s_waitcnt vmcnt(0)
	s_delay_alu instid0(VALU_DEP_1)
	v_add_f64 v[64:65], v[64:65], v[66:67]
	v_add_co_u32 v0, vcc_lo, v68, v0
	v_add_co_ci_u32_e32 v1, vcc_lo, v69, v1, vcc_lo
	global_store_b64 v[0:1], v[64:65], off
	s_or_b32 exec_lo, exec_lo, s0
	s_and_b32 s1, s8, s1
	s_delay_alu instid0(SALU_CYCLE_1)
	s_and_saveexec_b32 s0, s1
	s_cbranch_execz .LBB195_235
.LBB195_270:
	scratch_load_b64 v[0:1], off, off offset:264
	v_cmp_ne_u32_e32 vcc_lo, 1, v70
	v_lshlrev_b64 v[2:3], 3, v[2:3]
	s_cbranch_vccnz .LBB195_272
; %bb.271:
	s_delay_alu instid0(VALU_DEP_1) | instskip(NEXT) | instid1(VALU_DEP_2)
	v_add_co_u32 v64, vcc_lo, v71, v2
	v_add_co_ci_u32_e32 v65, vcc_lo, v72, v3, vcc_lo
	flat_load_b64 v[64:65], v[64:65]
	s_waitcnt vmcnt(0) lgkmcnt(0)
	v_mul_f64 v[64:65], s[34:35], v[64:65]
	s_branch .LBB195_273
.LBB195_272:
	v_mov_b32_e32 v64, 0
	v_mov_b32_e32 v65, 0
.LBB195_273:
	s_waitcnt vmcnt(0)
	s_delay_alu instid0(VALU_DEP_1)
	v_add_f64 v[0:1], v[0:1], v[64:65]
	v_add_co_u32 v2, vcc_lo, v68, v2
	v_add_co_ci_u32_e32 v3, vcc_lo, v69, v3, vcc_lo
	global_store_b64 v[2:3], v[0:1], off
	s_or_b32 exec_lo, exec_lo, s0
	s_and_b32 s1, s8, s2
	s_delay_alu instid0(SALU_CYCLE_1)
	s_and_saveexec_b32 s0, s1
	s_cbranch_execz .LBB195_236
.LBB195_274:
	scratch_load_b64 v[0:1], off, off offset:272
	v_cmp_ne_u32_e32 vcc_lo, 1, v70
	v_lshlrev_b64 v[2:3], 3, v[4:5]
	s_cbranch_vccnz .LBB195_276
; %bb.275:
	s_delay_alu instid0(VALU_DEP_1) | instskip(NEXT) | instid1(VALU_DEP_2)
	v_add_co_u32 v4, vcc_lo, v71, v2
	v_add_co_ci_u32_e32 v5, vcc_lo, v72, v3, vcc_lo
	flat_load_b64 v[4:5], v[4:5]
	s_waitcnt vmcnt(0) lgkmcnt(0)
	v_mul_f64 v[4:5], s[34:35], v[4:5]
	s_branch .LBB195_277
.LBB195_276:
	v_mov_b32_e32 v4, 0
	v_mov_b32_e32 v5, 0
.LBB195_277:
	s_waitcnt vmcnt(0)
	s_delay_alu instid0(VALU_DEP_1)
	v_add_f64 v[0:1], v[0:1], v[4:5]
	v_add_co_u32 v2, vcc_lo, v68, v2
	v_add_co_ci_u32_e32 v3, vcc_lo, v69, v3, vcc_lo
	global_store_b64 v[2:3], v[0:1], off
	s_or_b32 exec_lo, exec_lo, s0
	s_and_b32 s1, s8, s3
	s_delay_alu instid0(SALU_CYCLE_1)
	s_and_saveexec_b32 s0, s1
	s_cbranch_execz .LBB195_237
.LBB195_278:
	scratch_load_b64 v[0:1], off, off offset:280
	v_cmp_ne_u32_e32 vcc_lo, 1, v70
	v_lshlrev_b64 v[2:3], 3, v[6:7]
	s_cbranch_vccnz .LBB195_280
; %bb.279:
	s_delay_alu instid0(VALU_DEP_1) | instskip(NEXT) | instid1(VALU_DEP_2)
	v_add_co_u32 v4, vcc_lo, v71, v2
	v_add_co_ci_u32_e32 v5, vcc_lo, v72, v3, vcc_lo
	flat_load_b64 v[4:5], v[4:5]
	s_waitcnt vmcnt(0) lgkmcnt(0)
	v_mul_f64 v[4:5], s[34:35], v[4:5]
	s_branch .LBB195_281
.LBB195_280:
	v_mov_b32_e32 v4, 0
	v_mov_b32_e32 v5, 0
.LBB195_281:
	s_waitcnt vmcnt(0)
	s_delay_alu instid0(VALU_DEP_1)
	v_add_f64 v[0:1], v[0:1], v[4:5]
	v_add_co_u32 v2, vcc_lo, v68, v2
	v_add_co_ci_u32_e32 v3, vcc_lo, v69, v3, vcc_lo
	global_store_b64 v[2:3], v[0:1], off
	s_or_b32 exec_lo, exec_lo, s0
	s_and_b32 s1, s8, s4
	s_delay_alu instid0(SALU_CYCLE_1)
	s_and_saveexec_b32 s0, s1
	s_cbranch_execz .LBB195_238
.LBB195_282:
	scratch_load_b64 v[0:1], off, off offset:288
	v_cmp_ne_u32_e32 vcc_lo, 1, v70
	v_lshlrev_b64 v[2:3], 3, v[8:9]
	s_cbranch_vccnz .LBB195_284
; %bb.283:
	s_delay_alu instid0(VALU_DEP_1) | instskip(NEXT) | instid1(VALU_DEP_2)
	v_add_co_u32 v4, vcc_lo, v71, v2
	v_add_co_ci_u32_e32 v5, vcc_lo, v72, v3, vcc_lo
	flat_load_b64 v[4:5], v[4:5]
	s_waitcnt vmcnt(0) lgkmcnt(0)
	v_mul_f64 v[4:5], s[34:35], v[4:5]
	s_branch .LBB195_285
.LBB195_284:
	v_mov_b32_e32 v4, 0
	v_mov_b32_e32 v5, 0
.LBB195_285:
	s_waitcnt vmcnt(0)
	s_delay_alu instid0(VALU_DEP_1)
	v_add_f64 v[0:1], v[0:1], v[4:5]
	v_add_co_u32 v2, vcc_lo, v68, v2
	v_add_co_ci_u32_e32 v3, vcc_lo, v69, v3, vcc_lo
	global_store_b64 v[2:3], v[0:1], off
	s_or_b32 exec_lo, exec_lo, s0
	s_and_b32 s1, s8, s5
	s_delay_alu instid0(SALU_CYCLE_1)
	s_and_saveexec_b32 s0, s1
	s_cbranch_execz .LBB195_239
.LBB195_286:
	scratch_load_b64 v[0:1], off, off offset:296
	v_cmp_ne_u32_e32 vcc_lo, 1, v70
	v_lshlrev_b64 v[2:3], 3, v[10:11]
	s_cbranch_vccnz .LBB195_288
; %bb.287:
	s_delay_alu instid0(VALU_DEP_1) | instskip(NEXT) | instid1(VALU_DEP_2)
	v_add_co_u32 v4, vcc_lo, v71, v2
	v_add_co_ci_u32_e32 v5, vcc_lo, v72, v3, vcc_lo
	flat_load_b64 v[4:5], v[4:5]
	s_waitcnt vmcnt(0) lgkmcnt(0)
	v_mul_f64 v[4:5], s[34:35], v[4:5]
	s_branch .LBB195_289
.LBB195_288:
	v_mov_b32_e32 v4, 0
	v_mov_b32_e32 v5, 0
.LBB195_289:
	s_waitcnt vmcnt(0)
	s_delay_alu instid0(VALU_DEP_1)
	v_add_f64 v[0:1], v[0:1], v[4:5]
	v_add_co_u32 v2, vcc_lo, v68, v2
	v_add_co_ci_u32_e32 v3, vcc_lo, v69, v3, vcc_lo
	global_store_b64 v[2:3], v[0:1], off
	s_or_b32 exec_lo, exec_lo, s0
	s_and_b32 s1, s8, s6
	s_delay_alu instid0(SALU_CYCLE_1)
	s_and_saveexec_b32 s0, s1
	s_cbranch_execz .LBB195_240
.LBB195_290:
	scratch_load_b64 v[0:1], off, off offset:304
	v_cmp_ne_u32_e32 vcc_lo, 1, v70
	v_lshlrev_b64 v[2:3], 3, v[12:13]
	s_cbranch_vccnz .LBB195_292
; %bb.291:
	s_delay_alu instid0(VALU_DEP_1) | instskip(NEXT) | instid1(VALU_DEP_2)
	v_add_co_u32 v4, vcc_lo, v71, v2
	v_add_co_ci_u32_e32 v5, vcc_lo, v72, v3, vcc_lo
	flat_load_b64 v[4:5], v[4:5]
	s_waitcnt vmcnt(0) lgkmcnt(0)
	v_mul_f64 v[4:5], s[34:35], v[4:5]
	s_branch .LBB195_293
.LBB195_292:
	v_mov_b32_e32 v4, 0
	v_mov_b32_e32 v5, 0
.LBB195_293:
	s_waitcnt vmcnt(0)
	s_delay_alu instid0(VALU_DEP_1)
	v_add_f64 v[0:1], v[0:1], v[4:5]
	v_add_co_u32 v2, vcc_lo, v68, v2
	v_add_co_ci_u32_e32 v3, vcc_lo, v69, v3, vcc_lo
	global_store_b64 v[2:3], v[0:1], off
	s_or_b32 exec_lo, exec_lo, s0
	s_and_b32 s1, s8, s7
	s_delay_alu instid0(SALU_CYCLE_1)
	s_and_saveexec_b32 s0, s1
	s_cbranch_execz .LBB195_241
.LBB195_294:
	scratch_load_b64 v[0:1], off, off offset:312
	v_cmp_ne_u32_e32 vcc_lo, 1, v70
	v_lshlrev_b64 v[2:3], 3, v[14:15]
	s_cbranch_vccnz .LBB195_296
; %bb.295:
	s_delay_alu instid0(VALU_DEP_1) | instskip(NEXT) | instid1(VALU_DEP_2)
	v_add_co_u32 v4, vcc_lo, v71, v2
	v_add_co_ci_u32_e32 v5, vcc_lo, v72, v3, vcc_lo
	flat_load_b64 v[4:5], v[4:5]
	s_waitcnt vmcnt(0) lgkmcnt(0)
	v_mul_f64 v[4:5], s[34:35], v[4:5]
	s_branch .LBB195_297
.LBB195_296:
	v_mov_b32_e32 v4, 0
	v_mov_b32_e32 v5, 0
.LBB195_297:
	s_waitcnt vmcnt(0)
	s_delay_alu instid0(VALU_DEP_1)
	v_add_f64 v[0:1], v[0:1], v[4:5]
	v_add_co_u32 v2, vcc_lo, v68, v2
	v_add_co_ci_u32_e32 v3, vcc_lo, v69, v3, vcc_lo
	global_store_b64 v[2:3], v[0:1], off
	s_or_b32 exec_lo, exec_lo, s0
	s_and_b32 s1, s8, s9
	s_delay_alu instid0(SALU_CYCLE_1)
	s_and_saveexec_b32 s0, s1
	s_cbranch_execz .LBB195_242
.LBB195_298:
	scratch_load_b64 v[0:1], off, off offset:320
	v_cmp_ne_u32_e32 vcc_lo, 1, v70
	v_lshlrev_b64 v[2:3], 3, v[16:17]
	s_cbranch_vccnz .LBB195_300
; %bb.299:
	s_delay_alu instid0(VALU_DEP_1) | instskip(NEXT) | instid1(VALU_DEP_2)
	v_add_co_u32 v4, vcc_lo, v71, v2
	v_add_co_ci_u32_e32 v5, vcc_lo, v72, v3, vcc_lo
	flat_load_b64 v[4:5], v[4:5]
	s_waitcnt vmcnt(0) lgkmcnt(0)
	v_mul_f64 v[4:5], s[34:35], v[4:5]
	s_branch .LBB195_301
.LBB195_300:
	v_mov_b32_e32 v4, 0
	v_mov_b32_e32 v5, 0
.LBB195_301:
	s_waitcnt vmcnt(0)
	s_delay_alu instid0(VALU_DEP_1)
	v_add_f64 v[0:1], v[0:1], v[4:5]
	v_add_co_u32 v2, vcc_lo, v68, v2
	v_add_co_ci_u32_e32 v3, vcc_lo, v69, v3, vcc_lo
	global_store_b64 v[2:3], v[0:1], off
	s_or_b32 exec_lo, exec_lo, s0
	s_and_b32 s1, s8, s10
	s_delay_alu instid0(SALU_CYCLE_1)
	s_and_saveexec_b32 s0, s1
	s_cbranch_execz .LBB195_243
.LBB195_302:
	scratch_load_b64 v[0:1], off, off offset:328
	v_cmp_ne_u32_e32 vcc_lo, 1, v70
	v_lshlrev_b64 v[2:3], 3, v[18:19]
	s_cbranch_vccnz .LBB195_304
; %bb.303:
	s_delay_alu instid0(VALU_DEP_1) | instskip(NEXT) | instid1(VALU_DEP_2)
	v_add_co_u32 v4, vcc_lo, v71, v2
	v_add_co_ci_u32_e32 v5, vcc_lo, v72, v3, vcc_lo
	flat_load_b64 v[4:5], v[4:5]
	s_waitcnt vmcnt(0) lgkmcnt(0)
	v_mul_f64 v[4:5], s[34:35], v[4:5]
	s_branch .LBB195_305
.LBB195_304:
	v_mov_b32_e32 v4, 0
	v_mov_b32_e32 v5, 0
.LBB195_305:
	s_waitcnt vmcnt(0)
	s_delay_alu instid0(VALU_DEP_1)
	v_add_f64 v[0:1], v[0:1], v[4:5]
	v_add_co_u32 v2, vcc_lo, v68, v2
	v_add_co_ci_u32_e32 v3, vcc_lo, v69, v3, vcc_lo
	global_store_b64 v[2:3], v[0:1], off
	s_or_b32 exec_lo, exec_lo, s0
	s_and_b32 s1, s8, s11
	s_delay_alu instid0(SALU_CYCLE_1)
	s_and_saveexec_b32 s0, s1
	s_cbranch_execz .LBB195_244
.LBB195_306:
	scratch_load_b64 v[0:1], off, off offset:336
	v_cmp_ne_u32_e32 vcc_lo, 1, v70
	v_lshlrev_b64 v[2:3], 3, v[20:21]
	s_cbranch_vccnz .LBB195_308
; %bb.307:
	s_delay_alu instid0(VALU_DEP_1) | instskip(NEXT) | instid1(VALU_DEP_2)
	v_add_co_u32 v4, vcc_lo, v71, v2
	v_add_co_ci_u32_e32 v5, vcc_lo, v72, v3, vcc_lo
	flat_load_b64 v[4:5], v[4:5]
	s_waitcnt vmcnt(0) lgkmcnt(0)
	v_mul_f64 v[4:5], s[34:35], v[4:5]
	s_branch .LBB195_309
.LBB195_308:
	v_mov_b32_e32 v4, 0
	v_mov_b32_e32 v5, 0
.LBB195_309:
	s_waitcnt vmcnt(0)
	s_delay_alu instid0(VALU_DEP_1)
	v_add_f64 v[0:1], v[0:1], v[4:5]
	v_add_co_u32 v2, vcc_lo, v68, v2
	v_add_co_ci_u32_e32 v3, vcc_lo, v69, v3, vcc_lo
	global_store_b64 v[2:3], v[0:1], off
	s_or_b32 exec_lo, exec_lo, s0
	s_and_b32 s1, s8, s12
	s_delay_alu instid0(SALU_CYCLE_1)
	s_and_saveexec_b32 s0, s1
	s_cbranch_execz .LBB195_245
.LBB195_310:
	scratch_load_b64 v[0:1], off, off offset:344
	v_cmp_ne_u32_e32 vcc_lo, 1, v70
	v_lshlrev_b64 v[2:3], 3, v[22:23]
	s_cbranch_vccnz .LBB195_312
; %bb.311:
	s_delay_alu instid0(VALU_DEP_1) | instskip(NEXT) | instid1(VALU_DEP_2)
	v_add_co_u32 v4, vcc_lo, v71, v2
	v_add_co_ci_u32_e32 v5, vcc_lo, v72, v3, vcc_lo
	flat_load_b64 v[4:5], v[4:5]
	s_waitcnt vmcnt(0) lgkmcnt(0)
	v_mul_f64 v[4:5], s[34:35], v[4:5]
	s_branch .LBB195_313
.LBB195_312:
	v_mov_b32_e32 v4, 0
	v_mov_b32_e32 v5, 0
.LBB195_313:
	s_waitcnt vmcnt(0)
	s_delay_alu instid0(VALU_DEP_1)
	v_add_f64 v[0:1], v[0:1], v[4:5]
	v_add_co_u32 v2, vcc_lo, v68, v2
	v_add_co_ci_u32_e32 v3, vcc_lo, v69, v3, vcc_lo
	global_store_b64 v[2:3], v[0:1], off
	s_or_b32 exec_lo, exec_lo, s0
	s_and_b32 s1, s8, s13
	s_delay_alu instid0(SALU_CYCLE_1)
	s_and_saveexec_b32 s0, s1
	s_cbranch_execz .LBB195_246
.LBB195_314:
	scratch_load_b64 v[0:1], off, off offset:352
	v_cmp_ne_u32_e32 vcc_lo, 1, v70
	v_lshlrev_b64 v[2:3], 3, v[24:25]
	s_cbranch_vccnz .LBB195_316
; %bb.315:
	s_delay_alu instid0(VALU_DEP_1) | instskip(NEXT) | instid1(VALU_DEP_2)
	v_add_co_u32 v4, vcc_lo, v71, v2
	v_add_co_ci_u32_e32 v5, vcc_lo, v72, v3, vcc_lo
	flat_load_b64 v[4:5], v[4:5]
	s_waitcnt vmcnt(0) lgkmcnt(0)
	v_mul_f64 v[4:5], s[34:35], v[4:5]
	s_branch .LBB195_317
.LBB195_316:
	v_mov_b32_e32 v4, 0
	v_mov_b32_e32 v5, 0
.LBB195_317:
	s_waitcnt vmcnt(0)
	s_delay_alu instid0(VALU_DEP_1)
	v_add_f64 v[0:1], v[0:1], v[4:5]
	v_add_co_u32 v2, vcc_lo, v68, v2
	v_add_co_ci_u32_e32 v3, vcc_lo, v69, v3, vcc_lo
	global_store_b64 v[2:3], v[0:1], off
	s_or_b32 exec_lo, exec_lo, s0
	s_and_b32 s1, s8, s14
	s_delay_alu instid0(SALU_CYCLE_1)
	s_and_saveexec_b32 s0, s1
	s_cbranch_execz .LBB195_247
.LBB195_318:
	scratch_load_b64 v[0:1], off, off offset:360
	v_cmp_ne_u32_e32 vcc_lo, 1, v70
	v_lshlrev_b64 v[2:3], 3, v[26:27]
	s_cbranch_vccnz .LBB195_320
; %bb.319:
	s_delay_alu instid0(VALU_DEP_1) | instskip(NEXT) | instid1(VALU_DEP_2)
	v_add_co_u32 v4, vcc_lo, v71, v2
	v_add_co_ci_u32_e32 v5, vcc_lo, v72, v3, vcc_lo
	flat_load_b64 v[4:5], v[4:5]
	s_waitcnt vmcnt(0) lgkmcnt(0)
	v_mul_f64 v[4:5], s[34:35], v[4:5]
	s_branch .LBB195_321
.LBB195_320:
	v_mov_b32_e32 v4, 0
	v_mov_b32_e32 v5, 0
.LBB195_321:
	s_waitcnt vmcnt(0)
	s_delay_alu instid0(VALU_DEP_1)
	v_add_f64 v[0:1], v[0:1], v[4:5]
	v_add_co_u32 v2, vcc_lo, v68, v2
	v_add_co_ci_u32_e32 v3, vcc_lo, v69, v3, vcc_lo
	global_store_b64 v[2:3], v[0:1], off
	s_or_b32 exec_lo, exec_lo, s0
	s_and_b32 s1, s8, s15
	s_delay_alu instid0(SALU_CYCLE_1)
	s_and_saveexec_b32 s0, s1
	s_cbranch_execz .LBB195_248
.LBB195_322:
	scratch_load_b64 v[0:1], off, off offset:368
	v_cmp_ne_u32_e32 vcc_lo, 1, v70
	v_lshlrev_b64 v[2:3], 3, v[28:29]
	s_cbranch_vccnz .LBB195_324
; %bb.323:
	s_delay_alu instid0(VALU_DEP_1) | instskip(NEXT) | instid1(VALU_DEP_2)
	v_add_co_u32 v4, vcc_lo, v71, v2
	v_add_co_ci_u32_e32 v5, vcc_lo, v72, v3, vcc_lo
	flat_load_b64 v[4:5], v[4:5]
	s_waitcnt vmcnt(0) lgkmcnt(0)
	v_mul_f64 v[4:5], s[34:35], v[4:5]
	s_branch .LBB195_325
.LBB195_324:
	v_mov_b32_e32 v4, 0
	v_mov_b32_e32 v5, 0
.LBB195_325:
	s_waitcnt vmcnt(0)
	s_delay_alu instid0(VALU_DEP_1)
	v_add_f64 v[0:1], v[0:1], v[4:5]
	v_add_co_u32 v2, vcc_lo, v68, v2
	v_add_co_ci_u32_e32 v3, vcc_lo, v69, v3, vcc_lo
	global_store_b64 v[2:3], v[0:1], off
	s_or_b32 exec_lo, exec_lo, s0
	s_and_b32 s1, s8, s16
	s_delay_alu instid0(SALU_CYCLE_1)
	s_and_saveexec_b32 s0, s1
	s_cbranch_execz .LBB195_249
.LBB195_326:
	scratch_load_b64 v[0:1], off, off offset:376
	v_cmp_ne_u32_e32 vcc_lo, 1, v70
	v_lshlrev_b64 v[2:3], 3, v[30:31]
	s_cbranch_vccnz .LBB195_328
; %bb.327:
	s_delay_alu instid0(VALU_DEP_1) | instskip(NEXT) | instid1(VALU_DEP_2)
	v_add_co_u32 v4, vcc_lo, v71, v2
	v_add_co_ci_u32_e32 v5, vcc_lo, v72, v3, vcc_lo
	flat_load_b64 v[4:5], v[4:5]
	s_waitcnt vmcnt(0) lgkmcnt(0)
	v_mul_f64 v[4:5], s[34:35], v[4:5]
	s_branch .LBB195_329
.LBB195_328:
	v_mov_b32_e32 v4, 0
	v_mov_b32_e32 v5, 0
.LBB195_329:
	s_waitcnt vmcnt(0)
	s_delay_alu instid0(VALU_DEP_1)
	v_add_f64 v[0:1], v[0:1], v[4:5]
	v_add_co_u32 v2, vcc_lo, v68, v2
	v_add_co_ci_u32_e32 v3, vcc_lo, v69, v3, vcc_lo
	global_store_b64 v[2:3], v[0:1], off
	s_or_b32 exec_lo, exec_lo, s0
	s_and_b32 s1, s8, s17
	s_delay_alu instid0(SALU_CYCLE_1)
	s_and_saveexec_b32 s0, s1
	s_cbranch_execz .LBB195_250
.LBB195_330:
	scratch_load_b64 v[0:1], off, off offset:384
	v_cmp_ne_u32_e32 vcc_lo, 1, v70
	v_lshlrev_b64 v[2:3], 3, v[32:33]
	s_cbranch_vccnz .LBB195_332
; %bb.331:
	s_delay_alu instid0(VALU_DEP_1) | instskip(NEXT) | instid1(VALU_DEP_2)
	v_add_co_u32 v4, vcc_lo, v71, v2
	v_add_co_ci_u32_e32 v5, vcc_lo, v72, v3, vcc_lo
	flat_load_b64 v[4:5], v[4:5]
	s_waitcnt vmcnt(0) lgkmcnt(0)
	v_mul_f64 v[4:5], s[34:35], v[4:5]
	s_branch .LBB195_333
.LBB195_332:
	v_mov_b32_e32 v4, 0
	v_mov_b32_e32 v5, 0
.LBB195_333:
	s_waitcnt vmcnt(0)
	s_delay_alu instid0(VALU_DEP_1)
	v_add_f64 v[0:1], v[0:1], v[4:5]
	v_add_co_u32 v2, vcc_lo, v68, v2
	v_add_co_ci_u32_e32 v3, vcc_lo, v69, v3, vcc_lo
	global_store_b64 v[2:3], v[0:1], off
	s_or_b32 exec_lo, exec_lo, s0
	s_and_b32 s1, s8, s18
	s_delay_alu instid0(SALU_CYCLE_1)
	s_and_saveexec_b32 s0, s1
	s_cbranch_execz .LBB195_251
.LBB195_334:
	scratch_load_b64 v[0:1], off, off offset:392
	v_cmp_ne_u32_e32 vcc_lo, 1, v70
	v_lshlrev_b64 v[2:3], 3, v[34:35]
	s_cbranch_vccnz .LBB195_336
; %bb.335:
	s_delay_alu instid0(VALU_DEP_1) | instskip(NEXT) | instid1(VALU_DEP_2)
	v_add_co_u32 v4, vcc_lo, v71, v2
	v_add_co_ci_u32_e32 v5, vcc_lo, v72, v3, vcc_lo
	flat_load_b64 v[4:5], v[4:5]
	s_waitcnt vmcnt(0) lgkmcnt(0)
	v_mul_f64 v[4:5], s[34:35], v[4:5]
	s_branch .LBB195_337
.LBB195_336:
	v_mov_b32_e32 v4, 0
	v_mov_b32_e32 v5, 0
.LBB195_337:
	s_waitcnt vmcnt(0)
	s_delay_alu instid0(VALU_DEP_1)
	v_add_f64 v[0:1], v[0:1], v[4:5]
	v_add_co_u32 v2, vcc_lo, v68, v2
	v_add_co_ci_u32_e32 v3, vcc_lo, v69, v3, vcc_lo
	global_store_b64 v[2:3], v[0:1], off
	s_or_b32 exec_lo, exec_lo, s0
	s_and_b32 s1, s8, s19
	s_delay_alu instid0(SALU_CYCLE_1)
	s_and_saveexec_b32 s0, s1
	s_cbranch_execz .LBB195_252
.LBB195_338:
	scratch_load_b64 v[0:1], off, off offset:400
	v_cmp_ne_u32_e32 vcc_lo, 1, v70
	v_lshlrev_b64 v[2:3], 3, v[36:37]
	s_cbranch_vccnz .LBB195_340
; %bb.339:
	s_delay_alu instid0(VALU_DEP_1) | instskip(NEXT) | instid1(VALU_DEP_2)
	v_add_co_u32 v4, vcc_lo, v71, v2
	v_add_co_ci_u32_e32 v5, vcc_lo, v72, v3, vcc_lo
	flat_load_b64 v[4:5], v[4:5]
	s_waitcnt vmcnt(0) lgkmcnt(0)
	v_mul_f64 v[4:5], s[34:35], v[4:5]
	s_branch .LBB195_341
.LBB195_340:
	v_mov_b32_e32 v4, 0
	v_mov_b32_e32 v5, 0
.LBB195_341:
	s_waitcnt vmcnt(0)
	s_delay_alu instid0(VALU_DEP_1)
	v_add_f64 v[0:1], v[0:1], v[4:5]
	v_add_co_u32 v2, vcc_lo, v68, v2
	v_add_co_ci_u32_e32 v3, vcc_lo, v69, v3, vcc_lo
	global_store_b64 v[2:3], v[0:1], off
	s_or_b32 exec_lo, exec_lo, s0
	s_and_b32 s1, s8, s20
	s_delay_alu instid0(SALU_CYCLE_1)
	s_and_saveexec_b32 s0, s1
	s_cbranch_execz .LBB195_253
.LBB195_342:
	scratch_load_b64 v[0:1], off, off offset:408
	v_cmp_ne_u32_e32 vcc_lo, 1, v70
	v_lshlrev_b64 v[2:3], 3, v[38:39]
	s_cbranch_vccnz .LBB195_344
; %bb.343:
	s_delay_alu instid0(VALU_DEP_1) | instskip(NEXT) | instid1(VALU_DEP_2)
	v_add_co_u32 v4, vcc_lo, v71, v2
	v_add_co_ci_u32_e32 v5, vcc_lo, v72, v3, vcc_lo
	flat_load_b64 v[4:5], v[4:5]
	s_waitcnt vmcnt(0) lgkmcnt(0)
	v_mul_f64 v[4:5], s[34:35], v[4:5]
	s_branch .LBB195_345
.LBB195_344:
	v_mov_b32_e32 v4, 0
	v_mov_b32_e32 v5, 0
.LBB195_345:
	s_waitcnt vmcnt(0)
	s_delay_alu instid0(VALU_DEP_1)
	v_add_f64 v[0:1], v[0:1], v[4:5]
	v_add_co_u32 v2, vcc_lo, v68, v2
	v_add_co_ci_u32_e32 v3, vcc_lo, v69, v3, vcc_lo
	global_store_b64 v[2:3], v[0:1], off
	s_or_b32 exec_lo, exec_lo, s0
	s_and_b32 s1, s8, s21
	s_delay_alu instid0(SALU_CYCLE_1)
	s_and_saveexec_b32 s0, s1
	s_cbranch_execz .LBB195_254
.LBB195_346:
	scratch_load_b64 v[0:1], off, off offset:416
	v_cmp_ne_u32_e32 vcc_lo, 1, v70
	v_lshlrev_b64 v[2:3], 3, v[40:41]
	s_cbranch_vccnz .LBB195_348
; %bb.347:
	s_delay_alu instid0(VALU_DEP_1) | instskip(NEXT) | instid1(VALU_DEP_2)
	v_add_co_u32 v4, vcc_lo, v71, v2
	v_add_co_ci_u32_e32 v5, vcc_lo, v72, v3, vcc_lo
	flat_load_b64 v[4:5], v[4:5]
	s_waitcnt vmcnt(0) lgkmcnt(0)
	v_mul_f64 v[4:5], s[34:35], v[4:5]
	s_branch .LBB195_349
.LBB195_348:
	v_mov_b32_e32 v4, 0
	v_mov_b32_e32 v5, 0
.LBB195_349:
	s_waitcnt vmcnt(0)
	s_delay_alu instid0(VALU_DEP_1)
	v_add_f64 v[0:1], v[0:1], v[4:5]
	v_add_co_u32 v2, vcc_lo, v68, v2
	v_add_co_ci_u32_e32 v3, vcc_lo, v69, v3, vcc_lo
	global_store_b64 v[2:3], v[0:1], off
	s_or_b32 exec_lo, exec_lo, s0
	s_and_b32 s1, s8, s22
	s_delay_alu instid0(SALU_CYCLE_1)
	s_and_saveexec_b32 s0, s1
	s_cbranch_execz .LBB195_255
.LBB195_350:
	scratch_load_b64 v[0:1], off, off offset:424
	v_cmp_ne_u32_e32 vcc_lo, 1, v70
	v_lshlrev_b64 v[2:3], 3, v[42:43]
	s_cbranch_vccnz .LBB195_352
; %bb.351:
	s_delay_alu instid0(VALU_DEP_1) | instskip(NEXT) | instid1(VALU_DEP_2)
	v_add_co_u32 v4, vcc_lo, v71, v2
	v_add_co_ci_u32_e32 v5, vcc_lo, v72, v3, vcc_lo
	flat_load_b64 v[4:5], v[4:5]
	s_waitcnt vmcnt(0) lgkmcnt(0)
	v_mul_f64 v[4:5], s[34:35], v[4:5]
	s_branch .LBB195_353
.LBB195_352:
	v_mov_b32_e32 v4, 0
	v_mov_b32_e32 v5, 0
.LBB195_353:
	s_waitcnt vmcnt(0)
	s_delay_alu instid0(VALU_DEP_1)
	v_add_f64 v[0:1], v[0:1], v[4:5]
	v_add_co_u32 v2, vcc_lo, v68, v2
	v_add_co_ci_u32_e32 v3, vcc_lo, v69, v3, vcc_lo
	global_store_b64 v[2:3], v[0:1], off
	s_or_b32 exec_lo, exec_lo, s0
	s_and_b32 s1, s8, s23
	s_delay_alu instid0(SALU_CYCLE_1)
	s_and_saveexec_b32 s0, s1
	s_cbranch_execz .LBB195_256
.LBB195_354:
	scratch_load_b64 v[0:1], off, off offset:432
	v_cmp_ne_u32_e32 vcc_lo, 1, v70
	v_lshlrev_b64 v[2:3], 3, v[44:45]
	s_cbranch_vccnz .LBB195_356
; %bb.355:
	s_delay_alu instid0(VALU_DEP_1) | instskip(NEXT) | instid1(VALU_DEP_2)
	v_add_co_u32 v4, vcc_lo, v71, v2
	v_add_co_ci_u32_e32 v5, vcc_lo, v72, v3, vcc_lo
	flat_load_b64 v[4:5], v[4:5]
	s_waitcnt vmcnt(0) lgkmcnt(0)
	v_mul_f64 v[4:5], s[34:35], v[4:5]
	s_branch .LBB195_357
.LBB195_356:
	v_mov_b32_e32 v4, 0
	v_mov_b32_e32 v5, 0
.LBB195_357:
	s_waitcnt vmcnt(0)
	s_delay_alu instid0(VALU_DEP_1)
	v_add_f64 v[0:1], v[0:1], v[4:5]
	v_add_co_u32 v2, vcc_lo, v68, v2
	v_add_co_ci_u32_e32 v3, vcc_lo, v69, v3, vcc_lo
	global_store_b64 v[2:3], v[0:1], off
	s_or_b32 exec_lo, exec_lo, s0
	s_and_b32 s1, s8, s24
	s_delay_alu instid0(SALU_CYCLE_1)
	s_and_saveexec_b32 s0, s1
	s_cbranch_execz .LBB195_257
.LBB195_358:
	scratch_load_b64 v[0:1], off, off offset:440
	v_cmp_ne_u32_e32 vcc_lo, 1, v70
	v_lshlrev_b64 v[2:3], 3, v[46:47]
	s_cbranch_vccnz .LBB195_360
; %bb.359:
	s_delay_alu instid0(VALU_DEP_1) | instskip(NEXT) | instid1(VALU_DEP_2)
	v_add_co_u32 v4, vcc_lo, v71, v2
	v_add_co_ci_u32_e32 v5, vcc_lo, v72, v3, vcc_lo
	flat_load_b64 v[4:5], v[4:5]
	s_waitcnt vmcnt(0) lgkmcnt(0)
	v_mul_f64 v[4:5], s[34:35], v[4:5]
	s_branch .LBB195_361
.LBB195_360:
	v_mov_b32_e32 v4, 0
	v_mov_b32_e32 v5, 0
.LBB195_361:
	s_waitcnt vmcnt(0)
	s_delay_alu instid0(VALU_DEP_1)
	v_add_f64 v[0:1], v[0:1], v[4:5]
	v_add_co_u32 v2, vcc_lo, v68, v2
	v_add_co_ci_u32_e32 v3, vcc_lo, v69, v3, vcc_lo
	global_store_b64 v[2:3], v[0:1], off
	s_or_b32 exec_lo, exec_lo, s0
	s_and_b32 s1, s8, s25
	s_delay_alu instid0(SALU_CYCLE_1)
	s_and_saveexec_b32 s0, s1
	s_cbranch_execz .LBB195_258
.LBB195_362:
	scratch_load_b64 v[0:1], off, off offset:448
	v_cmp_ne_u32_e32 vcc_lo, 1, v70
	v_lshlrev_b64 v[2:3], 3, v[48:49]
	s_cbranch_vccnz .LBB195_364
; %bb.363:
	s_delay_alu instid0(VALU_DEP_1) | instskip(NEXT) | instid1(VALU_DEP_2)
	v_add_co_u32 v4, vcc_lo, v71, v2
	v_add_co_ci_u32_e32 v5, vcc_lo, v72, v3, vcc_lo
	flat_load_b64 v[4:5], v[4:5]
	s_waitcnt vmcnt(0) lgkmcnt(0)
	v_mul_f64 v[4:5], s[34:35], v[4:5]
	s_branch .LBB195_365
.LBB195_364:
	v_mov_b32_e32 v4, 0
	v_mov_b32_e32 v5, 0
.LBB195_365:
	s_waitcnt vmcnt(0)
	s_delay_alu instid0(VALU_DEP_1)
	v_add_f64 v[0:1], v[0:1], v[4:5]
	v_add_co_u32 v2, vcc_lo, v68, v2
	v_add_co_ci_u32_e32 v3, vcc_lo, v69, v3, vcc_lo
	global_store_b64 v[2:3], v[0:1], off
	s_or_b32 exec_lo, exec_lo, s0
	s_and_b32 s1, s8, s26
	s_delay_alu instid0(SALU_CYCLE_1)
	s_and_saveexec_b32 s0, s1
	s_cbranch_execz .LBB195_259
.LBB195_366:
	scratch_load_b64 v[0:1], off, off offset:456
	v_cmp_ne_u32_e32 vcc_lo, 1, v70
	v_lshlrev_b64 v[2:3], 3, v[50:51]
	s_cbranch_vccnz .LBB195_368
; %bb.367:
	s_delay_alu instid0(VALU_DEP_1) | instskip(NEXT) | instid1(VALU_DEP_2)
	v_add_co_u32 v4, vcc_lo, v71, v2
	v_add_co_ci_u32_e32 v5, vcc_lo, v72, v3, vcc_lo
	flat_load_b64 v[4:5], v[4:5]
	s_waitcnt vmcnt(0) lgkmcnt(0)
	v_mul_f64 v[4:5], s[34:35], v[4:5]
	s_branch .LBB195_369
.LBB195_368:
	v_mov_b32_e32 v4, 0
	v_mov_b32_e32 v5, 0
.LBB195_369:
	s_waitcnt vmcnt(0)
	s_delay_alu instid0(VALU_DEP_1)
	v_add_f64 v[0:1], v[0:1], v[4:5]
	v_add_co_u32 v2, vcc_lo, v68, v2
	v_add_co_ci_u32_e32 v3, vcc_lo, v69, v3, vcc_lo
	global_store_b64 v[2:3], v[0:1], off
	s_or_b32 exec_lo, exec_lo, s0
	s_and_b32 s1, s8, s27
	s_delay_alu instid0(SALU_CYCLE_1)
	s_and_saveexec_b32 s0, s1
	s_cbranch_execz .LBB195_260
.LBB195_370:
	scratch_load_b64 v[0:1], off, off offset:464
	v_cmp_ne_u32_e32 vcc_lo, 1, v70
	v_lshlrev_b64 v[2:3], 3, v[52:53]
	s_cbranch_vccnz .LBB195_372
; %bb.371:
	s_delay_alu instid0(VALU_DEP_1) | instskip(NEXT) | instid1(VALU_DEP_2)
	v_add_co_u32 v4, vcc_lo, v71, v2
	v_add_co_ci_u32_e32 v5, vcc_lo, v72, v3, vcc_lo
	flat_load_b64 v[4:5], v[4:5]
	s_waitcnt vmcnt(0) lgkmcnt(0)
	v_mul_f64 v[4:5], s[34:35], v[4:5]
	s_branch .LBB195_373
.LBB195_372:
	v_mov_b32_e32 v4, 0
	v_mov_b32_e32 v5, 0
.LBB195_373:
	s_waitcnt vmcnt(0)
	s_delay_alu instid0(VALU_DEP_1)
	v_add_f64 v[0:1], v[0:1], v[4:5]
	v_add_co_u32 v2, vcc_lo, v68, v2
	v_add_co_ci_u32_e32 v3, vcc_lo, v69, v3, vcc_lo
	global_store_b64 v[2:3], v[0:1], off
	s_or_b32 exec_lo, exec_lo, s0
	s_and_b32 s1, s8, s28
	s_delay_alu instid0(SALU_CYCLE_1)
	s_and_saveexec_b32 s0, s1
	s_cbranch_execz .LBB195_261
.LBB195_374:
	scratch_load_b64 v[0:1], off, off offset:472
	v_cmp_ne_u32_e32 vcc_lo, 1, v70
	v_lshlrev_b64 v[2:3], 3, v[54:55]
	s_cbranch_vccnz .LBB195_376
; %bb.375:
	s_delay_alu instid0(VALU_DEP_1) | instskip(NEXT) | instid1(VALU_DEP_2)
	v_add_co_u32 v4, vcc_lo, v71, v2
	v_add_co_ci_u32_e32 v5, vcc_lo, v72, v3, vcc_lo
	flat_load_b64 v[4:5], v[4:5]
	s_waitcnt vmcnt(0) lgkmcnt(0)
	v_mul_f64 v[4:5], s[34:35], v[4:5]
	s_branch .LBB195_377
.LBB195_376:
	v_mov_b32_e32 v4, 0
	v_mov_b32_e32 v5, 0
.LBB195_377:
	s_waitcnt vmcnt(0)
	s_delay_alu instid0(VALU_DEP_1)
	v_add_f64 v[0:1], v[0:1], v[4:5]
	v_add_co_u32 v2, vcc_lo, v68, v2
	v_add_co_ci_u32_e32 v3, vcc_lo, v69, v3, vcc_lo
	global_store_b64 v[2:3], v[0:1], off
	s_or_b32 exec_lo, exec_lo, s0
	s_and_b32 s1, s8, s29
	s_delay_alu instid0(SALU_CYCLE_1)
	s_and_saveexec_b32 s0, s1
	s_cbranch_execz .LBB195_262
.LBB195_378:
	scratch_load_b64 v[0:1], off, off offset:480
	v_cmp_ne_u32_e32 vcc_lo, 1, v70
	v_lshlrev_b64 v[2:3], 3, v[56:57]
	s_cbranch_vccnz .LBB195_380
; %bb.379:
	s_delay_alu instid0(VALU_DEP_1) | instskip(NEXT) | instid1(VALU_DEP_2)
	v_add_co_u32 v4, vcc_lo, v71, v2
	v_add_co_ci_u32_e32 v5, vcc_lo, v72, v3, vcc_lo
	flat_load_b64 v[4:5], v[4:5]
	s_waitcnt vmcnt(0) lgkmcnt(0)
	v_mul_f64 v[4:5], s[34:35], v[4:5]
	s_branch .LBB195_381
.LBB195_380:
	v_mov_b32_e32 v4, 0
	v_mov_b32_e32 v5, 0
.LBB195_381:
	s_waitcnt vmcnt(0)
	s_delay_alu instid0(VALU_DEP_1)
	v_add_f64 v[0:1], v[0:1], v[4:5]
	v_add_co_u32 v2, vcc_lo, v68, v2
	v_add_co_ci_u32_e32 v3, vcc_lo, v69, v3, vcc_lo
	global_store_b64 v[2:3], v[0:1], off
	s_or_b32 exec_lo, exec_lo, s0
	s_and_b32 s1, s8, s30
	s_delay_alu instid0(SALU_CYCLE_1)
	s_and_saveexec_b32 s0, s1
	s_cbranch_execz .LBB195_263
.LBB195_382:
	scratch_load_b64 v[0:1], off, off offset:488
	v_cmp_ne_u32_e32 vcc_lo, 1, v70
	v_lshlrev_b64 v[2:3], 3, v[58:59]
	s_cbranch_vccnz .LBB195_384
; %bb.383:
	s_delay_alu instid0(VALU_DEP_1) | instskip(NEXT) | instid1(VALU_DEP_2)
	v_add_co_u32 v4, vcc_lo, v71, v2
	v_add_co_ci_u32_e32 v5, vcc_lo, v72, v3, vcc_lo
	flat_load_b64 v[4:5], v[4:5]
	s_waitcnt vmcnt(0) lgkmcnt(0)
	v_mul_f64 v[4:5], s[34:35], v[4:5]
	s_branch .LBB195_385
.LBB195_384:
	v_mov_b32_e32 v4, 0
	v_mov_b32_e32 v5, 0
.LBB195_385:
	s_waitcnt vmcnt(0)
	s_delay_alu instid0(VALU_DEP_1)
	v_add_f64 v[0:1], v[0:1], v[4:5]
	v_add_co_u32 v2, vcc_lo, v68, v2
	v_add_co_ci_u32_e32 v3, vcc_lo, v69, v3, vcc_lo
	global_store_b64 v[2:3], v[0:1], off
	s_or_b32 exec_lo, exec_lo, s0
	s_and_b32 s1, s8, s31
	s_delay_alu instid0(SALU_CYCLE_1)
	s_and_saveexec_b32 s0, s1
	s_cbranch_execz .LBB195_264
.LBB195_386:
	scratch_load_b64 v[0:1], off, off offset:496
	v_cmp_ne_u32_e32 vcc_lo, 1, v70
	v_lshlrev_b64 v[2:3], 3, v[60:61]
	s_cbranch_vccnz .LBB195_388
; %bb.387:
	s_delay_alu instid0(VALU_DEP_1) | instskip(NEXT) | instid1(VALU_DEP_2)
	v_add_co_u32 v4, vcc_lo, v71, v2
	v_add_co_ci_u32_e32 v5, vcc_lo, v72, v3, vcc_lo
	flat_load_b64 v[4:5], v[4:5]
	s_waitcnt vmcnt(0) lgkmcnt(0)
	v_mul_f64 v[4:5], s[34:35], v[4:5]
	s_branch .LBB195_389
.LBB195_388:
	v_mov_b32_e32 v4, 0
	v_mov_b32_e32 v5, 0
.LBB195_389:
	s_waitcnt vmcnt(0)
	s_delay_alu instid0(VALU_DEP_1)
	v_add_f64 v[0:1], v[0:1], v[4:5]
	v_add_co_u32 v2, vcc_lo, v68, v2
	v_add_co_ci_u32_e32 v3, vcc_lo, v69, v3, vcc_lo
	global_store_b64 v[2:3], v[0:1], off
	s_or_b32 exec_lo, exec_lo, s0
	s_and_b32 s0, s8, s33
	s_delay_alu instid0(SALU_CYCLE_1)
	s_and_saveexec_b32 s1, s0
	s_cbranch_execz .LBB195_265
.LBB195_390:
	scratch_load_b64 v[0:1], off, off offset:504
	v_cmp_ne_u32_e32 vcc_lo, 1, v70
	v_lshlrev_b64 v[2:3], 3, v[62:63]
	s_cbranch_vccnz .LBB195_392
; %bb.391:
	s_delay_alu instid0(VALU_DEP_1) | instskip(NEXT) | instid1(VALU_DEP_2)
	v_add_co_u32 v4, vcc_lo, v71, v2
	v_add_co_ci_u32_e32 v5, vcc_lo, v72, v3, vcc_lo
	flat_load_b64 v[4:5], v[4:5]
	s_waitcnt vmcnt(0) lgkmcnt(0)
	v_mul_f64 v[4:5], s[34:35], v[4:5]
	s_branch .LBB195_393
.LBB195_392:
	v_mov_b32_e32 v4, 0
	v_mov_b32_e32 v5, 0
.LBB195_393:
	s_waitcnt vmcnt(0)
	s_delay_alu instid0(VALU_DEP_1)
	v_add_f64 v[0:1], v[0:1], v[4:5]
	v_add_co_u32 v2, vcc_lo, v68, v2
	v_add_co_ci_u32_e32 v3, vcc_lo, v69, v3, vcc_lo
	global_store_b64 v[2:3], v[0:1], off
	s_endpgm
	.section	.rodata,"a",@progbits
	.p2align	6, 0x0
	.amdhsa_kernel _ZN12_GLOBAL__N_120geam_min_plus_kernelIdddLi4ELi64ELi128ELi128ELi4ELi64ELi4ELi64ELi4ELc78ELc84ELb0ELb1ELb0EPKdS1_dEEviiiT16_PT17_ilS5_ilS3_S5_ilPT18_ili26rocblas_geam_ex_operation_
		.amdhsa_group_segment_fixed_size 16384
		.amdhsa_private_segment_fixed_size 528
		.amdhsa_kernarg_size 136
		.amdhsa_user_sgpr_count 14
		.amdhsa_user_sgpr_dispatch_ptr 0
		.amdhsa_user_sgpr_queue_ptr 0
		.amdhsa_user_sgpr_kernarg_segment_ptr 1
		.amdhsa_user_sgpr_dispatch_id 0
		.amdhsa_user_sgpr_private_segment_size 0
		.amdhsa_wavefront_size32 1
		.amdhsa_uses_dynamic_stack 0
		.amdhsa_enable_private_segment 1
		.amdhsa_system_sgpr_workgroup_id_x 1
		.amdhsa_system_sgpr_workgroup_id_y 0
		.amdhsa_system_sgpr_workgroup_id_z 1
		.amdhsa_system_sgpr_workgroup_info 0
		.amdhsa_system_vgpr_workitem_id 1
		.amdhsa_next_free_vgpr 251
		.amdhsa_next_free_sgpr 46
		.amdhsa_reserve_vcc 1
		.amdhsa_float_round_mode_32 0
		.amdhsa_float_round_mode_16_64 0
		.amdhsa_float_denorm_mode_32 3
		.amdhsa_float_denorm_mode_16_64 3
		.amdhsa_dx10_clamp 1
		.amdhsa_ieee_mode 1
		.amdhsa_fp16_overflow 0
		.amdhsa_workgroup_processor_mode 1
		.amdhsa_memory_ordered 1
		.amdhsa_forward_progress 0
		.amdhsa_shared_vgpr_count 0
		.amdhsa_exception_fp_ieee_invalid_op 0
		.amdhsa_exception_fp_denorm_src 0
		.amdhsa_exception_fp_ieee_div_zero 0
		.amdhsa_exception_fp_ieee_overflow 0
		.amdhsa_exception_fp_ieee_underflow 0
		.amdhsa_exception_fp_ieee_inexact 0
		.amdhsa_exception_int_div_zero 0
	.end_amdhsa_kernel
	.section	.text._ZN12_GLOBAL__N_120geam_min_plus_kernelIdddLi4ELi64ELi128ELi128ELi4ELi64ELi4ELi64ELi4ELc78ELc84ELb0ELb1ELb0EPKdS1_dEEviiiT16_PT17_ilS5_ilS3_S5_ilPT18_ili26rocblas_geam_ex_operation_,"axG",@progbits,_ZN12_GLOBAL__N_120geam_min_plus_kernelIdddLi4ELi64ELi128ELi128ELi4ELi64ELi4ELi64ELi4ELc78ELc84ELb0ELb1ELb0EPKdS1_dEEviiiT16_PT17_ilS5_ilS3_S5_ilPT18_ili26rocblas_geam_ex_operation_,comdat
.Lfunc_end195:
	.size	_ZN12_GLOBAL__N_120geam_min_plus_kernelIdddLi4ELi64ELi128ELi128ELi4ELi64ELi4ELi64ELi4ELc78ELc84ELb0ELb1ELb0EPKdS1_dEEviiiT16_PT17_ilS5_ilS3_S5_ilPT18_ili26rocblas_geam_ex_operation_, .Lfunc_end195-_ZN12_GLOBAL__N_120geam_min_plus_kernelIdddLi4ELi64ELi128ELi128ELi4ELi64ELi4ELi64ELi4ELc78ELc84ELb0ELb1ELb0EPKdS1_dEEviiiT16_PT17_ilS5_ilS3_S5_ilPT18_ili26rocblas_geam_ex_operation_
                                        ; -- End function
	.section	.AMDGPU.csdata,"",@progbits
; Kernel info:
; codeLenInByte = 47292
; NumSgprs: 48
; NumVgprs: 251
; ScratchSize: 528
; MemoryBound: 1
; FloatMode: 240
; IeeeMode: 1
; LDSByteSize: 16384 bytes/workgroup (compile time only)
; SGPRBlocks: 5
; VGPRBlocks: 31
; NumSGPRsForWavesPerEU: 48
; NumVGPRsForWavesPerEU: 251
; Occupancy: 5
; WaveLimiterHint : 1
; COMPUTE_PGM_RSRC2:SCRATCH_EN: 1
; COMPUTE_PGM_RSRC2:USER_SGPR: 14
; COMPUTE_PGM_RSRC2:TRAP_HANDLER: 0
; COMPUTE_PGM_RSRC2:TGID_X_EN: 1
; COMPUTE_PGM_RSRC2:TGID_Y_EN: 0
; COMPUTE_PGM_RSRC2:TGID_Z_EN: 1
; COMPUTE_PGM_RSRC2:TIDIG_COMP_CNT: 1
	.section	.text._ZN12_GLOBAL__N_120geam_min_plus_kernelIdddLi4ELi64ELi128ELi128ELi4ELi64ELi4ELi64ELi4ELc78ELc84ELb1ELb1ELb0EdKddEEviiiT16_PT17_ilS4_ilS2_S4_ilPT18_ili26rocblas_geam_ex_operation_,"axG",@progbits,_ZN12_GLOBAL__N_120geam_min_plus_kernelIdddLi4ELi64ELi128ELi128ELi4ELi64ELi4ELi64ELi4ELc78ELc84ELb1ELb1ELb0EdKddEEviiiT16_PT17_ilS4_ilS2_S4_ilPT18_ili26rocblas_geam_ex_operation_,comdat
	.globl	_ZN12_GLOBAL__N_120geam_min_plus_kernelIdddLi4ELi64ELi128ELi128ELi4ELi64ELi4ELi64ELi4ELc78ELc84ELb1ELb1ELb0EdKddEEviiiT16_PT17_ilS4_ilS2_S4_ilPT18_ili26rocblas_geam_ex_operation_ ; -- Begin function _ZN12_GLOBAL__N_120geam_min_plus_kernelIdddLi4ELi64ELi128ELi128ELi4ELi64ELi4ELi64ELi4ELc78ELc84ELb1ELb1ELb0EdKddEEviiiT16_PT17_ilS4_ilS2_S4_ilPT18_ili26rocblas_geam_ex_operation_
	.p2align	8
	.type	_ZN12_GLOBAL__N_120geam_min_plus_kernelIdddLi4ELi64ELi128ELi128ELi4ELi64ELi4ELi64ELi4ELc78ELc84ELb1ELb1ELb0EdKddEEviiiT16_PT17_ilS4_ilS2_S4_ilPT18_ili26rocblas_geam_ex_operation_,@function
_ZN12_GLOBAL__N_120geam_min_plus_kernelIdddLi4ELi64ELi128ELi128ELi4ELi64ELi4ELi64ELi4ELc78ELc84ELb1ELb1ELb0EdKddEEviiiT16_PT17_ilS4_ilS2_S4_ilPT18_ili26rocblas_geam_ex_operation_: ; @_ZN12_GLOBAL__N_120geam_min_plus_kernelIdddLi4ELi64ELi128ELi128ELi4ELi64ELi4ELi64ELi4ELc78ELc84ELb1ELb1ELb0EdKddEEviiiT16_PT17_ilS4_ilS2_S4_ilPT18_ili26rocblas_geam_ex_operation_
; %bb.0:
	s_clause 0x1
	s_load_b128 s[8:11], s[0:1], 0x10
	s_load_b128 s[4:7], s[0:1], 0x28
	s_mov_b64 s[12:13], 0
	s_waitcnt lgkmcnt(0)
	v_cmp_eq_f64_e64 s8, s[8:9], 0
	s_delay_alu instid0(VALU_DEP_1)
	s_and_b32 vcc_lo, exec_lo, s8
	s_cbranch_vccnz .LBB196_2
; %bb.1:
	s_mul_i32 s2, s15, s5
	s_mul_hi_u32 s3, s15, s4
	s_delay_alu instid0(SALU_CYCLE_1) | instskip(SKIP_1) | instid1(SALU_CYCLE_1)
	s_add_i32 s3, s3, s2
	s_mul_i32 s2, s15, s4
	s_lshl_b64 s[2:3], s[2:3], 3
	s_delay_alu instid0(SALU_CYCLE_1)
	s_add_u32 s12, s10, s2
	s_addc_u32 s13, s11, s3
.LBB196_2:
	s_clause 0x1
	s_load_b128 s[36:39], s[0:1], 0x40
	s_load_b64 s[2:3], s[0:1], 0x50
	s_and_not1_b32 vcc_lo, exec_lo, s8
	s_cbranch_vccnz .LBB196_4
; %bb.3:
	s_mov_b32 s18, 0
	s_mov_b64 s[16:17], 0
	s_cbranch_execz .LBB196_5
	s_branch .LBB196_6
.LBB196_4:
	s_mov_b32 s18, -1
                                        ; implicit-def: $sgpr16_sgpr17
.LBB196_5:
	s_waitcnt lgkmcnt(0)
	s_mul_i32 s4, s15, s37
	s_mul_hi_u32 s5, s15, s36
	s_mov_b32 s18, 0
	s_add_i32 s5, s5, s4
	s_mul_i32 s4, s15, s36
	s_delay_alu instid0(SALU_CYCLE_1) | instskip(NEXT) | instid1(SALU_CYCLE_1)
	s_lshl_b64 s[4:5], s[4:5], 3
	s_add_u32 s16, s6, s4
	s_addc_u32 s17, s7, s5
.LBB196_6:
	s_waitcnt lgkmcnt(0)
	v_cmp_eq_f64_e64 s4, s[38:39], 0
	v_cmp_neq_f64_e64 s36, s[38:39], 0
	s_load_b128 s[8:11], s[0:1], 0x60
	s_mov_b64 s[34:35], 0
	s_delay_alu instid0(VALU_DEP_2)
	s_and_b32 vcc_lo, exec_lo, s4
	s_cbranch_vccnz .LBB196_8
; %bb.7:
	s_waitcnt lgkmcnt(0)
	s_mul_i32 s4, s15, s9
	s_mul_hi_u32 s5, s15, s8
	s_mul_i32 s6, s18, s8
	s_add_i32 s4, s5, s4
	s_delay_alu instid0(SALU_CYCLE_1) | instskip(SKIP_1) | instid1(SALU_CYCLE_1)
	s_add_i32 s5, s4, s6
	s_mul_i32 s4, s15, s8
	s_lshl_b64 s[4:5], s[4:5], 3
	s_delay_alu instid0(SALU_CYCLE_1)
	s_add_u32 s34, s2, s4
	s_addc_u32 s35, s3, s5
.LBB196_8:
	s_clause 0x1
	s_load_b128 s[40:43], s[0:1], 0x0
	s_load_b32 s19, s[0:1], 0x20
	s_mov_b32 s2, 0
	v_bfe_u32 v81, v0, 10, 10
	s_mov_b32 s3, s2
	s_delay_alu instid0(SALU_CYCLE_1) | instskip(SKIP_1) | instid1(VALU_DEP_2)
	v_dual_mov_b32 v7, s3 :: v_dual_and_b32 v80, 0x3ff, v0
	v_mov_b32_e32 v6, s2
	v_lshl_add_u32 v0, v81, 2, v80
	s_delay_alu instid0(VALU_DEP_1) | instskip(SKIP_3) | instid1(VALU_DEP_2)
	v_lshrrev_b32_e32 v82, 6, v0
	v_and_b32_e32 v88, 63, v0
	s_waitcnt lgkmcnt(0)
	s_add_i32 s2, s40, -1
	v_cmp_le_i32_e32 vcc_lo, s42, v82
	s_ashr_i32 s3, s2, 31
	s_delay_alu instid0(SALU_CYCLE_1) | instskip(NEXT) | instid1(SALU_CYCLE_1)
	s_lshr_b32 s3, s3, 25
	s_add_i32 s2, s2, s3
	s_delay_alu instid0(SALU_CYCLE_1) | instskip(NEXT) | instid1(SALU_CYCLE_1)
	s_ashr_i32 s2, s2, 7
	s_add_i32 s3, s2, 1
	s_not_b32 s2, s2
	v_cvt_f32_u32_e32 v1, s3
	s_delay_alu instid0(VALU_DEP_1)
	v_rcp_iflag_f32_e32 v1, v1
	s_waitcnt_depctr 0xfff
	v_mul_f32_e32 v1, 0x4f7ffffe, v1
	s_clause 0xf
	scratch_store_b64 off, v[6:7], off
	scratch_store_b64 off, v[6:7], off offset:8
	scratch_store_b64 off, v[6:7], off offset:16
	;; [unrolled: 1-line block ×15, first 2 shown]
	v_cvt_u32_f32_e32 v1, v1
	s_clause 0xe
	scratch_store_b64 off, v[6:7], off offset:128
	scratch_store_b64 off, v[6:7], off offset:136
	;; [unrolled: 1-line block ×15, first 2 shown]
	v_readfirstlane_b32 s4, v1
	v_mad_i64_i32 v[0:1], null, s19, v82, 0
	s_clause 0x7
	scratch_store_b64 off, v[6:7], off offset:248
	scratch_store_b64 off, v[6:7], off offset:256
	;; [unrolled: 1-line block ×8, first 2 shown]
	s_mul_i32 s2, s2, s4
	s_clause 0x1
	scratch_store_b64 off, v[6:7], off offset:312
	scratch_store_b64 off, v[6:7], off offset:320
	s_mul_hi_u32 s2, s4, s2
	s_clause 0x3
	scratch_store_b64 off, v[6:7], off offset:328
	scratch_store_b64 off, v[6:7], off offset:336
	;; [unrolled: 1-line block ×4, first 2 shown]
	s_add_i32 s4, s4, s2
	v_lshlrev_b64 v[2:3], 3, v[0:1]
	s_mul_hi_u32 s2, s14, s4
	v_mov_b32_e32 v0, 0
	s_mul_i32 s4, s2, s3
	s_add_i32 s5, s2, 1
	s_sub_i32 s4, s14, s4
	v_mov_b32_e32 v1, 0
	s_sub_i32 s6, s4, s3
	s_cmp_ge_u32 s4, s3
	s_clause 0x3
	scratch_store_b64 off, v[6:7], off offset:360
	scratch_store_b64 off, v[6:7], off offset:368
	;; [unrolled: 1-line block ×4, first 2 shown]
	s_cselect_b32 s2, s5, s2
	s_cselect_b32 s4, s6, s4
	s_add_i32 s5, s2, 1
	s_cmp_ge_u32 s4, s3
	scratch_store_b64 off, v[6:7], off offset:392
	s_cselect_b32 s5, s5, s2
	s_clause 0x4
	scratch_store_b64 off, v[6:7], off offset:400
	scratch_store_b64 off, v[6:7], off offset:408
	;; [unrolled: 1-line block ×5, first 2 shown]
	s_mul_i32 s2, s5, s3
	v_add_co_u32 v4, s3, s12, v2
	s_sub_i32 s2, s14, s2
	v_add_co_ci_u32_e64 v5, s3, s13, v3, s3
	s_lshl_b32 s8, s2, 7
	v_dual_mov_b32 v3, v1 :: v_dual_mov_b32 v2, v0
	v_or_b32_e32 v68, s8, v88
	s_clause 0x8
	scratch_store_b64 off, v[6:7], off offset:440
	scratch_store_b64 off, v[6:7], off offset:448
	;; [unrolled: 1-line block ×9, first 2 shown]
	v_cmp_le_i32_e64 s2, s40, v68
	v_ashrrev_i32_e32 v69, 31, v68
	s_delay_alu instid0(VALU_DEP_2) | instskip(NEXT) | instid1(SALU_CYCLE_1)
	s_or_b32 s3, s2, vcc_lo
	s_xor_b32 s3, s3, -1
	s_delay_alu instid0(SALU_CYCLE_1)
	s_and_saveexec_b32 s4, s3
	s_cbranch_execz .LBB196_10
; %bb.9:
	v_lshlrev_b64 v[2:3], 3, v[68:69]
	s_delay_alu instid0(VALU_DEP_1) | instskip(NEXT) | instid1(VALU_DEP_1)
	v_add_co_u32 v2, s3, v4, v2
	v_add_co_ci_u32_e64 v3, s3, v5, v3, s3
	flat_load_b64 v[2:3], v[2:3]
.LBB196_10:
	s_or_b32 exec_lo, exec_lo, s4
	v_or_b32_e32 v6, 64, v68
	s_ashr_i32 s14, s19, 31
	s_delay_alu instid0(VALU_DEP_1) | instskip(NEXT) | instid1(VALU_DEP_1)
	v_cmp_le_i32_e64 s3, s40, v6
	s_or_b32 s4, s3, vcc_lo
	s_delay_alu instid0(SALU_CYCLE_1) | instskip(NEXT) | instid1(SALU_CYCLE_1)
	s_xor_b32 s4, s4, -1
	s_and_saveexec_b32 s6, s4
	s_cbranch_execz .LBB196_12
; %bb.11:
	v_lshlrev_b64 v[0:1], 3, v[68:69]
	s_delay_alu instid0(VALU_DEP_1) | instskip(NEXT) | instid1(VALU_DEP_1)
	v_add_co_u32 v0, s4, v4, v0
	v_add_co_ci_u32_e64 v1, s4, v5, v1, s4
	flat_load_b64 v[0:1], v[0:1] offset:512
.LBB196_12:
	s_or_b32 exec_lo, exec_lo, s6
	s_load_b32 s20, s[0:1], 0x38
	s_lshl_b32 s9, s5, 7
	s_delay_alu instid0(SALU_CYCLE_1) | instskip(NEXT) | instid1(VALU_DEP_1)
	v_or_b32_e32 v70, s9, v88
	v_cmp_le_i32_e64 s4, s41, v70
	v_ashrrev_i32_e32 v71, 31, v70
	s_waitcnt lgkmcnt(0)
	v_mad_i64_i32 v[4:5], null, s20, v82, 0
	s_delay_alu instid0(VALU_DEP_1) | instskip(SKIP_2) | instid1(VALU_DEP_3)
	v_lshlrev_b64 v[6:7], 3, v[4:5]
	v_mov_b32_e32 v4, 0
	v_mov_b32_e32 v5, 0
	v_add_co_u32 v8, s5, s16, v6
	s_delay_alu instid0(VALU_DEP_1) | instskip(NEXT) | instid1(VALU_DEP_3)
	v_add_co_ci_u32_e64 v9, s5, s17, v7, s5
	v_dual_mov_b32 v7, v5 :: v_dual_mov_b32 v6, v4
	s_or_b32 s5, s4, vcc_lo
	s_delay_alu instid0(SALU_CYCLE_1) | instskip(NEXT) | instid1(SALU_CYCLE_1)
	s_xor_b32 s5, s5, -1
	s_and_saveexec_b32 s6, s5
	s_cbranch_execz .LBB196_14
; %bb.13:
	v_lshlrev_b64 v[6:7], 3, v[70:71]
	s_delay_alu instid0(VALU_DEP_1) | instskip(NEXT) | instid1(VALU_DEP_1)
	v_add_co_u32 v6, s5, v8, v6
	v_add_co_ci_u32_e64 v7, s5, v9, v7, s5
	flat_load_b64 v[6:7], v[6:7]
.LBB196_14:
	s_or_b32 exec_lo, exec_lo, s6
	v_or_b32_e32 v10, 64, v70
	s_ashr_i32 s21, s20, 31
	s_delay_alu instid0(VALU_DEP_1) | instskip(NEXT) | instid1(VALU_DEP_1)
	v_cmp_le_i32_e64 s5, s41, v10
	s_or_b32 s6, s5, vcc_lo
	s_delay_alu instid0(SALU_CYCLE_1) | instskip(NEXT) | instid1(SALU_CYCLE_1)
	s_xor_b32 s7, s6, -1
	s_and_saveexec_b32 s6, s7
	s_cbranch_execz .LBB196_16
; %bb.15:
	v_lshlrev_b64 v[4:5], 3, v[70:71]
	s_delay_alu instid0(VALU_DEP_1) | instskip(NEXT) | instid1(VALU_DEP_2)
	v_add_co_u32 v4, vcc_lo, v8, v4
	v_add_co_ci_u32_e32 v5, vcc_lo, v9, v5, vcc_lo
	flat_load_b64 v[4:5], v[4:5] offset:512
.LBB196_16:
	s_or_b32 exec_lo, exec_lo, s6
	v_add_nc_u32_e32 v8, 4, v82
	v_mov_b32_e32 v72, 0
	v_mov_b32_e32 v73, 0
	s_delay_alu instid0(VALU_DEP_3) | instskip(SKIP_1) | instid1(VALU_DEP_3)
	v_mad_i64_i32 v[9:10], null, s19, v8, 0
	v_cmp_le_i32_e32 vcc_lo, s42, v8
	v_dual_mov_b32 v75, v73 :: v_dual_mov_b32 v74, v72
	s_delay_alu instid0(VALU_DEP_3) | instskip(NEXT) | instid1(VALU_DEP_1)
	v_lshlrev_b64 v[9:10], 3, v[9:10]
	v_add_co_u32 v9, s6, s12, v9
	s_delay_alu instid0(VALU_DEP_1) | instskip(SKIP_1) | instid1(SALU_CYCLE_1)
	v_add_co_ci_u32_e64 v10, s6, s13, v10, s6
	s_or_b32 s6, s2, vcc_lo
	s_xor_b32 s6, s6, -1
	s_delay_alu instid0(SALU_CYCLE_1)
	s_and_saveexec_b32 s7, s6
	s_cbranch_execz .LBB196_18
; %bb.17:
	v_lshlrev_b64 v[11:12], 3, v[68:69]
	s_delay_alu instid0(VALU_DEP_1) | instskip(NEXT) | instid1(VALU_DEP_1)
	v_add_co_u32 v11, s6, v9, v11
	v_add_co_ci_u32_e64 v12, s6, v10, v12, s6
	flat_load_b64 v[74:75], v[11:12]
.LBB196_18:
	s_or_b32 exec_lo, exec_lo, s7
	s_or_b32 s6, s3, vcc_lo
	s_delay_alu instid0(SALU_CYCLE_1) | instskip(NEXT) | instid1(SALU_CYCLE_1)
	s_xor_b32 s6, s6, -1
	s_and_saveexec_b32 s7, s6
	s_cbranch_execz .LBB196_20
; %bb.19:
	v_lshlrev_b64 v[11:12], 3, v[68:69]
	s_delay_alu instid0(VALU_DEP_1) | instskip(NEXT) | instid1(VALU_DEP_1)
	v_add_co_u32 v9, s6, v9, v11
	v_add_co_ci_u32_e64 v10, s6, v10, v12, s6
	flat_load_b64 v[72:73], v[9:10] offset:512
.LBB196_20:
	s_or_b32 exec_lo, exec_lo, s7
	v_mad_i64_i32 v[9:10], null, s20, v8, 0
	v_mov_b32_e32 v76, 0
	v_mov_b32_e32 v77, 0
	s_delay_alu instid0(VALU_DEP_1) | instskip(NEXT) | instid1(VALU_DEP_4)
	v_dual_mov_b32 v79, v77 :: v_dual_mov_b32 v78, v76
	v_lshlrev_b64 v[8:9], 3, v[9:10]
	s_delay_alu instid0(VALU_DEP_1) | instskip(NEXT) | instid1(VALU_DEP_1)
	v_add_co_u32 v8, s6, s16, v8
	v_add_co_ci_u32_e64 v9, s6, s17, v9, s6
	s_or_b32 s6, s4, vcc_lo
	s_delay_alu instid0(SALU_CYCLE_1) | instskip(NEXT) | instid1(SALU_CYCLE_1)
	s_xor_b32 s6, s6, -1
	s_and_saveexec_b32 s7, s6
	s_cbranch_execz .LBB196_22
; %bb.21:
	v_lshlrev_b64 v[10:11], 3, v[70:71]
	s_delay_alu instid0(VALU_DEP_1) | instskip(NEXT) | instid1(VALU_DEP_1)
	v_add_co_u32 v10, s6, v8, v10
	v_add_co_ci_u32_e64 v11, s6, v9, v11, s6
	flat_load_b64 v[78:79], v[10:11]
.LBB196_22:
	s_or_b32 exec_lo, exec_lo, s7
	s_or_b32 s6, s5, vcc_lo
	s_delay_alu instid0(SALU_CYCLE_1) | instskip(NEXT) | instid1(SALU_CYCLE_1)
	s_xor_b32 s7, s6, -1
	s_and_saveexec_b32 s6, s7
	s_cbranch_execz .LBB196_24
; %bb.23:
	v_lshlrev_b64 v[10:11], 3, v[70:71]
	s_delay_alu instid0(VALU_DEP_1) | instskip(NEXT) | instid1(VALU_DEP_2)
	v_add_co_u32 v8, vcc_lo, v8, v10
	v_add_co_ci_u32_e32 v9, vcc_lo, v9, v11, vcc_lo
	flat_load_b64 v[76:77], v[8:9] offset:512
.LBB196_24:
	s_or_b32 exec_lo, exec_lo, s6
	v_dual_mov_b32 v89, 0 :: v_dual_lshlrev_b32 v8, 3, v82
	v_dual_mov_b32 v90, 8 :: v_dual_lshlrev_b32 v83, 5, v80
	;; [unrolled: 1-line block ×3, first 2 shown]
	s_delay_alu instid0(VALU_DEP_3) | instskip(NEXT) | instid1(VALU_DEP_3)
	v_lshl_add_u32 v84, v88, 5, v8
	v_dual_mov_b32 v91, 16 :: v_dual_add_nc_u32 v48, 0x800, v83
	s_delay_alu instid0(VALU_DEP_3)
	v_dual_mov_b32 v94, 40 :: v_dual_add_nc_u32 v87, 0x2000, v85
	s_waitcnt vmcnt(0)
	ds_store_2addr_stride64_b64 v84, v[2:3], v[0:1] offset1:4
	s_waitcnt lgkmcnt(1)
	ds_store_2addr_stride64_b64 v84, v[6:7], v[4:5] offset0:16 offset1:20
	s_waitcnt lgkmcnt(0)
	s_waitcnt_vscnt null, 0x0
	s_barrier
	buffer_gl0_inv
	ds_load_2addr_b64 v[0:3], v83 offset1:16
	ds_load_2addr_b64 v[4:7], v83 offset0:32 offset1:48
	ds_load_2addr_b64 v[8:11], v83 offset0:64 offset1:80
	;; [unrolled: 1-line block ×4, first 2 shown]
	ds_load_2addr_b64 v[20:23], v48 offset1:16
	ds_load_2addr_b64 v[24:27], v48 offset0:32 offset1:48
	ds_load_2addr_b64 v[28:31], v48 offset0:64 offset1:80
	;; [unrolled: 1-line block ×10, first 2 shown]
	ds_load_2addr_stride64_b64 v[64:67], v85 offset0:16 offset1:20
	v_or_b32_e32 v86, 0x2000, v84
	v_dual_mov_b32 v93, 32 :: v_dual_mov_b32 v96, 56
	v_dual_mov_b32 v95, 48 :: v_dual_mov_b32 v98, 0x48
	;; [unrolled: 1-line block ×3, first 2 shown]
	v_mov_b32_e32 v99, 0x50
	v_mov_b32_e32 v101, 0x60
	;; [unrolled: 1-line block ×21, first 2 shown]
	s_mov_b64 s[6:7], 0
	s_mov_b32 s22, -1
.LBB196_25:                             ; =>This Inner Loop Header: Depth=1
	scratch_load_b64 v[121:122], v89, off
	scratch_load_b64 v[123:124], v90, off
	;; [unrolled: 1-line block ×32, first 2 shown]
	s_cmp_eq_u32 s6, 1
	s_waitcnt lgkmcnt(16)
	v_max_f64 v[187:188], v[0:1], v[0:1]
	s_cselect_b32 vcc_lo, -1, 0
	v_max_f64 v[189:190], v[2:3], v[2:3]
	s_waitcnt lgkmcnt(0)
	v_dual_cndmask_b32 v186, v65, v67 :: v_dual_cndmask_b32 v185, v64, v66
	v_max_f64 v[191:192], v[4:5], v[4:5]
	v_max_f64 v[193:194], v[6:7], v[6:7]
	;; [unrolled: 1-line block ×31, first 2 shown]
	s_mov_b64 s[6:7], 1
	s_and_b32 vcc_lo, exec_lo, s22
	s_mov_b32 s22, 0
	v_min_f64 v[187:188], v[187:188], v[185:186]
	v_min_f64 v[189:190], v[189:190], v[185:186]
	;; [unrolled: 1-line block ×32, first 2 shown]
	s_waitcnt vmcnt(31)
	v_add_f64 v[121:122], v[121:122], v[187:188]
	s_waitcnt vmcnt(30)
	v_add_f64 v[123:124], v[189:190], v[123:124]
	;; [unrolled: 2-line block ×32, first 2 shown]
	scratch_store_b64 v89, v[121:122], off
	scratch_store_b64 v90, v[123:124], off
	;; [unrolled: 1-line block ×32, first 2 shown]
	v_mov_b32_e32 v89, 0x100
	v_mov_b32_e32 v90, 0x108
	;; [unrolled: 1-line block ×32, first 2 shown]
	s_cbranch_vccnz .LBB196_25
; %bb.26:
	v_dual_mov_b32 v89, 0 :: v_dual_add_nc_u32 v60, 0x800, v83
	ds_load_2addr_b64 v[0:3], v83 offset0:1 offset1:17
	ds_load_2addr_b64 v[4:7], v83 offset0:33 offset1:49
	;; [unrolled: 1-line block ×12, first 2 shown]
	v_dual_mov_b32 v91, 16 :: v_dual_add_nc_u32 v64, 8, v87
	ds_load_2addr_b64 v[48:51], v60 offset0:129 offset1:145
	ds_load_2addr_b64 v[52:55], v60 offset0:161 offset1:177
	;; [unrolled: 1-line block ×4, first 2 shown]
	ds_load_2addr_stride64_b64 v[64:67], v64 offset1:4
	v_dual_mov_b32 v90, 8 :: v_dual_mov_b32 v93, 32
	v_dual_mov_b32 v92, 24 :: v_dual_mov_b32 v95, 48
	;; [unrolled: 1-line block ×4, first 2 shown]
	v_mov_b32_e32 v98, 0x48
	v_mov_b32_e32 v100, 0x58
	;; [unrolled: 1-line block ×22, first 2 shown]
	s_mov_b64 s[6:7], 0
	s_mov_b32 s22, -1
.LBB196_27:                             ; =>This Inner Loop Header: Depth=1
	scratch_load_b64 v[121:122], v89, off
	scratch_load_b64 v[123:124], v90, off
	;; [unrolled: 1-line block ×32, first 2 shown]
	s_cmp_eq_u32 s6, 1
	s_waitcnt lgkmcnt(16)
	v_max_f64 v[187:188], v[0:1], v[0:1]
	s_cselect_b32 vcc_lo, -1, 0
	v_max_f64 v[189:190], v[2:3], v[2:3]
	s_waitcnt lgkmcnt(0)
	v_dual_cndmask_b32 v186, v65, v67 :: v_dual_cndmask_b32 v185, v64, v66
	v_max_f64 v[191:192], v[4:5], v[4:5]
	v_max_f64 v[193:194], v[6:7], v[6:7]
	v_max_f64 v[195:196], v[8:9], v[8:9]
	v_max_f64 v[197:198], v[10:11], v[10:11]
	v_max_f64 v[185:186], v[185:186], v[185:186]
	v_max_f64 v[199:200], v[12:13], v[12:13]
	v_max_f64 v[201:202], v[14:15], v[14:15]
	v_max_f64 v[203:204], v[16:17], v[16:17]
	v_max_f64 v[205:206], v[18:19], v[18:19]
	v_max_f64 v[207:208], v[20:21], v[20:21]
	v_max_f64 v[209:210], v[22:23], v[22:23]
	v_max_f64 v[211:212], v[24:25], v[24:25]
	v_max_f64 v[213:214], v[26:27], v[26:27]
	v_max_f64 v[215:216], v[28:29], v[28:29]
	v_max_f64 v[217:218], v[30:31], v[30:31]
	v_max_f64 v[219:220], v[32:33], v[32:33]
	v_max_f64 v[221:222], v[34:35], v[34:35]
	v_max_f64 v[223:224], v[36:37], v[36:37]
	v_max_f64 v[225:226], v[38:39], v[38:39]
	v_max_f64 v[227:228], v[40:41], v[40:41]
	v_max_f64 v[229:230], v[42:43], v[42:43]
	v_max_f64 v[231:232], v[44:45], v[44:45]
	v_max_f64 v[233:234], v[46:47], v[46:47]
	v_max_f64 v[235:236], v[48:49], v[48:49]
	v_max_f64 v[237:238], v[50:51], v[50:51]
	v_max_f64 v[239:240], v[52:53], v[52:53]
	v_max_f64 v[241:242], v[54:55], v[54:55]
	v_max_f64 v[243:244], v[56:57], v[56:57]
	v_max_f64 v[245:246], v[58:59], v[58:59]
	v_max_f64 v[247:248], v[60:61], v[60:61]
	v_max_f64 v[249:250], v[62:63], v[62:63]
	s_mov_b64 s[6:7], 1
	s_and_b32 vcc_lo, exec_lo, s22
	s_mov_b32 s22, 0
	v_min_f64 v[187:188], v[187:188], v[185:186]
	v_min_f64 v[189:190], v[189:190], v[185:186]
	;; [unrolled: 1-line block ×32, first 2 shown]
	s_waitcnt vmcnt(31)
	v_add_f64 v[121:122], v[121:122], v[187:188]
	s_waitcnt vmcnt(30)
	v_add_f64 v[123:124], v[189:190], v[123:124]
	;; [unrolled: 2-line block ×32, first 2 shown]
	scratch_store_b64 v89, v[121:122], off
	scratch_store_b64 v90, v[123:124], off
	;; [unrolled: 1-line block ×32, first 2 shown]
	v_mov_b32_e32 v89, 0x100
	v_mov_b32_e32 v90, 0x108
	;; [unrolled: 1-line block ×32, first 2 shown]
	s_cbranch_vccnz .LBB196_27
; %bb.28:
	v_dual_mov_b32 v89, 0 :: v_dual_add_nc_u32 v60, 0x800, v83
	ds_load_2addr_b64 v[0:3], v83 offset0:2 offset1:18
	ds_load_2addr_b64 v[4:7], v83 offset0:34 offset1:50
	;; [unrolled: 1-line block ×12, first 2 shown]
	v_dual_mov_b32 v91, 16 :: v_dual_add_nc_u32 v64, 16, v87
	ds_load_2addr_b64 v[48:51], v60 offset0:130 offset1:146
	ds_load_2addr_b64 v[52:55], v60 offset0:162 offset1:178
	;; [unrolled: 1-line block ×4, first 2 shown]
	ds_load_2addr_stride64_b64 v[64:67], v64 offset1:4
	v_dual_mov_b32 v90, 8 :: v_dual_mov_b32 v93, 32
	v_dual_mov_b32 v92, 24 :: v_dual_mov_b32 v95, 48
	;; [unrolled: 1-line block ×4, first 2 shown]
	v_mov_b32_e32 v98, 0x48
	v_mov_b32_e32 v100, 0x58
	;; [unrolled: 1-line block ×22, first 2 shown]
	s_mov_b64 s[6:7], 0
	s_mov_b32 s22, -1
.LBB196_29:                             ; =>This Inner Loop Header: Depth=1
	scratch_load_b64 v[121:122], v89, off
	scratch_load_b64 v[123:124], v90, off
	scratch_load_b64 v[125:126], v91, off
	scratch_load_b64 v[127:128], v92, off
	scratch_load_b64 v[129:130], v93, off
	scratch_load_b64 v[131:132], v94, off
	scratch_load_b64 v[133:134], v95, off
	scratch_load_b64 v[135:136], v96, off
	scratch_load_b64 v[137:138], v97, off
	scratch_load_b64 v[139:140], v98, off
	scratch_load_b64 v[141:142], v99, off
	scratch_load_b64 v[143:144], v100, off
	scratch_load_b64 v[145:146], v101, off
	scratch_load_b64 v[147:148], v102, off
	scratch_load_b64 v[149:150], v103, off
	scratch_load_b64 v[151:152], v104, off
	scratch_load_b64 v[153:154], v105, off
	scratch_load_b64 v[155:156], v106, off
	scratch_load_b64 v[157:158], v107, off
	scratch_load_b64 v[159:160], v108, off
	scratch_load_b64 v[161:162], v109, off
	scratch_load_b64 v[163:164], v110, off
	scratch_load_b64 v[165:166], v111, off
	scratch_load_b64 v[167:168], v112, off
	scratch_load_b64 v[169:170], v113, off
	scratch_load_b64 v[171:172], v114, off
	scratch_load_b64 v[173:174], v115, off
	scratch_load_b64 v[175:176], v116, off
	scratch_load_b64 v[177:178], v117, off
	scratch_load_b64 v[179:180], v118, off
	scratch_load_b64 v[181:182], v119, off
	scratch_load_b64 v[183:184], v120, off
	s_cmp_eq_u32 s6, 1
	s_waitcnt lgkmcnt(16)
	v_max_f64 v[187:188], v[0:1], v[0:1]
	s_cselect_b32 vcc_lo, -1, 0
	v_max_f64 v[189:190], v[2:3], v[2:3]
	s_waitcnt lgkmcnt(0)
	v_dual_cndmask_b32 v186, v65, v67 :: v_dual_cndmask_b32 v185, v64, v66
	v_max_f64 v[191:192], v[4:5], v[4:5]
	v_max_f64 v[193:194], v[6:7], v[6:7]
	;; [unrolled: 1-line block ×31, first 2 shown]
	s_mov_b64 s[6:7], 1
	s_and_b32 vcc_lo, exec_lo, s22
	s_mov_b32 s22, 0
	v_min_f64 v[187:188], v[187:188], v[185:186]
	v_min_f64 v[189:190], v[189:190], v[185:186]
	;; [unrolled: 1-line block ×32, first 2 shown]
	s_waitcnt vmcnt(31)
	v_add_f64 v[121:122], v[121:122], v[187:188]
	s_waitcnt vmcnt(30)
	v_add_f64 v[123:124], v[189:190], v[123:124]
	;; [unrolled: 2-line block ×32, first 2 shown]
	scratch_store_b64 v89, v[121:122], off
	scratch_store_b64 v90, v[123:124], off
	;; [unrolled: 1-line block ×32, first 2 shown]
	v_mov_b32_e32 v89, 0x100
	v_mov_b32_e32 v90, 0x108
	v_mov_b32_e32 v91, 0x110
	v_mov_b32_e32 v92, 0x118
	v_mov_b32_e32 v93, 0x120
	v_mov_b32_e32 v94, 0x128
	v_mov_b32_e32 v95, 0x130
	v_mov_b32_e32 v96, 0x138
	v_mov_b32_e32 v97, 0x140
	v_mov_b32_e32 v98, 0x148
	v_mov_b32_e32 v99, 0x150
	v_mov_b32_e32 v100, 0x158
	v_mov_b32_e32 v101, 0x160
	v_mov_b32_e32 v102, 0x168
	v_mov_b32_e32 v103, 0x170
	v_mov_b32_e32 v104, 0x178
	v_mov_b32_e32 v105, 0x180
	v_mov_b32_e32 v106, 0x188
	v_mov_b32_e32 v107, 0x190
	v_mov_b32_e32 v108, 0x198
	v_mov_b32_e32 v109, 0x1a0
	v_mov_b32_e32 v110, 0x1a8
	v_mov_b32_e32 v111, 0x1b0
	v_mov_b32_e32 v112, 0x1b8
	v_mov_b32_e32 v113, 0x1c0
	v_mov_b32_e32 v114, 0x1c8
	v_mov_b32_e32 v115, 0x1d0
	v_mov_b32_e32 v116, 0x1d8
	v_mov_b32_e32 v117, 0x1e0
	v_mov_b32_e32 v118, 0x1e8
	v_mov_b32_e32 v119, 0x1f0
	v_mov_b32_e32 v120, 0x1f8
	s_cbranch_vccnz .LBB196_29
; %bb.30:
	v_dual_mov_b32 v89, 0 :: v_dual_add_nc_u32 v60, 0x800, v83
	ds_load_2addr_b64 v[0:3], v83 offset0:3 offset1:19
	ds_load_2addr_b64 v[4:7], v83 offset0:35 offset1:51
	;; [unrolled: 1-line block ×12, first 2 shown]
	v_dual_mov_b32 v91, 16 :: v_dual_add_nc_u32 v64, 24, v87
	ds_load_2addr_b64 v[48:51], v60 offset0:131 offset1:147
	ds_load_2addr_b64 v[52:55], v60 offset0:163 offset1:179
	;; [unrolled: 1-line block ×4, first 2 shown]
	ds_load_2addr_stride64_b64 v[64:67], v64 offset1:4
	v_dual_mov_b32 v90, 8 :: v_dual_mov_b32 v93, 32
	v_dual_mov_b32 v92, 24 :: v_dual_mov_b32 v95, 48
	v_dual_mov_b32 v94, 40 :: v_dual_mov_b32 v97, 64
	v_dual_mov_b32 v96, 56 :: v_dual_mov_b32 v99, 0x50
	v_mov_b32_e32 v98, 0x48
	v_mov_b32_e32 v100, 0x58
	;; [unrolled: 1-line block ×22, first 2 shown]
	s_mov_b64 s[6:7], 0
	s_mov_b32 s22, -1
.LBB196_31:                             ; =>This Inner Loop Header: Depth=1
	scratch_load_b64 v[121:122], v89, off
	scratch_load_b64 v[123:124], v90, off
	;; [unrolled: 1-line block ×32, first 2 shown]
	s_cmp_eq_u32 s6, 1
	s_waitcnt lgkmcnt(16)
	v_max_f64 v[187:188], v[0:1], v[0:1]
	s_cselect_b32 vcc_lo, -1, 0
	v_max_f64 v[189:190], v[2:3], v[2:3]
	s_waitcnt lgkmcnt(0)
	v_dual_cndmask_b32 v186, v65, v67 :: v_dual_cndmask_b32 v185, v64, v66
	v_max_f64 v[191:192], v[4:5], v[4:5]
	v_max_f64 v[193:194], v[6:7], v[6:7]
	;; [unrolled: 1-line block ×31, first 2 shown]
	s_mov_b64 s[6:7], 1
	s_and_b32 vcc_lo, exec_lo, s22
	s_mov_b32 s22, 0
	v_min_f64 v[187:188], v[187:188], v[185:186]
	v_min_f64 v[189:190], v[189:190], v[185:186]
	v_min_f64 v[191:192], v[191:192], v[185:186]
	v_min_f64 v[193:194], v[193:194], v[185:186]
	v_min_f64 v[195:196], v[195:196], v[185:186]
	v_min_f64 v[197:198], v[197:198], v[185:186]
	v_min_f64 v[199:200], v[199:200], v[185:186]
	v_min_f64 v[201:202], v[201:202], v[185:186]
	v_min_f64 v[203:204], v[203:204], v[185:186]
	v_min_f64 v[205:206], v[205:206], v[185:186]
	v_min_f64 v[207:208], v[207:208], v[185:186]
	v_min_f64 v[209:210], v[209:210], v[185:186]
	v_min_f64 v[211:212], v[211:212], v[185:186]
	v_min_f64 v[213:214], v[213:214], v[185:186]
	v_min_f64 v[215:216], v[215:216], v[185:186]
	v_min_f64 v[217:218], v[217:218], v[185:186]
	v_min_f64 v[219:220], v[219:220], v[185:186]
	v_min_f64 v[221:222], v[221:222], v[185:186]
	v_min_f64 v[223:224], v[223:224], v[185:186]
	v_min_f64 v[225:226], v[225:226], v[185:186]
	v_min_f64 v[227:228], v[227:228], v[185:186]
	v_min_f64 v[229:230], v[229:230], v[185:186]
	v_min_f64 v[231:232], v[231:232], v[185:186]
	v_min_f64 v[233:234], v[233:234], v[185:186]
	v_min_f64 v[235:236], v[235:236], v[185:186]
	v_min_f64 v[237:238], v[237:238], v[185:186]
	v_min_f64 v[239:240], v[239:240], v[185:186]
	v_min_f64 v[241:242], v[241:242], v[185:186]
	v_min_f64 v[243:244], v[243:244], v[185:186]
	v_min_f64 v[245:246], v[245:246], v[185:186]
	v_min_f64 v[247:248], v[247:248], v[185:186]
	v_min_f64 v[185:186], v[249:250], v[185:186]
	s_waitcnt vmcnt(31)
	v_add_f64 v[121:122], v[121:122], v[187:188]
	s_waitcnt vmcnt(30)
	v_add_f64 v[123:124], v[189:190], v[123:124]
	;; [unrolled: 2-line block ×32, first 2 shown]
	scratch_store_b64 v89, v[121:122], off
	scratch_store_b64 v90, v[123:124], off
	;; [unrolled: 1-line block ×32, first 2 shown]
	v_mov_b32_e32 v89, 0x100
	v_mov_b32_e32 v90, 0x108
	;; [unrolled: 1-line block ×32, first 2 shown]
	s_cbranch_vccnz .LBB196_31
; %bb.32:
	v_lshlrev_b32_e32 v0, 5, v88
	s_mov_b32 s22, 8
	s_cmp_gt_i32 s42, 8
	s_delay_alu instid0(VALU_DEP_1)
	v_lshl_add_u32 v0, v82, 3, v0
	ds_store_2addr_stride64_b64 v0, v[74:75], v[72:73] offset0:8 offset1:12
	ds_store_2addr_stride64_b64 v0, v[78:79], v[76:77] offset0:24 offset1:28
	s_waitcnt lgkmcnt(0)
	s_waitcnt_vscnt null, 0x0
	s_barrier
	buffer_gl0_inv
	s_cbranch_scc0 .LBB196_67
; %bb.33:
	v_lshl_add_u32 v89, v80, 5, 0x1000
	v_lshlrev_b64 v[68:69], 3, v[68:69]
	v_lshlrev_b64 v[70:71], 3, v[70:71]
	v_or_b32_e32 v88, 0x1000, v0
	v_or_b32_e32 v90, 0x3000, v0
	v_lshl_add_u32 v91, v81, 5, 0x3000
	v_add_nc_u32_e32 v92, 0x800, v89
	s_add_i32 s23, s42, -8
	s_mov_b32 s24, 0
.LBB196_34:                             ; =>This Loop Header: Depth=1
                                        ;     Child Loop BB196_43 Depth 2
                                        ;     Child Loop BB196_45 Depth 2
	;; [unrolled: 1-line block ×8, first 2 shown]
	v_add_nc_u32_e32 v0, s22, v82
	v_mov_b32_e32 v72, 0
	v_mov_b32_e32 v73, 0
	s_delay_alu instid0(VALU_DEP_3) | instskip(SKIP_1) | instid1(VALU_DEP_3)
	v_mad_u64_u32 v[1:2], null, v0, s19, 0
	v_cmp_le_i32_e32 vcc_lo, s42, v0
	v_dual_mov_b32 v75, v73 :: v_dual_mov_b32 v74, v72
	s_delay_alu instid0(VALU_DEP_3) | instskip(NEXT) | instid1(VALU_DEP_1)
	v_mad_u64_u32 v[3:4], null, v0, s14, v[2:3]
	v_mov_b32_e32 v2, v3
	s_delay_alu instid0(VALU_DEP_1) | instskip(NEXT) | instid1(VALU_DEP_1)
	v_lshlrev_b64 v[1:2], 3, v[1:2]
	v_add_co_u32 v1, s6, s12, v1
	s_delay_alu instid0(VALU_DEP_1) | instskip(SKIP_1) | instid1(SALU_CYCLE_1)
	v_add_co_ci_u32_e64 v2, s6, s13, v2, s6
	s_or_b32 s6, s2, vcc_lo
	s_xor_b32 s6, s6, -1
	s_delay_alu instid0(SALU_CYCLE_1)
	s_and_saveexec_b32 s7, s6
	s_cbranch_execz .LBB196_36
; %bb.35:                               ;   in Loop: Header=BB196_34 Depth=1
	v_add_co_u32 v3, s6, v1, v68
	s_delay_alu instid0(VALU_DEP_1)
	v_add_co_ci_u32_e64 v4, s6, v2, v69, s6
	flat_load_b64 v[74:75], v[3:4]
.LBB196_36:                             ;   in Loop: Header=BB196_34 Depth=1
	s_or_b32 exec_lo, exec_lo, s7
	s_or_b32 s6, s3, vcc_lo
	s_delay_alu instid0(SALU_CYCLE_1) | instskip(NEXT) | instid1(SALU_CYCLE_1)
	s_xor_b32 s6, s6, -1
	s_and_saveexec_b32 s7, s6
	s_cbranch_execz .LBB196_38
; %bb.37:                               ;   in Loop: Header=BB196_34 Depth=1
	v_add_co_u32 v1, s6, v1, v68
	s_delay_alu instid0(VALU_DEP_1)
	v_add_co_ci_u32_e64 v2, s6, v2, v69, s6
	flat_load_b64 v[72:73], v[1:2] offset:512
.LBB196_38:                             ;   in Loop: Header=BB196_34 Depth=1
	s_or_b32 exec_lo, exec_lo, s7
	v_mad_u64_u32 v[1:2], null, v0, s20, 0
	v_mov_b32_e32 v76, 0
	v_mov_b32_e32 v77, 0
	s_delay_alu instid0(VALU_DEP_3) | instskip(NEXT) | instid1(VALU_DEP_2)
	v_mad_u64_u32 v[3:4], null, v0, s21, v[2:3]
	v_dual_mov_b32 v79, v77 :: v_dual_mov_b32 v78, v76
	s_delay_alu instid0(VALU_DEP_2) | instskip(NEXT) | instid1(VALU_DEP_1)
	v_mov_b32_e32 v2, v3
	v_lshlrev_b64 v[0:1], 3, v[1:2]
	s_delay_alu instid0(VALU_DEP_1) | instskip(NEXT) | instid1(VALU_DEP_1)
	v_add_co_u32 v0, s6, s16, v0
	v_add_co_ci_u32_e64 v1, s6, s17, v1, s6
	s_or_b32 s6, s4, vcc_lo
	s_delay_alu instid0(SALU_CYCLE_1) | instskip(NEXT) | instid1(SALU_CYCLE_1)
	s_xor_b32 s6, s6, -1
	s_and_saveexec_b32 s7, s6
	s_cbranch_execz .LBB196_40
; %bb.39:                               ;   in Loop: Header=BB196_34 Depth=1
	v_add_co_u32 v2, s6, v0, v70
	s_delay_alu instid0(VALU_DEP_1)
	v_add_co_ci_u32_e64 v3, s6, v1, v71, s6
	flat_load_b64 v[78:79], v[2:3]
.LBB196_40:                             ;   in Loop: Header=BB196_34 Depth=1
	s_or_b32 exec_lo, exec_lo, s7
	s_or_b32 s6, s5, vcc_lo
	s_delay_alu instid0(SALU_CYCLE_1) | instskip(NEXT) | instid1(SALU_CYCLE_1)
	s_xor_b32 s7, s6, -1
	s_and_saveexec_b32 s6, s7
	s_cbranch_execz .LBB196_42
; %bb.41:                               ;   in Loop: Header=BB196_34 Depth=1
	v_add_co_u32 v0, vcc_lo, v0, v70
	v_add_co_ci_u32_e32 v1, vcc_lo, v1, v71, vcc_lo
	flat_load_b64 v[76:77], v[0:1] offset:512
.LBB196_42:                             ;   in Loop: Header=BB196_34 Depth=1
	s_or_b32 exec_lo, exec_lo, s6
	ds_load_2addr_b64 v[0:3], v89 offset1:16
	ds_load_2addr_b64 v[4:7], v89 offset0:32 offset1:48
	ds_load_2addr_b64 v[8:11], v89 offset0:64 offset1:80
	;; [unrolled: 1-line block ×7, first 2 shown]
	ds_load_2addr_b64 v[32:35], v92 offset1:16
	ds_load_2addr_b64 v[36:39], v92 offset0:32 offset1:48
	ds_load_2addr_b64 v[40:43], v92 offset0:64 offset1:80
	;; [unrolled: 1-line block ×7, first 2 shown]
	ds_load_2addr_stride64_b64 v[64:67], v91 offset1:4
	v_dual_mov_b32 v124, 0 :: v_dual_mov_b32 v123, 8
	v_dual_mov_b32 v122, 16 :: v_dual_mov_b32 v121, 24
	;; [unrolled: 1-line block ×5, first 2 shown]
	v_mov_b32_e32 v114, 0x50
	v_mov_b32_e32 v113, 0x58
	;; [unrolled: 1-line block ×22, first 2 shown]
	s_mov_b64 s[6:7], 0
	s_mov_b32 s25, -1
.LBB196_43:                             ;   Parent Loop BB196_34 Depth=1
                                        ; =>  This Inner Loop Header: Depth=2
	scratch_load_b64 v[129:130], v124, off
	s_cmp_eq_u32 s6, 1
	s_waitcnt lgkmcnt(16)
	v_max_f64 v[127:128], v[0:1], v[0:1]
	s_cselect_b32 vcc_lo, -1, 0
	s_mov_b64 s[6:7], 1
	s_waitcnt lgkmcnt(0)
	v_dual_cndmask_b32 v126, v65, v67 :: v_dual_cndmask_b32 v125, v64, v66
	s_and_b32 vcc_lo, exec_lo, s25
	s_mov_b32 s25, 0
	s_delay_alu instid0(VALU_DEP_1) | instskip(NEXT) | instid1(VALU_DEP_1)
	v_max_f64 v[125:126], v[125:126], v[125:126]
	v_min_f64 v[127:128], v[127:128], v[125:126]
	s_waitcnt vmcnt(0)
	s_delay_alu instid0(VALU_DEP_1) | instskip(SKIP_3) | instid1(VALU_DEP_1)
	v_add_f64 v[127:128], v[129:130], v[127:128]
	scratch_load_b64 v[129:130], v123, off
	scratch_store_b64 v124, v[127:128], off
	v_max_f64 v[127:128], v[2:3], v[2:3]
	v_min_f64 v[127:128], v[127:128], v[125:126]
	s_waitcnt vmcnt(0)
	s_delay_alu instid0(VALU_DEP_1) | instskip(SKIP_3) | instid1(VALU_DEP_1)
	v_add_f64 v[127:128], v[127:128], v[129:130]
	scratch_store_b64 v123, v[127:128], off
	scratch_load_b64 v[127:128], v122, off
	v_max_f64 v[123:124], v[4:5], v[4:5]
	v_min_f64 v[123:124], v[123:124], v[125:126]
	s_waitcnt vmcnt(0)
	s_delay_alu instid0(VALU_DEP_1) | instskip(SKIP_3) | instid1(VALU_DEP_1)
	v_add_f64 v[123:124], v[123:124], v[127:128]
	scratch_load_b64 v[127:128], v121, off
	scratch_store_b64 v122, v[123:124], off
	v_max_f64 v[122:123], v[6:7], v[6:7]
	v_min_f64 v[122:123], v[122:123], v[125:126]
	s_waitcnt vmcnt(0)
	s_delay_alu instid0(VALU_DEP_1) | instskip(SKIP_3) | instid1(VALU_DEP_1)
	v_add_f64 v[122:123], v[122:123], v[127:128]
	scratch_store_b64 v121, v[122:123], off
	scratch_load_b64 v[123:124], v120, off
	v_max_f64 v[121:122], v[8:9], v[8:9]
	v_min_f64 v[121:122], v[121:122], v[125:126]
	s_waitcnt vmcnt(0)
	s_delay_alu instid0(VALU_DEP_1) | instskip(SKIP_4) | instid1(VALU_DEP_1)
	v_add_f64 v[121:122], v[121:122], v[123:124]
	v_mov_b32_e32 v124, 0x100
	scratch_store_b64 v120, v[121:122], off
	scratch_load_b64 v[122:123], v119, off
	v_max_f64 v[120:121], v[10:11], v[10:11]
	v_min_f64 v[120:121], v[120:121], v[125:126]
	s_waitcnt vmcnt(0)
	s_delay_alu instid0(VALU_DEP_1) | instskip(SKIP_4) | instid1(VALU_DEP_1)
	v_add_f64 v[120:121], v[120:121], v[122:123]
	v_mov_b32_e32 v123, 0x108
	;; [unrolled: 8-line block ×27, first 2 shown]
	scratch_store_b64 v94, v[95:96], off
	scratch_load_b64 v[96:97], v93, off
	v_max_f64 v[94:95], v[62:63], v[62:63]
	v_min_f64 v[94:95], v[94:95], v[125:126]
	s_waitcnt vmcnt(0)
	s_delay_alu instid0(VALU_DEP_1)
	v_add_f64 v[94:95], v[94:95], v[96:97]
	v_mov_b32_e32 v97, 0x1d8
	v_mov_b32_e32 v96, 0x1e0
	scratch_store_b64 v93, v[94:95], off
	v_mov_b32_e32 v95, 0x1e8
	v_mov_b32_e32 v94, 0x1f0
	;; [unrolled: 1-line block ×3, first 2 shown]
	s_cbranch_vccnz .LBB196_43
; %bb.44:                               ;   in Loop: Header=BB196_34 Depth=1
	ds_load_2addr_b64 v[0:3], v89 offset0:1 offset1:17
	ds_load_2addr_b64 v[4:7], v89 offset0:33 offset1:49
	;; [unrolled: 1-line block ×12, first 2 shown]
	v_dual_mov_b32 v123, 8 :: v_dual_add_nc_u32 v64, 8, v91
	ds_load_2addr_b64 v[48:51], v92 offset0:129 offset1:145
	ds_load_2addr_b64 v[52:55], v92 offset0:161 offset1:177
	ds_load_2addr_b64 v[56:59], v92 offset0:193 offset1:209
	ds_load_2addr_b64 v[60:63], v92 offset0:225 offset1:241
	ds_load_2addr_stride64_b64 v[64:67], v64 offset1:4
	v_dual_mov_b32 v124, 0 :: v_dual_mov_b32 v121, 24
	v_dual_mov_b32 v122, 16 :: v_dual_mov_b32 v119, 40
	;; [unrolled: 1-line block ×5, first 2 shown]
	v_mov_b32_e32 v114, 0x50
	v_mov_b32_e32 v112, 0x60
	;; [unrolled: 1-line block ×21, first 2 shown]
	s_mov_b64 s[6:7], 0
	s_mov_b32 s25, -1
.LBB196_45:                             ;   Parent Loop BB196_34 Depth=1
                                        ; =>  This Inner Loop Header: Depth=2
	scratch_load_b64 v[129:130], v124, off
	s_cmp_eq_u32 s6, 1
	s_waitcnt lgkmcnt(16)
	v_max_f64 v[127:128], v[0:1], v[0:1]
	s_cselect_b32 vcc_lo, -1, 0
	s_mov_b64 s[6:7], 1
	s_waitcnt lgkmcnt(0)
	v_dual_cndmask_b32 v126, v65, v67 :: v_dual_cndmask_b32 v125, v64, v66
	s_and_b32 vcc_lo, exec_lo, s25
	s_mov_b32 s25, 0
	s_delay_alu instid0(VALU_DEP_1) | instskip(NEXT) | instid1(VALU_DEP_1)
	v_max_f64 v[125:126], v[125:126], v[125:126]
	v_min_f64 v[127:128], v[127:128], v[125:126]
	s_waitcnt vmcnt(0)
	s_delay_alu instid0(VALU_DEP_1) | instskip(SKIP_3) | instid1(VALU_DEP_1)
	v_add_f64 v[127:128], v[129:130], v[127:128]
	scratch_load_b64 v[129:130], v123, off
	scratch_store_b64 v124, v[127:128], off
	v_max_f64 v[127:128], v[2:3], v[2:3]
	v_min_f64 v[127:128], v[127:128], v[125:126]
	s_waitcnt vmcnt(0)
	s_delay_alu instid0(VALU_DEP_1) | instskip(SKIP_3) | instid1(VALU_DEP_1)
	v_add_f64 v[127:128], v[127:128], v[129:130]
	scratch_store_b64 v123, v[127:128], off
	scratch_load_b64 v[127:128], v122, off
	v_max_f64 v[123:124], v[4:5], v[4:5]
	v_min_f64 v[123:124], v[123:124], v[125:126]
	s_waitcnt vmcnt(0)
	s_delay_alu instid0(VALU_DEP_1) | instskip(SKIP_3) | instid1(VALU_DEP_1)
	v_add_f64 v[123:124], v[123:124], v[127:128]
	scratch_load_b64 v[127:128], v121, off
	scratch_store_b64 v122, v[123:124], off
	v_max_f64 v[122:123], v[6:7], v[6:7]
	v_min_f64 v[122:123], v[122:123], v[125:126]
	s_waitcnt vmcnt(0)
	s_delay_alu instid0(VALU_DEP_1) | instskip(SKIP_3) | instid1(VALU_DEP_1)
	v_add_f64 v[122:123], v[122:123], v[127:128]
	scratch_store_b64 v121, v[122:123], off
	scratch_load_b64 v[123:124], v120, off
	v_max_f64 v[121:122], v[8:9], v[8:9]
	v_min_f64 v[121:122], v[121:122], v[125:126]
	s_waitcnt vmcnt(0)
	s_delay_alu instid0(VALU_DEP_1) | instskip(SKIP_4) | instid1(VALU_DEP_1)
	v_add_f64 v[121:122], v[121:122], v[123:124]
	v_mov_b32_e32 v124, 0x100
	scratch_store_b64 v120, v[121:122], off
	scratch_load_b64 v[122:123], v119, off
	v_max_f64 v[120:121], v[10:11], v[10:11]
	v_min_f64 v[120:121], v[120:121], v[125:126]
	s_waitcnt vmcnt(0)
	s_delay_alu instid0(VALU_DEP_1) | instskip(SKIP_4) | instid1(VALU_DEP_1)
	v_add_f64 v[120:121], v[120:121], v[122:123]
	v_mov_b32_e32 v123, 0x108
	;; [unrolled: 8-line block ×27, first 2 shown]
	scratch_store_b64 v94, v[95:96], off
	scratch_load_b64 v[96:97], v93, off
	v_max_f64 v[94:95], v[62:63], v[62:63]
	v_min_f64 v[94:95], v[94:95], v[125:126]
	s_waitcnt vmcnt(0)
	s_delay_alu instid0(VALU_DEP_1)
	v_add_f64 v[94:95], v[94:95], v[96:97]
	v_mov_b32_e32 v97, 0x1d8
	v_mov_b32_e32 v96, 0x1e0
	scratch_store_b64 v93, v[94:95], off
	v_mov_b32_e32 v95, 0x1e8
	v_mov_b32_e32 v94, 0x1f0
	;; [unrolled: 1-line block ×3, first 2 shown]
	s_cbranch_vccnz .LBB196_45
; %bb.46:                               ;   in Loop: Header=BB196_34 Depth=1
	ds_load_2addr_b64 v[0:3], v89 offset0:2 offset1:18
	ds_load_2addr_b64 v[4:7], v89 offset0:34 offset1:50
	;; [unrolled: 1-line block ×12, first 2 shown]
	v_dual_mov_b32 v123, 8 :: v_dual_add_nc_u32 v64, 16, v91
	ds_load_2addr_b64 v[48:51], v92 offset0:130 offset1:146
	ds_load_2addr_b64 v[52:55], v92 offset0:162 offset1:178
	;; [unrolled: 1-line block ×4, first 2 shown]
	ds_load_2addr_stride64_b64 v[64:67], v64 offset1:4
	v_dual_mov_b32 v124, 0 :: v_dual_mov_b32 v121, 24
	v_dual_mov_b32 v122, 16 :: v_dual_mov_b32 v119, 40
	;; [unrolled: 1-line block ×5, first 2 shown]
	v_mov_b32_e32 v114, 0x50
	v_mov_b32_e32 v112, 0x60
	;; [unrolled: 1-line block ×21, first 2 shown]
	s_mov_b64 s[6:7], 0
	s_mov_b32 s25, -1
.LBB196_47:                             ;   Parent Loop BB196_34 Depth=1
                                        ; =>  This Inner Loop Header: Depth=2
	scratch_load_b64 v[129:130], v124, off
	s_cmp_eq_u32 s6, 1
	s_waitcnt lgkmcnt(16)
	v_max_f64 v[127:128], v[0:1], v[0:1]
	s_cselect_b32 vcc_lo, -1, 0
	s_mov_b64 s[6:7], 1
	s_waitcnt lgkmcnt(0)
	v_dual_cndmask_b32 v126, v65, v67 :: v_dual_cndmask_b32 v125, v64, v66
	s_and_b32 vcc_lo, exec_lo, s25
	s_mov_b32 s25, 0
	s_delay_alu instid0(VALU_DEP_1) | instskip(NEXT) | instid1(VALU_DEP_1)
	v_max_f64 v[125:126], v[125:126], v[125:126]
	v_min_f64 v[127:128], v[127:128], v[125:126]
	s_waitcnt vmcnt(0)
	s_delay_alu instid0(VALU_DEP_1) | instskip(SKIP_3) | instid1(VALU_DEP_1)
	v_add_f64 v[127:128], v[129:130], v[127:128]
	scratch_load_b64 v[129:130], v123, off
	scratch_store_b64 v124, v[127:128], off
	v_max_f64 v[127:128], v[2:3], v[2:3]
	v_min_f64 v[127:128], v[127:128], v[125:126]
	s_waitcnt vmcnt(0)
	s_delay_alu instid0(VALU_DEP_1) | instskip(SKIP_3) | instid1(VALU_DEP_1)
	v_add_f64 v[127:128], v[127:128], v[129:130]
	scratch_store_b64 v123, v[127:128], off
	scratch_load_b64 v[127:128], v122, off
	v_max_f64 v[123:124], v[4:5], v[4:5]
	v_min_f64 v[123:124], v[123:124], v[125:126]
	s_waitcnt vmcnt(0)
	s_delay_alu instid0(VALU_DEP_1) | instskip(SKIP_3) | instid1(VALU_DEP_1)
	v_add_f64 v[123:124], v[123:124], v[127:128]
	scratch_load_b64 v[127:128], v121, off
	scratch_store_b64 v122, v[123:124], off
	v_max_f64 v[122:123], v[6:7], v[6:7]
	v_min_f64 v[122:123], v[122:123], v[125:126]
	s_waitcnt vmcnt(0)
	s_delay_alu instid0(VALU_DEP_1) | instskip(SKIP_3) | instid1(VALU_DEP_1)
	v_add_f64 v[122:123], v[122:123], v[127:128]
	scratch_store_b64 v121, v[122:123], off
	scratch_load_b64 v[123:124], v120, off
	v_max_f64 v[121:122], v[8:9], v[8:9]
	v_min_f64 v[121:122], v[121:122], v[125:126]
	s_waitcnt vmcnt(0)
	s_delay_alu instid0(VALU_DEP_1) | instskip(SKIP_4) | instid1(VALU_DEP_1)
	v_add_f64 v[121:122], v[121:122], v[123:124]
	v_mov_b32_e32 v124, 0x100
	scratch_store_b64 v120, v[121:122], off
	scratch_load_b64 v[122:123], v119, off
	v_max_f64 v[120:121], v[10:11], v[10:11]
	v_min_f64 v[120:121], v[120:121], v[125:126]
	s_waitcnt vmcnt(0)
	s_delay_alu instid0(VALU_DEP_1) | instskip(SKIP_4) | instid1(VALU_DEP_1)
	v_add_f64 v[120:121], v[120:121], v[122:123]
	v_mov_b32_e32 v123, 0x108
	;; [unrolled: 8-line block ×27, first 2 shown]
	scratch_store_b64 v94, v[95:96], off
	scratch_load_b64 v[96:97], v93, off
	v_max_f64 v[94:95], v[62:63], v[62:63]
	v_min_f64 v[94:95], v[94:95], v[125:126]
	s_waitcnt vmcnt(0)
	s_delay_alu instid0(VALU_DEP_1)
	v_add_f64 v[94:95], v[94:95], v[96:97]
	v_mov_b32_e32 v97, 0x1d8
	v_mov_b32_e32 v96, 0x1e0
	scratch_store_b64 v93, v[94:95], off
	v_mov_b32_e32 v95, 0x1e8
	v_mov_b32_e32 v94, 0x1f0
	;; [unrolled: 1-line block ×3, first 2 shown]
	s_cbranch_vccnz .LBB196_47
; %bb.48:                               ;   in Loop: Header=BB196_34 Depth=1
	ds_load_2addr_b64 v[0:3], v89 offset0:3 offset1:19
	ds_load_2addr_b64 v[4:7], v89 offset0:35 offset1:51
	;; [unrolled: 1-line block ×12, first 2 shown]
	v_dual_mov_b32 v123, 8 :: v_dual_add_nc_u32 v64, 24, v91
	ds_load_2addr_b64 v[48:51], v92 offset0:131 offset1:147
	ds_load_2addr_b64 v[52:55], v92 offset0:163 offset1:179
	;; [unrolled: 1-line block ×4, first 2 shown]
	ds_load_2addr_stride64_b64 v[64:67], v64 offset1:4
	v_dual_mov_b32 v124, 0 :: v_dual_mov_b32 v121, 24
	v_dual_mov_b32 v122, 16 :: v_dual_mov_b32 v119, 40
	v_dual_mov_b32 v120, 32 :: v_dual_mov_b32 v117, 56
	v_dual_mov_b32 v118, 48 :: v_dual_mov_b32 v115, 0x48
	v_dual_mov_b32 v116, 64 :: v_dual_mov_b32 v113, 0x58
	v_mov_b32_e32 v114, 0x50
	v_mov_b32_e32 v112, 0x60
	;; [unrolled: 1-line block ×21, first 2 shown]
	s_mov_b64 s[6:7], 0
	s_mov_b32 s25, -1
.LBB196_49:                             ;   Parent Loop BB196_34 Depth=1
                                        ; =>  This Inner Loop Header: Depth=2
	scratch_load_b64 v[129:130], v124, off
	s_cmp_eq_u32 s6, 1
	s_waitcnt lgkmcnt(16)
	v_max_f64 v[127:128], v[0:1], v[0:1]
	s_cselect_b32 vcc_lo, -1, 0
	s_mov_b64 s[6:7], 1
	s_waitcnt lgkmcnt(0)
	v_dual_cndmask_b32 v126, v65, v67 :: v_dual_cndmask_b32 v125, v64, v66
	s_and_b32 vcc_lo, exec_lo, s25
	s_mov_b32 s25, 0
	s_delay_alu instid0(VALU_DEP_1) | instskip(NEXT) | instid1(VALU_DEP_1)
	v_max_f64 v[125:126], v[125:126], v[125:126]
	v_min_f64 v[127:128], v[127:128], v[125:126]
	s_waitcnt vmcnt(0)
	s_delay_alu instid0(VALU_DEP_1) | instskip(SKIP_3) | instid1(VALU_DEP_1)
	v_add_f64 v[127:128], v[129:130], v[127:128]
	scratch_load_b64 v[129:130], v123, off
	scratch_store_b64 v124, v[127:128], off
	v_max_f64 v[127:128], v[2:3], v[2:3]
	v_min_f64 v[127:128], v[127:128], v[125:126]
	s_waitcnt vmcnt(0)
	s_delay_alu instid0(VALU_DEP_1) | instskip(SKIP_3) | instid1(VALU_DEP_1)
	v_add_f64 v[127:128], v[127:128], v[129:130]
	scratch_store_b64 v123, v[127:128], off
	scratch_load_b64 v[127:128], v122, off
	v_max_f64 v[123:124], v[4:5], v[4:5]
	v_min_f64 v[123:124], v[123:124], v[125:126]
	s_waitcnt vmcnt(0)
	s_delay_alu instid0(VALU_DEP_1) | instskip(SKIP_3) | instid1(VALU_DEP_1)
	v_add_f64 v[123:124], v[123:124], v[127:128]
	scratch_load_b64 v[127:128], v121, off
	scratch_store_b64 v122, v[123:124], off
	v_max_f64 v[122:123], v[6:7], v[6:7]
	v_min_f64 v[122:123], v[122:123], v[125:126]
	s_waitcnt vmcnt(0)
	s_delay_alu instid0(VALU_DEP_1) | instskip(SKIP_3) | instid1(VALU_DEP_1)
	v_add_f64 v[122:123], v[122:123], v[127:128]
	scratch_store_b64 v121, v[122:123], off
	scratch_load_b64 v[123:124], v120, off
	v_max_f64 v[121:122], v[8:9], v[8:9]
	v_min_f64 v[121:122], v[121:122], v[125:126]
	s_waitcnt vmcnt(0)
	s_delay_alu instid0(VALU_DEP_1) | instskip(SKIP_4) | instid1(VALU_DEP_1)
	v_add_f64 v[121:122], v[121:122], v[123:124]
	v_mov_b32_e32 v124, 0x100
	scratch_store_b64 v120, v[121:122], off
	scratch_load_b64 v[122:123], v119, off
	v_max_f64 v[120:121], v[10:11], v[10:11]
	v_min_f64 v[120:121], v[120:121], v[125:126]
	s_waitcnt vmcnt(0)
	s_delay_alu instid0(VALU_DEP_1) | instskip(SKIP_4) | instid1(VALU_DEP_1)
	v_add_f64 v[120:121], v[120:121], v[122:123]
	v_mov_b32_e32 v123, 0x108
	;; [unrolled: 8-line block ×27, first 2 shown]
	scratch_store_b64 v94, v[95:96], off
	scratch_load_b64 v[96:97], v93, off
	v_max_f64 v[94:95], v[62:63], v[62:63]
	v_min_f64 v[94:95], v[94:95], v[125:126]
	s_waitcnt vmcnt(0)
	s_delay_alu instid0(VALU_DEP_1)
	v_add_f64 v[94:95], v[94:95], v[96:97]
	v_mov_b32_e32 v97, 0x1d8
	v_mov_b32_e32 v96, 0x1e0
	scratch_store_b64 v93, v[94:95], off
	v_mov_b32_e32 v95, 0x1e8
	v_mov_b32_e32 v94, 0x1f0
	;; [unrolled: 1-line block ×3, first 2 shown]
	s_cbranch_vccnz .LBB196_49
; %bb.50:                               ;   in Loop: Header=BB196_34 Depth=1
	v_add3_u32 v0, v82, s22, 4
	ds_store_2addr_stride64_b64 v84, v[74:75], v[72:73] offset1:4
	v_mov_b32_e32 v72, 0
	ds_store_2addr_stride64_b64 v86, v[78:79], v[76:77] offset1:4
	s_waitcnt lgkmcnt(0)
	s_waitcnt_vscnt null, 0x0
	v_mad_u64_u32 v[1:2], null, v0, s19, 0
	v_cmp_le_i32_e32 vcc_lo, s42, v0
	s_barrier
	buffer_gl0_inv
	v_mov_b32_e32 v73, 0
	v_mad_u64_u32 v[3:4], null, v0, s14, v[2:3]
	s_delay_alu instid0(VALU_DEP_2) | instskip(NEXT) | instid1(VALU_DEP_2)
	v_dual_mov_b32 v75, v73 :: v_dual_mov_b32 v74, v72
	v_mov_b32_e32 v2, v3
	s_delay_alu instid0(VALU_DEP_1) | instskip(NEXT) | instid1(VALU_DEP_1)
	v_lshlrev_b64 v[1:2], 3, v[1:2]
	v_add_co_u32 v1, s6, s12, v1
	s_delay_alu instid0(VALU_DEP_1) | instskip(SKIP_1) | instid1(SALU_CYCLE_1)
	v_add_co_ci_u32_e64 v2, s6, s13, v2, s6
	s_or_b32 s6, s2, vcc_lo
	s_xor_b32 s6, s6, -1
	s_delay_alu instid0(SALU_CYCLE_1) | instskip(NEXT) | instid1(SALU_CYCLE_1)
	s_and_saveexec_b32 s7, s6
	s_xor_b32 s7, exec_lo, s7
	s_cbranch_execz .LBB196_52
; %bb.51:                               ;   in Loop: Header=BB196_34 Depth=1
	v_add_co_u32 v3, s6, v1, v68
	s_delay_alu instid0(VALU_DEP_1)
	v_add_co_ci_u32_e64 v4, s6, v2, v69, s6
	flat_load_b64 v[74:75], v[3:4]
.LBB196_52:                             ;   in Loop: Header=BB196_34 Depth=1
	s_or_b32 exec_lo, exec_lo, s7
	s_or_b32 s6, s3, vcc_lo
	s_delay_alu instid0(SALU_CYCLE_1) | instskip(NEXT) | instid1(SALU_CYCLE_1)
	s_xor_b32 s6, s6, -1
	s_and_saveexec_b32 s7, s6
	s_cbranch_execz .LBB196_54
; %bb.53:                               ;   in Loop: Header=BB196_34 Depth=1
	v_add_co_u32 v1, s6, v1, v68
	s_delay_alu instid0(VALU_DEP_1)
	v_add_co_ci_u32_e64 v2, s6, v2, v69, s6
	flat_load_b64 v[72:73], v[1:2] offset:512
.LBB196_54:                             ;   in Loop: Header=BB196_34 Depth=1
	s_or_b32 exec_lo, exec_lo, s7
	v_mad_u64_u32 v[1:2], null, v0, s20, 0
	v_mov_b32_e32 v76, 0
	v_mov_b32_e32 v77, 0
	s_delay_alu instid0(VALU_DEP_3) | instskip(NEXT) | instid1(VALU_DEP_2)
	v_mad_u64_u32 v[3:4], null, v0, s21, v[2:3]
	v_dual_mov_b32 v79, v77 :: v_dual_mov_b32 v78, v76
	s_delay_alu instid0(VALU_DEP_2) | instskip(NEXT) | instid1(VALU_DEP_1)
	v_mov_b32_e32 v2, v3
	v_lshlrev_b64 v[0:1], 3, v[1:2]
	s_delay_alu instid0(VALU_DEP_1) | instskip(NEXT) | instid1(VALU_DEP_1)
	v_add_co_u32 v0, s6, s16, v0
	v_add_co_ci_u32_e64 v1, s6, s17, v1, s6
	s_or_b32 s6, s4, vcc_lo
	s_delay_alu instid0(SALU_CYCLE_1) | instskip(NEXT) | instid1(SALU_CYCLE_1)
	s_xor_b32 s6, s6, -1
	s_and_saveexec_b32 s7, s6
	s_cbranch_execz .LBB196_56
; %bb.55:                               ;   in Loop: Header=BB196_34 Depth=1
	v_add_co_u32 v2, s6, v0, v70
	s_delay_alu instid0(VALU_DEP_1)
	v_add_co_ci_u32_e64 v3, s6, v1, v71, s6
	flat_load_b64 v[78:79], v[2:3]
.LBB196_56:                             ;   in Loop: Header=BB196_34 Depth=1
	s_or_b32 exec_lo, exec_lo, s7
	s_or_b32 s6, s5, vcc_lo
	s_delay_alu instid0(SALU_CYCLE_1) | instskip(NEXT) | instid1(SALU_CYCLE_1)
	s_xor_b32 s7, s6, -1
	s_and_saveexec_b32 s6, s7
	s_cbranch_execz .LBB196_58
; %bb.57:                               ;   in Loop: Header=BB196_34 Depth=1
	v_add_co_u32 v0, vcc_lo, v0, v70
	v_add_co_ci_u32_e32 v1, vcc_lo, v1, v71, vcc_lo
	flat_load_b64 v[76:77], v[0:1] offset:512
.LBB196_58:                             ;   in Loop: Header=BB196_34 Depth=1
	s_or_b32 exec_lo, exec_lo, s6
	v_dual_mov_b32 v124, 8 :: v_dual_add_nc_u32 v93, 0x800, v83
	ds_load_2addr_b64 v[0:3], v83 offset1:16
	ds_load_2addr_b64 v[4:7], v83 offset0:32 offset1:48
	ds_load_2addr_b64 v[8:11], v83 offset0:64 offset1:80
	;; [unrolled: 1-line block ×7, first 2 shown]
	ds_load_2addr_b64 v[32:35], v93 offset1:16
	ds_load_2addr_b64 v[36:39], v93 offset0:32 offset1:48
	ds_load_2addr_b64 v[40:43], v93 offset0:64 offset1:80
	;; [unrolled: 1-line block ×7, first 2 shown]
	ds_load_2addr_stride64_b64 v[64:67], v87 offset1:4
	v_dual_mov_b32 v125, 0 :: v_dual_mov_b32 v122, 24
	v_dual_mov_b32 v123, 16 :: v_dual_mov_b32 v120, 40
	;; [unrolled: 1-line block ×5, first 2 shown]
	v_mov_b32_e32 v115, 0x50
	v_mov_b32_e32 v113, 0x60
	;; [unrolled: 1-line block ×21, first 2 shown]
	s_mov_b64 s[6:7], 0
	s_mov_b32 s25, -1
.LBB196_59:                             ;   Parent Loop BB196_34 Depth=1
                                        ; =>  This Inner Loop Header: Depth=2
	scratch_load_b64 v[130:131], v125, off
	s_cmp_eq_u32 s6, 1
	s_waitcnt lgkmcnt(16)
	v_max_f64 v[128:129], v[0:1], v[0:1]
	s_cselect_b32 vcc_lo, -1, 0
	s_mov_b64 s[6:7], 1
	s_waitcnt lgkmcnt(0)
	v_dual_cndmask_b32 v127, v65, v67 :: v_dual_cndmask_b32 v126, v64, v66
	s_and_b32 vcc_lo, exec_lo, s25
	s_mov_b32 s25, 0
	s_delay_alu instid0(VALU_DEP_1) | instskip(NEXT) | instid1(VALU_DEP_1)
	v_max_f64 v[126:127], v[126:127], v[126:127]
	v_min_f64 v[128:129], v[128:129], v[126:127]
	s_waitcnt vmcnt(0)
	s_delay_alu instid0(VALU_DEP_1) | instskip(SKIP_3) | instid1(VALU_DEP_1)
	v_add_f64 v[128:129], v[130:131], v[128:129]
	scratch_load_b64 v[130:131], v124, off
	scratch_store_b64 v125, v[128:129], off
	v_max_f64 v[128:129], v[2:3], v[2:3]
	v_min_f64 v[128:129], v[128:129], v[126:127]
	s_waitcnt vmcnt(0)
	s_delay_alu instid0(VALU_DEP_1) | instskip(SKIP_3) | instid1(VALU_DEP_1)
	v_add_f64 v[128:129], v[128:129], v[130:131]
	scratch_store_b64 v124, v[128:129], off
	scratch_load_b64 v[128:129], v123, off
	v_max_f64 v[124:125], v[4:5], v[4:5]
	v_min_f64 v[124:125], v[124:125], v[126:127]
	s_waitcnt vmcnt(0)
	s_delay_alu instid0(VALU_DEP_1) | instskip(SKIP_3) | instid1(VALU_DEP_1)
	v_add_f64 v[124:125], v[124:125], v[128:129]
	scratch_load_b64 v[128:129], v122, off
	scratch_store_b64 v123, v[124:125], off
	v_max_f64 v[123:124], v[6:7], v[6:7]
	v_min_f64 v[123:124], v[123:124], v[126:127]
	s_waitcnt vmcnt(0)
	s_delay_alu instid0(VALU_DEP_1) | instskip(SKIP_3) | instid1(VALU_DEP_1)
	v_add_f64 v[123:124], v[123:124], v[128:129]
	scratch_store_b64 v122, v[123:124], off
	scratch_load_b64 v[124:125], v121, off
	v_max_f64 v[122:123], v[8:9], v[8:9]
	v_min_f64 v[122:123], v[122:123], v[126:127]
	s_waitcnt vmcnt(0)
	s_delay_alu instid0(VALU_DEP_1) | instskip(SKIP_4) | instid1(VALU_DEP_1)
	v_add_f64 v[122:123], v[122:123], v[124:125]
	v_mov_b32_e32 v125, 0x100
	scratch_store_b64 v121, v[122:123], off
	scratch_load_b64 v[123:124], v120, off
	v_max_f64 v[121:122], v[10:11], v[10:11]
	v_min_f64 v[121:122], v[121:122], v[126:127]
	s_waitcnt vmcnt(0)
	s_delay_alu instid0(VALU_DEP_1) | instskip(SKIP_4) | instid1(VALU_DEP_1)
	v_add_f64 v[121:122], v[121:122], v[123:124]
	v_mov_b32_e32 v124, 0x108
	;; [unrolled: 8-line block ×27, first 2 shown]
	scratch_store_b64 v95, v[96:97], off
	scratch_load_b64 v[97:98], v94, off
	v_max_f64 v[95:96], v[62:63], v[62:63]
	v_min_f64 v[95:96], v[95:96], v[126:127]
	s_waitcnt vmcnt(0)
	s_delay_alu instid0(VALU_DEP_1)
	v_add_f64 v[95:96], v[95:96], v[97:98]
	v_mov_b32_e32 v98, 0x1d8
	v_mov_b32_e32 v97, 0x1e0
	scratch_store_b64 v94, v[95:96], off
	v_mov_b32_e32 v96, 0x1e8
	v_mov_b32_e32 v95, 0x1f0
	;; [unrolled: 1-line block ×3, first 2 shown]
	s_cbranch_vccnz .LBB196_59
; %bb.60:                               ;   in Loop: Header=BB196_34 Depth=1
	ds_load_2addr_b64 v[0:3], v83 offset0:1 offset1:17
	ds_load_2addr_b64 v[4:7], v83 offset0:33 offset1:49
	ds_load_2addr_b64 v[8:11], v83 offset0:65 offset1:81
	ds_load_2addr_b64 v[12:15], v83 offset0:97 offset1:113
	ds_load_2addr_b64 v[16:19], v83 offset0:129 offset1:145
	ds_load_2addr_b64 v[20:23], v83 offset0:161 offset1:177
	ds_load_2addr_b64 v[24:27], v83 offset0:193 offset1:209
	ds_load_2addr_b64 v[28:31], v83 offset0:225 offset1:241
	ds_load_2addr_b64 v[32:35], v93 offset0:1 offset1:17
	ds_load_2addr_b64 v[36:39], v93 offset0:33 offset1:49
	ds_load_2addr_b64 v[40:43], v93 offset0:65 offset1:81
	ds_load_2addr_b64 v[44:47], v93 offset0:97 offset1:113
	v_dual_mov_b32 v125, 0 :: v_dual_add_nc_u32 v64, 8, v87
	ds_load_2addr_b64 v[48:51], v93 offset0:129 offset1:145
	ds_load_2addr_b64 v[52:55], v93 offset0:161 offset1:177
	;; [unrolled: 1-line block ×4, first 2 shown]
	ds_load_2addr_stride64_b64 v[64:67], v64 offset1:4
	v_dual_mov_b32 v124, 8 :: v_dual_mov_b32 v123, 16
	v_dual_mov_b32 v122, 24 :: v_dual_mov_b32 v121, 32
	;; [unrolled: 1-line block ×4, first 2 shown]
	v_mov_b32_e32 v116, 0x48
	v_mov_b32_e32 v115, 0x50
	;; [unrolled: 1-line block ×23, first 2 shown]
	s_mov_b64 s[6:7], 0
	s_mov_b32 s25, -1
.LBB196_61:                             ;   Parent Loop BB196_34 Depth=1
                                        ; =>  This Inner Loop Header: Depth=2
	scratch_load_b64 v[130:131], v125, off
	s_cmp_eq_u32 s6, 1
	s_waitcnt lgkmcnt(16)
	v_max_f64 v[128:129], v[0:1], v[0:1]
	s_cselect_b32 vcc_lo, -1, 0
	s_mov_b64 s[6:7], 1
	s_waitcnt lgkmcnt(0)
	v_dual_cndmask_b32 v127, v65, v67 :: v_dual_cndmask_b32 v126, v64, v66
	s_and_b32 vcc_lo, exec_lo, s25
	s_mov_b32 s25, 0
	s_delay_alu instid0(VALU_DEP_1) | instskip(NEXT) | instid1(VALU_DEP_1)
	v_max_f64 v[126:127], v[126:127], v[126:127]
	v_min_f64 v[128:129], v[128:129], v[126:127]
	s_waitcnt vmcnt(0)
	s_delay_alu instid0(VALU_DEP_1) | instskip(SKIP_3) | instid1(VALU_DEP_1)
	v_add_f64 v[128:129], v[130:131], v[128:129]
	scratch_load_b64 v[130:131], v124, off
	scratch_store_b64 v125, v[128:129], off
	v_max_f64 v[128:129], v[2:3], v[2:3]
	v_min_f64 v[128:129], v[128:129], v[126:127]
	s_waitcnt vmcnt(0)
	s_delay_alu instid0(VALU_DEP_1) | instskip(SKIP_3) | instid1(VALU_DEP_1)
	v_add_f64 v[128:129], v[128:129], v[130:131]
	scratch_store_b64 v124, v[128:129], off
	scratch_load_b64 v[128:129], v123, off
	v_max_f64 v[124:125], v[4:5], v[4:5]
	v_min_f64 v[124:125], v[124:125], v[126:127]
	s_waitcnt vmcnt(0)
	s_delay_alu instid0(VALU_DEP_1) | instskip(SKIP_3) | instid1(VALU_DEP_1)
	v_add_f64 v[124:125], v[124:125], v[128:129]
	scratch_load_b64 v[128:129], v122, off
	scratch_store_b64 v123, v[124:125], off
	v_max_f64 v[123:124], v[6:7], v[6:7]
	v_min_f64 v[123:124], v[123:124], v[126:127]
	s_waitcnt vmcnt(0)
	s_delay_alu instid0(VALU_DEP_1) | instskip(SKIP_3) | instid1(VALU_DEP_1)
	v_add_f64 v[123:124], v[123:124], v[128:129]
	scratch_store_b64 v122, v[123:124], off
	scratch_load_b64 v[124:125], v121, off
	v_max_f64 v[122:123], v[8:9], v[8:9]
	v_min_f64 v[122:123], v[122:123], v[126:127]
	s_waitcnt vmcnt(0)
	s_delay_alu instid0(VALU_DEP_1) | instskip(SKIP_4) | instid1(VALU_DEP_1)
	v_add_f64 v[122:123], v[122:123], v[124:125]
	v_mov_b32_e32 v125, 0x100
	scratch_store_b64 v121, v[122:123], off
	scratch_load_b64 v[123:124], v120, off
	v_max_f64 v[121:122], v[10:11], v[10:11]
	v_min_f64 v[121:122], v[121:122], v[126:127]
	s_waitcnt vmcnt(0)
	s_delay_alu instid0(VALU_DEP_1) | instskip(SKIP_4) | instid1(VALU_DEP_1)
	v_add_f64 v[121:122], v[121:122], v[123:124]
	v_mov_b32_e32 v124, 0x108
	;; [unrolled: 8-line block ×27, first 2 shown]
	scratch_store_b64 v95, v[96:97], off
	scratch_load_b64 v[97:98], v94, off
	v_max_f64 v[95:96], v[62:63], v[62:63]
	v_min_f64 v[95:96], v[95:96], v[126:127]
	s_waitcnt vmcnt(0)
	s_delay_alu instid0(VALU_DEP_1)
	v_add_f64 v[95:96], v[95:96], v[97:98]
	v_mov_b32_e32 v98, 0x1d8
	v_mov_b32_e32 v97, 0x1e0
	scratch_store_b64 v94, v[95:96], off
	v_mov_b32_e32 v96, 0x1e8
	v_mov_b32_e32 v95, 0x1f0
	;; [unrolled: 1-line block ×3, first 2 shown]
	s_cbranch_vccnz .LBB196_61
; %bb.62:                               ;   in Loop: Header=BB196_34 Depth=1
	ds_load_2addr_b64 v[0:3], v83 offset0:2 offset1:18
	ds_load_2addr_b64 v[4:7], v83 offset0:34 offset1:50
	;; [unrolled: 1-line block ×12, first 2 shown]
	v_dual_mov_b32 v125, 0 :: v_dual_add_nc_u32 v64, 16, v87
	ds_load_2addr_b64 v[48:51], v93 offset0:130 offset1:146
	ds_load_2addr_b64 v[52:55], v93 offset0:162 offset1:178
	;; [unrolled: 1-line block ×4, first 2 shown]
	ds_load_2addr_stride64_b64 v[64:67], v64 offset1:4
	v_dual_mov_b32 v124, 8 :: v_dual_mov_b32 v123, 16
	v_dual_mov_b32 v122, 24 :: v_dual_mov_b32 v121, 32
	;; [unrolled: 1-line block ×4, first 2 shown]
	v_mov_b32_e32 v116, 0x48
	v_mov_b32_e32 v115, 0x50
	v_mov_b32_e32 v114, 0x58
	v_mov_b32_e32 v113, 0x60
	v_mov_b32_e32 v112, 0x68
	v_mov_b32_e32 v111, 0x70
	v_mov_b32_e32 v110, 0x78
	v_mov_b32_e32 v109, 0x80
	v_mov_b32_e32 v108, 0x88
	v_mov_b32_e32 v107, 0x90
	v_mov_b32_e32 v106, 0x98
	v_mov_b32_e32 v105, 0xa0
	v_mov_b32_e32 v104, 0xa8
	v_mov_b32_e32 v103, 0xb0
	v_mov_b32_e32 v102, 0xb8
	v_mov_b32_e32 v101, 0xc0
	v_mov_b32_e32 v100, 0xc8
	v_mov_b32_e32 v99, 0xd0
	v_mov_b32_e32 v98, 0xd8
	v_mov_b32_e32 v97, 0xe0
	v_mov_b32_e32 v96, 0xe8
	v_mov_b32_e32 v95, 0xf0
	v_mov_b32_e32 v94, 0xf8
	s_mov_b64 s[6:7], 0
	s_mov_b32 s25, -1
.LBB196_63:                             ;   Parent Loop BB196_34 Depth=1
                                        ; =>  This Inner Loop Header: Depth=2
	scratch_load_b64 v[130:131], v125, off
	s_cmp_eq_u32 s6, 1
	s_waitcnt lgkmcnt(16)
	v_max_f64 v[128:129], v[0:1], v[0:1]
	s_cselect_b32 vcc_lo, -1, 0
	s_mov_b64 s[6:7], 1
	s_waitcnt lgkmcnt(0)
	v_dual_cndmask_b32 v127, v65, v67 :: v_dual_cndmask_b32 v126, v64, v66
	s_and_b32 vcc_lo, exec_lo, s25
	s_mov_b32 s25, 0
	s_delay_alu instid0(VALU_DEP_1) | instskip(NEXT) | instid1(VALU_DEP_1)
	v_max_f64 v[126:127], v[126:127], v[126:127]
	v_min_f64 v[128:129], v[128:129], v[126:127]
	s_waitcnt vmcnt(0)
	s_delay_alu instid0(VALU_DEP_1) | instskip(SKIP_3) | instid1(VALU_DEP_1)
	v_add_f64 v[128:129], v[130:131], v[128:129]
	scratch_load_b64 v[130:131], v124, off
	scratch_store_b64 v125, v[128:129], off
	v_max_f64 v[128:129], v[2:3], v[2:3]
	v_min_f64 v[128:129], v[128:129], v[126:127]
	s_waitcnt vmcnt(0)
	s_delay_alu instid0(VALU_DEP_1) | instskip(SKIP_3) | instid1(VALU_DEP_1)
	v_add_f64 v[128:129], v[128:129], v[130:131]
	scratch_store_b64 v124, v[128:129], off
	scratch_load_b64 v[128:129], v123, off
	v_max_f64 v[124:125], v[4:5], v[4:5]
	v_min_f64 v[124:125], v[124:125], v[126:127]
	s_waitcnt vmcnt(0)
	s_delay_alu instid0(VALU_DEP_1) | instskip(SKIP_3) | instid1(VALU_DEP_1)
	v_add_f64 v[124:125], v[124:125], v[128:129]
	scratch_load_b64 v[128:129], v122, off
	scratch_store_b64 v123, v[124:125], off
	v_max_f64 v[123:124], v[6:7], v[6:7]
	v_min_f64 v[123:124], v[123:124], v[126:127]
	s_waitcnt vmcnt(0)
	s_delay_alu instid0(VALU_DEP_1) | instskip(SKIP_3) | instid1(VALU_DEP_1)
	v_add_f64 v[123:124], v[123:124], v[128:129]
	scratch_store_b64 v122, v[123:124], off
	scratch_load_b64 v[124:125], v121, off
	v_max_f64 v[122:123], v[8:9], v[8:9]
	v_min_f64 v[122:123], v[122:123], v[126:127]
	s_waitcnt vmcnt(0)
	s_delay_alu instid0(VALU_DEP_1) | instskip(SKIP_4) | instid1(VALU_DEP_1)
	v_add_f64 v[122:123], v[122:123], v[124:125]
	v_mov_b32_e32 v125, 0x100
	scratch_store_b64 v121, v[122:123], off
	scratch_load_b64 v[123:124], v120, off
	v_max_f64 v[121:122], v[10:11], v[10:11]
	v_min_f64 v[121:122], v[121:122], v[126:127]
	s_waitcnt vmcnt(0)
	s_delay_alu instid0(VALU_DEP_1) | instskip(SKIP_4) | instid1(VALU_DEP_1)
	v_add_f64 v[121:122], v[121:122], v[123:124]
	v_mov_b32_e32 v124, 0x108
	;; [unrolled: 8-line block ×27, first 2 shown]
	scratch_store_b64 v95, v[96:97], off
	scratch_load_b64 v[97:98], v94, off
	v_max_f64 v[95:96], v[62:63], v[62:63]
	v_min_f64 v[95:96], v[95:96], v[126:127]
	s_waitcnt vmcnt(0)
	s_delay_alu instid0(VALU_DEP_1)
	v_add_f64 v[95:96], v[95:96], v[97:98]
	v_mov_b32_e32 v98, 0x1d8
	v_mov_b32_e32 v97, 0x1e0
	scratch_store_b64 v94, v[95:96], off
	v_mov_b32_e32 v96, 0x1e8
	v_mov_b32_e32 v95, 0x1f0
	;; [unrolled: 1-line block ×3, first 2 shown]
	s_cbranch_vccnz .LBB196_63
; %bb.64:                               ;   in Loop: Header=BB196_34 Depth=1
	ds_load_2addr_b64 v[0:3], v83 offset0:3 offset1:19
	ds_load_2addr_b64 v[4:7], v83 offset0:35 offset1:51
	;; [unrolled: 1-line block ×12, first 2 shown]
	v_dual_mov_b32 v123, 8 :: v_dual_add_nc_u32 v64, 24, v87
	ds_load_2addr_b64 v[48:51], v93 offset0:131 offset1:147
	ds_load_2addr_b64 v[52:55], v93 offset0:163 offset1:179
	ds_load_2addr_b64 v[56:59], v93 offset0:195 offset1:211
	ds_load_2addr_b64 v[60:63], v93 offset0:227 offset1:243
	ds_load_2addr_stride64_b64 v[64:67], v64 offset1:4
	v_dual_mov_b32 v124, 0 :: v_dual_mov_b32 v121, 24
	v_dual_mov_b32 v122, 16 :: v_dual_mov_b32 v119, 40
	;; [unrolled: 1-line block ×5, first 2 shown]
	v_mov_b32_e32 v114, 0x50
	v_mov_b32_e32 v112, 0x60
	;; [unrolled: 1-line block ×21, first 2 shown]
	s_mov_b64 s[6:7], 0
	s_mov_b32 s25, -1
.LBB196_65:                             ;   Parent Loop BB196_34 Depth=1
                                        ; =>  This Inner Loop Header: Depth=2
	scratch_load_b64 v[129:130], v124, off
	s_cmp_eq_u32 s6, 1
	s_waitcnt lgkmcnt(16)
	v_max_f64 v[127:128], v[0:1], v[0:1]
	s_cselect_b32 vcc_lo, -1, 0
	s_mov_b64 s[6:7], 1
	s_waitcnt lgkmcnt(0)
	v_dual_cndmask_b32 v126, v65, v67 :: v_dual_cndmask_b32 v125, v64, v66
	s_and_b32 vcc_lo, exec_lo, s25
	s_mov_b32 s25, 0
	s_delay_alu instid0(VALU_DEP_1) | instskip(NEXT) | instid1(VALU_DEP_1)
	v_max_f64 v[125:126], v[125:126], v[125:126]
	v_min_f64 v[127:128], v[127:128], v[125:126]
	s_waitcnt vmcnt(0)
	s_delay_alu instid0(VALU_DEP_1) | instskip(SKIP_3) | instid1(VALU_DEP_1)
	v_add_f64 v[127:128], v[129:130], v[127:128]
	scratch_load_b64 v[129:130], v123, off
	scratch_store_b64 v124, v[127:128], off
	v_max_f64 v[127:128], v[2:3], v[2:3]
	v_min_f64 v[127:128], v[127:128], v[125:126]
	s_waitcnt vmcnt(0)
	s_delay_alu instid0(VALU_DEP_1) | instskip(SKIP_3) | instid1(VALU_DEP_1)
	v_add_f64 v[127:128], v[127:128], v[129:130]
	scratch_store_b64 v123, v[127:128], off
	scratch_load_b64 v[127:128], v122, off
	v_max_f64 v[123:124], v[4:5], v[4:5]
	v_min_f64 v[123:124], v[123:124], v[125:126]
	s_waitcnt vmcnt(0)
	s_delay_alu instid0(VALU_DEP_1) | instskip(SKIP_3) | instid1(VALU_DEP_1)
	v_add_f64 v[123:124], v[123:124], v[127:128]
	scratch_load_b64 v[127:128], v121, off
	scratch_store_b64 v122, v[123:124], off
	v_max_f64 v[122:123], v[6:7], v[6:7]
	v_min_f64 v[122:123], v[122:123], v[125:126]
	s_waitcnt vmcnt(0)
	s_delay_alu instid0(VALU_DEP_1) | instskip(SKIP_3) | instid1(VALU_DEP_1)
	v_add_f64 v[122:123], v[122:123], v[127:128]
	scratch_store_b64 v121, v[122:123], off
	scratch_load_b64 v[123:124], v120, off
	v_max_f64 v[121:122], v[8:9], v[8:9]
	v_min_f64 v[121:122], v[121:122], v[125:126]
	s_waitcnt vmcnt(0)
	s_delay_alu instid0(VALU_DEP_1) | instskip(SKIP_4) | instid1(VALU_DEP_1)
	v_add_f64 v[121:122], v[121:122], v[123:124]
	v_mov_b32_e32 v124, 0x100
	scratch_store_b64 v120, v[121:122], off
	scratch_load_b64 v[122:123], v119, off
	v_max_f64 v[120:121], v[10:11], v[10:11]
	v_min_f64 v[120:121], v[120:121], v[125:126]
	s_waitcnt vmcnt(0)
	s_delay_alu instid0(VALU_DEP_1) | instskip(SKIP_4) | instid1(VALU_DEP_1)
	v_add_f64 v[120:121], v[120:121], v[122:123]
	v_mov_b32_e32 v123, 0x108
	;; [unrolled: 8-line block ×27, first 2 shown]
	scratch_store_b64 v94, v[95:96], off
	scratch_load_b64 v[96:97], v93, off
	v_max_f64 v[94:95], v[62:63], v[62:63]
	v_min_f64 v[94:95], v[94:95], v[125:126]
	s_waitcnt vmcnt(0)
	s_delay_alu instid0(VALU_DEP_1)
	v_add_f64 v[94:95], v[94:95], v[96:97]
	v_mov_b32_e32 v97, 0x1d8
	v_mov_b32_e32 v96, 0x1e0
	scratch_store_b64 v93, v[94:95], off
	v_mov_b32_e32 v95, 0x1e8
	v_mov_b32_e32 v94, 0x1f0
	;; [unrolled: 1-line block ×3, first 2 shown]
	s_cbranch_vccnz .LBB196_65
; %bb.66:                               ;   in Loop: Header=BB196_34 Depth=1
	s_add_i32 s24, s24, 8
	s_add_i32 s22, s22, 8
	s_cmp_ge_i32 s24, s23
	ds_store_2addr_stride64_b64 v88, v[74:75], v[72:73] offset1:4
	ds_store_2addr_stride64_b64 v90, v[78:79], v[76:77] offset1:4
	s_waitcnt lgkmcnt(0)
	s_waitcnt_vscnt null, 0x0
	s_barrier
	buffer_gl0_inv
	s_cbranch_scc0 .LBB196_34
.LBB196_67:
	v_dual_mov_b32 v71, 8 :: v_dual_add_nc_u32 v28, 0x1000, v83
	v_dual_mov_b32 v75, 40 :: v_dual_add_nc_u32 v60, 0x1800, v83
	;; [unrolled: 1-line block ×3, first 2 shown]
	ds_load_2addr_b64 v[0:3], v28 offset1:16
	ds_load_2addr_b64 v[4:7], v28 offset0:32 offset1:48
	ds_load_2addr_b64 v[8:11], v28 offset0:64 offset1:80
	;; [unrolled: 1-line block ×7, first 2 shown]
	ds_load_2addr_b64 v[32:35], v60 offset1:16
	ds_load_2addr_b64 v[36:39], v60 offset0:32 offset1:48
	ds_load_2addr_b64 v[40:43], v60 offset0:64 offset1:80
	;; [unrolled: 1-line block ×7, first 2 shown]
	ds_load_2addr_stride64_b64 v[64:67], v85 offset0:24 offset1:28
	v_dual_mov_b32 v70, 0 :: v_dual_add_nc_u32 v69, 0x3000, v85
	v_dual_mov_b32 v72, 16 :: v_dual_mov_b32 v77, 56
	v_dual_mov_b32 v74, 32 :: v_dual_mov_b32 v79, 0x48
	;; [unrolled: 1-line block ×4, first 2 shown]
	v_mov_b32_e32 v82, 0x50
	v_mov_b32_e32 v84, 0x60
	;; [unrolled: 1-line block ×20, first 2 shown]
	s_mov_b64 s[2:3], 0
	s_mov_b32 s4, -1
.LBB196_68:                             ; =>This Inner Loop Header: Depth=1
	scratch_load_b64 v[104:105], v70, off
	scratch_load_b64 v[106:107], v71, off
	;; [unrolled: 1-line block ×32, first 2 shown]
	s_cmp_eq_u32 s2, 1
	s_waitcnt lgkmcnt(16)
	v_max_f64 v[170:171], v[0:1], v[0:1]
	s_cselect_b32 vcc_lo, -1, 0
	v_max_f64 v[172:173], v[2:3], v[2:3]
	s_waitcnt lgkmcnt(0)
	v_dual_cndmask_b32 v169, v65, v67 :: v_dual_cndmask_b32 v168, v64, v66
	v_max_f64 v[174:175], v[4:5], v[4:5]
	v_max_f64 v[176:177], v[6:7], v[6:7]
	;; [unrolled: 1-line block ×31, first 2 shown]
	s_mov_b64 s[2:3], 1
	s_and_b32 vcc_lo, exec_lo, s4
	s_mov_b32 s4, 0
	v_min_f64 v[170:171], v[170:171], v[168:169]
	v_min_f64 v[172:173], v[172:173], v[168:169]
	;; [unrolled: 1-line block ×32, first 2 shown]
	s_waitcnt vmcnt(31)
	v_add_f64 v[104:105], v[104:105], v[170:171]
	s_waitcnt vmcnt(30)
	v_add_f64 v[106:107], v[172:173], v[106:107]
	;; [unrolled: 2-line block ×32, first 2 shown]
	scratch_store_b64 v70, v[104:105], off
	scratch_store_b64 v71, v[106:107], off
	;; [unrolled: 1-line block ×32, first 2 shown]
	v_mov_b32_e32 v70, 0x100
	v_mov_b32_e32 v71, 0x108
	;; [unrolled: 1-line block ×32, first 2 shown]
	s_cbranch_vccnz .LBB196_68
; %bb.69:
	v_dual_mov_b32 v71, 8 :: v_dual_add_nc_u32 v60, 0x800, v68
	ds_load_2addr_b64 v[0:3], v68 offset0:1 offset1:17
	ds_load_2addr_b64 v[4:7], v68 offset0:33 offset1:49
	;; [unrolled: 1-line block ×12, first 2 shown]
	v_dual_mov_b32 v73, 24 :: v_dual_add_nc_u32 v64, 8, v69
	ds_load_2addr_b64 v[48:51], v60 offset0:129 offset1:145
	ds_load_2addr_b64 v[52:55], v60 offset0:161 offset1:177
	;; [unrolled: 1-line block ×4, first 2 shown]
	ds_load_2addr_stride64_b64 v[64:67], v64 offset1:4
	v_dual_mov_b32 v70, 0 :: v_dual_mov_b32 v75, 40
	v_dual_mov_b32 v72, 16 :: v_dual_mov_b32 v77, 56
	;; [unrolled: 1-line block ×5, first 2 shown]
	v_mov_b32_e32 v82, 0x50
	v_mov_b32_e32 v84, 0x60
	v_mov_b32_e32 v86, 0x70
	v_mov_b32_e32 v87, 0x78
	v_mov_b32_e32 v88, 0x80
	v_mov_b32_e32 v89, 0x88
	v_mov_b32_e32 v90, 0x90
	v_mov_b32_e32 v91, 0x98
	v_mov_b32_e32 v92, 0xa0
	v_mov_b32_e32 v93, 0xa8
	v_mov_b32_e32 v94, 0xb0
	v_mov_b32_e32 v95, 0xb8
	v_mov_b32_e32 v96, 0xc0
	v_mov_b32_e32 v97, 0xc8
	v_mov_b32_e32 v98, 0xd0
	v_mov_b32_e32 v99, 0xd8
	v_mov_b32_e32 v100, 0xe0
	v_mov_b32_e32 v101, 0xe8
	v_mov_b32_e32 v102, 0xf0
	v_mov_b32_e32 v103, 0xf8
	s_mov_b64 s[2:3], 0
	s_mov_b32 s4, -1
.LBB196_70:                             ; =>This Inner Loop Header: Depth=1
	scratch_load_b64 v[104:105], v70, off
	scratch_load_b64 v[106:107], v71, off
	;; [unrolled: 1-line block ×32, first 2 shown]
	s_cmp_eq_u32 s2, 1
	s_waitcnt lgkmcnt(16)
	v_max_f64 v[170:171], v[0:1], v[0:1]
	s_cselect_b32 vcc_lo, -1, 0
	v_max_f64 v[172:173], v[2:3], v[2:3]
	s_waitcnt lgkmcnt(0)
	v_dual_cndmask_b32 v169, v65, v67 :: v_dual_cndmask_b32 v168, v64, v66
	v_max_f64 v[174:175], v[4:5], v[4:5]
	v_max_f64 v[176:177], v[6:7], v[6:7]
	;; [unrolled: 1-line block ×31, first 2 shown]
	s_mov_b64 s[2:3], 1
	s_and_b32 vcc_lo, exec_lo, s4
	s_mov_b32 s4, 0
	v_min_f64 v[170:171], v[170:171], v[168:169]
	v_min_f64 v[172:173], v[172:173], v[168:169]
	;; [unrolled: 1-line block ×32, first 2 shown]
	s_waitcnt vmcnt(31)
	v_add_f64 v[104:105], v[104:105], v[170:171]
	s_waitcnt vmcnt(30)
	v_add_f64 v[106:107], v[172:173], v[106:107]
	s_waitcnt vmcnt(29)
	v_add_f64 v[108:109], v[174:175], v[108:109]
	s_waitcnt vmcnt(28)
	v_add_f64 v[110:111], v[176:177], v[110:111]
	s_waitcnt vmcnt(27)
	v_add_f64 v[112:113], v[178:179], v[112:113]
	s_waitcnt vmcnt(26)
	v_add_f64 v[114:115], v[180:181], v[114:115]
	s_waitcnt vmcnt(25)
	v_add_f64 v[116:117], v[182:183], v[116:117]
	s_waitcnt vmcnt(24)
	v_add_f64 v[118:119], v[184:185], v[118:119]
	s_waitcnt vmcnt(23)
	v_add_f64 v[120:121], v[186:187], v[120:121]
	s_waitcnt vmcnt(22)
	v_add_f64 v[122:123], v[188:189], v[122:123]
	s_waitcnt vmcnt(21)
	v_add_f64 v[124:125], v[190:191], v[124:125]
	s_waitcnt vmcnt(20)
	v_add_f64 v[126:127], v[192:193], v[126:127]
	s_waitcnt vmcnt(19)
	v_add_f64 v[128:129], v[194:195], v[128:129]
	s_waitcnt vmcnt(18)
	v_add_f64 v[130:131], v[196:197], v[130:131]
	s_waitcnt vmcnt(17)
	v_add_f64 v[132:133], v[198:199], v[132:133]
	s_waitcnt vmcnt(16)
	v_add_f64 v[134:135], v[200:201], v[134:135]
	s_waitcnt vmcnt(15)
	v_add_f64 v[136:137], v[202:203], v[136:137]
	s_waitcnt vmcnt(14)
	v_add_f64 v[138:139], v[204:205], v[138:139]
	s_waitcnt vmcnt(13)
	v_add_f64 v[140:141], v[206:207], v[140:141]
	s_waitcnt vmcnt(12)
	v_add_f64 v[142:143], v[208:209], v[142:143]
	s_waitcnt vmcnt(11)
	v_add_f64 v[144:145], v[210:211], v[144:145]
	s_waitcnt vmcnt(10)
	v_add_f64 v[146:147], v[212:213], v[146:147]
	s_waitcnt vmcnt(9)
	v_add_f64 v[148:149], v[214:215], v[148:149]
	s_waitcnt vmcnt(8)
	v_add_f64 v[150:151], v[216:217], v[150:151]
	s_waitcnt vmcnt(7)
	v_add_f64 v[152:153], v[218:219], v[152:153]
	s_waitcnt vmcnt(6)
	v_add_f64 v[154:155], v[220:221], v[154:155]
	s_waitcnt vmcnt(5)
	v_add_f64 v[156:157], v[222:223], v[156:157]
	s_waitcnt vmcnt(4)
	v_add_f64 v[158:159], v[224:225], v[158:159]
	s_waitcnt vmcnt(3)
	v_add_f64 v[160:161], v[226:227], v[160:161]
	s_waitcnt vmcnt(2)
	v_add_f64 v[162:163], v[228:229], v[162:163]
	s_waitcnt vmcnt(1)
	v_add_f64 v[164:165], v[230:231], v[164:165]
	s_waitcnt vmcnt(0)
	v_add_f64 v[166:167], v[168:169], v[166:167]
	scratch_store_b64 v70, v[104:105], off
	scratch_store_b64 v71, v[106:107], off
	;; [unrolled: 1-line block ×32, first 2 shown]
	v_mov_b32_e32 v70, 0x100
	v_mov_b32_e32 v71, 0x108
	v_mov_b32_e32 v72, 0x110
	v_mov_b32_e32 v73, 0x118
	v_mov_b32_e32 v74, 0x120
	v_mov_b32_e32 v75, 0x128
	v_mov_b32_e32 v76, 0x130
	v_mov_b32_e32 v77, 0x138
	v_mov_b32_e32 v78, 0x140
	v_mov_b32_e32 v79, 0x148
	v_mov_b32_e32 v82, 0x150
	v_mov_b32_e32 v83, 0x158
	v_mov_b32_e32 v84, 0x160
	v_mov_b32_e32 v85, 0x168
	v_mov_b32_e32 v86, 0x170
	v_mov_b32_e32 v87, 0x178
	v_mov_b32_e32 v88, 0x180
	v_mov_b32_e32 v89, 0x188
	v_mov_b32_e32 v90, 0x190
	v_mov_b32_e32 v91, 0x198
	v_mov_b32_e32 v92, 0x1a0
	v_mov_b32_e32 v93, 0x1a8
	v_mov_b32_e32 v94, 0x1b0
	v_mov_b32_e32 v95, 0x1b8
	v_mov_b32_e32 v96, 0x1c0
	v_mov_b32_e32 v97, 0x1c8
	v_mov_b32_e32 v98, 0x1d0
	v_mov_b32_e32 v99, 0x1d8
	v_mov_b32_e32 v100, 0x1e0
	v_mov_b32_e32 v101, 0x1e8
	v_mov_b32_e32 v102, 0x1f0
	v_mov_b32_e32 v103, 0x1f8
	s_cbranch_vccnz .LBB196_70
; %bb.71:
	v_dual_mov_b32 v71, 8 :: v_dual_add_nc_u32 v60, 0x800, v68
	ds_load_2addr_b64 v[0:3], v68 offset0:2 offset1:18
	ds_load_2addr_b64 v[4:7], v68 offset0:34 offset1:50
	;; [unrolled: 1-line block ×12, first 2 shown]
	v_dual_mov_b32 v73, 24 :: v_dual_add_nc_u32 v64, 16, v69
	ds_load_2addr_b64 v[48:51], v60 offset0:130 offset1:146
	ds_load_2addr_b64 v[52:55], v60 offset0:162 offset1:178
	;; [unrolled: 1-line block ×4, first 2 shown]
	ds_load_2addr_stride64_b64 v[64:67], v64 offset1:4
	v_dual_mov_b32 v70, 0 :: v_dual_mov_b32 v75, 40
	v_dual_mov_b32 v72, 16 :: v_dual_mov_b32 v77, 56
	;; [unrolled: 1-line block ×5, first 2 shown]
	v_mov_b32_e32 v82, 0x50
	v_mov_b32_e32 v84, 0x60
	;; [unrolled: 1-line block ×20, first 2 shown]
	s_mov_b64 s[2:3], 0
	s_mov_b32 s4, -1
.LBB196_72:                             ; =>This Inner Loop Header: Depth=1
	scratch_load_b64 v[104:105], v70, off
	scratch_load_b64 v[106:107], v71, off
	;; [unrolled: 1-line block ×32, first 2 shown]
	s_cmp_eq_u32 s2, 1
	s_waitcnt lgkmcnt(16)
	v_max_f64 v[170:171], v[0:1], v[0:1]
	s_cselect_b32 vcc_lo, -1, 0
	v_max_f64 v[172:173], v[2:3], v[2:3]
	s_waitcnt lgkmcnt(0)
	v_dual_cndmask_b32 v169, v65, v67 :: v_dual_cndmask_b32 v168, v64, v66
	v_max_f64 v[174:175], v[4:5], v[4:5]
	v_max_f64 v[176:177], v[6:7], v[6:7]
	v_max_f64 v[178:179], v[8:9], v[8:9]
	v_max_f64 v[180:181], v[10:11], v[10:11]
	v_max_f64 v[168:169], v[168:169], v[168:169]
	v_max_f64 v[182:183], v[12:13], v[12:13]
	v_max_f64 v[184:185], v[14:15], v[14:15]
	v_max_f64 v[186:187], v[16:17], v[16:17]
	v_max_f64 v[188:189], v[18:19], v[18:19]
	v_max_f64 v[190:191], v[20:21], v[20:21]
	v_max_f64 v[192:193], v[22:23], v[22:23]
	v_max_f64 v[194:195], v[24:25], v[24:25]
	v_max_f64 v[196:197], v[26:27], v[26:27]
	v_max_f64 v[198:199], v[28:29], v[28:29]
	v_max_f64 v[200:201], v[30:31], v[30:31]
	v_max_f64 v[202:203], v[32:33], v[32:33]
	v_max_f64 v[204:205], v[34:35], v[34:35]
	v_max_f64 v[206:207], v[36:37], v[36:37]
	v_max_f64 v[208:209], v[38:39], v[38:39]
	v_max_f64 v[210:211], v[40:41], v[40:41]
	v_max_f64 v[212:213], v[42:43], v[42:43]
	v_max_f64 v[214:215], v[44:45], v[44:45]
	v_max_f64 v[216:217], v[46:47], v[46:47]
	v_max_f64 v[218:219], v[48:49], v[48:49]
	v_max_f64 v[220:221], v[50:51], v[50:51]
	v_max_f64 v[222:223], v[52:53], v[52:53]
	v_max_f64 v[224:225], v[54:55], v[54:55]
	v_max_f64 v[226:227], v[56:57], v[56:57]
	v_max_f64 v[228:229], v[58:59], v[58:59]
	v_max_f64 v[230:231], v[60:61], v[60:61]
	v_max_f64 v[232:233], v[62:63], v[62:63]
	s_mov_b64 s[2:3], 1
	s_and_b32 vcc_lo, exec_lo, s4
	s_mov_b32 s4, 0
	v_min_f64 v[170:171], v[170:171], v[168:169]
	v_min_f64 v[172:173], v[172:173], v[168:169]
	v_min_f64 v[174:175], v[174:175], v[168:169]
	v_min_f64 v[176:177], v[176:177], v[168:169]
	v_min_f64 v[178:179], v[178:179], v[168:169]
	v_min_f64 v[180:181], v[180:181], v[168:169]
	v_min_f64 v[182:183], v[182:183], v[168:169]
	v_min_f64 v[184:185], v[184:185], v[168:169]
	v_min_f64 v[186:187], v[186:187], v[168:169]
	v_min_f64 v[188:189], v[188:189], v[168:169]
	v_min_f64 v[190:191], v[190:191], v[168:169]
	v_min_f64 v[192:193], v[192:193], v[168:169]
	v_min_f64 v[194:195], v[194:195], v[168:169]
	v_min_f64 v[196:197], v[196:197], v[168:169]
	v_min_f64 v[198:199], v[198:199], v[168:169]
	v_min_f64 v[200:201], v[200:201], v[168:169]
	v_min_f64 v[202:203], v[202:203], v[168:169]
	v_min_f64 v[204:205], v[204:205], v[168:169]
	v_min_f64 v[206:207], v[206:207], v[168:169]
	v_min_f64 v[208:209], v[208:209], v[168:169]
	v_min_f64 v[210:211], v[210:211], v[168:169]
	v_min_f64 v[212:213], v[212:213], v[168:169]
	v_min_f64 v[214:215], v[214:215], v[168:169]
	v_min_f64 v[216:217], v[216:217], v[168:169]
	v_min_f64 v[218:219], v[218:219], v[168:169]
	v_min_f64 v[220:221], v[220:221], v[168:169]
	v_min_f64 v[222:223], v[222:223], v[168:169]
	v_min_f64 v[224:225], v[224:225], v[168:169]
	v_min_f64 v[226:227], v[226:227], v[168:169]
	v_min_f64 v[228:229], v[228:229], v[168:169]
	v_min_f64 v[230:231], v[230:231], v[168:169]
	v_min_f64 v[168:169], v[232:233], v[168:169]
	s_waitcnt vmcnt(31)
	v_add_f64 v[104:105], v[104:105], v[170:171]
	s_waitcnt vmcnt(30)
	v_add_f64 v[106:107], v[172:173], v[106:107]
	;; [unrolled: 2-line block ×32, first 2 shown]
	scratch_store_b64 v70, v[104:105], off
	scratch_store_b64 v71, v[106:107], off
	scratch_store_b64 v72, v[108:109], off
	scratch_store_b64 v73, v[110:111], off
	scratch_store_b64 v74, v[112:113], off
	scratch_store_b64 v75, v[114:115], off
	scratch_store_b64 v76, v[116:117], off
	scratch_store_b64 v77, v[118:119], off
	scratch_store_b64 v78, v[120:121], off
	scratch_store_b64 v79, v[122:123], off
	scratch_store_b64 v82, v[124:125], off
	scratch_store_b64 v83, v[126:127], off
	scratch_store_b64 v84, v[128:129], off
	scratch_store_b64 v85, v[130:131], off
	scratch_store_b64 v86, v[132:133], off
	scratch_store_b64 v87, v[134:135], off
	scratch_store_b64 v88, v[136:137], off
	scratch_store_b64 v89, v[138:139], off
	scratch_store_b64 v90, v[140:141], off
	scratch_store_b64 v91, v[142:143], off
	scratch_store_b64 v92, v[144:145], off
	scratch_store_b64 v93, v[146:147], off
	scratch_store_b64 v94, v[148:149], off
	scratch_store_b64 v95, v[150:151], off
	scratch_store_b64 v96, v[152:153], off
	scratch_store_b64 v97, v[154:155], off
	scratch_store_b64 v98, v[156:157], off
	scratch_store_b64 v99, v[158:159], off
	scratch_store_b64 v100, v[160:161], off
	scratch_store_b64 v101, v[162:163], off
	scratch_store_b64 v102, v[164:165], off
	scratch_store_b64 v103, v[166:167], off
	v_mov_b32_e32 v70, 0x100
	v_mov_b32_e32 v71, 0x108
	;; [unrolled: 1-line block ×32, first 2 shown]
	s_cbranch_vccnz .LBB196_72
; %bb.73:
	v_add_nc_u32_e32 v60, 0x800, v68
	ds_load_2addr_b64 v[0:3], v68 offset0:3 offset1:19
	ds_load_2addr_b64 v[4:7], v68 offset0:35 offset1:51
	;; [unrolled: 1-line block ×4, first 2 shown]
	v_dual_mov_b32 v71, 24 :: v_dual_add_nc_u32 v64, 24, v69
	v_mov_b32_e32 v69, 8
	ds_load_2addr_b64 v[16:19], v68 offset0:131 offset1:147
	ds_load_2addr_b64 v[20:23], v68 offset0:163 offset1:179
	;; [unrolled: 1-line block ×12, first 2 shown]
	ds_load_2addr_stride64_b64 v[64:67], v64 offset1:4
	v_dual_mov_b32 v68, 0 :: v_dual_mov_b32 v73, 40
	v_dual_mov_b32 v70, 16 :: v_dual_mov_b32 v75, 56
	;; [unrolled: 1-line block ×5, first 2 shown]
	v_mov_b32_e32 v78, 0x50
	v_mov_b32_e32 v82, 0x60
	;; [unrolled: 1-line block ×20, first 2 shown]
	s_mov_b64 s[2:3], 0
	s_mov_b32 s4, -1
.LBB196_74:                             ; =>This Inner Loop Header: Depth=1
	scratch_load_b64 v[102:103], v68, off
	scratch_load_b64 v[104:105], v69, off
	scratch_load_b64 v[106:107], v70, off
	scratch_load_b64 v[108:109], v71, off
	scratch_load_b64 v[110:111], v72, off
	scratch_load_b64 v[112:113], v73, off
	scratch_load_b64 v[114:115], v74, off
	scratch_load_b64 v[116:117], v75, off
	scratch_load_b64 v[118:119], v76, off
	scratch_load_b64 v[120:121], v77, off
	scratch_load_b64 v[122:123], v78, off
	scratch_load_b64 v[124:125], v79, off
	scratch_load_b64 v[126:127], v82, off
	scratch_load_b64 v[128:129], v83, off
	scratch_load_b64 v[130:131], v84, off
	scratch_load_b64 v[132:133], v85, off
	scratch_load_b64 v[134:135], v86, off
	scratch_load_b64 v[136:137], v87, off
	scratch_load_b64 v[138:139], v88, off
	scratch_load_b64 v[140:141], v89, off
	scratch_load_b64 v[142:143], v90, off
	scratch_load_b64 v[144:145], v91, off
	scratch_load_b64 v[146:147], v92, off
	scratch_load_b64 v[148:149], v93, off
	scratch_load_b64 v[150:151], v94, off
	scratch_load_b64 v[152:153], v95, off
	scratch_load_b64 v[154:155], v96, off
	scratch_load_b64 v[156:157], v97, off
	scratch_load_b64 v[158:159], v98, off
	scratch_load_b64 v[160:161], v99, off
	scratch_load_b64 v[162:163], v100, off
	scratch_load_b64 v[164:165], v101, off
	s_cmp_eq_u32 s2, 1
	s_waitcnt lgkmcnt(16)
	v_max_f64 v[168:169], v[0:1], v[0:1]
	s_cselect_b32 vcc_lo, -1, 0
	v_max_f64 v[170:171], v[2:3], v[2:3]
	s_waitcnt lgkmcnt(0)
	v_dual_cndmask_b32 v167, v65, v67 :: v_dual_cndmask_b32 v166, v64, v66
	v_max_f64 v[172:173], v[4:5], v[4:5]
	v_max_f64 v[174:175], v[6:7], v[6:7]
	;; [unrolled: 1-line block ×31, first 2 shown]
	s_mov_b64 s[2:3], 1
	s_and_b32 vcc_lo, exec_lo, s4
	s_mov_b32 s4, 0
	v_min_f64 v[168:169], v[168:169], v[166:167]
	v_min_f64 v[170:171], v[170:171], v[166:167]
	;; [unrolled: 1-line block ×32, first 2 shown]
	s_waitcnt vmcnt(31)
	v_add_f64 v[102:103], v[102:103], v[168:169]
	s_waitcnt vmcnt(30)
	v_add_f64 v[104:105], v[170:171], v[104:105]
	;; [unrolled: 2-line block ×32, first 2 shown]
	scratch_store_b64 v68, v[102:103], off
	scratch_store_b64 v69, v[104:105], off
	;; [unrolled: 1-line block ×32, first 2 shown]
	v_mov_b32_e32 v68, 0x100
	v_mov_b32_e32 v69, 0x108
	;; [unrolled: 1-line block ×32, first 2 shown]
	s_cbranch_vccnz .LBB196_74
; %bb.75:
	s_clause 0x2
	s_load_b64 s[2:3], s[0:1], 0x78
	s_load_b32 s42, s[0:1], 0x58
	s_load_b32 s37, s[0:1], 0x70
	v_add_nc_u32_e32 v71, s9, v81
	v_add_nc_u32_e32 v0, s8, v80
	v_cndmask_b32_e64 v70, 0, 1, s36
	s_delay_alu instid0(VALU_DEP_3)
	v_cmp_gt_i32_e64 s8, s41, v71
	s_waitcnt lgkmcnt(0)
	s_mul_i32 s0, s15, s3
	v_mad_i64_i32 v[1:2], null, v71, s42, 0
	v_mad_i64_i32 v[3:4], null, v71, s37, 0
	s_mul_hi_u32 s1, s15, s2
	s_mul_i32 s3, s18, s2
	s_add_i32 s0, s1, s0
	s_mul_i32 s2, s15, s2
	s_delay_alu instid0(VALU_DEP_2) | instskip(SKIP_1) | instid1(VALU_DEP_2)
	v_lshlrev_b64 v[5:6], 3, v[1:2]
	s_add_i32 s3, s0, s3
	v_lshlrev_b64 v[2:3], 3, v[3:4]
	s_lshl_b64 s[2:3], s[2:3], 3
	v_cmp_gt_i32_e64 s0, s40, v0
	s_add_u32 s43, s10, s2
	v_add_co_u32 v68, vcc_lo, s34, v5
	v_add_co_ci_u32_e32 v69, vcc_lo, s35, v6, vcc_lo
	s_addc_u32 s44, s11, s3
	v_add_co_u32 v72, vcc_lo, s43, v2
	v_ashrrev_i32_e32 v1, 31, v0
	v_add_co_ci_u32_e32 v73, vcc_lo, s44, v3, vcc_lo
	s_and_b32 s1, s8, s0
	s_delay_alu instid0(SALU_CYCLE_1) | instskip(NEXT) | instid1(SALU_CYCLE_1)
	s_and_saveexec_b32 s2, s1
	s_xor_b32 s1, exec_lo, s2
	s_cbranch_execz .LBB196_80
; %bb.76:
	scratch_load_b64 v[2:3], off, off
	v_lshlrev_b64 v[4:5], 3, v[0:1]
	s_and_not1_b32 vcc_lo, exec_lo, s36
	s_cbranch_vccnz .LBB196_78
; %bb.77:
	s_delay_alu instid0(VALU_DEP_1) | instskip(NEXT) | instid1(VALU_DEP_2)
	v_add_co_u32 v6, vcc_lo, v68, v4
	v_add_co_ci_u32_e32 v7, vcc_lo, v69, v5, vcc_lo
	flat_load_b64 v[6:7], v[6:7]
	s_waitcnt vmcnt(0) lgkmcnt(0)
	v_mul_f64 v[6:7], v[6:7], s[38:39]
	s_branch .LBB196_79
.LBB196_78:
	v_mov_b32_e32 v6, 0
	v_mov_b32_e32 v7, 0
.LBB196_79:
	s_waitcnt vmcnt(0)
	s_delay_alu instid0(VALU_DEP_1)
	v_add_f64 v[2:3], v[2:3], v[6:7]
	v_add_co_u32 v4, vcc_lo, v72, v4
	v_add_co_ci_u32_e32 v5, vcc_lo, v73, v5, vcc_lo
	global_store_b64 v[4:5], v[2:3], off
.LBB196_80:
	s_or_b32 exec_lo, exec_lo, s1
	v_add_nc_u32_e32 v2, 4, v0
	s_delay_alu instid0(VALU_DEP_1) | instskip(SKIP_1) | instid1(VALU_DEP_2)
	v_cmp_gt_i32_e64 s1, s40, v2
	v_ashrrev_i32_e32 v3, 31, v2
	s_and_b32 s3, s8, s1
	s_delay_alu instid0(SALU_CYCLE_1)
	s_and_saveexec_b32 s2, s3
	s_cbranch_execz .LBB196_85
; %bb.81:
	scratch_load_b64 v[4:5], off, off offset:8
	v_lshlrev_b64 v[6:7], 3, v[2:3]
	s_and_not1_b32 vcc_lo, exec_lo, s36
	s_cbranch_vccnz .LBB196_83
; %bb.82:
	s_delay_alu instid0(VALU_DEP_1) | instskip(NEXT) | instid1(VALU_DEP_2)
	v_add_co_u32 v8, vcc_lo, v68, v6
	v_add_co_ci_u32_e32 v9, vcc_lo, v69, v7, vcc_lo
	flat_load_b64 v[8:9], v[8:9]
	s_waitcnt vmcnt(0) lgkmcnt(0)
	v_mul_f64 v[8:9], v[8:9], s[38:39]
	s_branch .LBB196_84
.LBB196_83:
	v_mov_b32_e32 v8, 0
	v_mov_b32_e32 v9, 0
.LBB196_84:
	s_waitcnt vmcnt(0)
	s_delay_alu instid0(VALU_DEP_1)
	v_add_f64 v[4:5], v[4:5], v[8:9]
	v_add_co_u32 v6, vcc_lo, v72, v6
	v_add_co_ci_u32_e32 v7, vcc_lo, v73, v7, vcc_lo
	global_store_b64 v[6:7], v[4:5], off
.LBB196_85:
	s_or_b32 exec_lo, exec_lo, s2
	v_add_nc_u32_e32 v4, 8, v0
	s_delay_alu instid0(VALU_DEP_1) | instskip(SKIP_1) | instid1(VALU_DEP_2)
	v_cmp_gt_i32_e64 s2, s40, v4
	v_ashrrev_i32_e32 v5, 31, v4
	s_and_b32 s4, s8, s2
	s_delay_alu instid0(SALU_CYCLE_1)
	s_and_saveexec_b32 s3, s4
	s_cbranch_execz .LBB196_90
; %bb.86:
	scratch_load_b64 v[6:7], off, off offset:16
	v_lshlrev_b64 v[8:9], 3, v[4:5]
	s_and_not1_b32 vcc_lo, exec_lo, s36
	s_cbranch_vccnz .LBB196_88
; %bb.87:
	s_delay_alu instid0(VALU_DEP_1) | instskip(NEXT) | instid1(VALU_DEP_2)
	v_add_co_u32 v10, vcc_lo, v68, v8
	v_add_co_ci_u32_e32 v11, vcc_lo, v69, v9, vcc_lo
	flat_load_b64 v[10:11], v[10:11]
	s_waitcnt vmcnt(0) lgkmcnt(0)
	v_mul_f64 v[10:11], v[10:11], s[38:39]
	s_branch .LBB196_89
.LBB196_88:
	v_mov_b32_e32 v10, 0
	v_mov_b32_e32 v11, 0
.LBB196_89:
	s_waitcnt vmcnt(0)
	s_delay_alu instid0(VALU_DEP_1)
	v_add_f64 v[6:7], v[6:7], v[10:11]
	v_add_co_u32 v8, vcc_lo, v72, v8
	v_add_co_ci_u32_e32 v9, vcc_lo, v73, v9, vcc_lo
	global_store_b64 v[8:9], v[6:7], off
.LBB196_90:
	;; [unrolled: 33-line block ×31, first 2 shown]
	s_or_b32 exec_lo, exec_lo, s8
	v_add_nc_u32_e32 v68, 64, v71
	s_delay_alu instid0(VALU_DEP_1) | instskip(SKIP_2) | instid1(VALU_DEP_3)
	v_mad_i64_i32 v[64:65], null, v68, s42, 0
	v_mad_i64_i32 v[66:67], null, v68, s37, 0
	v_cmp_gt_i32_e64 s8, s41, v68
	v_lshlrev_b64 v[64:65], 3, v[64:65]
	s_delay_alu instid0(VALU_DEP_2) | instskip(NEXT) | instid1(VALU_DEP_3)
	s_and_b32 s0, s8, s0
	v_lshlrev_b64 v[66:67], 3, v[66:67]
	s_delay_alu instid0(VALU_DEP_2) | instskip(NEXT) | instid1(VALU_DEP_3)
	v_add_co_u32 v71, vcc_lo, s34, v64
	v_add_co_ci_u32_e32 v72, vcc_lo, s35, v65, vcc_lo
	s_delay_alu instid0(VALU_DEP_3) | instskip(NEXT) | instid1(VALU_DEP_4)
	v_add_co_u32 v68, vcc_lo, s43, v66
	v_add_co_ci_u32_e32 v69, vcc_lo, s44, v67, vcc_lo
	s_and_saveexec_b32 s34, s0
	s_delay_alu instid0(SALU_CYCLE_1)
	s_xor_b32 s0, exec_lo, s34
	s_cbranch_execnz .LBB196_268
; %bb.236:
	s_or_b32 exec_lo, exec_lo, s0
	s_and_b32 s1, s8, s1
	s_delay_alu instid0(SALU_CYCLE_1)
	s_and_saveexec_b32 s0, s1
	s_cbranch_execnz .LBB196_272
.LBB196_237:
	s_or_b32 exec_lo, exec_lo, s0
	s_and_b32 s1, s8, s2
	s_delay_alu instid0(SALU_CYCLE_1)
	s_and_saveexec_b32 s0, s1
	s_cbranch_execnz .LBB196_276
.LBB196_238:
	s_or_b32 exec_lo, exec_lo, s0
	s_and_b32 s1, s8, s3
	s_delay_alu instid0(SALU_CYCLE_1)
	s_and_saveexec_b32 s0, s1
	s_cbranch_execnz .LBB196_280
.LBB196_239:
	s_or_b32 exec_lo, exec_lo, s0
	s_and_b32 s1, s8, s4
	s_delay_alu instid0(SALU_CYCLE_1)
	s_and_saveexec_b32 s0, s1
	s_cbranch_execnz .LBB196_284
.LBB196_240:
	s_or_b32 exec_lo, exec_lo, s0
	s_and_b32 s1, s8, s5
	s_delay_alu instid0(SALU_CYCLE_1)
	s_and_saveexec_b32 s0, s1
	s_cbranch_execnz .LBB196_288
.LBB196_241:
	s_or_b32 exec_lo, exec_lo, s0
	s_and_b32 s1, s8, s6
	s_delay_alu instid0(SALU_CYCLE_1)
	s_and_saveexec_b32 s0, s1
	s_cbranch_execnz .LBB196_292
.LBB196_242:
	s_or_b32 exec_lo, exec_lo, s0
	s_and_b32 s1, s8, s7
	s_delay_alu instid0(SALU_CYCLE_1)
	s_and_saveexec_b32 s0, s1
	s_cbranch_execnz .LBB196_296
.LBB196_243:
	s_or_b32 exec_lo, exec_lo, s0
	s_and_b32 s1, s8, s9
	s_delay_alu instid0(SALU_CYCLE_1)
	s_and_saveexec_b32 s0, s1
	s_cbranch_execnz .LBB196_300
.LBB196_244:
	s_or_b32 exec_lo, exec_lo, s0
	s_and_b32 s1, s8, s10
	s_delay_alu instid0(SALU_CYCLE_1)
	s_and_saveexec_b32 s0, s1
	s_cbranch_execnz .LBB196_304
.LBB196_245:
	s_or_b32 exec_lo, exec_lo, s0
	s_and_b32 s1, s8, s11
	s_delay_alu instid0(SALU_CYCLE_1)
	s_and_saveexec_b32 s0, s1
	s_cbranch_execnz .LBB196_308
.LBB196_246:
	s_or_b32 exec_lo, exec_lo, s0
	s_and_b32 s1, s8, s12
	s_delay_alu instid0(SALU_CYCLE_1)
	s_and_saveexec_b32 s0, s1
	s_cbranch_execnz .LBB196_312
.LBB196_247:
	s_or_b32 exec_lo, exec_lo, s0
	s_and_b32 s1, s8, s13
	s_delay_alu instid0(SALU_CYCLE_1)
	s_and_saveexec_b32 s0, s1
	s_cbranch_execnz .LBB196_316
.LBB196_248:
	s_or_b32 exec_lo, exec_lo, s0
	s_and_b32 s1, s8, s14
	s_delay_alu instid0(SALU_CYCLE_1)
	s_and_saveexec_b32 s0, s1
	s_cbranch_execnz .LBB196_320
.LBB196_249:
	s_or_b32 exec_lo, exec_lo, s0
	s_and_b32 s1, s8, s15
	s_delay_alu instid0(SALU_CYCLE_1)
	s_and_saveexec_b32 s0, s1
	s_cbranch_execnz .LBB196_324
.LBB196_250:
	s_or_b32 exec_lo, exec_lo, s0
	s_and_b32 s1, s8, s16
	s_delay_alu instid0(SALU_CYCLE_1)
	s_and_saveexec_b32 s0, s1
	s_cbranch_execnz .LBB196_328
.LBB196_251:
	s_or_b32 exec_lo, exec_lo, s0
	s_and_b32 s1, s8, s17
	s_delay_alu instid0(SALU_CYCLE_1)
	s_and_saveexec_b32 s0, s1
	s_cbranch_execnz .LBB196_332
.LBB196_252:
	s_or_b32 exec_lo, exec_lo, s0
	s_and_b32 s1, s8, s18
	s_delay_alu instid0(SALU_CYCLE_1)
	s_and_saveexec_b32 s0, s1
	s_cbranch_execnz .LBB196_336
.LBB196_253:
	s_or_b32 exec_lo, exec_lo, s0
	s_and_b32 s1, s8, s19
	s_delay_alu instid0(SALU_CYCLE_1)
	s_and_saveexec_b32 s0, s1
	s_cbranch_execnz .LBB196_340
.LBB196_254:
	s_or_b32 exec_lo, exec_lo, s0
	s_and_b32 s1, s8, s20
	s_delay_alu instid0(SALU_CYCLE_1)
	s_and_saveexec_b32 s0, s1
	s_cbranch_execnz .LBB196_344
.LBB196_255:
	s_or_b32 exec_lo, exec_lo, s0
	s_and_b32 s1, s8, s21
	s_delay_alu instid0(SALU_CYCLE_1)
	s_and_saveexec_b32 s0, s1
	s_cbranch_execnz .LBB196_348
.LBB196_256:
	s_or_b32 exec_lo, exec_lo, s0
	s_and_b32 s1, s8, s22
	s_delay_alu instid0(SALU_CYCLE_1)
	s_and_saveexec_b32 s0, s1
	s_cbranch_execnz .LBB196_352
.LBB196_257:
	s_or_b32 exec_lo, exec_lo, s0
	s_and_b32 s1, s8, s23
	s_delay_alu instid0(SALU_CYCLE_1)
	s_and_saveexec_b32 s0, s1
	s_cbranch_execnz .LBB196_356
.LBB196_258:
	s_or_b32 exec_lo, exec_lo, s0
	s_and_b32 s1, s8, s24
	s_delay_alu instid0(SALU_CYCLE_1)
	s_and_saveexec_b32 s0, s1
	s_cbranch_execnz .LBB196_360
.LBB196_259:
	s_or_b32 exec_lo, exec_lo, s0
	s_and_b32 s1, s8, s25
	s_delay_alu instid0(SALU_CYCLE_1)
	s_and_saveexec_b32 s0, s1
	s_cbranch_execnz .LBB196_364
.LBB196_260:
	s_or_b32 exec_lo, exec_lo, s0
	s_and_b32 s1, s8, s26
	s_delay_alu instid0(SALU_CYCLE_1)
	s_and_saveexec_b32 s0, s1
	s_cbranch_execnz .LBB196_368
.LBB196_261:
	s_or_b32 exec_lo, exec_lo, s0
	s_and_b32 s1, s8, s27
	s_delay_alu instid0(SALU_CYCLE_1)
	s_and_saveexec_b32 s0, s1
	s_cbranch_execnz .LBB196_372
.LBB196_262:
	s_or_b32 exec_lo, exec_lo, s0
	s_and_b32 s1, s8, s28
	s_delay_alu instid0(SALU_CYCLE_1)
	s_and_saveexec_b32 s0, s1
	s_cbranch_execnz .LBB196_376
.LBB196_263:
	s_or_b32 exec_lo, exec_lo, s0
	s_and_b32 s1, s8, s29
	s_delay_alu instid0(SALU_CYCLE_1)
	s_and_saveexec_b32 s0, s1
	s_cbranch_execnz .LBB196_380
.LBB196_264:
	s_or_b32 exec_lo, exec_lo, s0
	s_and_b32 s1, s8, s30
	s_delay_alu instid0(SALU_CYCLE_1)
	s_and_saveexec_b32 s0, s1
	s_cbranch_execnz .LBB196_384
.LBB196_265:
	s_or_b32 exec_lo, exec_lo, s0
	s_and_b32 s1, s8, s31
	s_delay_alu instid0(SALU_CYCLE_1)
	s_and_saveexec_b32 s0, s1
	s_cbranch_execnz .LBB196_388
.LBB196_266:
	s_or_b32 exec_lo, exec_lo, s0
	s_and_b32 s0, s8, s33
	s_delay_alu instid0(SALU_CYCLE_1)
	s_and_saveexec_b32 s1, s0
	s_cbranch_execnz .LBB196_392
.LBB196_267:
	s_endpgm
.LBB196_268:
	scratch_load_b64 v[64:65], off, off offset:256
	v_lshlrev_b64 v[0:1], 3, v[0:1]
	s_and_not1_b32 vcc_lo, exec_lo, s36
	s_cbranch_vccnz .LBB196_270
; %bb.269:
	s_delay_alu instid0(VALU_DEP_1) | instskip(NEXT) | instid1(VALU_DEP_2)
	v_add_co_u32 v66, vcc_lo, v71, v0
	v_add_co_ci_u32_e32 v67, vcc_lo, v72, v1, vcc_lo
	flat_load_b64 v[66:67], v[66:67]
	s_waitcnt vmcnt(0) lgkmcnt(0)
	v_mul_f64 v[66:67], v[66:67], s[38:39]
	s_branch .LBB196_271
.LBB196_270:
	v_mov_b32_e32 v66, 0
	v_mov_b32_e32 v67, 0
.LBB196_271:
	s_waitcnt vmcnt(0)
	s_delay_alu instid0(VALU_DEP_1)
	v_add_f64 v[64:65], v[64:65], v[66:67]
	v_add_co_u32 v0, vcc_lo, v68, v0
	v_add_co_ci_u32_e32 v1, vcc_lo, v69, v1, vcc_lo
	global_store_b64 v[0:1], v[64:65], off
	s_or_b32 exec_lo, exec_lo, s0
	s_and_b32 s1, s8, s1
	s_delay_alu instid0(SALU_CYCLE_1)
	s_and_saveexec_b32 s0, s1
	s_cbranch_execz .LBB196_237
.LBB196_272:
	scratch_load_b64 v[0:1], off, off offset:264
	v_cmp_ne_u32_e32 vcc_lo, 1, v70
	v_lshlrev_b64 v[2:3], 3, v[2:3]
	s_cbranch_vccnz .LBB196_274
; %bb.273:
	s_delay_alu instid0(VALU_DEP_1) | instskip(NEXT) | instid1(VALU_DEP_2)
	v_add_co_u32 v64, vcc_lo, v71, v2
	v_add_co_ci_u32_e32 v65, vcc_lo, v72, v3, vcc_lo
	flat_load_b64 v[64:65], v[64:65]
	s_waitcnt vmcnt(0) lgkmcnt(0)
	v_mul_f64 v[64:65], v[64:65], s[38:39]
	s_branch .LBB196_275
.LBB196_274:
	v_mov_b32_e32 v64, 0
	v_mov_b32_e32 v65, 0
.LBB196_275:
	s_waitcnt vmcnt(0)
	s_delay_alu instid0(VALU_DEP_1)
	v_add_f64 v[0:1], v[0:1], v[64:65]
	v_add_co_u32 v2, vcc_lo, v68, v2
	v_add_co_ci_u32_e32 v3, vcc_lo, v69, v3, vcc_lo
	global_store_b64 v[2:3], v[0:1], off
	s_or_b32 exec_lo, exec_lo, s0
	s_and_b32 s1, s8, s2
	s_delay_alu instid0(SALU_CYCLE_1)
	s_and_saveexec_b32 s0, s1
	s_cbranch_execz .LBB196_238
.LBB196_276:
	scratch_load_b64 v[0:1], off, off offset:272
	v_cmp_ne_u32_e32 vcc_lo, 1, v70
	v_lshlrev_b64 v[2:3], 3, v[4:5]
	s_cbranch_vccnz .LBB196_278
; %bb.277:
	s_delay_alu instid0(VALU_DEP_1) | instskip(NEXT) | instid1(VALU_DEP_2)
	v_add_co_u32 v4, vcc_lo, v71, v2
	v_add_co_ci_u32_e32 v5, vcc_lo, v72, v3, vcc_lo
	flat_load_b64 v[4:5], v[4:5]
	s_waitcnt vmcnt(0) lgkmcnt(0)
	v_mul_f64 v[4:5], v[4:5], s[38:39]
	s_branch .LBB196_279
.LBB196_278:
	v_mov_b32_e32 v4, 0
	v_mov_b32_e32 v5, 0
.LBB196_279:
	s_waitcnt vmcnt(0)
	s_delay_alu instid0(VALU_DEP_1)
	v_add_f64 v[0:1], v[0:1], v[4:5]
	v_add_co_u32 v2, vcc_lo, v68, v2
	v_add_co_ci_u32_e32 v3, vcc_lo, v69, v3, vcc_lo
	global_store_b64 v[2:3], v[0:1], off
	s_or_b32 exec_lo, exec_lo, s0
	s_and_b32 s1, s8, s3
	s_delay_alu instid0(SALU_CYCLE_1)
	s_and_saveexec_b32 s0, s1
	s_cbranch_execz .LBB196_239
.LBB196_280:
	scratch_load_b64 v[0:1], off, off offset:280
	v_cmp_ne_u32_e32 vcc_lo, 1, v70
	v_lshlrev_b64 v[2:3], 3, v[6:7]
	s_cbranch_vccnz .LBB196_282
; %bb.281:
	s_delay_alu instid0(VALU_DEP_1) | instskip(NEXT) | instid1(VALU_DEP_2)
	v_add_co_u32 v4, vcc_lo, v71, v2
	v_add_co_ci_u32_e32 v5, vcc_lo, v72, v3, vcc_lo
	flat_load_b64 v[4:5], v[4:5]
	s_waitcnt vmcnt(0) lgkmcnt(0)
	v_mul_f64 v[4:5], v[4:5], s[38:39]
	s_branch .LBB196_283
.LBB196_282:
	v_mov_b32_e32 v4, 0
	v_mov_b32_e32 v5, 0
.LBB196_283:
	s_waitcnt vmcnt(0)
	s_delay_alu instid0(VALU_DEP_1)
	v_add_f64 v[0:1], v[0:1], v[4:5]
	v_add_co_u32 v2, vcc_lo, v68, v2
	v_add_co_ci_u32_e32 v3, vcc_lo, v69, v3, vcc_lo
	global_store_b64 v[2:3], v[0:1], off
	s_or_b32 exec_lo, exec_lo, s0
	s_and_b32 s1, s8, s4
	s_delay_alu instid0(SALU_CYCLE_1)
	s_and_saveexec_b32 s0, s1
	s_cbranch_execz .LBB196_240
.LBB196_284:
	scratch_load_b64 v[0:1], off, off offset:288
	v_cmp_ne_u32_e32 vcc_lo, 1, v70
	v_lshlrev_b64 v[2:3], 3, v[8:9]
	s_cbranch_vccnz .LBB196_286
; %bb.285:
	s_delay_alu instid0(VALU_DEP_1) | instskip(NEXT) | instid1(VALU_DEP_2)
	v_add_co_u32 v4, vcc_lo, v71, v2
	v_add_co_ci_u32_e32 v5, vcc_lo, v72, v3, vcc_lo
	flat_load_b64 v[4:5], v[4:5]
	s_waitcnt vmcnt(0) lgkmcnt(0)
	v_mul_f64 v[4:5], v[4:5], s[38:39]
	s_branch .LBB196_287
.LBB196_286:
	v_mov_b32_e32 v4, 0
	v_mov_b32_e32 v5, 0
.LBB196_287:
	s_waitcnt vmcnt(0)
	s_delay_alu instid0(VALU_DEP_1)
	v_add_f64 v[0:1], v[0:1], v[4:5]
	v_add_co_u32 v2, vcc_lo, v68, v2
	v_add_co_ci_u32_e32 v3, vcc_lo, v69, v3, vcc_lo
	global_store_b64 v[2:3], v[0:1], off
	s_or_b32 exec_lo, exec_lo, s0
	s_and_b32 s1, s8, s5
	s_delay_alu instid0(SALU_CYCLE_1)
	s_and_saveexec_b32 s0, s1
	s_cbranch_execz .LBB196_241
.LBB196_288:
	scratch_load_b64 v[0:1], off, off offset:296
	v_cmp_ne_u32_e32 vcc_lo, 1, v70
	v_lshlrev_b64 v[2:3], 3, v[10:11]
	s_cbranch_vccnz .LBB196_290
; %bb.289:
	s_delay_alu instid0(VALU_DEP_1) | instskip(NEXT) | instid1(VALU_DEP_2)
	v_add_co_u32 v4, vcc_lo, v71, v2
	v_add_co_ci_u32_e32 v5, vcc_lo, v72, v3, vcc_lo
	flat_load_b64 v[4:5], v[4:5]
	s_waitcnt vmcnt(0) lgkmcnt(0)
	v_mul_f64 v[4:5], v[4:5], s[38:39]
	s_branch .LBB196_291
.LBB196_290:
	v_mov_b32_e32 v4, 0
	v_mov_b32_e32 v5, 0
.LBB196_291:
	s_waitcnt vmcnt(0)
	s_delay_alu instid0(VALU_DEP_1)
	v_add_f64 v[0:1], v[0:1], v[4:5]
	v_add_co_u32 v2, vcc_lo, v68, v2
	v_add_co_ci_u32_e32 v3, vcc_lo, v69, v3, vcc_lo
	global_store_b64 v[2:3], v[0:1], off
	s_or_b32 exec_lo, exec_lo, s0
	s_and_b32 s1, s8, s6
	s_delay_alu instid0(SALU_CYCLE_1)
	s_and_saveexec_b32 s0, s1
	s_cbranch_execz .LBB196_242
.LBB196_292:
	scratch_load_b64 v[0:1], off, off offset:304
	v_cmp_ne_u32_e32 vcc_lo, 1, v70
	v_lshlrev_b64 v[2:3], 3, v[12:13]
	s_cbranch_vccnz .LBB196_294
; %bb.293:
	s_delay_alu instid0(VALU_DEP_1) | instskip(NEXT) | instid1(VALU_DEP_2)
	v_add_co_u32 v4, vcc_lo, v71, v2
	v_add_co_ci_u32_e32 v5, vcc_lo, v72, v3, vcc_lo
	flat_load_b64 v[4:5], v[4:5]
	s_waitcnt vmcnt(0) lgkmcnt(0)
	v_mul_f64 v[4:5], v[4:5], s[38:39]
	s_branch .LBB196_295
.LBB196_294:
	v_mov_b32_e32 v4, 0
	v_mov_b32_e32 v5, 0
.LBB196_295:
	s_waitcnt vmcnt(0)
	s_delay_alu instid0(VALU_DEP_1)
	v_add_f64 v[0:1], v[0:1], v[4:5]
	v_add_co_u32 v2, vcc_lo, v68, v2
	v_add_co_ci_u32_e32 v3, vcc_lo, v69, v3, vcc_lo
	global_store_b64 v[2:3], v[0:1], off
	s_or_b32 exec_lo, exec_lo, s0
	s_and_b32 s1, s8, s7
	s_delay_alu instid0(SALU_CYCLE_1)
	s_and_saveexec_b32 s0, s1
	s_cbranch_execz .LBB196_243
.LBB196_296:
	scratch_load_b64 v[0:1], off, off offset:312
	v_cmp_ne_u32_e32 vcc_lo, 1, v70
	v_lshlrev_b64 v[2:3], 3, v[14:15]
	s_cbranch_vccnz .LBB196_298
; %bb.297:
	s_delay_alu instid0(VALU_DEP_1) | instskip(NEXT) | instid1(VALU_DEP_2)
	v_add_co_u32 v4, vcc_lo, v71, v2
	v_add_co_ci_u32_e32 v5, vcc_lo, v72, v3, vcc_lo
	flat_load_b64 v[4:5], v[4:5]
	s_waitcnt vmcnt(0) lgkmcnt(0)
	v_mul_f64 v[4:5], v[4:5], s[38:39]
	s_branch .LBB196_299
.LBB196_298:
	v_mov_b32_e32 v4, 0
	v_mov_b32_e32 v5, 0
.LBB196_299:
	s_waitcnt vmcnt(0)
	s_delay_alu instid0(VALU_DEP_1)
	v_add_f64 v[0:1], v[0:1], v[4:5]
	v_add_co_u32 v2, vcc_lo, v68, v2
	v_add_co_ci_u32_e32 v3, vcc_lo, v69, v3, vcc_lo
	global_store_b64 v[2:3], v[0:1], off
	s_or_b32 exec_lo, exec_lo, s0
	s_and_b32 s1, s8, s9
	s_delay_alu instid0(SALU_CYCLE_1)
	s_and_saveexec_b32 s0, s1
	s_cbranch_execz .LBB196_244
.LBB196_300:
	scratch_load_b64 v[0:1], off, off offset:320
	v_cmp_ne_u32_e32 vcc_lo, 1, v70
	v_lshlrev_b64 v[2:3], 3, v[16:17]
	s_cbranch_vccnz .LBB196_302
; %bb.301:
	s_delay_alu instid0(VALU_DEP_1) | instskip(NEXT) | instid1(VALU_DEP_2)
	v_add_co_u32 v4, vcc_lo, v71, v2
	v_add_co_ci_u32_e32 v5, vcc_lo, v72, v3, vcc_lo
	flat_load_b64 v[4:5], v[4:5]
	s_waitcnt vmcnt(0) lgkmcnt(0)
	v_mul_f64 v[4:5], v[4:5], s[38:39]
	s_branch .LBB196_303
.LBB196_302:
	v_mov_b32_e32 v4, 0
	v_mov_b32_e32 v5, 0
.LBB196_303:
	s_waitcnt vmcnt(0)
	s_delay_alu instid0(VALU_DEP_1)
	v_add_f64 v[0:1], v[0:1], v[4:5]
	v_add_co_u32 v2, vcc_lo, v68, v2
	v_add_co_ci_u32_e32 v3, vcc_lo, v69, v3, vcc_lo
	global_store_b64 v[2:3], v[0:1], off
	s_or_b32 exec_lo, exec_lo, s0
	s_and_b32 s1, s8, s10
	s_delay_alu instid0(SALU_CYCLE_1)
	s_and_saveexec_b32 s0, s1
	s_cbranch_execz .LBB196_245
.LBB196_304:
	scratch_load_b64 v[0:1], off, off offset:328
	v_cmp_ne_u32_e32 vcc_lo, 1, v70
	v_lshlrev_b64 v[2:3], 3, v[18:19]
	s_cbranch_vccnz .LBB196_306
; %bb.305:
	s_delay_alu instid0(VALU_DEP_1) | instskip(NEXT) | instid1(VALU_DEP_2)
	v_add_co_u32 v4, vcc_lo, v71, v2
	v_add_co_ci_u32_e32 v5, vcc_lo, v72, v3, vcc_lo
	flat_load_b64 v[4:5], v[4:5]
	s_waitcnt vmcnt(0) lgkmcnt(0)
	v_mul_f64 v[4:5], v[4:5], s[38:39]
	s_branch .LBB196_307
.LBB196_306:
	v_mov_b32_e32 v4, 0
	v_mov_b32_e32 v5, 0
.LBB196_307:
	s_waitcnt vmcnt(0)
	s_delay_alu instid0(VALU_DEP_1)
	v_add_f64 v[0:1], v[0:1], v[4:5]
	v_add_co_u32 v2, vcc_lo, v68, v2
	v_add_co_ci_u32_e32 v3, vcc_lo, v69, v3, vcc_lo
	global_store_b64 v[2:3], v[0:1], off
	s_or_b32 exec_lo, exec_lo, s0
	s_and_b32 s1, s8, s11
	s_delay_alu instid0(SALU_CYCLE_1)
	s_and_saveexec_b32 s0, s1
	s_cbranch_execz .LBB196_246
.LBB196_308:
	scratch_load_b64 v[0:1], off, off offset:336
	v_cmp_ne_u32_e32 vcc_lo, 1, v70
	v_lshlrev_b64 v[2:3], 3, v[20:21]
	s_cbranch_vccnz .LBB196_310
; %bb.309:
	s_delay_alu instid0(VALU_DEP_1) | instskip(NEXT) | instid1(VALU_DEP_2)
	v_add_co_u32 v4, vcc_lo, v71, v2
	v_add_co_ci_u32_e32 v5, vcc_lo, v72, v3, vcc_lo
	flat_load_b64 v[4:5], v[4:5]
	s_waitcnt vmcnt(0) lgkmcnt(0)
	v_mul_f64 v[4:5], v[4:5], s[38:39]
	s_branch .LBB196_311
.LBB196_310:
	v_mov_b32_e32 v4, 0
	v_mov_b32_e32 v5, 0
.LBB196_311:
	s_waitcnt vmcnt(0)
	s_delay_alu instid0(VALU_DEP_1)
	v_add_f64 v[0:1], v[0:1], v[4:5]
	v_add_co_u32 v2, vcc_lo, v68, v2
	v_add_co_ci_u32_e32 v3, vcc_lo, v69, v3, vcc_lo
	global_store_b64 v[2:3], v[0:1], off
	s_or_b32 exec_lo, exec_lo, s0
	s_and_b32 s1, s8, s12
	s_delay_alu instid0(SALU_CYCLE_1)
	s_and_saveexec_b32 s0, s1
	s_cbranch_execz .LBB196_247
.LBB196_312:
	scratch_load_b64 v[0:1], off, off offset:344
	v_cmp_ne_u32_e32 vcc_lo, 1, v70
	v_lshlrev_b64 v[2:3], 3, v[22:23]
	s_cbranch_vccnz .LBB196_314
; %bb.313:
	s_delay_alu instid0(VALU_DEP_1) | instskip(NEXT) | instid1(VALU_DEP_2)
	v_add_co_u32 v4, vcc_lo, v71, v2
	v_add_co_ci_u32_e32 v5, vcc_lo, v72, v3, vcc_lo
	flat_load_b64 v[4:5], v[4:5]
	s_waitcnt vmcnt(0) lgkmcnt(0)
	v_mul_f64 v[4:5], v[4:5], s[38:39]
	s_branch .LBB196_315
.LBB196_314:
	v_mov_b32_e32 v4, 0
	v_mov_b32_e32 v5, 0
.LBB196_315:
	s_waitcnt vmcnt(0)
	s_delay_alu instid0(VALU_DEP_1)
	v_add_f64 v[0:1], v[0:1], v[4:5]
	v_add_co_u32 v2, vcc_lo, v68, v2
	v_add_co_ci_u32_e32 v3, vcc_lo, v69, v3, vcc_lo
	global_store_b64 v[2:3], v[0:1], off
	s_or_b32 exec_lo, exec_lo, s0
	s_and_b32 s1, s8, s13
	s_delay_alu instid0(SALU_CYCLE_1)
	s_and_saveexec_b32 s0, s1
	s_cbranch_execz .LBB196_248
.LBB196_316:
	scratch_load_b64 v[0:1], off, off offset:352
	v_cmp_ne_u32_e32 vcc_lo, 1, v70
	v_lshlrev_b64 v[2:3], 3, v[24:25]
	s_cbranch_vccnz .LBB196_318
; %bb.317:
	s_delay_alu instid0(VALU_DEP_1) | instskip(NEXT) | instid1(VALU_DEP_2)
	v_add_co_u32 v4, vcc_lo, v71, v2
	v_add_co_ci_u32_e32 v5, vcc_lo, v72, v3, vcc_lo
	flat_load_b64 v[4:5], v[4:5]
	s_waitcnt vmcnt(0) lgkmcnt(0)
	v_mul_f64 v[4:5], v[4:5], s[38:39]
	s_branch .LBB196_319
.LBB196_318:
	v_mov_b32_e32 v4, 0
	v_mov_b32_e32 v5, 0
.LBB196_319:
	s_waitcnt vmcnt(0)
	s_delay_alu instid0(VALU_DEP_1)
	v_add_f64 v[0:1], v[0:1], v[4:5]
	v_add_co_u32 v2, vcc_lo, v68, v2
	v_add_co_ci_u32_e32 v3, vcc_lo, v69, v3, vcc_lo
	global_store_b64 v[2:3], v[0:1], off
	s_or_b32 exec_lo, exec_lo, s0
	s_and_b32 s1, s8, s14
	s_delay_alu instid0(SALU_CYCLE_1)
	s_and_saveexec_b32 s0, s1
	s_cbranch_execz .LBB196_249
.LBB196_320:
	scratch_load_b64 v[0:1], off, off offset:360
	v_cmp_ne_u32_e32 vcc_lo, 1, v70
	v_lshlrev_b64 v[2:3], 3, v[26:27]
	s_cbranch_vccnz .LBB196_322
; %bb.321:
	s_delay_alu instid0(VALU_DEP_1) | instskip(NEXT) | instid1(VALU_DEP_2)
	v_add_co_u32 v4, vcc_lo, v71, v2
	v_add_co_ci_u32_e32 v5, vcc_lo, v72, v3, vcc_lo
	flat_load_b64 v[4:5], v[4:5]
	s_waitcnt vmcnt(0) lgkmcnt(0)
	v_mul_f64 v[4:5], v[4:5], s[38:39]
	s_branch .LBB196_323
.LBB196_322:
	v_mov_b32_e32 v4, 0
	v_mov_b32_e32 v5, 0
.LBB196_323:
	s_waitcnt vmcnt(0)
	s_delay_alu instid0(VALU_DEP_1)
	v_add_f64 v[0:1], v[0:1], v[4:5]
	v_add_co_u32 v2, vcc_lo, v68, v2
	v_add_co_ci_u32_e32 v3, vcc_lo, v69, v3, vcc_lo
	global_store_b64 v[2:3], v[0:1], off
	s_or_b32 exec_lo, exec_lo, s0
	s_and_b32 s1, s8, s15
	s_delay_alu instid0(SALU_CYCLE_1)
	s_and_saveexec_b32 s0, s1
	s_cbranch_execz .LBB196_250
.LBB196_324:
	scratch_load_b64 v[0:1], off, off offset:368
	v_cmp_ne_u32_e32 vcc_lo, 1, v70
	v_lshlrev_b64 v[2:3], 3, v[28:29]
	s_cbranch_vccnz .LBB196_326
; %bb.325:
	s_delay_alu instid0(VALU_DEP_1) | instskip(NEXT) | instid1(VALU_DEP_2)
	v_add_co_u32 v4, vcc_lo, v71, v2
	v_add_co_ci_u32_e32 v5, vcc_lo, v72, v3, vcc_lo
	flat_load_b64 v[4:5], v[4:5]
	s_waitcnt vmcnt(0) lgkmcnt(0)
	v_mul_f64 v[4:5], v[4:5], s[38:39]
	s_branch .LBB196_327
.LBB196_326:
	v_mov_b32_e32 v4, 0
	v_mov_b32_e32 v5, 0
.LBB196_327:
	s_waitcnt vmcnt(0)
	s_delay_alu instid0(VALU_DEP_1)
	v_add_f64 v[0:1], v[0:1], v[4:5]
	v_add_co_u32 v2, vcc_lo, v68, v2
	v_add_co_ci_u32_e32 v3, vcc_lo, v69, v3, vcc_lo
	global_store_b64 v[2:3], v[0:1], off
	s_or_b32 exec_lo, exec_lo, s0
	s_and_b32 s1, s8, s16
	s_delay_alu instid0(SALU_CYCLE_1)
	s_and_saveexec_b32 s0, s1
	s_cbranch_execz .LBB196_251
.LBB196_328:
	scratch_load_b64 v[0:1], off, off offset:376
	v_cmp_ne_u32_e32 vcc_lo, 1, v70
	v_lshlrev_b64 v[2:3], 3, v[30:31]
	s_cbranch_vccnz .LBB196_330
; %bb.329:
	s_delay_alu instid0(VALU_DEP_1) | instskip(NEXT) | instid1(VALU_DEP_2)
	v_add_co_u32 v4, vcc_lo, v71, v2
	v_add_co_ci_u32_e32 v5, vcc_lo, v72, v3, vcc_lo
	flat_load_b64 v[4:5], v[4:5]
	s_waitcnt vmcnt(0) lgkmcnt(0)
	v_mul_f64 v[4:5], v[4:5], s[38:39]
	s_branch .LBB196_331
.LBB196_330:
	v_mov_b32_e32 v4, 0
	v_mov_b32_e32 v5, 0
.LBB196_331:
	s_waitcnt vmcnt(0)
	s_delay_alu instid0(VALU_DEP_1)
	v_add_f64 v[0:1], v[0:1], v[4:5]
	v_add_co_u32 v2, vcc_lo, v68, v2
	v_add_co_ci_u32_e32 v3, vcc_lo, v69, v3, vcc_lo
	global_store_b64 v[2:3], v[0:1], off
	s_or_b32 exec_lo, exec_lo, s0
	s_and_b32 s1, s8, s17
	s_delay_alu instid0(SALU_CYCLE_1)
	s_and_saveexec_b32 s0, s1
	s_cbranch_execz .LBB196_252
.LBB196_332:
	scratch_load_b64 v[0:1], off, off offset:384
	v_cmp_ne_u32_e32 vcc_lo, 1, v70
	v_lshlrev_b64 v[2:3], 3, v[32:33]
	s_cbranch_vccnz .LBB196_334
; %bb.333:
	s_delay_alu instid0(VALU_DEP_1) | instskip(NEXT) | instid1(VALU_DEP_2)
	v_add_co_u32 v4, vcc_lo, v71, v2
	v_add_co_ci_u32_e32 v5, vcc_lo, v72, v3, vcc_lo
	flat_load_b64 v[4:5], v[4:5]
	s_waitcnt vmcnt(0) lgkmcnt(0)
	v_mul_f64 v[4:5], v[4:5], s[38:39]
	s_branch .LBB196_335
.LBB196_334:
	v_mov_b32_e32 v4, 0
	v_mov_b32_e32 v5, 0
.LBB196_335:
	s_waitcnt vmcnt(0)
	s_delay_alu instid0(VALU_DEP_1)
	v_add_f64 v[0:1], v[0:1], v[4:5]
	v_add_co_u32 v2, vcc_lo, v68, v2
	v_add_co_ci_u32_e32 v3, vcc_lo, v69, v3, vcc_lo
	global_store_b64 v[2:3], v[0:1], off
	s_or_b32 exec_lo, exec_lo, s0
	s_and_b32 s1, s8, s18
	s_delay_alu instid0(SALU_CYCLE_1)
	s_and_saveexec_b32 s0, s1
	s_cbranch_execz .LBB196_253
.LBB196_336:
	scratch_load_b64 v[0:1], off, off offset:392
	v_cmp_ne_u32_e32 vcc_lo, 1, v70
	v_lshlrev_b64 v[2:3], 3, v[34:35]
	s_cbranch_vccnz .LBB196_338
; %bb.337:
	s_delay_alu instid0(VALU_DEP_1) | instskip(NEXT) | instid1(VALU_DEP_2)
	v_add_co_u32 v4, vcc_lo, v71, v2
	v_add_co_ci_u32_e32 v5, vcc_lo, v72, v3, vcc_lo
	flat_load_b64 v[4:5], v[4:5]
	s_waitcnt vmcnt(0) lgkmcnt(0)
	v_mul_f64 v[4:5], v[4:5], s[38:39]
	s_branch .LBB196_339
.LBB196_338:
	v_mov_b32_e32 v4, 0
	v_mov_b32_e32 v5, 0
.LBB196_339:
	s_waitcnt vmcnt(0)
	s_delay_alu instid0(VALU_DEP_1)
	v_add_f64 v[0:1], v[0:1], v[4:5]
	v_add_co_u32 v2, vcc_lo, v68, v2
	v_add_co_ci_u32_e32 v3, vcc_lo, v69, v3, vcc_lo
	global_store_b64 v[2:3], v[0:1], off
	s_or_b32 exec_lo, exec_lo, s0
	s_and_b32 s1, s8, s19
	s_delay_alu instid0(SALU_CYCLE_1)
	s_and_saveexec_b32 s0, s1
	s_cbranch_execz .LBB196_254
.LBB196_340:
	scratch_load_b64 v[0:1], off, off offset:400
	v_cmp_ne_u32_e32 vcc_lo, 1, v70
	v_lshlrev_b64 v[2:3], 3, v[36:37]
	s_cbranch_vccnz .LBB196_342
; %bb.341:
	s_delay_alu instid0(VALU_DEP_1) | instskip(NEXT) | instid1(VALU_DEP_2)
	v_add_co_u32 v4, vcc_lo, v71, v2
	v_add_co_ci_u32_e32 v5, vcc_lo, v72, v3, vcc_lo
	flat_load_b64 v[4:5], v[4:5]
	s_waitcnt vmcnt(0) lgkmcnt(0)
	v_mul_f64 v[4:5], v[4:5], s[38:39]
	s_branch .LBB196_343
.LBB196_342:
	v_mov_b32_e32 v4, 0
	v_mov_b32_e32 v5, 0
.LBB196_343:
	s_waitcnt vmcnt(0)
	s_delay_alu instid0(VALU_DEP_1)
	v_add_f64 v[0:1], v[0:1], v[4:5]
	v_add_co_u32 v2, vcc_lo, v68, v2
	v_add_co_ci_u32_e32 v3, vcc_lo, v69, v3, vcc_lo
	global_store_b64 v[2:3], v[0:1], off
	s_or_b32 exec_lo, exec_lo, s0
	s_and_b32 s1, s8, s20
	s_delay_alu instid0(SALU_CYCLE_1)
	s_and_saveexec_b32 s0, s1
	s_cbranch_execz .LBB196_255
.LBB196_344:
	scratch_load_b64 v[0:1], off, off offset:408
	v_cmp_ne_u32_e32 vcc_lo, 1, v70
	v_lshlrev_b64 v[2:3], 3, v[38:39]
	s_cbranch_vccnz .LBB196_346
; %bb.345:
	s_delay_alu instid0(VALU_DEP_1) | instskip(NEXT) | instid1(VALU_DEP_2)
	v_add_co_u32 v4, vcc_lo, v71, v2
	v_add_co_ci_u32_e32 v5, vcc_lo, v72, v3, vcc_lo
	flat_load_b64 v[4:5], v[4:5]
	s_waitcnt vmcnt(0) lgkmcnt(0)
	v_mul_f64 v[4:5], v[4:5], s[38:39]
	s_branch .LBB196_347
.LBB196_346:
	v_mov_b32_e32 v4, 0
	v_mov_b32_e32 v5, 0
.LBB196_347:
	s_waitcnt vmcnt(0)
	s_delay_alu instid0(VALU_DEP_1)
	v_add_f64 v[0:1], v[0:1], v[4:5]
	v_add_co_u32 v2, vcc_lo, v68, v2
	v_add_co_ci_u32_e32 v3, vcc_lo, v69, v3, vcc_lo
	global_store_b64 v[2:3], v[0:1], off
	s_or_b32 exec_lo, exec_lo, s0
	s_and_b32 s1, s8, s21
	s_delay_alu instid0(SALU_CYCLE_1)
	s_and_saveexec_b32 s0, s1
	s_cbranch_execz .LBB196_256
.LBB196_348:
	scratch_load_b64 v[0:1], off, off offset:416
	v_cmp_ne_u32_e32 vcc_lo, 1, v70
	v_lshlrev_b64 v[2:3], 3, v[40:41]
	s_cbranch_vccnz .LBB196_350
; %bb.349:
	s_delay_alu instid0(VALU_DEP_1) | instskip(NEXT) | instid1(VALU_DEP_2)
	v_add_co_u32 v4, vcc_lo, v71, v2
	v_add_co_ci_u32_e32 v5, vcc_lo, v72, v3, vcc_lo
	flat_load_b64 v[4:5], v[4:5]
	s_waitcnt vmcnt(0) lgkmcnt(0)
	v_mul_f64 v[4:5], v[4:5], s[38:39]
	s_branch .LBB196_351
.LBB196_350:
	v_mov_b32_e32 v4, 0
	v_mov_b32_e32 v5, 0
.LBB196_351:
	s_waitcnt vmcnt(0)
	s_delay_alu instid0(VALU_DEP_1)
	v_add_f64 v[0:1], v[0:1], v[4:5]
	v_add_co_u32 v2, vcc_lo, v68, v2
	v_add_co_ci_u32_e32 v3, vcc_lo, v69, v3, vcc_lo
	global_store_b64 v[2:3], v[0:1], off
	s_or_b32 exec_lo, exec_lo, s0
	s_and_b32 s1, s8, s22
	s_delay_alu instid0(SALU_CYCLE_1)
	s_and_saveexec_b32 s0, s1
	s_cbranch_execz .LBB196_257
.LBB196_352:
	scratch_load_b64 v[0:1], off, off offset:424
	v_cmp_ne_u32_e32 vcc_lo, 1, v70
	v_lshlrev_b64 v[2:3], 3, v[42:43]
	s_cbranch_vccnz .LBB196_354
; %bb.353:
	s_delay_alu instid0(VALU_DEP_1) | instskip(NEXT) | instid1(VALU_DEP_2)
	v_add_co_u32 v4, vcc_lo, v71, v2
	v_add_co_ci_u32_e32 v5, vcc_lo, v72, v3, vcc_lo
	flat_load_b64 v[4:5], v[4:5]
	s_waitcnt vmcnt(0) lgkmcnt(0)
	v_mul_f64 v[4:5], v[4:5], s[38:39]
	s_branch .LBB196_355
.LBB196_354:
	v_mov_b32_e32 v4, 0
	v_mov_b32_e32 v5, 0
.LBB196_355:
	s_waitcnt vmcnt(0)
	s_delay_alu instid0(VALU_DEP_1)
	v_add_f64 v[0:1], v[0:1], v[4:5]
	v_add_co_u32 v2, vcc_lo, v68, v2
	v_add_co_ci_u32_e32 v3, vcc_lo, v69, v3, vcc_lo
	global_store_b64 v[2:3], v[0:1], off
	s_or_b32 exec_lo, exec_lo, s0
	s_and_b32 s1, s8, s23
	s_delay_alu instid0(SALU_CYCLE_1)
	s_and_saveexec_b32 s0, s1
	s_cbranch_execz .LBB196_258
.LBB196_356:
	scratch_load_b64 v[0:1], off, off offset:432
	v_cmp_ne_u32_e32 vcc_lo, 1, v70
	v_lshlrev_b64 v[2:3], 3, v[44:45]
	s_cbranch_vccnz .LBB196_358
; %bb.357:
	s_delay_alu instid0(VALU_DEP_1) | instskip(NEXT) | instid1(VALU_DEP_2)
	v_add_co_u32 v4, vcc_lo, v71, v2
	v_add_co_ci_u32_e32 v5, vcc_lo, v72, v3, vcc_lo
	flat_load_b64 v[4:5], v[4:5]
	s_waitcnt vmcnt(0) lgkmcnt(0)
	v_mul_f64 v[4:5], v[4:5], s[38:39]
	s_branch .LBB196_359
.LBB196_358:
	v_mov_b32_e32 v4, 0
	v_mov_b32_e32 v5, 0
.LBB196_359:
	s_waitcnt vmcnt(0)
	s_delay_alu instid0(VALU_DEP_1)
	v_add_f64 v[0:1], v[0:1], v[4:5]
	v_add_co_u32 v2, vcc_lo, v68, v2
	v_add_co_ci_u32_e32 v3, vcc_lo, v69, v3, vcc_lo
	global_store_b64 v[2:3], v[0:1], off
	s_or_b32 exec_lo, exec_lo, s0
	s_and_b32 s1, s8, s24
	s_delay_alu instid0(SALU_CYCLE_1)
	s_and_saveexec_b32 s0, s1
	s_cbranch_execz .LBB196_259
.LBB196_360:
	scratch_load_b64 v[0:1], off, off offset:440
	v_cmp_ne_u32_e32 vcc_lo, 1, v70
	v_lshlrev_b64 v[2:3], 3, v[46:47]
	s_cbranch_vccnz .LBB196_362
; %bb.361:
	s_delay_alu instid0(VALU_DEP_1) | instskip(NEXT) | instid1(VALU_DEP_2)
	v_add_co_u32 v4, vcc_lo, v71, v2
	v_add_co_ci_u32_e32 v5, vcc_lo, v72, v3, vcc_lo
	flat_load_b64 v[4:5], v[4:5]
	s_waitcnt vmcnt(0) lgkmcnt(0)
	v_mul_f64 v[4:5], v[4:5], s[38:39]
	s_branch .LBB196_363
.LBB196_362:
	v_mov_b32_e32 v4, 0
	v_mov_b32_e32 v5, 0
.LBB196_363:
	s_waitcnt vmcnt(0)
	s_delay_alu instid0(VALU_DEP_1)
	v_add_f64 v[0:1], v[0:1], v[4:5]
	v_add_co_u32 v2, vcc_lo, v68, v2
	v_add_co_ci_u32_e32 v3, vcc_lo, v69, v3, vcc_lo
	global_store_b64 v[2:3], v[0:1], off
	s_or_b32 exec_lo, exec_lo, s0
	s_and_b32 s1, s8, s25
	s_delay_alu instid0(SALU_CYCLE_1)
	s_and_saveexec_b32 s0, s1
	s_cbranch_execz .LBB196_260
.LBB196_364:
	scratch_load_b64 v[0:1], off, off offset:448
	v_cmp_ne_u32_e32 vcc_lo, 1, v70
	v_lshlrev_b64 v[2:3], 3, v[48:49]
	s_cbranch_vccnz .LBB196_366
; %bb.365:
	s_delay_alu instid0(VALU_DEP_1) | instskip(NEXT) | instid1(VALU_DEP_2)
	v_add_co_u32 v4, vcc_lo, v71, v2
	v_add_co_ci_u32_e32 v5, vcc_lo, v72, v3, vcc_lo
	flat_load_b64 v[4:5], v[4:5]
	s_waitcnt vmcnt(0) lgkmcnt(0)
	v_mul_f64 v[4:5], v[4:5], s[38:39]
	s_branch .LBB196_367
.LBB196_366:
	v_mov_b32_e32 v4, 0
	v_mov_b32_e32 v5, 0
.LBB196_367:
	s_waitcnt vmcnt(0)
	s_delay_alu instid0(VALU_DEP_1)
	v_add_f64 v[0:1], v[0:1], v[4:5]
	v_add_co_u32 v2, vcc_lo, v68, v2
	v_add_co_ci_u32_e32 v3, vcc_lo, v69, v3, vcc_lo
	global_store_b64 v[2:3], v[0:1], off
	s_or_b32 exec_lo, exec_lo, s0
	s_and_b32 s1, s8, s26
	s_delay_alu instid0(SALU_CYCLE_1)
	s_and_saveexec_b32 s0, s1
	s_cbranch_execz .LBB196_261
.LBB196_368:
	scratch_load_b64 v[0:1], off, off offset:456
	v_cmp_ne_u32_e32 vcc_lo, 1, v70
	v_lshlrev_b64 v[2:3], 3, v[50:51]
	s_cbranch_vccnz .LBB196_370
; %bb.369:
	s_delay_alu instid0(VALU_DEP_1) | instskip(NEXT) | instid1(VALU_DEP_2)
	v_add_co_u32 v4, vcc_lo, v71, v2
	v_add_co_ci_u32_e32 v5, vcc_lo, v72, v3, vcc_lo
	flat_load_b64 v[4:5], v[4:5]
	s_waitcnt vmcnt(0) lgkmcnt(0)
	v_mul_f64 v[4:5], v[4:5], s[38:39]
	s_branch .LBB196_371
.LBB196_370:
	v_mov_b32_e32 v4, 0
	v_mov_b32_e32 v5, 0
.LBB196_371:
	s_waitcnt vmcnt(0)
	s_delay_alu instid0(VALU_DEP_1)
	v_add_f64 v[0:1], v[0:1], v[4:5]
	v_add_co_u32 v2, vcc_lo, v68, v2
	v_add_co_ci_u32_e32 v3, vcc_lo, v69, v3, vcc_lo
	global_store_b64 v[2:3], v[0:1], off
	s_or_b32 exec_lo, exec_lo, s0
	s_and_b32 s1, s8, s27
	s_delay_alu instid0(SALU_CYCLE_1)
	s_and_saveexec_b32 s0, s1
	s_cbranch_execz .LBB196_262
.LBB196_372:
	scratch_load_b64 v[0:1], off, off offset:464
	v_cmp_ne_u32_e32 vcc_lo, 1, v70
	v_lshlrev_b64 v[2:3], 3, v[52:53]
	s_cbranch_vccnz .LBB196_374
; %bb.373:
	s_delay_alu instid0(VALU_DEP_1) | instskip(NEXT) | instid1(VALU_DEP_2)
	v_add_co_u32 v4, vcc_lo, v71, v2
	v_add_co_ci_u32_e32 v5, vcc_lo, v72, v3, vcc_lo
	flat_load_b64 v[4:5], v[4:5]
	s_waitcnt vmcnt(0) lgkmcnt(0)
	v_mul_f64 v[4:5], v[4:5], s[38:39]
	s_branch .LBB196_375
.LBB196_374:
	v_mov_b32_e32 v4, 0
	v_mov_b32_e32 v5, 0
.LBB196_375:
	s_waitcnt vmcnt(0)
	s_delay_alu instid0(VALU_DEP_1)
	v_add_f64 v[0:1], v[0:1], v[4:5]
	v_add_co_u32 v2, vcc_lo, v68, v2
	v_add_co_ci_u32_e32 v3, vcc_lo, v69, v3, vcc_lo
	global_store_b64 v[2:3], v[0:1], off
	s_or_b32 exec_lo, exec_lo, s0
	s_and_b32 s1, s8, s28
	s_delay_alu instid0(SALU_CYCLE_1)
	s_and_saveexec_b32 s0, s1
	s_cbranch_execz .LBB196_263
.LBB196_376:
	scratch_load_b64 v[0:1], off, off offset:472
	v_cmp_ne_u32_e32 vcc_lo, 1, v70
	v_lshlrev_b64 v[2:3], 3, v[54:55]
	s_cbranch_vccnz .LBB196_378
; %bb.377:
	s_delay_alu instid0(VALU_DEP_1) | instskip(NEXT) | instid1(VALU_DEP_2)
	v_add_co_u32 v4, vcc_lo, v71, v2
	v_add_co_ci_u32_e32 v5, vcc_lo, v72, v3, vcc_lo
	flat_load_b64 v[4:5], v[4:5]
	s_waitcnt vmcnt(0) lgkmcnt(0)
	v_mul_f64 v[4:5], v[4:5], s[38:39]
	s_branch .LBB196_379
.LBB196_378:
	v_mov_b32_e32 v4, 0
	v_mov_b32_e32 v5, 0
.LBB196_379:
	s_waitcnt vmcnt(0)
	s_delay_alu instid0(VALU_DEP_1)
	v_add_f64 v[0:1], v[0:1], v[4:5]
	v_add_co_u32 v2, vcc_lo, v68, v2
	v_add_co_ci_u32_e32 v3, vcc_lo, v69, v3, vcc_lo
	global_store_b64 v[2:3], v[0:1], off
	s_or_b32 exec_lo, exec_lo, s0
	s_and_b32 s1, s8, s29
	s_delay_alu instid0(SALU_CYCLE_1)
	s_and_saveexec_b32 s0, s1
	s_cbranch_execz .LBB196_264
.LBB196_380:
	scratch_load_b64 v[0:1], off, off offset:480
	v_cmp_ne_u32_e32 vcc_lo, 1, v70
	v_lshlrev_b64 v[2:3], 3, v[56:57]
	s_cbranch_vccnz .LBB196_382
; %bb.381:
	s_delay_alu instid0(VALU_DEP_1) | instskip(NEXT) | instid1(VALU_DEP_2)
	v_add_co_u32 v4, vcc_lo, v71, v2
	v_add_co_ci_u32_e32 v5, vcc_lo, v72, v3, vcc_lo
	flat_load_b64 v[4:5], v[4:5]
	s_waitcnt vmcnt(0) lgkmcnt(0)
	v_mul_f64 v[4:5], v[4:5], s[38:39]
	s_branch .LBB196_383
.LBB196_382:
	v_mov_b32_e32 v4, 0
	v_mov_b32_e32 v5, 0
.LBB196_383:
	s_waitcnt vmcnt(0)
	s_delay_alu instid0(VALU_DEP_1)
	v_add_f64 v[0:1], v[0:1], v[4:5]
	v_add_co_u32 v2, vcc_lo, v68, v2
	v_add_co_ci_u32_e32 v3, vcc_lo, v69, v3, vcc_lo
	global_store_b64 v[2:3], v[0:1], off
	s_or_b32 exec_lo, exec_lo, s0
	s_and_b32 s1, s8, s30
	s_delay_alu instid0(SALU_CYCLE_1)
	s_and_saveexec_b32 s0, s1
	s_cbranch_execz .LBB196_265
.LBB196_384:
	scratch_load_b64 v[0:1], off, off offset:488
	v_cmp_ne_u32_e32 vcc_lo, 1, v70
	v_lshlrev_b64 v[2:3], 3, v[58:59]
	s_cbranch_vccnz .LBB196_386
; %bb.385:
	s_delay_alu instid0(VALU_DEP_1) | instskip(NEXT) | instid1(VALU_DEP_2)
	v_add_co_u32 v4, vcc_lo, v71, v2
	v_add_co_ci_u32_e32 v5, vcc_lo, v72, v3, vcc_lo
	flat_load_b64 v[4:5], v[4:5]
	s_waitcnt vmcnt(0) lgkmcnt(0)
	v_mul_f64 v[4:5], v[4:5], s[38:39]
	s_branch .LBB196_387
.LBB196_386:
	v_mov_b32_e32 v4, 0
	v_mov_b32_e32 v5, 0
.LBB196_387:
	s_waitcnt vmcnt(0)
	s_delay_alu instid0(VALU_DEP_1)
	v_add_f64 v[0:1], v[0:1], v[4:5]
	v_add_co_u32 v2, vcc_lo, v68, v2
	v_add_co_ci_u32_e32 v3, vcc_lo, v69, v3, vcc_lo
	global_store_b64 v[2:3], v[0:1], off
	s_or_b32 exec_lo, exec_lo, s0
	s_and_b32 s1, s8, s31
	s_delay_alu instid0(SALU_CYCLE_1)
	s_and_saveexec_b32 s0, s1
	s_cbranch_execz .LBB196_266
.LBB196_388:
	scratch_load_b64 v[0:1], off, off offset:496
	v_cmp_ne_u32_e32 vcc_lo, 1, v70
	v_lshlrev_b64 v[2:3], 3, v[60:61]
	s_cbranch_vccnz .LBB196_390
; %bb.389:
	s_delay_alu instid0(VALU_DEP_1) | instskip(NEXT) | instid1(VALU_DEP_2)
	v_add_co_u32 v4, vcc_lo, v71, v2
	v_add_co_ci_u32_e32 v5, vcc_lo, v72, v3, vcc_lo
	flat_load_b64 v[4:5], v[4:5]
	s_waitcnt vmcnt(0) lgkmcnt(0)
	v_mul_f64 v[4:5], v[4:5], s[38:39]
	s_branch .LBB196_391
.LBB196_390:
	v_mov_b32_e32 v4, 0
	v_mov_b32_e32 v5, 0
.LBB196_391:
	s_waitcnt vmcnt(0)
	s_delay_alu instid0(VALU_DEP_1)
	v_add_f64 v[0:1], v[0:1], v[4:5]
	v_add_co_u32 v2, vcc_lo, v68, v2
	v_add_co_ci_u32_e32 v3, vcc_lo, v69, v3, vcc_lo
	global_store_b64 v[2:3], v[0:1], off
	s_or_b32 exec_lo, exec_lo, s0
	s_and_b32 s0, s8, s33
	s_delay_alu instid0(SALU_CYCLE_1)
	s_and_saveexec_b32 s1, s0
	s_cbranch_execz .LBB196_267
.LBB196_392:
	scratch_load_b64 v[0:1], off, off offset:504
	v_cmp_ne_u32_e32 vcc_lo, 1, v70
	v_lshlrev_b64 v[2:3], 3, v[62:63]
	s_cbranch_vccnz .LBB196_394
; %bb.393:
	s_delay_alu instid0(VALU_DEP_1) | instskip(NEXT) | instid1(VALU_DEP_2)
	v_add_co_u32 v4, vcc_lo, v71, v2
	v_add_co_ci_u32_e32 v5, vcc_lo, v72, v3, vcc_lo
	flat_load_b64 v[4:5], v[4:5]
	s_waitcnt vmcnt(0) lgkmcnt(0)
	v_mul_f64 v[4:5], v[4:5], s[38:39]
	s_branch .LBB196_395
.LBB196_394:
	v_mov_b32_e32 v4, 0
	v_mov_b32_e32 v5, 0
.LBB196_395:
	s_waitcnt vmcnt(0)
	s_delay_alu instid0(VALU_DEP_1)
	v_add_f64 v[0:1], v[0:1], v[4:5]
	v_add_co_u32 v2, vcc_lo, v68, v2
	v_add_co_ci_u32_e32 v3, vcc_lo, v69, v3, vcc_lo
	global_store_b64 v[2:3], v[0:1], off
	s_endpgm
	.section	.rodata,"a",@progbits
	.p2align	6, 0x0
	.amdhsa_kernel _ZN12_GLOBAL__N_120geam_min_plus_kernelIdddLi4ELi64ELi128ELi128ELi4ELi64ELi4ELi64ELi4ELc78ELc84ELb1ELb1ELb0EdKddEEviiiT16_PT17_ilS4_ilS2_S4_ilPT18_ili26rocblas_geam_ex_operation_
		.amdhsa_group_segment_fixed_size 16384
		.amdhsa_private_segment_fixed_size 528
		.amdhsa_kernarg_size 136
		.amdhsa_user_sgpr_count 14
		.amdhsa_user_sgpr_dispatch_ptr 0
		.amdhsa_user_sgpr_queue_ptr 0
		.amdhsa_user_sgpr_kernarg_segment_ptr 1
		.amdhsa_user_sgpr_dispatch_id 0
		.amdhsa_user_sgpr_private_segment_size 0
		.amdhsa_wavefront_size32 1
		.amdhsa_uses_dynamic_stack 0
		.amdhsa_enable_private_segment 1
		.amdhsa_system_sgpr_workgroup_id_x 1
		.amdhsa_system_sgpr_workgroup_id_y 0
		.amdhsa_system_sgpr_workgroup_id_z 1
		.amdhsa_system_sgpr_workgroup_info 0
		.amdhsa_system_vgpr_workitem_id 1
		.amdhsa_next_free_vgpr 251
		.amdhsa_next_free_sgpr 46
		.amdhsa_reserve_vcc 1
		.amdhsa_float_round_mode_32 0
		.amdhsa_float_round_mode_16_64 0
		.amdhsa_float_denorm_mode_32 3
		.amdhsa_float_denorm_mode_16_64 3
		.amdhsa_dx10_clamp 1
		.amdhsa_ieee_mode 1
		.amdhsa_fp16_overflow 0
		.amdhsa_workgroup_processor_mode 1
		.amdhsa_memory_ordered 1
		.amdhsa_forward_progress 0
		.amdhsa_shared_vgpr_count 0
		.amdhsa_exception_fp_ieee_invalid_op 0
		.amdhsa_exception_fp_denorm_src 0
		.amdhsa_exception_fp_ieee_div_zero 0
		.amdhsa_exception_fp_ieee_overflow 0
		.amdhsa_exception_fp_ieee_underflow 0
		.amdhsa_exception_fp_ieee_inexact 0
		.amdhsa_exception_int_div_zero 0
	.end_amdhsa_kernel
	.section	.text._ZN12_GLOBAL__N_120geam_min_plus_kernelIdddLi4ELi64ELi128ELi128ELi4ELi64ELi4ELi64ELi4ELc78ELc84ELb1ELb1ELb0EdKddEEviiiT16_PT17_ilS4_ilS2_S4_ilPT18_ili26rocblas_geam_ex_operation_,"axG",@progbits,_ZN12_GLOBAL__N_120geam_min_plus_kernelIdddLi4ELi64ELi128ELi128ELi4ELi64ELi4ELi64ELi4ELc78ELc84ELb1ELb1ELb0EdKddEEviiiT16_PT17_ilS4_ilS2_S4_ilPT18_ili26rocblas_geam_ex_operation_,comdat
.Lfunc_end196:
	.size	_ZN12_GLOBAL__N_120geam_min_plus_kernelIdddLi4ELi64ELi128ELi128ELi4ELi64ELi4ELi64ELi4ELc78ELc84ELb1ELb1ELb0EdKddEEviiiT16_PT17_ilS4_ilS2_S4_ilPT18_ili26rocblas_geam_ex_operation_, .Lfunc_end196-_ZN12_GLOBAL__N_120geam_min_plus_kernelIdddLi4ELi64ELi128ELi128ELi4ELi64ELi4ELi64ELi4ELc78ELc84ELb1ELb1ELb0EdKddEEviiiT16_PT17_ilS4_ilS2_S4_ilPT18_ili26rocblas_geam_ex_operation_
                                        ; -- End function
	.section	.AMDGPU.csdata,"",@progbits
; Kernel info:
; codeLenInByte = 47024
; NumSgprs: 48
; NumVgprs: 251
; ScratchSize: 528
; MemoryBound: 1
; FloatMode: 240
; IeeeMode: 1
; LDSByteSize: 16384 bytes/workgroup (compile time only)
; SGPRBlocks: 5
; VGPRBlocks: 31
; NumSGPRsForWavesPerEU: 48
; NumVGPRsForWavesPerEU: 251
; Occupancy: 5
; WaveLimiterHint : 1
; COMPUTE_PGM_RSRC2:SCRATCH_EN: 1
; COMPUTE_PGM_RSRC2:USER_SGPR: 14
; COMPUTE_PGM_RSRC2:TRAP_HANDLER: 0
; COMPUTE_PGM_RSRC2:TGID_X_EN: 1
; COMPUTE_PGM_RSRC2:TGID_Y_EN: 0
; COMPUTE_PGM_RSRC2:TGID_Z_EN: 1
; COMPUTE_PGM_RSRC2:TIDIG_COMP_CNT: 1
	.section	.text._ZN12_GLOBAL__N_120geam_min_plus_kernelIdddLi4ELi64ELi128ELi128ELi4ELi64ELi4ELi64ELi4ELc78ELc84ELb0ELb1ELb0EdKddEEviiiT16_PT17_ilS4_ilS2_S4_ilPT18_ili26rocblas_geam_ex_operation_,"axG",@progbits,_ZN12_GLOBAL__N_120geam_min_plus_kernelIdddLi4ELi64ELi128ELi128ELi4ELi64ELi4ELi64ELi4ELc78ELc84ELb0ELb1ELb0EdKddEEviiiT16_PT17_ilS4_ilS2_S4_ilPT18_ili26rocblas_geam_ex_operation_,comdat
	.globl	_ZN12_GLOBAL__N_120geam_min_plus_kernelIdddLi4ELi64ELi128ELi128ELi4ELi64ELi4ELi64ELi4ELc78ELc84ELb0ELb1ELb0EdKddEEviiiT16_PT17_ilS4_ilS2_S4_ilPT18_ili26rocblas_geam_ex_operation_ ; -- Begin function _ZN12_GLOBAL__N_120geam_min_plus_kernelIdddLi4ELi64ELi128ELi128ELi4ELi64ELi4ELi64ELi4ELc78ELc84ELb0ELb1ELb0EdKddEEviiiT16_PT17_ilS4_ilS2_S4_ilPT18_ili26rocblas_geam_ex_operation_
	.p2align	8
	.type	_ZN12_GLOBAL__N_120geam_min_plus_kernelIdddLi4ELi64ELi128ELi128ELi4ELi64ELi4ELi64ELi4ELc78ELc84ELb0ELb1ELb0EdKddEEviiiT16_PT17_ilS4_ilS2_S4_ilPT18_ili26rocblas_geam_ex_operation_,@function
_ZN12_GLOBAL__N_120geam_min_plus_kernelIdddLi4ELi64ELi128ELi128ELi4ELi64ELi4ELi64ELi4ELc78ELc84ELb0ELb1ELb0EdKddEEviiiT16_PT17_ilS4_ilS2_S4_ilPT18_ili26rocblas_geam_ex_operation_: ; @_ZN12_GLOBAL__N_120geam_min_plus_kernelIdddLi4ELi64ELi128ELi128ELi4ELi64ELi4ELi64ELi4ELc78ELc84ELb0ELb1ELb0EdKddEEviiiT16_PT17_ilS4_ilS2_S4_ilPT18_ili26rocblas_geam_ex_operation_
; %bb.0:
	s_clause 0x1
	s_load_b128 s[16:19], s[0:1], 0x10
	s_load_b128 s[4:7], s[0:1], 0x28
	s_mov_b64 s[12:13], 0
	s_waitcnt lgkmcnt(0)
	v_cmp_eq_f64_e64 s8, s[16:17], 0
	s_delay_alu instid0(VALU_DEP_1)
	s_and_b32 vcc_lo, exec_lo, s8
	s_cbranch_vccnz .LBB197_2
; %bb.1:
	s_mul_i32 s2, s15, s5
	s_mul_hi_u32 s3, s15, s4
	s_delay_alu instid0(SALU_CYCLE_1) | instskip(SKIP_1) | instid1(SALU_CYCLE_1)
	s_add_i32 s3, s3, s2
	s_mul_i32 s2, s15, s4
	s_lshl_b64 s[2:3], s[2:3], 3
	s_delay_alu instid0(SALU_CYCLE_1)
	s_add_u32 s12, s18, s2
	s_addc_u32 s13, s19, s3
.LBB197_2:
	s_clause 0x1
	s_load_b128 s[36:39], s[0:1], 0x40
	s_load_b64 s[2:3], s[0:1], 0x50
	s_and_not1_b32 vcc_lo, exec_lo, s8
	s_cbranch_vccnz .LBB197_4
; %bb.3:
	s_mov_b32 s20, 0
	s_mov_b64 s[18:19], 0
	s_cbranch_execz .LBB197_5
	s_branch .LBB197_6
.LBB197_4:
	s_mov_b32 s20, -1
                                        ; implicit-def: $sgpr18_sgpr19
.LBB197_5:
	s_waitcnt lgkmcnt(0)
	s_mul_i32 s4, s15, s37
	s_mul_hi_u32 s5, s15, s36
	s_mov_b32 s20, 0
	s_add_i32 s5, s5, s4
	s_mul_i32 s4, s15, s36
	s_delay_alu instid0(SALU_CYCLE_1) | instskip(NEXT) | instid1(SALU_CYCLE_1)
	s_lshl_b64 s[4:5], s[4:5], 3
	s_add_u32 s18, s6, s4
	s_addc_u32 s19, s7, s5
.LBB197_6:
	s_waitcnt lgkmcnt(0)
	v_cmp_eq_f64_e64 s4, s[38:39], 0
	v_cmp_neq_f64_e64 s36, s[38:39], 0
	s_load_b128 s[8:11], s[0:1], 0x60
	s_mov_b64 s[34:35], 0
	s_delay_alu instid0(VALU_DEP_2)
	s_and_b32 vcc_lo, exec_lo, s4
	s_cbranch_vccnz .LBB197_8
; %bb.7:
	s_waitcnt lgkmcnt(0)
	s_mul_i32 s4, s15, s9
	s_mul_hi_u32 s5, s15, s8
	s_mul_i32 s6, s20, s8
	s_add_i32 s4, s5, s4
	s_delay_alu instid0(SALU_CYCLE_1) | instskip(SKIP_1) | instid1(SALU_CYCLE_1)
	s_add_i32 s5, s4, s6
	s_mul_i32 s4, s15, s8
	s_lshl_b64 s[4:5], s[4:5], 3
	s_delay_alu instid0(SALU_CYCLE_1)
	s_add_u32 s34, s2, s4
	s_addc_u32 s35, s3, s5
.LBB197_8:
	s_clause 0x1
	s_load_b128 s[40:43], s[0:1], 0x0
	s_load_b32 s21, s[0:1], 0x20
	s_mov_b32 s2, 0
	v_bfe_u32 v81, v0, 10, 10
	s_mov_b32 s3, s2
	s_delay_alu instid0(SALU_CYCLE_1) | instskip(SKIP_2) | instid1(VALU_DEP_3)
	v_dual_mov_b32 v5, s3 :: v_dual_and_b32 v80, 0x3ff, v0
	v_mov_b32_e32 v4, s2
	v_cmp_eq_f64_e64 s22, s[16:17], 0
	v_lshl_add_u32 v0, v81, 2, v80
	s_delay_alu instid0(VALU_DEP_1) | instskip(SKIP_3) | instid1(VALU_DEP_2)
	v_lshrrev_b32_e32 v82, 6, v0
	v_and_b32_e32 v88, 63, v0
	s_waitcnt lgkmcnt(0)
	s_add_i32 s2, s40, -1
	v_cmp_le_i32_e32 vcc_lo, s42, v82
	s_ashr_i32 s3, s2, 31
	s_delay_alu instid0(SALU_CYCLE_1) | instskip(NEXT) | instid1(SALU_CYCLE_1)
	s_lshr_b32 s3, s3, 25
	s_add_i32 s2, s2, s3
	s_delay_alu instid0(SALU_CYCLE_1) | instskip(NEXT) | instid1(SALU_CYCLE_1)
	s_ashr_i32 s2, s2, 7
	s_add_i32 s3, s2, 1
	s_not_b32 s2, s2
	v_cvt_f32_u32_e32 v1, s3
	s_delay_alu instid0(VALU_DEP_1)
	v_rcp_iflag_f32_e32 v1, v1
	s_waitcnt_depctr 0xfff
	v_mul_f32_e32 v1, 0x4f7ffffe, v1
	s_clause 0xe
	scratch_store_b64 off, v[4:5], off
	scratch_store_b64 off, v[4:5], off offset:8
	scratch_store_b64 off, v[4:5], off offset:16
	scratch_store_b64 off, v[4:5], off offset:24
	scratch_store_b64 off, v[4:5], off offset:32
	scratch_store_b64 off, v[4:5], off offset:40
	scratch_store_b64 off, v[4:5], off offset:48
	scratch_store_b64 off, v[4:5], off offset:56
	scratch_store_b64 off, v[4:5], off offset:64
	scratch_store_b64 off, v[4:5], off offset:72
	scratch_store_b64 off, v[4:5], off offset:80
	scratch_store_b64 off, v[4:5], off offset:88
	scratch_store_b64 off, v[4:5], off offset:96
	scratch_store_b64 off, v[4:5], off offset:104
	scratch_store_b64 off, v[4:5], off offset:112
	v_cvt_u32_f32_e32 v1, v1
	s_clause 0xe
	scratch_store_b64 off, v[4:5], off offset:120
	scratch_store_b64 off, v[4:5], off offset:128
	;; [unrolled: 1-line block ×15, first 2 shown]
	v_readfirstlane_b32 s4, v1
	s_clause 0xd
	scratch_store_b64 off, v[4:5], off offset:240
	scratch_store_b64 off, v[4:5], off offset:248
	;; [unrolled: 1-line block ×14, first 2 shown]
	s_mul_i32 s2, s2, s4
	s_clause 0x3
	scratch_store_b64 off, v[4:5], off offset:352
	scratch_store_b64 off, v[4:5], off offset:360
	;; [unrolled: 1-line block ×4, first 2 shown]
	s_mul_hi_u32 s2, s4, s2
	scratch_store_b64 off, v[4:5], off offset:384
	s_add_i32 s4, s4, s2
	s_clause 0x1
	scratch_store_b64 off, v[4:5], off offset:392
	scratch_store_b64 off, v[4:5], off offset:400
	s_mul_hi_u32 s2, s14, s4
	scratch_store_b64 off, v[4:5], off offset:408
	s_mul_i32 s4, s2, s3
	s_add_i32 s5, s2, 1
	s_sub_i32 s4, s14, s4
	s_clause 0x2
	scratch_store_b64 off, v[4:5], off offset:416
	scratch_store_b64 off, v[4:5], off offset:424
	scratch_store_b64 off, v[4:5], off offset:432
	s_sub_i32 s6, s4, s3
	s_cmp_ge_u32 s4, s3
	s_clause 0x4
	scratch_store_b64 off, v[4:5], off offset:440
	scratch_store_b64 off, v[4:5], off offset:448
	scratch_store_b64 off, v[4:5], off offset:456
	scratch_store_b64 off, v[4:5], off offset:464
	scratch_store_b64 off, v[4:5], off offset:472
	s_cselect_b32 s2, s5, s2
	s_cselect_b32 s4, s6, s4
	s_add_i32 s5, s2, 1
	s_cmp_ge_u32 s4, s3
	s_clause 0x3
	scratch_store_b64 off, v[4:5], off offset:480
	scratch_store_b64 off, v[4:5], off offset:488
	;; [unrolled: 1-line block ×4, first 2 shown]
	s_cselect_b32 s5, s5, s2
	s_delay_alu instid0(SALU_CYCLE_1) | instskip(NEXT) | instid1(SALU_CYCLE_1)
	s_mul_i32 s2, s5, s3
	s_sub_i32 s2, s14, s2
	s_add_i32 s14, s42, -1
	s_lshl_b32 s8, s2, 7
	v_min_i32_e32 v6, s14, v82
	s_delay_alu instid0(VALU_DEP_1) | instskip(NEXT) | instid1(VALU_DEP_1)
	v_mad_i64_i32 v[0:1], null, s21, v6, 0
	v_lshlrev_b64 v[2:3], 3, v[0:1]
	v_mov_b32_e32 v0, 0
	v_mov_b32_e32 v1, 0
	v_or_b32_e32 v68, s8, v88
	s_delay_alu instid0(VALU_DEP_4) | instskip(NEXT) | instid1(VALU_DEP_2)
	v_add_co_u32 v7, s3, s12, v2
	v_cmp_le_i32_e64 s2, s40, v68
	v_add_co_ci_u32_e64 v8, s3, s13, v3, s3
	v_ashrrev_i32_e32 v69, 31, v68
	v_dual_mov_b32 v3, v1 :: v_dual_mov_b32 v2, v0
	s_delay_alu instid0(VALU_DEP_4) | instskip(NEXT) | instid1(SALU_CYCLE_1)
	s_or_b32 s3, s2, vcc_lo
	s_or_b32 s3, s22, s3
	s_delay_alu instid0(SALU_CYCLE_1) | instskip(NEXT) | instid1(SALU_CYCLE_1)
	s_xor_b32 s3, s3, -1
	s_and_saveexec_b32 s4, s3
	s_cbranch_execz .LBB197_10
; %bb.9:
	v_lshlrev_b64 v[2:3], 3, v[68:69]
	s_delay_alu instid0(VALU_DEP_1) | instskip(NEXT) | instid1(VALU_DEP_1)
	v_add_co_u32 v2, s3, v7, v2
	v_add_co_ci_u32_e64 v3, s3, v8, v3, s3
	flat_load_b64 v[2:3], v[2:3]
	s_waitcnt vmcnt(0) lgkmcnt(0)
	v_mul_f64 v[2:3], v[2:3], s[16:17]
.LBB197_10:
	s_or_b32 exec_lo, exec_lo, s4
	v_or_b32_e32 v4, 64, v68
	s_delay_alu instid0(VALU_DEP_1) | instskip(SKIP_1) | instid1(VALU_DEP_2)
	v_cmp_le_i32_e64 s3, s40, v4
	v_dual_mov_b32 v5, v1 :: v_dual_mov_b32 v4, v0
	s_or_b32 s4, s3, vcc_lo
	s_delay_alu instid0(SALU_CYCLE_1) | instskip(NEXT) | instid1(SALU_CYCLE_1)
	s_or_b32 s4, s22, s4
	s_xor_b32 s4, s4, -1
	s_delay_alu instid0(SALU_CYCLE_1)
	s_and_saveexec_b32 s6, s4
	s_cbranch_execz .LBB197_12
; %bb.11:
	v_lshlrev_b64 v[4:5], 3, v[68:69]
	s_delay_alu instid0(VALU_DEP_1) | instskip(NEXT) | instid1(VALU_DEP_1)
	v_add_co_u32 v4, s4, v7, v4
	v_add_co_ci_u32_e64 v5, s4, v8, v5, s4
	flat_load_b64 v[4:5], v[4:5] offset:512
	s_waitcnt vmcnt(0) lgkmcnt(0)
	v_mul_f64 v[4:5], v[4:5], s[16:17]
.LBB197_12:
	s_or_b32 exec_lo, exec_lo, s6
	s_load_b32 s23, s[0:1], 0x38
	s_lshl_b32 s9, s5, 7
	s_delay_alu instid0(SALU_CYCLE_1) | instskip(NEXT) | instid1(VALU_DEP_1)
	v_or_b32_e32 v70, s9, v88
	v_cmp_le_i32_e64 s4, s41, v70
	v_ashrrev_i32_e32 v71, 31, v70
	s_delay_alu instid0(VALU_DEP_2) | instskip(SKIP_2) | instid1(VALU_DEP_1)
	s_or_b32 s6, s4, vcc_lo
	s_waitcnt lgkmcnt(0)
	v_mad_i64_i32 v[7:8], null, s23, v6, 0
	v_lshlrev_b64 v[6:7], 3, v[7:8]
	s_delay_alu instid0(VALU_DEP_1) | instskip(NEXT) | instid1(VALU_DEP_1)
	v_add_co_u32 v8, s5, s18, v6
	v_add_co_ci_u32_e64 v9, s5, s19, v7, s5
	s_or_b32 s5, s22, s6
	s_delay_alu instid0(SALU_CYCLE_1) | instskip(NEXT) | instid1(SALU_CYCLE_1)
	s_xor_b32 s5, s5, -1
	s_and_saveexec_b32 s6, s5
	s_cbranch_execz .LBB197_14
; %bb.13:
	v_lshlrev_b64 v[0:1], 3, v[70:71]
	s_delay_alu instid0(VALU_DEP_1) | instskip(NEXT) | instid1(VALU_DEP_1)
	v_add_co_u32 v0, s5, v8, v0
	v_add_co_ci_u32_e64 v1, s5, v9, v1, s5
	flat_load_b64 v[0:1], v[0:1]
	s_waitcnt vmcnt(0) lgkmcnt(0)
	v_mul_f64 v[0:1], v[0:1], s[16:17]
.LBB197_14:
	s_or_b32 exec_lo, exec_lo, s6
	v_or_b32_e32 v6, 64, v70
	v_mov_b32_e32 v72, 0
	v_mov_b32_e32 v73, 0
	s_delay_alu instid0(VALU_DEP_3) | instskip(NEXT) | instid1(VALU_DEP_2)
	v_cmp_le_i32_e64 s5, s41, v6
	v_dual_mov_b32 v6, v72 :: v_dual_mov_b32 v7, v73
	s_delay_alu instid0(VALU_DEP_2) | instskip(NEXT) | instid1(SALU_CYCLE_1)
	s_or_b32 s6, s5, vcc_lo
	s_or_b32 s6, s22, s6
	s_delay_alu instid0(SALU_CYCLE_1) | instskip(NEXT) | instid1(SALU_CYCLE_1)
	s_xor_b32 s7, s6, -1
	s_and_saveexec_b32 s6, s7
	s_cbranch_execz .LBB197_16
; %bb.15:
	v_lshlrev_b64 v[6:7], 3, v[70:71]
	s_delay_alu instid0(VALU_DEP_1) | instskip(NEXT) | instid1(VALU_DEP_2)
	v_add_co_u32 v6, vcc_lo, v8, v6
	v_add_co_ci_u32_e32 v7, vcc_lo, v9, v7, vcc_lo
	flat_load_b64 v[6:7], v[6:7] offset:512
	s_waitcnt vmcnt(0) lgkmcnt(0)
	v_mul_f64 v[6:7], v[6:7], s[16:17]
.LBB197_16:
	s_or_b32 exec_lo, exec_lo, s6
	v_add_nc_u32_e32 v11, 4, v82
	s_delay_alu instid0(VALU_DEP_1) | instskip(SKIP_1) | instid1(VALU_DEP_2)
	v_min_i32_e32 v8, s14, v11
	v_cmp_le_i32_e32 vcc_lo, s42, v11
	v_mad_i64_i32 v[9:10], null, s21, v8, 0
	s_or_b32 s7, s2, vcc_lo
	s_delay_alu instid0(VALU_DEP_1) | instskip(NEXT) | instid1(VALU_DEP_1)
	v_lshlrev_b64 v[9:10], 3, v[9:10]
	v_add_co_u32 v9, s6, s12, v9
	s_delay_alu instid0(VALU_DEP_1) | instskip(SKIP_1) | instid1(SALU_CYCLE_1)
	v_add_co_ci_u32_e64 v10, s6, s13, v10, s6
	s_or_b32 s6, s22, s7
	s_xor_b32 s6, s6, -1
	s_delay_alu instid0(SALU_CYCLE_1)
	s_and_saveexec_b32 s7, s6
	s_cbranch_execz .LBB197_18
; %bb.17:
	v_lshlrev_b64 v[11:12], 3, v[68:69]
	s_delay_alu instid0(VALU_DEP_1) | instskip(NEXT) | instid1(VALU_DEP_1)
	v_add_co_u32 v11, s6, v9, v11
	v_add_co_ci_u32_e64 v12, s6, v10, v12, s6
	flat_load_b64 v[11:12], v[11:12]
	s_waitcnt vmcnt(0) lgkmcnt(0)
	v_mul_f64 v[72:73], v[11:12], s[16:17]
.LBB197_18:
	s_or_b32 exec_lo, exec_lo, s7
	v_mov_b32_e32 v74, 0
	v_mov_b32_e32 v75, 0
	s_or_b32 s6, s3, vcc_lo
	s_delay_alu instid0(SALU_CYCLE_1) | instskip(NEXT) | instid1(SALU_CYCLE_1)
	s_or_b32 s6, s22, s6
	s_xor_b32 s6, s6, -1
	s_delay_alu instid0(VALU_DEP_1)
	v_dual_mov_b32 v77, v75 :: v_dual_mov_b32 v76, v74
	s_and_saveexec_b32 s7, s6
	s_cbranch_execz .LBB197_20
; %bb.19:
	v_lshlrev_b64 v[11:12], 3, v[68:69]
	s_delay_alu instid0(VALU_DEP_1) | instskip(NEXT) | instid1(VALU_DEP_1)
	v_add_co_u32 v9, s6, v9, v11
	v_add_co_ci_u32_e64 v10, s6, v10, v12, s6
	flat_load_b64 v[9:10], v[9:10] offset:512
	s_waitcnt vmcnt(0) lgkmcnt(0)
	v_mul_f64 v[76:77], v[9:10], s[16:17]
.LBB197_20:
	s_or_b32 exec_lo, exec_lo, s7
	v_mad_i64_i32 v[9:10], null, s23, v8, 0
	s_or_b32 s7, s4, vcc_lo
	s_delay_alu instid0(VALU_DEP_1) | instskip(NEXT) | instid1(VALU_DEP_1)
	v_lshlrev_b64 v[8:9], 3, v[9:10]
	v_add_co_u32 v8, s6, s18, v8
	s_delay_alu instid0(VALU_DEP_1) | instskip(SKIP_1) | instid1(SALU_CYCLE_1)
	v_add_co_ci_u32_e64 v9, s6, s19, v9, s6
	s_or_b32 s6, s22, s7
	s_xor_b32 s6, s6, -1
	s_delay_alu instid0(SALU_CYCLE_1)
	s_and_saveexec_b32 s7, s6
	s_cbranch_execz .LBB197_22
; %bb.21:
	v_lshlrev_b64 v[10:11], 3, v[70:71]
	s_delay_alu instid0(VALU_DEP_1) | instskip(NEXT) | instid1(VALU_DEP_1)
	v_add_co_u32 v10, s6, v8, v10
	v_add_co_ci_u32_e64 v11, s6, v9, v11, s6
	flat_load_b64 v[10:11], v[10:11]
	s_waitcnt vmcnt(0) lgkmcnt(0)
	v_mul_f64 v[74:75], v[10:11], s[16:17]
.LBB197_22:
	s_or_b32 exec_lo, exec_lo, s7
	s_or_b32 s6, s5, vcc_lo
	v_mov_b32_e32 v78, 0
	v_mov_b32_e32 v79, 0
	s_or_b32 s6, s22, s6
	s_delay_alu instid0(SALU_CYCLE_1) | instskip(NEXT) | instid1(SALU_CYCLE_1)
	s_xor_b32 s7, s6, -1
	s_and_saveexec_b32 s6, s7
	s_cbranch_execz .LBB197_24
; %bb.23:
	v_lshlrev_b64 v[10:11], 3, v[70:71]
	s_delay_alu instid0(VALU_DEP_1) | instskip(NEXT) | instid1(VALU_DEP_2)
	v_add_co_u32 v8, vcc_lo, v8, v10
	v_add_co_ci_u32_e32 v9, vcc_lo, v9, v11, vcc_lo
	flat_load_b64 v[8:9], v[8:9] offset:512
	s_waitcnt vmcnt(0) lgkmcnt(0)
	v_mul_f64 v[78:79], v[8:9], s[16:17]
.LBB197_24:
	s_or_b32 exec_lo, exec_lo, s6
	v_dual_mov_b32 v89, 0 :: v_dual_lshlrev_b32 v8, 3, v82
	v_dual_mov_b32 v90, 8 :: v_dual_lshlrev_b32 v83, 5, v80
	;; [unrolled: 1-line block ×3, first 2 shown]
	s_delay_alu instid0(VALU_DEP_3) | instskip(NEXT) | instid1(VALU_DEP_3)
	v_lshl_add_u32 v84, v88, 5, v8
	v_dual_mov_b32 v91, 16 :: v_dual_add_nc_u32 v48, 0x800, v83
	s_delay_alu instid0(VALU_DEP_3)
	v_dual_mov_b32 v94, 40 :: v_dual_add_nc_u32 v87, 0x2000, v85
	ds_store_2addr_stride64_b64 v84, v[2:3], v[4:5] offset1:4
	ds_store_2addr_stride64_b64 v84, v[0:1], v[6:7] offset0:16 offset1:20
	s_waitcnt lgkmcnt(0)
	s_waitcnt_vscnt null, 0x0
	s_barrier
	buffer_gl0_inv
	ds_load_2addr_b64 v[0:3], v83 offset1:16
	ds_load_2addr_b64 v[4:7], v83 offset0:32 offset1:48
	ds_load_2addr_b64 v[8:11], v83 offset0:64 offset1:80
	;; [unrolled: 1-line block ×4, first 2 shown]
	ds_load_2addr_b64 v[20:23], v48 offset1:16
	ds_load_2addr_b64 v[24:27], v48 offset0:32 offset1:48
	ds_load_2addr_b64 v[28:31], v48 offset0:64 offset1:80
	;; [unrolled: 1-line block ×10, first 2 shown]
	ds_load_2addr_stride64_b64 v[64:67], v85 offset0:16 offset1:20
	v_or_b32_e32 v86, 0x2000, v84
	v_dual_mov_b32 v93, 32 :: v_dual_mov_b32 v96, 56
	v_dual_mov_b32 v95, 48 :: v_dual_mov_b32 v98, 0x48
	;; [unrolled: 1-line block ×3, first 2 shown]
	v_mov_b32_e32 v99, 0x50
	v_mov_b32_e32 v101, 0x60
	;; [unrolled: 1-line block ×21, first 2 shown]
	s_mov_b64 s[6:7], 0
	s_mov_b32 s24, -1
.LBB197_25:                             ; =>This Inner Loop Header: Depth=1
	scratch_load_b64 v[121:122], v89, off
	scratch_load_b64 v[123:124], v90, off
	;; [unrolled: 1-line block ×32, first 2 shown]
	s_cmp_eq_u32 s6, 1
	s_waitcnt lgkmcnt(16)
	v_max_f64 v[187:188], v[0:1], v[0:1]
	s_cselect_b32 vcc_lo, -1, 0
	v_max_f64 v[189:190], v[2:3], v[2:3]
	s_waitcnt lgkmcnt(0)
	v_dual_cndmask_b32 v186, v65, v67 :: v_dual_cndmask_b32 v185, v64, v66
	v_max_f64 v[191:192], v[4:5], v[4:5]
	v_max_f64 v[193:194], v[6:7], v[6:7]
	;; [unrolled: 1-line block ×31, first 2 shown]
	s_mov_b64 s[6:7], 1
	s_and_b32 vcc_lo, exec_lo, s24
	s_mov_b32 s24, 0
	v_min_f64 v[187:188], v[187:188], v[185:186]
	v_min_f64 v[189:190], v[189:190], v[185:186]
	;; [unrolled: 1-line block ×32, first 2 shown]
	s_waitcnt vmcnt(31)
	v_add_f64 v[121:122], v[121:122], v[187:188]
	s_waitcnt vmcnt(30)
	v_add_f64 v[123:124], v[189:190], v[123:124]
	;; [unrolled: 2-line block ×32, first 2 shown]
	scratch_store_b64 v89, v[121:122], off
	scratch_store_b64 v90, v[123:124], off
	;; [unrolled: 1-line block ×32, first 2 shown]
	v_mov_b32_e32 v89, 0x100
	v_mov_b32_e32 v90, 0x108
	;; [unrolled: 1-line block ×32, first 2 shown]
	s_cbranch_vccnz .LBB197_25
; %bb.26:
	v_dual_mov_b32 v89, 0 :: v_dual_add_nc_u32 v60, 0x800, v83
	ds_load_2addr_b64 v[0:3], v83 offset0:1 offset1:17
	ds_load_2addr_b64 v[4:7], v83 offset0:33 offset1:49
	;; [unrolled: 1-line block ×12, first 2 shown]
	v_dual_mov_b32 v91, 16 :: v_dual_add_nc_u32 v64, 8, v87
	ds_load_2addr_b64 v[48:51], v60 offset0:129 offset1:145
	ds_load_2addr_b64 v[52:55], v60 offset0:161 offset1:177
	;; [unrolled: 1-line block ×4, first 2 shown]
	ds_load_2addr_stride64_b64 v[64:67], v64 offset1:4
	v_dual_mov_b32 v90, 8 :: v_dual_mov_b32 v93, 32
	v_dual_mov_b32 v92, 24 :: v_dual_mov_b32 v95, 48
	;; [unrolled: 1-line block ×4, first 2 shown]
	v_mov_b32_e32 v98, 0x48
	v_mov_b32_e32 v100, 0x58
	v_mov_b32_e32 v101, 0x60
	v_mov_b32_e32 v102, 0x68
	v_mov_b32_e32 v103, 0x70
	v_mov_b32_e32 v104, 0x78
	v_mov_b32_e32 v105, 0x80
	v_mov_b32_e32 v106, 0x88
	v_mov_b32_e32 v107, 0x90
	v_mov_b32_e32 v108, 0x98
	v_mov_b32_e32 v109, 0xa0
	v_mov_b32_e32 v110, 0xa8
	v_mov_b32_e32 v111, 0xb0
	v_mov_b32_e32 v112, 0xb8
	v_mov_b32_e32 v113, 0xc0
	v_mov_b32_e32 v114, 0xc8
	v_mov_b32_e32 v115, 0xd0
	v_mov_b32_e32 v116, 0xd8
	v_mov_b32_e32 v117, 0xe0
	v_mov_b32_e32 v118, 0xe8
	v_mov_b32_e32 v119, 0xf0
	v_mov_b32_e32 v120, 0xf8
	s_mov_b64 s[6:7], 0
	s_mov_b32 s24, -1
.LBB197_27:                             ; =>This Inner Loop Header: Depth=1
	scratch_load_b64 v[121:122], v89, off
	scratch_load_b64 v[123:124], v90, off
	;; [unrolled: 1-line block ×32, first 2 shown]
	s_cmp_eq_u32 s6, 1
	s_waitcnt lgkmcnt(16)
	v_max_f64 v[187:188], v[0:1], v[0:1]
	s_cselect_b32 vcc_lo, -1, 0
	v_max_f64 v[189:190], v[2:3], v[2:3]
	s_waitcnt lgkmcnt(0)
	v_dual_cndmask_b32 v186, v65, v67 :: v_dual_cndmask_b32 v185, v64, v66
	v_max_f64 v[191:192], v[4:5], v[4:5]
	v_max_f64 v[193:194], v[6:7], v[6:7]
	;; [unrolled: 1-line block ×31, first 2 shown]
	s_mov_b64 s[6:7], 1
	s_and_b32 vcc_lo, exec_lo, s24
	s_mov_b32 s24, 0
	v_min_f64 v[187:188], v[187:188], v[185:186]
	v_min_f64 v[189:190], v[189:190], v[185:186]
	;; [unrolled: 1-line block ×32, first 2 shown]
	s_waitcnt vmcnt(31)
	v_add_f64 v[121:122], v[121:122], v[187:188]
	s_waitcnt vmcnt(30)
	v_add_f64 v[123:124], v[189:190], v[123:124]
	;; [unrolled: 2-line block ×32, first 2 shown]
	scratch_store_b64 v89, v[121:122], off
	scratch_store_b64 v90, v[123:124], off
	;; [unrolled: 1-line block ×32, first 2 shown]
	v_mov_b32_e32 v89, 0x100
	v_mov_b32_e32 v90, 0x108
	v_mov_b32_e32 v91, 0x110
	v_mov_b32_e32 v92, 0x118
	v_mov_b32_e32 v93, 0x120
	v_mov_b32_e32 v94, 0x128
	v_mov_b32_e32 v95, 0x130
	v_mov_b32_e32 v96, 0x138
	v_mov_b32_e32 v97, 0x140
	v_mov_b32_e32 v98, 0x148
	v_mov_b32_e32 v99, 0x150
	v_mov_b32_e32 v100, 0x158
	v_mov_b32_e32 v101, 0x160
	v_mov_b32_e32 v102, 0x168
	v_mov_b32_e32 v103, 0x170
	v_mov_b32_e32 v104, 0x178
	v_mov_b32_e32 v105, 0x180
	v_mov_b32_e32 v106, 0x188
	v_mov_b32_e32 v107, 0x190
	v_mov_b32_e32 v108, 0x198
	v_mov_b32_e32 v109, 0x1a0
	v_mov_b32_e32 v110, 0x1a8
	v_mov_b32_e32 v111, 0x1b0
	v_mov_b32_e32 v112, 0x1b8
	v_mov_b32_e32 v113, 0x1c0
	v_mov_b32_e32 v114, 0x1c8
	v_mov_b32_e32 v115, 0x1d0
	v_mov_b32_e32 v116, 0x1d8
	v_mov_b32_e32 v117, 0x1e0
	v_mov_b32_e32 v118, 0x1e8
	v_mov_b32_e32 v119, 0x1f0
	v_mov_b32_e32 v120, 0x1f8
	s_cbranch_vccnz .LBB197_27
; %bb.28:
	v_dual_mov_b32 v89, 0 :: v_dual_add_nc_u32 v60, 0x800, v83
	ds_load_2addr_b64 v[0:3], v83 offset0:2 offset1:18
	ds_load_2addr_b64 v[4:7], v83 offset0:34 offset1:50
	;; [unrolled: 1-line block ×12, first 2 shown]
	v_dual_mov_b32 v91, 16 :: v_dual_add_nc_u32 v64, 16, v87
	ds_load_2addr_b64 v[48:51], v60 offset0:130 offset1:146
	ds_load_2addr_b64 v[52:55], v60 offset0:162 offset1:178
	;; [unrolled: 1-line block ×4, first 2 shown]
	ds_load_2addr_stride64_b64 v[64:67], v64 offset1:4
	v_dual_mov_b32 v90, 8 :: v_dual_mov_b32 v93, 32
	v_dual_mov_b32 v92, 24 :: v_dual_mov_b32 v95, 48
	;; [unrolled: 1-line block ×4, first 2 shown]
	v_mov_b32_e32 v98, 0x48
	v_mov_b32_e32 v100, 0x58
	;; [unrolled: 1-line block ×22, first 2 shown]
	s_mov_b64 s[6:7], 0
	s_mov_b32 s24, -1
.LBB197_29:                             ; =>This Inner Loop Header: Depth=1
	scratch_load_b64 v[121:122], v89, off
	scratch_load_b64 v[123:124], v90, off
	;; [unrolled: 1-line block ×32, first 2 shown]
	s_cmp_eq_u32 s6, 1
	s_waitcnt lgkmcnt(16)
	v_max_f64 v[187:188], v[0:1], v[0:1]
	s_cselect_b32 vcc_lo, -1, 0
	v_max_f64 v[189:190], v[2:3], v[2:3]
	s_waitcnt lgkmcnt(0)
	v_dual_cndmask_b32 v186, v65, v67 :: v_dual_cndmask_b32 v185, v64, v66
	v_max_f64 v[191:192], v[4:5], v[4:5]
	v_max_f64 v[193:194], v[6:7], v[6:7]
	;; [unrolled: 1-line block ×31, first 2 shown]
	s_mov_b64 s[6:7], 1
	s_and_b32 vcc_lo, exec_lo, s24
	s_mov_b32 s24, 0
	v_min_f64 v[187:188], v[187:188], v[185:186]
	v_min_f64 v[189:190], v[189:190], v[185:186]
	;; [unrolled: 1-line block ×32, first 2 shown]
	s_waitcnt vmcnt(31)
	v_add_f64 v[121:122], v[121:122], v[187:188]
	s_waitcnt vmcnt(30)
	v_add_f64 v[123:124], v[189:190], v[123:124]
	;; [unrolled: 2-line block ×32, first 2 shown]
	scratch_store_b64 v89, v[121:122], off
	scratch_store_b64 v90, v[123:124], off
	;; [unrolled: 1-line block ×32, first 2 shown]
	v_mov_b32_e32 v89, 0x100
	v_mov_b32_e32 v90, 0x108
	;; [unrolled: 1-line block ×32, first 2 shown]
	s_cbranch_vccnz .LBB197_29
; %bb.30:
	v_dual_mov_b32 v89, 0 :: v_dual_add_nc_u32 v60, 0x800, v83
	ds_load_2addr_b64 v[0:3], v83 offset0:3 offset1:19
	ds_load_2addr_b64 v[4:7], v83 offset0:35 offset1:51
	;; [unrolled: 1-line block ×12, first 2 shown]
	v_dual_mov_b32 v91, 16 :: v_dual_add_nc_u32 v64, 24, v87
	ds_load_2addr_b64 v[48:51], v60 offset0:131 offset1:147
	ds_load_2addr_b64 v[52:55], v60 offset0:163 offset1:179
	;; [unrolled: 1-line block ×4, first 2 shown]
	ds_load_2addr_stride64_b64 v[64:67], v64 offset1:4
	v_dual_mov_b32 v90, 8 :: v_dual_mov_b32 v93, 32
	v_dual_mov_b32 v92, 24 :: v_dual_mov_b32 v95, 48
	;; [unrolled: 1-line block ×4, first 2 shown]
	v_mov_b32_e32 v98, 0x48
	v_mov_b32_e32 v100, 0x58
	;; [unrolled: 1-line block ×22, first 2 shown]
	s_mov_b64 s[6:7], 0
	s_mov_b32 s24, -1
.LBB197_31:                             ; =>This Inner Loop Header: Depth=1
	scratch_load_b64 v[121:122], v89, off
	scratch_load_b64 v[123:124], v90, off
	;; [unrolled: 1-line block ×32, first 2 shown]
	s_cmp_eq_u32 s6, 1
	s_waitcnt lgkmcnt(16)
	v_max_f64 v[187:188], v[0:1], v[0:1]
	s_cselect_b32 vcc_lo, -1, 0
	v_max_f64 v[189:190], v[2:3], v[2:3]
	s_waitcnt lgkmcnt(0)
	v_dual_cndmask_b32 v186, v65, v67 :: v_dual_cndmask_b32 v185, v64, v66
	v_max_f64 v[191:192], v[4:5], v[4:5]
	v_max_f64 v[193:194], v[6:7], v[6:7]
	;; [unrolled: 1-line block ×31, first 2 shown]
	s_mov_b64 s[6:7], 1
	s_and_b32 vcc_lo, exec_lo, s24
	s_mov_b32 s24, 0
	v_min_f64 v[187:188], v[187:188], v[185:186]
	v_min_f64 v[189:190], v[189:190], v[185:186]
	;; [unrolled: 1-line block ×32, first 2 shown]
	s_waitcnt vmcnt(31)
	v_add_f64 v[121:122], v[121:122], v[187:188]
	s_waitcnt vmcnt(30)
	v_add_f64 v[123:124], v[189:190], v[123:124]
	;; [unrolled: 2-line block ×32, first 2 shown]
	scratch_store_b64 v89, v[121:122], off
	scratch_store_b64 v90, v[123:124], off
	;; [unrolled: 1-line block ×32, first 2 shown]
	v_mov_b32_e32 v89, 0x100
	v_mov_b32_e32 v90, 0x108
	v_mov_b32_e32 v91, 0x110
	v_mov_b32_e32 v92, 0x118
	v_mov_b32_e32 v93, 0x120
	v_mov_b32_e32 v94, 0x128
	v_mov_b32_e32 v95, 0x130
	v_mov_b32_e32 v96, 0x138
	v_mov_b32_e32 v97, 0x140
	v_mov_b32_e32 v98, 0x148
	v_mov_b32_e32 v99, 0x150
	v_mov_b32_e32 v100, 0x158
	v_mov_b32_e32 v101, 0x160
	v_mov_b32_e32 v102, 0x168
	v_mov_b32_e32 v103, 0x170
	v_mov_b32_e32 v104, 0x178
	v_mov_b32_e32 v105, 0x180
	v_mov_b32_e32 v106, 0x188
	v_mov_b32_e32 v107, 0x190
	v_mov_b32_e32 v108, 0x198
	v_mov_b32_e32 v109, 0x1a0
	v_mov_b32_e32 v110, 0x1a8
	v_mov_b32_e32 v111, 0x1b0
	v_mov_b32_e32 v112, 0x1b8
	v_mov_b32_e32 v113, 0x1c0
	v_mov_b32_e32 v114, 0x1c8
	v_mov_b32_e32 v115, 0x1d0
	v_mov_b32_e32 v116, 0x1d8
	v_mov_b32_e32 v117, 0x1e0
	v_mov_b32_e32 v118, 0x1e8
	v_mov_b32_e32 v119, 0x1f0
	v_mov_b32_e32 v120, 0x1f8
	s_cbranch_vccnz .LBB197_31
; %bb.32:
	v_lshlrev_b32_e32 v0, 5, v88
	s_mov_b32 s24, 8
	s_cmp_gt_i32 s42, 8
	s_delay_alu instid0(VALU_DEP_1)
	v_lshl_add_u32 v0, v82, 3, v0
	ds_store_2addr_stride64_b64 v0, v[72:73], v[76:77] offset0:8 offset1:12
	ds_store_2addr_stride64_b64 v0, v[74:75], v[78:79] offset0:24 offset1:28
	s_waitcnt lgkmcnt(0)
	s_waitcnt_vscnt null, 0x0
	s_barrier
	buffer_gl0_inv
	s_cbranch_scc0 .LBB197_67
; %bb.33:
	v_lshl_add_u32 v89, v80, 5, 0x1000
	v_lshlrev_b64 v[68:69], 3, v[68:69]
	v_lshlrev_b64 v[70:71], 3, v[70:71]
	v_or_b32_e32 v88, 0x1000, v0
	v_or_b32_e32 v90, 0x3000, v0
	v_lshl_add_u32 v91, v81, 5, 0x3000
	v_add_nc_u32_e32 v92, 0x800, v89
	s_add_i32 s25, s42, -8
	s_mov_b32 s26, 0
.LBB197_34:                             ; =>This Loop Header: Depth=1
                                        ;     Child Loop BB197_43 Depth 2
                                        ;     Child Loop BB197_45 Depth 2
	;; [unrolled: 1-line block ×8, first 2 shown]
	v_dual_mov_b32 v72, 0 :: v_dual_add_nc_u32 v3, s24, v82
	v_mov_b32_e32 v73, 0
	s_delay_alu instid0(VALU_DEP_2) | instskip(SKIP_1) | instid1(VALU_DEP_3)
	v_min_i32_e32 v0, s14, v3
	v_cmp_le_i32_e32 vcc_lo, s42, v3
	v_dual_mov_b32 v75, v73 :: v_dual_mov_b32 v74, v72
	s_delay_alu instid0(VALU_DEP_3) | instskip(SKIP_1) | instid1(VALU_DEP_1)
	v_mad_i64_i32 v[1:2], null, v0, s21, 0
	s_or_b32 s7, s2, vcc_lo
	v_lshlrev_b64 v[1:2], 3, v[1:2]
	s_delay_alu instid0(VALU_DEP_1) | instskip(NEXT) | instid1(VALU_DEP_1)
	v_add_co_u32 v1, s6, s12, v1
	v_add_co_ci_u32_e64 v2, s6, s13, v2, s6
	s_or_b32 s6, s22, s7
	s_delay_alu instid0(SALU_CYCLE_1) | instskip(NEXT) | instid1(SALU_CYCLE_1)
	s_xor_b32 s6, s6, -1
	s_and_saveexec_b32 s7, s6
	s_cbranch_execz .LBB197_36
; %bb.35:                               ;   in Loop: Header=BB197_34 Depth=1
	v_add_co_u32 v3, s6, v1, v68
	s_delay_alu instid0(VALU_DEP_1)
	v_add_co_ci_u32_e64 v4, s6, v2, v69, s6
	flat_load_b64 v[3:4], v[3:4]
	s_waitcnt vmcnt(0) lgkmcnt(0)
	v_mul_f64 v[74:75], v[3:4], s[16:17]
.LBB197_36:                             ;   in Loop: Header=BB197_34 Depth=1
	s_or_b32 exec_lo, exec_lo, s7
	s_or_b32 s6, s3, vcc_lo
	s_delay_alu instid0(SALU_CYCLE_1) | instskip(NEXT) | instid1(SALU_CYCLE_1)
	s_or_b32 s6, s22, s6
	s_xor_b32 s6, s6, -1
	s_delay_alu instid0(SALU_CYCLE_1)
	s_and_saveexec_b32 s7, s6
	s_cbranch_execz .LBB197_38
; %bb.37:                               ;   in Loop: Header=BB197_34 Depth=1
	v_add_co_u32 v1, s6, v1, v68
	s_delay_alu instid0(VALU_DEP_1)
	v_add_co_ci_u32_e64 v2, s6, v2, v69, s6
	flat_load_b64 v[1:2], v[1:2] offset:512
	s_waitcnt vmcnt(0) lgkmcnt(0)
	v_mul_f64 v[72:73], v[1:2], s[16:17]
.LBB197_38:                             ;   in Loop: Header=BB197_34 Depth=1
	s_or_b32 exec_lo, exec_lo, s7
	v_mad_i64_i32 v[1:2], null, v0, s23, 0
	v_mov_b32_e32 v76, 0
	v_mov_b32_e32 v77, 0
	s_or_b32 s7, s4, vcc_lo
	s_delay_alu instid0(VALU_DEP_1) | instskip(NEXT) | instid1(VALU_DEP_4)
	v_dual_mov_b32 v79, v77 :: v_dual_mov_b32 v78, v76
	v_lshlrev_b64 v[0:1], 3, v[1:2]
	s_delay_alu instid0(VALU_DEP_1) | instskip(NEXT) | instid1(VALU_DEP_1)
	v_add_co_u32 v0, s6, s18, v0
	v_add_co_ci_u32_e64 v1, s6, s19, v1, s6
	s_or_b32 s6, s22, s7
	s_delay_alu instid0(SALU_CYCLE_1) | instskip(NEXT) | instid1(SALU_CYCLE_1)
	s_xor_b32 s6, s6, -1
	s_and_saveexec_b32 s7, s6
	s_cbranch_execz .LBB197_40
; %bb.39:                               ;   in Loop: Header=BB197_34 Depth=1
	v_add_co_u32 v2, s6, v0, v70
	s_delay_alu instid0(VALU_DEP_1)
	v_add_co_ci_u32_e64 v3, s6, v1, v71, s6
	flat_load_b64 v[2:3], v[2:3]
	s_waitcnt vmcnt(0) lgkmcnt(0)
	v_mul_f64 v[78:79], v[2:3], s[16:17]
.LBB197_40:                             ;   in Loop: Header=BB197_34 Depth=1
	s_or_b32 exec_lo, exec_lo, s7
	s_or_b32 s6, s5, vcc_lo
	s_delay_alu instid0(SALU_CYCLE_1) | instskip(NEXT) | instid1(SALU_CYCLE_1)
	s_or_b32 s6, s22, s6
	s_xor_b32 s7, s6, -1
	s_delay_alu instid0(SALU_CYCLE_1)
	s_and_saveexec_b32 s6, s7
	s_cbranch_execz .LBB197_42
; %bb.41:                               ;   in Loop: Header=BB197_34 Depth=1
	v_add_co_u32 v0, vcc_lo, v0, v70
	v_add_co_ci_u32_e32 v1, vcc_lo, v1, v71, vcc_lo
	flat_load_b64 v[0:1], v[0:1] offset:512
	s_waitcnt vmcnt(0) lgkmcnt(0)
	v_mul_f64 v[76:77], v[0:1], s[16:17]
.LBB197_42:                             ;   in Loop: Header=BB197_34 Depth=1
	s_or_b32 exec_lo, exec_lo, s6
	ds_load_2addr_b64 v[0:3], v89 offset1:16
	ds_load_2addr_b64 v[4:7], v89 offset0:32 offset1:48
	ds_load_2addr_b64 v[8:11], v89 offset0:64 offset1:80
	;; [unrolled: 1-line block ×7, first 2 shown]
	ds_load_2addr_b64 v[32:35], v92 offset1:16
	ds_load_2addr_b64 v[36:39], v92 offset0:32 offset1:48
	ds_load_2addr_b64 v[40:43], v92 offset0:64 offset1:80
	;; [unrolled: 1-line block ×7, first 2 shown]
	ds_load_2addr_stride64_b64 v[64:67], v91 offset1:4
	v_dual_mov_b32 v124, 0 :: v_dual_mov_b32 v123, 8
	v_dual_mov_b32 v122, 16 :: v_dual_mov_b32 v121, 24
	;; [unrolled: 1-line block ×5, first 2 shown]
	v_mov_b32_e32 v114, 0x50
	v_mov_b32_e32 v113, 0x58
	;; [unrolled: 1-line block ×22, first 2 shown]
	s_mov_b64 s[6:7], 0
	s_mov_b32 s27, -1
.LBB197_43:                             ;   Parent Loop BB197_34 Depth=1
                                        ; =>  This Inner Loop Header: Depth=2
	scratch_load_b64 v[129:130], v124, off
	s_cmp_eq_u32 s6, 1
	s_waitcnt lgkmcnt(16)
	v_max_f64 v[127:128], v[0:1], v[0:1]
	s_cselect_b32 vcc_lo, -1, 0
	s_mov_b64 s[6:7], 1
	s_waitcnt lgkmcnt(0)
	v_dual_cndmask_b32 v126, v65, v67 :: v_dual_cndmask_b32 v125, v64, v66
	s_and_b32 vcc_lo, exec_lo, s27
	s_mov_b32 s27, 0
	s_delay_alu instid0(VALU_DEP_1) | instskip(NEXT) | instid1(VALU_DEP_1)
	v_max_f64 v[125:126], v[125:126], v[125:126]
	v_min_f64 v[127:128], v[127:128], v[125:126]
	s_waitcnt vmcnt(0)
	s_delay_alu instid0(VALU_DEP_1) | instskip(SKIP_3) | instid1(VALU_DEP_1)
	v_add_f64 v[127:128], v[129:130], v[127:128]
	scratch_load_b64 v[129:130], v123, off
	scratch_store_b64 v124, v[127:128], off
	v_max_f64 v[127:128], v[2:3], v[2:3]
	v_min_f64 v[127:128], v[127:128], v[125:126]
	s_waitcnt vmcnt(0)
	s_delay_alu instid0(VALU_DEP_1) | instskip(SKIP_3) | instid1(VALU_DEP_1)
	v_add_f64 v[127:128], v[127:128], v[129:130]
	scratch_store_b64 v123, v[127:128], off
	scratch_load_b64 v[127:128], v122, off
	v_max_f64 v[123:124], v[4:5], v[4:5]
	v_min_f64 v[123:124], v[123:124], v[125:126]
	s_waitcnt vmcnt(0)
	s_delay_alu instid0(VALU_DEP_1) | instskip(SKIP_3) | instid1(VALU_DEP_1)
	v_add_f64 v[123:124], v[123:124], v[127:128]
	scratch_load_b64 v[127:128], v121, off
	scratch_store_b64 v122, v[123:124], off
	v_max_f64 v[122:123], v[6:7], v[6:7]
	v_min_f64 v[122:123], v[122:123], v[125:126]
	s_waitcnt vmcnt(0)
	s_delay_alu instid0(VALU_DEP_1) | instskip(SKIP_3) | instid1(VALU_DEP_1)
	v_add_f64 v[122:123], v[122:123], v[127:128]
	scratch_store_b64 v121, v[122:123], off
	scratch_load_b64 v[123:124], v120, off
	v_max_f64 v[121:122], v[8:9], v[8:9]
	v_min_f64 v[121:122], v[121:122], v[125:126]
	s_waitcnt vmcnt(0)
	s_delay_alu instid0(VALU_DEP_1) | instskip(SKIP_4) | instid1(VALU_DEP_1)
	v_add_f64 v[121:122], v[121:122], v[123:124]
	v_mov_b32_e32 v124, 0x100
	scratch_store_b64 v120, v[121:122], off
	scratch_load_b64 v[122:123], v119, off
	v_max_f64 v[120:121], v[10:11], v[10:11]
	v_min_f64 v[120:121], v[120:121], v[125:126]
	s_waitcnt vmcnt(0)
	s_delay_alu instid0(VALU_DEP_1) | instskip(SKIP_4) | instid1(VALU_DEP_1)
	v_add_f64 v[120:121], v[120:121], v[122:123]
	v_mov_b32_e32 v123, 0x108
	;; [unrolled: 8-line block ×27, first 2 shown]
	scratch_store_b64 v94, v[95:96], off
	scratch_load_b64 v[96:97], v93, off
	v_max_f64 v[94:95], v[62:63], v[62:63]
	v_min_f64 v[94:95], v[94:95], v[125:126]
	s_waitcnt vmcnt(0)
	s_delay_alu instid0(VALU_DEP_1)
	v_add_f64 v[94:95], v[94:95], v[96:97]
	v_mov_b32_e32 v97, 0x1d8
	v_mov_b32_e32 v96, 0x1e0
	scratch_store_b64 v93, v[94:95], off
	v_mov_b32_e32 v95, 0x1e8
	v_mov_b32_e32 v94, 0x1f0
	;; [unrolled: 1-line block ×3, first 2 shown]
	s_cbranch_vccnz .LBB197_43
; %bb.44:                               ;   in Loop: Header=BB197_34 Depth=1
	ds_load_2addr_b64 v[0:3], v89 offset0:1 offset1:17
	ds_load_2addr_b64 v[4:7], v89 offset0:33 offset1:49
	;; [unrolled: 1-line block ×12, first 2 shown]
	v_dual_mov_b32 v123, 8 :: v_dual_add_nc_u32 v64, 8, v91
	ds_load_2addr_b64 v[48:51], v92 offset0:129 offset1:145
	ds_load_2addr_b64 v[52:55], v92 offset0:161 offset1:177
	;; [unrolled: 1-line block ×4, first 2 shown]
	ds_load_2addr_stride64_b64 v[64:67], v64 offset1:4
	v_dual_mov_b32 v124, 0 :: v_dual_mov_b32 v121, 24
	v_dual_mov_b32 v122, 16 :: v_dual_mov_b32 v119, 40
	;; [unrolled: 1-line block ×5, first 2 shown]
	v_mov_b32_e32 v114, 0x50
	v_mov_b32_e32 v112, 0x60
	;; [unrolled: 1-line block ×21, first 2 shown]
	s_mov_b64 s[6:7], 0
	s_mov_b32 s27, -1
.LBB197_45:                             ;   Parent Loop BB197_34 Depth=1
                                        ; =>  This Inner Loop Header: Depth=2
	scratch_load_b64 v[129:130], v124, off
	s_cmp_eq_u32 s6, 1
	s_waitcnt lgkmcnt(16)
	v_max_f64 v[127:128], v[0:1], v[0:1]
	s_cselect_b32 vcc_lo, -1, 0
	s_mov_b64 s[6:7], 1
	s_waitcnt lgkmcnt(0)
	v_dual_cndmask_b32 v126, v65, v67 :: v_dual_cndmask_b32 v125, v64, v66
	s_and_b32 vcc_lo, exec_lo, s27
	s_mov_b32 s27, 0
	s_delay_alu instid0(VALU_DEP_1) | instskip(NEXT) | instid1(VALU_DEP_1)
	v_max_f64 v[125:126], v[125:126], v[125:126]
	v_min_f64 v[127:128], v[127:128], v[125:126]
	s_waitcnt vmcnt(0)
	s_delay_alu instid0(VALU_DEP_1) | instskip(SKIP_3) | instid1(VALU_DEP_1)
	v_add_f64 v[127:128], v[129:130], v[127:128]
	scratch_load_b64 v[129:130], v123, off
	scratch_store_b64 v124, v[127:128], off
	v_max_f64 v[127:128], v[2:3], v[2:3]
	v_min_f64 v[127:128], v[127:128], v[125:126]
	s_waitcnt vmcnt(0)
	s_delay_alu instid0(VALU_DEP_1) | instskip(SKIP_3) | instid1(VALU_DEP_1)
	v_add_f64 v[127:128], v[127:128], v[129:130]
	scratch_store_b64 v123, v[127:128], off
	scratch_load_b64 v[127:128], v122, off
	v_max_f64 v[123:124], v[4:5], v[4:5]
	v_min_f64 v[123:124], v[123:124], v[125:126]
	s_waitcnt vmcnt(0)
	s_delay_alu instid0(VALU_DEP_1) | instskip(SKIP_3) | instid1(VALU_DEP_1)
	v_add_f64 v[123:124], v[123:124], v[127:128]
	scratch_load_b64 v[127:128], v121, off
	scratch_store_b64 v122, v[123:124], off
	v_max_f64 v[122:123], v[6:7], v[6:7]
	v_min_f64 v[122:123], v[122:123], v[125:126]
	s_waitcnt vmcnt(0)
	s_delay_alu instid0(VALU_DEP_1) | instskip(SKIP_3) | instid1(VALU_DEP_1)
	v_add_f64 v[122:123], v[122:123], v[127:128]
	scratch_store_b64 v121, v[122:123], off
	scratch_load_b64 v[123:124], v120, off
	v_max_f64 v[121:122], v[8:9], v[8:9]
	v_min_f64 v[121:122], v[121:122], v[125:126]
	s_waitcnt vmcnt(0)
	s_delay_alu instid0(VALU_DEP_1) | instskip(SKIP_4) | instid1(VALU_DEP_1)
	v_add_f64 v[121:122], v[121:122], v[123:124]
	v_mov_b32_e32 v124, 0x100
	scratch_store_b64 v120, v[121:122], off
	scratch_load_b64 v[122:123], v119, off
	v_max_f64 v[120:121], v[10:11], v[10:11]
	v_min_f64 v[120:121], v[120:121], v[125:126]
	s_waitcnt vmcnt(0)
	s_delay_alu instid0(VALU_DEP_1) | instskip(SKIP_4) | instid1(VALU_DEP_1)
	v_add_f64 v[120:121], v[120:121], v[122:123]
	v_mov_b32_e32 v123, 0x108
	scratch_store_b64 v119, v[120:121], off
	scratch_load_b64 v[121:122], v118, off
	v_max_f64 v[119:120], v[12:13], v[12:13]
	v_min_f64 v[119:120], v[119:120], v[125:126]
	s_waitcnt vmcnt(0)
	s_delay_alu instid0(VALU_DEP_1) | instskip(SKIP_4) | instid1(VALU_DEP_1)
	v_add_f64 v[119:120], v[119:120], v[121:122]
	v_mov_b32_e32 v122, 0x110
	scratch_store_b64 v118, v[119:120], off
	scratch_load_b64 v[120:121], v117, off
	v_max_f64 v[118:119], v[14:15], v[14:15]
	v_min_f64 v[118:119], v[118:119], v[125:126]
	s_waitcnt vmcnt(0)
	s_delay_alu instid0(VALU_DEP_1) | instskip(SKIP_4) | instid1(VALU_DEP_1)
	v_add_f64 v[118:119], v[118:119], v[120:121]
	v_mov_b32_e32 v121, 0x118
	scratch_store_b64 v117, v[118:119], off
	scratch_load_b64 v[119:120], v116, off
	v_max_f64 v[117:118], v[16:17], v[16:17]
	v_min_f64 v[117:118], v[117:118], v[125:126]
	s_waitcnt vmcnt(0)
	s_delay_alu instid0(VALU_DEP_1) | instskip(SKIP_4) | instid1(VALU_DEP_1)
	v_add_f64 v[117:118], v[117:118], v[119:120]
	v_mov_b32_e32 v120, 0x120
	scratch_store_b64 v116, v[117:118], off
	scratch_load_b64 v[118:119], v115, off
	v_max_f64 v[116:117], v[18:19], v[18:19]
	v_min_f64 v[116:117], v[116:117], v[125:126]
	s_waitcnt vmcnt(0)
	s_delay_alu instid0(VALU_DEP_1) | instskip(SKIP_4) | instid1(VALU_DEP_1)
	v_add_f64 v[116:117], v[116:117], v[118:119]
	v_mov_b32_e32 v119, 0x128
	scratch_store_b64 v115, v[116:117], off
	scratch_load_b64 v[117:118], v114, off
	v_max_f64 v[115:116], v[20:21], v[20:21]
	v_min_f64 v[115:116], v[115:116], v[125:126]
	s_waitcnt vmcnt(0)
	s_delay_alu instid0(VALU_DEP_1) | instskip(SKIP_4) | instid1(VALU_DEP_1)
	v_add_f64 v[115:116], v[115:116], v[117:118]
	v_mov_b32_e32 v118, 0x130
	scratch_store_b64 v114, v[115:116], off
	scratch_load_b64 v[116:117], v113, off
	v_max_f64 v[114:115], v[22:23], v[22:23]
	v_min_f64 v[114:115], v[114:115], v[125:126]
	s_waitcnt vmcnt(0)
	s_delay_alu instid0(VALU_DEP_1) | instskip(SKIP_4) | instid1(VALU_DEP_1)
	v_add_f64 v[114:115], v[114:115], v[116:117]
	v_mov_b32_e32 v117, 0x138
	scratch_store_b64 v113, v[114:115], off
	scratch_load_b64 v[115:116], v112, off
	v_max_f64 v[113:114], v[24:25], v[24:25]
	v_min_f64 v[113:114], v[113:114], v[125:126]
	s_waitcnt vmcnt(0)
	s_delay_alu instid0(VALU_DEP_1) | instskip(SKIP_4) | instid1(VALU_DEP_1)
	v_add_f64 v[113:114], v[113:114], v[115:116]
	v_mov_b32_e32 v116, 0x140
	scratch_store_b64 v112, v[113:114], off
	scratch_load_b64 v[114:115], v111, off
	v_max_f64 v[112:113], v[26:27], v[26:27]
	v_min_f64 v[112:113], v[112:113], v[125:126]
	s_waitcnt vmcnt(0)
	s_delay_alu instid0(VALU_DEP_1) | instskip(SKIP_4) | instid1(VALU_DEP_1)
	v_add_f64 v[112:113], v[112:113], v[114:115]
	v_mov_b32_e32 v115, 0x148
	scratch_store_b64 v111, v[112:113], off
	scratch_load_b64 v[113:114], v110, off
	v_max_f64 v[111:112], v[28:29], v[28:29]
	v_min_f64 v[111:112], v[111:112], v[125:126]
	s_waitcnt vmcnt(0)
	s_delay_alu instid0(VALU_DEP_1) | instskip(SKIP_4) | instid1(VALU_DEP_1)
	v_add_f64 v[111:112], v[111:112], v[113:114]
	v_mov_b32_e32 v114, 0x150
	scratch_store_b64 v110, v[111:112], off
	scratch_load_b64 v[112:113], v109, off
	v_max_f64 v[110:111], v[30:31], v[30:31]
	v_min_f64 v[110:111], v[110:111], v[125:126]
	s_waitcnt vmcnt(0)
	s_delay_alu instid0(VALU_DEP_1) | instskip(SKIP_4) | instid1(VALU_DEP_1)
	v_add_f64 v[110:111], v[110:111], v[112:113]
	v_mov_b32_e32 v113, 0x158
	scratch_store_b64 v109, v[110:111], off
	scratch_load_b64 v[111:112], v108, off
	v_max_f64 v[109:110], v[32:33], v[32:33]
	v_min_f64 v[109:110], v[109:110], v[125:126]
	s_waitcnt vmcnt(0)
	s_delay_alu instid0(VALU_DEP_1) | instskip(SKIP_4) | instid1(VALU_DEP_1)
	v_add_f64 v[109:110], v[109:110], v[111:112]
	v_mov_b32_e32 v112, 0x160
	scratch_store_b64 v108, v[109:110], off
	scratch_load_b64 v[110:111], v107, off
	v_max_f64 v[108:109], v[34:35], v[34:35]
	v_min_f64 v[108:109], v[108:109], v[125:126]
	s_waitcnt vmcnt(0)
	s_delay_alu instid0(VALU_DEP_1) | instskip(SKIP_4) | instid1(VALU_DEP_1)
	v_add_f64 v[108:109], v[108:109], v[110:111]
	v_mov_b32_e32 v111, 0x168
	scratch_store_b64 v107, v[108:109], off
	scratch_load_b64 v[109:110], v106, off
	v_max_f64 v[107:108], v[36:37], v[36:37]
	v_min_f64 v[107:108], v[107:108], v[125:126]
	s_waitcnt vmcnt(0)
	s_delay_alu instid0(VALU_DEP_1) | instskip(SKIP_4) | instid1(VALU_DEP_1)
	v_add_f64 v[107:108], v[107:108], v[109:110]
	v_mov_b32_e32 v110, 0x170
	scratch_store_b64 v106, v[107:108], off
	scratch_load_b64 v[108:109], v105, off
	v_max_f64 v[106:107], v[38:39], v[38:39]
	v_min_f64 v[106:107], v[106:107], v[125:126]
	s_waitcnt vmcnt(0)
	s_delay_alu instid0(VALU_DEP_1) | instskip(SKIP_4) | instid1(VALU_DEP_1)
	v_add_f64 v[106:107], v[106:107], v[108:109]
	v_mov_b32_e32 v109, 0x178
	scratch_store_b64 v105, v[106:107], off
	scratch_load_b64 v[107:108], v104, off
	v_max_f64 v[105:106], v[40:41], v[40:41]
	v_min_f64 v[105:106], v[105:106], v[125:126]
	s_waitcnt vmcnt(0)
	s_delay_alu instid0(VALU_DEP_1) | instskip(SKIP_4) | instid1(VALU_DEP_1)
	v_add_f64 v[105:106], v[105:106], v[107:108]
	v_mov_b32_e32 v108, 0x180
	scratch_store_b64 v104, v[105:106], off
	scratch_load_b64 v[106:107], v103, off
	v_max_f64 v[104:105], v[42:43], v[42:43]
	v_min_f64 v[104:105], v[104:105], v[125:126]
	s_waitcnt vmcnt(0)
	s_delay_alu instid0(VALU_DEP_1) | instskip(SKIP_4) | instid1(VALU_DEP_1)
	v_add_f64 v[104:105], v[104:105], v[106:107]
	v_mov_b32_e32 v107, 0x188
	scratch_store_b64 v103, v[104:105], off
	scratch_load_b64 v[105:106], v102, off
	v_max_f64 v[103:104], v[44:45], v[44:45]
	v_min_f64 v[103:104], v[103:104], v[125:126]
	s_waitcnt vmcnt(0)
	s_delay_alu instid0(VALU_DEP_1) | instskip(SKIP_4) | instid1(VALU_DEP_1)
	v_add_f64 v[103:104], v[103:104], v[105:106]
	v_mov_b32_e32 v106, 0x190
	scratch_store_b64 v102, v[103:104], off
	scratch_load_b64 v[104:105], v101, off
	v_max_f64 v[102:103], v[46:47], v[46:47]
	v_min_f64 v[102:103], v[102:103], v[125:126]
	s_waitcnt vmcnt(0)
	s_delay_alu instid0(VALU_DEP_1) | instskip(SKIP_4) | instid1(VALU_DEP_1)
	v_add_f64 v[102:103], v[102:103], v[104:105]
	v_mov_b32_e32 v105, 0x198
	scratch_store_b64 v101, v[102:103], off
	scratch_load_b64 v[103:104], v100, off
	v_max_f64 v[101:102], v[48:49], v[48:49]
	v_min_f64 v[101:102], v[101:102], v[125:126]
	s_waitcnt vmcnt(0)
	s_delay_alu instid0(VALU_DEP_1) | instskip(SKIP_4) | instid1(VALU_DEP_1)
	v_add_f64 v[101:102], v[101:102], v[103:104]
	v_mov_b32_e32 v104, 0x1a0
	scratch_store_b64 v100, v[101:102], off
	scratch_load_b64 v[102:103], v99, off
	v_max_f64 v[100:101], v[50:51], v[50:51]
	v_min_f64 v[100:101], v[100:101], v[125:126]
	s_waitcnt vmcnt(0)
	s_delay_alu instid0(VALU_DEP_1) | instskip(SKIP_4) | instid1(VALU_DEP_1)
	v_add_f64 v[100:101], v[100:101], v[102:103]
	v_mov_b32_e32 v103, 0x1a8
	scratch_store_b64 v99, v[100:101], off
	scratch_load_b64 v[101:102], v98, off
	v_max_f64 v[99:100], v[52:53], v[52:53]
	v_min_f64 v[99:100], v[99:100], v[125:126]
	s_waitcnt vmcnt(0)
	s_delay_alu instid0(VALU_DEP_1) | instskip(SKIP_4) | instid1(VALU_DEP_1)
	v_add_f64 v[99:100], v[99:100], v[101:102]
	v_mov_b32_e32 v102, 0x1b0
	scratch_store_b64 v98, v[99:100], off
	scratch_load_b64 v[100:101], v97, off
	v_max_f64 v[98:99], v[54:55], v[54:55]
	v_min_f64 v[98:99], v[98:99], v[125:126]
	s_waitcnt vmcnt(0)
	s_delay_alu instid0(VALU_DEP_1) | instskip(SKIP_4) | instid1(VALU_DEP_1)
	v_add_f64 v[98:99], v[98:99], v[100:101]
	v_mov_b32_e32 v101, 0x1b8
	scratch_store_b64 v97, v[98:99], off
	scratch_load_b64 v[99:100], v96, off
	v_max_f64 v[97:98], v[56:57], v[56:57]
	v_min_f64 v[97:98], v[97:98], v[125:126]
	s_waitcnt vmcnt(0)
	s_delay_alu instid0(VALU_DEP_1) | instskip(SKIP_4) | instid1(VALU_DEP_1)
	v_add_f64 v[97:98], v[97:98], v[99:100]
	v_mov_b32_e32 v100, 0x1c0
	scratch_store_b64 v96, v[97:98], off
	scratch_load_b64 v[98:99], v95, off
	v_max_f64 v[96:97], v[58:59], v[58:59]
	v_min_f64 v[96:97], v[96:97], v[125:126]
	s_waitcnt vmcnt(0)
	s_delay_alu instid0(VALU_DEP_1) | instskip(SKIP_4) | instid1(VALU_DEP_1)
	v_add_f64 v[96:97], v[96:97], v[98:99]
	v_mov_b32_e32 v99, 0x1c8
	scratch_store_b64 v95, v[96:97], off
	scratch_load_b64 v[97:98], v94, off
	v_max_f64 v[95:96], v[60:61], v[60:61]
	v_min_f64 v[95:96], v[95:96], v[125:126]
	s_waitcnt vmcnt(0)
	s_delay_alu instid0(VALU_DEP_1) | instskip(SKIP_4) | instid1(VALU_DEP_1)
	v_add_f64 v[95:96], v[95:96], v[97:98]
	v_mov_b32_e32 v98, 0x1d0
	scratch_store_b64 v94, v[95:96], off
	scratch_load_b64 v[96:97], v93, off
	v_max_f64 v[94:95], v[62:63], v[62:63]
	v_min_f64 v[94:95], v[94:95], v[125:126]
	s_waitcnt vmcnt(0)
	s_delay_alu instid0(VALU_DEP_1)
	v_add_f64 v[94:95], v[94:95], v[96:97]
	v_mov_b32_e32 v97, 0x1d8
	v_mov_b32_e32 v96, 0x1e0
	scratch_store_b64 v93, v[94:95], off
	v_mov_b32_e32 v95, 0x1e8
	v_mov_b32_e32 v94, 0x1f0
	;; [unrolled: 1-line block ×3, first 2 shown]
	s_cbranch_vccnz .LBB197_45
; %bb.46:                               ;   in Loop: Header=BB197_34 Depth=1
	ds_load_2addr_b64 v[0:3], v89 offset0:2 offset1:18
	ds_load_2addr_b64 v[4:7], v89 offset0:34 offset1:50
	;; [unrolled: 1-line block ×12, first 2 shown]
	v_dual_mov_b32 v123, 8 :: v_dual_add_nc_u32 v64, 16, v91
	ds_load_2addr_b64 v[48:51], v92 offset0:130 offset1:146
	ds_load_2addr_b64 v[52:55], v92 offset0:162 offset1:178
	;; [unrolled: 1-line block ×4, first 2 shown]
	ds_load_2addr_stride64_b64 v[64:67], v64 offset1:4
	v_dual_mov_b32 v124, 0 :: v_dual_mov_b32 v121, 24
	v_dual_mov_b32 v122, 16 :: v_dual_mov_b32 v119, 40
	;; [unrolled: 1-line block ×5, first 2 shown]
	v_mov_b32_e32 v114, 0x50
	v_mov_b32_e32 v112, 0x60
	;; [unrolled: 1-line block ×21, first 2 shown]
	s_mov_b64 s[6:7], 0
	s_mov_b32 s27, -1
.LBB197_47:                             ;   Parent Loop BB197_34 Depth=1
                                        ; =>  This Inner Loop Header: Depth=2
	scratch_load_b64 v[129:130], v124, off
	s_cmp_eq_u32 s6, 1
	s_waitcnt lgkmcnt(16)
	v_max_f64 v[127:128], v[0:1], v[0:1]
	s_cselect_b32 vcc_lo, -1, 0
	s_mov_b64 s[6:7], 1
	s_waitcnt lgkmcnt(0)
	v_dual_cndmask_b32 v126, v65, v67 :: v_dual_cndmask_b32 v125, v64, v66
	s_and_b32 vcc_lo, exec_lo, s27
	s_mov_b32 s27, 0
	s_delay_alu instid0(VALU_DEP_1) | instskip(NEXT) | instid1(VALU_DEP_1)
	v_max_f64 v[125:126], v[125:126], v[125:126]
	v_min_f64 v[127:128], v[127:128], v[125:126]
	s_waitcnt vmcnt(0)
	s_delay_alu instid0(VALU_DEP_1) | instskip(SKIP_3) | instid1(VALU_DEP_1)
	v_add_f64 v[127:128], v[129:130], v[127:128]
	scratch_load_b64 v[129:130], v123, off
	scratch_store_b64 v124, v[127:128], off
	v_max_f64 v[127:128], v[2:3], v[2:3]
	v_min_f64 v[127:128], v[127:128], v[125:126]
	s_waitcnt vmcnt(0)
	s_delay_alu instid0(VALU_DEP_1) | instskip(SKIP_3) | instid1(VALU_DEP_1)
	v_add_f64 v[127:128], v[127:128], v[129:130]
	scratch_store_b64 v123, v[127:128], off
	scratch_load_b64 v[127:128], v122, off
	v_max_f64 v[123:124], v[4:5], v[4:5]
	v_min_f64 v[123:124], v[123:124], v[125:126]
	s_waitcnt vmcnt(0)
	s_delay_alu instid0(VALU_DEP_1) | instskip(SKIP_3) | instid1(VALU_DEP_1)
	v_add_f64 v[123:124], v[123:124], v[127:128]
	scratch_load_b64 v[127:128], v121, off
	scratch_store_b64 v122, v[123:124], off
	v_max_f64 v[122:123], v[6:7], v[6:7]
	v_min_f64 v[122:123], v[122:123], v[125:126]
	s_waitcnt vmcnt(0)
	s_delay_alu instid0(VALU_DEP_1) | instskip(SKIP_3) | instid1(VALU_DEP_1)
	v_add_f64 v[122:123], v[122:123], v[127:128]
	scratch_store_b64 v121, v[122:123], off
	scratch_load_b64 v[123:124], v120, off
	v_max_f64 v[121:122], v[8:9], v[8:9]
	v_min_f64 v[121:122], v[121:122], v[125:126]
	s_waitcnt vmcnt(0)
	s_delay_alu instid0(VALU_DEP_1) | instskip(SKIP_4) | instid1(VALU_DEP_1)
	v_add_f64 v[121:122], v[121:122], v[123:124]
	v_mov_b32_e32 v124, 0x100
	scratch_store_b64 v120, v[121:122], off
	scratch_load_b64 v[122:123], v119, off
	v_max_f64 v[120:121], v[10:11], v[10:11]
	v_min_f64 v[120:121], v[120:121], v[125:126]
	s_waitcnt vmcnt(0)
	s_delay_alu instid0(VALU_DEP_1) | instskip(SKIP_4) | instid1(VALU_DEP_1)
	v_add_f64 v[120:121], v[120:121], v[122:123]
	v_mov_b32_e32 v123, 0x108
	;; [unrolled: 8-line block ×27, first 2 shown]
	scratch_store_b64 v94, v[95:96], off
	scratch_load_b64 v[96:97], v93, off
	v_max_f64 v[94:95], v[62:63], v[62:63]
	v_min_f64 v[94:95], v[94:95], v[125:126]
	s_waitcnt vmcnt(0)
	s_delay_alu instid0(VALU_DEP_1)
	v_add_f64 v[94:95], v[94:95], v[96:97]
	v_mov_b32_e32 v97, 0x1d8
	v_mov_b32_e32 v96, 0x1e0
	scratch_store_b64 v93, v[94:95], off
	v_mov_b32_e32 v95, 0x1e8
	v_mov_b32_e32 v94, 0x1f0
	;; [unrolled: 1-line block ×3, first 2 shown]
	s_cbranch_vccnz .LBB197_47
; %bb.48:                               ;   in Loop: Header=BB197_34 Depth=1
	ds_load_2addr_b64 v[0:3], v89 offset0:3 offset1:19
	ds_load_2addr_b64 v[4:7], v89 offset0:35 offset1:51
	;; [unrolled: 1-line block ×12, first 2 shown]
	v_dual_mov_b32 v123, 8 :: v_dual_add_nc_u32 v64, 24, v91
	ds_load_2addr_b64 v[48:51], v92 offset0:131 offset1:147
	ds_load_2addr_b64 v[52:55], v92 offset0:163 offset1:179
	ds_load_2addr_b64 v[56:59], v92 offset0:195 offset1:211
	ds_load_2addr_b64 v[60:63], v92 offset0:227 offset1:243
	ds_load_2addr_stride64_b64 v[64:67], v64 offset1:4
	v_dual_mov_b32 v124, 0 :: v_dual_mov_b32 v121, 24
	v_dual_mov_b32 v122, 16 :: v_dual_mov_b32 v119, 40
	;; [unrolled: 1-line block ×5, first 2 shown]
	v_mov_b32_e32 v114, 0x50
	v_mov_b32_e32 v112, 0x60
	;; [unrolled: 1-line block ×21, first 2 shown]
	s_mov_b64 s[6:7], 0
	s_mov_b32 s27, -1
.LBB197_49:                             ;   Parent Loop BB197_34 Depth=1
                                        ; =>  This Inner Loop Header: Depth=2
	scratch_load_b64 v[129:130], v124, off
	s_cmp_eq_u32 s6, 1
	s_waitcnt lgkmcnt(16)
	v_max_f64 v[127:128], v[0:1], v[0:1]
	s_cselect_b32 vcc_lo, -1, 0
	s_mov_b64 s[6:7], 1
	s_waitcnt lgkmcnt(0)
	v_dual_cndmask_b32 v126, v65, v67 :: v_dual_cndmask_b32 v125, v64, v66
	s_and_b32 vcc_lo, exec_lo, s27
	s_mov_b32 s27, 0
	s_delay_alu instid0(VALU_DEP_1) | instskip(NEXT) | instid1(VALU_DEP_1)
	v_max_f64 v[125:126], v[125:126], v[125:126]
	v_min_f64 v[127:128], v[127:128], v[125:126]
	s_waitcnt vmcnt(0)
	s_delay_alu instid0(VALU_DEP_1) | instskip(SKIP_3) | instid1(VALU_DEP_1)
	v_add_f64 v[127:128], v[129:130], v[127:128]
	scratch_load_b64 v[129:130], v123, off
	scratch_store_b64 v124, v[127:128], off
	v_max_f64 v[127:128], v[2:3], v[2:3]
	v_min_f64 v[127:128], v[127:128], v[125:126]
	s_waitcnt vmcnt(0)
	s_delay_alu instid0(VALU_DEP_1) | instskip(SKIP_3) | instid1(VALU_DEP_1)
	v_add_f64 v[127:128], v[127:128], v[129:130]
	scratch_store_b64 v123, v[127:128], off
	scratch_load_b64 v[127:128], v122, off
	v_max_f64 v[123:124], v[4:5], v[4:5]
	v_min_f64 v[123:124], v[123:124], v[125:126]
	s_waitcnt vmcnt(0)
	s_delay_alu instid0(VALU_DEP_1) | instskip(SKIP_3) | instid1(VALU_DEP_1)
	v_add_f64 v[123:124], v[123:124], v[127:128]
	scratch_load_b64 v[127:128], v121, off
	scratch_store_b64 v122, v[123:124], off
	v_max_f64 v[122:123], v[6:7], v[6:7]
	v_min_f64 v[122:123], v[122:123], v[125:126]
	s_waitcnt vmcnt(0)
	s_delay_alu instid0(VALU_DEP_1) | instskip(SKIP_3) | instid1(VALU_DEP_1)
	v_add_f64 v[122:123], v[122:123], v[127:128]
	scratch_store_b64 v121, v[122:123], off
	scratch_load_b64 v[123:124], v120, off
	v_max_f64 v[121:122], v[8:9], v[8:9]
	v_min_f64 v[121:122], v[121:122], v[125:126]
	s_waitcnt vmcnt(0)
	s_delay_alu instid0(VALU_DEP_1) | instskip(SKIP_4) | instid1(VALU_DEP_1)
	v_add_f64 v[121:122], v[121:122], v[123:124]
	v_mov_b32_e32 v124, 0x100
	scratch_store_b64 v120, v[121:122], off
	scratch_load_b64 v[122:123], v119, off
	v_max_f64 v[120:121], v[10:11], v[10:11]
	v_min_f64 v[120:121], v[120:121], v[125:126]
	s_waitcnt vmcnt(0)
	s_delay_alu instid0(VALU_DEP_1) | instskip(SKIP_4) | instid1(VALU_DEP_1)
	v_add_f64 v[120:121], v[120:121], v[122:123]
	v_mov_b32_e32 v123, 0x108
	scratch_store_b64 v119, v[120:121], off
	scratch_load_b64 v[121:122], v118, off
	v_max_f64 v[119:120], v[12:13], v[12:13]
	v_min_f64 v[119:120], v[119:120], v[125:126]
	s_waitcnt vmcnt(0)
	s_delay_alu instid0(VALU_DEP_1) | instskip(SKIP_4) | instid1(VALU_DEP_1)
	v_add_f64 v[119:120], v[119:120], v[121:122]
	v_mov_b32_e32 v122, 0x110
	scratch_store_b64 v118, v[119:120], off
	scratch_load_b64 v[120:121], v117, off
	v_max_f64 v[118:119], v[14:15], v[14:15]
	v_min_f64 v[118:119], v[118:119], v[125:126]
	s_waitcnt vmcnt(0)
	s_delay_alu instid0(VALU_DEP_1) | instskip(SKIP_4) | instid1(VALU_DEP_1)
	v_add_f64 v[118:119], v[118:119], v[120:121]
	v_mov_b32_e32 v121, 0x118
	scratch_store_b64 v117, v[118:119], off
	scratch_load_b64 v[119:120], v116, off
	v_max_f64 v[117:118], v[16:17], v[16:17]
	v_min_f64 v[117:118], v[117:118], v[125:126]
	s_waitcnt vmcnt(0)
	s_delay_alu instid0(VALU_DEP_1) | instskip(SKIP_4) | instid1(VALU_DEP_1)
	v_add_f64 v[117:118], v[117:118], v[119:120]
	v_mov_b32_e32 v120, 0x120
	scratch_store_b64 v116, v[117:118], off
	scratch_load_b64 v[118:119], v115, off
	v_max_f64 v[116:117], v[18:19], v[18:19]
	v_min_f64 v[116:117], v[116:117], v[125:126]
	s_waitcnt vmcnt(0)
	s_delay_alu instid0(VALU_DEP_1) | instskip(SKIP_4) | instid1(VALU_DEP_1)
	v_add_f64 v[116:117], v[116:117], v[118:119]
	v_mov_b32_e32 v119, 0x128
	scratch_store_b64 v115, v[116:117], off
	scratch_load_b64 v[117:118], v114, off
	v_max_f64 v[115:116], v[20:21], v[20:21]
	v_min_f64 v[115:116], v[115:116], v[125:126]
	s_waitcnt vmcnt(0)
	s_delay_alu instid0(VALU_DEP_1) | instskip(SKIP_4) | instid1(VALU_DEP_1)
	v_add_f64 v[115:116], v[115:116], v[117:118]
	v_mov_b32_e32 v118, 0x130
	scratch_store_b64 v114, v[115:116], off
	scratch_load_b64 v[116:117], v113, off
	v_max_f64 v[114:115], v[22:23], v[22:23]
	v_min_f64 v[114:115], v[114:115], v[125:126]
	s_waitcnt vmcnt(0)
	s_delay_alu instid0(VALU_DEP_1) | instskip(SKIP_4) | instid1(VALU_DEP_1)
	v_add_f64 v[114:115], v[114:115], v[116:117]
	v_mov_b32_e32 v117, 0x138
	scratch_store_b64 v113, v[114:115], off
	scratch_load_b64 v[115:116], v112, off
	v_max_f64 v[113:114], v[24:25], v[24:25]
	v_min_f64 v[113:114], v[113:114], v[125:126]
	s_waitcnt vmcnt(0)
	s_delay_alu instid0(VALU_DEP_1) | instskip(SKIP_4) | instid1(VALU_DEP_1)
	v_add_f64 v[113:114], v[113:114], v[115:116]
	v_mov_b32_e32 v116, 0x140
	scratch_store_b64 v112, v[113:114], off
	scratch_load_b64 v[114:115], v111, off
	v_max_f64 v[112:113], v[26:27], v[26:27]
	v_min_f64 v[112:113], v[112:113], v[125:126]
	s_waitcnt vmcnt(0)
	s_delay_alu instid0(VALU_DEP_1) | instskip(SKIP_4) | instid1(VALU_DEP_1)
	v_add_f64 v[112:113], v[112:113], v[114:115]
	v_mov_b32_e32 v115, 0x148
	scratch_store_b64 v111, v[112:113], off
	scratch_load_b64 v[113:114], v110, off
	v_max_f64 v[111:112], v[28:29], v[28:29]
	v_min_f64 v[111:112], v[111:112], v[125:126]
	s_waitcnt vmcnt(0)
	s_delay_alu instid0(VALU_DEP_1) | instskip(SKIP_4) | instid1(VALU_DEP_1)
	v_add_f64 v[111:112], v[111:112], v[113:114]
	v_mov_b32_e32 v114, 0x150
	scratch_store_b64 v110, v[111:112], off
	scratch_load_b64 v[112:113], v109, off
	v_max_f64 v[110:111], v[30:31], v[30:31]
	v_min_f64 v[110:111], v[110:111], v[125:126]
	s_waitcnt vmcnt(0)
	s_delay_alu instid0(VALU_DEP_1) | instskip(SKIP_4) | instid1(VALU_DEP_1)
	v_add_f64 v[110:111], v[110:111], v[112:113]
	v_mov_b32_e32 v113, 0x158
	scratch_store_b64 v109, v[110:111], off
	scratch_load_b64 v[111:112], v108, off
	v_max_f64 v[109:110], v[32:33], v[32:33]
	v_min_f64 v[109:110], v[109:110], v[125:126]
	s_waitcnt vmcnt(0)
	s_delay_alu instid0(VALU_DEP_1) | instskip(SKIP_4) | instid1(VALU_DEP_1)
	v_add_f64 v[109:110], v[109:110], v[111:112]
	v_mov_b32_e32 v112, 0x160
	scratch_store_b64 v108, v[109:110], off
	scratch_load_b64 v[110:111], v107, off
	v_max_f64 v[108:109], v[34:35], v[34:35]
	v_min_f64 v[108:109], v[108:109], v[125:126]
	s_waitcnt vmcnt(0)
	s_delay_alu instid0(VALU_DEP_1) | instskip(SKIP_4) | instid1(VALU_DEP_1)
	v_add_f64 v[108:109], v[108:109], v[110:111]
	v_mov_b32_e32 v111, 0x168
	scratch_store_b64 v107, v[108:109], off
	scratch_load_b64 v[109:110], v106, off
	v_max_f64 v[107:108], v[36:37], v[36:37]
	v_min_f64 v[107:108], v[107:108], v[125:126]
	s_waitcnt vmcnt(0)
	s_delay_alu instid0(VALU_DEP_1) | instskip(SKIP_4) | instid1(VALU_DEP_1)
	v_add_f64 v[107:108], v[107:108], v[109:110]
	v_mov_b32_e32 v110, 0x170
	scratch_store_b64 v106, v[107:108], off
	scratch_load_b64 v[108:109], v105, off
	v_max_f64 v[106:107], v[38:39], v[38:39]
	v_min_f64 v[106:107], v[106:107], v[125:126]
	s_waitcnt vmcnt(0)
	s_delay_alu instid0(VALU_DEP_1) | instskip(SKIP_4) | instid1(VALU_DEP_1)
	v_add_f64 v[106:107], v[106:107], v[108:109]
	v_mov_b32_e32 v109, 0x178
	scratch_store_b64 v105, v[106:107], off
	scratch_load_b64 v[107:108], v104, off
	v_max_f64 v[105:106], v[40:41], v[40:41]
	v_min_f64 v[105:106], v[105:106], v[125:126]
	s_waitcnt vmcnt(0)
	s_delay_alu instid0(VALU_DEP_1) | instskip(SKIP_4) | instid1(VALU_DEP_1)
	v_add_f64 v[105:106], v[105:106], v[107:108]
	v_mov_b32_e32 v108, 0x180
	scratch_store_b64 v104, v[105:106], off
	scratch_load_b64 v[106:107], v103, off
	v_max_f64 v[104:105], v[42:43], v[42:43]
	v_min_f64 v[104:105], v[104:105], v[125:126]
	s_waitcnt vmcnt(0)
	s_delay_alu instid0(VALU_DEP_1) | instskip(SKIP_4) | instid1(VALU_DEP_1)
	v_add_f64 v[104:105], v[104:105], v[106:107]
	v_mov_b32_e32 v107, 0x188
	scratch_store_b64 v103, v[104:105], off
	scratch_load_b64 v[105:106], v102, off
	v_max_f64 v[103:104], v[44:45], v[44:45]
	v_min_f64 v[103:104], v[103:104], v[125:126]
	s_waitcnt vmcnt(0)
	s_delay_alu instid0(VALU_DEP_1) | instskip(SKIP_4) | instid1(VALU_DEP_1)
	v_add_f64 v[103:104], v[103:104], v[105:106]
	v_mov_b32_e32 v106, 0x190
	scratch_store_b64 v102, v[103:104], off
	scratch_load_b64 v[104:105], v101, off
	v_max_f64 v[102:103], v[46:47], v[46:47]
	v_min_f64 v[102:103], v[102:103], v[125:126]
	s_waitcnt vmcnt(0)
	s_delay_alu instid0(VALU_DEP_1) | instskip(SKIP_4) | instid1(VALU_DEP_1)
	v_add_f64 v[102:103], v[102:103], v[104:105]
	v_mov_b32_e32 v105, 0x198
	scratch_store_b64 v101, v[102:103], off
	scratch_load_b64 v[103:104], v100, off
	v_max_f64 v[101:102], v[48:49], v[48:49]
	v_min_f64 v[101:102], v[101:102], v[125:126]
	s_waitcnt vmcnt(0)
	s_delay_alu instid0(VALU_DEP_1) | instskip(SKIP_4) | instid1(VALU_DEP_1)
	v_add_f64 v[101:102], v[101:102], v[103:104]
	v_mov_b32_e32 v104, 0x1a0
	scratch_store_b64 v100, v[101:102], off
	scratch_load_b64 v[102:103], v99, off
	v_max_f64 v[100:101], v[50:51], v[50:51]
	v_min_f64 v[100:101], v[100:101], v[125:126]
	s_waitcnt vmcnt(0)
	s_delay_alu instid0(VALU_DEP_1) | instskip(SKIP_4) | instid1(VALU_DEP_1)
	v_add_f64 v[100:101], v[100:101], v[102:103]
	v_mov_b32_e32 v103, 0x1a8
	scratch_store_b64 v99, v[100:101], off
	scratch_load_b64 v[101:102], v98, off
	v_max_f64 v[99:100], v[52:53], v[52:53]
	v_min_f64 v[99:100], v[99:100], v[125:126]
	s_waitcnt vmcnt(0)
	s_delay_alu instid0(VALU_DEP_1) | instskip(SKIP_4) | instid1(VALU_DEP_1)
	v_add_f64 v[99:100], v[99:100], v[101:102]
	v_mov_b32_e32 v102, 0x1b0
	scratch_store_b64 v98, v[99:100], off
	scratch_load_b64 v[100:101], v97, off
	v_max_f64 v[98:99], v[54:55], v[54:55]
	v_min_f64 v[98:99], v[98:99], v[125:126]
	s_waitcnt vmcnt(0)
	s_delay_alu instid0(VALU_DEP_1) | instskip(SKIP_4) | instid1(VALU_DEP_1)
	v_add_f64 v[98:99], v[98:99], v[100:101]
	v_mov_b32_e32 v101, 0x1b8
	scratch_store_b64 v97, v[98:99], off
	scratch_load_b64 v[99:100], v96, off
	v_max_f64 v[97:98], v[56:57], v[56:57]
	v_min_f64 v[97:98], v[97:98], v[125:126]
	s_waitcnt vmcnt(0)
	s_delay_alu instid0(VALU_DEP_1) | instskip(SKIP_4) | instid1(VALU_DEP_1)
	v_add_f64 v[97:98], v[97:98], v[99:100]
	v_mov_b32_e32 v100, 0x1c0
	scratch_store_b64 v96, v[97:98], off
	scratch_load_b64 v[98:99], v95, off
	v_max_f64 v[96:97], v[58:59], v[58:59]
	v_min_f64 v[96:97], v[96:97], v[125:126]
	s_waitcnt vmcnt(0)
	s_delay_alu instid0(VALU_DEP_1) | instskip(SKIP_4) | instid1(VALU_DEP_1)
	v_add_f64 v[96:97], v[96:97], v[98:99]
	v_mov_b32_e32 v99, 0x1c8
	scratch_store_b64 v95, v[96:97], off
	scratch_load_b64 v[97:98], v94, off
	v_max_f64 v[95:96], v[60:61], v[60:61]
	v_min_f64 v[95:96], v[95:96], v[125:126]
	s_waitcnt vmcnt(0)
	s_delay_alu instid0(VALU_DEP_1) | instskip(SKIP_4) | instid1(VALU_DEP_1)
	v_add_f64 v[95:96], v[95:96], v[97:98]
	v_mov_b32_e32 v98, 0x1d0
	scratch_store_b64 v94, v[95:96], off
	scratch_load_b64 v[96:97], v93, off
	v_max_f64 v[94:95], v[62:63], v[62:63]
	v_min_f64 v[94:95], v[94:95], v[125:126]
	s_waitcnt vmcnt(0)
	s_delay_alu instid0(VALU_DEP_1)
	v_add_f64 v[94:95], v[94:95], v[96:97]
	v_mov_b32_e32 v97, 0x1d8
	v_mov_b32_e32 v96, 0x1e0
	scratch_store_b64 v93, v[94:95], off
	v_mov_b32_e32 v95, 0x1e8
	v_mov_b32_e32 v94, 0x1f0
	v_mov_b32_e32 v93, 0x1f8
	s_cbranch_vccnz .LBB197_49
; %bb.50:                               ;   in Loop: Header=BB197_34 Depth=1
	v_add3_u32 v3, v82, s24, 4
	ds_store_2addr_stride64_b64 v84, v[74:75], v[72:73] offset1:4
	v_mov_b32_e32 v72, 0
	v_mov_b32_e32 v73, 0
	ds_store_2addr_stride64_b64 v86, v[78:79], v[76:77] offset1:4
	v_min_i32_e32 v0, s14, v3
	v_cmp_le_i32_e32 vcc_lo, s42, v3
	s_waitcnt lgkmcnt(0)
	s_waitcnt_vscnt null, 0x0
	v_dual_mov_b32 v75, v73 :: v_dual_mov_b32 v74, v72
	v_mad_i64_i32 v[1:2], null, v0, s21, 0
	s_or_b32 s7, s2, vcc_lo
	s_barrier
	buffer_gl0_inv
	v_lshlrev_b64 v[1:2], 3, v[1:2]
	s_delay_alu instid0(VALU_DEP_1) | instskip(NEXT) | instid1(VALU_DEP_1)
	v_add_co_u32 v1, s6, s12, v1
	v_add_co_ci_u32_e64 v2, s6, s13, v2, s6
	s_or_b32 s6, s22, s7
	s_delay_alu instid0(SALU_CYCLE_1) | instskip(NEXT) | instid1(SALU_CYCLE_1)
	s_xor_b32 s6, s6, -1
	s_and_saveexec_b32 s7, s6
	s_delay_alu instid0(SALU_CYCLE_1)
	s_xor_b32 s7, exec_lo, s7
	s_cbranch_execz .LBB197_52
; %bb.51:                               ;   in Loop: Header=BB197_34 Depth=1
	v_add_co_u32 v3, s6, v1, v68
	s_delay_alu instid0(VALU_DEP_1)
	v_add_co_ci_u32_e64 v4, s6, v2, v69, s6
	flat_load_b64 v[3:4], v[3:4]
	s_waitcnt vmcnt(0) lgkmcnt(0)
	v_mul_f64 v[74:75], v[3:4], s[16:17]
.LBB197_52:                             ;   in Loop: Header=BB197_34 Depth=1
	s_or_b32 exec_lo, exec_lo, s7
	s_or_b32 s6, s3, vcc_lo
	s_delay_alu instid0(SALU_CYCLE_1) | instskip(NEXT) | instid1(SALU_CYCLE_1)
	s_or_b32 s6, s22, s6
	s_xor_b32 s6, s6, -1
	s_delay_alu instid0(SALU_CYCLE_1)
	s_and_saveexec_b32 s7, s6
	s_cbranch_execz .LBB197_54
; %bb.53:                               ;   in Loop: Header=BB197_34 Depth=1
	v_add_co_u32 v1, s6, v1, v68
	s_delay_alu instid0(VALU_DEP_1)
	v_add_co_ci_u32_e64 v2, s6, v2, v69, s6
	flat_load_b64 v[1:2], v[1:2] offset:512
	s_waitcnt vmcnt(0) lgkmcnt(0)
	v_mul_f64 v[72:73], v[1:2], s[16:17]
.LBB197_54:                             ;   in Loop: Header=BB197_34 Depth=1
	s_or_b32 exec_lo, exec_lo, s7
	v_mad_i64_i32 v[1:2], null, v0, s23, 0
	v_mov_b32_e32 v76, 0
	v_mov_b32_e32 v77, 0
	s_or_b32 s7, s4, vcc_lo
	s_delay_alu instid0(VALU_DEP_1) | instskip(NEXT) | instid1(VALU_DEP_4)
	v_dual_mov_b32 v79, v77 :: v_dual_mov_b32 v78, v76
	v_lshlrev_b64 v[0:1], 3, v[1:2]
	s_delay_alu instid0(VALU_DEP_1) | instskip(NEXT) | instid1(VALU_DEP_1)
	v_add_co_u32 v0, s6, s18, v0
	v_add_co_ci_u32_e64 v1, s6, s19, v1, s6
	s_or_b32 s6, s22, s7
	s_delay_alu instid0(SALU_CYCLE_1) | instskip(NEXT) | instid1(SALU_CYCLE_1)
	s_xor_b32 s6, s6, -1
	s_and_saveexec_b32 s7, s6
	s_cbranch_execz .LBB197_56
; %bb.55:                               ;   in Loop: Header=BB197_34 Depth=1
	v_add_co_u32 v2, s6, v0, v70
	s_delay_alu instid0(VALU_DEP_1)
	v_add_co_ci_u32_e64 v3, s6, v1, v71, s6
	flat_load_b64 v[2:3], v[2:3]
	s_waitcnt vmcnt(0) lgkmcnt(0)
	v_mul_f64 v[78:79], v[2:3], s[16:17]
.LBB197_56:                             ;   in Loop: Header=BB197_34 Depth=1
	s_or_b32 exec_lo, exec_lo, s7
	s_or_b32 s6, s5, vcc_lo
	s_delay_alu instid0(SALU_CYCLE_1) | instskip(NEXT) | instid1(SALU_CYCLE_1)
	s_or_b32 s6, s22, s6
	s_xor_b32 s7, s6, -1
	s_delay_alu instid0(SALU_CYCLE_1)
	s_and_saveexec_b32 s6, s7
	s_cbranch_execz .LBB197_58
; %bb.57:                               ;   in Loop: Header=BB197_34 Depth=1
	v_add_co_u32 v0, vcc_lo, v0, v70
	v_add_co_ci_u32_e32 v1, vcc_lo, v1, v71, vcc_lo
	flat_load_b64 v[0:1], v[0:1] offset:512
	s_waitcnt vmcnt(0) lgkmcnt(0)
	v_mul_f64 v[76:77], v[0:1], s[16:17]
.LBB197_58:                             ;   in Loop: Header=BB197_34 Depth=1
	s_or_b32 exec_lo, exec_lo, s6
	v_dual_mov_b32 v124, 8 :: v_dual_add_nc_u32 v93, 0x800, v83
	ds_load_2addr_b64 v[0:3], v83 offset1:16
	ds_load_2addr_b64 v[4:7], v83 offset0:32 offset1:48
	ds_load_2addr_b64 v[8:11], v83 offset0:64 offset1:80
	;; [unrolled: 1-line block ×7, first 2 shown]
	ds_load_2addr_b64 v[32:35], v93 offset1:16
	ds_load_2addr_b64 v[36:39], v93 offset0:32 offset1:48
	ds_load_2addr_b64 v[40:43], v93 offset0:64 offset1:80
	;; [unrolled: 1-line block ×7, first 2 shown]
	ds_load_2addr_stride64_b64 v[64:67], v87 offset1:4
	v_dual_mov_b32 v125, 0 :: v_dual_mov_b32 v122, 24
	v_dual_mov_b32 v123, 16 :: v_dual_mov_b32 v120, 40
	;; [unrolled: 1-line block ×5, first 2 shown]
	v_mov_b32_e32 v115, 0x50
	v_mov_b32_e32 v113, 0x60
	;; [unrolled: 1-line block ×21, first 2 shown]
	s_mov_b64 s[6:7], 0
	s_mov_b32 s27, -1
.LBB197_59:                             ;   Parent Loop BB197_34 Depth=1
                                        ; =>  This Inner Loop Header: Depth=2
	scratch_load_b64 v[130:131], v125, off
	s_cmp_eq_u32 s6, 1
	s_waitcnt lgkmcnt(16)
	v_max_f64 v[128:129], v[0:1], v[0:1]
	s_cselect_b32 vcc_lo, -1, 0
	s_mov_b64 s[6:7], 1
	s_waitcnt lgkmcnt(0)
	v_dual_cndmask_b32 v127, v65, v67 :: v_dual_cndmask_b32 v126, v64, v66
	s_and_b32 vcc_lo, exec_lo, s27
	s_mov_b32 s27, 0
	s_delay_alu instid0(VALU_DEP_1) | instskip(NEXT) | instid1(VALU_DEP_1)
	v_max_f64 v[126:127], v[126:127], v[126:127]
	v_min_f64 v[128:129], v[128:129], v[126:127]
	s_waitcnt vmcnt(0)
	s_delay_alu instid0(VALU_DEP_1) | instskip(SKIP_3) | instid1(VALU_DEP_1)
	v_add_f64 v[128:129], v[130:131], v[128:129]
	scratch_load_b64 v[130:131], v124, off
	scratch_store_b64 v125, v[128:129], off
	v_max_f64 v[128:129], v[2:3], v[2:3]
	v_min_f64 v[128:129], v[128:129], v[126:127]
	s_waitcnt vmcnt(0)
	s_delay_alu instid0(VALU_DEP_1) | instskip(SKIP_3) | instid1(VALU_DEP_1)
	v_add_f64 v[128:129], v[128:129], v[130:131]
	scratch_store_b64 v124, v[128:129], off
	scratch_load_b64 v[128:129], v123, off
	v_max_f64 v[124:125], v[4:5], v[4:5]
	v_min_f64 v[124:125], v[124:125], v[126:127]
	s_waitcnt vmcnt(0)
	s_delay_alu instid0(VALU_DEP_1) | instskip(SKIP_3) | instid1(VALU_DEP_1)
	v_add_f64 v[124:125], v[124:125], v[128:129]
	scratch_load_b64 v[128:129], v122, off
	scratch_store_b64 v123, v[124:125], off
	v_max_f64 v[123:124], v[6:7], v[6:7]
	v_min_f64 v[123:124], v[123:124], v[126:127]
	s_waitcnt vmcnt(0)
	s_delay_alu instid0(VALU_DEP_1) | instskip(SKIP_3) | instid1(VALU_DEP_1)
	v_add_f64 v[123:124], v[123:124], v[128:129]
	scratch_store_b64 v122, v[123:124], off
	scratch_load_b64 v[124:125], v121, off
	v_max_f64 v[122:123], v[8:9], v[8:9]
	v_min_f64 v[122:123], v[122:123], v[126:127]
	s_waitcnt vmcnt(0)
	s_delay_alu instid0(VALU_DEP_1) | instskip(SKIP_4) | instid1(VALU_DEP_1)
	v_add_f64 v[122:123], v[122:123], v[124:125]
	v_mov_b32_e32 v125, 0x100
	scratch_store_b64 v121, v[122:123], off
	scratch_load_b64 v[123:124], v120, off
	v_max_f64 v[121:122], v[10:11], v[10:11]
	v_min_f64 v[121:122], v[121:122], v[126:127]
	s_waitcnt vmcnt(0)
	s_delay_alu instid0(VALU_DEP_1) | instskip(SKIP_4) | instid1(VALU_DEP_1)
	v_add_f64 v[121:122], v[121:122], v[123:124]
	v_mov_b32_e32 v124, 0x108
	;; [unrolled: 8-line block ×27, first 2 shown]
	scratch_store_b64 v95, v[96:97], off
	scratch_load_b64 v[97:98], v94, off
	v_max_f64 v[95:96], v[62:63], v[62:63]
	v_min_f64 v[95:96], v[95:96], v[126:127]
	s_waitcnt vmcnt(0)
	s_delay_alu instid0(VALU_DEP_1)
	v_add_f64 v[95:96], v[95:96], v[97:98]
	v_mov_b32_e32 v98, 0x1d8
	v_mov_b32_e32 v97, 0x1e0
	scratch_store_b64 v94, v[95:96], off
	v_mov_b32_e32 v96, 0x1e8
	v_mov_b32_e32 v95, 0x1f0
	;; [unrolled: 1-line block ×3, first 2 shown]
	s_cbranch_vccnz .LBB197_59
; %bb.60:                               ;   in Loop: Header=BB197_34 Depth=1
	ds_load_2addr_b64 v[0:3], v83 offset0:1 offset1:17
	ds_load_2addr_b64 v[4:7], v83 offset0:33 offset1:49
	;; [unrolled: 1-line block ×12, first 2 shown]
	v_dual_mov_b32 v125, 0 :: v_dual_add_nc_u32 v64, 8, v87
	ds_load_2addr_b64 v[48:51], v93 offset0:129 offset1:145
	ds_load_2addr_b64 v[52:55], v93 offset0:161 offset1:177
	;; [unrolled: 1-line block ×4, first 2 shown]
	ds_load_2addr_stride64_b64 v[64:67], v64 offset1:4
	v_dual_mov_b32 v124, 8 :: v_dual_mov_b32 v123, 16
	v_dual_mov_b32 v122, 24 :: v_dual_mov_b32 v121, 32
	;; [unrolled: 1-line block ×4, first 2 shown]
	v_mov_b32_e32 v116, 0x48
	v_mov_b32_e32 v115, 0x50
	;; [unrolled: 1-line block ×23, first 2 shown]
	s_mov_b64 s[6:7], 0
	s_mov_b32 s27, -1
.LBB197_61:                             ;   Parent Loop BB197_34 Depth=1
                                        ; =>  This Inner Loop Header: Depth=2
	scratch_load_b64 v[130:131], v125, off
	s_cmp_eq_u32 s6, 1
	s_waitcnt lgkmcnt(16)
	v_max_f64 v[128:129], v[0:1], v[0:1]
	s_cselect_b32 vcc_lo, -1, 0
	s_mov_b64 s[6:7], 1
	s_waitcnt lgkmcnt(0)
	v_dual_cndmask_b32 v127, v65, v67 :: v_dual_cndmask_b32 v126, v64, v66
	s_and_b32 vcc_lo, exec_lo, s27
	s_mov_b32 s27, 0
	s_delay_alu instid0(VALU_DEP_1) | instskip(NEXT) | instid1(VALU_DEP_1)
	v_max_f64 v[126:127], v[126:127], v[126:127]
	v_min_f64 v[128:129], v[128:129], v[126:127]
	s_waitcnt vmcnt(0)
	s_delay_alu instid0(VALU_DEP_1) | instskip(SKIP_3) | instid1(VALU_DEP_1)
	v_add_f64 v[128:129], v[130:131], v[128:129]
	scratch_load_b64 v[130:131], v124, off
	scratch_store_b64 v125, v[128:129], off
	v_max_f64 v[128:129], v[2:3], v[2:3]
	v_min_f64 v[128:129], v[128:129], v[126:127]
	s_waitcnt vmcnt(0)
	s_delay_alu instid0(VALU_DEP_1) | instskip(SKIP_3) | instid1(VALU_DEP_1)
	v_add_f64 v[128:129], v[128:129], v[130:131]
	scratch_store_b64 v124, v[128:129], off
	scratch_load_b64 v[128:129], v123, off
	v_max_f64 v[124:125], v[4:5], v[4:5]
	v_min_f64 v[124:125], v[124:125], v[126:127]
	s_waitcnt vmcnt(0)
	s_delay_alu instid0(VALU_DEP_1) | instskip(SKIP_3) | instid1(VALU_DEP_1)
	v_add_f64 v[124:125], v[124:125], v[128:129]
	scratch_load_b64 v[128:129], v122, off
	scratch_store_b64 v123, v[124:125], off
	v_max_f64 v[123:124], v[6:7], v[6:7]
	v_min_f64 v[123:124], v[123:124], v[126:127]
	s_waitcnt vmcnt(0)
	s_delay_alu instid0(VALU_DEP_1) | instskip(SKIP_3) | instid1(VALU_DEP_1)
	v_add_f64 v[123:124], v[123:124], v[128:129]
	scratch_store_b64 v122, v[123:124], off
	scratch_load_b64 v[124:125], v121, off
	v_max_f64 v[122:123], v[8:9], v[8:9]
	v_min_f64 v[122:123], v[122:123], v[126:127]
	s_waitcnt vmcnt(0)
	s_delay_alu instid0(VALU_DEP_1) | instskip(SKIP_4) | instid1(VALU_DEP_1)
	v_add_f64 v[122:123], v[122:123], v[124:125]
	v_mov_b32_e32 v125, 0x100
	scratch_store_b64 v121, v[122:123], off
	scratch_load_b64 v[123:124], v120, off
	v_max_f64 v[121:122], v[10:11], v[10:11]
	v_min_f64 v[121:122], v[121:122], v[126:127]
	s_waitcnt vmcnt(0)
	s_delay_alu instid0(VALU_DEP_1) | instskip(SKIP_4) | instid1(VALU_DEP_1)
	v_add_f64 v[121:122], v[121:122], v[123:124]
	v_mov_b32_e32 v124, 0x108
	scratch_store_b64 v120, v[121:122], off
	scratch_load_b64 v[122:123], v119, off
	v_max_f64 v[120:121], v[12:13], v[12:13]
	v_min_f64 v[120:121], v[120:121], v[126:127]
	s_waitcnt vmcnt(0)
	s_delay_alu instid0(VALU_DEP_1) | instskip(SKIP_4) | instid1(VALU_DEP_1)
	v_add_f64 v[120:121], v[120:121], v[122:123]
	v_mov_b32_e32 v123, 0x110
	scratch_store_b64 v119, v[120:121], off
	scratch_load_b64 v[121:122], v118, off
	v_max_f64 v[119:120], v[14:15], v[14:15]
	v_min_f64 v[119:120], v[119:120], v[126:127]
	s_waitcnt vmcnt(0)
	s_delay_alu instid0(VALU_DEP_1) | instskip(SKIP_4) | instid1(VALU_DEP_1)
	v_add_f64 v[119:120], v[119:120], v[121:122]
	v_mov_b32_e32 v122, 0x118
	scratch_store_b64 v118, v[119:120], off
	scratch_load_b64 v[120:121], v117, off
	v_max_f64 v[118:119], v[16:17], v[16:17]
	v_min_f64 v[118:119], v[118:119], v[126:127]
	s_waitcnt vmcnt(0)
	s_delay_alu instid0(VALU_DEP_1) | instskip(SKIP_4) | instid1(VALU_DEP_1)
	v_add_f64 v[118:119], v[118:119], v[120:121]
	v_mov_b32_e32 v121, 0x120
	scratch_store_b64 v117, v[118:119], off
	scratch_load_b64 v[119:120], v116, off
	v_max_f64 v[117:118], v[18:19], v[18:19]
	v_min_f64 v[117:118], v[117:118], v[126:127]
	s_waitcnt vmcnt(0)
	s_delay_alu instid0(VALU_DEP_1) | instskip(SKIP_4) | instid1(VALU_DEP_1)
	v_add_f64 v[117:118], v[117:118], v[119:120]
	v_mov_b32_e32 v120, 0x128
	scratch_store_b64 v116, v[117:118], off
	scratch_load_b64 v[118:119], v115, off
	v_max_f64 v[116:117], v[20:21], v[20:21]
	v_min_f64 v[116:117], v[116:117], v[126:127]
	s_waitcnt vmcnt(0)
	s_delay_alu instid0(VALU_DEP_1) | instskip(SKIP_4) | instid1(VALU_DEP_1)
	v_add_f64 v[116:117], v[116:117], v[118:119]
	v_mov_b32_e32 v119, 0x130
	scratch_store_b64 v115, v[116:117], off
	scratch_load_b64 v[117:118], v114, off
	v_max_f64 v[115:116], v[22:23], v[22:23]
	v_min_f64 v[115:116], v[115:116], v[126:127]
	s_waitcnt vmcnt(0)
	s_delay_alu instid0(VALU_DEP_1) | instskip(SKIP_4) | instid1(VALU_DEP_1)
	v_add_f64 v[115:116], v[115:116], v[117:118]
	v_mov_b32_e32 v118, 0x138
	scratch_store_b64 v114, v[115:116], off
	scratch_load_b64 v[116:117], v113, off
	v_max_f64 v[114:115], v[24:25], v[24:25]
	v_min_f64 v[114:115], v[114:115], v[126:127]
	s_waitcnt vmcnt(0)
	s_delay_alu instid0(VALU_DEP_1) | instskip(SKIP_4) | instid1(VALU_DEP_1)
	v_add_f64 v[114:115], v[114:115], v[116:117]
	v_mov_b32_e32 v117, 0x140
	scratch_store_b64 v113, v[114:115], off
	scratch_load_b64 v[115:116], v112, off
	v_max_f64 v[113:114], v[26:27], v[26:27]
	v_min_f64 v[113:114], v[113:114], v[126:127]
	s_waitcnt vmcnt(0)
	s_delay_alu instid0(VALU_DEP_1) | instskip(SKIP_4) | instid1(VALU_DEP_1)
	v_add_f64 v[113:114], v[113:114], v[115:116]
	v_mov_b32_e32 v116, 0x148
	scratch_store_b64 v112, v[113:114], off
	scratch_load_b64 v[114:115], v111, off
	v_max_f64 v[112:113], v[28:29], v[28:29]
	v_min_f64 v[112:113], v[112:113], v[126:127]
	s_waitcnt vmcnt(0)
	s_delay_alu instid0(VALU_DEP_1) | instskip(SKIP_4) | instid1(VALU_DEP_1)
	v_add_f64 v[112:113], v[112:113], v[114:115]
	v_mov_b32_e32 v115, 0x150
	scratch_store_b64 v111, v[112:113], off
	scratch_load_b64 v[113:114], v110, off
	v_max_f64 v[111:112], v[30:31], v[30:31]
	v_min_f64 v[111:112], v[111:112], v[126:127]
	s_waitcnt vmcnt(0)
	s_delay_alu instid0(VALU_DEP_1) | instskip(SKIP_4) | instid1(VALU_DEP_1)
	v_add_f64 v[111:112], v[111:112], v[113:114]
	v_mov_b32_e32 v114, 0x158
	scratch_store_b64 v110, v[111:112], off
	scratch_load_b64 v[112:113], v109, off
	v_max_f64 v[110:111], v[32:33], v[32:33]
	v_min_f64 v[110:111], v[110:111], v[126:127]
	s_waitcnt vmcnt(0)
	s_delay_alu instid0(VALU_DEP_1) | instskip(SKIP_4) | instid1(VALU_DEP_1)
	v_add_f64 v[110:111], v[110:111], v[112:113]
	v_mov_b32_e32 v113, 0x160
	scratch_store_b64 v109, v[110:111], off
	scratch_load_b64 v[111:112], v108, off
	v_max_f64 v[109:110], v[34:35], v[34:35]
	v_min_f64 v[109:110], v[109:110], v[126:127]
	s_waitcnt vmcnt(0)
	s_delay_alu instid0(VALU_DEP_1) | instskip(SKIP_4) | instid1(VALU_DEP_1)
	v_add_f64 v[109:110], v[109:110], v[111:112]
	v_mov_b32_e32 v112, 0x168
	scratch_store_b64 v108, v[109:110], off
	scratch_load_b64 v[110:111], v107, off
	v_max_f64 v[108:109], v[36:37], v[36:37]
	v_min_f64 v[108:109], v[108:109], v[126:127]
	s_waitcnt vmcnt(0)
	s_delay_alu instid0(VALU_DEP_1) | instskip(SKIP_4) | instid1(VALU_DEP_1)
	v_add_f64 v[108:109], v[108:109], v[110:111]
	v_mov_b32_e32 v111, 0x170
	scratch_store_b64 v107, v[108:109], off
	scratch_load_b64 v[109:110], v106, off
	v_max_f64 v[107:108], v[38:39], v[38:39]
	v_min_f64 v[107:108], v[107:108], v[126:127]
	s_waitcnt vmcnt(0)
	s_delay_alu instid0(VALU_DEP_1) | instskip(SKIP_4) | instid1(VALU_DEP_1)
	v_add_f64 v[107:108], v[107:108], v[109:110]
	v_mov_b32_e32 v110, 0x178
	scratch_store_b64 v106, v[107:108], off
	scratch_load_b64 v[108:109], v105, off
	v_max_f64 v[106:107], v[40:41], v[40:41]
	v_min_f64 v[106:107], v[106:107], v[126:127]
	s_waitcnt vmcnt(0)
	s_delay_alu instid0(VALU_DEP_1) | instskip(SKIP_4) | instid1(VALU_DEP_1)
	v_add_f64 v[106:107], v[106:107], v[108:109]
	v_mov_b32_e32 v109, 0x180
	scratch_store_b64 v105, v[106:107], off
	scratch_load_b64 v[107:108], v104, off
	v_max_f64 v[105:106], v[42:43], v[42:43]
	v_min_f64 v[105:106], v[105:106], v[126:127]
	s_waitcnt vmcnt(0)
	s_delay_alu instid0(VALU_DEP_1) | instskip(SKIP_4) | instid1(VALU_DEP_1)
	v_add_f64 v[105:106], v[105:106], v[107:108]
	v_mov_b32_e32 v108, 0x188
	scratch_store_b64 v104, v[105:106], off
	scratch_load_b64 v[106:107], v103, off
	v_max_f64 v[104:105], v[44:45], v[44:45]
	v_min_f64 v[104:105], v[104:105], v[126:127]
	s_waitcnt vmcnt(0)
	s_delay_alu instid0(VALU_DEP_1) | instskip(SKIP_4) | instid1(VALU_DEP_1)
	v_add_f64 v[104:105], v[104:105], v[106:107]
	v_mov_b32_e32 v107, 0x190
	scratch_store_b64 v103, v[104:105], off
	scratch_load_b64 v[105:106], v102, off
	v_max_f64 v[103:104], v[46:47], v[46:47]
	v_min_f64 v[103:104], v[103:104], v[126:127]
	s_waitcnt vmcnt(0)
	s_delay_alu instid0(VALU_DEP_1) | instskip(SKIP_4) | instid1(VALU_DEP_1)
	v_add_f64 v[103:104], v[103:104], v[105:106]
	v_mov_b32_e32 v106, 0x198
	scratch_store_b64 v102, v[103:104], off
	scratch_load_b64 v[104:105], v101, off
	v_max_f64 v[102:103], v[48:49], v[48:49]
	v_min_f64 v[102:103], v[102:103], v[126:127]
	s_waitcnt vmcnt(0)
	s_delay_alu instid0(VALU_DEP_1) | instskip(SKIP_4) | instid1(VALU_DEP_1)
	v_add_f64 v[102:103], v[102:103], v[104:105]
	v_mov_b32_e32 v105, 0x1a0
	scratch_store_b64 v101, v[102:103], off
	scratch_load_b64 v[103:104], v100, off
	v_max_f64 v[101:102], v[50:51], v[50:51]
	v_min_f64 v[101:102], v[101:102], v[126:127]
	s_waitcnt vmcnt(0)
	s_delay_alu instid0(VALU_DEP_1) | instskip(SKIP_4) | instid1(VALU_DEP_1)
	v_add_f64 v[101:102], v[101:102], v[103:104]
	v_mov_b32_e32 v104, 0x1a8
	scratch_store_b64 v100, v[101:102], off
	scratch_load_b64 v[102:103], v99, off
	v_max_f64 v[100:101], v[52:53], v[52:53]
	v_min_f64 v[100:101], v[100:101], v[126:127]
	s_waitcnt vmcnt(0)
	s_delay_alu instid0(VALU_DEP_1) | instskip(SKIP_4) | instid1(VALU_DEP_1)
	v_add_f64 v[100:101], v[100:101], v[102:103]
	v_mov_b32_e32 v103, 0x1b0
	scratch_store_b64 v99, v[100:101], off
	scratch_load_b64 v[101:102], v98, off
	v_max_f64 v[99:100], v[54:55], v[54:55]
	v_min_f64 v[99:100], v[99:100], v[126:127]
	s_waitcnt vmcnt(0)
	s_delay_alu instid0(VALU_DEP_1) | instskip(SKIP_4) | instid1(VALU_DEP_1)
	v_add_f64 v[99:100], v[99:100], v[101:102]
	v_mov_b32_e32 v102, 0x1b8
	scratch_store_b64 v98, v[99:100], off
	scratch_load_b64 v[100:101], v97, off
	v_max_f64 v[98:99], v[56:57], v[56:57]
	v_min_f64 v[98:99], v[98:99], v[126:127]
	s_waitcnt vmcnt(0)
	s_delay_alu instid0(VALU_DEP_1) | instskip(SKIP_4) | instid1(VALU_DEP_1)
	v_add_f64 v[98:99], v[98:99], v[100:101]
	v_mov_b32_e32 v101, 0x1c0
	scratch_store_b64 v97, v[98:99], off
	scratch_load_b64 v[99:100], v96, off
	v_max_f64 v[97:98], v[58:59], v[58:59]
	v_min_f64 v[97:98], v[97:98], v[126:127]
	s_waitcnt vmcnt(0)
	s_delay_alu instid0(VALU_DEP_1) | instskip(SKIP_4) | instid1(VALU_DEP_1)
	v_add_f64 v[97:98], v[97:98], v[99:100]
	v_mov_b32_e32 v100, 0x1c8
	scratch_store_b64 v96, v[97:98], off
	scratch_load_b64 v[98:99], v95, off
	v_max_f64 v[96:97], v[60:61], v[60:61]
	v_min_f64 v[96:97], v[96:97], v[126:127]
	s_waitcnt vmcnt(0)
	s_delay_alu instid0(VALU_DEP_1) | instskip(SKIP_4) | instid1(VALU_DEP_1)
	v_add_f64 v[96:97], v[96:97], v[98:99]
	v_mov_b32_e32 v99, 0x1d0
	scratch_store_b64 v95, v[96:97], off
	scratch_load_b64 v[97:98], v94, off
	v_max_f64 v[95:96], v[62:63], v[62:63]
	v_min_f64 v[95:96], v[95:96], v[126:127]
	s_waitcnt vmcnt(0)
	s_delay_alu instid0(VALU_DEP_1)
	v_add_f64 v[95:96], v[95:96], v[97:98]
	v_mov_b32_e32 v98, 0x1d8
	v_mov_b32_e32 v97, 0x1e0
	scratch_store_b64 v94, v[95:96], off
	v_mov_b32_e32 v96, 0x1e8
	v_mov_b32_e32 v95, 0x1f0
	;; [unrolled: 1-line block ×3, first 2 shown]
	s_cbranch_vccnz .LBB197_61
; %bb.62:                               ;   in Loop: Header=BB197_34 Depth=1
	ds_load_2addr_b64 v[0:3], v83 offset0:2 offset1:18
	ds_load_2addr_b64 v[4:7], v83 offset0:34 offset1:50
	;; [unrolled: 1-line block ×12, first 2 shown]
	v_dual_mov_b32 v125, 0 :: v_dual_add_nc_u32 v64, 16, v87
	ds_load_2addr_b64 v[48:51], v93 offset0:130 offset1:146
	ds_load_2addr_b64 v[52:55], v93 offset0:162 offset1:178
	;; [unrolled: 1-line block ×4, first 2 shown]
	ds_load_2addr_stride64_b64 v[64:67], v64 offset1:4
	v_dual_mov_b32 v124, 8 :: v_dual_mov_b32 v123, 16
	v_dual_mov_b32 v122, 24 :: v_dual_mov_b32 v121, 32
	;; [unrolled: 1-line block ×4, first 2 shown]
	v_mov_b32_e32 v116, 0x48
	v_mov_b32_e32 v115, 0x50
	;; [unrolled: 1-line block ×23, first 2 shown]
	s_mov_b64 s[6:7], 0
	s_mov_b32 s27, -1
.LBB197_63:                             ;   Parent Loop BB197_34 Depth=1
                                        ; =>  This Inner Loop Header: Depth=2
	scratch_load_b64 v[130:131], v125, off
	s_cmp_eq_u32 s6, 1
	s_waitcnt lgkmcnt(16)
	v_max_f64 v[128:129], v[0:1], v[0:1]
	s_cselect_b32 vcc_lo, -1, 0
	s_mov_b64 s[6:7], 1
	s_waitcnt lgkmcnt(0)
	v_dual_cndmask_b32 v127, v65, v67 :: v_dual_cndmask_b32 v126, v64, v66
	s_and_b32 vcc_lo, exec_lo, s27
	s_mov_b32 s27, 0
	s_delay_alu instid0(VALU_DEP_1) | instskip(NEXT) | instid1(VALU_DEP_1)
	v_max_f64 v[126:127], v[126:127], v[126:127]
	v_min_f64 v[128:129], v[128:129], v[126:127]
	s_waitcnt vmcnt(0)
	s_delay_alu instid0(VALU_DEP_1) | instskip(SKIP_3) | instid1(VALU_DEP_1)
	v_add_f64 v[128:129], v[130:131], v[128:129]
	scratch_load_b64 v[130:131], v124, off
	scratch_store_b64 v125, v[128:129], off
	v_max_f64 v[128:129], v[2:3], v[2:3]
	v_min_f64 v[128:129], v[128:129], v[126:127]
	s_waitcnt vmcnt(0)
	s_delay_alu instid0(VALU_DEP_1) | instskip(SKIP_3) | instid1(VALU_DEP_1)
	v_add_f64 v[128:129], v[128:129], v[130:131]
	scratch_store_b64 v124, v[128:129], off
	scratch_load_b64 v[128:129], v123, off
	v_max_f64 v[124:125], v[4:5], v[4:5]
	v_min_f64 v[124:125], v[124:125], v[126:127]
	s_waitcnt vmcnt(0)
	s_delay_alu instid0(VALU_DEP_1) | instskip(SKIP_3) | instid1(VALU_DEP_1)
	v_add_f64 v[124:125], v[124:125], v[128:129]
	scratch_load_b64 v[128:129], v122, off
	scratch_store_b64 v123, v[124:125], off
	v_max_f64 v[123:124], v[6:7], v[6:7]
	v_min_f64 v[123:124], v[123:124], v[126:127]
	s_waitcnt vmcnt(0)
	s_delay_alu instid0(VALU_DEP_1) | instskip(SKIP_3) | instid1(VALU_DEP_1)
	v_add_f64 v[123:124], v[123:124], v[128:129]
	scratch_store_b64 v122, v[123:124], off
	scratch_load_b64 v[124:125], v121, off
	v_max_f64 v[122:123], v[8:9], v[8:9]
	v_min_f64 v[122:123], v[122:123], v[126:127]
	s_waitcnt vmcnt(0)
	s_delay_alu instid0(VALU_DEP_1) | instskip(SKIP_4) | instid1(VALU_DEP_1)
	v_add_f64 v[122:123], v[122:123], v[124:125]
	v_mov_b32_e32 v125, 0x100
	scratch_store_b64 v121, v[122:123], off
	scratch_load_b64 v[123:124], v120, off
	v_max_f64 v[121:122], v[10:11], v[10:11]
	v_min_f64 v[121:122], v[121:122], v[126:127]
	s_waitcnt vmcnt(0)
	s_delay_alu instid0(VALU_DEP_1) | instskip(SKIP_4) | instid1(VALU_DEP_1)
	v_add_f64 v[121:122], v[121:122], v[123:124]
	v_mov_b32_e32 v124, 0x108
	;; [unrolled: 8-line block ×27, first 2 shown]
	scratch_store_b64 v95, v[96:97], off
	scratch_load_b64 v[97:98], v94, off
	v_max_f64 v[95:96], v[62:63], v[62:63]
	v_min_f64 v[95:96], v[95:96], v[126:127]
	s_waitcnt vmcnt(0)
	s_delay_alu instid0(VALU_DEP_1)
	v_add_f64 v[95:96], v[95:96], v[97:98]
	v_mov_b32_e32 v98, 0x1d8
	v_mov_b32_e32 v97, 0x1e0
	scratch_store_b64 v94, v[95:96], off
	v_mov_b32_e32 v96, 0x1e8
	v_mov_b32_e32 v95, 0x1f0
	;; [unrolled: 1-line block ×3, first 2 shown]
	s_cbranch_vccnz .LBB197_63
; %bb.64:                               ;   in Loop: Header=BB197_34 Depth=1
	ds_load_2addr_b64 v[0:3], v83 offset0:3 offset1:19
	ds_load_2addr_b64 v[4:7], v83 offset0:35 offset1:51
	;; [unrolled: 1-line block ×12, first 2 shown]
	v_dual_mov_b32 v123, 8 :: v_dual_add_nc_u32 v64, 24, v87
	ds_load_2addr_b64 v[48:51], v93 offset0:131 offset1:147
	ds_load_2addr_b64 v[52:55], v93 offset0:163 offset1:179
	;; [unrolled: 1-line block ×4, first 2 shown]
	ds_load_2addr_stride64_b64 v[64:67], v64 offset1:4
	v_dual_mov_b32 v124, 0 :: v_dual_mov_b32 v121, 24
	v_dual_mov_b32 v122, 16 :: v_dual_mov_b32 v119, 40
	v_dual_mov_b32 v120, 32 :: v_dual_mov_b32 v117, 56
	v_dual_mov_b32 v118, 48 :: v_dual_mov_b32 v115, 0x48
	v_dual_mov_b32 v116, 64 :: v_dual_mov_b32 v113, 0x58
	v_mov_b32_e32 v114, 0x50
	v_mov_b32_e32 v112, 0x60
	;; [unrolled: 1-line block ×21, first 2 shown]
	s_mov_b64 s[6:7], 0
	s_mov_b32 s27, -1
.LBB197_65:                             ;   Parent Loop BB197_34 Depth=1
                                        ; =>  This Inner Loop Header: Depth=2
	scratch_load_b64 v[129:130], v124, off
	s_cmp_eq_u32 s6, 1
	s_waitcnt lgkmcnt(16)
	v_max_f64 v[127:128], v[0:1], v[0:1]
	s_cselect_b32 vcc_lo, -1, 0
	s_mov_b64 s[6:7], 1
	s_waitcnt lgkmcnt(0)
	v_dual_cndmask_b32 v126, v65, v67 :: v_dual_cndmask_b32 v125, v64, v66
	s_and_b32 vcc_lo, exec_lo, s27
	s_mov_b32 s27, 0
	s_delay_alu instid0(VALU_DEP_1) | instskip(NEXT) | instid1(VALU_DEP_1)
	v_max_f64 v[125:126], v[125:126], v[125:126]
	v_min_f64 v[127:128], v[127:128], v[125:126]
	s_waitcnt vmcnt(0)
	s_delay_alu instid0(VALU_DEP_1) | instskip(SKIP_3) | instid1(VALU_DEP_1)
	v_add_f64 v[127:128], v[129:130], v[127:128]
	scratch_load_b64 v[129:130], v123, off
	scratch_store_b64 v124, v[127:128], off
	v_max_f64 v[127:128], v[2:3], v[2:3]
	v_min_f64 v[127:128], v[127:128], v[125:126]
	s_waitcnt vmcnt(0)
	s_delay_alu instid0(VALU_DEP_1) | instskip(SKIP_3) | instid1(VALU_DEP_1)
	v_add_f64 v[127:128], v[127:128], v[129:130]
	scratch_store_b64 v123, v[127:128], off
	scratch_load_b64 v[127:128], v122, off
	v_max_f64 v[123:124], v[4:5], v[4:5]
	v_min_f64 v[123:124], v[123:124], v[125:126]
	s_waitcnt vmcnt(0)
	s_delay_alu instid0(VALU_DEP_1) | instskip(SKIP_3) | instid1(VALU_DEP_1)
	v_add_f64 v[123:124], v[123:124], v[127:128]
	scratch_load_b64 v[127:128], v121, off
	scratch_store_b64 v122, v[123:124], off
	v_max_f64 v[122:123], v[6:7], v[6:7]
	v_min_f64 v[122:123], v[122:123], v[125:126]
	s_waitcnt vmcnt(0)
	s_delay_alu instid0(VALU_DEP_1) | instskip(SKIP_3) | instid1(VALU_DEP_1)
	v_add_f64 v[122:123], v[122:123], v[127:128]
	scratch_store_b64 v121, v[122:123], off
	scratch_load_b64 v[123:124], v120, off
	v_max_f64 v[121:122], v[8:9], v[8:9]
	v_min_f64 v[121:122], v[121:122], v[125:126]
	s_waitcnt vmcnt(0)
	s_delay_alu instid0(VALU_DEP_1) | instskip(SKIP_4) | instid1(VALU_DEP_1)
	v_add_f64 v[121:122], v[121:122], v[123:124]
	v_mov_b32_e32 v124, 0x100
	scratch_store_b64 v120, v[121:122], off
	scratch_load_b64 v[122:123], v119, off
	v_max_f64 v[120:121], v[10:11], v[10:11]
	v_min_f64 v[120:121], v[120:121], v[125:126]
	s_waitcnt vmcnt(0)
	s_delay_alu instid0(VALU_DEP_1) | instskip(SKIP_4) | instid1(VALU_DEP_1)
	v_add_f64 v[120:121], v[120:121], v[122:123]
	v_mov_b32_e32 v123, 0x108
	;; [unrolled: 8-line block ×27, first 2 shown]
	scratch_store_b64 v94, v[95:96], off
	scratch_load_b64 v[96:97], v93, off
	v_max_f64 v[94:95], v[62:63], v[62:63]
	v_min_f64 v[94:95], v[94:95], v[125:126]
	s_waitcnt vmcnt(0)
	s_delay_alu instid0(VALU_DEP_1)
	v_add_f64 v[94:95], v[94:95], v[96:97]
	v_mov_b32_e32 v97, 0x1d8
	v_mov_b32_e32 v96, 0x1e0
	scratch_store_b64 v93, v[94:95], off
	v_mov_b32_e32 v95, 0x1e8
	v_mov_b32_e32 v94, 0x1f0
	;; [unrolled: 1-line block ×3, first 2 shown]
	s_cbranch_vccnz .LBB197_65
; %bb.66:                               ;   in Loop: Header=BB197_34 Depth=1
	s_add_i32 s26, s26, 8
	s_add_i32 s24, s24, 8
	s_cmp_ge_i32 s26, s25
	ds_store_2addr_stride64_b64 v88, v[74:75], v[72:73] offset1:4
	ds_store_2addr_stride64_b64 v90, v[78:79], v[76:77] offset1:4
	s_waitcnt lgkmcnt(0)
	s_waitcnt_vscnt null, 0x0
	s_barrier
	buffer_gl0_inv
	s_cbranch_scc0 .LBB197_34
.LBB197_67:
	v_dual_mov_b32 v71, 8 :: v_dual_add_nc_u32 v28, 0x1000, v83
	v_dual_mov_b32 v75, 40 :: v_dual_add_nc_u32 v60, 0x1800, v83
	;; [unrolled: 1-line block ×3, first 2 shown]
	ds_load_2addr_b64 v[0:3], v28 offset1:16
	ds_load_2addr_b64 v[4:7], v28 offset0:32 offset1:48
	ds_load_2addr_b64 v[8:11], v28 offset0:64 offset1:80
	ds_load_2addr_b64 v[12:15], v28 offset0:96 offset1:112
	ds_load_2addr_b64 v[16:19], v28 offset0:128 offset1:144
	ds_load_2addr_b64 v[20:23], v28 offset0:160 offset1:176
	ds_load_2addr_b64 v[24:27], v28 offset0:192 offset1:208
	ds_load_2addr_b64 v[28:31], v28 offset0:224 offset1:240
	ds_load_2addr_b64 v[32:35], v60 offset1:16
	ds_load_2addr_b64 v[36:39], v60 offset0:32 offset1:48
	ds_load_2addr_b64 v[40:43], v60 offset0:64 offset1:80
	;; [unrolled: 1-line block ×7, first 2 shown]
	ds_load_2addr_stride64_b64 v[64:67], v85 offset0:24 offset1:28
	v_dual_mov_b32 v70, 0 :: v_dual_add_nc_u32 v69, 0x3000, v85
	v_dual_mov_b32 v72, 16 :: v_dual_mov_b32 v77, 56
	v_dual_mov_b32 v74, 32 :: v_dual_mov_b32 v79, 0x48
	;; [unrolled: 1-line block ×4, first 2 shown]
	v_mov_b32_e32 v82, 0x50
	v_mov_b32_e32 v84, 0x60
	;; [unrolled: 1-line block ×20, first 2 shown]
	s_mov_b64 s[2:3], 0
	s_mov_b32 s4, -1
.LBB197_68:                             ; =>This Inner Loop Header: Depth=1
	scratch_load_b64 v[104:105], v70, off
	scratch_load_b64 v[106:107], v71, off
	;; [unrolled: 1-line block ×32, first 2 shown]
	s_cmp_eq_u32 s2, 1
	s_waitcnt lgkmcnt(16)
	v_max_f64 v[170:171], v[0:1], v[0:1]
	s_cselect_b32 vcc_lo, -1, 0
	v_max_f64 v[172:173], v[2:3], v[2:3]
	s_waitcnt lgkmcnt(0)
	v_dual_cndmask_b32 v169, v65, v67 :: v_dual_cndmask_b32 v168, v64, v66
	v_max_f64 v[174:175], v[4:5], v[4:5]
	v_max_f64 v[176:177], v[6:7], v[6:7]
	;; [unrolled: 1-line block ×31, first 2 shown]
	s_mov_b64 s[2:3], 1
	s_and_b32 vcc_lo, exec_lo, s4
	s_mov_b32 s4, 0
	v_min_f64 v[170:171], v[170:171], v[168:169]
	v_min_f64 v[172:173], v[172:173], v[168:169]
	;; [unrolled: 1-line block ×32, first 2 shown]
	s_waitcnt vmcnt(31)
	v_add_f64 v[104:105], v[104:105], v[170:171]
	s_waitcnt vmcnt(30)
	v_add_f64 v[106:107], v[172:173], v[106:107]
	;; [unrolled: 2-line block ×32, first 2 shown]
	scratch_store_b64 v70, v[104:105], off
	scratch_store_b64 v71, v[106:107], off
	;; [unrolled: 1-line block ×32, first 2 shown]
	v_mov_b32_e32 v70, 0x100
	v_mov_b32_e32 v71, 0x108
	v_mov_b32_e32 v72, 0x110
	v_mov_b32_e32 v73, 0x118
	v_mov_b32_e32 v74, 0x120
	v_mov_b32_e32 v75, 0x128
	v_mov_b32_e32 v76, 0x130
	v_mov_b32_e32 v77, 0x138
	v_mov_b32_e32 v78, 0x140
	v_mov_b32_e32 v79, 0x148
	v_mov_b32_e32 v82, 0x150
	v_mov_b32_e32 v83, 0x158
	v_mov_b32_e32 v84, 0x160
	v_mov_b32_e32 v85, 0x168
	v_mov_b32_e32 v86, 0x170
	v_mov_b32_e32 v87, 0x178
	v_mov_b32_e32 v88, 0x180
	v_mov_b32_e32 v89, 0x188
	v_mov_b32_e32 v90, 0x190
	v_mov_b32_e32 v91, 0x198
	v_mov_b32_e32 v92, 0x1a0
	v_mov_b32_e32 v93, 0x1a8
	v_mov_b32_e32 v94, 0x1b0
	v_mov_b32_e32 v95, 0x1b8
	v_mov_b32_e32 v96, 0x1c0
	v_mov_b32_e32 v97, 0x1c8
	v_mov_b32_e32 v98, 0x1d0
	v_mov_b32_e32 v99, 0x1d8
	v_mov_b32_e32 v100, 0x1e0
	v_mov_b32_e32 v101, 0x1e8
	v_mov_b32_e32 v102, 0x1f0
	v_mov_b32_e32 v103, 0x1f8
	s_cbranch_vccnz .LBB197_68
; %bb.69:
	v_dual_mov_b32 v71, 8 :: v_dual_add_nc_u32 v60, 0x800, v68
	ds_load_2addr_b64 v[0:3], v68 offset0:1 offset1:17
	ds_load_2addr_b64 v[4:7], v68 offset0:33 offset1:49
	;; [unrolled: 1-line block ×12, first 2 shown]
	v_dual_mov_b32 v73, 24 :: v_dual_add_nc_u32 v64, 8, v69
	ds_load_2addr_b64 v[48:51], v60 offset0:129 offset1:145
	ds_load_2addr_b64 v[52:55], v60 offset0:161 offset1:177
	ds_load_2addr_b64 v[56:59], v60 offset0:193 offset1:209
	ds_load_2addr_b64 v[60:63], v60 offset0:225 offset1:241
	ds_load_2addr_stride64_b64 v[64:67], v64 offset1:4
	v_dual_mov_b32 v70, 0 :: v_dual_mov_b32 v75, 40
	v_dual_mov_b32 v72, 16 :: v_dual_mov_b32 v77, 56
	;; [unrolled: 1-line block ×5, first 2 shown]
	v_mov_b32_e32 v82, 0x50
	v_mov_b32_e32 v84, 0x60
	;; [unrolled: 1-line block ×20, first 2 shown]
	s_mov_b64 s[2:3], 0
	s_mov_b32 s4, -1
.LBB197_70:                             ; =>This Inner Loop Header: Depth=1
	scratch_load_b64 v[104:105], v70, off
	scratch_load_b64 v[106:107], v71, off
	;; [unrolled: 1-line block ×32, first 2 shown]
	s_cmp_eq_u32 s2, 1
	s_waitcnt lgkmcnt(16)
	v_max_f64 v[170:171], v[0:1], v[0:1]
	s_cselect_b32 vcc_lo, -1, 0
	v_max_f64 v[172:173], v[2:3], v[2:3]
	s_waitcnt lgkmcnt(0)
	v_dual_cndmask_b32 v169, v65, v67 :: v_dual_cndmask_b32 v168, v64, v66
	v_max_f64 v[174:175], v[4:5], v[4:5]
	v_max_f64 v[176:177], v[6:7], v[6:7]
	;; [unrolled: 1-line block ×31, first 2 shown]
	s_mov_b64 s[2:3], 1
	s_and_b32 vcc_lo, exec_lo, s4
	s_mov_b32 s4, 0
	v_min_f64 v[170:171], v[170:171], v[168:169]
	v_min_f64 v[172:173], v[172:173], v[168:169]
	;; [unrolled: 1-line block ×32, first 2 shown]
	s_waitcnt vmcnt(31)
	v_add_f64 v[104:105], v[104:105], v[170:171]
	s_waitcnt vmcnt(30)
	v_add_f64 v[106:107], v[172:173], v[106:107]
	;; [unrolled: 2-line block ×32, first 2 shown]
	scratch_store_b64 v70, v[104:105], off
	scratch_store_b64 v71, v[106:107], off
	;; [unrolled: 1-line block ×32, first 2 shown]
	v_mov_b32_e32 v70, 0x100
	v_mov_b32_e32 v71, 0x108
	;; [unrolled: 1-line block ×32, first 2 shown]
	s_cbranch_vccnz .LBB197_70
; %bb.71:
	v_dual_mov_b32 v71, 8 :: v_dual_add_nc_u32 v60, 0x800, v68
	ds_load_2addr_b64 v[0:3], v68 offset0:2 offset1:18
	ds_load_2addr_b64 v[4:7], v68 offset0:34 offset1:50
	;; [unrolled: 1-line block ×12, first 2 shown]
	v_dual_mov_b32 v73, 24 :: v_dual_add_nc_u32 v64, 16, v69
	ds_load_2addr_b64 v[48:51], v60 offset0:130 offset1:146
	ds_load_2addr_b64 v[52:55], v60 offset0:162 offset1:178
	;; [unrolled: 1-line block ×4, first 2 shown]
	ds_load_2addr_stride64_b64 v[64:67], v64 offset1:4
	v_dual_mov_b32 v70, 0 :: v_dual_mov_b32 v75, 40
	v_dual_mov_b32 v72, 16 :: v_dual_mov_b32 v77, 56
	;; [unrolled: 1-line block ×5, first 2 shown]
	v_mov_b32_e32 v82, 0x50
	v_mov_b32_e32 v84, 0x60
	;; [unrolled: 1-line block ×20, first 2 shown]
	s_mov_b64 s[2:3], 0
	s_mov_b32 s4, -1
.LBB197_72:                             ; =>This Inner Loop Header: Depth=1
	scratch_load_b64 v[104:105], v70, off
	scratch_load_b64 v[106:107], v71, off
	;; [unrolled: 1-line block ×32, first 2 shown]
	s_cmp_eq_u32 s2, 1
	s_waitcnt lgkmcnt(16)
	v_max_f64 v[170:171], v[0:1], v[0:1]
	s_cselect_b32 vcc_lo, -1, 0
	v_max_f64 v[172:173], v[2:3], v[2:3]
	s_waitcnt lgkmcnt(0)
	v_dual_cndmask_b32 v169, v65, v67 :: v_dual_cndmask_b32 v168, v64, v66
	v_max_f64 v[174:175], v[4:5], v[4:5]
	v_max_f64 v[176:177], v[6:7], v[6:7]
	;; [unrolled: 1-line block ×31, first 2 shown]
	s_mov_b64 s[2:3], 1
	s_and_b32 vcc_lo, exec_lo, s4
	s_mov_b32 s4, 0
	v_min_f64 v[170:171], v[170:171], v[168:169]
	v_min_f64 v[172:173], v[172:173], v[168:169]
	;; [unrolled: 1-line block ×32, first 2 shown]
	s_waitcnt vmcnt(31)
	v_add_f64 v[104:105], v[104:105], v[170:171]
	s_waitcnt vmcnt(30)
	v_add_f64 v[106:107], v[172:173], v[106:107]
	;; [unrolled: 2-line block ×32, first 2 shown]
	scratch_store_b64 v70, v[104:105], off
	scratch_store_b64 v71, v[106:107], off
	;; [unrolled: 1-line block ×32, first 2 shown]
	v_mov_b32_e32 v70, 0x100
	v_mov_b32_e32 v71, 0x108
	;; [unrolled: 1-line block ×32, first 2 shown]
	s_cbranch_vccnz .LBB197_72
; %bb.73:
	v_add_nc_u32_e32 v60, 0x800, v68
	ds_load_2addr_b64 v[0:3], v68 offset0:3 offset1:19
	ds_load_2addr_b64 v[4:7], v68 offset0:35 offset1:51
	;; [unrolled: 1-line block ×4, first 2 shown]
	v_dual_mov_b32 v71, 24 :: v_dual_add_nc_u32 v64, 24, v69
	v_mov_b32_e32 v69, 8
	ds_load_2addr_b64 v[16:19], v68 offset0:131 offset1:147
	ds_load_2addr_b64 v[20:23], v68 offset0:163 offset1:179
	;; [unrolled: 1-line block ×12, first 2 shown]
	ds_load_2addr_stride64_b64 v[64:67], v64 offset1:4
	v_dual_mov_b32 v68, 0 :: v_dual_mov_b32 v73, 40
	v_dual_mov_b32 v70, 16 :: v_dual_mov_b32 v75, 56
	;; [unrolled: 1-line block ×5, first 2 shown]
	v_mov_b32_e32 v78, 0x50
	v_mov_b32_e32 v82, 0x60
	;; [unrolled: 1-line block ×20, first 2 shown]
	s_mov_b64 s[2:3], 0
	s_mov_b32 s4, -1
.LBB197_74:                             ; =>This Inner Loop Header: Depth=1
	scratch_load_b64 v[102:103], v68, off
	scratch_load_b64 v[104:105], v69, off
	;; [unrolled: 1-line block ×32, first 2 shown]
	s_cmp_eq_u32 s2, 1
	s_waitcnt lgkmcnt(16)
	v_max_f64 v[168:169], v[0:1], v[0:1]
	s_cselect_b32 vcc_lo, -1, 0
	v_max_f64 v[170:171], v[2:3], v[2:3]
	s_waitcnt lgkmcnt(0)
	v_dual_cndmask_b32 v167, v65, v67 :: v_dual_cndmask_b32 v166, v64, v66
	v_max_f64 v[172:173], v[4:5], v[4:5]
	v_max_f64 v[174:175], v[6:7], v[6:7]
	;; [unrolled: 1-line block ×31, first 2 shown]
	s_mov_b64 s[2:3], 1
	s_and_b32 vcc_lo, exec_lo, s4
	s_mov_b32 s4, 0
	v_min_f64 v[168:169], v[168:169], v[166:167]
	v_min_f64 v[170:171], v[170:171], v[166:167]
	;; [unrolled: 1-line block ×32, first 2 shown]
	s_waitcnt vmcnt(31)
	v_add_f64 v[102:103], v[102:103], v[168:169]
	s_waitcnt vmcnt(30)
	v_add_f64 v[104:105], v[170:171], v[104:105]
	;; [unrolled: 2-line block ×32, first 2 shown]
	scratch_store_b64 v68, v[102:103], off
	scratch_store_b64 v69, v[104:105], off
	;; [unrolled: 1-line block ×32, first 2 shown]
	v_mov_b32_e32 v68, 0x100
	v_mov_b32_e32 v69, 0x108
	v_mov_b32_e32 v70, 0x110
	v_mov_b32_e32 v71, 0x118
	v_mov_b32_e32 v72, 0x120
	v_mov_b32_e32 v73, 0x128
	v_mov_b32_e32 v74, 0x130
	v_mov_b32_e32 v75, 0x138
	v_mov_b32_e32 v76, 0x140
	v_mov_b32_e32 v77, 0x148
	v_mov_b32_e32 v78, 0x150
	v_mov_b32_e32 v79, 0x158
	v_mov_b32_e32 v82, 0x160
	v_mov_b32_e32 v83, 0x168
	v_mov_b32_e32 v84, 0x170
	v_mov_b32_e32 v85, 0x178
	v_mov_b32_e32 v86, 0x180
	v_mov_b32_e32 v87, 0x188
	v_mov_b32_e32 v88, 0x190
	v_mov_b32_e32 v89, 0x198
	v_mov_b32_e32 v90, 0x1a0
	v_mov_b32_e32 v91, 0x1a8
	v_mov_b32_e32 v92, 0x1b0
	v_mov_b32_e32 v93, 0x1b8
	v_mov_b32_e32 v94, 0x1c0
	v_mov_b32_e32 v95, 0x1c8
	v_mov_b32_e32 v96, 0x1d0
	v_mov_b32_e32 v97, 0x1d8
	v_mov_b32_e32 v98, 0x1e0
	v_mov_b32_e32 v99, 0x1e8
	v_mov_b32_e32 v100, 0x1f0
	v_mov_b32_e32 v101, 0x1f8
	s_cbranch_vccnz .LBB197_74
; %bb.75:
	s_clause 0x2
	s_load_b64 s[2:3], s[0:1], 0x78
	s_load_b32 s42, s[0:1], 0x58
	s_load_b32 s37, s[0:1], 0x70
	v_add_nc_u32_e32 v71, s9, v81
	v_add_nc_u32_e32 v0, s8, v80
	v_cndmask_b32_e64 v70, 0, 1, s36
	s_delay_alu instid0(VALU_DEP_3)
	v_cmp_gt_i32_e64 s8, s41, v71
	s_waitcnt lgkmcnt(0)
	s_mul_i32 s0, s15, s3
	v_mad_i64_i32 v[1:2], null, v71, s42, 0
	v_mad_i64_i32 v[3:4], null, v71, s37, 0
	s_mul_hi_u32 s1, s15, s2
	s_mul_i32 s3, s20, s2
	s_add_i32 s0, s1, s0
	s_mul_i32 s2, s15, s2
	s_delay_alu instid0(VALU_DEP_2) | instskip(SKIP_1) | instid1(VALU_DEP_2)
	v_lshlrev_b64 v[5:6], 3, v[1:2]
	s_add_i32 s3, s0, s3
	v_lshlrev_b64 v[2:3], 3, v[3:4]
	s_lshl_b64 s[2:3], s[2:3], 3
	v_cmp_gt_i32_e64 s0, s40, v0
	s_add_u32 s43, s10, s2
	v_add_co_u32 v68, vcc_lo, s34, v5
	v_add_co_ci_u32_e32 v69, vcc_lo, s35, v6, vcc_lo
	s_addc_u32 s44, s11, s3
	v_add_co_u32 v72, vcc_lo, s43, v2
	v_ashrrev_i32_e32 v1, 31, v0
	v_add_co_ci_u32_e32 v73, vcc_lo, s44, v3, vcc_lo
	s_and_b32 s1, s8, s0
	s_delay_alu instid0(SALU_CYCLE_1) | instskip(NEXT) | instid1(SALU_CYCLE_1)
	s_and_saveexec_b32 s2, s1
	s_xor_b32 s1, exec_lo, s2
	s_cbranch_execz .LBB197_80
; %bb.76:
	scratch_load_b64 v[2:3], off, off
	v_lshlrev_b64 v[4:5], 3, v[0:1]
	s_and_not1_b32 vcc_lo, exec_lo, s36
	s_cbranch_vccnz .LBB197_78
; %bb.77:
	s_delay_alu instid0(VALU_DEP_1) | instskip(NEXT) | instid1(VALU_DEP_2)
	v_add_co_u32 v6, vcc_lo, v68, v4
	v_add_co_ci_u32_e32 v7, vcc_lo, v69, v5, vcc_lo
	flat_load_b64 v[6:7], v[6:7]
	s_waitcnt vmcnt(0) lgkmcnt(0)
	v_mul_f64 v[6:7], v[6:7], s[38:39]
	s_branch .LBB197_79
.LBB197_78:
	v_mov_b32_e32 v6, 0
	v_mov_b32_e32 v7, 0
.LBB197_79:
	s_waitcnt vmcnt(0)
	s_delay_alu instid0(VALU_DEP_1)
	v_add_f64 v[2:3], v[2:3], v[6:7]
	v_add_co_u32 v4, vcc_lo, v72, v4
	v_add_co_ci_u32_e32 v5, vcc_lo, v73, v5, vcc_lo
	global_store_b64 v[4:5], v[2:3], off
.LBB197_80:
	s_or_b32 exec_lo, exec_lo, s1
	v_add_nc_u32_e32 v2, 4, v0
	s_delay_alu instid0(VALU_DEP_1) | instskip(SKIP_1) | instid1(VALU_DEP_2)
	v_cmp_gt_i32_e64 s1, s40, v2
	v_ashrrev_i32_e32 v3, 31, v2
	s_and_b32 s3, s8, s1
	s_delay_alu instid0(SALU_CYCLE_1)
	s_and_saveexec_b32 s2, s3
	s_cbranch_execz .LBB197_85
; %bb.81:
	scratch_load_b64 v[4:5], off, off offset:8
	v_lshlrev_b64 v[6:7], 3, v[2:3]
	s_and_not1_b32 vcc_lo, exec_lo, s36
	s_cbranch_vccnz .LBB197_83
; %bb.82:
	s_delay_alu instid0(VALU_DEP_1) | instskip(NEXT) | instid1(VALU_DEP_2)
	v_add_co_u32 v8, vcc_lo, v68, v6
	v_add_co_ci_u32_e32 v9, vcc_lo, v69, v7, vcc_lo
	flat_load_b64 v[8:9], v[8:9]
	s_waitcnt vmcnt(0) lgkmcnt(0)
	v_mul_f64 v[8:9], v[8:9], s[38:39]
	s_branch .LBB197_84
.LBB197_83:
	v_mov_b32_e32 v8, 0
	v_mov_b32_e32 v9, 0
.LBB197_84:
	s_waitcnt vmcnt(0)
	s_delay_alu instid0(VALU_DEP_1)
	v_add_f64 v[4:5], v[4:5], v[8:9]
	v_add_co_u32 v6, vcc_lo, v72, v6
	v_add_co_ci_u32_e32 v7, vcc_lo, v73, v7, vcc_lo
	global_store_b64 v[6:7], v[4:5], off
.LBB197_85:
	s_or_b32 exec_lo, exec_lo, s2
	v_add_nc_u32_e32 v4, 8, v0
	s_delay_alu instid0(VALU_DEP_1) | instskip(SKIP_1) | instid1(VALU_DEP_2)
	v_cmp_gt_i32_e64 s2, s40, v4
	v_ashrrev_i32_e32 v5, 31, v4
	s_and_b32 s4, s8, s2
	s_delay_alu instid0(SALU_CYCLE_1)
	s_and_saveexec_b32 s3, s4
	s_cbranch_execz .LBB197_90
; %bb.86:
	scratch_load_b64 v[6:7], off, off offset:16
	v_lshlrev_b64 v[8:9], 3, v[4:5]
	s_and_not1_b32 vcc_lo, exec_lo, s36
	s_cbranch_vccnz .LBB197_88
; %bb.87:
	s_delay_alu instid0(VALU_DEP_1) | instskip(NEXT) | instid1(VALU_DEP_2)
	v_add_co_u32 v10, vcc_lo, v68, v8
	v_add_co_ci_u32_e32 v11, vcc_lo, v69, v9, vcc_lo
	flat_load_b64 v[10:11], v[10:11]
	s_waitcnt vmcnt(0) lgkmcnt(0)
	v_mul_f64 v[10:11], v[10:11], s[38:39]
	s_branch .LBB197_89
.LBB197_88:
	v_mov_b32_e32 v10, 0
	v_mov_b32_e32 v11, 0
.LBB197_89:
	s_waitcnt vmcnt(0)
	s_delay_alu instid0(VALU_DEP_1)
	v_add_f64 v[6:7], v[6:7], v[10:11]
	v_add_co_u32 v8, vcc_lo, v72, v8
	v_add_co_ci_u32_e32 v9, vcc_lo, v73, v9, vcc_lo
	global_store_b64 v[8:9], v[6:7], off
.LBB197_90:
	;; [unrolled: 33-line block ×31, first 2 shown]
	s_or_b32 exec_lo, exec_lo, s8
	v_add_nc_u32_e32 v68, 64, v71
	s_delay_alu instid0(VALU_DEP_1) | instskip(SKIP_2) | instid1(VALU_DEP_3)
	v_mad_i64_i32 v[64:65], null, v68, s42, 0
	v_mad_i64_i32 v[66:67], null, v68, s37, 0
	v_cmp_gt_i32_e64 s8, s41, v68
	v_lshlrev_b64 v[64:65], 3, v[64:65]
	s_delay_alu instid0(VALU_DEP_2) | instskip(NEXT) | instid1(VALU_DEP_3)
	s_and_b32 s0, s8, s0
	v_lshlrev_b64 v[66:67], 3, v[66:67]
	s_delay_alu instid0(VALU_DEP_2) | instskip(NEXT) | instid1(VALU_DEP_3)
	v_add_co_u32 v71, vcc_lo, s34, v64
	v_add_co_ci_u32_e32 v72, vcc_lo, s35, v65, vcc_lo
	s_delay_alu instid0(VALU_DEP_3) | instskip(NEXT) | instid1(VALU_DEP_4)
	v_add_co_u32 v68, vcc_lo, s43, v66
	v_add_co_ci_u32_e32 v69, vcc_lo, s44, v67, vcc_lo
	s_and_saveexec_b32 s34, s0
	s_delay_alu instid0(SALU_CYCLE_1)
	s_xor_b32 s0, exec_lo, s34
	s_cbranch_execnz .LBB197_268
; %bb.236:
	s_or_b32 exec_lo, exec_lo, s0
	s_and_b32 s1, s8, s1
	s_delay_alu instid0(SALU_CYCLE_1)
	s_and_saveexec_b32 s0, s1
	s_cbranch_execnz .LBB197_272
.LBB197_237:
	s_or_b32 exec_lo, exec_lo, s0
	s_and_b32 s1, s8, s2
	s_delay_alu instid0(SALU_CYCLE_1)
	s_and_saveexec_b32 s0, s1
	s_cbranch_execnz .LBB197_276
.LBB197_238:
	s_or_b32 exec_lo, exec_lo, s0
	s_and_b32 s1, s8, s3
	s_delay_alu instid0(SALU_CYCLE_1)
	s_and_saveexec_b32 s0, s1
	s_cbranch_execnz .LBB197_280
.LBB197_239:
	s_or_b32 exec_lo, exec_lo, s0
	s_and_b32 s1, s8, s4
	s_delay_alu instid0(SALU_CYCLE_1)
	s_and_saveexec_b32 s0, s1
	s_cbranch_execnz .LBB197_284
.LBB197_240:
	s_or_b32 exec_lo, exec_lo, s0
	s_and_b32 s1, s8, s5
	s_delay_alu instid0(SALU_CYCLE_1)
	s_and_saveexec_b32 s0, s1
	s_cbranch_execnz .LBB197_288
.LBB197_241:
	s_or_b32 exec_lo, exec_lo, s0
	s_and_b32 s1, s8, s6
	s_delay_alu instid0(SALU_CYCLE_1)
	s_and_saveexec_b32 s0, s1
	s_cbranch_execnz .LBB197_292
.LBB197_242:
	s_or_b32 exec_lo, exec_lo, s0
	s_and_b32 s1, s8, s7
	s_delay_alu instid0(SALU_CYCLE_1)
	s_and_saveexec_b32 s0, s1
	s_cbranch_execnz .LBB197_296
.LBB197_243:
	s_or_b32 exec_lo, exec_lo, s0
	s_and_b32 s1, s8, s9
	s_delay_alu instid0(SALU_CYCLE_1)
	s_and_saveexec_b32 s0, s1
	s_cbranch_execnz .LBB197_300
.LBB197_244:
	s_or_b32 exec_lo, exec_lo, s0
	s_and_b32 s1, s8, s10
	s_delay_alu instid0(SALU_CYCLE_1)
	s_and_saveexec_b32 s0, s1
	s_cbranch_execnz .LBB197_304
.LBB197_245:
	s_or_b32 exec_lo, exec_lo, s0
	s_and_b32 s1, s8, s11
	s_delay_alu instid0(SALU_CYCLE_1)
	s_and_saveexec_b32 s0, s1
	s_cbranch_execnz .LBB197_308
.LBB197_246:
	s_or_b32 exec_lo, exec_lo, s0
	s_and_b32 s1, s8, s12
	s_delay_alu instid0(SALU_CYCLE_1)
	s_and_saveexec_b32 s0, s1
	s_cbranch_execnz .LBB197_312
.LBB197_247:
	s_or_b32 exec_lo, exec_lo, s0
	s_and_b32 s1, s8, s13
	s_delay_alu instid0(SALU_CYCLE_1)
	s_and_saveexec_b32 s0, s1
	s_cbranch_execnz .LBB197_316
.LBB197_248:
	s_or_b32 exec_lo, exec_lo, s0
	s_and_b32 s1, s8, s14
	s_delay_alu instid0(SALU_CYCLE_1)
	s_and_saveexec_b32 s0, s1
	s_cbranch_execnz .LBB197_320
.LBB197_249:
	s_or_b32 exec_lo, exec_lo, s0
	s_and_b32 s1, s8, s15
	s_delay_alu instid0(SALU_CYCLE_1)
	s_and_saveexec_b32 s0, s1
	s_cbranch_execnz .LBB197_324
.LBB197_250:
	s_or_b32 exec_lo, exec_lo, s0
	s_and_b32 s1, s8, s16
	s_delay_alu instid0(SALU_CYCLE_1)
	s_and_saveexec_b32 s0, s1
	s_cbranch_execnz .LBB197_328
.LBB197_251:
	s_or_b32 exec_lo, exec_lo, s0
	s_and_b32 s1, s8, s17
	s_delay_alu instid0(SALU_CYCLE_1)
	s_and_saveexec_b32 s0, s1
	s_cbranch_execnz .LBB197_332
.LBB197_252:
	s_or_b32 exec_lo, exec_lo, s0
	s_and_b32 s1, s8, s18
	s_delay_alu instid0(SALU_CYCLE_1)
	s_and_saveexec_b32 s0, s1
	s_cbranch_execnz .LBB197_336
.LBB197_253:
	s_or_b32 exec_lo, exec_lo, s0
	s_and_b32 s1, s8, s19
	s_delay_alu instid0(SALU_CYCLE_1)
	s_and_saveexec_b32 s0, s1
	s_cbranch_execnz .LBB197_340
.LBB197_254:
	s_or_b32 exec_lo, exec_lo, s0
	s_and_b32 s1, s8, s20
	s_delay_alu instid0(SALU_CYCLE_1)
	s_and_saveexec_b32 s0, s1
	s_cbranch_execnz .LBB197_344
.LBB197_255:
	s_or_b32 exec_lo, exec_lo, s0
	s_and_b32 s1, s8, s21
	s_delay_alu instid0(SALU_CYCLE_1)
	s_and_saveexec_b32 s0, s1
	s_cbranch_execnz .LBB197_348
.LBB197_256:
	s_or_b32 exec_lo, exec_lo, s0
	s_and_b32 s1, s8, s22
	s_delay_alu instid0(SALU_CYCLE_1)
	s_and_saveexec_b32 s0, s1
	s_cbranch_execnz .LBB197_352
.LBB197_257:
	s_or_b32 exec_lo, exec_lo, s0
	s_and_b32 s1, s8, s23
	s_delay_alu instid0(SALU_CYCLE_1)
	s_and_saveexec_b32 s0, s1
	s_cbranch_execnz .LBB197_356
.LBB197_258:
	s_or_b32 exec_lo, exec_lo, s0
	s_and_b32 s1, s8, s24
	s_delay_alu instid0(SALU_CYCLE_1)
	s_and_saveexec_b32 s0, s1
	s_cbranch_execnz .LBB197_360
.LBB197_259:
	s_or_b32 exec_lo, exec_lo, s0
	s_and_b32 s1, s8, s25
	s_delay_alu instid0(SALU_CYCLE_1)
	s_and_saveexec_b32 s0, s1
	s_cbranch_execnz .LBB197_364
.LBB197_260:
	s_or_b32 exec_lo, exec_lo, s0
	s_and_b32 s1, s8, s26
	s_delay_alu instid0(SALU_CYCLE_1)
	s_and_saveexec_b32 s0, s1
	s_cbranch_execnz .LBB197_368
.LBB197_261:
	s_or_b32 exec_lo, exec_lo, s0
	s_and_b32 s1, s8, s27
	s_delay_alu instid0(SALU_CYCLE_1)
	s_and_saveexec_b32 s0, s1
	s_cbranch_execnz .LBB197_372
.LBB197_262:
	s_or_b32 exec_lo, exec_lo, s0
	s_and_b32 s1, s8, s28
	s_delay_alu instid0(SALU_CYCLE_1)
	s_and_saveexec_b32 s0, s1
	s_cbranch_execnz .LBB197_376
.LBB197_263:
	s_or_b32 exec_lo, exec_lo, s0
	s_and_b32 s1, s8, s29
	s_delay_alu instid0(SALU_CYCLE_1)
	s_and_saveexec_b32 s0, s1
	s_cbranch_execnz .LBB197_380
.LBB197_264:
	s_or_b32 exec_lo, exec_lo, s0
	s_and_b32 s1, s8, s30
	s_delay_alu instid0(SALU_CYCLE_1)
	s_and_saveexec_b32 s0, s1
	s_cbranch_execnz .LBB197_384
.LBB197_265:
	s_or_b32 exec_lo, exec_lo, s0
	s_and_b32 s1, s8, s31
	s_delay_alu instid0(SALU_CYCLE_1)
	s_and_saveexec_b32 s0, s1
	s_cbranch_execnz .LBB197_388
.LBB197_266:
	s_or_b32 exec_lo, exec_lo, s0
	s_and_b32 s0, s8, s33
	s_delay_alu instid0(SALU_CYCLE_1)
	s_and_saveexec_b32 s1, s0
	s_cbranch_execnz .LBB197_392
.LBB197_267:
	s_endpgm
.LBB197_268:
	scratch_load_b64 v[64:65], off, off offset:256
	v_lshlrev_b64 v[0:1], 3, v[0:1]
	s_and_not1_b32 vcc_lo, exec_lo, s36
	s_cbranch_vccnz .LBB197_270
; %bb.269:
	s_delay_alu instid0(VALU_DEP_1) | instskip(NEXT) | instid1(VALU_DEP_2)
	v_add_co_u32 v66, vcc_lo, v71, v0
	v_add_co_ci_u32_e32 v67, vcc_lo, v72, v1, vcc_lo
	flat_load_b64 v[66:67], v[66:67]
	s_waitcnt vmcnt(0) lgkmcnt(0)
	v_mul_f64 v[66:67], v[66:67], s[38:39]
	s_branch .LBB197_271
.LBB197_270:
	v_mov_b32_e32 v66, 0
	v_mov_b32_e32 v67, 0
.LBB197_271:
	s_waitcnt vmcnt(0)
	s_delay_alu instid0(VALU_DEP_1)
	v_add_f64 v[64:65], v[64:65], v[66:67]
	v_add_co_u32 v0, vcc_lo, v68, v0
	v_add_co_ci_u32_e32 v1, vcc_lo, v69, v1, vcc_lo
	global_store_b64 v[0:1], v[64:65], off
	s_or_b32 exec_lo, exec_lo, s0
	s_and_b32 s1, s8, s1
	s_delay_alu instid0(SALU_CYCLE_1)
	s_and_saveexec_b32 s0, s1
	s_cbranch_execz .LBB197_237
.LBB197_272:
	scratch_load_b64 v[0:1], off, off offset:264
	v_cmp_ne_u32_e32 vcc_lo, 1, v70
	v_lshlrev_b64 v[2:3], 3, v[2:3]
	s_cbranch_vccnz .LBB197_274
; %bb.273:
	s_delay_alu instid0(VALU_DEP_1) | instskip(NEXT) | instid1(VALU_DEP_2)
	v_add_co_u32 v64, vcc_lo, v71, v2
	v_add_co_ci_u32_e32 v65, vcc_lo, v72, v3, vcc_lo
	flat_load_b64 v[64:65], v[64:65]
	s_waitcnt vmcnt(0) lgkmcnt(0)
	v_mul_f64 v[64:65], v[64:65], s[38:39]
	s_branch .LBB197_275
.LBB197_274:
	v_mov_b32_e32 v64, 0
	v_mov_b32_e32 v65, 0
.LBB197_275:
	s_waitcnt vmcnt(0)
	s_delay_alu instid0(VALU_DEP_1)
	v_add_f64 v[0:1], v[0:1], v[64:65]
	v_add_co_u32 v2, vcc_lo, v68, v2
	v_add_co_ci_u32_e32 v3, vcc_lo, v69, v3, vcc_lo
	global_store_b64 v[2:3], v[0:1], off
	s_or_b32 exec_lo, exec_lo, s0
	s_and_b32 s1, s8, s2
	s_delay_alu instid0(SALU_CYCLE_1)
	s_and_saveexec_b32 s0, s1
	s_cbranch_execz .LBB197_238
.LBB197_276:
	scratch_load_b64 v[0:1], off, off offset:272
	v_cmp_ne_u32_e32 vcc_lo, 1, v70
	v_lshlrev_b64 v[2:3], 3, v[4:5]
	s_cbranch_vccnz .LBB197_278
; %bb.277:
	s_delay_alu instid0(VALU_DEP_1) | instskip(NEXT) | instid1(VALU_DEP_2)
	v_add_co_u32 v4, vcc_lo, v71, v2
	v_add_co_ci_u32_e32 v5, vcc_lo, v72, v3, vcc_lo
	flat_load_b64 v[4:5], v[4:5]
	s_waitcnt vmcnt(0) lgkmcnt(0)
	v_mul_f64 v[4:5], v[4:5], s[38:39]
	s_branch .LBB197_279
.LBB197_278:
	v_mov_b32_e32 v4, 0
	v_mov_b32_e32 v5, 0
.LBB197_279:
	s_waitcnt vmcnt(0)
	s_delay_alu instid0(VALU_DEP_1)
	v_add_f64 v[0:1], v[0:1], v[4:5]
	v_add_co_u32 v2, vcc_lo, v68, v2
	v_add_co_ci_u32_e32 v3, vcc_lo, v69, v3, vcc_lo
	global_store_b64 v[2:3], v[0:1], off
	s_or_b32 exec_lo, exec_lo, s0
	s_and_b32 s1, s8, s3
	s_delay_alu instid0(SALU_CYCLE_1)
	s_and_saveexec_b32 s0, s1
	s_cbranch_execz .LBB197_239
.LBB197_280:
	scratch_load_b64 v[0:1], off, off offset:280
	v_cmp_ne_u32_e32 vcc_lo, 1, v70
	v_lshlrev_b64 v[2:3], 3, v[6:7]
	s_cbranch_vccnz .LBB197_282
; %bb.281:
	s_delay_alu instid0(VALU_DEP_1) | instskip(NEXT) | instid1(VALU_DEP_2)
	v_add_co_u32 v4, vcc_lo, v71, v2
	v_add_co_ci_u32_e32 v5, vcc_lo, v72, v3, vcc_lo
	flat_load_b64 v[4:5], v[4:5]
	s_waitcnt vmcnt(0) lgkmcnt(0)
	v_mul_f64 v[4:5], v[4:5], s[38:39]
	s_branch .LBB197_283
.LBB197_282:
	v_mov_b32_e32 v4, 0
	v_mov_b32_e32 v5, 0
.LBB197_283:
	s_waitcnt vmcnt(0)
	s_delay_alu instid0(VALU_DEP_1)
	v_add_f64 v[0:1], v[0:1], v[4:5]
	v_add_co_u32 v2, vcc_lo, v68, v2
	v_add_co_ci_u32_e32 v3, vcc_lo, v69, v3, vcc_lo
	global_store_b64 v[2:3], v[0:1], off
	s_or_b32 exec_lo, exec_lo, s0
	s_and_b32 s1, s8, s4
	s_delay_alu instid0(SALU_CYCLE_1)
	s_and_saveexec_b32 s0, s1
	s_cbranch_execz .LBB197_240
.LBB197_284:
	scratch_load_b64 v[0:1], off, off offset:288
	v_cmp_ne_u32_e32 vcc_lo, 1, v70
	v_lshlrev_b64 v[2:3], 3, v[8:9]
	s_cbranch_vccnz .LBB197_286
; %bb.285:
	s_delay_alu instid0(VALU_DEP_1) | instskip(NEXT) | instid1(VALU_DEP_2)
	v_add_co_u32 v4, vcc_lo, v71, v2
	v_add_co_ci_u32_e32 v5, vcc_lo, v72, v3, vcc_lo
	flat_load_b64 v[4:5], v[4:5]
	s_waitcnt vmcnt(0) lgkmcnt(0)
	v_mul_f64 v[4:5], v[4:5], s[38:39]
	s_branch .LBB197_287
.LBB197_286:
	v_mov_b32_e32 v4, 0
	v_mov_b32_e32 v5, 0
.LBB197_287:
	s_waitcnt vmcnt(0)
	s_delay_alu instid0(VALU_DEP_1)
	v_add_f64 v[0:1], v[0:1], v[4:5]
	v_add_co_u32 v2, vcc_lo, v68, v2
	v_add_co_ci_u32_e32 v3, vcc_lo, v69, v3, vcc_lo
	global_store_b64 v[2:3], v[0:1], off
	s_or_b32 exec_lo, exec_lo, s0
	s_and_b32 s1, s8, s5
	s_delay_alu instid0(SALU_CYCLE_1)
	s_and_saveexec_b32 s0, s1
	s_cbranch_execz .LBB197_241
.LBB197_288:
	scratch_load_b64 v[0:1], off, off offset:296
	v_cmp_ne_u32_e32 vcc_lo, 1, v70
	v_lshlrev_b64 v[2:3], 3, v[10:11]
	s_cbranch_vccnz .LBB197_290
; %bb.289:
	s_delay_alu instid0(VALU_DEP_1) | instskip(NEXT) | instid1(VALU_DEP_2)
	v_add_co_u32 v4, vcc_lo, v71, v2
	v_add_co_ci_u32_e32 v5, vcc_lo, v72, v3, vcc_lo
	flat_load_b64 v[4:5], v[4:5]
	s_waitcnt vmcnt(0) lgkmcnt(0)
	v_mul_f64 v[4:5], v[4:5], s[38:39]
	s_branch .LBB197_291
.LBB197_290:
	v_mov_b32_e32 v4, 0
	v_mov_b32_e32 v5, 0
.LBB197_291:
	s_waitcnt vmcnt(0)
	s_delay_alu instid0(VALU_DEP_1)
	v_add_f64 v[0:1], v[0:1], v[4:5]
	v_add_co_u32 v2, vcc_lo, v68, v2
	v_add_co_ci_u32_e32 v3, vcc_lo, v69, v3, vcc_lo
	global_store_b64 v[2:3], v[0:1], off
	s_or_b32 exec_lo, exec_lo, s0
	s_and_b32 s1, s8, s6
	s_delay_alu instid0(SALU_CYCLE_1)
	s_and_saveexec_b32 s0, s1
	s_cbranch_execz .LBB197_242
.LBB197_292:
	scratch_load_b64 v[0:1], off, off offset:304
	v_cmp_ne_u32_e32 vcc_lo, 1, v70
	v_lshlrev_b64 v[2:3], 3, v[12:13]
	s_cbranch_vccnz .LBB197_294
; %bb.293:
	s_delay_alu instid0(VALU_DEP_1) | instskip(NEXT) | instid1(VALU_DEP_2)
	v_add_co_u32 v4, vcc_lo, v71, v2
	v_add_co_ci_u32_e32 v5, vcc_lo, v72, v3, vcc_lo
	flat_load_b64 v[4:5], v[4:5]
	s_waitcnt vmcnt(0) lgkmcnt(0)
	v_mul_f64 v[4:5], v[4:5], s[38:39]
	s_branch .LBB197_295
.LBB197_294:
	v_mov_b32_e32 v4, 0
	v_mov_b32_e32 v5, 0
.LBB197_295:
	s_waitcnt vmcnt(0)
	s_delay_alu instid0(VALU_DEP_1)
	v_add_f64 v[0:1], v[0:1], v[4:5]
	v_add_co_u32 v2, vcc_lo, v68, v2
	v_add_co_ci_u32_e32 v3, vcc_lo, v69, v3, vcc_lo
	global_store_b64 v[2:3], v[0:1], off
	s_or_b32 exec_lo, exec_lo, s0
	s_and_b32 s1, s8, s7
	s_delay_alu instid0(SALU_CYCLE_1)
	s_and_saveexec_b32 s0, s1
	s_cbranch_execz .LBB197_243
.LBB197_296:
	scratch_load_b64 v[0:1], off, off offset:312
	v_cmp_ne_u32_e32 vcc_lo, 1, v70
	v_lshlrev_b64 v[2:3], 3, v[14:15]
	s_cbranch_vccnz .LBB197_298
; %bb.297:
	s_delay_alu instid0(VALU_DEP_1) | instskip(NEXT) | instid1(VALU_DEP_2)
	v_add_co_u32 v4, vcc_lo, v71, v2
	v_add_co_ci_u32_e32 v5, vcc_lo, v72, v3, vcc_lo
	flat_load_b64 v[4:5], v[4:5]
	s_waitcnt vmcnt(0) lgkmcnt(0)
	v_mul_f64 v[4:5], v[4:5], s[38:39]
	s_branch .LBB197_299
.LBB197_298:
	v_mov_b32_e32 v4, 0
	v_mov_b32_e32 v5, 0
.LBB197_299:
	s_waitcnt vmcnt(0)
	s_delay_alu instid0(VALU_DEP_1)
	v_add_f64 v[0:1], v[0:1], v[4:5]
	v_add_co_u32 v2, vcc_lo, v68, v2
	v_add_co_ci_u32_e32 v3, vcc_lo, v69, v3, vcc_lo
	global_store_b64 v[2:3], v[0:1], off
	s_or_b32 exec_lo, exec_lo, s0
	s_and_b32 s1, s8, s9
	s_delay_alu instid0(SALU_CYCLE_1)
	s_and_saveexec_b32 s0, s1
	s_cbranch_execz .LBB197_244
.LBB197_300:
	scratch_load_b64 v[0:1], off, off offset:320
	v_cmp_ne_u32_e32 vcc_lo, 1, v70
	v_lshlrev_b64 v[2:3], 3, v[16:17]
	s_cbranch_vccnz .LBB197_302
; %bb.301:
	s_delay_alu instid0(VALU_DEP_1) | instskip(NEXT) | instid1(VALU_DEP_2)
	v_add_co_u32 v4, vcc_lo, v71, v2
	v_add_co_ci_u32_e32 v5, vcc_lo, v72, v3, vcc_lo
	flat_load_b64 v[4:5], v[4:5]
	s_waitcnt vmcnt(0) lgkmcnt(0)
	v_mul_f64 v[4:5], v[4:5], s[38:39]
	s_branch .LBB197_303
.LBB197_302:
	v_mov_b32_e32 v4, 0
	v_mov_b32_e32 v5, 0
.LBB197_303:
	s_waitcnt vmcnt(0)
	s_delay_alu instid0(VALU_DEP_1)
	v_add_f64 v[0:1], v[0:1], v[4:5]
	v_add_co_u32 v2, vcc_lo, v68, v2
	v_add_co_ci_u32_e32 v3, vcc_lo, v69, v3, vcc_lo
	global_store_b64 v[2:3], v[0:1], off
	s_or_b32 exec_lo, exec_lo, s0
	s_and_b32 s1, s8, s10
	s_delay_alu instid0(SALU_CYCLE_1)
	s_and_saveexec_b32 s0, s1
	s_cbranch_execz .LBB197_245
.LBB197_304:
	scratch_load_b64 v[0:1], off, off offset:328
	v_cmp_ne_u32_e32 vcc_lo, 1, v70
	v_lshlrev_b64 v[2:3], 3, v[18:19]
	s_cbranch_vccnz .LBB197_306
; %bb.305:
	s_delay_alu instid0(VALU_DEP_1) | instskip(NEXT) | instid1(VALU_DEP_2)
	v_add_co_u32 v4, vcc_lo, v71, v2
	v_add_co_ci_u32_e32 v5, vcc_lo, v72, v3, vcc_lo
	flat_load_b64 v[4:5], v[4:5]
	s_waitcnt vmcnt(0) lgkmcnt(0)
	v_mul_f64 v[4:5], v[4:5], s[38:39]
	s_branch .LBB197_307
.LBB197_306:
	v_mov_b32_e32 v4, 0
	v_mov_b32_e32 v5, 0
.LBB197_307:
	s_waitcnt vmcnt(0)
	s_delay_alu instid0(VALU_DEP_1)
	v_add_f64 v[0:1], v[0:1], v[4:5]
	v_add_co_u32 v2, vcc_lo, v68, v2
	v_add_co_ci_u32_e32 v3, vcc_lo, v69, v3, vcc_lo
	global_store_b64 v[2:3], v[0:1], off
	s_or_b32 exec_lo, exec_lo, s0
	s_and_b32 s1, s8, s11
	s_delay_alu instid0(SALU_CYCLE_1)
	s_and_saveexec_b32 s0, s1
	s_cbranch_execz .LBB197_246
.LBB197_308:
	scratch_load_b64 v[0:1], off, off offset:336
	v_cmp_ne_u32_e32 vcc_lo, 1, v70
	v_lshlrev_b64 v[2:3], 3, v[20:21]
	s_cbranch_vccnz .LBB197_310
; %bb.309:
	s_delay_alu instid0(VALU_DEP_1) | instskip(NEXT) | instid1(VALU_DEP_2)
	v_add_co_u32 v4, vcc_lo, v71, v2
	v_add_co_ci_u32_e32 v5, vcc_lo, v72, v3, vcc_lo
	flat_load_b64 v[4:5], v[4:5]
	s_waitcnt vmcnt(0) lgkmcnt(0)
	v_mul_f64 v[4:5], v[4:5], s[38:39]
	s_branch .LBB197_311
.LBB197_310:
	v_mov_b32_e32 v4, 0
	v_mov_b32_e32 v5, 0
.LBB197_311:
	s_waitcnt vmcnt(0)
	s_delay_alu instid0(VALU_DEP_1)
	v_add_f64 v[0:1], v[0:1], v[4:5]
	v_add_co_u32 v2, vcc_lo, v68, v2
	v_add_co_ci_u32_e32 v3, vcc_lo, v69, v3, vcc_lo
	global_store_b64 v[2:3], v[0:1], off
	s_or_b32 exec_lo, exec_lo, s0
	s_and_b32 s1, s8, s12
	s_delay_alu instid0(SALU_CYCLE_1)
	s_and_saveexec_b32 s0, s1
	s_cbranch_execz .LBB197_247
.LBB197_312:
	scratch_load_b64 v[0:1], off, off offset:344
	v_cmp_ne_u32_e32 vcc_lo, 1, v70
	v_lshlrev_b64 v[2:3], 3, v[22:23]
	s_cbranch_vccnz .LBB197_314
; %bb.313:
	s_delay_alu instid0(VALU_DEP_1) | instskip(NEXT) | instid1(VALU_DEP_2)
	v_add_co_u32 v4, vcc_lo, v71, v2
	v_add_co_ci_u32_e32 v5, vcc_lo, v72, v3, vcc_lo
	flat_load_b64 v[4:5], v[4:5]
	s_waitcnt vmcnt(0) lgkmcnt(0)
	v_mul_f64 v[4:5], v[4:5], s[38:39]
	s_branch .LBB197_315
.LBB197_314:
	v_mov_b32_e32 v4, 0
	v_mov_b32_e32 v5, 0
.LBB197_315:
	s_waitcnt vmcnt(0)
	s_delay_alu instid0(VALU_DEP_1)
	v_add_f64 v[0:1], v[0:1], v[4:5]
	v_add_co_u32 v2, vcc_lo, v68, v2
	v_add_co_ci_u32_e32 v3, vcc_lo, v69, v3, vcc_lo
	global_store_b64 v[2:3], v[0:1], off
	s_or_b32 exec_lo, exec_lo, s0
	s_and_b32 s1, s8, s13
	s_delay_alu instid0(SALU_CYCLE_1)
	s_and_saveexec_b32 s0, s1
	s_cbranch_execz .LBB197_248
.LBB197_316:
	scratch_load_b64 v[0:1], off, off offset:352
	v_cmp_ne_u32_e32 vcc_lo, 1, v70
	v_lshlrev_b64 v[2:3], 3, v[24:25]
	s_cbranch_vccnz .LBB197_318
; %bb.317:
	s_delay_alu instid0(VALU_DEP_1) | instskip(NEXT) | instid1(VALU_DEP_2)
	v_add_co_u32 v4, vcc_lo, v71, v2
	v_add_co_ci_u32_e32 v5, vcc_lo, v72, v3, vcc_lo
	flat_load_b64 v[4:5], v[4:5]
	s_waitcnt vmcnt(0) lgkmcnt(0)
	v_mul_f64 v[4:5], v[4:5], s[38:39]
	s_branch .LBB197_319
.LBB197_318:
	v_mov_b32_e32 v4, 0
	v_mov_b32_e32 v5, 0
.LBB197_319:
	s_waitcnt vmcnt(0)
	s_delay_alu instid0(VALU_DEP_1)
	v_add_f64 v[0:1], v[0:1], v[4:5]
	v_add_co_u32 v2, vcc_lo, v68, v2
	v_add_co_ci_u32_e32 v3, vcc_lo, v69, v3, vcc_lo
	global_store_b64 v[2:3], v[0:1], off
	s_or_b32 exec_lo, exec_lo, s0
	s_and_b32 s1, s8, s14
	s_delay_alu instid0(SALU_CYCLE_1)
	s_and_saveexec_b32 s0, s1
	s_cbranch_execz .LBB197_249
.LBB197_320:
	scratch_load_b64 v[0:1], off, off offset:360
	v_cmp_ne_u32_e32 vcc_lo, 1, v70
	v_lshlrev_b64 v[2:3], 3, v[26:27]
	s_cbranch_vccnz .LBB197_322
; %bb.321:
	s_delay_alu instid0(VALU_DEP_1) | instskip(NEXT) | instid1(VALU_DEP_2)
	v_add_co_u32 v4, vcc_lo, v71, v2
	v_add_co_ci_u32_e32 v5, vcc_lo, v72, v3, vcc_lo
	flat_load_b64 v[4:5], v[4:5]
	s_waitcnt vmcnt(0) lgkmcnt(0)
	v_mul_f64 v[4:5], v[4:5], s[38:39]
	s_branch .LBB197_323
.LBB197_322:
	v_mov_b32_e32 v4, 0
	v_mov_b32_e32 v5, 0
.LBB197_323:
	s_waitcnt vmcnt(0)
	s_delay_alu instid0(VALU_DEP_1)
	v_add_f64 v[0:1], v[0:1], v[4:5]
	v_add_co_u32 v2, vcc_lo, v68, v2
	v_add_co_ci_u32_e32 v3, vcc_lo, v69, v3, vcc_lo
	global_store_b64 v[2:3], v[0:1], off
	s_or_b32 exec_lo, exec_lo, s0
	s_and_b32 s1, s8, s15
	s_delay_alu instid0(SALU_CYCLE_1)
	s_and_saveexec_b32 s0, s1
	s_cbranch_execz .LBB197_250
.LBB197_324:
	scratch_load_b64 v[0:1], off, off offset:368
	v_cmp_ne_u32_e32 vcc_lo, 1, v70
	v_lshlrev_b64 v[2:3], 3, v[28:29]
	s_cbranch_vccnz .LBB197_326
; %bb.325:
	s_delay_alu instid0(VALU_DEP_1) | instskip(NEXT) | instid1(VALU_DEP_2)
	v_add_co_u32 v4, vcc_lo, v71, v2
	v_add_co_ci_u32_e32 v5, vcc_lo, v72, v3, vcc_lo
	flat_load_b64 v[4:5], v[4:5]
	s_waitcnt vmcnt(0) lgkmcnt(0)
	v_mul_f64 v[4:5], v[4:5], s[38:39]
	s_branch .LBB197_327
.LBB197_326:
	v_mov_b32_e32 v4, 0
	v_mov_b32_e32 v5, 0
.LBB197_327:
	s_waitcnt vmcnt(0)
	s_delay_alu instid0(VALU_DEP_1)
	v_add_f64 v[0:1], v[0:1], v[4:5]
	v_add_co_u32 v2, vcc_lo, v68, v2
	v_add_co_ci_u32_e32 v3, vcc_lo, v69, v3, vcc_lo
	global_store_b64 v[2:3], v[0:1], off
	s_or_b32 exec_lo, exec_lo, s0
	s_and_b32 s1, s8, s16
	s_delay_alu instid0(SALU_CYCLE_1)
	s_and_saveexec_b32 s0, s1
	s_cbranch_execz .LBB197_251
.LBB197_328:
	scratch_load_b64 v[0:1], off, off offset:376
	v_cmp_ne_u32_e32 vcc_lo, 1, v70
	v_lshlrev_b64 v[2:3], 3, v[30:31]
	s_cbranch_vccnz .LBB197_330
; %bb.329:
	s_delay_alu instid0(VALU_DEP_1) | instskip(NEXT) | instid1(VALU_DEP_2)
	v_add_co_u32 v4, vcc_lo, v71, v2
	v_add_co_ci_u32_e32 v5, vcc_lo, v72, v3, vcc_lo
	flat_load_b64 v[4:5], v[4:5]
	s_waitcnt vmcnt(0) lgkmcnt(0)
	v_mul_f64 v[4:5], v[4:5], s[38:39]
	s_branch .LBB197_331
.LBB197_330:
	v_mov_b32_e32 v4, 0
	v_mov_b32_e32 v5, 0
.LBB197_331:
	s_waitcnt vmcnt(0)
	s_delay_alu instid0(VALU_DEP_1)
	v_add_f64 v[0:1], v[0:1], v[4:5]
	v_add_co_u32 v2, vcc_lo, v68, v2
	v_add_co_ci_u32_e32 v3, vcc_lo, v69, v3, vcc_lo
	global_store_b64 v[2:3], v[0:1], off
	s_or_b32 exec_lo, exec_lo, s0
	s_and_b32 s1, s8, s17
	s_delay_alu instid0(SALU_CYCLE_1)
	s_and_saveexec_b32 s0, s1
	s_cbranch_execz .LBB197_252
.LBB197_332:
	scratch_load_b64 v[0:1], off, off offset:384
	v_cmp_ne_u32_e32 vcc_lo, 1, v70
	v_lshlrev_b64 v[2:3], 3, v[32:33]
	s_cbranch_vccnz .LBB197_334
; %bb.333:
	s_delay_alu instid0(VALU_DEP_1) | instskip(NEXT) | instid1(VALU_DEP_2)
	v_add_co_u32 v4, vcc_lo, v71, v2
	v_add_co_ci_u32_e32 v5, vcc_lo, v72, v3, vcc_lo
	flat_load_b64 v[4:5], v[4:5]
	s_waitcnt vmcnt(0) lgkmcnt(0)
	v_mul_f64 v[4:5], v[4:5], s[38:39]
	s_branch .LBB197_335
.LBB197_334:
	v_mov_b32_e32 v4, 0
	v_mov_b32_e32 v5, 0
.LBB197_335:
	s_waitcnt vmcnt(0)
	s_delay_alu instid0(VALU_DEP_1)
	v_add_f64 v[0:1], v[0:1], v[4:5]
	v_add_co_u32 v2, vcc_lo, v68, v2
	v_add_co_ci_u32_e32 v3, vcc_lo, v69, v3, vcc_lo
	global_store_b64 v[2:3], v[0:1], off
	s_or_b32 exec_lo, exec_lo, s0
	s_and_b32 s1, s8, s18
	s_delay_alu instid0(SALU_CYCLE_1)
	s_and_saveexec_b32 s0, s1
	s_cbranch_execz .LBB197_253
.LBB197_336:
	scratch_load_b64 v[0:1], off, off offset:392
	v_cmp_ne_u32_e32 vcc_lo, 1, v70
	v_lshlrev_b64 v[2:3], 3, v[34:35]
	s_cbranch_vccnz .LBB197_338
; %bb.337:
	s_delay_alu instid0(VALU_DEP_1) | instskip(NEXT) | instid1(VALU_DEP_2)
	v_add_co_u32 v4, vcc_lo, v71, v2
	v_add_co_ci_u32_e32 v5, vcc_lo, v72, v3, vcc_lo
	flat_load_b64 v[4:5], v[4:5]
	s_waitcnt vmcnt(0) lgkmcnt(0)
	v_mul_f64 v[4:5], v[4:5], s[38:39]
	s_branch .LBB197_339
.LBB197_338:
	v_mov_b32_e32 v4, 0
	v_mov_b32_e32 v5, 0
.LBB197_339:
	s_waitcnt vmcnt(0)
	s_delay_alu instid0(VALU_DEP_1)
	v_add_f64 v[0:1], v[0:1], v[4:5]
	v_add_co_u32 v2, vcc_lo, v68, v2
	v_add_co_ci_u32_e32 v3, vcc_lo, v69, v3, vcc_lo
	global_store_b64 v[2:3], v[0:1], off
	s_or_b32 exec_lo, exec_lo, s0
	s_and_b32 s1, s8, s19
	s_delay_alu instid0(SALU_CYCLE_1)
	s_and_saveexec_b32 s0, s1
	s_cbranch_execz .LBB197_254
.LBB197_340:
	scratch_load_b64 v[0:1], off, off offset:400
	v_cmp_ne_u32_e32 vcc_lo, 1, v70
	v_lshlrev_b64 v[2:3], 3, v[36:37]
	s_cbranch_vccnz .LBB197_342
; %bb.341:
	s_delay_alu instid0(VALU_DEP_1) | instskip(NEXT) | instid1(VALU_DEP_2)
	v_add_co_u32 v4, vcc_lo, v71, v2
	v_add_co_ci_u32_e32 v5, vcc_lo, v72, v3, vcc_lo
	flat_load_b64 v[4:5], v[4:5]
	s_waitcnt vmcnt(0) lgkmcnt(0)
	v_mul_f64 v[4:5], v[4:5], s[38:39]
	s_branch .LBB197_343
.LBB197_342:
	v_mov_b32_e32 v4, 0
	v_mov_b32_e32 v5, 0
.LBB197_343:
	s_waitcnt vmcnt(0)
	s_delay_alu instid0(VALU_DEP_1)
	v_add_f64 v[0:1], v[0:1], v[4:5]
	v_add_co_u32 v2, vcc_lo, v68, v2
	v_add_co_ci_u32_e32 v3, vcc_lo, v69, v3, vcc_lo
	global_store_b64 v[2:3], v[0:1], off
	s_or_b32 exec_lo, exec_lo, s0
	s_and_b32 s1, s8, s20
	s_delay_alu instid0(SALU_CYCLE_1)
	s_and_saveexec_b32 s0, s1
	s_cbranch_execz .LBB197_255
.LBB197_344:
	scratch_load_b64 v[0:1], off, off offset:408
	v_cmp_ne_u32_e32 vcc_lo, 1, v70
	v_lshlrev_b64 v[2:3], 3, v[38:39]
	s_cbranch_vccnz .LBB197_346
; %bb.345:
	s_delay_alu instid0(VALU_DEP_1) | instskip(NEXT) | instid1(VALU_DEP_2)
	v_add_co_u32 v4, vcc_lo, v71, v2
	v_add_co_ci_u32_e32 v5, vcc_lo, v72, v3, vcc_lo
	flat_load_b64 v[4:5], v[4:5]
	s_waitcnt vmcnt(0) lgkmcnt(0)
	v_mul_f64 v[4:5], v[4:5], s[38:39]
	s_branch .LBB197_347
.LBB197_346:
	v_mov_b32_e32 v4, 0
	v_mov_b32_e32 v5, 0
.LBB197_347:
	s_waitcnt vmcnt(0)
	s_delay_alu instid0(VALU_DEP_1)
	v_add_f64 v[0:1], v[0:1], v[4:5]
	v_add_co_u32 v2, vcc_lo, v68, v2
	v_add_co_ci_u32_e32 v3, vcc_lo, v69, v3, vcc_lo
	global_store_b64 v[2:3], v[0:1], off
	s_or_b32 exec_lo, exec_lo, s0
	s_and_b32 s1, s8, s21
	s_delay_alu instid0(SALU_CYCLE_1)
	s_and_saveexec_b32 s0, s1
	s_cbranch_execz .LBB197_256
.LBB197_348:
	scratch_load_b64 v[0:1], off, off offset:416
	v_cmp_ne_u32_e32 vcc_lo, 1, v70
	v_lshlrev_b64 v[2:3], 3, v[40:41]
	s_cbranch_vccnz .LBB197_350
; %bb.349:
	s_delay_alu instid0(VALU_DEP_1) | instskip(NEXT) | instid1(VALU_DEP_2)
	v_add_co_u32 v4, vcc_lo, v71, v2
	v_add_co_ci_u32_e32 v5, vcc_lo, v72, v3, vcc_lo
	flat_load_b64 v[4:5], v[4:5]
	s_waitcnt vmcnt(0) lgkmcnt(0)
	v_mul_f64 v[4:5], v[4:5], s[38:39]
	s_branch .LBB197_351
.LBB197_350:
	v_mov_b32_e32 v4, 0
	v_mov_b32_e32 v5, 0
.LBB197_351:
	s_waitcnt vmcnt(0)
	s_delay_alu instid0(VALU_DEP_1)
	v_add_f64 v[0:1], v[0:1], v[4:5]
	v_add_co_u32 v2, vcc_lo, v68, v2
	v_add_co_ci_u32_e32 v3, vcc_lo, v69, v3, vcc_lo
	global_store_b64 v[2:3], v[0:1], off
	s_or_b32 exec_lo, exec_lo, s0
	s_and_b32 s1, s8, s22
	s_delay_alu instid0(SALU_CYCLE_1)
	s_and_saveexec_b32 s0, s1
	s_cbranch_execz .LBB197_257
.LBB197_352:
	scratch_load_b64 v[0:1], off, off offset:424
	v_cmp_ne_u32_e32 vcc_lo, 1, v70
	v_lshlrev_b64 v[2:3], 3, v[42:43]
	s_cbranch_vccnz .LBB197_354
; %bb.353:
	s_delay_alu instid0(VALU_DEP_1) | instskip(NEXT) | instid1(VALU_DEP_2)
	v_add_co_u32 v4, vcc_lo, v71, v2
	v_add_co_ci_u32_e32 v5, vcc_lo, v72, v3, vcc_lo
	flat_load_b64 v[4:5], v[4:5]
	s_waitcnt vmcnt(0) lgkmcnt(0)
	v_mul_f64 v[4:5], v[4:5], s[38:39]
	s_branch .LBB197_355
.LBB197_354:
	v_mov_b32_e32 v4, 0
	v_mov_b32_e32 v5, 0
.LBB197_355:
	s_waitcnt vmcnt(0)
	s_delay_alu instid0(VALU_DEP_1)
	v_add_f64 v[0:1], v[0:1], v[4:5]
	v_add_co_u32 v2, vcc_lo, v68, v2
	v_add_co_ci_u32_e32 v3, vcc_lo, v69, v3, vcc_lo
	global_store_b64 v[2:3], v[0:1], off
	s_or_b32 exec_lo, exec_lo, s0
	s_and_b32 s1, s8, s23
	s_delay_alu instid0(SALU_CYCLE_1)
	s_and_saveexec_b32 s0, s1
	s_cbranch_execz .LBB197_258
.LBB197_356:
	scratch_load_b64 v[0:1], off, off offset:432
	v_cmp_ne_u32_e32 vcc_lo, 1, v70
	v_lshlrev_b64 v[2:3], 3, v[44:45]
	s_cbranch_vccnz .LBB197_358
; %bb.357:
	s_delay_alu instid0(VALU_DEP_1) | instskip(NEXT) | instid1(VALU_DEP_2)
	v_add_co_u32 v4, vcc_lo, v71, v2
	v_add_co_ci_u32_e32 v5, vcc_lo, v72, v3, vcc_lo
	flat_load_b64 v[4:5], v[4:5]
	s_waitcnt vmcnt(0) lgkmcnt(0)
	v_mul_f64 v[4:5], v[4:5], s[38:39]
	s_branch .LBB197_359
.LBB197_358:
	v_mov_b32_e32 v4, 0
	v_mov_b32_e32 v5, 0
.LBB197_359:
	s_waitcnt vmcnt(0)
	s_delay_alu instid0(VALU_DEP_1)
	v_add_f64 v[0:1], v[0:1], v[4:5]
	v_add_co_u32 v2, vcc_lo, v68, v2
	v_add_co_ci_u32_e32 v3, vcc_lo, v69, v3, vcc_lo
	global_store_b64 v[2:3], v[0:1], off
	s_or_b32 exec_lo, exec_lo, s0
	s_and_b32 s1, s8, s24
	s_delay_alu instid0(SALU_CYCLE_1)
	s_and_saveexec_b32 s0, s1
	s_cbranch_execz .LBB197_259
.LBB197_360:
	scratch_load_b64 v[0:1], off, off offset:440
	v_cmp_ne_u32_e32 vcc_lo, 1, v70
	v_lshlrev_b64 v[2:3], 3, v[46:47]
	s_cbranch_vccnz .LBB197_362
; %bb.361:
	s_delay_alu instid0(VALU_DEP_1) | instskip(NEXT) | instid1(VALU_DEP_2)
	v_add_co_u32 v4, vcc_lo, v71, v2
	v_add_co_ci_u32_e32 v5, vcc_lo, v72, v3, vcc_lo
	flat_load_b64 v[4:5], v[4:5]
	s_waitcnt vmcnt(0) lgkmcnt(0)
	v_mul_f64 v[4:5], v[4:5], s[38:39]
	s_branch .LBB197_363
.LBB197_362:
	v_mov_b32_e32 v4, 0
	v_mov_b32_e32 v5, 0
.LBB197_363:
	s_waitcnt vmcnt(0)
	s_delay_alu instid0(VALU_DEP_1)
	v_add_f64 v[0:1], v[0:1], v[4:5]
	v_add_co_u32 v2, vcc_lo, v68, v2
	v_add_co_ci_u32_e32 v3, vcc_lo, v69, v3, vcc_lo
	global_store_b64 v[2:3], v[0:1], off
	s_or_b32 exec_lo, exec_lo, s0
	s_and_b32 s1, s8, s25
	s_delay_alu instid0(SALU_CYCLE_1)
	s_and_saveexec_b32 s0, s1
	s_cbranch_execz .LBB197_260
.LBB197_364:
	scratch_load_b64 v[0:1], off, off offset:448
	v_cmp_ne_u32_e32 vcc_lo, 1, v70
	v_lshlrev_b64 v[2:3], 3, v[48:49]
	s_cbranch_vccnz .LBB197_366
; %bb.365:
	s_delay_alu instid0(VALU_DEP_1) | instskip(NEXT) | instid1(VALU_DEP_2)
	v_add_co_u32 v4, vcc_lo, v71, v2
	v_add_co_ci_u32_e32 v5, vcc_lo, v72, v3, vcc_lo
	flat_load_b64 v[4:5], v[4:5]
	s_waitcnt vmcnt(0) lgkmcnt(0)
	v_mul_f64 v[4:5], v[4:5], s[38:39]
	s_branch .LBB197_367
.LBB197_366:
	v_mov_b32_e32 v4, 0
	v_mov_b32_e32 v5, 0
.LBB197_367:
	s_waitcnt vmcnt(0)
	s_delay_alu instid0(VALU_DEP_1)
	v_add_f64 v[0:1], v[0:1], v[4:5]
	v_add_co_u32 v2, vcc_lo, v68, v2
	v_add_co_ci_u32_e32 v3, vcc_lo, v69, v3, vcc_lo
	global_store_b64 v[2:3], v[0:1], off
	s_or_b32 exec_lo, exec_lo, s0
	s_and_b32 s1, s8, s26
	s_delay_alu instid0(SALU_CYCLE_1)
	s_and_saveexec_b32 s0, s1
	s_cbranch_execz .LBB197_261
.LBB197_368:
	scratch_load_b64 v[0:1], off, off offset:456
	v_cmp_ne_u32_e32 vcc_lo, 1, v70
	v_lshlrev_b64 v[2:3], 3, v[50:51]
	s_cbranch_vccnz .LBB197_370
; %bb.369:
	s_delay_alu instid0(VALU_DEP_1) | instskip(NEXT) | instid1(VALU_DEP_2)
	v_add_co_u32 v4, vcc_lo, v71, v2
	v_add_co_ci_u32_e32 v5, vcc_lo, v72, v3, vcc_lo
	flat_load_b64 v[4:5], v[4:5]
	s_waitcnt vmcnt(0) lgkmcnt(0)
	v_mul_f64 v[4:5], v[4:5], s[38:39]
	s_branch .LBB197_371
.LBB197_370:
	v_mov_b32_e32 v4, 0
	v_mov_b32_e32 v5, 0
.LBB197_371:
	s_waitcnt vmcnt(0)
	s_delay_alu instid0(VALU_DEP_1)
	v_add_f64 v[0:1], v[0:1], v[4:5]
	v_add_co_u32 v2, vcc_lo, v68, v2
	v_add_co_ci_u32_e32 v3, vcc_lo, v69, v3, vcc_lo
	global_store_b64 v[2:3], v[0:1], off
	s_or_b32 exec_lo, exec_lo, s0
	s_and_b32 s1, s8, s27
	s_delay_alu instid0(SALU_CYCLE_1)
	s_and_saveexec_b32 s0, s1
	s_cbranch_execz .LBB197_262
.LBB197_372:
	scratch_load_b64 v[0:1], off, off offset:464
	v_cmp_ne_u32_e32 vcc_lo, 1, v70
	v_lshlrev_b64 v[2:3], 3, v[52:53]
	s_cbranch_vccnz .LBB197_374
; %bb.373:
	s_delay_alu instid0(VALU_DEP_1) | instskip(NEXT) | instid1(VALU_DEP_2)
	v_add_co_u32 v4, vcc_lo, v71, v2
	v_add_co_ci_u32_e32 v5, vcc_lo, v72, v3, vcc_lo
	flat_load_b64 v[4:5], v[4:5]
	s_waitcnt vmcnt(0) lgkmcnt(0)
	v_mul_f64 v[4:5], v[4:5], s[38:39]
	s_branch .LBB197_375
.LBB197_374:
	v_mov_b32_e32 v4, 0
	v_mov_b32_e32 v5, 0
.LBB197_375:
	s_waitcnt vmcnt(0)
	s_delay_alu instid0(VALU_DEP_1)
	v_add_f64 v[0:1], v[0:1], v[4:5]
	v_add_co_u32 v2, vcc_lo, v68, v2
	v_add_co_ci_u32_e32 v3, vcc_lo, v69, v3, vcc_lo
	global_store_b64 v[2:3], v[0:1], off
	s_or_b32 exec_lo, exec_lo, s0
	s_and_b32 s1, s8, s28
	s_delay_alu instid0(SALU_CYCLE_1)
	s_and_saveexec_b32 s0, s1
	s_cbranch_execz .LBB197_263
.LBB197_376:
	scratch_load_b64 v[0:1], off, off offset:472
	v_cmp_ne_u32_e32 vcc_lo, 1, v70
	v_lshlrev_b64 v[2:3], 3, v[54:55]
	s_cbranch_vccnz .LBB197_378
; %bb.377:
	s_delay_alu instid0(VALU_DEP_1) | instskip(NEXT) | instid1(VALU_DEP_2)
	v_add_co_u32 v4, vcc_lo, v71, v2
	v_add_co_ci_u32_e32 v5, vcc_lo, v72, v3, vcc_lo
	flat_load_b64 v[4:5], v[4:5]
	s_waitcnt vmcnt(0) lgkmcnt(0)
	v_mul_f64 v[4:5], v[4:5], s[38:39]
	s_branch .LBB197_379
.LBB197_378:
	v_mov_b32_e32 v4, 0
	v_mov_b32_e32 v5, 0
.LBB197_379:
	s_waitcnt vmcnt(0)
	s_delay_alu instid0(VALU_DEP_1)
	v_add_f64 v[0:1], v[0:1], v[4:5]
	v_add_co_u32 v2, vcc_lo, v68, v2
	v_add_co_ci_u32_e32 v3, vcc_lo, v69, v3, vcc_lo
	global_store_b64 v[2:3], v[0:1], off
	s_or_b32 exec_lo, exec_lo, s0
	s_and_b32 s1, s8, s29
	s_delay_alu instid0(SALU_CYCLE_1)
	s_and_saveexec_b32 s0, s1
	s_cbranch_execz .LBB197_264
.LBB197_380:
	scratch_load_b64 v[0:1], off, off offset:480
	v_cmp_ne_u32_e32 vcc_lo, 1, v70
	v_lshlrev_b64 v[2:3], 3, v[56:57]
	s_cbranch_vccnz .LBB197_382
; %bb.381:
	s_delay_alu instid0(VALU_DEP_1) | instskip(NEXT) | instid1(VALU_DEP_2)
	v_add_co_u32 v4, vcc_lo, v71, v2
	v_add_co_ci_u32_e32 v5, vcc_lo, v72, v3, vcc_lo
	flat_load_b64 v[4:5], v[4:5]
	s_waitcnt vmcnt(0) lgkmcnt(0)
	v_mul_f64 v[4:5], v[4:5], s[38:39]
	s_branch .LBB197_383
.LBB197_382:
	v_mov_b32_e32 v4, 0
	v_mov_b32_e32 v5, 0
.LBB197_383:
	s_waitcnt vmcnt(0)
	s_delay_alu instid0(VALU_DEP_1)
	v_add_f64 v[0:1], v[0:1], v[4:5]
	v_add_co_u32 v2, vcc_lo, v68, v2
	v_add_co_ci_u32_e32 v3, vcc_lo, v69, v3, vcc_lo
	global_store_b64 v[2:3], v[0:1], off
	s_or_b32 exec_lo, exec_lo, s0
	s_and_b32 s1, s8, s30
	s_delay_alu instid0(SALU_CYCLE_1)
	s_and_saveexec_b32 s0, s1
	s_cbranch_execz .LBB197_265
.LBB197_384:
	scratch_load_b64 v[0:1], off, off offset:488
	v_cmp_ne_u32_e32 vcc_lo, 1, v70
	v_lshlrev_b64 v[2:3], 3, v[58:59]
	s_cbranch_vccnz .LBB197_386
; %bb.385:
	s_delay_alu instid0(VALU_DEP_1) | instskip(NEXT) | instid1(VALU_DEP_2)
	v_add_co_u32 v4, vcc_lo, v71, v2
	v_add_co_ci_u32_e32 v5, vcc_lo, v72, v3, vcc_lo
	flat_load_b64 v[4:5], v[4:5]
	s_waitcnt vmcnt(0) lgkmcnt(0)
	v_mul_f64 v[4:5], v[4:5], s[38:39]
	s_branch .LBB197_387
.LBB197_386:
	v_mov_b32_e32 v4, 0
	v_mov_b32_e32 v5, 0
.LBB197_387:
	s_waitcnt vmcnt(0)
	s_delay_alu instid0(VALU_DEP_1)
	v_add_f64 v[0:1], v[0:1], v[4:5]
	v_add_co_u32 v2, vcc_lo, v68, v2
	v_add_co_ci_u32_e32 v3, vcc_lo, v69, v3, vcc_lo
	global_store_b64 v[2:3], v[0:1], off
	s_or_b32 exec_lo, exec_lo, s0
	s_and_b32 s1, s8, s31
	s_delay_alu instid0(SALU_CYCLE_1)
	s_and_saveexec_b32 s0, s1
	s_cbranch_execz .LBB197_266
.LBB197_388:
	scratch_load_b64 v[0:1], off, off offset:496
	v_cmp_ne_u32_e32 vcc_lo, 1, v70
	v_lshlrev_b64 v[2:3], 3, v[60:61]
	s_cbranch_vccnz .LBB197_390
; %bb.389:
	s_delay_alu instid0(VALU_DEP_1) | instskip(NEXT) | instid1(VALU_DEP_2)
	v_add_co_u32 v4, vcc_lo, v71, v2
	v_add_co_ci_u32_e32 v5, vcc_lo, v72, v3, vcc_lo
	flat_load_b64 v[4:5], v[4:5]
	s_waitcnt vmcnt(0) lgkmcnt(0)
	v_mul_f64 v[4:5], v[4:5], s[38:39]
	s_branch .LBB197_391
.LBB197_390:
	v_mov_b32_e32 v4, 0
	v_mov_b32_e32 v5, 0
.LBB197_391:
	s_waitcnt vmcnt(0)
	s_delay_alu instid0(VALU_DEP_1)
	v_add_f64 v[0:1], v[0:1], v[4:5]
	v_add_co_u32 v2, vcc_lo, v68, v2
	v_add_co_ci_u32_e32 v3, vcc_lo, v69, v3, vcc_lo
	global_store_b64 v[2:3], v[0:1], off
	s_or_b32 exec_lo, exec_lo, s0
	s_and_b32 s0, s8, s33
	s_delay_alu instid0(SALU_CYCLE_1)
	s_and_saveexec_b32 s1, s0
	s_cbranch_execz .LBB197_267
.LBB197_392:
	scratch_load_b64 v[0:1], off, off offset:504
	v_cmp_ne_u32_e32 vcc_lo, 1, v70
	v_lshlrev_b64 v[2:3], 3, v[62:63]
	s_cbranch_vccnz .LBB197_394
; %bb.393:
	s_delay_alu instid0(VALU_DEP_1) | instskip(NEXT) | instid1(VALU_DEP_2)
	v_add_co_u32 v4, vcc_lo, v71, v2
	v_add_co_ci_u32_e32 v5, vcc_lo, v72, v3, vcc_lo
	flat_load_b64 v[4:5], v[4:5]
	s_waitcnt vmcnt(0) lgkmcnt(0)
	v_mul_f64 v[4:5], v[4:5], s[38:39]
	s_branch .LBB197_395
.LBB197_394:
	v_mov_b32_e32 v4, 0
	v_mov_b32_e32 v5, 0
.LBB197_395:
	s_waitcnt vmcnt(0)
	s_delay_alu instid0(VALU_DEP_1)
	v_add_f64 v[0:1], v[0:1], v[4:5]
	v_add_co_u32 v2, vcc_lo, v68, v2
	v_add_co_ci_u32_e32 v3, vcc_lo, v69, v3, vcc_lo
	global_store_b64 v[2:3], v[0:1], off
	s_endpgm
	.section	.rodata,"a",@progbits
	.p2align	6, 0x0
	.amdhsa_kernel _ZN12_GLOBAL__N_120geam_min_plus_kernelIdddLi4ELi64ELi128ELi128ELi4ELi64ELi4ELi64ELi4ELc78ELc84ELb0ELb1ELb0EdKddEEviiiT16_PT17_ilS4_ilS2_S4_ilPT18_ili26rocblas_geam_ex_operation_
		.amdhsa_group_segment_fixed_size 16384
		.amdhsa_private_segment_fixed_size 528
		.amdhsa_kernarg_size 136
		.amdhsa_user_sgpr_count 14
		.amdhsa_user_sgpr_dispatch_ptr 0
		.amdhsa_user_sgpr_queue_ptr 0
		.amdhsa_user_sgpr_kernarg_segment_ptr 1
		.amdhsa_user_sgpr_dispatch_id 0
		.amdhsa_user_sgpr_private_segment_size 0
		.amdhsa_wavefront_size32 1
		.amdhsa_uses_dynamic_stack 0
		.amdhsa_enable_private_segment 1
		.amdhsa_system_sgpr_workgroup_id_x 1
		.amdhsa_system_sgpr_workgroup_id_y 0
		.amdhsa_system_sgpr_workgroup_id_z 1
		.amdhsa_system_sgpr_workgroup_info 0
		.amdhsa_system_vgpr_workitem_id 1
		.amdhsa_next_free_vgpr 251
		.amdhsa_next_free_sgpr 46
		.amdhsa_reserve_vcc 1
		.amdhsa_float_round_mode_32 0
		.amdhsa_float_round_mode_16_64 0
		.amdhsa_float_denorm_mode_32 3
		.amdhsa_float_denorm_mode_16_64 3
		.amdhsa_dx10_clamp 1
		.amdhsa_ieee_mode 1
		.amdhsa_fp16_overflow 0
		.amdhsa_workgroup_processor_mode 1
		.amdhsa_memory_ordered 1
		.amdhsa_forward_progress 0
		.amdhsa_shared_vgpr_count 0
		.amdhsa_exception_fp_ieee_invalid_op 0
		.amdhsa_exception_fp_denorm_src 0
		.amdhsa_exception_fp_ieee_div_zero 0
		.amdhsa_exception_fp_ieee_overflow 0
		.amdhsa_exception_fp_ieee_underflow 0
		.amdhsa_exception_fp_ieee_inexact 0
		.amdhsa_exception_int_div_zero 0
	.end_amdhsa_kernel
	.section	.text._ZN12_GLOBAL__N_120geam_min_plus_kernelIdddLi4ELi64ELi128ELi128ELi4ELi64ELi4ELi64ELi4ELc78ELc84ELb0ELb1ELb0EdKddEEviiiT16_PT17_ilS4_ilS2_S4_ilPT18_ili26rocblas_geam_ex_operation_,"axG",@progbits,_ZN12_GLOBAL__N_120geam_min_plus_kernelIdddLi4ELi64ELi128ELi128ELi4ELi64ELi4ELi64ELi4ELc78ELc84ELb0ELb1ELb0EdKddEEviiiT16_PT17_ilS4_ilS2_S4_ilPT18_ili26rocblas_geam_ex_operation_,comdat
.Lfunc_end197:
	.size	_ZN12_GLOBAL__N_120geam_min_plus_kernelIdddLi4ELi64ELi128ELi128ELi4ELi64ELi4ELi64ELi4ELc78ELc84ELb0ELb1ELb0EdKddEEviiiT16_PT17_ilS4_ilS2_S4_ilPT18_ili26rocblas_geam_ex_operation_, .Lfunc_end197-_ZN12_GLOBAL__N_120geam_min_plus_kernelIdddLi4ELi64ELi128ELi128ELi4ELi64ELi4ELi64ELi4ELc78ELc84ELb0ELb1ELb0EdKddEEviiiT16_PT17_ilS4_ilS2_S4_ilPT18_ili26rocblas_geam_ex_operation_
                                        ; -- End function
	.section	.AMDGPU.csdata,"",@progbits
; Kernel info:
; codeLenInByte = 47268
; NumSgprs: 48
; NumVgprs: 251
; ScratchSize: 528
; MemoryBound: 1
; FloatMode: 240
; IeeeMode: 1
; LDSByteSize: 16384 bytes/workgroup (compile time only)
; SGPRBlocks: 5
; VGPRBlocks: 31
; NumSGPRsForWavesPerEU: 48
; NumVGPRsForWavesPerEU: 251
; Occupancy: 5
; WaveLimiterHint : 1
; COMPUTE_PGM_RSRC2:SCRATCH_EN: 1
; COMPUTE_PGM_RSRC2:USER_SGPR: 14
; COMPUTE_PGM_RSRC2:TRAP_HANDLER: 0
; COMPUTE_PGM_RSRC2:TGID_X_EN: 1
; COMPUTE_PGM_RSRC2:TGID_Y_EN: 0
; COMPUTE_PGM_RSRC2:TGID_Z_EN: 1
; COMPUTE_PGM_RSRC2:TIDIG_COMP_CNT: 1
	.section	.text._ZN12_GLOBAL__N_120geam_min_plus_kernelIdddLi4ELi64ELi128ELi128ELi4ELi4ELi64ELi64ELi4ELc84ELc84ELb0ELb0ELb0EPKdS1_dEEviiiT16_PT17_ilS5_ilS3_S5_ilPT18_ili26rocblas_geam_ex_operation_,"axG",@progbits,_ZN12_GLOBAL__N_120geam_min_plus_kernelIdddLi4ELi64ELi128ELi128ELi4ELi4ELi64ELi64ELi4ELc84ELc84ELb0ELb0ELb0EPKdS1_dEEviiiT16_PT17_ilS5_ilS3_S5_ilPT18_ili26rocblas_geam_ex_operation_,comdat
	.globl	_ZN12_GLOBAL__N_120geam_min_plus_kernelIdddLi4ELi64ELi128ELi128ELi4ELi4ELi64ELi64ELi4ELc84ELc84ELb0ELb0ELb0EPKdS1_dEEviiiT16_PT17_ilS5_ilS3_S5_ilPT18_ili26rocblas_geam_ex_operation_ ; -- Begin function _ZN12_GLOBAL__N_120geam_min_plus_kernelIdddLi4ELi64ELi128ELi128ELi4ELi4ELi64ELi64ELi4ELc84ELc84ELb0ELb0ELb0EPKdS1_dEEviiiT16_PT17_ilS5_ilS3_S5_ilPT18_ili26rocblas_geam_ex_operation_
	.p2align	8
	.type	_ZN12_GLOBAL__N_120geam_min_plus_kernelIdddLi4ELi64ELi128ELi128ELi4ELi4ELi64ELi64ELi4ELc84ELc84ELb0ELb0ELb0EPKdS1_dEEviiiT16_PT17_ilS5_ilS3_S5_ilPT18_ili26rocblas_geam_ex_operation_,@function
_ZN12_GLOBAL__N_120geam_min_plus_kernelIdddLi4ELi64ELi128ELi128ELi4ELi4ELi64ELi64ELi4ELc84ELc84ELb0ELb0ELb0EPKdS1_dEEviiiT16_PT17_ilS5_ilS3_S5_ilPT18_ili26rocblas_geam_ex_operation_: ; @_ZN12_GLOBAL__N_120geam_min_plus_kernelIdddLi4ELi64ELi128ELi128ELi4ELi4ELi64ELi64ELi4ELc84ELc84ELb0ELb0ELb0EPKdS1_dEEviiiT16_PT17_ilS5_ilS3_S5_ilPT18_ili26rocblas_geam_ex_operation_
; %bb.0:
	s_clause 0x1
	s_load_b128 s[8:11], s[0:1], 0x10
	s_load_b128 s[4:7], s[0:1], 0x28
	s_mov_b32 s12, s15
	s_mov_b32 s13, 0
	s_mov_b64 s[22:23], 0
	s_lshl_b64 s[2:3], s[12:13], 3
	s_waitcnt lgkmcnt(0)
	s_add_u32 s8, s8, s2
	s_addc_u32 s9, s9, s3
	s_load_b64 s[20:21], s[8:9], 0x0
	s_clause 0x1
	s_load_b128 s[16:19], s[0:1], 0x40
	s_load_b64 s[24:25], s[0:1], 0x50
	s_waitcnt lgkmcnt(0)
	s_add_u32 s2, s18, s2
	v_cmp_eq_f64_e64 s8, s[20:21], 0
	v_cmp_neq_f64_e64 s26, s[20:21], 0
	s_addc_u32 s3, s19, s3
	s_mov_b64 s[18:19], 0
	s_delay_alu instid0(VALU_DEP_2)
	s_and_b32 vcc_lo, exec_lo, s8
	s_cbranch_vccnz .LBB198_2
; %bb.1:
	s_mul_i32 s5, s12, s5
	s_mul_hi_u32 s8, s12, s4
	s_mul_i32 s4, s12, s4
	s_add_i32 s5, s8, s5
	s_delay_alu instid0(SALU_CYCLE_1) | instskip(NEXT) | instid1(SALU_CYCLE_1)
	s_lshl_b64 s[4:5], s[4:5], 3
	s_add_u32 s18, s10, s4
	s_addc_u32 s19, s11, s5
.LBB198_2:
	s_load_b64 s[8:9], s[2:3], 0x0
	s_delay_alu instid0(VALU_DEP_1) | instskip(SKIP_1) | instid1(VALU_DEP_1)
	v_cndmask_b32_e64 v1, 0, 1, s26
	s_and_not1_b32 vcc_lo, exec_lo, s26
	v_cmp_ne_u32_e64 s2, 1, v1
	s_cbranch_vccnz .LBB198_4
; %bb.3:
	s_mul_i32 s3, s12, s17
	s_mul_hi_u32 s4, s12, s16
	s_delay_alu instid0(SALU_CYCLE_1) | instskip(SKIP_1) | instid1(SALU_CYCLE_1)
	s_add_i32 s5, s4, s3
	s_mul_i32 s4, s12, s16
	s_lshl_b64 s[4:5], s[4:5], 3
	s_delay_alu instid0(SALU_CYCLE_1)
	s_add_u32 s22, s6, s4
	s_addc_u32 s23, s7, s5
.LBB198_4:
	s_waitcnt lgkmcnt(0)
	v_cmp_eq_f64_e64 s3, s[8:9], 0
	s_load_b128 s[4:7], s[0:1], 0x60
	s_mov_b64 s[10:11], 0
	s_delay_alu instid0(VALU_DEP_1)
	s_and_b32 vcc_lo, exec_lo, s3
	s_cbranch_vccnz .LBB198_6
; %bb.5:
	s_waitcnt lgkmcnt(0)
	s_mul_i32 s3, s12, s5
	s_mul_hi_u32 s5, s12, s4
	s_mul_i32 s4, s12, s4
	s_add_i32 s5, s5, s3
	s_delay_alu instid0(SALU_CYCLE_1) | instskip(NEXT) | instid1(SALU_CYCLE_1)
	s_lshl_b64 s[4:5], s[4:5], 3
	s_add_u32 s10, s24, s4
	s_addc_u32 s11, s25, s5
.LBB198_6:
	s_clause 0x1
	s_load_b32 s13, s[0:1], 0x0
	s_load_b32 s3, s[0:1], 0x20
	s_waitcnt lgkmcnt(0)
	s_mov_b32 s4, 0
	v_bfe_u32 v82, v0, 10, 10
	s_mov_b32 s5, s4
	v_dual_mov_b32 v0, s4 :: v_dual_and_b32 v81, 0x3ff, v0
	v_mov_b32_e32 v1, s5
	s_delay_alu instid0(VALU_DEP_2) | instskip(SKIP_1) | instid1(VALU_DEP_2)
	v_lshl_add_u32 v4, v82, 2, v81
	v_and_b32_e32 v83, 3, v81
	v_lshrrev_b32_e32 v8, 2, v4
	s_delay_alu instid0(VALU_DEP_2) | instskip(SKIP_1) | instid1(SALU_CYCLE_1)
	v_lshlrev_b32_e32 v9, 3, v83
	s_add_i32 s4, s13, -1
	s_ashr_i32 s5, s4, 31
	s_delay_alu instid0(SALU_CYCLE_1) | instskip(NEXT) | instid1(SALU_CYCLE_1)
	s_lshr_b32 s5, s5, 25
	s_add_i32 s4, s4, s5
	s_delay_alu instid0(SALU_CYCLE_1) | instskip(NEXT) | instid1(SALU_CYCLE_1)
	s_ashr_i32 s4, s4, 7
	s_add_i32 s5, s4, 1
	s_not_b32 s4, s4
	v_cvt_f32_u32_e32 v2, s5
	s_delay_alu instid0(VALU_DEP_1)
	v_rcp_iflag_f32_e32 v2, v2
	s_waitcnt_depctr 0xfff
	v_mul_f32_e32 v2, 0x4f7ffffe, v2
	s_clause 0xe
	scratch_store_b64 off, v[0:1], off
	scratch_store_b64 off, v[0:1], off offset:8
	scratch_store_b64 off, v[0:1], off offset:16
	;; [unrolled: 1-line block ×14, first 2 shown]
	v_cvt_u32_f32_e32 v2, v2
	s_clause 0xe
	scratch_store_b64 off, v[0:1], off offset:120
	scratch_store_b64 off, v[0:1], off offset:128
	;; [unrolled: 1-line block ×15, first 2 shown]
	v_readfirstlane_b32 s13, v2
	s_clause 0xd
	scratch_store_b64 off, v[0:1], off offset:240
	scratch_store_b64 off, v[0:1], off offset:248
	;; [unrolled: 1-line block ×14, first 2 shown]
	s_mul_i32 s4, s4, s13
	s_clause 0x3
	scratch_store_b64 off, v[0:1], off offset:352
	scratch_store_b64 off, v[0:1], off offset:360
	;; [unrolled: 1-line block ×4, first 2 shown]
	s_mul_hi_u32 s4, s13, s4
	s_clause 0x1
	scratch_store_b64 off, v[0:1], off offset:384
	scratch_store_b64 off, v[0:1], off offset:392
	s_add_i32 s13, s13, s4
	s_clause 0x7
	scratch_store_b64 off, v[0:1], off offset:400
	scratch_store_b64 off, v[0:1], off offset:408
	;; [unrolled: 1-line block ×8, first 2 shown]
	s_mul_hi_u32 s4, s14, s13
	s_clause 0x2
	scratch_store_b64 off, v[0:1], off offset:464
	scratch_store_b64 off, v[0:1], off offset:472
	;; [unrolled: 1-line block ×3, first 2 shown]
	s_mul_i32 s13, s4, s5
	s_add_i32 s15, s4, 1
	s_sub_i32 s13, s14, s13
	scratch_store_b64 off, v[0:1], off offset:488
	s_sub_i32 s16, s13, s5
	s_cmp_ge_u32 s13, s5
	s_clause 0x1
	scratch_store_b64 off, v[0:1], off offset:496
	scratch_store_b64 off, v[0:1], off offset:504
	s_cselect_b32 s4, s15, s4
	s_cselect_b32 s13, s16, s13
	s_add_i32 s15, s4, 1
	s_cmp_ge_u32 s13, s5
	s_cselect_b32 s4, s15, s4
	s_and_b32 vcc_lo, exec_lo, s2
	s_mul_i32 s5, s4, s5
	s_delay_alu instid0(SALU_CYCLE_1) | instskip(NEXT) | instid1(SALU_CYCLE_1)
	s_sub_i32 s5, s14, s5
	s_lshl_b32 s13, s5, 7
	s_delay_alu instid0(SALU_CYCLE_1) | instskip(NEXT) | instid1(VALU_DEP_1)
	v_add_nc_u32_e32 v79, s13, v8
	v_add_nc_u32_e32 v78, 64, v79
	s_cbranch_vccnz .LBB198_8
; %bb.7:
	v_mad_i64_i32 v[0:1], null, v79, s3, 0
	s_delay_alu instid0(VALU_DEP_2) | instskip(SKIP_1) | instid1(VALU_DEP_1)
	v_mad_i64_i32 v[2:3], null, v78, s3, 0
	v_add_co_u32 v5, s5, s18, v9
	v_add_co_ci_u32_e64 v6, null, s19, 0, s5
	s_delay_alu instid0(VALU_DEP_4) | instskip(NEXT) | instid1(VALU_DEP_4)
	v_lshlrev_b64 v[0:1], 3, v[0:1]
	v_lshlrev_b64 v[2:3], 3, v[2:3]
	s_delay_alu instid0(VALU_DEP_2) | instskip(NEXT) | instid1(VALU_DEP_3)
	v_add_co_u32 v0, vcc_lo, v5, v0
	v_add_co_ci_u32_e32 v1, vcc_lo, v6, v1, vcc_lo
	s_delay_alu instid0(VALU_DEP_3) | instskip(NEXT) | instid1(VALU_DEP_4)
	v_add_co_u32 v2, vcc_lo, v5, v2
	v_add_co_ci_u32_e32 v3, vcc_lo, v6, v3, vcc_lo
	s_clause 0x1
	flat_load_b64 v[0:1], v[0:1]
	flat_load_b64 v[2:3], v[2:3]
	s_waitcnt vmcnt(1) lgkmcnt(1)
	v_mul_f64 v[0:1], s[20:21], v[0:1]
	s_waitcnt vmcnt(0) lgkmcnt(0)
	v_mul_f64 v[2:3], s[20:21], v[2:3]
	s_branch .LBB198_9
.LBB198_8:
	v_mov_b32_e32 v0, 0
	v_dual_mov_b32 v1, 0 :: v_dual_mov_b32 v2, 0
	v_mov_b32_e32 v3, 0
.LBB198_9:
	s_load_b32 s16, s[0:1], 0x38
	v_and_b32_e32 v10, 63, v4
	s_lshl_b32 s14, s4, 7
	v_lshrrev_b32_e32 v84, 6, v4
	s_and_b32 vcc_lo, exec_lo, s2
	s_delay_alu instid0(VALU_DEP_2) | instskip(NEXT) | instid1(VALU_DEP_1)
	v_or_b32_e32 v68, s14, v10
	v_ashrrev_i32_e32 v69, 31, v68
	s_waitcnt lgkmcnt(0)
	s_ashr_i32 s17, s16, 31
	s_cbranch_vccnz .LBB198_13
; %bb.10:
	v_mad_i64_i32 v[4:5], null, s16, v84, 0
	v_lshlrev_b64 v[6:7], 3, v[68:69]
	s_delay_alu instid0(VALU_DEP_2) | instskip(NEXT) | instid1(VALU_DEP_1)
	v_lshlrev_b64 v[4:5], 3, v[4:5]
	v_add_co_u32 v4, vcc_lo, s22, v4
	s_delay_alu instid0(VALU_DEP_2) | instskip(NEXT) | instid1(VALU_DEP_2)
	v_add_co_ci_u32_e32 v5, vcc_lo, s23, v5, vcc_lo
	v_add_co_u32 v4, vcc_lo, v4, v6
	s_delay_alu instid0(VALU_DEP_2)
	v_add_co_ci_u32_e32 v5, vcc_lo, v5, v7, vcc_lo
	s_clause 0x1
	flat_load_b64 v[6:7], v[4:5]
	flat_load_b64 v[11:12], v[4:5] offset:512
	s_waitcnt vmcnt(1) lgkmcnt(1)
	v_mul_f64 v[4:5], s[20:21], v[6:7]
	s_waitcnt vmcnt(0) lgkmcnt(0)
	v_mul_f64 v[6:7], s[20:21], v[11:12]
	s_and_b32 vcc_lo, exec_lo, s2
	s_cbranch_vccnz .LBB198_14
.LBB198_11:
	v_mad_i64_i32 v[11:12], null, v79, s3, 0
	v_mad_i64_i32 v[13:14], null, v78, s3, 0
	v_add_co_u32 v15, s4, s18, v9
	s_delay_alu instid0(VALU_DEP_1) | instskip(NEXT) | instid1(VALU_DEP_4)
	v_add_co_ci_u32_e64 v16, null, s19, 0, s4
	v_lshlrev_b64 v[11:12], 3, v[11:12]
	s_delay_alu instid0(VALU_DEP_4) | instskip(NEXT) | instid1(VALU_DEP_2)
	v_lshlrev_b64 v[13:14], 3, v[13:14]
	v_add_co_u32 v11, vcc_lo, v15, v11
	s_delay_alu instid0(VALU_DEP_3) | instskip(NEXT) | instid1(VALU_DEP_3)
	v_add_co_ci_u32_e32 v12, vcc_lo, v16, v12, vcc_lo
	v_add_co_u32 v13, vcc_lo, v15, v13
	s_delay_alu instid0(VALU_DEP_4)
	v_add_co_ci_u32_e32 v14, vcc_lo, v16, v14, vcc_lo
	s_clause 0x1
	flat_load_b64 v[11:12], v[11:12] offset:32
	flat_load_b64 v[13:14], v[13:14] offset:32
	s_waitcnt vmcnt(1) lgkmcnt(1)
	v_mul_f64 v[70:71], s[20:21], v[11:12]
	s_waitcnt vmcnt(0) lgkmcnt(0)
	v_mul_f64 v[72:73], s[20:21], v[13:14]
	v_add_nc_u32_e32 v85, 4, v84
	s_and_b32 vcc_lo, exec_lo, s2
	s_mov_b64 s[4:5], 0
	s_cbranch_vccnz .LBB198_15
.LBB198_12:
	s_delay_alu instid0(VALU_DEP_1) | instskip(SKIP_1) | instid1(VALU_DEP_2)
	v_mad_i64_i32 v[11:12], null, s16, v85, 0
	v_lshlrev_b64 v[13:14], 3, v[68:69]
	v_lshlrev_b64 v[11:12], 3, v[11:12]
	s_delay_alu instid0(VALU_DEP_1) | instskip(NEXT) | instid1(VALU_DEP_2)
	v_add_co_u32 v11, vcc_lo, s22, v11
	v_add_co_ci_u32_e32 v12, vcc_lo, s23, v12, vcc_lo
	s_delay_alu instid0(VALU_DEP_2) | instskip(NEXT) | instid1(VALU_DEP_2)
	v_add_co_u32 v11, vcc_lo, v11, v13
	v_add_co_ci_u32_e32 v12, vcc_lo, v12, v14, vcc_lo
	s_clause 0x1
	flat_load_b64 v[13:14], v[11:12]
	flat_load_b64 v[11:12], v[11:12] offset:512
	s_waitcnt vmcnt(1) lgkmcnt(1)
	v_mul_f64 v[74:75], s[20:21], v[13:14]
	s_waitcnt vmcnt(0) lgkmcnt(0)
	v_mul_f64 v[76:77], s[20:21], v[11:12]
	s_branch .LBB198_16
.LBB198_13:
	v_mov_b32_e32 v4, 0
	v_dual_mov_b32 v5, 0 :: v_dual_mov_b32 v6, 0
	v_mov_b32_e32 v7, 0
	s_and_b32 vcc_lo, exec_lo, s2
	s_cbranch_vccz .LBB198_11
.LBB198_14:
	v_mov_b32_e32 v70, 0
	v_dual_mov_b32 v71, 0 :: v_dual_mov_b32 v72, 0
	v_mov_b32_e32 v73, 0
	v_add_nc_u32_e32 v85, 4, v84
	s_and_b32 vcc_lo, exec_lo, s2
	s_mov_b64 s[4:5], 0
	s_cbranch_vccz .LBB198_12
.LBB198_15:
	v_mov_b32_e32 v74, 0
	v_dual_mov_b32 v75, 0 :: v_dual_mov_b32 v76, 0
	v_mov_b32_e32 v77, 0
.LBB198_16:
	v_cmp_neq_f64_e64 s15, s[8:9], 0
	v_dual_mov_b32 v91, 0 :: v_dual_lshlrev_b32 v10, 5, v10
	v_dual_mov_b32 v93, 16 :: v_dual_lshlrev_b32 v86, 5, v81
	v_lshl_or_b32 v87, v8, 5, v9
	s_delay_alu instid0(VALU_DEP_3) | instskip(NEXT) | instid1(VALU_DEP_3)
	v_lshl_add_u32 v80, v84, 3, v10
	v_dual_mov_b32 v95, 32 :: v_dual_add_nc_u32 v48, 0x800, v86
	v_dual_mov_b32 v97, 48 :: v_dual_lshlrev_b32 v88, 5, v82
	ds_store_2addr_stride64_b64 v87, v[0:1], v[2:3] offset1:4
	ds_store_2addr_stride64_b64 v80, v[4:5], v[6:7] offset0:16 offset1:20
	s_waitcnt lgkmcnt(0)
	s_waitcnt_vscnt null, 0x0
	s_barrier
	buffer_gl0_inv
	ds_load_2addr_b64 v[0:3], v86 offset1:16
	ds_load_2addr_b64 v[4:7], v86 offset0:32 offset1:48
	ds_load_2addr_b64 v[8:11], v86 offset0:64 offset1:80
	;; [unrolled: 1-line block ×4, first 2 shown]
	ds_load_2addr_b64 v[20:23], v48 offset1:16
	ds_load_2addr_b64 v[24:27], v48 offset0:32 offset1:48
	ds_load_2addr_b64 v[28:31], v48 offset0:64 offset1:80
	;; [unrolled: 1-line block ×10, first 2 shown]
	ds_load_2addr_stride64_b64 v[64:67], v88 offset0:16 offset1:20
	v_or_b32_e32 v89, 0x2000, v80
	v_dual_mov_b32 v99, 64 :: v_dual_add_nc_u32 v90, 0x2000, v88
	v_dual_mov_b32 v92, 8 :: v_dual_mov_b32 v101, 0x50
	v_dual_mov_b32 v94, 24 :: v_dual_mov_b32 v103, 0x60
	;; [unrolled: 1-line block ×4, first 2 shown]
	v_mov_b32_e32 v100, 0x48
	v_mov_b32_e32 v102, 0x58
	;; [unrolled: 1-line block ×19, first 2 shown]
	s_mov_b32 s24, -1
.LBB198_17:                             ; =>This Inner Loop Header: Depth=1
	scratch_load_b64 v[123:124], v91, off
	scratch_load_b64 v[125:126], v92, off
	;; [unrolled: 1-line block ×32, first 2 shown]
	s_cmp_eq_u32 s4, 1
	s_waitcnt lgkmcnt(16)
	v_max_f64 v[189:190], v[0:1], v[0:1]
	s_cselect_b32 vcc_lo, -1, 0
	v_max_f64 v[191:192], v[2:3], v[2:3]
	s_waitcnt lgkmcnt(0)
	v_dual_cndmask_b32 v188, v65, v67 :: v_dual_cndmask_b32 v187, v64, v66
	v_max_f64 v[193:194], v[4:5], v[4:5]
	v_max_f64 v[195:196], v[6:7], v[6:7]
	;; [unrolled: 1-line block ×31, first 2 shown]
	s_mov_b64 s[4:5], 1
	s_and_b32 vcc_lo, exec_lo, s24
	s_mov_b32 s24, 0
	v_min_f64 v[189:190], v[189:190], v[187:188]
	v_min_f64 v[191:192], v[191:192], v[187:188]
	;; [unrolled: 1-line block ×32, first 2 shown]
	s_waitcnt vmcnt(31)
	v_add_f64 v[123:124], v[123:124], v[189:190]
	s_waitcnt vmcnt(30)
	v_add_f64 v[125:126], v[191:192], v[125:126]
	;; [unrolled: 2-line block ×32, first 2 shown]
	scratch_store_b64 v91, v[123:124], off
	scratch_store_b64 v92, v[125:126], off
	;; [unrolled: 1-line block ×32, first 2 shown]
	v_mov_b32_e32 v91, 0x100
	v_mov_b32_e32 v92, 0x108
	;; [unrolled: 1-line block ×32, first 2 shown]
	s_cbranch_vccnz .LBB198_17
; %bb.18:
	v_dual_mov_b32 v91, 0 :: v_dual_add_nc_u32 v60, 0x800, v86
	ds_load_2addr_b64 v[0:3], v86 offset0:1 offset1:17
	ds_load_2addr_b64 v[4:7], v86 offset0:33 offset1:49
	;; [unrolled: 1-line block ×12, first 2 shown]
	v_dual_mov_b32 v93, 16 :: v_dual_add_nc_u32 v64, 8, v90
	ds_load_2addr_b64 v[48:51], v60 offset0:129 offset1:145
	ds_load_2addr_b64 v[52:55], v60 offset0:161 offset1:177
	ds_load_2addr_b64 v[56:59], v60 offset0:193 offset1:209
	ds_load_2addr_b64 v[60:63], v60 offset0:225 offset1:241
	ds_load_2addr_stride64_b64 v[64:67], v64 offset1:4
	v_dual_mov_b32 v92, 8 :: v_dual_mov_b32 v95, 32
	v_dual_mov_b32 v94, 24 :: v_dual_mov_b32 v97, 48
	;; [unrolled: 1-line block ×4, first 2 shown]
	v_mov_b32_e32 v100, 0x48
	v_mov_b32_e32 v102, 0x58
	;; [unrolled: 1-line block ×22, first 2 shown]
	s_mov_b64 s[4:5], 0
	s_mov_b32 s24, -1
.LBB198_19:                             ; =>This Inner Loop Header: Depth=1
	scratch_load_b64 v[123:124], v91, off
	scratch_load_b64 v[125:126], v92, off
	scratch_load_b64 v[127:128], v93, off
	scratch_load_b64 v[129:130], v94, off
	scratch_load_b64 v[131:132], v95, off
	scratch_load_b64 v[133:134], v96, off
	scratch_load_b64 v[135:136], v97, off
	scratch_load_b64 v[137:138], v98, off
	scratch_load_b64 v[139:140], v99, off
	scratch_load_b64 v[141:142], v100, off
	scratch_load_b64 v[143:144], v101, off
	scratch_load_b64 v[145:146], v102, off
	scratch_load_b64 v[147:148], v103, off
	scratch_load_b64 v[149:150], v104, off
	scratch_load_b64 v[151:152], v105, off
	scratch_load_b64 v[153:154], v106, off
	scratch_load_b64 v[155:156], v107, off
	scratch_load_b64 v[157:158], v108, off
	scratch_load_b64 v[159:160], v109, off
	scratch_load_b64 v[161:162], v110, off
	scratch_load_b64 v[163:164], v111, off
	scratch_load_b64 v[165:166], v112, off
	scratch_load_b64 v[167:168], v113, off
	scratch_load_b64 v[169:170], v114, off
	scratch_load_b64 v[171:172], v115, off
	scratch_load_b64 v[173:174], v116, off
	scratch_load_b64 v[175:176], v117, off
	scratch_load_b64 v[177:178], v118, off
	scratch_load_b64 v[179:180], v119, off
	scratch_load_b64 v[181:182], v120, off
	scratch_load_b64 v[183:184], v121, off
	scratch_load_b64 v[185:186], v122, off
	s_cmp_eq_u32 s4, 1
	s_waitcnt lgkmcnt(16)
	v_max_f64 v[189:190], v[0:1], v[0:1]
	s_cselect_b32 vcc_lo, -1, 0
	v_max_f64 v[191:192], v[2:3], v[2:3]
	s_waitcnt lgkmcnt(0)
	v_dual_cndmask_b32 v188, v65, v67 :: v_dual_cndmask_b32 v187, v64, v66
	v_max_f64 v[193:194], v[4:5], v[4:5]
	v_max_f64 v[195:196], v[6:7], v[6:7]
	;; [unrolled: 1-line block ×31, first 2 shown]
	s_mov_b64 s[4:5], 1
	s_and_b32 vcc_lo, exec_lo, s24
	s_mov_b32 s24, 0
	v_min_f64 v[189:190], v[189:190], v[187:188]
	v_min_f64 v[191:192], v[191:192], v[187:188]
	;; [unrolled: 1-line block ×32, first 2 shown]
	s_waitcnt vmcnt(31)
	v_add_f64 v[123:124], v[123:124], v[189:190]
	s_waitcnt vmcnt(30)
	v_add_f64 v[125:126], v[191:192], v[125:126]
	;; [unrolled: 2-line block ×32, first 2 shown]
	scratch_store_b64 v91, v[123:124], off
	scratch_store_b64 v92, v[125:126], off
	;; [unrolled: 1-line block ×32, first 2 shown]
	v_mov_b32_e32 v91, 0x100
	v_mov_b32_e32 v92, 0x108
	;; [unrolled: 1-line block ×32, first 2 shown]
	s_cbranch_vccnz .LBB198_19
; %bb.20:
	v_dual_mov_b32 v91, 0 :: v_dual_add_nc_u32 v60, 0x800, v86
	ds_load_2addr_b64 v[0:3], v86 offset0:2 offset1:18
	ds_load_2addr_b64 v[4:7], v86 offset0:34 offset1:50
	;; [unrolled: 1-line block ×12, first 2 shown]
	v_dual_mov_b32 v93, 16 :: v_dual_add_nc_u32 v64, 16, v90
	ds_load_2addr_b64 v[48:51], v60 offset0:130 offset1:146
	ds_load_2addr_b64 v[52:55], v60 offset0:162 offset1:178
	;; [unrolled: 1-line block ×4, first 2 shown]
	ds_load_2addr_stride64_b64 v[64:67], v64 offset1:4
	v_dual_mov_b32 v92, 8 :: v_dual_mov_b32 v95, 32
	v_dual_mov_b32 v94, 24 :: v_dual_mov_b32 v97, 48
	;; [unrolled: 1-line block ×4, first 2 shown]
	v_mov_b32_e32 v100, 0x48
	v_mov_b32_e32 v102, 0x58
	v_mov_b32_e32 v103, 0x60
	v_mov_b32_e32 v104, 0x68
	v_mov_b32_e32 v105, 0x70
	v_mov_b32_e32 v106, 0x78
	v_mov_b32_e32 v107, 0x80
	v_mov_b32_e32 v108, 0x88
	v_mov_b32_e32 v109, 0x90
	v_mov_b32_e32 v110, 0x98
	v_mov_b32_e32 v111, 0xa0
	v_mov_b32_e32 v112, 0xa8
	v_mov_b32_e32 v113, 0xb0
	v_mov_b32_e32 v114, 0xb8
	v_mov_b32_e32 v115, 0xc0
	v_mov_b32_e32 v116, 0xc8
	v_mov_b32_e32 v117, 0xd0
	v_mov_b32_e32 v118, 0xd8
	v_mov_b32_e32 v119, 0xe0
	v_mov_b32_e32 v120, 0xe8
	v_mov_b32_e32 v121, 0xf0
	v_mov_b32_e32 v122, 0xf8
	s_mov_b64 s[4:5], 0
	s_mov_b32 s24, -1
.LBB198_21:                             ; =>This Inner Loop Header: Depth=1
	scratch_load_b64 v[123:124], v91, off
	scratch_load_b64 v[125:126], v92, off
	;; [unrolled: 1-line block ×32, first 2 shown]
	s_cmp_eq_u32 s4, 1
	s_waitcnt lgkmcnt(16)
	v_max_f64 v[189:190], v[0:1], v[0:1]
	s_cselect_b32 vcc_lo, -1, 0
	v_max_f64 v[191:192], v[2:3], v[2:3]
	s_waitcnt lgkmcnt(0)
	v_dual_cndmask_b32 v188, v65, v67 :: v_dual_cndmask_b32 v187, v64, v66
	v_max_f64 v[193:194], v[4:5], v[4:5]
	v_max_f64 v[195:196], v[6:7], v[6:7]
	;; [unrolled: 1-line block ×31, first 2 shown]
	s_mov_b64 s[4:5], 1
	s_and_b32 vcc_lo, exec_lo, s24
	s_mov_b32 s24, 0
	v_min_f64 v[189:190], v[189:190], v[187:188]
	v_min_f64 v[191:192], v[191:192], v[187:188]
	v_min_f64 v[193:194], v[193:194], v[187:188]
	v_min_f64 v[195:196], v[195:196], v[187:188]
	v_min_f64 v[197:198], v[197:198], v[187:188]
	v_min_f64 v[199:200], v[199:200], v[187:188]
	v_min_f64 v[201:202], v[201:202], v[187:188]
	v_min_f64 v[203:204], v[203:204], v[187:188]
	v_min_f64 v[205:206], v[205:206], v[187:188]
	v_min_f64 v[207:208], v[207:208], v[187:188]
	v_min_f64 v[209:210], v[209:210], v[187:188]
	v_min_f64 v[211:212], v[211:212], v[187:188]
	v_min_f64 v[213:214], v[213:214], v[187:188]
	v_min_f64 v[215:216], v[215:216], v[187:188]
	v_min_f64 v[217:218], v[217:218], v[187:188]
	v_min_f64 v[219:220], v[219:220], v[187:188]
	v_min_f64 v[221:222], v[221:222], v[187:188]
	v_min_f64 v[223:224], v[223:224], v[187:188]
	v_min_f64 v[225:226], v[225:226], v[187:188]
	v_min_f64 v[227:228], v[227:228], v[187:188]
	v_min_f64 v[229:230], v[229:230], v[187:188]
	v_min_f64 v[231:232], v[231:232], v[187:188]
	v_min_f64 v[233:234], v[233:234], v[187:188]
	v_min_f64 v[235:236], v[235:236], v[187:188]
	v_min_f64 v[237:238], v[237:238], v[187:188]
	v_min_f64 v[239:240], v[239:240], v[187:188]
	v_min_f64 v[241:242], v[241:242], v[187:188]
	v_min_f64 v[243:244], v[243:244], v[187:188]
	v_min_f64 v[245:246], v[245:246], v[187:188]
	v_min_f64 v[247:248], v[247:248], v[187:188]
	v_min_f64 v[249:250], v[249:250], v[187:188]
	v_min_f64 v[187:188], v[251:252], v[187:188]
	s_waitcnt vmcnt(31)
	v_add_f64 v[123:124], v[123:124], v[189:190]
	s_waitcnt vmcnt(30)
	v_add_f64 v[125:126], v[191:192], v[125:126]
	;; [unrolled: 2-line block ×32, first 2 shown]
	scratch_store_b64 v91, v[123:124], off
	scratch_store_b64 v92, v[125:126], off
	;; [unrolled: 1-line block ×32, first 2 shown]
	v_mov_b32_e32 v91, 0x100
	v_mov_b32_e32 v92, 0x108
	;; [unrolled: 1-line block ×32, first 2 shown]
	s_cbranch_vccnz .LBB198_21
; %bb.22:
	v_dual_mov_b32 v91, 0 :: v_dual_add_nc_u32 v60, 0x800, v86
	ds_load_2addr_b64 v[0:3], v86 offset0:3 offset1:19
	ds_load_2addr_b64 v[4:7], v86 offset0:35 offset1:51
	;; [unrolled: 1-line block ×12, first 2 shown]
	v_dual_mov_b32 v93, 16 :: v_dual_add_nc_u32 v64, 24, v90
	ds_load_2addr_b64 v[48:51], v60 offset0:131 offset1:147
	ds_load_2addr_b64 v[52:55], v60 offset0:163 offset1:179
	;; [unrolled: 1-line block ×4, first 2 shown]
	ds_load_2addr_stride64_b64 v[64:67], v64 offset1:4
	v_dual_mov_b32 v92, 8 :: v_dual_mov_b32 v95, 32
	v_dual_mov_b32 v94, 24 :: v_dual_mov_b32 v97, 48
	;; [unrolled: 1-line block ×4, first 2 shown]
	v_mov_b32_e32 v100, 0x48
	v_mov_b32_e32 v102, 0x58
	v_mov_b32_e32 v103, 0x60
	v_mov_b32_e32 v104, 0x68
	v_mov_b32_e32 v105, 0x70
	v_mov_b32_e32 v106, 0x78
	v_mov_b32_e32 v107, 0x80
	v_mov_b32_e32 v108, 0x88
	v_mov_b32_e32 v109, 0x90
	v_mov_b32_e32 v110, 0x98
	v_mov_b32_e32 v111, 0xa0
	v_mov_b32_e32 v112, 0xa8
	v_mov_b32_e32 v113, 0xb0
	v_mov_b32_e32 v114, 0xb8
	v_mov_b32_e32 v115, 0xc0
	v_mov_b32_e32 v116, 0xc8
	v_mov_b32_e32 v117, 0xd0
	v_mov_b32_e32 v118, 0xd8
	v_mov_b32_e32 v119, 0xe0
	v_mov_b32_e32 v120, 0xe8
	v_mov_b32_e32 v121, 0xf0
	v_mov_b32_e32 v122, 0xf8
	s_mov_b64 s[4:5], 0
	s_mov_b32 s24, -1
.LBB198_23:                             ; =>This Inner Loop Header: Depth=1
	scratch_load_b64 v[123:124], v91, off
	scratch_load_b64 v[125:126], v92, off
	;; [unrolled: 1-line block ×32, first 2 shown]
	s_cmp_eq_u32 s4, 1
	s_waitcnt lgkmcnt(16)
	v_max_f64 v[189:190], v[0:1], v[0:1]
	s_cselect_b32 vcc_lo, -1, 0
	v_max_f64 v[191:192], v[2:3], v[2:3]
	s_waitcnt lgkmcnt(0)
	v_dual_cndmask_b32 v188, v65, v67 :: v_dual_cndmask_b32 v187, v64, v66
	v_max_f64 v[193:194], v[4:5], v[4:5]
	v_max_f64 v[195:196], v[6:7], v[6:7]
	;; [unrolled: 1-line block ×31, first 2 shown]
	s_mov_b64 s[4:5], 1
	s_and_b32 vcc_lo, exec_lo, s24
	s_mov_b32 s24, 0
	v_min_f64 v[189:190], v[189:190], v[187:188]
	v_min_f64 v[191:192], v[191:192], v[187:188]
	;; [unrolled: 1-line block ×32, first 2 shown]
	s_waitcnt vmcnt(31)
	v_add_f64 v[123:124], v[123:124], v[189:190]
	s_waitcnt vmcnt(30)
	v_add_f64 v[125:126], v[191:192], v[125:126]
	;; [unrolled: 2-line block ×32, first 2 shown]
	scratch_store_b64 v91, v[123:124], off
	scratch_store_b64 v92, v[125:126], off
	;; [unrolled: 1-line block ×32, first 2 shown]
	v_mov_b32_e32 v91, 0x100
	v_mov_b32_e32 v92, 0x108
	;; [unrolled: 1-line block ×32, first 2 shown]
	s_cbranch_vccnz .LBB198_23
; %bb.24:
	s_load_b32 s4, s[0:1], 0x8
	s_mov_b32 s24, 8
	ds_store_2addr_stride64_b64 v87, v[70:71], v[72:73] offset0:8 offset1:12
	ds_store_2addr_stride64_b64 v80, v[74:75], v[76:77] offset0:24 offset1:28
	s_waitcnt lgkmcnt(0)
	s_waitcnt_vscnt null, 0x0
	s_barrier
	buffer_gl0_inv
	s_cmp_gt_i32 s4, 8
	s_cbranch_scc0 .LBB198_53
; %bb.25:
	v_mad_i64_i32 v[0:1], null, v79, s3, 0
	v_mad_i64_i32 v[4:5], null, v78, s3, 0
	v_lshlrev_b64 v[2:3], 3, v[68:69]
	v_lshl_add_u32 v93, v81, 5, 0x1000
	v_dual_mov_b32 v68, 0 :: v_dual_add_nc_u32 v91, 0x1000, v87
	v_lshlrev_b64 v[69:70], 3, v[0:1]
	v_or_b32_e32 v92, 0x3000, v80
	v_add_co_u32 v95, vcc_lo, s22, v2
	v_lshlrev_b64 v[71:72], 3, v[4:5]
	v_lshl_add_u32 v94, v82, 5, 0x3000
	v_add_co_ci_u32_e32 v96, vcc_lo, s23, v3, vcc_lo
	v_add_nc_u32_e32 v97, 0x800, v93
	s_add_i32 s22, s4, -8
	s_mov_b32 s23, 0
	s_and_b32 s3, exec_lo, s26
.LBB198_26:                             ; =>This Loop Header: Depth=1
                                        ;     Child Loop BB198_32 Depth 2
                                        ;     Child Loop BB198_34 Depth 2
	;; [unrolled: 1-line block ×8, first 2 shown]
	s_and_b32 vcc_lo, exec_lo, s2
	s_cbranch_vccnz .LBB198_29
; %bb.27:                               ;   in Loop: Header=BB198_26 Depth=1
	v_or_b32_e32 v67, s24, v83
	s_delay_alu instid0(VALU_DEP_1) | instskip(NEXT) | instid1(VALU_DEP_1)
	v_lshlrev_b64 v[0:1], 3, v[67:68]
	v_add_co_u32 v2, vcc_lo, s18, v0
	s_delay_alu instid0(VALU_DEP_2) | instskip(NEXT) | instid1(VALU_DEP_2)
	v_add_co_ci_u32_e32 v3, vcc_lo, s19, v1, vcc_lo
	v_add_co_u32 v0, vcc_lo, v2, v69
	s_delay_alu instid0(VALU_DEP_2)
	v_add_co_ci_u32_e32 v1, vcc_lo, v3, v70, vcc_lo
	v_add_co_u32 v2, vcc_lo, v2, v71
	v_add_co_ci_u32_e32 v3, vcc_lo, v3, v72, vcc_lo
	s_clause 0x1
	flat_load_b64 v[0:1], v[0:1]
	flat_load_b64 v[2:3], v[2:3]
	s_waitcnt vmcnt(1) lgkmcnt(1)
	v_mul_f64 v[73:74], s[20:21], v[0:1]
	s_waitcnt vmcnt(0) lgkmcnt(0)
	v_mul_f64 v[75:76], s[20:21], v[2:3]
	s_and_b32 vcc_lo, exec_lo, s2
	s_mov_b64 s[4:5], 0
	s_cbranch_vccnz .LBB198_30
.LBB198_28:                             ;   in Loop: Header=BB198_26 Depth=1
	v_add_nc_u32_e32 v4, s24, v84
	s_delay_alu instid0(VALU_DEP_1) | instskip(NEXT) | instid1(VALU_DEP_1)
	v_mad_u64_u32 v[0:1], null, v4, s16, 0
	v_mad_u64_u32 v[2:3], null, v4, s17, v[1:2]
	s_delay_alu instid0(VALU_DEP_1) | instskip(NEXT) | instid1(VALU_DEP_1)
	v_mov_b32_e32 v1, v2
	v_lshlrev_b64 v[0:1], 3, v[0:1]
	s_delay_alu instid0(VALU_DEP_1) | instskip(NEXT) | instid1(VALU_DEP_2)
	v_add_co_u32 v0, vcc_lo, v95, v0
	v_add_co_ci_u32_e32 v1, vcc_lo, v96, v1, vcc_lo
	s_clause 0x1
	flat_load_b64 v[2:3], v[0:1]
	flat_load_b64 v[0:1], v[0:1] offset:512
	s_waitcnt vmcnt(1) lgkmcnt(1)
	v_mul_f64 v[77:78], s[20:21], v[2:3]
	s_waitcnt vmcnt(0) lgkmcnt(0)
	v_mul_f64 v[79:80], s[20:21], v[0:1]
	s_branch .LBB198_31
.LBB198_29:                             ;   in Loop: Header=BB198_26 Depth=1
	v_mov_b32_e32 v73, 0
	v_dual_mov_b32 v74, 0 :: v_dual_mov_b32 v75, 0
	v_mov_b32_e32 v76, 0
	s_and_b32 vcc_lo, exec_lo, s2
	s_mov_b64 s[4:5], 0
	s_cbranch_vccz .LBB198_28
.LBB198_30:                             ;   in Loop: Header=BB198_26 Depth=1
	v_mov_b32_e32 v77, 0
	v_dual_mov_b32 v78, 0 :: v_dual_mov_b32 v79, 0
	v_mov_b32_e32 v80, 0
.LBB198_31:                             ;   in Loop: Header=BB198_26 Depth=1
	ds_load_2addr_b64 v[0:3], v93 offset1:16
	ds_load_2addr_b64 v[4:7], v93 offset0:32 offset1:48
	ds_load_2addr_b64 v[8:11], v93 offset0:64 offset1:80
	;; [unrolled: 1-line block ×7, first 2 shown]
	ds_load_2addr_b64 v[32:35], v97 offset1:16
	ds_load_2addr_b64 v[36:39], v97 offset0:32 offset1:48
	ds_load_2addr_b64 v[40:43], v97 offset0:64 offset1:80
	;; [unrolled: 1-line block ×7, first 2 shown]
	ds_load_2addr_stride64_b64 v[64:67], v94 offset1:4
	v_dual_mov_b32 v129, 0 :: v_dual_mov_b32 v128, 8
	v_dual_mov_b32 v127, 16 :: v_dual_mov_b32 v126, 24
	v_dual_mov_b32 v125, 32 :: v_dual_mov_b32 v124, 40
	v_dual_mov_b32 v123, 48 :: v_dual_mov_b32 v122, 56
	v_dual_mov_b32 v121, 64 :: v_dual_mov_b32 v120, 0x48
	v_mov_b32_e32 v119, 0x50
	v_mov_b32_e32 v118, 0x58
	;; [unrolled: 1-line block ×22, first 2 shown]
	s_mov_b32 s25, -1
.LBB198_32:                             ;   Parent Loop BB198_26 Depth=1
                                        ; =>  This Inner Loop Header: Depth=2
	scratch_load_b64 v[134:135], v129, off
	s_cmp_eq_u32 s4, 1
	s_waitcnt lgkmcnt(16)
	v_max_f64 v[132:133], v[0:1], v[0:1]
	s_cselect_b32 vcc_lo, -1, 0
	s_mov_b64 s[4:5], 1
	s_waitcnt lgkmcnt(0)
	v_dual_cndmask_b32 v131, v65, v67 :: v_dual_cndmask_b32 v130, v64, v66
	s_and_b32 vcc_lo, exec_lo, s25
	s_mov_b32 s25, 0
	s_delay_alu instid0(VALU_DEP_1) | instskip(NEXT) | instid1(VALU_DEP_1)
	v_max_f64 v[130:131], v[130:131], v[130:131]
	v_min_f64 v[132:133], v[132:133], v[130:131]
	s_waitcnt vmcnt(0)
	s_delay_alu instid0(VALU_DEP_1) | instskip(SKIP_3) | instid1(VALU_DEP_1)
	v_add_f64 v[132:133], v[134:135], v[132:133]
	scratch_load_b64 v[134:135], v128, off
	scratch_store_b64 v129, v[132:133], off
	v_max_f64 v[132:133], v[2:3], v[2:3]
	v_min_f64 v[132:133], v[132:133], v[130:131]
	s_waitcnt vmcnt(0)
	s_delay_alu instid0(VALU_DEP_1) | instskip(SKIP_3) | instid1(VALU_DEP_1)
	v_add_f64 v[132:133], v[132:133], v[134:135]
	scratch_store_b64 v128, v[132:133], off
	scratch_load_b64 v[132:133], v127, off
	v_max_f64 v[128:129], v[4:5], v[4:5]
	v_min_f64 v[128:129], v[128:129], v[130:131]
	s_waitcnt vmcnt(0)
	s_delay_alu instid0(VALU_DEP_1) | instskip(SKIP_3) | instid1(VALU_DEP_1)
	v_add_f64 v[128:129], v[128:129], v[132:133]
	scratch_load_b64 v[132:133], v126, off
	scratch_store_b64 v127, v[128:129], off
	v_max_f64 v[127:128], v[6:7], v[6:7]
	v_min_f64 v[127:128], v[127:128], v[130:131]
	s_waitcnt vmcnt(0)
	s_delay_alu instid0(VALU_DEP_1) | instskip(SKIP_3) | instid1(VALU_DEP_1)
	v_add_f64 v[127:128], v[127:128], v[132:133]
	scratch_store_b64 v126, v[127:128], off
	scratch_load_b64 v[128:129], v125, off
	v_max_f64 v[126:127], v[8:9], v[8:9]
	v_min_f64 v[126:127], v[126:127], v[130:131]
	s_waitcnt vmcnt(0)
	s_delay_alu instid0(VALU_DEP_1) | instskip(SKIP_4) | instid1(VALU_DEP_1)
	v_add_f64 v[126:127], v[126:127], v[128:129]
	v_mov_b32_e32 v129, 0x100
	scratch_store_b64 v125, v[126:127], off
	scratch_load_b64 v[127:128], v124, off
	v_max_f64 v[125:126], v[10:11], v[10:11]
	v_min_f64 v[125:126], v[125:126], v[130:131]
	s_waitcnt vmcnt(0)
	s_delay_alu instid0(VALU_DEP_1) | instskip(SKIP_4) | instid1(VALU_DEP_1)
	v_add_f64 v[125:126], v[125:126], v[127:128]
	v_mov_b32_e32 v128, 0x108
	;; [unrolled: 8-line block ×27, first 2 shown]
	scratch_store_b64 v99, v[100:101], off
	scratch_load_b64 v[101:102], v98, off
	v_max_f64 v[99:100], v[62:63], v[62:63]
	v_min_f64 v[99:100], v[99:100], v[130:131]
	s_waitcnt vmcnt(0)
	s_delay_alu instid0(VALU_DEP_1)
	v_add_f64 v[99:100], v[99:100], v[101:102]
	v_mov_b32_e32 v102, 0x1d8
	v_mov_b32_e32 v101, 0x1e0
	scratch_store_b64 v98, v[99:100], off
	v_mov_b32_e32 v100, 0x1e8
	v_mov_b32_e32 v99, 0x1f0
	;; [unrolled: 1-line block ×3, first 2 shown]
	s_cbranch_vccnz .LBB198_32
; %bb.33:                               ;   in Loop: Header=BB198_26 Depth=1
	ds_load_2addr_b64 v[0:3], v93 offset0:1 offset1:17
	ds_load_2addr_b64 v[4:7], v93 offset0:33 offset1:49
	;; [unrolled: 1-line block ×12, first 2 shown]
	v_dual_mov_b32 v129, 0 :: v_dual_add_nc_u32 v64, 8, v94
	ds_load_2addr_b64 v[48:51], v97 offset0:129 offset1:145
	ds_load_2addr_b64 v[52:55], v97 offset0:161 offset1:177
	ds_load_2addr_b64 v[56:59], v97 offset0:193 offset1:209
	ds_load_2addr_b64 v[60:63], v97 offset0:225 offset1:241
	ds_load_2addr_stride64_b64 v[64:67], v64 offset1:4
	v_dual_mov_b32 v128, 8 :: v_dual_mov_b32 v127, 16
	v_dual_mov_b32 v126, 24 :: v_dual_mov_b32 v125, 32
	;; [unrolled: 1-line block ×4, first 2 shown]
	v_mov_b32_e32 v120, 0x48
	v_mov_b32_e32 v119, 0x50
	;; [unrolled: 1-line block ×23, first 2 shown]
	s_mov_b64 s[4:5], 0
	s_mov_b32 s25, -1
.LBB198_34:                             ;   Parent Loop BB198_26 Depth=1
                                        ; =>  This Inner Loop Header: Depth=2
	scratch_load_b64 v[134:135], v129, off
	s_cmp_eq_u32 s4, 1
	s_waitcnt lgkmcnt(16)
	v_max_f64 v[132:133], v[0:1], v[0:1]
	s_cselect_b32 vcc_lo, -1, 0
	s_mov_b64 s[4:5], 1
	s_waitcnt lgkmcnt(0)
	v_dual_cndmask_b32 v131, v65, v67 :: v_dual_cndmask_b32 v130, v64, v66
	s_and_b32 vcc_lo, exec_lo, s25
	s_mov_b32 s25, 0
	s_delay_alu instid0(VALU_DEP_1) | instskip(NEXT) | instid1(VALU_DEP_1)
	v_max_f64 v[130:131], v[130:131], v[130:131]
	v_min_f64 v[132:133], v[132:133], v[130:131]
	s_waitcnt vmcnt(0)
	s_delay_alu instid0(VALU_DEP_1) | instskip(SKIP_3) | instid1(VALU_DEP_1)
	v_add_f64 v[132:133], v[134:135], v[132:133]
	scratch_load_b64 v[134:135], v128, off
	scratch_store_b64 v129, v[132:133], off
	v_max_f64 v[132:133], v[2:3], v[2:3]
	v_min_f64 v[132:133], v[132:133], v[130:131]
	s_waitcnt vmcnt(0)
	s_delay_alu instid0(VALU_DEP_1) | instskip(SKIP_3) | instid1(VALU_DEP_1)
	v_add_f64 v[132:133], v[132:133], v[134:135]
	scratch_store_b64 v128, v[132:133], off
	scratch_load_b64 v[132:133], v127, off
	v_max_f64 v[128:129], v[4:5], v[4:5]
	v_min_f64 v[128:129], v[128:129], v[130:131]
	s_waitcnt vmcnt(0)
	s_delay_alu instid0(VALU_DEP_1) | instskip(SKIP_3) | instid1(VALU_DEP_1)
	v_add_f64 v[128:129], v[128:129], v[132:133]
	scratch_load_b64 v[132:133], v126, off
	scratch_store_b64 v127, v[128:129], off
	v_max_f64 v[127:128], v[6:7], v[6:7]
	v_min_f64 v[127:128], v[127:128], v[130:131]
	s_waitcnt vmcnt(0)
	s_delay_alu instid0(VALU_DEP_1) | instskip(SKIP_3) | instid1(VALU_DEP_1)
	v_add_f64 v[127:128], v[127:128], v[132:133]
	scratch_store_b64 v126, v[127:128], off
	scratch_load_b64 v[128:129], v125, off
	v_max_f64 v[126:127], v[8:9], v[8:9]
	v_min_f64 v[126:127], v[126:127], v[130:131]
	s_waitcnt vmcnt(0)
	s_delay_alu instid0(VALU_DEP_1) | instskip(SKIP_4) | instid1(VALU_DEP_1)
	v_add_f64 v[126:127], v[126:127], v[128:129]
	v_mov_b32_e32 v129, 0x100
	scratch_store_b64 v125, v[126:127], off
	scratch_load_b64 v[127:128], v124, off
	v_max_f64 v[125:126], v[10:11], v[10:11]
	v_min_f64 v[125:126], v[125:126], v[130:131]
	s_waitcnt vmcnt(0)
	s_delay_alu instid0(VALU_DEP_1) | instskip(SKIP_4) | instid1(VALU_DEP_1)
	v_add_f64 v[125:126], v[125:126], v[127:128]
	v_mov_b32_e32 v128, 0x108
	;; [unrolled: 8-line block ×27, first 2 shown]
	scratch_store_b64 v99, v[100:101], off
	scratch_load_b64 v[101:102], v98, off
	v_max_f64 v[99:100], v[62:63], v[62:63]
	v_min_f64 v[99:100], v[99:100], v[130:131]
	s_waitcnt vmcnt(0)
	s_delay_alu instid0(VALU_DEP_1)
	v_add_f64 v[99:100], v[99:100], v[101:102]
	v_mov_b32_e32 v102, 0x1d8
	v_mov_b32_e32 v101, 0x1e0
	scratch_store_b64 v98, v[99:100], off
	v_mov_b32_e32 v100, 0x1e8
	v_mov_b32_e32 v99, 0x1f0
	;; [unrolled: 1-line block ×3, first 2 shown]
	s_cbranch_vccnz .LBB198_34
; %bb.35:                               ;   in Loop: Header=BB198_26 Depth=1
	ds_load_2addr_b64 v[0:3], v93 offset0:2 offset1:18
	ds_load_2addr_b64 v[4:7], v93 offset0:34 offset1:50
	;; [unrolled: 1-line block ×12, first 2 shown]
	v_dual_mov_b32 v129, 0 :: v_dual_add_nc_u32 v64, 16, v94
	ds_load_2addr_b64 v[48:51], v97 offset0:130 offset1:146
	ds_load_2addr_b64 v[52:55], v97 offset0:162 offset1:178
	;; [unrolled: 1-line block ×4, first 2 shown]
	ds_load_2addr_stride64_b64 v[64:67], v64 offset1:4
	v_dual_mov_b32 v128, 8 :: v_dual_mov_b32 v127, 16
	v_dual_mov_b32 v126, 24 :: v_dual_mov_b32 v125, 32
	v_dual_mov_b32 v124, 40 :: v_dual_mov_b32 v123, 48
	v_dual_mov_b32 v122, 56 :: v_dual_mov_b32 v121, 64
	v_mov_b32_e32 v120, 0x48
	v_mov_b32_e32 v119, 0x50
	;; [unrolled: 1-line block ×23, first 2 shown]
	s_mov_b64 s[4:5], 0
	s_mov_b32 s25, -1
.LBB198_36:                             ;   Parent Loop BB198_26 Depth=1
                                        ; =>  This Inner Loop Header: Depth=2
	scratch_load_b64 v[134:135], v129, off
	s_cmp_eq_u32 s4, 1
	s_waitcnt lgkmcnt(16)
	v_max_f64 v[132:133], v[0:1], v[0:1]
	s_cselect_b32 vcc_lo, -1, 0
	s_mov_b64 s[4:5], 1
	s_waitcnt lgkmcnt(0)
	v_dual_cndmask_b32 v131, v65, v67 :: v_dual_cndmask_b32 v130, v64, v66
	s_and_b32 vcc_lo, exec_lo, s25
	s_mov_b32 s25, 0
	s_delay_alu instid0(VALU_DEP_1) | instskip(NEXT) | instid1(VALU_DEP_1)
	v_max_f64 v[130:131], v[130:131], v[130:131]
	v_min_f64 v[132:133], v[132:133], v[130:131]
	s_waitcnt vmcnt(0)
	s_delay_alu instid0(VALU_DEP_1) | instskip(SKIP_3) | instid1(VALU_DEP_1)
	v_add_f64 v[132:133], v[134:135], v[132:133]
	scratch_load_b64 v[134:135], v128, off
	scratch_store_b64 v129, v[132:133], off
	v_max_f64 v[132:133], v[2:3], v[2:3]
	v_min_f64 v[132:133], v[132:133], v[130:131]
	s_waitcnt vmcnt(0)
	s_delay_alu instid0(VALU_DEP_1) | instskip(SKIP_3) | instid1(VALU_DEP_1)
	v_add_f64 v[132:133], v[132:133], v[134:135]
	scratch_store_b64 v128, v[132:133], off
	scratch_load_b64 v[132:133], v127, off
	v_max_f64 v[128:129], v[4:5], v[4:5]
	v_min_f64 v[128:129], v[128:129], v[130:131]
	s_waitcnt vmcnt(0)
	s_delay_alu instid0(VALU_DEP_1) | instskip(SKIP_3) | instid1(VALU_DEP_1)
	v_add_f64 v[128:129], v[128:129], v[132:133]
	scratch_load_b64 v[132:133], v126, off
	scratch_store_b64 v127, v[128:129], off
	v_max_f64 v[127:128], v[6:7], v[6:7]
	v_min_f64 v[127:128], v[127:128], v[130:131]
	s_waitcnt vmcnt(0)
	s_delay_alu instid0(VALU_DEP_1) | instskip(SKIP_3) | instid1(VALU_DEP_1)
	v_add_f64 v[127:128], v[127:128], v[132:133]
	scratch_store_b64 v126, v[127:128], off
	scratch_load_b64 v[128:129], v125, off
	v_max_f64 v[126:127], v[8:9], v[8:9]
	v_min_f64 v[126:127], v[126:127], v[130:131]
	s_waitcnt vmcnt(0)
	s_delay_alu instid0(VALU_DEP_1) | instskip(SKIP_4) | instid1(VALU_DEP_1)
	v_add_f64 v[126:127], v[126:127], v[128:129]
	v_mov_b32_e32 v129, 0x100
	scratch_store_b64 v125, v[126:127], off
	scratch_load_b64 v[127:128], v124, off
	v_max_f64 v[125:126], v[10:11], v[10:11]
	v_min_f64 v[125:126], v[125:126], v[130:131]
	s_waitcnt vmcnt(0)
	s_delay_alu instid0(VALU_DEP_1) | instskip(SKIP_4) | instid1(VALU_DEP_1)
	v_add_f64 v[125:126], v[125:126], v[127:128]
	v_mov_b32_e32 v128, 0x108
	;; [unrolled: 8-line block ×27, first 2 shown]
	scratch_store_b64 v99, v[100:101], off
	scratch_load_b64 v[101:102], v98, off
	v_max_f64 v[99:100], v[62:63], v[62:63]
	v_min_f64 v[99:100], v[99:100], v[130:131]
	s_waitcnt vmcnt(0)
	s_delay_alu instid0(VALU_DEP_1)
	v_add_f64 v[99:100], v[99:100], v[101:102]
	v_mov_b32_e32 v102, 0x1d8
	v_mov_b32_e32 v101, 0x1e0
	scratch_store_b64 v98, v[99:100], off
	v_mov_b32_e32 v100, 0x1e8
	v_mov_b32_e32 v99, 0x1f0
	;; [unrolled: 1-line block ×3, first 2 shown]
	s_cbranch_vccnz .LBB198_36
; %bb.37:                               ;   in Loop: Header=BB198_26 Depth=1
	ds_load_2addr_b64 v[0:3], v93 offset0:3 offset1:19
	ds_load_2addr_b64 v[4:7], v93 offset0:35 offset1:51
	;; [unrolled: 1-line block ×12, first 2 shown]
	v_dual_mov_b32 v129, 0 :: v_dual_add_nc_u32 v64, 24, v94
	ds_load_2addr_b64 v[48:51], v97 offset0:131 offset1:147
	ds_load_2addr_b64 v[52:55], v97 offset0:163 offset1:179
	ds_load_2addr_b64 v[56:59], v97 offset0:195 offset1:211
	ds_load_2addr_b64 v[60:63], v97 offset0:227 offset1:243
	ds_load_2addr_stride64_b64 v[64:67], v64 offset1:4
	v_dual_mov_b32 v128, 8 :: v_dual_mov_b32 v127, 16
	v_dual_mov_b32 v126, 24 :: v_dual_mov_b32 v125, 32
	;; [unrolled: 1-line block ×4, first 2 shown]
	v_mov_b32_e32 v120, 0x48
	v_mov_b32_e32 v119, 0x50
	;; [unrolled: 1-line block ×23, first 2 shown]
	s_mov_b64 s[4:5], 0
	s_mov_b32 s25, -1
.LBB198_38:                             ;   Parent Loop BB198_26 Depth=1
                                        ; =>  This Inner Loop Header: Depth=2
	scratch_load_b64 v[134:135], v129, off
	s_cmp_eq_u32 s4, 1
	s_waitcnt lgkmcnt(16)
	v_max_f64 v[132:133], v[0:1], v[0:1]
	s_cselect_b32 vcc_lo, -1, 0
	s_mov_b64 s[4:5], 1
	s_waitcnt lgkmcnt(0)
	v_dual_cndmask_b32 v131, v65, v67 :: v_dual_cndmask_b32 v130, v64, v66
	s_and_b32 vcc_lo, exec_lo, s25
	s_mov_b32 s25, 0
	s_delay_alu instid0(VALU_DEP_1) | instskip(NEXT) | instid1(VALU_DEP_1)
	v_max_f64 v[130:131], v[130:131], v[130:131]
	v_min_f64 v[132:133], v[132:133], v[130:131]
	s_waitcnt vmcnt(0)
	s_delay_alu instid0(VALU_DEP_1) | instskip(SKIP_3) | instid1(VALU_DEP_1)
	v_add_f64 v[132:133], v[134:135], v[132:133]
	scratch_load_b64 v[134:135], v128, off
	scratch_store_b64 v129, v[132:133], off
	v_max_f64 v[132:133], v[2:3], v[2:3]
	v_min_f64 v[132:133], v[132:133], v[130:131]
	s_waitcnt vmcnt(0)
	s_delay_alu instid0(VALU_DEP_1) | instskip(SKIP_3) | instid1(VALU_DEP_1)
	v_add_f64 v[132:133], v[132:133], v[134:135]
	scratch_store_b64 v128, v[132:133], off
	scratch_load_b64 v[132:133], v127, off
	v_max_f64 v[128:129], v[4:5], v[4:5]
	v_min_f64 v[128:129], v[128:129], v[130:131]
	s_waitcnt vmcnt(0)
	s_delay_alu instid0(VALU_DEP_1) | instskip(SKIP_3) | instid1(VALU_DEP_1)
	v_add_f64 v[128:129], v[128:129], v[132:133]
	scratch_load_b64 v[132:133], v126, off
	scratch_store_b64 v127, v[128:129], off
	v_max_f64 v[127:128], v[6:7], v[6:7]
	v_min_f64 v[127:128], v[127:128], v[130:131]
	s_waitcnt vmcnt(0)
	s_delay_alu instid0(VALU_DEP_1) | instskip(SKIP_3) | instid1(VALU_DEP_1)
	v_add_f64 v[127:128], v[127:128], v[132:133]
	scratch_store_b64 v126, v[127:128], off
	scratch_load_b64 v[128:129], v125, off
	v_max_f64 v[126:127], v[8:9], v[8:9]
	v_min_f64 v[126:127], v[126:127], v[130:131]
	s_waitcnt vmcnt(0)
	s_delay_alu instid0(VALU_DEP_1) | instskip(SKIP_4) | instid1(VALU_DEP_1)
	v_add_f64 v[126:127], v[126:127], v[128:129]
	v_mov_b32_e32 v129, 0x100
	scratch_store_b64 v125, v[126:127], off
	scratch_load_b64 v[127:128], v124, off
	v_max_f64 v[125:126], v[10:11], v[10:11]
	v_min_f64 v[125:126], v[125:126], v[130:131]
	s_waitcnt vmcnt(0)
	s_delay_alu instid0(VALU_DEP_1) | instskip(SKIP_4) | instid1(VALU_DEP_1)
	v_add_f64 v[125:126], v[125:126], v[127:128]
	v_mov_b32_e32 v128, 0x108
	;; [unrolled: 8-line block ×27, first 2 shown]
	scratch_store_b64 v99, v[100:101], off
	scratch_load_b64 v[101:102], v98, off
	v_max_f64 v[99:100], v[62:63], v[62:63]
	v_min_f64 v[99:100], v[99:100], v[130:131]
	s_waitcnt vmcnt(0)
	s_delay_alu instid0(VALU_DEP_1)
	v_add_f64 v[99:100], v[99:100], v[101:102]
	v_mov_b32_e32 v102, 0x1d8
	v_mov_b32_e32 v101, 0x1e0
	scratch_store_b64 v98, v[99:100], off
	v_mov_b32_e32 v100, 0x1e8
	v_mov_b32_e32 v99, 0x1f0
	;; [unrolled: 1-line block ×3, first 2 shown]
	s_cbranch_vccnz .LBB198_38
; %bb.39:                               ;   in Loop: Header=BB198_26 Depth=1
	s_mov_b32 vcc_lo, s3
	ds_store_2addr_stride64_b64 v87, v[73:74], v[75:76] offset1:4
	ds_store_2addr_stride64_b64 v89, v[77:78], v[79:80] offset1:4
	s_waitcnt lgkmcnt(0)
	s_waitcnt_vscnt null, 0x0
	s_barrier
	buffer_gl0_inv
	s_cbranch_vccz .LBB198_42
; %bb.40:                               ;   in Loop: Header=BB198_26 Depth=1
	v_or_b32_e32 v67, s24, v83
	s_delay_alu instid0(VALU_DEP_1) | instskip(NEXT) | instid1(VALU_DEP_1)
	v_lshlrev_b64 v[0:1], 3, v[67:68]
	v_add_co_u32 v2, vcc_lo, s18, v0
	s_delay_alu instid0(VALU_DEP_2) | instskip(NEXT) | instid1(VALU_DEP_2)
	v_add_co_ci_u32_e32 v3, vcc_lo, s19, v1, vcc_lo
	v_add_co_u32 v0, vcc_lo, v2, v69
	s_delay_alu instid0(VALU_DEP_2)
	v_add_co_ci_u32_e32 v1, vcc_lo, v3, v70, vcc_lo
	v_add_co_u32 v2, vcc_lo, v2, v71
	v_add_co_ci_u32_e32 v3, vcc_lo, v3, v72, vcc_lo
	s_clause 0x1
	flat_load_b64 v[0:1], v[0:1] offset:32
	flat_load_b64 v[2:3], v[2:3] offset:32
	s_waitcnt vmcnt(1) lgkmcnt(1)
	v_mul_f64 v[73:74], s[20:21], v[0:1]
	s_waitcnt vmcnt(0) lgkmcnt(0)
	v_mul_f64 v[75:76], s[20:21], v[2:3]
	s_and_b32 vcc_lo, exec_lo, s2
	s_mov_b64 s[4:5], 0
	s_cbranch_vccnz .LBB198_43
.LBB198_41:                             ;   in Loop: Header=BB198_26 Depth=1
	v_add_nc_u32_e32 v4, s24, v85
	s_delay_alu instid0(VALU_DEP_1) | instskip(NEXT) | instid1(VALU_DEP_1)
	v_mad_u64_u32 v[0:1], null, v4, s16, 0
	v_mad_u64_u32 v[2:3], null, v4, s17, v[1:2]
	s_delay_alu instid0(VALU_DEP_1) | instskip(NEXT) | instid1(VALU_DEP_1)
	v_mov_b32_e32 v1, v2
	v_lshlrev_b64 v[0:1], 3, v[0:1]
	s_delay_alu instid0(VALU_DEP_1) | instskip(NEXT) | instid1(VALU_DEP_2)
	v_add_co_u32 v0, vcc_lo, v95, v0
	v_add_co_ci_u32_e32 v1, vcc_lo, v96, v1, vcc_lo
	s_clause 0x1
	flat_load_b64 v[2:3], v[0:1]
	flat_load_b64 v[0:1], v[0:1] offset:512
	s_waitcnt vmcnt(1) lgkmcnt(1)
	v_mul_f64 v[77:78], s[20:21], v[2:3]
	s_waitcnt vmcnt(0) lgkmcnt(0)
	v_mul_f64 v[79:80], s[20:21], v[0:1]
	s_branch .LBB198_44
.LBB198_42:                             ;   in Loop: Header=BB198_26 Depth=1
	v_mov_b32_e32 v73, 0
	v_dual_mov_b32 v74, 0 :: v_dual_mov_b32 v75, 0
	v_mov_b32_e32 v76, 0
	s_and_b32 vcc_lo, exec_lo, s2
	s_mov_b64 s[4:5], 0
	s_cbranch_vccz .LBB198_41
.LBB198_43:                             ;   in Loop: Header=BB198_26 Depth=1
	v_mov_b32_e32 v77, 0
	v_dual_mov_b32 v78, 0 :: v_dual_mov_b32 v79, 0
	v_mov_b32_e32 v80, 0
.LBB198_44:                             ;   in Loop: Header=BB198_26 Depth=1
	v_dual_mov_b32 v129, 8 :: v_dual_add_nc_u32 v98, 0x800, v86
	ds_load_2addr_b64 v[0:3], v86 offset1:16
	ds_load_2addr_b64 v[4:7], v86 offset0:32 offset1:48
	ds_load_2addr_b64 v[8:11], v86 offset0:64 offset1:80
	;; [unrolled: 1-line block ×7, first 2 shown]
	ds_load_2addr_b64 v[32:35], v98 offset1:16
	ds_load_2addr_b64 v[36:39], v98 offset0:32 offset1:48
	ds_load_2addr_b64 v[40:43], v98 offset0:64 offset1:80
	;; [unrolled: 1-line block ×7, first 2 shown]
	ds_load_2addr_stride64_b64 v[64:67], v90 offset1:4
	v_dual_mov_b32 v130, 0 :: v_dual_mov_b32 v127, 24
	v_dual_mov_b32 v128, 16 :: v_dual_mov_b32 v125, 40
	;; [unrolled: 1-line block ×5, first 2 shown]
	v_mov_b32_e32 v120, 0x50
	v_mov_b32_e32 v118, 0x60
	;; [unrolled: 1-line block ×21, first 2 shown]
	s_mov_b32 s25, -1
.LBB198_45:                             ;   Parent Loop BB198_26 Depth=1
                                        ; =>  This Inner Loop Header: Depth=2
	scratch_load_b64 v[135:136], v130, off
	s_cmp_eq_u32 s4, 1
	s_waitcnt lgkmcnt(16)
	v_max_f64 v[133:134], v[0:1], v[0:1]
	s_cselect_b32 vcc_lo, -1, 0
	s_mov_b64 s[4:5], 1
	s_waitcnt lgkmcnt(0)
	v_dual_cndmask_b32 v132, v65, v67 :: v_dual_cndmask_b32 v131, v64, v66
	s_and_b32 vcc_lo, exec_lo, s25
	s_mov_b32 s25, 0
	s_delay_alu instid0(VALU_DEP_1) | instskip(NEXT) | instid1(VALU_DEP_1)
	v_max_f64 v[131:132], v[131:132], v[131:132]
	v_min_f64 v[133:134], v[133:134], v[131:132]
	s_waitcnt vmcnt(0)
	s_delay_alu instid0(VALU_DEP_1) | instskip(SKIP_3) | instid1(VALU_DEP_1)
	v_add_f64 v[133:134], v[135:136], v[133:134]
	scratch_load_b64 v[135:136], v129, off
	scratch_store_b64 v130, v[133:134], off
	v_max_f64 v[133:134], v[2:3], v[2:3]
	v_min_f64 v[133:134], v[133:134], v[131:132]
	s_waitcnt vmcnt(0)
	s_delay_alu instid0(VALU_DEP_1) | instskip(SKIP_3) | instid1(VALU_DEP_1)
	v_add_f64 v[133:134], v[133:134], v[135:136]
	scratch_store_b64 v129, v[133:134], off
	scratch_load_b64 v[133:134], v128, off
	v_max_f64 v[129:130], v[4:5], v[4:5]
	v_min_f64 v[129:130], v[129:130], v[131:132]
	s_waitcnt vmcnt(0)
	s_delay_alu instid0(VALU_DEP_1) | instskip(SKIP_3) | instid1(VALU_DEP_1)
	v_add_f64 v[129:130], v[129:130], v[133:134]
	scratch_load_b64 v[133:134], v127, off
	scratch_store_b64 v128, v[129:130], off
	v_max_f64 v[128:129], v[6:7], v[6:7]
	v_min_f64 v[128:129], v[128:129], v[131:132]
	s_waitcnt vmcnt(0)
	s_delay_alu instid0(VALU_DEP_1) | instskip(SKIP_3) | instid1(VALU_DEP_1)
	v_add_f64 v[128:129], v[128:129], v[133:134]
	scratch_store_b64 v127, v[128:129], off
	scratch_load_b64 v[129:130], v126, off
	v_max_f64 v[127:128], v[8:9], v[8:9]
	v_min_f64 v[127:128], v[127:128], v[131:132]
	s_waitcnt vmcnt(0)
	s_delay_alu instid0(VALU_DEP_1) | instskip(SKIP_4) | instid1(VALU_DEP_1)
	v_add_f64 v[127:128], v[127:128], v[129:130]
	v_mov_b32_e32 v130, 0x100
	scratch_store_b64 v126, v[127:128], off
	scratch_load_b64 v[128:129], v125, off
	v_max_f64 v[126:127], v[10:11], v[10:11]
	v_min_f64 v[126:127], v[126:127], v[131:132]
	s_waitcnt vmcnt(0)
	s_delay_alu instid0(VALU_DEP_1) | instskip(SKIP_4) | instid1(VALU_DEP_1)
	v_add_f64 v[126:127], v[126:127], v[128:129]
	v_mov_b32_e32 v129, 0x108
	;; [unrolled: 8-line block ×27, first 2 shown]
	scratch_store_b64 v100, v[101:102], off
	scratch_load_b64 v[102:103], v99, off
	v_max_f64 v[100:101], v[62:63], v[62:63]
	v_min_f64 v[100:101], v[100:101], v[131:132]
	s_waitcnt vmcnt(0)
	s_delay_alu instid0(VALU_DEP_1)
	v_add_f64 v[100:101], v[100:101], v[102:103]
	v_mov_b32_e32 v103, 0x1d8
	v_mov_b32_e32 v102, 0x1e0
	scratch_store_b64 v99, v[100:101], off
	v_mov_b32_e32 v101, 0x1e8
	v_mov_b32_e32 v100, 0x1f0
	;; [unrolled: 1-line block ×3, first 2 shown]
	s_cbranch_vccnz .LBB198_45
; %bb.46:                               ;   in Loop: Header=BB198_26 Depth=1
	ds_load_2addr_b64 v[0:3], v86 offset0:1 offset1:17
	ds_load_2addr_b64 v[4:7], v86 offset0:33 offset1:49
	;; [unrolled: 1-line block ×12, first 2 shown]
	v_dual_mov_b32 v129, 8 :: v_dual_add_nc_u32 v64, 8, v90
	ds_load_2addr_b64 v[48:51], v98 offset0:129 offset1:145
	ds_load_2addr_b64 v[52:55], v98 offset0:161 offset1:177
	;; [unrolled: 1-line block ×4, first 2 shown]
	ds_load_2addr_stride64_b64 v[64:67], v64 offset1:4
	v_dual_mov_b32 v130, 0 :: v_dual_mov_b32 v127, 24
	v_dual_mov_b32 v128, 16 :: v_dual_mov_b32 v125, 40
	;; [unrolled: 1-line block ×5, first 2 shown]
	v_mov_b32_e32 v120, 0x50
	v_mov_b32_e32 v118, 0x60
	;; [unrolled: 1-line block ×21, first 2 shown]
	s_mov_b64 s[4:5], 0
	s_mov_b32 s25, -1
.LBB198_47:                             ;   Parent Loop BB198_26 Depth=1
                                        ; =>  This Inner Loop Header: Depth=2
	scratch_load_b64 v[135:136], v130, off
	s_cmp_eq_u32 s4, 1
	s_waitcnt lgkmcnt(16)
	v_max_f64 v[133:134], v[0:1], v[0:1]
	s_cselect_b32 vcc_lo, -1, 0
	s_mov_b64 s[4:5], 1
	s_waitcnt lgkmcnt(0)
	v_dual_cndmask_b32 v132, v65, v67 :: v_dual_cndmask_b32 v131, v64, v66
	s_and_b32 vcc_lo, exec_lo, s25
	s_mov_b32 s25, 0
	s_delay_alu instid0(VALU_DEP_1) | instskip(NEXT) | instid1(VALU_DEP_1)
	v_max_f64 v[131:132], v[131:132], v[131:132]
	v_min_f64 v[133:134], v[133:134], v[131:132]
	s_waitcnt vmcnt(0)
	s_delay_alu instid0(VALU_DEP_1) | instskip(SKIP_3) | instid1(VALU_DEP_1)
	v_add_f64 v[133:134], v[135:136], v[133:134]
	scratch_load_b64 v[135:136], v129, off
	scratch_store_b64 v130, v[133:134], off
	v_max_f64 v[133:134], v[2:3], v[2:3]
	v_min_f64 v[133:134], v[133:134], v[131:132]
	s_waitcnt vmcnt(0)
	s_delay_alu instid0(VALU_DEP_1) | instskip(SKIP_3) | instid1(VALU_DEP_1)
	v_add_f64 v[133:134], v[133:134], v[135:136]
	scratch_store_b64 v129, v[133:134], off
	scratch_load_b64 v[133:134], v128, off
	v_max_f64 v[129:130], v[4:5], v[4:5]
	v_min_f64 v[129:130], v[129:130], v[131:132]
	s_waitcnt vmcnt(0)
	s_delay_alu instid0(VALU_DEP_1) | instskip(SKIP_3) | instid1(VALU_DEP_1)
	v_add_f64 v[129:130], v[129:130], v[133:134]
	scratch_load_b64 v[133:134], v127, off
	scratch_store_b64 v128, v[129:130], off
	v_max_f64 v[128:129], v[6:7], v[6:7]
	v_min_f64 v[128:129], v[128:129], v[131:132]
	s_waitcnt vmcnt(0)
	s_delay_alu instid0(VALU_DEP_1) | instskip(SKIP_3) | instid1(VALU_DEP_1)
	v_add_f64 v[128:129], v[128:129], v[133:134]
	scratch_store_b64 v127, v[128:129], off
	scratch_load_b64 v[129:130], v126, off
	v_max_f64 v[127:128], v[8:9], v[8:9]
	v_min_f64 v[127:128], v[127:128], v[131:132]
	s_waitcnt vmcnt(0)
	s_delay_alu instid0(VALU_DEP_1) | instskip(SKIP_4) | instid1(VALU_DEP_1)
	v_add_f64 v[127:128], v[127:128], v[129:130]
	v_mov_b32_e32 v130, 0x100
	scratch_store_b64 v126, v[127:128], off
	scratch_load_b64 v[128:129], v125, off
	v_max_f64 v[126:127], v[10:11], v[10:11]
	v_min_f64 v[126:127], v[126:127], v[131:132]
	s_waitcnt vmcnt(0)
	s_delay_alu instid0(VALU_DEP_1) | instskip(SKIP_4) | instid1(VALU_DEP_1)
	v_add_f64 v[126:127], v[126:127], v[128:129]
	v_mov_b32_e32 v129, 0x108
	;; [unrolled: 8-line block ×27, first 2 shown]
	scratch_store_b64 v100, v[101:102], off
	scratch_load_b64 v[102:103], v99, off
	v_max_f64 v[100:101], v[62:63], v[62:63]
	v_min_f64 v[100:101], v[100:101], v[131:132]
	s_waitcnt vmcnt(0)
	s_delay_alu instid0(VALU_DEP_1)
	v_add_f64 v[100:101], v[100:101], v[102:103]
	v_mov_b32_e32 v103, 0x1d8
	v_mov_b32_e32 v102, 0x1e0
	scratch_store_b64 v99, v[100:101], off
	v_mov_b32_e32 v101, 0x1e8
	v_mov_b32_e32 v100, 0x1f0
	;; [unrolled: 1-line block ×3, first 2 shown]
	s_cbranch_vccnz .LBB198_47
; %bb.48:                               ;   in Loop: Header=BB198_26 Depth=1
	ds_load_2addr_b64 v[0:3], v86 offset0:2 offset1:18
	ds_load_2addr_b64 v[4:7], v86 offset0:34 offset1:50
	;; [unrolled: 1-line block ×12, first 2 shown]
	v_dual_mov_b32 v129, 8 :: v_dual_add_nc_u32 v64, 16, v90
	ds_load_2addr_b64 v[48:51], v98 offset0:130 offset1:146
	ds_load_2addr_b64 v[52:55], v98 offset0:162 offset1:178
	;; [unrolled: 1-line block ×4, first 2 shown]
	ds_load_2addr_stride64_b64 v[64:67], v64 offset1:4
	v_dual_mov_b32 v130, 0 :: v_dual_mov_b32 v127, 24
	v_dual_mov_b32 v128, 16 :: v_dual_mov_b32 v125, 40
	;; [unrolled: 1-line block ×5, first 2 shown]
	v_mov_b32_e32 v120, 0x50
	v_mov_b32_e32 v118, 0x60
	;; [unrolled: 1-line block ×21, first 2 shown]
	s_mov_b64 s[4:5], 0
	s_mov_b32 s25, -1
.LBB198_49:                             ;   Parent Loop BB198_26 Depth=1
                                        ; =>  This Inner Loop Header: Depth=2
	scratch_load_b64 v[135:136], v130, off
	s_cmp_eq_u32 s4, 1
	s_waitcnt lgkmcnt(16)
	v_max_f64 v[133:134], v[0:1], v[0:1]
	s_cselect_b32 vcc_lo, -1, 0
	s_mov_b64 s[4:5], 1
	s_waitcnt lgkmcnt(0)
	v_dual_cndmask_b32 v132, v65, v67 :: v_dual_cndmask_b32 v131, v64, v66
	s_and_b32 vcc_lo, exec_lo, s25
	s_mov_b32 s25, 0
	s_delay_alu instid0(VALU_DEP_1) | instskip(NEXT) | instid1(VALU_DEP_1)
	v_max_f64 v[131:132], v[131:132], v[131:132]
	v_min_f64 v[133:134], v[133:134], v[131:132]
	s_waitcnt vmcnt(0)
	s_delay_alu instid0(VALU_DEP_1) | instskip(SKIP_3) | instid1(VALU_DEP_1)
	v_add_f64 v[133:134], v[135:136], v[133:134]
	scratch_load_b64 v[135:136], v129, off
	scratch_store_b64 v130, v[133:134], off
	v_max_f64 v[133:134], v[2:3], v[2:3]
	v_min_f64 v[133:134], v[133:134], v[131:132]
	s_waitcnt vmcnt(0)
	s_delay_alu instid0(VALU_DEP_1) | instskip(SKIP_3) | instid1(VALU_DEP_1)
	v_add_f64 v[133:134], v[133:134], v[135:136]
	scratch_store_b64 v129, v[133:134], off
	scratch_load_b64 v[133:134], v128, off
	v_max_f64 v[129:130], v[4:5], v[4:5]
	v_min_f64 v[129:130], v[129:130], v[131:132]
	s_waitcnt vmcnt(0)
	s_delay_alu instid0(VALU_DEP_1) | instskip(SKIP_3) | instid1(VALU_DEP_1)
	v_add_f64 v[129:130], v[129:130], v[133:134]
	scratch_load_b64 v[133:134], v127, off
	scratch_store_b64 v128, v[129:130], off
	v_max_f64 v[128:129], v[6:7], v[6:7]
	v_min_f64 v[128:129], v[128:129], v[131:132]
	s_waitcnt vmcnt(0)
	s_delay_alu instid0(VALU_DEP_1) | instskip(SKIP_3) | instid1(VALU_DEP_1)
	v_add_f64 v[128:129], v[128:129], v[133:134]
	scratch_store_b64 v127, v[128:129], off
	scratch_load_b64 v[129:130], v126, off
	v_max_f64 v[127:128], v[8:9], v[8:9]
	v_min_f64 v[127:128], v[127:128], v[131:132]
	s_waitcnt vmcnt(0)
	s_delay_alu instid0(VALU_DEP_1) | instskip(SKIP_4) | instid1(VALU_DEP_1)
	v_add_f64 v[127:128], v[127:128], v[129:130]
	v_mov_b32_e32 v130, 0x100
	scratch_store_b64 v126, v[127:128], off
	scratch_load_b64 v[128:129], v125, off
	v_max_f64 v[126:127], v[10:11], v[10:11]
	v_min_f64 v[126:127], v[126:127], v[131:132]
	s_waitcnt vmcnt(0)
	s_delay_alu instid0(VALU_DEP_1) | instskip(SKIP_4) | instid1(VALU_DEP_1)
	v_add_f64 v[126:127], v[126:127], v[128:129]
	v_mov_b32_e32 v129, 0x108
	;; [unrolled: 8-line block ×27, first 2 shown]
	scratch_store_b64 v100, v[101:102], off
	scratch_load_b64 v[102:103], v99, off
	v_max_f64 v[100:101], v[62:63], v[62:63]
	v_min_f64 v[100:101], v[100:101], v[131:132]
	s_waitcnt vmcnt(0)
	s_delay_alu instid0(VALU_DEP_1)
	v_add_f64 v[100:101], v[100:101], v[102:103]
	v_mov_b32_e32 v103, 0x1d8
	v_mov_b32_e32 v102, 0x1e0
	scratch_store_b64 v99, v[100:101], off
	v_mov_b32_e32 v101, 0x1e8
	v_mov_b32_e32 v100, 0x1f0
	;; [unrolled: 1-line block ×3, first 2 shown]
	s_cbranch_vccnz .LBB198_49
; %bb.50:                               ;   in Loop: Header=BB198_26 Depth=1
	ds_load_2addr_b64 v[0:3], v86 offset0:3 offset1:19
	ds_load_2addr_b64 v[4:7], v86 offset0:35 offset1:51
	;; [unrolled: 1-line block ×12, first 2 shown]
	v_dual_mov_b32 v129, 0 :: v_dual_add_nc_u32 v64, 24, v90
	ds_load_2addr_b64 v[48:51], v98 offset0:131 offset1:147
	ds_load_2addr_b64 v[52:55], v98 offset0:163 offset1:179
	;; [unrolled: 1-line block ×4, first 2 shown]
	ds_load_2addr_stride64_b64 v[64:67], v64 offset1:4
	v_dual_mov_b32 v128, 8 :: v_dual_mov_b32 v127, 16
	v_dual_mov_b32 v126, 24 :: v_dual_mov_b32 v125, 32
	;; [unrolled: 1-line block ×4, first 2 shown]
	v_mov_b32_e32 v120, 0x48
	v_mov_b32_e32 v119, 0x50
	;; [unrolled: 1-line block ×23, first 2 shown]
	s_mov_b64 s[4:5], 0
	s_mov_b32 s25, -1
.LBB198_51:                             ;   Parent Loop BB198_26 Depth=1
                                        ; =>  This Inner Loop Header: Depth=2
	scratch_load_b64 v[134:135], v129, off
	s_cmp_eq_u32 s4, 1
	s_waitcnt lgkmcnt(16)
	v_max_f64 v[132:133], v[0:1], v[0:1]
	s_cselect_b32 vcc_lo, -1, 0
	s_mov_b64 s[4:5], 1
	s_waitcnt lgkmcnt(0)
	v_dual_cndmask_b32 v131, v65, v67 :: v_dual_cndmask_b32 v130, v64, v66
	s_and_b32 vcc_lo, exec_lo, s25
	s_mov_b32 s25, 0
	s_delay_alu instid0(VALU_DEP_1) | instskip(NEXT) | instid1(VALU_DEP_1)
	v_max_f64 v[130:131], v[130:131], v[130:131]
	v_min_f64 v[132:133], v[132:133], v[130:131]
	s_waitcnt vmcnt(0)
	s_delay_alu instid0(VALU_DEP_1) | instskip(SKIP_3) | instid1(VALU_DEP_1)
	v_add_f64 v[132:133], v[134:135], v[132:133]
	scratch_load_b64 v[134:135], v128, off
	scratch_store_b64 v129, v[132:133], off
	v_max_f64 v[132:133], v[2:3], v[2:3]
	v_min_f64 v[132:133], v[132:133], v[130:131]
	s_waitcnt vmcnt(0)
	s_delay_alu instid0(VALU_DEP_1) | instskip(SKIP_3) | instid1(VALU_DEP_1)
	v_add_f64 v[132:133], v[132:133], v[134:135]
	scratch_store_b64 v128, v[132:133], off
	scratch_load_b64 v[132:133], v127, off
	v_max_f64 v[128:129], v[4:5], v[4:5]
	v_min_f64 v[128:129], v[128:129], v[130:131]
	s_waitcnt vmcnt(0)
	s_delay_alu instid0(VALU_DEP_1) | instskip(SKIP_3) | instid1(VALU_DEP_1)
	v_add_f64 v[128:129], v[128:129], v[132:133]
	scratch_load_b64 v[132:133], v126, off
	scratch_store_b64 v127, v[128:129], off
	v_max_f64 v[127:128], v[6:7], v[6:7]
	v_min_f64 v[127:128], v[127:128], v[130:131]
	s_waitcnt vmcnt(0)
	s_delay_alu instid0(VALU_DEP_1) | instskip(SKIP_3) | instid1(VALU_DEP_1)
	v_add_f64 v[127:128], v[127:128], v[132:133]
	scratch_store_b64 v126, v[127:128], off
	scratch_load_b64 v[128:129], v125, off
	v_max_f64 v[126:127], v[8:9], v[8:9]
	v_min_f64 v[126:127], v[126:127], v[130:131]
	s_waitcnt vmcnt(0)
	s_delay_alu instid0(VALU_DEP_1) | instskip(SKIP_4) | instid1(VALU_DEP_1)
	v_add_f64 v[126:127], v[126:127], v[128:129]
	v_mov_b32_e32 v129, 0x100
	scratch_store_b64 v125, v[126:127], off
	scratch_load_b64 v[127:128], v124, off
	v_max_f64 v[125:126], v[10:11], v[10:11]
	v_min_f64 v[125:126], v[125:126], v[130:131]
	s_waitcnt vmcnt(0)
	s_delay_alu instid0(VALU_DEP_1) | instskip(SKIP_4) | instid1(VALU_DEP_1)
	v_add_f64 v[125:126], v[125:126], v[127:128]
	v_mov_b32_e32 v128, 0x108
	;; [unrolled: 8-line block ×27, first 2 shown]
	scratch_store_b64 v99, v[100:101], off
	scratch_load_b64 v[101:102], v98, off
	v_max_f64 v[99:100], v[62:63], v[62:63]
	v_min_f64 v[99:100], v[99:100], v[130:131]
	s_waitcnt vmcnt(0)
	s_delay_alu instid0(VALU_DEP_1)
	v_add_f64 v[99:100], v[99:100], v[101:102]
	v_mov_b32_e32 v102, 0x1d8
	v_mov_b32_e32 v101, 0x1e0
	scratch_store_b64 v98, v[99:100], off
	v_mov_b32_e32 v100, 0x1e8
	v_mov_b32_e32 v99, 0x1f0
	;; [unrolled: 1-line block ×3, first 2 shown]
	s_cbranch_vccnz .LBB198_51
; %bb.52:                               ;   in Loop: Header=BB198_26 Depth=1
	s_add_i32 s23, s23, 8
	s_add_i32 s24, s24, 8
	s_cmp_ge_i32 s23, s22
	ds_store_2addr_stride64_b64 v91, v[73:74], v[75:76] offset1:4
	ds_store_2addr_stride64_b64 v92, v[77:78], v[79:80] offset1:4
	s_waitcnt lgkmcnt(0)
	s_waitcnt_vscnt null, 0x0
	s_barrier
	buffer_gl0_inv
	s_cbranch_scc0 .LBB198_26
.LBB198_53:
	v_dual_mov_b32 v71, 8 :: v_dual_add_nc_u32 v28, 0x1000, v86
	v_dual_mov_b32 v75, 40 :: v_dual_add_nc_u32 v60, 0x1800, v86
	;; [unrolled: 1-line block ×3, first 2 shown]
	ds_load_2addr_b64 v[0:3], v28 offset1:16
	ds_load_2addr_b64 v[4:7], v28 offset0:32 offset1:48
	ds_load_2addr_b64 v[8:11], v28 offset0:64 offset1:80
	;; [unrolled: 1-line block ×7, first 2 shown]
	ds_load_2addr_b64 v[32:35], v60 offset1:16
	ds_load_2addr_b64 v[36:39], v60 offset0:32 offset1:48
	ds_load_2addr_b64 v[40:43], v60 offset0:64 offset1:80
	;; [unrolled: 1-line block ×7, first 2 shown]
	ds_load_2addr_stride64_b64 v[64:67], v88 offset0:24 offset1:28
	v_dual_mov_b32 v70, 0 :: v_dual_add_nc_u32 v69, 0x3000, v88
	v_dual_mov_b32 v72, 16 :: v_dual_mov_b32 v77, 56
	v_dual_mov_b32 v74, 32 :: v_dual_mov_b32 v79, 0x48
	;; [unrolled: 1-line block ×4, first 2 shown]
	v_mov_b32_e32 v80, 0x50
	v_mov_b32_e32 v84, 0x60
	;; [unrolled: 1-line block ×20, first 2 shown]
	s_mov_b64 s[2:3], 0
	s_mov_b32 s4, -1
.LBB198_54:                             ; =>This Inner Loop Header: Depth=1
	scratch_load_b64 v[104:105], v70, off
	scratch_load_b64 v[106:107], v71, off
	;; [unrolled: 1-line block ×32, first 2 shown]
	s_cmp_eq_u32 s2, 1
	s_waitcnt lgkmcnt(16)
	v_max_f64 v[170:171], v[0:1], v[0:1]
	s_cselect_b32 vcc_lo, -1, 0
	v_max_f64 v[172:173], v[2:3], v[2:3]
	s_waitcnt lgkmcnt(0)
	v_dual_cndmask_b32 v169, v65, v67 :: v_dual_cndmask_b32 v168, v64, v66
	v_max_f64 v[174:175], v[4:5], v[4:5]
	v_max_f64 v[176:177], v[6:7], v[6:7]
	;; [unrolled: 1-line block ×31, first 2 shown]
	s_mov_b64 s[2:3], 1
	s_and_b32 vcc_lo, exec_lo, s4
	s_mov_b32 s4, 0
	v_min_f64 v[170:171], v[170:171], v[168:169]
	v_min_f64 v[172:173], v[172:173], v[168:169]
	;; [unrolled: 1-line block ×32, first 2 shown]
	s_waitcnt vmcnt(31)
	v_add_f64 v[104:105], v[104:105], v[170:171]
	s_waitcnt vmcnt(30)
	v_add_f64 v[106:107], v[172:173], v[106:107]
	;; [unrolled: 2-line block ×32, first 2 shown]
	scratch_store_b64 v70, v[104:105], off
	scratch_store_b64 v71, v[106:107], off
	;; [unrolled: 1-line block ×32, first 2 shown]
	v_mov_b32_e32 v70, 0x100
	v_mov_b32_e32 v71, 0x108
	v_mov_b32_e32 v72, 0x110
	v_mov_b32_e32 v73, 0x118
	v_mov_b32_e32 v74, 0x120
	v_mov_b32_e32 v75, 0x128
	v_mov_b32_e32 v76, 0x130
	v_mov_b32_e32 v77, 0x138
	v_mov_b32_e32 v78, 0x140
	v_mov_b32_e32 v79, 0x148
	v_mov_b32_e32 v80, 0x150
	v_mov_b32_e32 v83, 0x158
	v_mov_b32_e32 v84, 0x160
	v_mov_b32_e32 v85, 0x168
	v_mov_b32_e32 v86, 0x170
	v_mov_b32_e32 v87, 0x178
	v_mov_b32_e32 v88, 0x180
	v_mov_b32_e32 v89, 0x188
	v_mov_b32_e32 v90, 0x190
	v_mov_b32_e32 v91, 0x198
	v_mov_b32_e32 v92, 0x1a0
	v_mov_b32_e32 v93, 0x1a8
	v_mov_b32_e32 v94, 0x1b0
	v_mov_b32_e32 v95, 0x1b8
	v_mov_b32_e32 v96, 0x1c0
	v_mov_b32_e32 v97, 0x1c8
	v_mov_b32_e32 v98, 0x1d0
	v_mov_b32_e32 v99, 0x1d8
	v_mov_b32_e32 v100, 0x1e0
	v_mov_b32_e32 v101, 0x1e8
	v_mov_b32_e32 v102, 0x1f0
	v_mov_b32_e32 v103, 0x1f8
	s_cbranch_vccnz .LBB198_54
; %bb.55:
	v_dual_mov_b32 v71, 8 :: v_dual_add_nc_u32 v60, 0x800, v68
	ds_load_2addr_b64 v[0:3], v68 offset0:1 offset1:17
	ds_load_2addr_b64 v[4:7], v68 offset0:33 offset1:49
	;; [unrolled: 1-line block ×12, first 2 shown]
	v_dual_mov_b32 v73, 24 :: v_dual_add_nc_u32 v64, 8, v69
	ds_load_2addr_b64 v[48:51], v60 offset0:129 offset1:145
	ds_load_2addr_b64 v[52:55], v60 offset0:161 offset1:177
	;; [unrolled: 1-line block ×4, first 2 shown]
	ds_load_2addr_stride64_b64 v[64:67], v64 offset1:4
	v_dual_mov_b32 v70, 0 :: v_dual_mov_b32 v75, 40
	v_dual_mov_b32 v72, 16 :: v_dual_mov_b32 v77, 56
	;; [unrolled: 1-line block ×5, first 2 shown]
	v_mov_b32_e32 v80, 0x50
	v_mov_b32_e32 v84, 0x60
	;; [unrolled: 1-line block ×20, first 2 shown]
	s_mov_b64 s[2:3], 0
	s_mov_b32 s4, -1
.LBB198_56:                             ; =>This Inner Loop Header: Depth=1
	scratch_load_b64 v[104:105], v70, off
	scratch_load_b64 v[106:107], v71, off
	;; [unrolled: 1-line block ×32, first 2 shown]
	s_cmp_eq_u32 s2, 1
	s_waitcnt lgkmcnt(16)
	v_max_f64 v[170:171], v[0:1], v[0:1]
	s_cselect_b32 vcc_lo, -1, 0
	v_max_f64 v[172:173], v[2:3], v[2:3]
	s_waitcnt lgkmcnt(0)
	v_dual_cndmask_b32 v169, v65, v67 :: v_dual_cndmask_b32 v168, v64, v66
	v_max_f64 v[174:175], v[4:5], v[4:5]
	v_max_f64 v[176:177], v[6:7], v[6:7]
	;; [unrolled: 1-line block ×31, first 2 shown]
	s_mov_b64 s[2:3], 1
	s_and_b32 vcc_lo, exec_lo, s4
	s_mov_b32 s4, 0
	v_min_f64 v[170:171], v[170:171], v[168:169]
	v_min_f64 v[172:173], v[172:173], v[168:169]
	;; [unrolled: 1-line block ×32, first 2 shown]
	s_waitcnt vmcnt(31)
	v_add_f64 v[104:105], v[104:105], v[170:171]
	s_waitcnt vmcnt(30)
	v_add_f64 v[106:107], v[172:173], v[106:107]
	s_waitcnt vmcnt(29)
	v_add_f64 v[108:109], v[174:175], v[108:109]
	s_waitcnt vmcnt(28)
	v_add_f64 v[110:111], v[176:177], v[110:111]
	s_waitcnt vmcnt(27)
	v_add_f64 v[112:113], v[178:179], v[112:113]
	s_waitcnt vmcnt(26)
	v_add_f64 v[114:115], v[180:181], v[114:115]
	s_waitcnt vmcnt(25)
	v_add_f64 v[116:117], v[182:183], v[116:117]
	s_waitcnt vmcnt(24)
	v_add_f64 v[118:119], v[184:185], v[118:119]
	s_waitcnt vmcnt(23)
	v_add_f64 v[120:121], v[186:187], v[120:121]
	s_waitcnt vmcnt(22)
	v_add_f64 v[122:123], v[188:189], v[122:123]
	s_waitcnt vmcnt(21)
	v_add_f64 v[124:125], v[190:191], v[124:125]
	s_waitcnt vmcnt(20)
	v_add_f64 v[126:127], v[192:193], v[126:127]
	s_waitcnt vmcnt(19)
	v_add_f64 v[128:129], v[194:195], v[128:129]
	s_waitcnt vmcnt(18)
	v_add_f64 v[130:131], v[196:197], v[130:131]
	s_waitcnt vmcnt(17)
	v_add_f64 v[132:133], v[198:199], v[132:133]
	s_waitcnt vmcnt(16)
	v_add_f64 v[134:135], v[200:201], v[134:135]
	s_waitcnt vmcnt(15)
	v_add_f64 v[136:137], v[202:203], v[136:137]
	s_waitcnt vmcnt(14)
	v_add_f64 v[138:139], v[204:205], v[138:139]
	s_waitcnt vmcnt(13)
	v_add_f64 v[140:141], v[206:207], v[140:141]
	s_waitcnt vmcnt(12)
	v_add_f64 v[142:143], v[208:209], v[142:143]
	s_waitcnt vmcnt(11)
	v_add_f64 v[144:145], v[210:211], v[144:145]
	s_waitcnt vmcnt(10)
	v_add_f64 v[146:147], v[212:213], v[146:147]
	s_waitcnt vmcnt(9)
	v_add_f64 v[148:149], v[214:215], v[148:149]
	s_waitcnt vmcnt(8)
	v_add_f64 v[150:151], v[216:217], v[150:151]
	s_waitcnt vmcnt(7)
	v_add_f64 v[152:153], v[218:219], v[152:153]
	s_waitcnt vmcnt(6)
	v_add_f64 v[154:155], v[220:221], v[154:155]
	s_waitcnt vmcnt(5)
	v_add_f64 v[156:157], v[222:223], v[156:157]
	s_waitcnt vmcnt(4)
	v_add_f64 v[158:159], v[224:225], v[158:159]
	s_waitcnt vmcnt(3)
	v_add_f64 v[160:161], v[226:227], v[160:161]
	s_waitcnt vmcnt(2)
	v_add_f64 v[162:163], v[228:229], v[162:163]
	s_waitcnt vmcnt(1)
	v_add_f64 v[164:165], v[230:231], v[164:165]
	s_waitcnt vmcnt(0)
	v_add_f64 v[166:167], v[168:169], v[166:167]
	scratch_store_b64 v70, v[104:105], off
	scratch_store_b64 v71, v[106:107], off
	;; [unrolled: 1-line block ×32, first 2 shown]
	v_mov_b32_e32 v70, 0x100
	v_mov_b32_e32 v71, 0x108
	;; [unrolled: 1-line block ×32, first 2 shown]
	s_cbranch_vccnz .LBB198_56
; %bb.57:
	v_dual_mov_b32 v71, 8 :: v_dual_add_nc_u32 v60, 0x800, v68
	ds_load_2addr_b64 v[0:3], v68 offset0:2 offset1:18
	ds_load_2addr_b64 v[4:7], v68 offset0:34 offset1:50
	;; [unrolled: 1-line block ×12, first 2 shown]
	v_dual_mov_b32 v73, 24 :: v_dual_add_nc_u32 v64, 16, v69
	ds_load_2addr_b64 v[48:51], v60 offset0:130 offset1:146
	ds_load_2addr_b64 v[52:55], v60 offset0:162 offset1:178
	;; [unrolled: 1-line block ×4, first 2 shown]
	ds_load_2addr_stride64_b64 v[64:67], v64 offset1:4
	v_dual_mov_b32 v70, 0 :: v_dual_mov_b32 v75, 40
	v_dual_mov_b32 v72, 16 :: v_dual_mov_b32 v77, 56
	v_dual_mov_b32 v74, 32 :: v_dual_mov_b32 v79, 0x48
	v_dual_mov_b32 v76, 48 :: v_dual_mov_b32 v83, 0x58
	v_dual_mov_b32 v78, 64 :: v_dual_mov_b32 v85, 0x68
	v_mov_b32_e32 v80, 0x50
	v_mov_b32_e32 v84, 0x60
	;; [unrolled: 1-line block ×20, first 2 shown]
	s_mov_b64 s[2:3], 0
	s_mov_b32 s4, -1
.LBB198_58:                             ; =>This Inner Loop Header: Depth=1
	scratch_load_b64 v[104:105], v70, off
	scratch_load_b64 v[106:107], v71, off
	;; [unrolled: 1-line block ×32, first 2 shown]
	s_cmp_eq_u32 s2, 1
	s_waitcnt lgkmcnt(16)
	v_max_f64 v[170:171], v[0:1], v[0:1]
	s_cselect_b32 vcc_lo, -1, 0
	v_max_f64 v[172:173], v[2:3], v[2:3]
	s_waitcnt lgkmcnt(0)
	v_dual_cndmask_b32 v169, v65, v67 :: v_dual_cndmask_b32 v168, v64, v66
	v_max_f64 v[174:175], v[4:5], v[4:5]
	v_max_f64 v[176:177], v[6:7], v[6:7]
	v_max_f64 v[178:179], v[8:9], v[8:9]
	v_max_f64 v[180:181], v[10:11], v[10:11]
	v_max_f64 v[168:169], v[168:169], v[168:169]
	v_max_f64 v[182:183], v[12:13], v[12:13]
	v_max_f64 v[184:185], v[14:15], v[14:15]
	v_max_f64 v[186:187], v[16:17], v[16:17]
	v_max_f64 v[188:189], v[18:19], v[18:19]
	v_max_f64 v[190:191], v[20:21], v[20:21]
	v_max_f64 v[192:193], v[22:23], v[22:23]
	v_max_f64 v[194:195], v[24:25], v[24:25]
	v_max_f64 v[196:197], v[26:27], v[26:27]
	v_max_f64 v[198:199], v[28:29], v[28:29]
	v_max_f64 v[200:201], v[30:31], v[30:31]
	v_max_f64 v[202:203], v[32:33], v[32:33]
	v_max_f64 v[204:205], v[34:35], v[34:35]
	v_max_f64 v[206:207], v[36:37], v[36:37]
	v_max_f64 v[208:209], v[38:39], v[38:39]
	v_max_f64 v[210:211], v[40:41], v[40:41]
	v_max_f64 v[212:213], v[42:43], v[42:43]
	v_max_f64 v[214:215], v[44:45], v[44:45]
	v_max_f64 v[216:217], v[46:47], v[46:47]
	v_max_f64 v[218:219], v[48:49], v[48:49]
	v_max_f64 v[220:221], v[50:51], v[50:51]
	v_max_f64 v[222:223], v[52:53], v[52:53]
	v_max_f64 v[224:225], v[54:55], v[54:55]
	v_max_f64 v[226:227], v[56:57], v[56:57]
	v_max_f64 v[228:229], v[58:59], v[58:59]
	v_max_f64 v[230:231], v[60:61], v[60:61]
	v_max_f64 v[232:233], v[62:63], v[62:63]
	s_mov_b64 s[2:3], 1
	s_and_b32 vcc_lo, exec_lo, s4
	s_mov_b32 s4, 0
	v_min_f64 v[170:171], v[170:171], v[168:169]
	v_min_f64 v[172:173], v[172:173], v[168:169]
	;; [unrolled: 1-line block ×32, first 2 shown]
	s_waitcnt vmcnt(31)
	v_add_f64 v[104:105], v[104:105], v[170:171]
	s_waitcnt vmcnt(30)
	v_add_f64 v[106:107], v[172:173], v[106:107]
	;; [unrolled: 2-line block ×32, first 2 shown]
	scratch_store_b64 v70, v[104:105], off
	scratch_store_b64 v71, v[106:107], off
	;; [unrolled: 1-line block ×32, first 2 shown]
	v_mov_b32_e32 v70, 0x100
	v_mov_b32_e32 v71, 0x108
	v_mov_b32_e32 v72, 0x110
	v_mov_b32_e32 v73, 0x118
	v_mov_b32_e32 v74, 0x120
	v_mov_b32_e32 v75, 0x128
	v_mov_b32_e32 v76, 0x130
	v_mov_b32_e32 v77, 0x138
	v_mov_b32_e32 v78, 0x140
	v_mov_b32_e32 v79, 0x148
	v_mov_b32_e32 v80, 0x150
	v_mov_b32_e32 v83, 0x158
	v_mov_b32_e32 v84, 0x160
	v_mov_b32_e32 v85, 0x168
	v_mov_b32_e32 v86, 0x170
	v_mov_b32_e32 v87, 0x178
	v_mov_b32_e32 v88, 0x180
	v_mov_b32_e32 v89, 0x188
	v_mov_b32_e32 v90, 0x190
	v_mov_b32_e32 v91, 0x198
	v_mov_b32_e32 v92, 0x1a0
	v_mov_b32_e32 v93, 0x1a8
	v_mov_b32_e32 v94, 0x1b0
	v_mov_b32_e32 v95, 0x1b8
	v_mov_b32_e32 v96, 0x1c0
	v_mov_b32_e32 v97, 0x1c8
	v_mov_b32_e32 v98, 0x1d0
	v_mov_b32_e32 v99, 0x1d8
	v_mov_b32_e32 v100, 0x1e0
	v_mov_b32_e32 v101, 0x1e8
	v_mov_b32_e32 v102, 0x1f0
	v_mov_b32_e32 v103, 0x1f8
	s_cbranch_vccnz .LBB198_58
; %bb.59:
	v_add_nc_u32_e32 v60, 0x800, v68
	ds_load_2addr_b64 v[0:3], v68 offset0:3 offset1:19
	ds_load_2addr_b64 v[4:7], v68 offset0:35 offset1:51
	;; [unrolled: 1-line block ×4, first 2 shown]
	v_dual_mov_b32 v71, 24 :: v_dual_add_nc_u32 v64, 24, v69
	v_mov_b32_e32 v69, 8
	ds_load_2addr_b64 v[16:19], v68 offset0:131 offset1:147
	ds_load_2addr_b64 v[20:23], v68 offset0:163 offset1:179
	;; [unrolled: 1-line block ×12, first 2 shown]
	ds_load_2addr_stride64_b64 v[64:67], v64 offset1:4
	v_dual_mov_b32 v68, 0 :: v_dual_mov_b32 v73, 40
	v_dual_mov_b32 v70, 16 :: v_dual_mov_b32 v75, 56
	;; [unrolled: 1-line block ×5, first 2 shown]
	v_mov_b32_e32 v78, 0x50
	v_mov_b32_e32 v80, 0x60
	v_mov_b32_e32 v84, 0x70
	v_mov_b32_e32 v85, 0x78
	v_mov_b32_e32 v86, 0x80
	v_mov_b32_e32 v87, 0x88
	v_mov_b32_e32 v88, 0x90
	v_mov_b32_e32 v89, 0x98
	v_mov_b32_e32 v90, 0xa0
	v_mov_b32_e32 v91, 0xa8
	v_mov_b32_e32 v92, 0xb0
	v_mov_b32_e32 v93, 0xb8
	v_mov_b32_e32 v94, 0xc0
	v_mov_b32_e32 v95, 0xc8
	v_mov_b32_e32 v96, 0xd0
	v_mov_b32_e32 v97, 0xd8
	v_mov_b32_e32 v98, 0xe0
	v_mov_b32_e32 v99, 0xe8
	v_mov_b32_e32 v100, 0xf0
	v_mov_b32_e32 v101, 0xf8
	s_mov_b64 s[2:3], 0
	s_mov_b32 s4, -1
.LBB198_60:                             ; =>This Inner Loop Header: Depth=1
	scratch_load_b64 v[102:103], v68, off
	scratch_load_b64 v[104:105], v69, off
	;; [unrolled: 1-line block ×32, first 2 shown]
	s_cmp_eq_u32 s2, 1
	s_waitcnt lgkmcnt(16)
	v_max_f64 v[168:169], v[0:1], v[0:1]
	s_cselect_b32 vcc_lo, -1, 0
	v_max_f64 v[170:171], v[2:3], v[2:3]
	s_waitcnt lgkmcnt(0)
	v_dual_cndmask_b32 v167, v65, v67 :: v_dual_cndmask_b32 v166, v64, v66
	v_max_f64 v[172:173], v[4:5], v[4:5]
	v_max_f64 v[174:175], v[6:7], v[6:7]
	;; [unrolled: 1-line block ×31, first 2 shown]
	s_mov_b64 s[2:3], 1
	s_and_b32 vcc_lo, exec_lo, s4
	s_mov_b32 s4, 0
	v_min_f64 v[168:169], v[168:169], v[166:167]
	v_min_f64 v[170:171], v[170:171], v[166:167]
	;; [unrolled: 1-line block ×32, first 2 shown]
	s_waitcnt vmcnt(31)
	v_add_f64 v[102:103], v[102:103], v[168:169]
	s_waitcnt vmcnt(30)
	v_add_f64 v[104:105], v[170:171], v[104:105]
	;; [unrolled: 2-line block ×32, first 2 shown]
	scratch_store_b64 v68, v[102:103], off
	scratch_store_b64 v69, v[104:105], off
	;; [unrolled: 1-line block ×32, first 2 shown]
	v_mov_b32_e32 v68, 0x100
	v_mov_b32_e32 v69, 0x108
	;; [unrolled: 1-line block ×32, first 2 shown]
	s_cbranch_vccnz .LBB198_60
; %bb.61:
	scratch_load_b64 v[2:3], off, off
	s_load_b32 s3, s[0:1], 0x58
	v_dual_mov_b32 v4, 0 :: v_dual_add_nc_u32 v71, s14, v82
	v_dual_mov_b32 v5, 0 :: v_dual_add_nc_u32 v12, s13, v81
	v_mov_b32_e32 v8, 0
	v_mov_b32_e32 v9, 0
	s_and_b32 s2, exec_lo, s15
	s_delay_alu instid0(VALU_DEP_3) | instskip(SKIP_2) | instid1(VALU_DEP_1)
	v_ashrrev_i32_e32 v13, 31, v12
	s_waitcnt lgkmcnt(0)
	v_mad_i64_i32 v[0:1], null, v71, s3, 0
	v_lshlrev_b64 v[0:1], 3, v[0:1]
	s_delay_alu instid0(VALU_DEP_1) | instskip(NEXT) | instid1(VALU_DEP_2)
	v_add_co_u32 v72, vcc_lo, s10, v0
	v_add_co_ci_u32_e32 v73, vcc_lo, s11, v1, vcc_lo
	v_lshlrev_b64 v[0:1], 3, v[12:13]
	s_mov_b32 vcc_lo, s2
	s_cbranch_vccz .LBB198_63
; %bb.62:
	s_delay_alu instid0(VALU_DEP_1) | instskip(NEXT) | instid1(VALU_DEP_2)
	v_add_co_u32 v6, vcc_lo, v72, v0
	v_add_co_ci_u32_e32 v7, vcc_lo, v73, v1, vcc_lo
	flat_load_b64 v[6:7], v[6:7]
	s_waitcnt vmcnt(0) lgkmcnt(0)
	v_mul_f64 v[8:9], s[8:9], v[6:7]
.LBB198_63:
	scratch_load_b64 v[6:7], off, off offset:8
	s_clause 0x1
	s_load_b32 s4, s[0:1], 0x70
	s_load_b64 s[0:1], s[0:1], 0x78
	s_waitcnt vmcnt(1)
	v_add_f64 v[8:9], v[2:3], v[8:9]
	v_add_nc_u32_e32 v10, 4, v12
	v_cndmask_b32_e64 v13, 0, 1, s15
	s_delay_alu instid0(VALU_DEP_2)
	v_ashrrev_i32_e32 v11, 31, v10
	s_waitcnt lgkmcnt(0)
	v_mad_i64_i32 v[2:3], null, v71, s4, 0
	s_mul_i32 s1, s12, s1
	s_mul_hi_u32 s5, s12, s0
	s_mul_i32 s0, s12, s0
	s_add_i32 s1, s5, s1
	s_delay_alu instid0(SALU_CYCLE_1) | instskip(NEXT) | instid1(VALU_DEP_1)
	s_lshl_b64 s[12:13], s[0:1], 3
	v_lshlrev_b64 v[2:3], 3, v[2:3]
	s_add_u32 s1, s6, s12
	s_addc_u32 s5, s7, s13
	v_cmp_ne_u32_e64 s0, 1, v13
	s_delay_alu instid0(VALU_DEP_2) | instskip(NEXT) | instid1(VALU_DEP_3)
	v_add_co_u32 v74, vcc_lo, s1, v2
	v_add_co_ci_u32_e32 v75, vcc_lo, s5, v3, vcc_lo
	v_lshlrev_b64 v[2:3], 3, v[10:11]
	s_delay_alu instid0(VALU_DEP_3) | instskip(NEXT) | instid1(VALU_DEP_3)
	v_add_co_u32 v13, vcc_lo, v74, v0
	v_add_co_ci_u32_e32 v14, vcc_lo, v75, v1, vcc_lo
	s_and_not1_b32 vcc_lo, exec_lo, s15
	global_store_b64 v[13:14], v[8:9], off
	s_cbranch_vccnz .LBB198_65
; %bb.64:
	v_add_co_u32 v4, vcc_lo, v72, v2
	v_add_co_ci_u32_e32 v5, vcc_lo, v73, v3, vcc_lo
	flat_load_b64 v[4:5], v[4:5]
	s_waitcnt vmcnt(0) lgkmcnt(0)
	v_mul_f64 v[4:5], s[8:9], v[4:5]
.LBB198_65:
	scratch_load_b64 v[10:11], off, off offset:16
	s_waitcnt vmcnt(1)
	v_add_f64 v[13:14], v[6:7], v[4:5]
	v_add_nc_u32_e32 v4, 8, v12
	v_mov_b32_e32 v8, 0
	v_mov_b32_e32 v9, 0
	v_add_co_u32 v15, vcc_lo, v74, v2
	s_delay_alu instid0(VALU_DEP_4) | instskip(SKIP_3) | instid1(VALU_DEP_4)
	v_ashrrev_i32_e32 v5, 31, v4
	v_mov_b32_e32 v6, 0
	v_mov_b32_e32 v7, 0
	v_add_co_ci_u32_e32 v16, vcc_lo, v75, v3, vcc_lo
	v_lshlrev_b64 v[4:5], 3, v[4:5]
	s_and_b32 vcc_lo, exec_lo, s0
	global_store_b64 v[15:16], v[13:14], off
	s_cbranch_vccnz .LBB198_67
; %bb.66:
	v_add_co_u32 v6, vcc_lo, v72, v4
	v_add_co_ci_u32_e32 v7, vcc_lo, v73, v5, vcc_lo
	flat_load_b64 v[6:7], v[6:7]
	s_waitcnt vmcnt(0) lgkmcnt(0)
	v_mul_f64 v[6:7], s[8:9], v[6:7]
.LBB198_67:
	scratch_load_b64 v[13:14], off, off offset:24
	s_waitcnt vmcnt(1)
	v_add_f64 v[10:11], v[10:11], v[6:7]
	v_add_nc_u32_e32 v6, 12, v12
	v_add_co_u32 v15, vcc_lo, v74, v4
	v_add_co_ci_u32_e32 v16, vcc_lo, v75, v5, vcc_lo
	s_delay_alu instid0(VALU_DEP_3) | instskip(SKIP_1) | instid1(VALU_DEP_1)
	v_ashrrev_i32_e32 v7, 31, v6
	s_and_b32 vcc_lo, exec_lo, s0
	v_lshlrev_b64 v[6:7], 3, v[6:7]
	global_store_b64 v[15:16], v[10:11], off
	s_cbranch_vccnz .LBB198_69
; %bb.68:
	v_add_co_u32 v8, vcc_lo, v72, v6
	v_add_co_ci_u32_e32 v9, vcc_lo, v73, v7, vcc_lo
	flat_load_b64 v[8:9], v[8:9]
	s_waitcnt vmcnt(0) lgkmcnt(0)
	v_mul_f64 v[8:9], s[8:9], v[8:9]
.LBB198_69:
	scratch_load_b64 v[10:11], off, off offset:32
	s_waitcnt vmcnt(1)
	v_add_f64 v[17:18], v[13:14], v[8:9]
	v_dual_mov_b32 v13, 0 :: v_dual_add_nc_u32 v8, 16, v12
	v_add_co_u32 v19, vcc_lo, v74, v6
	v_dual_mov_b32 v14, 0 :: v_dual_mov_b32 v15, 0
	s_delay_alu instid0(VALU_DEP_3) | instskip(SKIP_3) | instid1(VALU_DEP_3)
	v_ashrrev_i32_e32 v9, 31, v8
	v_add_co_ci_u32_e32 v20, vcc_lo, v75, v7, vcc_lo
	v_mov_b32_e32 v16, 0
	s_and_b32 vcc_lo, exec_lo, s0
	v_lshlrev_b64 v[8:9], 3, v[8:9]
	global_store_b64 v[19:20], v[17:18], off
	s_cbranch_vccnz .LBB198_71
; %bb.70:
	v_add_co_u32 v15, vcc_lo, v72, v8
	v_add_co_ci_u32_e32 v16, vcc_lo, v73, v9, vcc_lo
	flat_load_b64 v[15:16], v[15:16]
	s_waitcnt vmcnt(0) lgkmcnt(0)
	v_mul_f64 v[15:16], s[8:9], v[15:16]
.LBB198_71:
	scratch_load_b64 v[17:18], off, off offset:40
	s_waitcnt vmcnt(1)
	v_add_f64 v[15:16], v[10:11], v[15:16]
	v_add_nc_u32_e32 v10, 20, v12
	v_add_co_u32 v19, vcc_lo, v74, v8
	v_add_co_ci_u32_e32 v20, vcc_lo, v75, v9, vcc_lo
	s_delay_alu instid0(VALU_DEP_3) | instskip(SKIP_1) | instid1(VALU_DEP_1)
	v_ashrrev_i32_e32 v11, 31, v10
	s_and_b32 vcc_lo, exec_lo, s0
	v_lshlrev_b64 v[10:11], 3, v[10:11]
	global_store_b64 v[19:20], v[15:16], off
	s_cbranch_vccnz .LBB198_73
; %bb.72:
	v_add_co_u32 v13, vcc_lo, v72, v10
	v_add_co_ci_u32_e32 v14, vcc_lo, v73, v11, vcc_lo
	flat_load_b64 v[13:14], v[13:14]
	s_waitcnt vmcnt(0) lgkmcnt(0)
	v_mul_f64 v[13:14], s[8:9], v[13:14]
.LBB198_73:
	scratch_load_b64 v[15:16], off, off offset:48
	s_waitcnt vmcnt(1)
	v_add_f64 v[21:22], v[17:18], v[13:14]
	v_add_nc_u32_e32 v13, 24, v12
	v_mov_b32_e32 v17, 0
	v_mov_b32_e32 v18, 0
	v_add_co_u32 v23, vcc_lo, v74, v10
	s_delay_alu instid0(VALU_DEP_4) | instskip(SKIP_3) | instid1(VALU_DEP_4)
	v_ashrrev_i32_e32 v14, 31, v13
	v_mov_b32_e32 v19, 0
	v_mov_b32_e32 v20, 0
	v_add_co_ci_u32_e32 v24, vcc_lo, v75, v11, vcc_lo
	v_lshlrev_b64 v[13:14], 3, v[13:14]
	s_and_b32 vcc_lo, exec_lo, s0
	global_store_b64 v[23:24], v[21:22], off
	s_cbranch_vccnz .LBB198_75
; %bb.74:
	v_add_co_u32 v19, vcc_lo, v72, v13
	v_add_co_ci_u32_e32 v20, vcc_lo, v73, v14, vcc_lo
	flat_load_b64 v[19:20], v[19:20]
	s_waitcnt vmcnt(0) lgkmcnt(0)
	v_mul_f64 v[19:20], s[8:9], v[19:20]
.LBB198_75:
	scratch_load_b64 v[21:22], off, off offset:56
	s_waitcnt vmcnt(1)
	v_add_f64 v[19:20], v[15:16], v[19:20]
	v_add_nc_u32_e32 v15, 28, v12
	v_add_co_u32 v23, vcc_lo, v74, v13
	v_add_co_ci_u32_e32 v24, vcc_lo, v75, v14, vcc_lo
	s_delay_alu instid0(VALU_DEP_3) | instskip(SKIP_1) | instid1(VALU_DEP_1)
	v_ashrrev_i32_e32 v16, 31, v15
	s_and_b32 vcc_lo, exec_lo, s0
	v_lshlrev_b64 v[15:16], 3, v[15:16]
	global_store_b64 v[23:24], v[19:20], off
	s_cbranch_vccnz .LBB198_77
; %bb.76:
	v_add_co_u32 v17, vcc_lo, v72, v15
	v_add_co_ci_u32_e32 v18, vcc_lo, v73, v16, vcc_lo
	flat_load_b64 v[17:18], v[17:18]
	s_waitcnt vmcnt(0) lgkmcnt(0)
	v_mul_f64 v[17:18], s[8:9], v[17:18]
.LBB198_77:
	scratch_load_b64 v[19:20], off, off offset:64
	s_waitcnt vmcnt(1)
	v_add_f64 v[25:26], v[21:22], v[17:18]
	v_add_nc_u32_e32 v17, 32, v12
	v_mov_b32_e32 v21, 0
	v_mov_b32_e32 v22, 0
	v_add_co_u32 v27, vcc_lo, v74, v15
	s_delay_alu instid0(VALU_DEP_4) | instskip(SKIP_3) | instid1(VALU_DEP_4)
	v_ashrrev_i32_e32 v18, 31, v17
	v_mov_b32_e32 v23, 0
	v_mov_b32_e32 v24, 0
	v_add_co_ci_u32_e32 v28, vcc_lo, v75, v16, vcc_lo
	v_lshlrev_b64 v[17:18], 3, v[17:18]
	s_and_b32 vcc_lo, exec_lo, s0
	;; [unrolled: 42-line block ×13, first 2 shown]
	global_store_b64 v[76:77], v[67:68], off
	s_cbranch_vccnz .LBB198_123
; %bb.122:
	v_add_co_u32 v67, vcc_lo, v72, v61
	v_add_co_ci_u32_e32 v68, vcc_lo, v73, v62, vcc_lo
	flat_load_b64 v[67:68], v[67:68]
	s_waitcnt vmcnt(0) lgkmcnt(0)
	v_mul_f64 v[69:70], s[8:9], v[67:68]
.LBB198_123:
	scratch_load_b64 v[67:68], off, off offset:248
	s_waitcnt vmcnt(1)
	v_add_f64 v[69:70], v[63:64], v[69:70]
	v_add_nc_u32_e32 v63, 0x7c, v12
	v_add_co_u32 v76, vcc_lo, v74, v61
	v_add_co_ci_u32_e32 v77, vcc_lo, v75, v62, vcc_lo
	s_delay_alu instid0(VALU_DEP_3) | instskip(SKIP_1) | instid1(VALU_DEP_1)
	v_ashrrev_i32_e32 v64, 31, v63
	s_and_b32 vcc_lo, exec_lo, s0
	v_lshlrev_b64 v[63:64], 3, v[63:64]
	global_store_b64 v[76:77], v[69:70], off
	s_cbranch_vccnz .LBB198_125
; %bb.124:
	v_add_co_u32 v65, vcc_lo, v72, v63
	v_add_co_ci_u32_e32 v66, vcc_lo, v73, v64, vcc_lo
	flat_load_b64 v[65:66], v[65:66]
	s_waitcnt vmcnt(0) lgkmcnt(0)
	v_mul_f64 v[65:66], s[8:9], v[65:66]
.LBB198_125:
	scratch_load_b64 v[69:70], off, off offset:256
	s_waitcnt vmcnt(1)
	v_add_f64 v[67:68], v[67:68], v[65:66]
	v_add_nc_u32_e32 v76, 64, v71
	v_add_co_u32 v74, vcc_lo, v74, v63
	v_add_co_ci_u32_e32 v75, vcc_lo, v75, v64, vcc_lo
	s_delay_alu instid0(VALU_DEP_3) | instskip(SKIP_2) | instid1(VALU_DEP_3)
	v_mad_i64_i32 v[65:66], null, v76, s3, 0
	v_mov_b32_e32 v71, 0
	v_mov_b32_e32 v72, 0
	v_lshlrev_b64 v[77:78], 3, v[65:66]
	v_mov_b32_e32 v65, 0
	v_mov_b32_e32 v66, 0
	s_delay_alu instid0(VALU_DEP_3) | instskip(NEXT) | instid1(VALU_DEP_4)
	v_add_co_u32 v12, vcc_lo, s10, v77
	v_add_co_ci_u32_e32 v73, vcc_lo, s11, v78, vcc_lo
	s_mov_b32 vcc_lo, s2
	global_store_b64 v[74:75], v[67:68], off
	s_cbranch_vccz .LBB198_127
; %bb.126:
	v_add_co_u32 v67, vcc_lo, v12, v0
	v_add_co_ci_u32_e32 v68, vcc_lo, v73, v1, vcc_lo
	flat_load_b64 v[67:68], v[67:68]
	s_waitcnt vmcnt(0) lgkmcnt(0)
	v_mul_f64 v[71:72], s[8:9], v[67:68]
.LBB198_127:
	scratch_load_b64 v[67:68], off, off offset:264
	s_waitcnt vmcnt(1)
	v_add_f64 v[69:70], v[69:70], v[71:72]
	v_mad_i64_i32 v[71:72], null, v76, s4, 0
	s_delay_alu instid0(VALU_DEP_1) | instskip(NEXT) | instid1(VALU_DEP_1)
	v_lshlrev_b64 v[71:72], 3, v[71:72]
	v_add_co_u32 v71, vcc_lo, s1, v71
	s_delay_alu instid0(VALU_DEP_2) | instskip(NEXT) | instid1(VALU_DEP_2)
	v_add_co_ci_u32_e32 v72, vcc_lo, s5, v72, vcc_lo
	v_add_co_u32 v0, vcc_lo, v71, v0
	s_delay_alu instid0(VALU_DEP_2)
	v_add_co_ci_u32_e32 v1, vcc_lo, v72, v1, vcc_lo
	s_and_b32 vcc_lo, exec_lo, s0
	global_store_b64 v[0:1], v[69:70], off
	s_cbranch_vccnz .LBB198_129
; %bb.128:
	v_add_co_u32 v0, vcc_lo, v12, v2
	v_add_co_ci_u32_e32 v1, vcc_lo, v73, v3, vcc_lo
	flat_load_b64 v[0:1], v[0:1]
	s_waitcnt vmcnt(0) lgkmcnt(0)
	v_mul_f64 v[65:66], s[8:9], v[0:1]
.LBB198_129:
	scratch_load_b64 v[69:70], off, off offset:272
	s_waitcnt vmcnt(1)
	v_add_f64 v[65:66], v[67:68], v[65:66]
	v_add_co_u32 v67, vcc_lo, v71, v2
	v_mov_b32_e32 v0, 0
	v_add_co_ci_u32_e32 v68, vcc_lo, v72, v3, vcc_lo
	v_dual_mov_b32 v1, 0 :: v_dual_mov_b32 v2, 0
	v_mov_b32_e32 v3, 0
	s_and_b32 vcc_lo, exec_lo, s0
	global_store_b64 v[67:68], v[65:66], off
	s_cbranch_vccnz .LBB198_131
; %bb.130:
	v_add_co_u32 v2, vcc_lo, v12, v4
	v_add_co_ci_u32_e32 v3, vcc_lo, v73, v5, vcc_lo
	flat_load_b64 v[2:3], v[2:3]
	s_waitcnt vmcnt(0) lgkmcnt(0)
	v_mul_f64 v[2:3], s[8:9], v[2:3]
.LBB198_131:
	scratch_load_b64 v[65:66], off, off offset:280
	s_waitcnt vmcnt(1)
	v_add_f64 v[2:3], v[69:70], v[2:3]
	v_add_co_u32 v4, vcc_lo, v71, v4
	v_add_co_ci_u32_e32 v5, vcc_lo, v72, v5, vcc_lo
	s_and_b32 vcc_lo, exec_lo, s0
	global_store_b64 v[4:5], v[2:3], off
	s_cbranch_vccnz .LBB198_133
; %bb.132:
	v_add_co_u32 v0, vcc_lo, v12, v6
	v_add_co_ci_u32_e32 v1, vcc_lo, v73, v7, vcc_lo
	flat_load_b64 v[0:1], v[0:1]
	s_waitcnt vmcnt(0) lgkmcnt(0)
	v_mul_f64 v[0:1], s[8:9], v[0:1]
.LBB198_133:
	scratch_load_b64 v[2:3], off, off offset:288
	s_waitcnt vmcnt(1)
	v_add_f64 v[4:5], v[65:66], v[0:1]
	v_add_co_u32 v65, vcc_lo, v71, v6
	v_mov_b32_e32 v0, 0
	v_add_co_ci_u32_e32 v66, vcc_lo, v72, v7, vcc_lo
	v_dual_mov_b32 v1, 0 :: v_dual_mov_b32 v6, 0
	v_mov_b32_e32 v7, 0
	s_and_b32 vcc_lo, exec_lo, s0
	global_store_b64 v[65:66], v[4:5], off
	s_cbranch_vccnz .LBB198_135
; %bb.134:
	v_add_co_u32 v4, vcc_lo, v12, v8
	v_add_co_ci_u32_e32 v5, vcc_lo, v73, v9, vcc_lo
	flat_load_b64 v[4:5], v[4:5]
	s_waitcnt vmcnt(0) lgkmcnt(0)
	v_mul_f64 v[6:7], s[8:9], v[4:5]
.LBB198_135:
	scratch_load_b64 v[4:5], off, off offset:296
	s_waitcnt vmcnt(1)
	v_add_f64 v[2:3], v[2:3], v[6:7]
	v_add_co_u32 v6, vcc_lo, v71, v8
	v_add_co_ci_u32_e32 v7, vcc_lo, v72, v9, vcc_lo
	s_and_b32 vcc_lo, exec_lo, s0
	global_store_b64 v[6:7], v[2:3], off
	s_cbranch_vccnz .LBB198_137
; %bb.136:
	v_add_co_u32 v0, vcc_lo, v12, v10
	v_add_co_ci_u32_e32 v1, vcc_lo, v73, v11, vcc_lo
	flat_load_b64 v[0:1], v[0:1]
	s_waitcnt vmcnt(0) lgkmcnt(0)
	v_mul_f64 v[0:1], s[8:9], v[0:1]
.LBB198_137:
	scratch_load_b64 v[2:3], off, off offset:304
	s_waitcnt vmcnt(1)
	v_add_f64 v[4:5], v[4:5], v[0:1]
	v_add_co_u32 v8, vcc_lo, v71, v10
	v_mov_b32_e32 v0, 0
	v_dual_mov_b32 v1, 0 :: v_dual_mov_b32 v6, 0
	v_add_co_ci_u32_e32 v9, vcc_lo, v72, v11, vcc_lo
	v_mov_b32_e32 v7, 0
	s_and_b32 vcc_lo, exec_lo, s0
	global_store_b64 v[8:9], v[4:5], off
	s_cbranch_vccnz .LBB198_139
; %bb.138:
	v_add_co_u32 v4, vcc_lo, v12, v13
	v_add_co_ci_u32_e32 v5, vcc_lo, v73, v14, vcc_lo
	flat_load_b64 v[4:5], v[4:5]
	s_waitcnt vmcnt(0) lgkmcnt(0)
	v_mul_f64 v[6:7], s[8:9], v[4:5]
.LBB198_139:
	scratch_load_b64 v[4:5], off, off offset:312
	s_waitcnt vmcnt(1)
	v_add_f64 v[2:3], v[2:3], v[6:7]
	v_add_co_u32 v6, vcc_lo, v71, v13
	v_add_co_ci_u32_e32 v7, vcc_lo, v72, v14, vcc_lo
	s_and_b32 vcc_lo, exec_lo, s0
	global_store_b64 v[6:7], v[2:3], off
	s_cbranch_vccnz .LBB198_141
; %bb.140:
	v_add_co_u32 v0, vcc_lo, v12, v15
	v_add_co_ci_u32_e32 v1, vcc_lo, v73, v16, vcc_lo
	flat_load_b64 v[0:1], v[0:1]
	s_waitcnt vmcnt(0) lgkmcnt(0)
	v_mul_f64 v[0:1], s[8:9], v[0:1]
.LBB198_141:
	scratch_load_b64 v[2:3], off, off offset:320
	s_waitcnt vmcnt(1)
	v_add_f64 v[4:5], v[4:5], v[0:1]
	v_add_co_u32 v8, vcc_lo, v71, v15
	v_mov_b32_e32 v0, 0
	v_dual_mov_b32 v1, 0 :: v_dual_mov_b32 v6, 0
	v_add_co_ci_u32_e32 v9, vcc_lo, v72, v16, vcc_lo
	;; [unrolled: 33-line block ×13, first 2 shown]
	v_mov_b32_e32 v7, 0
	s_and_b32 vcc_lo, exec_lo, s0
	global_store_b64 v[8:9], v[4:5], off
	s_cbranch_vccnz .LBB198_187
; %bb.186:
	v_add_co_u32 v4, vcc_lo, v12, v61
	v_add_co_ci_u32_e32 v5, vcc_lo, v73, v62, vcc_lo
	flat_load_b64 v[4:5], v[4:5]
	s_waitcnt vmcnt(0) lgkmcnt(0)
	v_mul_f64 v[6:7], s[8:9], v[4:5]
.LBB198_187:
	scratch_load_b64 v[4:5], off, off offset:504
	s_waitcnt vmcnt(1)
	v_add_f64 v[2:3], v[2:3], v[6:7]
	v_add_co_u32 v6, vcc_lo, v71, v61
	v_add_co_ci_u32_e32 v7, vcc_lo, v72, v62, vcc_lo
	s_and_b32 vcc_lo, exec_lo, s0
	global_store_b64 v[6:7], v[2:3], off
	s_cbranch_vccnz .LBB198_189
; %bb.188:
	v_add_co_u32 v0, vcc_lo, v12, v63
	v_add_co_ci_u32_e32 v1, vcc_lo, v73, v64, vcc_lo
	flat_load_b64 v[0:1], v[0:1]
	s_waitcnt vmcnt(0) lgkmcnt(0)
	v_mul_f64 v[0:1], s[8:9], v[0:1]
.LBB198_189:
	s_waitcnt vmcnt(0)
	s_delay_alu instid0(VALU_DEP_1)
	v_add_f64 v[0:1], v[4:5], v[0:1]
	v_add_co_u32 v2, vcc_lo, v71, v63
	v_add_co_ci_u32_e32 v3, vcc_lo, v72, v64, vcc_lo
	global_store_b64 v[2:3], v[0:1], off
	s_endpgm
	.section	.rodata,"a",@progbits
	.p2align	6, 0x0
	.amdhsa_kernel _ZN12_GLOBAL__N_120geam_min_plus_kernelIdddLi4ELi64ELi128ELi128ELi4ELi4ELi64ELi64ELi4ELc84ELc84ELb0ELb0ELb0EPKdS1_dEEviiiT16_PT17_ilS5_ilS3_S5_ilPT18_ili26rocblas_geam_ex_operation_
		.amdhsa_group_segment_fixed_size 16384
		.amdhsa_private_segment_fixed_size 528
		.amdhsa_kernarg_size 136
		.amdhsa_user_sgpr_count 14
		.amdhsa_user_sgpr_dispatch_ptr 0
		.amdhsa_user_sgpr_queue_ptr 0
		.amdhsa_user_sgpr_kernarg_segment_ptr 1
		.amdhsa_user_sgpr_dispatch_id 0
		.amdhsa_user_sgpr_private_segment_size 0
		.amdhsa_wavefront_size32 1
		.amdhsa_uses_dynamic_stack 0
		.amdhsa_enable_private_segment 1
		.amdhsa_system_sgpr_workgroup_id_x 1
		.amdhsa_system_sgpr_workgroup_id_y 0
		.amdhsa_system_sgpr_workgroup_id_z 1
		.amdhsa_system_sgpr_workgroup_info 0
		.amdhsa_system_vgpr_workitem_id 1
		.amdhsa_next_free_vgpr 253
		.amdhsa_next_free_sgpr 27
		.amdhsa_reserve_vcc 1
		.amdhsa_float_round_mode_32 0
		.amdhsa_float_round_mode_16_64 0
		.amdhsa_float_denorm_mode_32 3
		.amdhsa_float_denorm_mode_16_64 3
		.amdhsa_dx10_clamp 1
		.amdhsa_ieee_mode 1
		.amdhsa_fp16_overflow 0
		.amdhsa_workgroup_processor_mode 1
		.amdhsa_memory_ordered 1
		.amdhsa_forward_progress 0
		.amdhsa_shared_vgpr_count 0
		.amdhsa_exception_fp_ieee_invalid_op 0
		.amdhsa_exception_fp_denorm_src 0
		.amdhsa_exception_fp_ieee_div_zero 0
		.amdhsa_exception_fp_ieee_overflow 0
		.amdhsa_exception_fp_ieee_underflow 0
		.amdhsa_exception_fp_ieee_inexact 0
		.amdhsa_exception_int_div_zero 0
	.end_amdhsa_kernel
	.section	.text._ZN12_GLOBAL__N_120geam_min_plus_kernelIdddLi4ELi64ELi128ELi128ELi4ELi4ELi64ELi64ELi4ELc84ELc84ELb0ELb0ELb0EPKdS1_dEEviiiT16_PT17_ilS5_ilS3_S5_ilPT18_ili26rocblas_geam_ex_operation_,"axG",@progbits,_ZN12_GLOBAL__N_120geam_min_plus_kernelIdddLi4ELi64ELi128ELi128ELi4ELi4ELi64ELi64ELi4ELc84ELc84ELb0ELb0ELb0EPKdS1_dEEviiiT16_PT17_ilS5_ilS3_S5_ilPT18_ili26rocblas_geam_ex_operation_,comdat
.Lfunc_end198:
	.size	_ZN12_GLOBAL__N_120geam_min_plus_kernelIdddLi4ELi64ELi128ELi128ELi4ELi4ELi64ELi64ELi4ELc84ELc84ELb0ELb0ELb0EPKdS1_dEEviiiT16_PT17_ilS5_ilS3_S5_ilPT18_ili26rocblas_geam_ex_operation_, .Lfunc_end198-_ZN12_GLOBAL__N_120geam_min_plus_kernelIdddLi4ELi64ELi128ELi128ELi4ELi4ELi64ELi64ELi4ELc84ELc84ELb0ELb0ELb0EPKdS1_dEEviiiT16_PT17_ilS5_ilS3_S5_ilPT18_ili26rocblas_geam_ex_operation_
                                        ; -- End function
	.section	.AMDGPU.csdata,"",@progbits
; Kernel info:
; codeLenInByte = 43608
; NumSgprs: 29
; NumVgprs: 253
; ScratchSize: 528
; MemoryBound: 1
; FloatMode: 240
; IeeeMode: 1
; LDSByteSize: 16384 bytes/workgroup (compile time only)
; SGPRBlocks: 3
; VGPRBlocks: 31
; NumSGPRsForWavesPerEU: 29
; NumVGPRsForWavesPerEU: 253
; Occupancy: 5
; WaveLimiterHint : 1
; COMPUTE_PGM_RSRC2:SCRATCH_EN: 1
; COMPUTE_PGM_RSRC2:USER_SGPR: 14
; COMPUTE_PGM_RSRC2:TRAP_HANDLER: 0
; COMPUTE_PGM_RSRC2:TGID_X_EN: 1
; COMPUTE_PGM_RSRC2:TGID_Y_EN: 0
; COMPUTE_PGM_RSRC2:TGID_Z_EN: 1
; COMPUTE_PGM_RSRC2:TIDIG_COMP_CNT: 1
	.section	.text._ZN12_GLOBAL__N_120geam_min_plus_kernelIdddLi4ELi64ELi128ELi128ELi4ELi4ELi64ELi64ELi4ELc84ELc84ELb1ELb0ELb0EdKddEEviiiT16_PT17_ilS4_ilS2_S4_ilPT18_ili26rocblas_geam_ex_operation_,"axG",@progbits,_ZN12_GLOBAL__N_120geam_min_plus_kernelIdddLi4ELi64ELi128ELi128ELi4ELi4ELi64ELi64ELi4ELc84ELc84ELb1ELb0ELb0EdKddEEviiiT16_PT17_ilS4_ilS2_S4_ilPT18_ili26rocblas_geam_ex_operation_,comdat
	.globl	_ZN12_GLOBAL__N_120geam_min_plus_kernelIdddLi4ELi64ELi128ELi128ELi4ELi4ELi64ELi64ELi4ELc84ELc84ELb1ELb0ELb0EdKddEEviiiT16_PT17_ilS4_ilS2_S4_ilPT18_ili26rocblas_geam_ex_operation_ ; -- Begin function _ZN12_GLOBAL__N_120geam_min_plus_kernelIdddLi4ELi64ELi128ELi128ELi4ELi4ELi64ELi64ELi4ELc84ELc84ELb1ELb0ELb0EdKddEEviiiT16_PT17_ilS4_ilS2_S4_ilPT18_ili26rocblas_geam_ex_operation_
	.p2align	8
	.type	_ZN12_GLOBAL__N_120geam_min_plus_kernelIdddLi4ELi64ELi128ELi128ELi4ELi4ELi64ELi64ELi4ELc84ELc84ELb1ELb0ELb0EdKddEEviiiT16_PT17_ilS4_ilS2_S4_ilPT18_ili26rocblas_geam_ex_operation_,@function
_ZN12_GLOBAL__N_120geam_min_plus_kernelIdddLi4ELi64ELi128ELi128ELi4ELi4ELi64ELi64ELi4ELc84ELc84ELb1ELb0ELb0EdKddEEviiiT16_PT17_ilS4_ilS2_S4_ilPT18_ili26rocblas_geam_ex_operation_: ; @_ZN12_GLOBAL__N_120geam_min_plus_kernelIdddLi4ELi64ELi128ELi128ELi4ELi4ELi64ELi64ELi4ELc84ELc84ELb1ELb0ELb0EdKddEEviiiT16_PT17_ilS4_ilS2_S4_ilPT18_ili26rocblas_geam_ex_operation_
; %bb.0:
	s_clause 0x1
	s_load_b128 s[4:7], s[0:1], 0x10
	s_load_b128 s[8:11], s[0:1], 0x28
	s_mov_b64 s[2:3], 0
	s_waitcnt lgkmcnt(0)
	v_cmp_eq_f64_e64 s12, s[4:5], 0
	s_delay_alu instid0(VALU_DEP_1)
	s_and_b32 vcc_lo, exec_lo, s12
	s_cbranch_vccnz .LBB199_2
; %bb.1:
	s_mul_i32 s2, s15, s9
	s_mul_hi_u32 s3, s15, s8
	s_delay_alu instid0(SALU_CYCLE_1) | instskip(SKIP_1) | instid1(SALU_CYCLE_1)
	s_add_i32 s3, s3, s2
	s_mul_i32 s2, s15, s8
	s_lshl_b64 s[2:3], s[2:3], 3
	s_delay_alu instid0(SALU_CYCLE_1)
	s_add_u32 s2, s6, s2
	s_addc_u32 s3, s7, s3
.LBB199_2:
	s_clause 0x1
	s_load_b128 s[4:7], s[0:1], 0x40
	s_load_b64 s[18:19], s[0:1], 0x50
	s_and_not1_b32 vcc_lo, exec_lo, s12
	s_cbranch_vccnz .LBB199_4
; %bb.3:
	s_mov_b32 s20, 0
	s_mov_b64 s[12:13], 0
	s_cbranch_execz .LBB199_5
	s_branch .LBB199_6
.LBB199_4:
	s_mov_b32 s20, -1
                                        ; implicit-def: $sgpr12_sgpr13
.LBB199_5:
	s_waitcnt lgkmcnt(0)
	s_mul_i32 s5, s15, s5
	s_mul_hi_u32 s8, s15, s4
	s_mul_i32 s4, s15, s4
	s_add_i32 s5, s8, s5
	s_mov_b32 s20, 0
	s_lshl_b64 s[4:5], s[4:5], 3
	s_delay_alu instid0(SALU_CYCLE_1)
	s_add_u32 s12, s10, s4
	s_addc_u32 s13, s11, s5
.LBB199_6:
	s_waitcnt lgkmcnt(0)
	v_cmp_eq_f64_e64 s4, s[6:7], 0
	s_load_b128 s[8:11], s[0:1], 0x60
	s_mov_b64 s[16:17], 0
	s_delay_alu instid0(VALU_DEP_1)
	s_and_b32 vcc_lo, exec_lo, s4
	s_mov_b64 s[4:5], 0
	s_cbranch_vccnz .LBB199_8
; %bb.7:
	s_waitcnt lgkmcnt(0)
	s_mul_i32 s4, s15, s9
	s_mul_hi_u32 s5, s15, s8
	s_mul_i32 s9, s20, s8
	s_add_i32 s4, s5, s4
	s_delay_alu instid0(SALU_CYCLE_1) | instskip(SKIP_1) | instid1(SALU_CYCLE_1)
	s_add_i32 s5, s4, s9
	s_mul_i32 s4, s15, s8
	s_lshl_b64 s[4:5], s[4:5], 3
	s_delay_alu instid0(SALU_CYCLE_1)
	s_add_u32 s4, s18, s4
	s_addc_u32 s5, s19, s5
.LBB199_8:
	s_load_b32 s17, s[0:1], 0x0
	s_waitcnt lgkmcnt(0)
	s_mov_b32 s8, 0
	v_bfe_u32 v87, v0, 10, 10
	s_mov_b32 s9, s8
	v_and_b32_e32 v86, 0x3ff, v0
	v_dual_mov_b32 v0, s8 :: v_dual_mov_b32 v1, s9
	s_clause 0x1
	s_load_b32 s8, s[0:1], 0x20
	s_load_b32 s21, s[0:1], 0x38
	v_mov_b32_e32 v83, 0
	v_lshl_add_u32 v2, v87, 2, v86
	v_dual_mov_b32 v107, 0x70 :: v_dual_and_b32 v88, 3, v86
	v_lshlrev_b32_e32 v92, 5, v86
	v_mov_b32_e32 v84, 8
	s_delay_alu instid0(VALU_DEP_4)
	v_lshrrev_b32_e32 v14, 2, v2
	v_lshrrev_b32_e32 v89, 6, v2
	v_and_b32_e32 v15, 63, v2
	v_dual_mov_b32 v97, 32 :: v_dual_lshlrev_b32 v16, 3, v88
	v_mov_b32_e32 v99, 48
	s_add_i32 s9, s17, -1
	v_add_nc_u32_e32 v90, 4, v89
	s_ashr_i32 s17, s9, 31
	v_mov_b32_e32 v105, 0x60
	s_lshr_b32 s17, s17, 25
	v_lshl_or_b32 v93, v14, 5, v16
	s_add_i32 s9, s9, s17
	s_waitcnt lgkmcnt(0)
	s_ashr_i32 s22, s21, 31
	s_ashr_i32 s9, s9, 7
	v_mad_i64_i32 v[12:13], null, s21, v90, 0
	s_add_i32 s17, s9, 1
	s_not_b32 s9, s9
	v_cvt_f32_u32_e32 v3, s17
	v_add_nc_u32_e32 v32, 0x800, v92
	v_dual_mov_b32 v102, 0x48 :: v_dual_lshlrev_b32 v91, 5, v87
	s_delay_alu instid0(VALU_DEP_4) | instskip(NEXT) | instid1(VALU_DEP_4)
	v_lshlrev_b64 v[12:13], 3, v[12:13]
	v_rcp_iflag_f32_e32 v3, v3
	v_dual_mov_b32 v98, 40 :: v_dual_mov_b32 v101, 64
	v_dual_mov_b32 v100, 56 :: v_dual_mov_b32 v103, 0x50
	v_mov_b32_e32 v104, 0x58
	v_mov_b32_e32 v106, 0x68
	;; [unrolled: 1-line block ×5, first 2 shown]
	s_delay_alu instid0(TRANS32_DEP_1)
	v_mul_f32_e32 v3, 0x4f7ffffe, v3
	s_clause 0xd
	scratch_store_b64 off, v[0:1], off
	scratch_store_b64 off, v[0:1], off offset:8
	scratch_store_b64 off, v[0:1], off offset:16
	;; [unrolled: 1-line block ×13, first 2 shown]
	v_cvt_u32_f32_e32 v3, v3
	s_clause 0xe
	scratch_store_b64 off, v[0:1], off offset:112
	scratch_store_b64 off, v[0:1], off offset:120
	;; [unrolled: 1-line block ×15, first 2 shown]
	v_readfirstlane_b32 s18, v3
	s_clause 0xd
	scratch_store_b64 off, v[0:1], off offset:232
	scratch_store_b64 off, v[0:1], off offset:240
	;; [unrolled: 1-line block ×14, first 2 shown]
	s_mul_i32 s9, s9, s18
	s_clause 0x1
	scratch_store_b64 off, v[0:1], off offset:344
	scratch_store_b64 off, v[0:1], off offset:352
	s_mul_hi_u32 s9, s18, s9
	s_clause 0xf
	scratch_store_b64 off, v[0:1], off offset:360
	scratch_store_b64 off, v[0:1], off offset:368
	;; [unrolled: 1-line block ×16, first 2 shown]
	s_add_i32 s18, s18, s9
	s_clause 0x1
	scratch_store_b64 off, v[0:1], off offset:488
	scratch_store_b64 off, v[0:1], off offset:496
	s_mul_hi_u32 s9, s14, s18
	scratch_store_b64 off, v[0:1], off offset:504
	s_mul_i32 s18, s9, s17
	s_add_i32 s19, s9, 1
	s_sub_i32 s18, s14, s18
	v_mov_b32_e32 v111, 0x90
	s_sub_i32 s23, s18, s17
	s_cmp_ge_u32 s18, s17
	v_mov_b32_e32 v112, 0x98
	s_cselect_b32 s9, s19, s9
	s_cselect_b32 s18, s23, s18
	s_add_i32 s19, s9, 1
	s_cmp_ge_u32 s18, s17
	v_mov_b32_e32 v113, 0xa0
	s_cselect_b32 s9, s19, s9
	v_cmp_neq_f64_e64 s19, s[6:7], 0
	s_mul_i32 s17, s9, s17
	v_mov_b32_e32 v85, 16
	s_sub_i32 s14, s14, s17
	s_lshl_b32 s18, s9, 7
	s_lshl_b32 s14, s14, 7
	v_or_b32_e32 v6, s18, v15
	v_add_nc_u32_e32 v4, s14, v14
	v_add_co_u32 v10, s9, s2, v16
	s_delay_alu instid0(VALU_DEP_1) | instskip(NEXT) | instid1(VALU_DEP_3)
	v_add_co_ci_u32_e64 v11, null, s3, 0, s9
	v_mad_i64_i32 v[2:3], null, v4, s8, 0
	v_dual_mov_b32 v96, 24 :: v_dual_add_nc_u32 v7, 64, v4
	v_mad_i64_i32 v[4:5], null, s21, v89, 0
	v_mov_b32_e32 v114, 0xa8
	v_mov_b32_e32 v115, 0xb0
	v_lshlrev_b64 v[68:69], 3, v[2:3]
	v_mad_i64_i32 v[2:3], null, v7, s8, 0
	v_ashrrev_i32_e32 v7, 31, v6
	v_lshlrev_b64 v[4:5], 3, v[4:5]
	v_mov_b32_e32 v116, 0xb8
	v_add_co_u32 v8, vcc_lo, v10, v68
	v_add_co_ci_u32_e32 v9, vcc_lo, v11, v69, vcc_lo
	v_lshlrev_b64 v[72:73], 3, v[6:7]
	v_add_co_u32 v4, vcc_lo, s12, v4
	v_add_co_ci_u32_e32 v5, vcc_lo, s13, v5, vcc_lo
	v_lshlrev_b64 v[70:71], 3, v[2:3]
	s_delay_alu instid0(VALU_DEP_3) | instskip(NEXT) | instid1(VALU_DEP_3)
	v_add_co_u32 v2, vcc_lo, v4, v72
	v_add_co_ci_u32_e32 v3, vcc_lo, v5, v73, vcc_lo
	v_mov_b32_e32 v117, 0xc0
	s_delay_alu instid0(VALU_DEP_4)
	v_add_co_u32 v4, vcc_lo, v10, v70
	v_add_co_ci_u32_e32 v5, vcc_lo, v11, v71, vcc_lo
	flat_load_b64 v[0:1], v[8:9]
	s_clause 0x1
	flat_load_b64 v[6:7], v[2:3]
	flat_load_b64 v[2:3], v[2:3] offset:512
	flat_load_b64 v[10:11], v[4:5]
	v_add_co_u32 v12, vcc_lo, s12, v12
	v_add_co_ci_u32_e32 v13, vcc_lo, s13, v13, vcc_lo
	v_mov_b32_e32 v118, 0xc8
	s_delay_alu instid0(VALU_DEP_3) | instskip(NEXT) | instid1(VALU_DEP_3)
	v_add_co_u32 v12, vcc_lo, v12, v72
	v_add_co_ci_u32_e32 v13, vcc_lo, v13, v73, vcc_lo
	flat_load_b64 v[74:75], v[4:5] offset:32
	s_clause 0x1
	flat_load_b64 v[76:77], v[12:13]
	flat_load_b64 v[78:79], v[12:13] offset:512
	flat_load_b64 v[80:81], v[8:9] offset:32
	v_dual_mov_b32 v119, 0xd0 :: v_dual_lshlrev_b32 v4, 5, v15
	v_mov_b32_e32 v120, 0xd8
	v_mov_b32_e32 v121, 0xe0
	;; [unrolled: 1-line block ×3, first 2 shown]
	s_delay_alu instid0(VALU_DEP_4)
	v_lshl_add_u32 v82, v89, 3, v4
	v_mov_b32_e32 v123, 0xf0
	v_mov_b32_e32 v124, 0xf8
	v_add_nc_u32_e32 v94, 0x2000, v91
	s_mov_b32 s8, -1
	v_or_b32_e32 v95, 0x2000, v82
	s_waitcnt vmcnt(5) lgkmcnt(5)
	ds_store_2addr_stride64_b64 v82, v[6:7], v[2:3] offset0:16 offset1:20
	s_waitcnt vmcnt(4) lgkmcnt(5)
	ds_store_2addr_stride64_b64 v93, v[0:1], v[10:11] offset1:4
	s_waitcnt vmcnt(0) lgkmcnt(0)
	s_waitcnt_vscnt null, 0x0
	s_barrier
	buffer_gl0_inv
	ds_load_2addr_b64 v[0:3], v92 offset1:16
	ds_load_2addr_b64 v[4:7], v32 offset1:16
	ds_load_2addr_b64 v[8:11], v32 offset0:32 offset1:48
	ds_load_2addr_b64 v[12:15], v32 offset0:64 offset1:80
	;; [unrolled: 1-line block ×14, first 2 shown]
	ds_load_2addr_stride64_b64 v[64:67], v91 offset0:16 offset1:20
.LBB199_9:                              ; =>This Inner Loop Header: Depth=1
	scratch_load_b64 v[125:126], v83, off
	scratch_load_b64 v[127:128], v84, off
	;; [unrolled: 1-line block ×32, first 2 shown]
	s_cmp_eq_u32 s16, 1
	s_waitcnt lgkmcnt(16)
	v_max_f64 v[191:192], v[0:1], v[0:1]
	s_cselect_b32 vcc_lo, -1, 0
	v_max_f64 v[193:194], v[2:3], v[2:3]
	s_waitcnt lgkmcnt(0)
	v_dual_cndmask_b32 v190, v65, v67 :: v_dual_cndmask_b32 v189, v64, v66
	v_max_f64 v[195:196], v[36:37], v[36:37]
	v_max_f64 v[197:198], v[38:39], v[38:39]
	;; [unrolled: 1-line block ×31, first 2 shown]
	s_mov_b64 s[16:17], 1
	s_and_b32 vcc_lo, exec_lo, s8
	s_mov_b32 s8, 0
	v_min_f64 v[191:192], v[191:192], v[189:190]
	v_min_f64 v[193:194], v[193:194], v[189:190]
	;; [unrolled: 1-line block ×32, first 2 shown]
	s_waitcnt vmcnt(31)
	v_add_f64 v[125:126], v[125:126], v[191:192]
	s_waitcnt vmcnt(30)
	v_add_f64 v[127:128], v[193:194], v[127:128]
	s_waitcnt vmcnt(29)
	v_add_f64 v[129:130], v[195:196], v[129:130]
	s_waitcnt vmcnt(28)
	v_add_f64 v[131:132], v[197:198], v[131:132]
	s_waitcnt vmcnt(27)
	v_add_f64 v[133:134], v[199:200], v[133:134]
	s_waitcnt vmcnt(26)
	v_add_f64 v[135:136], v[201:202], v[135:136]
	s_waitcnt vmcnt(25)
	v_add_f64 v[137:138], v[203:204], v[137:138]
	s_waitcnt vmcnt(24)
	v_add_f64 v[139:140], v[205:206], v[139:140]
	s_waitcnt vmcnt(23)
	v_add_f64 v[141:142], v[207:208], v[141:142]
	s_waitcnt vmcnt(22)
	v_add_f64 v[143:144], v[209:210], v[143:144]
	s_waitcnt vmcnt(21)
	v_add_f64 v[145:146], v[211:212], v[145:146]
	s_waitcnt vmcnt(20)
	v_add_f64 v[147:148], v[213:214], v[147:148]
	s_waitcnt vmcnt(19)
	v_add_f64 v[149:150], v[215:216], v[149:150]
	s_waitcnt vmcnt(18)
	v_add_f64 v[151:152], v[217:218], v[151:152]
	s_waitcnt vmcnt(17)
	v_add_f64 v[153:154], v[219:220], v[153:154]
	s_waitcnt vmcnt(16)
	v_add_f64 v[155:156], v[221:222], v[155:156]
	s_waitcnt vmcnt(15)
	v_add_f64 v[157:158], v[223:224], v[157:158]
	s_waitcnt vmcnt(14)
	v_add_f64 v[159:160], v[225:226], v[159:160]
	s_waitcnt vmcnt(13)
	v_add_f64 v[161:162], v[227:228], v[161:162]
	s_waitcnt vmcnt(12)
	v_add_f64 v[163:164], v[229:230], v[163:164]
	s_waitcnt vmcnt(11)
	v_add_f64 v[165:166], v[231:232], v[165:166]
	s_waitcnt vmcnt(10)
	v_add_f64 v[167:168], v[233:234], v[167:168]
	s_waitcnt vmcnt(9)
	v_add_f64 v[169:170], v[235:236], v[169:170]
	s_waitcnt vmcnt(8)
	v_add_f64 v[171:172], v[237:238], v[171:172]
	s_waitcnt vmcnt(7)
	v_add_f64 v[173:174], v[239:240], v[173:174]
	s_waitcnt vmcnt(6)
	v_add_f64 v[175:176], v[241:242], v[175:176]
	s_waitcnt vmcnt(5)
	v_add_f64 v[177:178], v[243:244], v[177:178]
	s_waitcnt vmcnt(4)
	v_add_f64 v[179:180], v[245:246], v[179:180]
	s_waitcnt vmcnt(3)
	v_add_f64 v[181:182], v[247:248], v[181:182]
	s_waitcnt vmcnt(2)
	v_add_f64 v[183:184], v[249:250], v[183:184]
	s_waitcnt vmcnt(1)
	v_add_f64 v[185:186], v[251:252], v[185:186]
	s_waitcnt vmcnt(0)
	v_add_f64 v[187:188], v[189:190], v[187:188]
	scratch_store_b64 v83, v[125:126], off
	scratch_store_b64 v84, v[127:128], off
	;; [unrolled: 1-line block ×32, first 2 shown]
	v_mov_b32_e32 v83, 0x100
	v_mov_b32_e32 v84, 0x108
	;; [unrolled: 1-line block ×32, first 2 shown]
	s_cbranch_vccnz .LBB199_9
; %bb.10:
	v_dual_mov_b32 v83, 0 :: v_dual_add_nc_u32 v60, 0x800, v92
	ds_load_2addr_b64 v[0:3], v92 offset0:1 offset1:17
	ds_load_2addr_b64 v[4:7], v92 offset0:33 offset1:49
	;; [unrolled: 1-line block ×12, first 2 shown]
	v_dual_mov_b32 v85, 16 :: v_dual_add_nc_u32 v64, 8, v94
	ds_load_2addr_b64 v[48:51], v60 offset0:129 offset1:145
	ds_load_2addr_b64 v[52:55], v60 offset0:161 offset1:177
	;; [unrolled: 1-line block ×4, first 2 shown]
	ds_load_2addr_stride64_b64 v[64:67], v64 offset1:4
	v_dual_mov_b32 v84, 8 :: v_dual_mov_b32 v97, 32
	v_dual_mov_b32 v96, 24 :: v_dual_mov_b32 v99, 48
	v_dual_mov_b32 v98, 40 :: v_dual_mov_b32 v101, 64
	v_dual_mov_b32 v100, 56 :: v_dual_mov_b32 v103, 0x50
	v_mov_b32_e32 v102, 0x48
	v_mov_b32_e32 v104, 0x58
	;; [unrolled: 1-line block ×22, first 2 shown]
	s_mov_b64 s[8:9], 0
	s_mov_b32 s16, -1
.LBB199_11:                             ; =>This Inner Loop Header: Depth=1
	scratch_load_b64 v[125:126], v83, off
	scratch_load_b64 v[127:128], v84, off
	;; [unrolled: 1-line block ×32, first 2 shown]
	s_cmp_eq_u32 s8, 1
	s_waitcnt lgkmcnt(16)
	v_max_f64 v[191:192], v[0:1], v[0:1]
	s_cselect_b32 vcc_lo, -1, 0
	v_max_f64 v[193:194], v[2:3], v[2:3]
	s_waitcnt lgkmcnt(0)
	v_dual_cndmask_b32 v190, v65, v67 :: v_dual_cndmask_b32 v189, v64, v66
	v_max_f64 v[195:196], v[4:5], v[4:5]
	v_max_f64 v[197:198], v[6:7], v[6:7]
	;; [unrolled: 1-line block ×31, first 2 shown]
	s_mov_b64 s[8:9], 1
	s_and_b32 vcc_lo, exec_lo, s16
	s_mov_b32 s16, 0
	v_min_f64 v[191:192], v[191:192], v[189:190]
	v_min_f64 v[193:194], v[193:194], v[189:190]
	;; [unrolled: 1-line block ×32, first 2 shown]
	s_waitcnt vmcnt(31)
	v_add_f64 v[125:126], v[125:126], v[191:192]
	s_waitcnt vmcnt(30)
	v_add_f64 v[127:128], v[193:194], v[127:128]
	;; [unrolled: 2-line block ×32, first 2 shown]
	scratch_store_b64 v83, v[125:126], off
	scratch_store_b64 v84, v[127:128], off
	scratch_store_b64 v85, v[129:130], off
	scratch_store_b64 v96, v[131:132], off
	scratch_store_b64 v97, v[133:134], off
	scratch_store_b64 v98, v[135:136], off
	scratch_store_b64 v99, v[137:138], off
	scratch_store_b64 v100, v[139:140], off
	scratch_store_b64 v101, v[141:142], off
	scratch_store_b64 v102, v[143:144], off
	scratch_store_b64 v103, v[145:146], off
	scratch_store_b64 v104, v[147:148], off
	scratch_store_b64 v105, v[149:150], off
	scratch_store_b64 v106, v[151:152], off
	scratch_store_b64 v107, v[153:154], off
	scratch_store_b64 v108, v[155:156], off
	scratch_store_b64 v109, v[157:158], off
	scratch_store_b64 v110, v[159:160], off
	scratch_store_b64 v111, v[161:162], off
	scratch_store_b64 v112, v[163:164], off
	scratch_store_b64 v113, v[165:166], off
	scratch_store_b64 v114, v[167:168], off
	scratch_store_b64 v115, v[169:170], off
	scratch_store_b64 v116, v[171:172], off
	scratch_store_b64 v117, v[173:174], off
	scratch_store_b64 v118, v[175:176], off
	scratch_store_b64 v119, v[177:178], off
	scratch_store_b64 v120, v[179:180], off
	scratch_store_b64 v121, v[181:182], off
	scratch_store_b64 v122, v[183:184], off
	scratch_store_b64 v123, v[185:186], off
	scratch_store_b64 v124, v[187:188], off
	v_mov_b32_e32 v83, 0x100
	v_mov_b32_e32 v84, 0x108
	;; [unrolled: 1-line block ×32, first 2 shown]
	s_cbranch_vccnz .LBB199_11
; %bb.12:
	v_dual_mov_b32 v83, 0 :: v_dual_add_nc_u32 v60, 0x800, v92
	ds_load_2addr_b64 v[0:3], v92 offset0:2 offset1:18
	ds_load_2addr_b64 v[4:7], v92 offset0:34 offset1:50
	;; [unrolled: 1-line block ×12, first 2 shown]
	v_dual_mov_b32 v85, 16 :: v_dual_add_nc_u32 v64, 16, v94
	ds_load_2addr_b64 v[48:51], v60 offset0:130 offset1:146
	ds_load_2addr_b64 v[52:55], v60 offset0:162 offset1:178
	;; [unrolled: 1-line block ×4, first 2 shown]
	ds_load_2addr_stride64_b64 v[64:67], v64 offset1:4
	v_dual_mov_b32 v84, 8 :: v_dual_mov_b32 v97, 32
	v_dual_mov_b32 v96, 24 :: v_dual_mov_b32 v99, 48
	;; [unrolled: 1-line block ×4, first 2 shown]
	v_mov_b32_e32 v102, 0x48
	v_mov_b32_e32 v104, 0x58
	;; [unrolled: 1-line block ×22, first 2 shown]
	s_mov_b64 s[8:9], 0
	s_mov_b32 s16, -1
.LBB199_13:                             ; =>This Inner Loop Header: Depth=1
	scratch_load_b64 v[125:126], v83, off
	scratch_load_b64 v[127:128], v84, off
	;; [unrolled: 1-line block ×32, first 2 shown]
	s_cmp_eq_u32 s8, 1
	s_waitcnt lgkmcnt(16)
	v_max_f64 v[191:192], v[0:1], v[0:1]
	s_cselect_b32 vcc_lo, -1, 0
	v_max_f64 v[193:194], v[2:3], v[2:3]
	s_waitcnt lgkmcnt(0)
	v_dual_cndmask_b32 v190, v65, v67 :: v_dual_cndmask_b32 v189, v64, v66
	v_max_f64 v[195:196], v[4:5], v[4:5]
	v_max_f64 v[197:198], v[6:7], v[6:7]
	;; [unrolled: 1-line block ×31, first 2 shown]
	s_mov_b64 s[8:9], 1
	s_and_b32 vcc_lo, exec_lo, s16
	s_mov_b32 s16, 0
	v_min_f64 v[191:192], v[191:192], v[189:190]
	v_min_f64 v[193:194], v[193:194], v[189:190]
	;; [unrolled: 1-line block ×32, first 2 shown]
	s_waitcnt vmcnt(31)
	v_add_f64 v[125:126], v[125:126], v[191:192]
	s_waitcnt vmcnt(30)
	v_add_f64 v[127:128], v[193:194], v[127:128]
	;; [unrolled: 2-line block ×32, first 2 shown]
	scratch_store_b64 v83, v[125:126], off
	scratch_store_b64 v84, v[127:128], off
	;; [unrolled: 1-line block ×32, first 2 shown]
	v_mov_b32_e32 v83, 0x100
	v_mov_b32_e32 v84, 0x108
	;; [unrolled: 1-line block ×32, first 2 shown]
	s_cbranch_vccnz .LBB199_13
; %bb.14:
	v_dual_mov_b32 v123, 8 :: v_dual_add_nc_u32 v60, 0x800, v92
	ds_load_2addr_b64 v[0:3], v92 offset0:3 offset1:19
	ds_load_2addr_b64 v[4:7], v92 offset0:35 offset1:51
	;; [unrolled: 1-line block ×12, first 2 shown]
	v_dual_mov_b32 v121, 24 :: v_dual_add_nc_u32 v64, 24, v94
	ds_load_2addr_b64 v[48:51], v60 offset0:131 offset1:147
	ds_load_2addr_b64 v[52:55], v60 offset0:163 offset1:179
	;; [unrolled: 1-line block ×4, first 2 shown]
	ds_load_2addr_stride64_b64 v[64:67], v64 offset1:4
	v_dual_mov_b32 v124, 0 :: v_dual_mov_b32 v119, 40
	v_dual_mov_b32 v122, 16 :: v_dual_mov_b32 v117, 56
	;; [unrolled: 1-line block ×5, first 2 shown]
	v_mov_b32_e32 v114, 0x50
	v_mov_b32_e32 v112, 0x60
	;; [unrolled: 1-line block ×20, first 2 shown]
	s_mov_b64 s[8:9], 0
	s_mov_b32 s16, -1
.LBB199_15:                             ; =>This Inner Loop Header: Depth=1
	scratch_load_b64 v[129:130], v124, off
	s_cmp_eq_u32 s8, 1
	s_waitcnt lgkmcnt(16)
	v_max_f64 v[127:128], v[0:1], v[0:1]
	s_cselect_b32 vcc_lo, -1, 0
	s_mov_b64 s[8:9], 1
	s_waitcnt lgkmcnt(0)
	v_dual_cndmask_b32 v126, v65, v67 :: v_dual_cndmask_b32 v125, v64, v66
	s_and_b32 vcc_lo, exec_lo, s16
	s_mov_b32 s16, 0
	s_delay_alu instid0(VALU_DEP_1) | instskip(NEXT) | instid1(VALU_DEP_1)
	v_max_f64 v[125:126], v[125:126], v[125:126]
	v_min_f64 v[127:128], v[127:128], v[125:126]
	s_waitcnt vmcnt(0)
	s_delay_alu instid0(VALU_DEP_1) | instskip(SKIP_3) | instid1(VALU_DEP_1)
	v_add_f64 v[127:128], v[129:130], v[127:128]
	scratch_load_b64 v[129:130], v123, off
	scratch_store_b64 v124, v[127:128], off
	v_max_f64 v[127:128], v[2:3], v[2:3]
	v_min_f64 v[127:128], v[127:128], v[125:126]
	s_waitcnt vmcnt(0)
	s_delay_alu instid0(VALU_DEP_1) | instskip(SKIP_3) | instid1(VALU_DEP_1)
	v_add_f64 v[127:128], v[127:128], v[129:130]
	scratch_store_b64 v123, v[127:128], off
	scratch_load_b64 v[127:128], v122, off
	v_max_f64 v[123:124], v[4:5], v[4:5]
	v_min_f64 v[123:124], v[123:124], v[125:126]
	s_waitcnt vmcnt(0)
	s_delay_alu instid0(VALU_DEP_1) | instskip(SKIP_3) | instid1(VALU_DEP_1)
	v_add_f64 v[123:124], v[123:124], v[127:128]
	scratch_load_b64 v[127:128], v121, off
	scratch_store_b64 v122, v[123:124], off
	v_max_f64 v[122:123], v[6:7], v[6:7]
	v_min_f64 v[122:123], v[122:123], v[125:126]
	s_waitcnt vmcnt(0)
	s_delay_alu instid0(VALU_DEP_1) | instskip(SKIP_3) | instid1(VALU_DEP_1)
	v_add_f64 v[122:123], v[122:123], v[127:128]
	scratch_store_b64 v121, v[122:123], off
	scratch_load_b64 v[123:124], v120, off
	v_max_f64 v[121:122], v[8:9], v[8:9]
	v_min_f64 v[121:122], v[121:122], v[125:126]
	s_waitcnt vmcnt(0)
	s_delay_alu instid0(VALU_DEP_1) | instskip(SKIP_4) | instid1(VALU_DEP_1)
	v_add_f64 v[121:122], v[121:122], v[123:124]
	v_mov_b32_e32 v124, 0x100
	scratch_store_b64 v120, v[121:122], off
	scratch_load_b64 v[122:123], v119, off
	v_max_f64 v[120:121], v[10:11], v[10:11]
	v_min_f64 v[120:121], v[120:121], v[125:126]
	s_waitcnt vmcnt(0)
	s_delay_alu instid0(VALU_DEP_1) | instskip(SKIP_4) | instid1(VALU_DEP_1)
	v_add_f64 v[120:121], v[120:121], v[122:123]
	v_mov_b32_e32 v123, 0x108
	;; [unrolled: 8-line block ×25, first 2 shown]
	scratch_store_b64 v96, v[97:98], off
	scratch_load_b64 v[98:99], v85, off
	v_max_f64 v[96:97], v[58:59], v[58:59]
	v_min_f64 v[96:97], v[96:97], v[125:126]
	s_waitcnt vmcnt(0)
	s_delay_alu instid0(VALU_DEP_1) | instskip(SKIP_3) | instid1(VALU_DEP_1)
	v_add_f64 v[96:97], v[96:97], v[98:99]
	scratch_load_b64 v[98:99], v84, off
	scratch_store_b64 v85, v[96:97], off
	v_max_f64 v[96:97], v[60:61], v[60:61]
	v_min_f64 v[96:97], v[96:97], v[125:126]
	s_waitcnt vmcnt(0)
	s_delay_alu instid0(VALU_DEP_1)
	v_add_f64 v[96:97], v[96:97], v[98:99]
	v_mov_b32_e32 v99, 0x1c8
	v_mov_b32_e32 v98, 0x1d0
	scratch_store_b64 v84, v[96:97], off
	scratch_load_b64 v[96:97], v83, off
	v_max_f64 v[84:85], v[62:63], v[62:63]
	s_delay_alu instid0(VALU_DEP_1) | instskip(SKIP_1) | instid1(VALU_DEP_1)
	v_min_f64 v[84:85], v[84:85], v[125:126]
	s_waitcnt vmcnt(0)
	v_add_f64 v[84:85], v[84:85], v[96:97]
	v_mov_b32_e32 v97, 0x1d8
	v_mov_b32_e32 v96, 0x1e0
	scratch_store_b64 v83, v[84:85], off
	v_mov_b32_e32 v85, 0x1e8
	v_mov_b32_e32 v84, 0x1f0
	;; [unrolled: 1-line block ×3, first 2 shown]
	s_cbranch_vccnz .LBB199_15
; %bb.16:
	s_load_b32 s8, s[0:1], 0x8
	s_mov_b32 s16, 8
	ds_store_2addr_stride64_b64 v93, v[80:81], v[74:75] offset0:8 offset1:12
	ds_store_2addr_stride64_b64 v82, v[76:77], v[78:79] offset0:24 offset1:28
	s_waitcnt lgkmcnt(0)
	s_waitcnt_vscnt null, 0x0
	s_barrier
	buffer_gl0_inv
	s_cmp_gt_i32 s8, 8
	s_cbranch_scc0 .LBB199_35
; %bb.17:
	v_lshl_add_u32 v98, v86, 5, 0x1000
	v_add_co_u32 v100, vcc_lo, s12, v72
	v_add_nc_u32_e32 v96, 0x1000, v93
	v_or_b32_e32 v97, 0x3000, v82
	v_lshl_add_u32 v99, v87, 5, 0x3000
	v_add_co_ci_u32_e32 v101, vcc_lo, s13, v73, vcc_lo
	v_dual_mov_b32 v73, 0 :: v_dual_add_nc_u32 v102, 0x800, v98
	s_add_i32 s12, s8, -8
	s_mov_b32 s13, 0
.LBB199_18:                             ; =>This Loop Header: Depth=1
                                        ;     Child Loop BB199_19 Depth 2
                                        ;     Child Loop BB199_21 Depth 2
	;; [unrolled: 1-line block ×8, first 2 shown]
	v_add_nc_u32_e32 v6, s16, v89
	v_or_b32_e32 v72, s16, v88
	v_dual_mov_b32 v133, 0 :: v_dual_mov_b32 v132, 8
	v_dual_mov_b32 v131, 16 :: v_dual_mov_b32 v130, 24
	s_delay_alu instid0(VALU_DEP_4) | instskip(NEXT) | instid1(VALU_DEP_4)
	v_mad_u64_u32 v[0:1], null, v6, s21, 0
	v_lshlrev_b64 v[2:3], 3, v[72:73]
	v_dual_mov_b32 v129, 32 :: v_dual_mov_b32 v128, 40
	v_dual_mov_b32 v127, 48 :: v_dual_mov_b32 v126, 56
	;; [unrolled: 1-line block ×3, first 2 shown]
	s_delay_alu instid0(VALU_DEP_4) | instskip(SKIP_3) | instid1(VALU_DEP_3)
	v_mad_u64_u32 v[4:5], null, v6, s22, v[1:2]
	v_add_co_u32 v2, vcc_lo, s2, v2
	v_add_co_ci_u32_e32 v3, vcc_lo, s3, v3, vcc_lo
	v_mov_b32_e32 v123, 0x50
	v_add_co_u32 v74, vcc_lo, v2, v68
	v_mov_b32_e32 v1, v4
	s_delay_alu instid0(VALU_DEP_4) | instskip(SKIP_1) | instid1(VALU_DEP_3)
	v_add_co_ci_u32_e32 v75, vcc_lo, v3, v69, vcc_lo
	v_add_co_u32 v76, vcc_lo, v2, v70
	v_lshlrev_b64 v[0:1], 3, v[0:1]
	v_add_co_ci_u32_e32 v77, vcc_lo, v3, v71, vcc_lo
	v_mov_b32_e32 v122, 0x58
	v_mov_b32_e32 v121, 0x60
	;; [unrolled: 1-line block ×3, first 2 shown]
	v_add_co_u32 v0, vcc_lo, v100, v0
	v_add_co_ci_u32_e32 v1, vcc_lo, v101, v1, vcc_lo
	s_clause 0x1
	flat_load_b64 v[78:79], v[74:75]
	flat_load_b64 v[80:81], v[76:77]
	s_clause 0x1
	flat_load_b64 v[82:83], v[0:1]
	flat_load_b64 v[84:85], v[0:1] offset:512
	ds_load_2addr_b64 v[0:3], v98 offset1:16
	ds_load_2addr_b64 v[4:7], v98 offset0:32 offset1:48
	ds_load_2addr_b64 v[8:11], v98 offset0:64 offset1:80
	;; [unrolled: 1-line block ×7, first 2 shown]
	ds_load_2addr_b64 v[32:35], v102 offset1:16
	ds_load_2addr_b64 v[36:39], v102 offset0:32 offset1:48
	ds_load_2addr_b64 v[40:43], v102 offset0:64 offset1:80
	;; [unrolled: 1-line block ×7, first 2 shown]
	ds_load_2addr_stride64_b64 v[64:67], v99 offset1:4
	v_mov_b32_e32 v119, 0x70
	v_mov_b32_e32 v118, 0x78
	;; [unrolled: 1-line block ×18, first 2 shown]
	s_mov_b64 s[8:9], 0
	s_mov_b32 s17, -1
.LBB199_19:                             ;   Parent Loop BB199_18 Depth=1
                                        ; =>  This Inner Loop Header: Depth=2
	scratch_load_b64 v[138:139], v133, off
	s_cmp_eq_u32 s8, 1
	s_waitcnt lgkmcnt(16)
	v_max_f64 v[136:137], v[0:1], v[0:1]
	s_cselect_b32 vcc_lo, -1, 0
	s_mov_b64 s[8:9], 1
	s_waitcnt lgkmcnt(0)
	v_dual_cndmask_b32 v135, v65, v67 :: v_dual_cndmask_b32 v134, v64, v66
	s_and_b32 vcc_lo, exec_lo, s17
	s_mov_b32 s17, 0
	s_delay_alu instid0(VALU_DEP_1) | instskip(NEXT) | instid1(VALU_DEP_1)
	v_max_f64 v[134:135], v[134:135], v[134:135]
	v_min_f64 v[136:137], v[136:137], v[134:135]
	s_waitcnt vmcnt(0)
	s_delay_alu instid0(VALU_DEP_1) | instskip(SKIP_3) | instid1(VALU_DEP_1)
	v_add_f64 v[136:137], v[138:139], v[136:137]
	scratch_load_b64 v[138:139], v132, off
	scratch_store_b64 v133, v[136:137], off
	v_max_f64 v[136:137], v[2:3], v[2:3]
	v_min_f64 v[136:137], v[136:137], v[134:135]
	s_waitcnt vmcnt(0)
	s_delay_alu instid0(VALU_DEP_1) | instskip(SKIP_3) | instid1(VALU_DEP_1)
	v_add_f64 v[136:137], v[136:137], v[138:139]
	scratch_store_b64 v132, v[136:137], off
	scratch_load_b64 v[136:137], v131, off
	v_max_f64 v[132:133], v[4:5], v[4:5]
	v_min_f64 v[132:133], v[132:133], v[134:135]
	s_waitcnt vmcnt(0)
	s_delay_alu instid0(VALU_DEP_1) | instskip(SKIP_3) | instid1(VALU_DEP_1)
	v_add_f64 v[132:133], v[132:133], v[136:137]
	scratch_load_b64 v[136:137], v130, off
	scratch_store_b64 v131, v[132:133], off
	v_max_f64 v[131:132], v[6:7], v[6:7]
	v_min_f64 v[131:132], v[131:132], v[134:135]
	s_waitcnt vmcnt(0)
	s_delay_alu instid0(VALU_DEP_1) | instskip(SKIP_3) | instid1(VALU_DEP_1)
	v_add_f64 v[131:132], v[131:132], v[136:137]
	scratch_store_b64 v130, v[131:132], off
	scratch_load_b64 v[132:133], v129, off
	v_max_f64 v[130:131], v[8:9], v[8:9]
	v_min_f64 v[130:131], v[130:131], v[134:135]
	s_waitcnt vmcnt(0)
	s_delay_alu instid0(VALU_DEP_1) | instskip(SKIP_4) | instid1(VALU_DEP_1)
	v_add_f64 v[130:131], v[130:131], v[132:133]
	v_mov_b32_e32 v133, 0x100
	scratch_store_b64 v129, v[130:131], off
	scratch_load_b64 v[131:132], v128, off
	v_max_f64 v[129:130], v[10:11], v[10:11]
	v_min_f64 v[129:130], v[129:130], v[134:135]
	s_waitcnt vmcnt(0)
	s_delay_alu instid0(VALU_DEP_1) | instskip(SKIP_4) | instid1(VALU_DEP_1)
	v_add_f64 v[129:130], v[129:130], v[131:132]
	v_mov_b32_e32 v132, 0x108
	;; [unrolled: 8-line block ×27, first 2 shown]
	scratch_store_b64 v103, v[104:105], off
	scratch_load_b64 v[105:106], v72, off
	v_max_f64 v[103:104], v[62:63], v[62:63]
	v_min_f64 v[103:104], v[103:104], v[134:135]
	s_waitcnt vmcnt(0)
	s_delay_alu instid0(VALU_DEP_1)
	v_add_f64 v[103:104], v[103:104], v[105:106]
	v_mov_b32_e32 v106, 0x1d8
	v_mov_b32_e32 v105, 0x1e0
	scratch_store_b64 v72, v[103:104], off
	v_mov_b32_e32 v104, 0x1e8
	v_mov_b32_e32 v103, 0x1f0
	;; [unrolled: 1-line block ×3, first 2 shown]
	s_cbranch_vccnz .LBB199_19
; %bb.20:                               ;   in Loop: Header=BB199_18 Depth=1
	ds_load_2addr_b64 v[0:3], v98 offset0:1 offset1:17
	ds_load_2addr_b64 v[4:7], v98 offset0:33 offset1:49
	;; [unrolled: 1-line block ×12, first 2 shown]
	v_dual_mov_b32 v133, 0 :: v_dual_add_nc_u32 v64, 8, v99
	ds_load_2addr_b64 v[48:51], v102 offset0:129 offset1:145
	ds_load_2addr_b64 v[52:55], v102 offset0:161 offset1:177
	;; [unrolled: 1-line block ×4, first 2 shown]
	ds_load_2addr_stride64_b64 v[64:67], v64 offset1:4
	v_dual_mov_b32 v132, 8 :: v_dual_mov_b32 v131, 16
	v_dual_mov_b32 v130, 24 :: v_dual_mov_b32 v129, 32
	;; [unrolled: 1-line block ×4, first 2 shown]
	v_mov_b32_e32 v124, 0x48
	v_mov_b32_e32 v123, 0x50
	;; [unrolled: 1-line block ×23, first 2 shown]
	s_mov_b64 s[8:9], 0
	s_mov_b32 s17, -1
.LBB199_21:                             ;   Parent Loop BB199_18 Depth=1
                                        ; =>  This Inner Loop Header: Depth=2
	scratch_load_b64 v[138:139], v133, off
	s_cmp_eq_u32 s8, 1
	s_waitcnt lgkmcnt(16)
	v_max_f64 v[136:137], v[0:1], v[0:1]
	s_cselect_b32 vcc_lo, -1, 0
	s_mov_b64 s[8:9], 1
	s_waitcnt lgkmcnt(0)
	v_dual_cndmask_b32 v135, v65, v67 :: v_dual_cndmask_b32 v134, v64, v66
	s_and_b32 vcc_lo, exec_lo, s17
	s_mov_b32 s17, 0
	s_delay_alu instid0(VALU_DEP_1) | instskip(NEXT) | instid1(VALU_DEP_1)
	v_max_f64 v[134:135], v[134:135], v[134:135]
	v_min_f64 v[136:137], v[136:137], v[134:135]
	s_waitcnt vmcnt(0)
	s_delay_alu instid0(VALU_DEP_1) | instskip(SKIP_3) | instid1(VALU_DEP_1)
	v_add_f64 v[136:137], v[138:139], v[136:137]
	scratch_load_b64 v[138:139], v132, off
	scratch_store_b64 v133, v[136:137], off
	v_max_f64 v[136:137], v[2:3], v[2:3]
	v_min_f64 v[136:137], v[136:137], v[134:135]
	s_waitcnt vmcnt(0)
	s_delay_alu instid0(VALU_DEP_1) | instskip(SKIP_3) | instid1(VALU_DEP_1)
	v_add_f64 v[136:137], v[136:137], v[138:139]
	scratch_store_b64 v132, v[136:137], off
	scratch_load_b64 v[136:137], v131, off
	v_max_f64 v[132:133], v[4:5], v[4:5]
	v_min_f64 v[132:133], v[132:133], v[134:135]
	s_waitcnt vmcnt(0)
	s_delay_alu instid0(VALU_DEP_1) | instskip(SKIP_3) | instid1(VALU_DEP_1)
	v_add_f64 v[132:133], v[132:133], v[136:137]
	scratch_load_b64 v[136:137], v130, off
	scratch_store_b64 v131, v[132:133], off
	v_max_f64 v[131:132], v[6:7], v[6:7]
	v_min_f64 v[131:132], v[131:132], v[134:135]
	s_waitcnt vmcnt(0)
	s_delay_alu instid0(VALU_DEP_1) | instskip(SKIP_3) | instid1(VALU_DEP_1)
	v_add_f64 v[131:132], v[131:132], v[136:137]
	scratch_store_b64 v130, v[131:132], off
	scratch_load_b64 v[132:133], v129, off
	v_max_f64 v[130:131], v[8:9], v[8:9]
	v_min_f64 v[130:131], v[130:131], v[134:135]
	s_waitcnt vmcnt(0)
	s_delay_alu instid0(VALU_DEP_1) | instskip(SKIP_4) | instid1(VALU_DEP_1)
	v_add_f64 v[130:131], v[130:131], v[132:133]
	v_mov_b32_e32 v133, 0x100
	scratch_store_b64 v129, v[130:131], off
	scratch_load_b64 v[131:132], v128, off
	v_max_f64 v[129:130], v[10:11], v[10:11]
	v_min_f64 v[129:130], v[129:130], v[134:135]
	s_waitcnt vmcnt(0)
	s_delay_alu instid0(VALU_DEP_1) | instskip(SKIP_4) | instid1(VALU_DEP_1)
	v_add_f64 v[129:130], v[129:130], v[131:132]
	v_mov_b32_e32 v132, 0x108
	;; [unrolled: 8-line block ×27, first 2 shown]
	scratch_store_b64 v103, v[104:105], off
	scratch_load_b64 v[105:106], v72, off
	v_max_f64 v[103:104], v[62:63], v[62:63]
	v_min_f64 v[103:104], v[103:104], v[134:135]
	s_waitcnt vmcnt(0)
	s_delay_alu instid0(VALU_DEP_1)
	v_add_f64 v[103:104], v[103:104], v[105:106]
	v_mov_b32_e32 v106, 0x1d8
	v_mov_b32_e32 v105, 0x1e0
	scratch_store_b64 v72, v[103:104], off
	v_mov_b32_e32 v104, 0x1e8
	v_mov_b32_e32 v103, 0x1f0
	;; [unrolled: 1-line block ×3, first 2 shown]
	s_cbranch_vccnz .LBB199_21
; %bb.22:                               ;   in Loop: Header=BB199_18 Depth=1
	ds_load_2addr_b64 v[0:3], v98 offset0:2 offset1:18
	ds_load_2addr_b64 v[4:7], v98 offset0:34 offset1:50
	;; [unrolled: 1-line block ×12, first 2 shown]
	v_dual_mov_b32 v133, 0 :: v_dual_add_nc_u32 v64, 16, v99
	ds_load_2addr_b64 v[48:51], v102 offset0:130 offset1:146
	ds_load_2addr_b64 v[52:55], v102 offset0:162 offset1:178
	;; [unrolled: 1-line block ×4, first 2 shown]
	ds_load_2addr_stride64_b64 v[64:67], v64 offset1:4
	v_dual_mov_b32 v132, 8 :: v_dual_mov_b32 v131, 16
	v_dual_mov_b32 v130, 24 :: v_dual_mov_b32 v129, 32
	;; [unrolled: 1-line block ×4, first 2 shown]
	v_mov_b32_e32 v124, 0x48
	v_mov_b32_e32 v123, 0x50
	;; [unrolled: 1-line block ×23, first 2 shown]
	s_mov_b64 s[8:9], 0
	s_mov_b32 s17, -1
.LBB199_23:                             ;   Parent Loop BB199_18 Depth=1
                                        ; =>  This Inner Loop Header: Depth=2
	scratch_load_b64 v[138:139], v133, off
	s_cmp_eq_u32 s8, 1
	s_waitcnt lgkmcnt(16)
	v_max_f64 v[136:137], v[0:1], v[0:1]
	s_cselect_b32 vcc_lo, -1, 0
	s_mov_b64 s[8:9], 1
	s_waitcnt lgkmcnt(0)
	v_dual_cndmask_b32 v135, v65, v67 :: v_dual_cndmask_b32 v134, v64, v66
	s_and_b32 vcc_lo, exec_lo, s17
	s_mov_b32 s17, 0
	s_delay_alu instid0(VALU_DEP_1) | instskip(NEXT) | instid1(VALU_DEP_1)
	v_max_f64 v[134:135], v[134:135], v[134:135]
	v_min_f64 v[136:137], v[136:137], v[134:135]
	s_waitcnt vmcnt(0)
	s_delay_alu instid0(VALU_DEP_1) | instskip(SKIP_3) | instid1(VALU_DEP_1)
	v_add_f64 v[136:137], v[138:139], v[136:137]
	scratch_load_b64 v[138:139], v132, off
	scratch_store_b64 v133, v[136:137], off
	v_max_f64 v[136:137], v[2:3], v[2:3]
	v_min_f64 v[136:137], v[136:137], v[134:135]
	s_waitcnt vmcnt(0)
	s_delay_alu instid0(VALU_DEP_1) | instskip(SKIP_3) | instid1(VALU_DEP_1)
	v_add_f64 v[136:137], v[136:137], v[138:139]
	scratch_store_b64 v132, v[136:137], off
	scratch_load_b64 v[136:137], v131, off
	v_max_f64 v[132:133], v[4:5], v[4:5]
	v_min_f64 v[132:133], v[132:133], v[134:135]
	s_waitcnt vmcnt(0)
	s_delay_alu instid0(VALU_DEP_1) | instskip(SKIP_3) | instid1(VALU_DEP_1)
	v_add_f64 v[132:133], v[132:133], v[136:137]
	scratch_load_b64 v[136:137], v130, off
	scratch_store_b64 v131, v[132:133], off
	v_max_f64 v[131:132], v[6:7], v[6:7]
	v_min_f64 v[131:132], v[131:132], v[134:135]
	s_waitcnt vmcnt(0)
	s_delay_alu instid0(VALU_DEP_1) | instskip(SKIP_3) | instid1(VALU_DEP_1)
	v_add_f64 v[131:132], v[131:132], v[136:137]
	scratch_store_b64 v130, v[131:132], off
	scratch_load_b64 v[132:133], v129, off
	v_max_f64 v[130:131], v[8:9], v[8:9]
	v_min_f64 v[130:131], v[130:131], v[134:135]
	s_waitcnt vmcnt(0)
	s_delay_alu instid0(VALU_DEP_1) | instskip(SKIP_4) | instid1(VALU_DEP_1)
	v_add_f64 v[130:131], v[130:131], v[132:133]
	v_mov_b32_e32 v133, 0x100
	scratch_store_b64 v129, v[130:131], off
	scratch_load_b64 v[131:132], v128, off
	v_max_f64 v[129:130], v[10:11], v[10:11]
	v_min_f64 v[129:130], v[129:130], v[134:135]
	s_waitcnt vmcnt(0)
	s_delay_alu instid0(VALU_DEP_1) | instskip(SKIP_4) | instid1(VALU_DEP_1)
	v_add_f64 v[129:130], v[129:130], v[131:132]
	v_mov_b32_e32 v132, 0x108
	;; [unrolled: 8-line block ×27, first 2 shown]
	scratch_store_b64 v103, v[104:105], off
	scratch_load_b64 v[105:106], v72, off
	v_max_f64 v[103:104], v[62:63], v[62:63]
	v_min_f64 v[103:104], v[103:104], v[134:135]
	s_waitcnt vmcnt(0)
	s_delay_alu instid0(VALU_DEP_1)
	v_add_f64 v[103:104], v[103:104], v[105:106]
	v_mov_b32_e32 v106, 0x1d8
	v_mov_b32_e32 v105, 0x1e0
	scratch_store_b64 v72, v[103:104], off
	v_mov_b32_e32 v104, 0x1e8
	v_mov_b32_e32 v103, 0x1f0
	v_mov_b32_e32 v72, 0x1f8
	s_cbranch_vccnz .LBB199_23
; %bb.24:                               ;   in Loop: Header=BB199_18 Depth=1
	ds_load_2addr_b64 v[0:3], v98 offset0:3 offset1:19
	ds_load_2addr_b64 v[4:7], v98 offset0:35 offset1:51
	;; [unrolled: 1-line block ×12, first 2 shown]
	v_dual_mov_b32 v133, 0 :: v_dual_add_nc_u32 v64, 24, v99
	ds_load_2addr_b64 v[48:51], v102 offset0:131 offset1:147
	ds_load_2addr_b64 v[52:55], v102 offset0:163 offset1:179
	;; [unrolled: 1-line block ×4, first 2 shown]
	ds_load_2addr_stride64_b64 v[64:67], v64 offset1:4
	v_dual_mov_b32 v132, 8 :: v_dual_mov_b32 v131, 16
	v_dual_mov_b32 v130, 24 :: v_dual_mov_b32 v129, 32
	;; [unrolled: 1-line block ×4, first 2 shown]
	v_mov_b32_e32 v124, 0x48
	v_mov_b32_e32 v123, 0x50
	;; [unrolled: 1-line block ×23, first 2 shown]
	s_mov_b64 s[8:9], 0
	s_mov_b32 s17, -1
.LBB199_25:                             ;   Parent Loop BB199_18 Depth=1
                                        ; =>  This Inner Loop Header: Depth=2
	scratch_load_b64 v[138:139], v133, off
	s_cmp_eq_u32 s8, 1
	s_waitcnt lgkmcnt(16)
	v_max_f64 v[136:137], v[0:1], v[0:1]
	s_cselect_b32 vcc_lo, -1, 0
	s_mov_b64 s[8:9], 1
	s_waitcnt lgkmcnt(0)
	v_dual_cndmask_b32 v135, v65, v67 :: v_dual_cndmask_b32 v134, v64, v66
	s_and_b32 vcc_lo, exec_lo, s17
	s_mov_b32 s17, 0
	s_delay_alu instid0(VALU_DEP_1) | instskip(NEXT) | instid1(VALU_DEP_1)
	v_max_f64 v[134:135], v[134:135], v[134:135]
	v_min_f64 v[136:137], v[136:137], v[134:135]
	s_waitcnt vmcnt(0)
	s_delay_alu instid0(VALU_DEP_1) | instskip(SKIP_3) | instid1(VALU_DEP_1)
	v_add_f64 v[136:137], v[138:139], v[136:137]
	scratch_load_b64 v[138:139], v132, off
	scratch_store_b64 v133, v[136:137], off
	v_max_f64 v[136:137], v[2:3], v[2:3]
	v_min_f64 v[136:137], v[136:137], v[134:135]
	s_waitcnt vmcnt(0)
	s_delay_alu instid0(VALU_DEP_1) | instskip(SKIP_3) | instid1(VALU_DEP_1)
	v_add_f64 v[136:137], v[136:137], v[138:139]
	scratch_store_b64 v132, v[136:137], off
	scratch_load_b64 v[136:137], v131, off
	v_max_f64 v[132:133], v[4:5], v[4:5]
	v_min_f64 v[132:133], v[132:133], v[134:135]
	s_waitcnt vmcnt(0)
	s_delay_alu instid0(VALU_DEP_1) | instskip(SKIP_3) | instid1(VALU_DEP_1)
	v_add_f64 v[132:133], v[132:133], v[136:137]
	scratch_load_b64 v[136:137], v130, off
	scratch_store_b64 v131, v[132:133], off
	v_max_f64 v[131:132], v[6:7], v[6:7]
	v_min_f64 v[131:132], v[131:132], v[134:135]
	s_waitcnt vmcnt(0)
	s_delay_alu instid0(VALU_DEP_1) | instskip(SKIP_3) | instid1(VALU_DEP_1)
	v_add_f64 v[131:132], v[131:132], v[136:137]
	scratch_store_b64 v130, v[131:132], off
	scratch_load_b64 v[132:133], v129, off
	v_max_f64 v[130:131], v[8:9], v[8:9]
	v_min_f64 v[130:131], v[130:131], v[134:135]
	s_waitcnt vmcnt(0)
	s_delay_alu instid0(VALU_DEP_1) | instskip(SKIP_4) | instid1(VALU_DEP_1)
	v_add_f64 v[130:131], v[130:131], v[132:133]
	v_mov_b32_e32 v133, 0x100
	scratch_store_b64 v129, v[130:131], off
	scratch_load_b64 v[131:132], v128, off
	v_max_f64 v[129:130], v[10:11], v[10:11]
	v_min_f64 v[129:130], v[129:130], v[134:135]
	s_waitcnt vmcnt(0)
	s_delay_alu instid0(VALU_DEP_1) | instskip(SKIP_4) | instid1(VALU_DEP_1)
	v_add_f64 v[129:130], v[129:130], v[131:132]
	v_mov_b32_e32 v132, 0x108
	;; [unrolled: 8-line block ×27, first 2 shown]
	scratch_store_b64 v103, v[104:105], off
	scratch_load_b64 v[105:106], v72, off
	v_max_f64 v[103:104], v[62:63], v[62:63]
	v_min_f64 v[103:104], v[103:104], v[134:135]
	s_waitcnt vmcnt(0)
	s_delay_alu instid0(VALU_DEP_1)
	v_add_f64 v[103:104], v[103:104], v[105:106]
	v_mov_b32_e32 v106, 0x1d8
	v_mov_b32_e32 v105, 0x1e0
	scratch_store_b64 v72, v[103:104], off
	v_mov_b32_e32 v104, 0x1e8
	v_mov_b32_e32 v103, 0x1f0
	;; [unrolled: 1-line block ×3, first 2 shown]
	s_cbranch_vccnz .LBB199_25
; %bb.26:                               ;   in Loop: Header=BB199_18 Depth=1
	v_add_nc_u32_e32 v4, s16, v90
	ds_store_2addr_stride64_b64 v93, v[78:79], v[80:81] offset1:4
	ds_store_2addr_stride64_b64 v95, v[82:83], v[84:85] offset1:4
	s_waitcnt lgkmcnt(0)
	s_waitcnt_vscnt null, 0x0
	s_barrier
	buffer_gl0_inv
	v_mad_u64_u32 v[0:1], null, v4, s21, 0
	v_dual_mov_b32 v129, 8 :: v_dual_add_nc_u32 v72, 0x800, v92
	v_dual_mov_b32 v130, 0 :: v_dual_mov_b32 v127, 24
	v_dual_mov_b32 v128, 16 :: v_dual_mov_b32 v125, 40
	s_delay_alu instid0(VALU_DEP_4) | instskip(SKIP_3) | instid1(VALU_DEP_4)
	v_mad_u64_u32 v[2:3], null, v4, s22, v[1:2]
	v_dual_mov_b32 v126, 32 :: v_dual_mov_b32 v123, 56
	v_dual_mov_b32 v124, 48 :: v_dual_mov_b32 v121, 0x48
	;; [unrolled: 1-line block ×4, first 2 shown]
	v_mov_b32_e32 v118, 0x60
	v_mov_b32_e32 v117, 0x68
	;; [unrolled: 1-line block ×3, first 2 shown]
	s_delay_alu instid0(VALU_DEP_4)
	v_lshlrev_b64 v[0:1], 3, v[0:1]
	v_mov_b32_e32 v115, 0x78
	v_mov_b32_e32 v114, 0x80
	;; [unrolled: 1-line block ×5, first 2 shown]
	v_add_co_u32 v0, vcc_lo, v100, v0
	v_add_co_ci_u32_e32 v1, vcc_lo, v101, v1, vcc_lo
	v_mov_b32_e32 v110, 0xa0
	s_clause 0x1
	flat_load_b64 v[74:75], v[74:75] offset:32
	flat_load_b64 v[76:77], v[76:77] offset:32
	s_clause 0x1
	flat_load_b64 v[78:79], v[0:1]
	flat_load_b64 v[80:81], v[0:1] offset:512
	ds_load_2addr_b64 v[0:3], v92 offset1:16
	ds_load_2addr_b64 v[4:7], v92 offset0:32 offset1:48
	ds_load_2addr_b64 v[8:11], v92 offset0:64 offset1:80
	;; [unrolled: 1-line block ×7, first 2 shown]
	ds_load_2addr_b64 v[32:35], v72 offset1:16
	ds_load_2addr_b64 v[36:39], v72 offset0:32 offset1:48
	ds_load_2addr_b64 v[40:43], v72 offset0:64 offset1:80
	ds_load_2addr_b64 v[44:47], v72 offset0:96 offset1:112
	ds_load_2addr_b64 v[48:51], v72 offset0:128 offset1:144
	ds_load_2addr_b64 v[52:55], v72 offset0:160 offset1:176
	ds_load_2addr_b64 v[56:59], v72 offset0:192 offset1:208
	ds_load_2addr_b64 v[60:63], v72 offset0:224 offset1:240
	ds_load_2addr_stride64_b64 v[64:67], v94 offset1:4
	v_mov_b32_e32 v109, 0xa8
	v_mov_b32_e32 v108, 0xb0
	v_mov_b32_e32 v107, 0xb8
	v_mov_b32_e32 v106, 0xc0
	v_mov_b32_e32 v105, 0xc8
	v_mov_b32_e32 v104, 0xd0
	v_mov_b32_e32 v103, 0xd8
	v_mov_b32_e32 v85, 0xe0
	v_mov_b32_e32 v84, 0xe8
	v_mov_b32_e32 v83, 0xf0
	v_mov_b32_e32 v82, 0xf8
	s_mov_b64 s[8:9], 0
	s_mov_b32 s17, -1
.LBB199_27:                             ;   Parent Loop BB199_18 Depth=1
                                        ; =>  This Inner Loop Header: Depth=2
	scratch_load_b64 v[135:136], v130, off
	s_cmp_eq_u32 s8, 1
	s_waitcnt lgkmcnt(16)
	v_max_f64 v[133:134], v[0:1], v[0:1]
	s_cselect_b32 vcc_lo, -1, 0
	s_mov_b64 s[8:9], 1
	s_waitcnt lgkmcnt(0)
	v_dual_cndmask_b32 v132, v65, v67 :: v_dual_cndmask_b32 v131, v64, v66
	s_and_b32 vcc_lo, exec_lo, s17
	s_mov_b32 s17, 0
	s_delay_alu instid0(VALU_DEP_1) | instskip(NEXT) | instid1(VALU_DEP_1)
	v_max_f64 v[131:132], v[131:132], v[131:132]
	v_min_f64 v[133:134], v[133:134], v[131:132]
	s_waitcnt vmcnt(0)
	s_delay_alu instid0(VALU_DEP_1) | instskip(SKIP_3) | instid1(VALU_DEP_1)
	v_add_f64 v[133:134], v[135:136], v[133:134]
	scratch_load_b64 v[135:136], v129, off
	scratch_store_b64 v130, v[133:134], off
	v_max_f64 v[133:134], v[2:3], v[2:3]
	v_min_f64 v[133:134], v[133:134], v[131:132]
	s_waitcnt vmcnt(0)
	s_delay_alu instid0(VALU_DEP_1) | instskip(SKIP_3) | instid1(VALU_DEP_1)
	v_add_f64 v[133:134], v[133:134], v[135:136]
	scratch_store_b64 v129, v[133:134], off
	scratch_load_b64 v[133:134], v128, off
	v_max_f64 v[129:130], v[4:5], v[4:5]
	v_min_f64 v[129:130], v[129:130], v[131:132]
	s_waitcnt vmcnt(0)
	s_delay_alu instid0(VALU_DEP_1) | instskip(SKIP_3) | instid1(VALU_DEP_1)
	v_add_f64 v[129:130], v[129:130], v[133:134]
	scratch_load_b64 v[133:134], v127, off
	scratch_store_b64 v128, v[129:130], off
	v_max_f64 v[128:129], v[6:7], v[6:7]
	v_min_f64 v[128:129], v[128:129], v[131:132]
	s_waitcnt vmcnt(0)
	s_delay_alu instid0(VALU_DEP_1) | instskip(SKIP_3) | instid1(VALU_DEP_1)
	v_add_f64 v[128:129], v[128:129], v[133:134]
	scratch_store_b64 v127, v[128:129], off
	scratch_load_b64 v[129:130], v126, off
	v_max_f64 v[127:128], v[8:9], v[8:9]
	v_min_f64 v[127:128], v[127:128], v[131:132]
	s_waitcnt vmcnt(0)
	s_delay_alu instid0(VALU_DEP_1) | instskip(SKIP_4) | instid1(VALU_DEP_1)
	v_add_f64 v[127:128], v[127:128], v[129:130]
	v_mov_b32_e32 v130, 0x100
	scratch_store_b64 v126, v[127:128], off
	scratch_load_b64 v[128:129], v125, off
	v_max_f64 v[126:127], v[10:11], v[10:11]
	v_min_f64 v[126:127], v[126:127], v[131:132]
	s_waitcnt vmcnt(0)
	s_delay_alu instid0(VALU_DEP_1) | instskip(SKIP_4) | instid1(VALU_DEP_1)
	v_add_f64 v[126:127], v[126:127], v[128:129]
	v_mov_b32_e32 v129, 0x108
	;; [unrolled: 8-line block ×24, first 2 shown]
	scratch_store_b64 v103, v[104:105], off
	scratch_load_b64 v[105:106], v85, off
	v_max_f64 v[103:104], v[56:57], v[56:57]
	v_min_f64 v[103:104], v[103:104], v[131:132]
	s_waitcnt vmcnt(0)
	s_delay_alu instid0(VALU_DEP_1) | instskip(SKIP_3) | instid1(VALU_DEP_1)
	v_add_f64 v[103:104], v[103:104], v[105:106]
	scratch_load_b64 v[105:106], v84, off
	scratch_store_b64 v85, v[103:104], off
	v_max_f64 v[103:104], v[58:59], v[58:59]
	v_min_f64 v[103:104], v[103:104], v[131:132]
	s_waitcnt vmcnt(0)
	s_delay_alu instid0(VALU_DEP_1)
	v_add_f64 v[103:104], v[103:104], v[105:106]
	v_mov_b32_e32 v106, 0x1c0
	v_mov_b32_e32 v105, 0x1c8
	scratch_store_b64 v84, v[103:104], off
	scratch_load_b64 v[103:104], v83, off
	v_max_f64 v[84:85], v[60:61], v[60:61]
	s_delay_alu instid0(VALU_DEP_1) | instskip(SKIP_1) | instid1(VALU_DEP_1)
	v_min_f64 v[84:85], v[84:85], v[131:132]
	s_waitcnt vmcnt(0)
	v_add_f64 v[84:85], v[84:85], v[103:104]
	scratch_load_b64 v[103:104], v82, off
	scratch_store_b64 v83, v[84:85], off
	v_max_f64 v[83:84], v[62:63], v[62:63]
	v_mov_b32_e32 v85, 0x1e0
	s_delay_alu instid0(VALU_DEP_2) | instskip(SKIP_1) | instid1(VALU_DEP_1)
	v_min_f64 v[83:84], v[83:84], v[131:132]
	s_waitcnt vmcnt(0)
	v_add_f64 v[83:84], v[83:84], v[103:104]
	v_mov_b32_e32 v104, 0x1d0
	v_mov_b32_e32 v103, 0x1d8
	scratch_store_b64 v82, v[83:84], off
	v_mov_b32_e32 v84, 0x1e8
	v_mov_b32_e32 v83, 0x1f0
	;; [unrolled: 1-line block ×3, first 2 shown]
	s_cbranch_vccnz .LBB199_27
; %bb.28:                               ;   in Loop: Header=BB199_18 Depth=1
	ds_load_2addr_b64 v[0:3], v92 offset0:1 offset1:17
	ds_load_2addr_b64 v[4:7], v92 offset0:33 offset1:49
	;; [unrolled: 1-line block ×12, first 2 shown]
	v_dual_mov_b32 v129, 8 :: v_dual_add_nc_u32 v64, 8, v94
	ds_load_2addr_b64 v[48:51], v72 offset0:129 offset1:145
	ds_load_2addr_b64 v[52:55], v72 offset0:161 offset1:177
	;; [unrolled: 1-line block ×4, first 2 shown]
	ds_load_2addr_stride64_b64 v[64:67], v64 offset1:4
	v_dual_mov_b32 v130, 0 :: v_dual_mov_b32 v127, 24
	v_dual_mov_b32 v128, 16 :: v_dual_mov_b32 v125, 40
	;; [unrolled: 1-line block ×5, first 2 shown]
	v_mov_b32_e32 v120, 0x50
	v_mov_b32_e32 v118, 0x60
	;; [unrolled: 1-line block ×21, first 2 shown]
	s_mov_b64 s[8:9], 0
	s_mov_b32 s17, -1
.LBB199_29:                             ;   Parent Loop BB199_18 Depth=1
                                        ; =>  This Inner Loop Header: Depth=2
	scratch_load_b64 v[135:136], v130, off
	s_cmp_eq_u32 s8, 1
	s_waitcnt lgkmcnt(16)
	v_max_f64 v[133:134], v[0:1], v[0:1]
	s_cselect_b32 vcc_lo, -1, 0
	s_mov_b64 s[8:9], 1
	s_waitcnt lgkmcnt(0)
	v_dual_cndmask_b32 v132, v65, v67 :: v_dual_cndmask_b32 v131, v64, v66
	s_and_b32 vcc_lo, exec_lo, s17
	s_mov_b32 s17, 0
	s_delay_alu instid0(VALU_DEP_1) | instskip(NEXT) | instid1(VALU_DEP_1)
	v_max_f64 v[131:132], v[131:132], v[131:132]
	v_min_f64 v[133:134], v[133:134], v[131:132]
	s_waitcnt vmcnt(0)
	s_delay_alu instid0(VALU_DEP_1) | instskip(SKIP_3) | instid1(VALU_DEP_1)
	v_add_f64 v[133:134], v[135:136], v[133:134]
	scratch_load_b64 v[135:136], v129, off
	scratch_store_b64 v130, v[133:134], off
	v_max_f64 v[133:134], v[2:3], v[2:3]
	v_min_f64 v[133:134], v[133:134], v[131:132]
	s_waitcnt vmcnt(0)
	s_delay_alu instid0(VALU_DEP_1) | instskip(SKIP_3) | instid1(VALU_DEP_1)
	v_add_f64 v[133:134], v[133:134], v[135:136]
	scratch_store_b64 v129, v[133:134], off
	scratch_load_b64 v[133:134], v128, off
	v_max_f64 v[129:130], v[4:5], v[4:5]
	v_min_f64 v[129:130], v[129:130], v[131:132]
	s_waitcnt vmcnt(0)
	s_delay_alu instid0(VALU_DEP_1) | instskip(SKIP_3) | instid1(VALU_DEP_1)
	v_add_f64 v[129:130], v[129:130], v[133:134]
	scratch_load_b64 v[133:134], v127, off
	scratch_store_b64 v128, v[129:130], off
	v_max_f64 v[128:129], v[6:7], v[6:7]
	v_min_f64 v[128:129], v[128:129], v[131:132]
	s_waitcnt vmcnt(0)
	s_delay_alu instid0(VALU_DEP_1) | instskip(SKIP_3) | instid1(VALU_DEP_1)
	v_add_f64 v[128:129], v[128:129], v[133:134]
	scratch_store_b64 v127, v[128:129], off
	scratch_load_b64 v[129:130], v126, off
	v_max_f64 v[127:128], v[8:9], v[8:9]
	v_min_f64 v[127:128], v[127:128], v[131:132]
	s_waitcnt vmcnt(0)
	s_delay_alu instid0(VALU_DEP_1) | instskip(SKIP_4) | instid1(VALU_DEP_1)
	v_add_f64 v[127:128], v[127:128], v[129:130]
	v_mov_b32_e32 v130, 0x100
	scratch_store_b64 v126, v[127:128], off
	scratch_load_b64 v[128:129], v125, off
	v_max_f64 v[126:127], v[10:11], v[10:11]
	v_min_f64 v[126:127], v[126:127], v[131:132]
	s_waitcnt vmcnt(0)
	s_delay_alu instid0(VALU_DEP_1) | instskip(SKIP_4) | instid1(VALU_DEP_1)
	v_add_f64 v[126:127], v[126:127], v[128:129]
	v_mov_b32_e32 v129, 0x108
	;; [unrolled: 8-line block ×24, first 2 shown]
	scratch_store_b64 v103, v[104:105], off
	scratch_load_b64 v[105:106], v85, off
	v_max_f64 v[103:104], v[56:57], v[56:57]
	v_min_f64 v[103:104], v[103:104], v[131:132]
	s_waitcnt vmcnt(0)
	s_delay_alu instid0(VALU_DEP_1) | instskip(SKIP_3) | instid1(VALU_DEP_1)
	v_add_f64 v[103:104], v[103:104], v[105:106]
	scratch_load_b64 v[105:106], v84, off
	scratch_store_b64 v85, v[103:104], off
	v_max_f64 v[103:104], v[58:59], v[58:59]
	v_min_f64 v[103:104], v[103:104], v[131:132]
	s_waitcnt vmcnt(0)
	s_delay_alu instid0(VALU_DEP_1)
	v_add_f64 v[103:104], v[103:104], v[105:106]
	v_mov_b32_e32 v106, 0x1c0
	v_mov_b32_e32 v105, 0x1c8
	scratch_store_b64 v84, v[103:104], off
	scratch_load_b64 v[103:104], v83, off
	v_max_f64 v[84:85], v[60:61], v[60:61]
	s_delay_alu instid0(VALU_DEP_1) | instskip(SKIP_1) | instid1(VALU_DEP_1)
	v_min_f64 v[84:85], v[84:85], v[131:132]
	s_waitcnt vmcnt(0)
	v_add_f64 v[84:85], v[84:85], v[103:104]
	scratch_load_b64 v[103:104], v82, off
	scratch_store_b64 v83, v[84:85], off
	v_max_f64 v[83:84], v[62:63], v[62:63]
	v_mov_b32_e32 v85, 0x1e0
	s_delay_alu instid0(VALU_DEP_2) | instskip(SKIP_1) | instid1(VALU_DEP_1)
	v_min_f64 v[83:84], v[83:84], v[131:132]
	s_waitcnt vmcnt(0)
	v_add_f64 v[83:84], v[83:84], v[103:104]
	v_mov_b32_e32 v104, 0x1d0
	v_mov_b32_e32 v103, 0x1d8
	scratch_store_b64 v82, v[83:84], off
	v_mov_b32_e32 v84, 0x1e8
	v_mov_b32_e32 v83, 0x1f0
	;; [unrolled: 1-line block ×3, first 2 shown]
	s_cbranch_vccnz .LBB199_29
; %bb.30:                               ;   in Loop: Header=BB199_18 Depth=1
	ds_load_2addr_b64 v[0:3], v92 offset0:2 offset1:18
	ds_load_2addr_b64 v[4:7], v92 offset0:34 offset1:50
	;; [unrolled: 1-line block ×12, first 2 shown]
	v_dual_mov_b32 v129, 8 :: v_dual_add_nc_u32 v64, 16, v94
	ds_load_2addr_b64 v[48:51], v72 offset0:130 offset1:146
	ds_load_2addr_b64 v[52:55], v72 offset0:162 offset1:178
	;; [unrolled: 1-line block ×4, first 2 shown]
	ds_load_2addr_stride64_b64 v[64:67], v64 offset1:4
	v_dual_mov_b32 v130, 0 :: v_dual_mov_b32 v127, 24
	v_dual_mov_b32 v128, 16 :: v_dual_mov_b32 v125, 40
	v_dual_mov_b32 v126, 32 :: v_dual_mov_b32 v123, 56
	v_dual_mov_b32 v124, 48 :: v_dual_mov_b32 v121, 0x48
	v_dual_mov_b32 v122, 64 :: v_dual_mov_b32 v119, 0x58
	v_mov_b32_e32 v120, 0x50
	v_mov_b32_e32 v118, 0x60
	;; [unrolled: 1-line block ×21, first 2 shown]
	s_mov_b64 s[8:9], 0
	s_mov_b32 s17, -1
.LBB199_31:                             ;   Parent Loop BB199_18 Depth=1
                                        ; =>  This Inner Loop Header: Depth=2
	scratch_load_b64 v[135:136], v130, off
	s_cmp_eq_u32 s8, 1
	s_waitcnt lgkmcnt(16)
	v_max_f64 v[133:134], v[0:1], v[0:1]
	s_cselect_b32 vcc_lo, -1, 0
	s_mov_b64 s[8:9], 1
	s_waitcnt lgkmcnt(0)
	v_dual_cndmask_b32 v132, v65, v67 :: v_dual_cndmask_b32 v131, v64, v66
	s_and_b32 vcc_lo, exec_lo, s17
	s_mov_b32 s17, 0
	s_delay_alu instid0(VALU_DEP_1) | instskip(NEXT) | instid1(VALU_DEP_1)
	v_max_f64 v[131:132], v[131:132], v[131:132]
	v_min_f64 v[133:134], v[133:134], v[131:132]
	s_waitcnt vmcnt(0)
	s_delay_alu instid0(VALU_DEP_1) | instskip(SKIP_3) | instid1(VALU_DEP_1)
	v_add_f64 v[133:134], v[135:136], v[133:134]
	scratch_load_b64 v[135:136], v129, off
	scratch_store_b64 v130, v[133:134], off
	v_max_f64 v[133:134], v[2:3], v[2:3]
	v_min_f64 v[133:134], v[133:134], v[131:132]
	s_waitcnt vmcnt(0)
	s_delay_alu instid0(VALU_DEP_1) | instskip(SKIP_3) | instid1(VALU_DEP_1)
	v_add_f64 v[133:134], v[133:134], v[135:136]
	scratch_store_b64 v129, v[133:134], off
	scratch_load_b64 v[133:134], v128, off
	v_max_f64 v[129:130], v[4:5], v[4:5]
	v_min_f64 v[129:130], v[129:130], v[131:132]
	s_waitcnt vmcnt(0)
	s_delay_alu instid0(VALU_DEP_1) | instskip(SKIP_3) | instid1(VALU_DEP_1)
	v_add_f64 v[129:130], v[129:130], v[133:134]
	scratch_load_b64 v[133:134], v127, off
	scratch_store_b64 v128, v[129:130], off
	v_max_f64 v[128:129], v[6:7], v[6:7]
	v_min_f64 v[128:129], v[128:129], v[131:132]
	s_waitcnt vmcnt(0)
	s_delay_alu instid0(VALU_DEP_1) | instskip(SKIP_3) | instid1(VALU_DEP_1)
	v_add_f64 v[128:129], v[128:129], v[133:134]
	scratch_store_b64 v127, v[128:129], off
	scratch_load_b64 v[129:130], v126, off
	v_max_f64 v[127:128], v[8:9], v[8:9]
	v_min_f64 v[127:128], v[127:128], v[131:132]
	s_waitcnt vmcnt(0)
	s_delay_alu instid0(VALU_DEP_1) | instskip(SKIP_4) | instid1(VALU_DEP_1)
	v_add_f64 v[127:128], v[127:128], v[129:130]
	v_mov_b32_e32 v130, 0x100
	scratch_store_b64 v126, v[127:128], off
	scratch_load_b64 v[128:129], v125, off
	v_max_f64 v[126:127], v[10:11], v[10:11]
	v_min_f64 v[126:127], v[126:127], v[131:132]
	s_waitcnt vmcnt(0)
	s_delay_alu instid0(VALU_DEP_1) | instskip(SKIP_4) | instid1(VALU_DEP_1)
	v_add_f64 v[126:127], v[126:127], v[128:129]
	v_mov_b32_e32 v129, 0x108
	;; [unrolled: 8-line block ×24, first 2 shown]
	scratch_store_b64 v103, v[104:105], off
	scratch_load_b64 v[105:106], v85, off
	v_max_f64 v[103:104], v[56:57], v[56:57]
	v_min_f64 v[103:104], v[103:104], v[131:132]
	s_waitcnt vmcnt(0)
	s_delay_alu instid0(VALU_DEP_1) | instskip(SKIP_3) | instid1(VALU_DEP_1)
	v_add_f64 v[103:104], v[103:104], v[105:106]
	scratch_load_b64 v[105:106], v84, off
	scratch_store_b64 v85, v[103:104], off
	v_max_f64 v[103:104], v[58:59], v[58:59]
	v_min_f64 v[103:104], v[103:104], v[131:132]
	s_waitcnt vmcnt(0)
	s_delay_alu instid0(VALU_DEP_1)
	v_add_f64 v[103:104], v[103:104], v[105:106]
	v_mov_b32_e32 v106, 0x1c0
	v_mov_b32_e32 v105, 0x1c8
	scratch_store_b64 v84, v[103:104], off
	scratch_load_b64 v[103:104], v83, off
	v_max_f64 v[84:85], v[60:61], v[60:61]
	s_delay_alu instid0(VALU_DEP_1) | instskip(SKIP_1) | instid1(VALU_DEP_1)
	v_min_f64 v[84:85], v[84:85], v[131:132]
	s_waitcnt vmcnt(0)
	v_add_f64 v[84:85], v[84:85], v[103:104]
	scratch_load_b64 v[103:104], v82, off
	scratch_store_b64 v83, v[84:85], off
	v_max_f64 v[83:84], v[62:63], v[62:63]
	v_mov_b32_e32 v85, 0x1e0
	s_delay_alu instid0(VALU_DEP_2) | instskip(SKIP_1) | instid1(VALU_DEP_1)
	v_min_f64 v[83:84], v[83:84], v[131:132]
	s_waitcnt vmcnt(0)
	v_add_f64 v[83:84], v[83:84], v[103:104]
	v_mov_b32_e32 v104, 0x1d0
	v_mov_b32_e32 v103, 0x1d8
	scratch_store_b64 v82, v[83:84], off
	v_mov_b32_e32 v84, 0x1e8
	v_mov_b32_e32 v83, 0x1f0
	;; [unrolled: 1-line block ×3, first 2 shown]
	s_cbranch_vccnz .LBB199_31
; %bb.32:                               ;   in Loop: Header=BB199_18 Depth=1
	ds_load_2addr_b64 v[0:3], v92 offset0:3 offset1:19
	ds_load_2addr_b64 v[4:7], v92 offset0:35 offset1:51
	;; [unrolled: 1-line block ×12, first 2 shown]
	v_dual_mov_b32 v129, 0 :: v_dual_add_nc_u32 v64, 24, v94
	ds_load_2addr_b64 v[48:51], v72 offset0:131 offset1:147
	ds_load_2addr_b64 v[52:55], v72 offset0:163 offset1:179
	ds_load_2addr_b64 v[56:59], v72 offset0:195 offset1:211
	ds_load_2addr_b64 v[60:63], v72 offset0:227 offset1:243
	ds_load_2addr_stride64_b64 v[64:67], v64 offset1:4
	v_dual_mov_b32 v128, 8 :: v_dual_mov_b32 v127, 16
	v_dual_mov_b32 v126, 24 :: v_dual_mov_b32 v125, 32
	;; [unrolled: 1-line block ×4, first 2 shown]
	v_mov_b32_e32 v120, 0x48
	v_mov_b32_e32 v119, 0x50
	;; [unrolled: 1-line block ×23, first 2 shown]
	s_mov_b64 s[8:9], 0
	s_mov_b32 s17, -1
.LBB199_33:                             ;   Parent Loop BB199_18 Depth=1
                                        ; =>  This Inner Loop Header: Depth=2
	scratch_load_b64 v[134:135], v129, off
	s_cmp_eq_u32 s8, 1
	s_waitcnt lgkmcnt(16)
	v_max_f64 v[132:133], v[0:1], v[0:1]
	s_cselect_b32 vcc_lo, -1, 0
	s_mov_b64 s[8:9], 1
	s_waitcnt lgkmcnt(0)
	v_dual_cndmask_b32 v131, v65, v67 :: v_dual_cndmask_b32 v130, v64, v66
	s_and_b32 vcc_lo, exec_lo, s17
	s_mov_b32 s17, 0
	s_delay_alu instid0(VALU_DEP_1) | instskip(NEXT) | instid1(VALU_DEP_1)
	v_max_f64 v[130:131], v[130:131], v[130:131]
	v_min_f64 v[132:133], v[132:133], v[130:131]
	s_waitcnt vmcnt(0)
	s_delay_alu instid0(VALU_DEP_1) | instskip(SKIP_3) | instid1(VALU_DEP_1)
	v_add_f64 v[132:133], v[134:135], v[132:133]
	scratch_load_b64 v[134:135], v128, off
	scratch_store_b64 v129, v[132:133], off
	v_max_f64 v[132:133], v[2:3], v[2:3]
	v_min_f64 v[132:133], v[132:133], v[130:131]
	s_waitcnt vmcnt(0)
	s_delay_alu instid0(VALU_DEP_1) | instskip(SKIP_3) | instid1(VALU_DEP_1)
	v_add_f64 v[132:133], v[132:133], v[134:135]
	scratch_store_b64 v128, v[132:133], off
	scratch_load_b64 v[132:133], v127, off
	v_max_f64 v[128:129], v[4:5], v[4:5]
	v_min_f64 v[128:129], v[128:129], v[130:131]
	s_waitcnt vmcnt(0)
	s_delay_alu instid0(VALU_DEP_1) | instskip(SKIP_3) | instid1(VALU_DEP_1)
	v_add_f64 v[128:129], v[128:129], v[132:133]
	scratch_load_b64 v[132:133], v126, off
	scratch_store_b64 v127, v[128:129], off
	v_max_f64 v[127:128], v[6:7], v[6:7]
	v_min_f64 v[127:128], v[127:128], v[130:131]
	s_waitcnt vmcnt(0)
	s_delay_alu instid0(VALU_DEP_1) | instskip(SKIP_3) | instid1(VALU_DEP_1)
	v_add_f64 v[127:128], v[127:128], v[132:133]
	scratch_store_b64 v126, v[127:128], off
	scratch_load_b64 v[128:129], v125, off
	v_max_f64 v[126:127], v[8:9], v[8:9]
	v_min_f64 v[126:127], v[126:127], v[130:131]
	s_waitcnt vmcnt(0)
	s_delay_alu instid0(VALU_DEP_1) | instskip(SKIP_4) | instid1(VALU_DEP_1)
	v_add_f64 v[126:127], v[126:127], v[128:129]
	v_mov_b32_e32 v129, 0x100
	scratch_store_b64 v125, v[126:127], off
	scratch_load_b64 v[127:128], v124, off
	v_max_f64 v[125:126], v[10:11], v[10:11]
	v_min_f64 v[125:126], v[125:126], v[130:131]
	s_waitcnt vmcnt(0)
	s_delay_alu instid0(VALU_DEP_1) | instskip(SKIP_4) | instid1(VALU_DEP_1)
	v_add_f64 v[125:126], v[125:126], v[127:128]
	v_mov_b32_e32 v128, 0x108
	;; [unrolled: 8-line block ×23, first 2 shown]
	scratch_store_b64 v103, v[104:105], off
	scratch_load_b64 v[105:106], v85, off
	v_max_f64 v[103:104], v[54:55], v[54:55]
	v_min_f64 v[103:104], v[103:104], v[130:131]
	s_waitcnt vmcnt(0)
	s_delay_alu instid0(VALU_DEP_1) | instskip(SKIP_3) | instid1(VALU_DEP_1)
	v_add_f64 v[103:104], v[103:104], v[105:106]
	scratch_load_b64 v[105:106], v84, off
	scratch_store_b64 v85, v[103:104], off
	v_max_f64 v[103:104], v[56:57], v[56:57]
	v_min_f64 v[103:104], v[103:104], v[130:131]
	s_waitcnt vmcnt(0)
	s_delay_alu instid0(VALU_DEP_1)
	v_add_f64 v[103:104], v[103:104], v[105:106]
	v_mov_b32_e32 v106, 0x1b8
	v_mov_b32_e32 v105, 0x1c0
	scratch_store_b64 v84, v[103:104], off
	scratch_load_b64 v[103:104], v83, off
	v_max_f64 v[84:85], v[58:59], v[58:59]
	s_delay_alu instid0(VALU_DEP_1) | instskip(SKIP_1) | instid1(VALU_DEP_1)
	v_min_f64 v[84:85], v[84:85], v[130:131]
	s_waitcnt vmcnt(0)
	v_add_f64 v[84:85], v[84:85], v[103:104]
	scratch_load_b64 v[103:104], v82, off
	scratch_store_b64 v83, v[84:85], off
	v_max_f64 v[83:84], v[60:61], v[60:61]
	s_delay_alu instid0(VALU_DEP_1) | instskip(SKIP_1) | instid1(VALU_DEP_1)
	v_min_f64 v[83:84], v[83:84], v[130:131]
	s_waitcnt vmcnt(0)
	v_add_f64 v[83:84], v[83:84], v[103:104]
	v_mov_b32_e32 v104, 0x1c8
	v_mov_b32_e32 v103, 0x1d0
	scratch_store_b64 v82, v[83:84], off
	scratch_load_b64 v[84:85], v72, off
	v_max_f64 v[82:83], v[62:63], v[62:63]
	s_delay_alu instid0(VALU_DEP_1) | instskip(SKIP_1) | instid1(VALU_DEP_1)
	v_min_f64 v[82:83], v[82:83], v[130:131]
	s_waitcnt vmcnt(0)
	v_add_f64 v[82:83], v[82:83], v[84:85]
	v_mov_b32_e32 v85, 0x1d8
	v_mov_b32_e32 v84, 0x1e0
	scratch_store_b64 v72, v[82:83], off
	v_mov_b32_e32 v83, 0x1e8
	v_mov_b32_e32 v82, 0x1f0
	;; [unrolled: 1-line block ×3, first 2 shown]
	s_cbranch_vccnz .LBB199_33
; %bb.34:                               ;   in Loop: Header=BB199_18 Depth=1
	s_add_i32 s13, s13, 8
	s_add_i32 s16, s16, 8
	s_cmp_ge_i32 s13, s12
	ds_store_2addr_stride64_b64 v96, v[74:75], v[76:77] offset1:4
	ds_store_2addr_stride64_b64 v97, v[78:79], v[80:81] offset1:4
	s_waitcnt lgkmcnt(0)
	s_waitcnt_vscnt null, 0x0
	s_barrier
	buffer_gl0_inv
	s_cbranch_scc0 .LBB199_18
.LBB199_35:
	v_dual_mov_b32 v71, 8 :: v_dual_add_nc_u32 v28, 0x1000, v92
	v_dual_mov_b32 v75, 40 :: v_dual_add_nc_u32 v60, 0x1800, v92
	;; [unrolled: 1-line block ×3, first 2 shown]
	ds_load_2addr_b64 v[0:3], v28 offset1:16
	ds_load_2addr_b64 v[4:7], v28 offset0:32 offset1:48
	ds_load_2addr_b64 v[8:11], v28 offset0:64 offset1:80
	;; [unrolled: 1-line block ×7, first 2 shown]
	ds_load_2addr_b64 v[32:35], v60 offset1:16
	ds_load_2addr_b64 v[36:39], v60 offset0:32 offset1:48
	ds_load_2addr_b64 v[40:43], v60 offset0:64 offset1:80
	;; [unrolled: 1-line block ×7, first 2 shown]
	ds_load_2addr_stride64_b64 v[64:67], v91 offset0:24 offset1:28
	v_dual_mov_b32 v70, 0 :: v_dual_add_nc_u32 v69, 0x3000, v91
	v_dual_mov_b32 v72, 16 :: v_dual_mov_b32 v77, 56
	v_dual_mov_b32 v74, 32 :: v_dual_mov_b32 v79, 0x48
	;; [unrolled: 1-line block ×4, first 2 shown]
	v_mov_b32_e32 v80, 0x50
	v_mov_b32_e32 v82, 0x60
	;; [unrolled: 1-line block ×20, first 2 shown]
	s_mov_b64 s[2:3], 0
	s_mov_b32 s8, -1
.LBB199_36:                             ; =>This Inner Loop Header: Depth=1
	scratch_load_b64 v[104:105], v70, off
	scratch_load_b64 v[106:107], v71, off
	;; [unrolled: 1-line block ×32, first 2 shown]
	s_cmp_eq_u32 s2, 1
	s_waitcnt lgkmcnt(16)
	v_max_f64 v[170:171], v[0:1], v[0:1]
	s_cselect_b32 vcc_lo, -1, 0
	v_max_f64 v[172:173], v[2:3], v[2:3]
	s_waitcnt lgkmcnt(0)
	v_dual_cndmask_b32 v169, v65, v67 :: v_dual_cndmask_b32 v168, v64, v66
	v_max_f64 v[174:175], v[4:5], v[4:5]
	v_max_f64 v[176:177], v[6:7], v[6:7]
	;; [unrolled: 1-line block ×31, first 2 shown]
	s_mov_b64 s[2:3], 1
	s_and_b32 vcc_lo, exec_lo, s8
	s_mov_b32 s8, 0
	v_min_f64 v[170:171], v[170:171], v[168:169]
	v_min_f64 v[172:173], v[172:173], v[168:169]
	;; [unrolled: 1-line block ×32, first 2 shown]
	s_waitcnt vmcnt(31)
	v_add_f64 v[104:105], v[104:105], v[170:171]
	s_waitcnt vmcnt(30)
	v_add_f64 v[106:107], v[172:173], v[106:107]
	;; [unrolled: 2-line block ×32, first 2 shown]
	scratch_store_b64 v70, v[104:105], off
	scratch_store_b64 v71, v[106:107], off
	;; [unrolled: 1-line block ×32, first 2 shown]
	v_mov_b32_e32 v70, 0x100
	v_mov_b32_e32 v71, 0x108
	;; [unrolled: 1-line block ×32, first 2 shown]
	s_cbranch_vccnz .LBB199_36
; %bb.37:
	v_dual_mov_b32 v71, 8 :: v_dual_add_nc_u32 v60, 0x800, v68
	ds_load_2addr_b64 v[0:3], v68 offset0:1 offset1:17
	ds_load_2addr_b64 v[4:7], v68 offset0:33 offset1:49
	;; [unrolled: 1-line block ×12, first 2 shown]
	v_dual_mov_b32 v73, 24 :: v_dual_add_nc_u32 v64, 8, v69
	ds_load_2addr_b64 v[48:51], v60 offset0:129 offset1:145
	ds_load_2addr_b64 v[52:55], v60 offset0:161 offset1:177
	;; [unrolled: 1-line block ×4, first 2 shown]
	ds_load_2addr_stride64_b64 v[64:67], v64 offset1:4
	v_dual_mov_b32 v70, 0 :: v_dual_mov_b32 v75, 40
	v_dual_mov_b32 v72, 16 :: v_dual_mov_b32 v77, 56
	;; [unrolled: 1-line block ×5, first 2 shown]
	v_mov_b32_e32 v80, 0x50
	v_mov_b32_e32 v82, 0x60
	;; [unrolled: 1-line block ×20, first 2 shown]
	s_mov_b64 s[2:3], 0
	s_mov_b32 s8, -1
.LBB199_38:                             ; =>This Inner Loop Header: Depth=1
	scratch_load_b64 v[104:105], v70, off
	scratch_load_b64 v[106:107], v71, off
	scratch_load_b64 v[108:109], v72, off
	scratch_load_b64 v[110:111], v73, off
	scratch_load_b64 v[112:113], v74, off
	scratch_load_b64 v[114:115], v75, off
	scratch_load_b64 v[116:117], v76, off
	scratch_load_b64 v[118:119], v77, off
	scratch_load_b64 v[120:121], v78, off
	scratch_load_b64 v[122:123], v79, off
	scratch_load_b64 v[124:125], v80, off
	scratch_load_b64 v[126:127], v81, off
	scratch_load_b64 v[128:129], v82, off
	scratch_load_b64 v[130:131], v83, off
	scratch_load_b64 v[132:133], v84, off
	scratch_load_b64 v[134:135], v85, off
	scratch_load_b64 v[136:137], v88, off
	scratch_load_b64 v[138:139], v89, off
	scratch_load_b64 v[140:141], v90, off
	scratch_load_b64 v[142:143], v91, off
	scratch_load_b64 v[144:145], v92, off
	scratch_load_b64 v[146:147], v93, off
	scratch_load_b64 v[148:149], v94, off
	scratch_load_b64 v[150:151], v95, off
	scratch_load_b64 v[152:153], v96, off
	scratch_load_b64 v[154:155], v97, off
	scratch_load_b64 v[156:157], v98, off
	scratch_load_b64 v[158:159], v99, off
	scratch_load_b64 v[160:161], v100, off
	scratch_load_b64 v[162:163], v101, off
	scratch_load_b64 v[164:165], v102, off
	scratch_load_b64 v[166:167], v103, off
	s_cmp_eq_u32 s2, 1
	s_waitcnt lgkmcnt(16)
	v_max_f64 v[170:171], v[0:1], v[0:1]
	s_cselect_b32 vcc_lo, -1, 0
	v_max_f64 v[172:173], v[2:3], v[2:3]
	s_waitcnt lgkmcnt(0)
	v_dual_cndmask_b32 v169, v65, v67 :: v_dual_cndmask_b32 v168, v64, v66
	v_max_f64 v[174:175], v[4:5], v[4:5]
	v_max_f64 v[176:177], v[6:7], v[6:7]
	v_max_f64 v[178:179], v[8:9], v[8:9]
	v_max_f64 v[180:181], v[10:11], v[10:11]
	v_max_f64 v[168:169], v[168:169], v[168:169]
	v_max_f64 v[182:183], v[12:13], v[12:13]
	v_max_f64 v[184:185], v[14:15], v[14:15]
	v_max_f64 v[186:187], v[16:17], v[16:17]
	v_max_f64 v[188:189], v[18:19], v[18:19]
	v_max_f64 v[190:191], v[20:21], v[20:21]
	v_max_f64 v[192:193], v[22:23], v[22:23]
	v_max_f64 v[194:195], v[24:25], v[24:25]
	v_max_f64 v[196:197], v[26:27], v[26:27]
	v_max_f64 v[198:199], v[28:29], v[28:29]
	v_max_f64 v[200:201], v[30:31], v[30:31]
	v_max_f64 v[202:203], v[32:33], v[32:33]
	v_max_f64 v[204:205], v[34:35], v[34:35]
	v_max_f64 v[206:207], v[36:37], v[36:37]
	v_max_f64 v[208:209], v[38:39], v[38:39]
	v_max_f64 v[210:211], v[40:41], v[40:41]
	v_max_f64 v[212:213], v[42:43], v[42:43]
	v_max_f64 v[214:215], v[44:45], v[44:45]
	v_max_f64 v[216:217], v[46:47], v[46:47]
	v_max_f64 v[218:219], v[48:49], v[48:49]
	v_max_f64 v[220:221], v[50:51], v[50:51]
	v_max_f64 v[222:223], v[52:53], v[52:53]
	v_max_f64 v[224:225], v[54:55], v[54:55]
	v_max_f64 v[226:227], v[56:57], v[56:57]
	v_max_f64 v[228:229], v[58:59], v[58:59]
	v_max_f64 v[230:231], v[60:61], v[60:61]
	v_max_f64 v[232:233], v[62:63], v[62:63]
	s_mov_b64 s[2:3], 1
	s_and_b32 vcc_lo, exec_lo, s8
	s_mov_b32 s8, 0
	v_min_f64 v[170:171], v[170:171], v[168:169]
	v_min_f64 v[172:173], v[172:173], v[168:169]
	;; [unrolled: 1-line block ×32, first 2 shown]
	s_waitcnt vmcnt(31)
	v_add_f64 v[104:105], v[104:105], v[170:171]
	s_waitcnt vmcnt(30)
	v_add_f64 v[106:107], v[172:173], v[106:107]
	;; [unrolled: 2-line block ×32, first 2 shown]
	scratch_store_b64 v70, v[104:105], off
	scratch_store_b64 v71, v[106:107], off
	;; [unrolled: 1-line block ×32, first 2 shown]
	v_mov_b32_e32 v70, 0x100
	v_mov_b32_e32 v71, 0x108
	;; [unrolled: 1-line block ×32, first 2 shown]
	s_cbranch_vccnz .LBB199_38
; %bb.39:
	v_dual_mov_b32 v71, 8 :: v_dual_add_nc_u32 v60, 0x800, v68
	ds_load_2addr_b64 v[0:3], v68 offset0:2 offset1:18
	ds_load_2addr_b64 v[4:7], v68 offset0:34 offset1:50
	;; [unrolled: 1-line block ×12, first 2 shown]
	v_dual_mov_b32 v73, 24 :: v_dual_add_nc_u32 v64, 16, v69
	ds_load_2addr_b64 v[48:51], v60 offset0:130 offset1:146
	ds_load_2addr_b64 v[52:55], v60 offset0:162 offset1:178
	;; [unrolled: 1-line block ×4, first 2 shown]
	ds_load_2addr_stride64_b64 v[64:67], v64 offset1:4
	v_dual_mov_b32 v70, 0 :: v_dual_mov_b32 v75, 40
	v_dual_mov_b32 v72, 16 :: v_dual_mov_b32 v77, 56
	;; [unrolled: 1-line block ×5, first 2 shown]
	v_mov_b32_e32 v80, 0x50
	v_mov_b32_e32 v82, 0x60
	;; [unrolled: 1-line block ×20, first 2 shown]
	s_mov_b64 s[2:3], 0
	s_mov_b32 s8, -1
.LBB199_40:                             ; =>This Inner Loop Header: Depth=1
	scratch_load_b64 v[104:105], v70, off
	scratch_load_b64 v[106:107], v71, off
	;; [unrolled: 1-line block ×32, first 2 shown]
	s_cmp_eq_u32 s2, 1
	s_waitcnt lgkmcnt(16)
	v_max_f64 v[170:171], v[0:1], v[0:1]
	s_cselect_b32 vcc_lo, -1, 0
	v_max_f64 v[172:173], v[2:3], v[2:3]
	s_waitcnt lgkmcnt(0)
	v_dual_cndmask_b32 v169, v65, v67 :: v_dual_cndmask_b32 v168, v64, v66
	v_max_f64 v[174:175], v[4:5], v[4:5]
	v_max_f64 v[176:177], v[6:7], v[6:7]
	;; [unrolled: 1-line block ×31, first 2 shown]
	s_mov_b64 s[2:3], 1
	s_and_b32 vcc_lo, exec_lo, s8
	s_mov_b32 s8, 0
	v_min_f64 v[170:171], v[170:171], v[168:169]
	v_min_f64 v[172:173], v[172:173], v[168:169]
	;; [unrolled: 1-line block ×32, first 2 shown]
	s_waitcnt vmcnt(31)
	v_add_f64 v[104:105], v[104:105], v[170:171]
	s_waitcnt vmcnt(30)
	v_add_f64 v[106:107], v[172:173], v[106:107]
	;; [unrolled: 2-line block ×32, first 2 shown]
	scratch_store_b64 v70, v[104:105], off
	scratch_store_b64 v71, v[106:107], off
	;; [unrolled: 1-line block ×32, first 2 shown]
	v_mov_b32_e32 v70, 0x100
	v_mov_b32_e32 v71, 0x108
	;; [unrolled: 1-line block ×32, first 2 shown]
	s_cbranch_vccnz .LBB199_40
; %bb.41:
	v_add_nc_u32_e32 v60, 0x800, v68
	ds_load_2addr_b64 v[0:3], v68 offset0:3 offset1:19
	ds_load_2addr_b64 v[4:7], v68 offset0:35 offset1:51
	;; [unrolled: 1-line block ×4, first 2 shown]
	v_dual_mov_b32 v71, 24 :: v_dual_add_nc_u32 v64, 24, v69
	v_mov_b32_e32 v69, 8
	ds_load_2addr_b64 v[16:19], v68 offset0:131 offset1:147
	ds_load_2addr_b64 v[20:23], v68 offset0:163 offset1:179
	;; [unrolled: 1-line block ×12, first 2 shown]
	ds_load_2addr_stride64_b64 v[64:67], v64 offset1:4
	v_dual_mov_b32 v68, 0 :: v_dual_mov_b32 v73, 40
	v_dual_mov_b32 v70, 16 :: v_dual_mov_b32 v75, 56
	;; [unrolled: 1-line block ×5, first 2 shown]
	v_mov_b32_e32 v78, 0x50
	v_mov_b32_e32 v80, 0x60
	;; [unrolled: 1-line block ×20, first 2 shown]
	s_mov_b64 s[2:3], 0
	s_mov_b32 s8, -1
.LBB199_42:                             ; =>This Inner Loop Header: Depth=1
	scratch_load_b64 v[102:103], v68, off
	scratch_load_b64 v[104:105], v69, off
	;; [unrolled: 1-line block ×32, first 2 shown]
	s_cmp_eq_u32 s2, 1
	s_waitcnt lgkmcnt(16)
	v_max_f64 v[168:169], v[0:1], v[0:1]
	s_cselect_b32 vcc_lo, -1, 0
	v_max_f64 v[170:171], v[2:3], v[2:3]
	s_waitcnt lgkmcnt(0)
	v_dual_cndmask_b32 v167, v65, v67 :: v_dual_cndmask_b32 v166, v64, v66
	v_max_f64 v[172:173], v[4:5], v[4:5]
	v_max_f64 v[174:175], v[6:7], v[6:7]
	v_max_f64 v[176:177], v[8:9], v[8:9]
	v_max_f64 v[178:179], v[10:11], v[10:11]
	v_max_f64 v[166:167], v[166:167], v[166:167]
	v_max_f64 v[180:181], v[12:13], v[12:13]
	v_max_f64 v[182:183], v[14:15], v[14:15]
	v_max_f64 v[184:185], v[16:17], v[16:17]
	v_max_f64 v[186:187], v[18:19], v[18:19]
	v_max_f64 v[188:189], v[20:21], v[20:21]
	v_max_f64 v[190:191], v[22:23], v[22:23]
	v_max_f64 v[192:193], v[24:25], v[24:25]
	v_max_f64 v[194:195], v[26:27], v[26:27]
	v_max_f64 v[196:197], v[28:29], v[28:29]
	v_max_f64 v[198:199], v[30:31], v[30:31]
	v_max_f64 v[200:201], v[32:33], v[32:33]
	v_max_f64 v[202:203], v[34:35], v[34:35]
	v_max_f64 v[204:205], v[36:37], v[36:37]
	v_max_f64 v[206:207], v[38:39], v[38:39]
	v_max_f64 v[208:209], v[40:41], v[40:41]
	v_max_f64 v[210:211], v[42:43], v[42:43]
	v_max_f64 v[212:213], v[44:45], v[44:45]
	v_max_f64 v[214:215], v[46:47], v[46:47]
	v_max_f64 v[216:217], v[48:49], v[48:49]
	v_max_f64 v[218:219], v[50:51], v[50:51]
	v_max_f64 v[220:221], v[52:53], v[52:53]
	v_max_f64 v[222:223], v[54:55], v[54:55]
	v_max_f64 v[224:225], v[56:57], v[56:57]
	v_max_f64 v[226:227], v[58:59], v[58:59]
	v_max_f64 v[228:229], v[60:61], v[60:61]
	v_max_f64 v[230:231], v[62:63], v[62:63]
	s_mov_b64 s[2:3], 1
	s_and_b32 vcc_lo, exec_lo, s8
	s_mov_b32 s8, 0
	v_min_f64 v[168:169], v[168:169], v[166:167]
	v_min_f64 v[170:171], v[170:171], v[166:167]
	;; [unrolled: 1-line block ×32, first 2 shown]
	s_waitcnt vmcnt(31)
	v_add_f64 v[102:103], v[102:103], v[168:169]
	s_waitcnt vmcnt(30)
	v_add_f64 v[104:105], v[170:171], v[104:105]
	;; [unrolled: 2-line block ×32, first 2 shown]
	scratch_store_b64 v68, v[102:103], off
	scratch_store_b64 v69, v[104:105], off
	;; [unrolled: 1-line block ×32, first 2 shown]
	v_mov_b32_e32 v68, 0x100
	v_mov_b32_e32 v69, 0x108
	;; [unrolled: 1-line block ×32, first 2 shown]
	s_cbranch_vccnz .LBB199_42
; %bb.43:
	scratch_load_b64 v[2:3], off, off
	s_load_b32 s3, s[0:1], 0x58
	v_dual_mov_b32 v4, 0 :: v_dual_add_nc_u32 v71, s18, v87
	v_dual_mov_b32 v5, 0 :: v_dual_add_nc_u32 v12, s14, v86
	v_mov_b32_e32 v8, 0
	v_mov_b32_e32 v9, 0
	s_and_b32 s2, exec_lo, s19
	s_delay_alu instid0(VALU_DEP_3) | instskip(SKIP_2) | instid1(VALU_DEP_1)
	v_ashrrev_i32_e32 v13, 31, v12
	s_waitcnt lgkmcnt(0)
	v_mad_i64_i32 v[0:1], null, v71, s3, 0
	v_lshlrev_b64 v[0:1], 3, v[0:1]
	s_delay_alu instid0(VALU_DEP_1) | instskip(NEXT) | instid1(VALU_DEP_2)
	v_add_co_u32 v72, vcc_lo, s4, v0
	v_add_co_ci_u32_e32 v73, vcc_lo, s5, v1, vcc_lo
	v_lshlrev_b64 v[0:1], 3, v[12:13]
	s_mov_b32 vcc_lo, s2
	s_cbranch_vccz .LBB199_45
; %bb.44:
	s_delay_alu instid0(VALU_DEP_1) | instskip(NEXT) | instid1(VALU_DEP_2)
	v_add_co_u32 v6, vcc_lo, v72, v0
	v_add_co_ci_u32_e32 v7, vcc_lo, v73, v1, vcc_lo
	flat_load_b64 v[6:7], v[6:7]
	s_waitcnt vmcnt(0) lgkmcnt(0)
	v_mul_f64 v[8:9], v[6:7], s[6:7]
.LBB199_45:
	scratch_load_b64 v[6:7], off, off offset:8
	s_clause 0x1
	s_load_b64 s[8:9], s[0:1], 0x78
	s_load_b32 s1, s[0:1], 0x70
	s_waitcnt vmcnt(1)
	v_add_f64 v[8:9], v[2:3], v[8:9]
	v_add_nc_u32_e32 v10, 4, v12
	v_cndmask_b32_e64 v13, 0, 1, s19
	s_delay_alu instid0(VALU_DEP_2) | instskip(SKIP_4) | instid1(SALU_CYCLE_1)
	v_ashrrev_i32_e32 v11, 31, v10
	s_waitcnt lgkmcnt(0)
	s_mul_i32 s0, s15, s9
	v_mad_i64_i32 v[2:3], null, v71, s1, 0
	s_mul_hi_u32 s9, s15, s8
	s_add_i32 s0, s9, s0
	s_mul_i32 s9, s20, s8
	s_mul_i32 s8, s15, s8
	s_add_i32 s9, s0, s9
	s_delay_alu instid0(VALU_DEP_1) | instskip(SKIP_4) | instid1(VALU_DEP_2)
	v_lshlrev_b64 v[2:3], 3, v[2:3]
	s_lshl_b64 s[8:9], s[8:9], 3
	v_cmp_ne_u32_e64 s0, 1, v13
	s_add_u32 s8, s10, s8
	s_addc_u32 s9, s11, s9
	v_add_co_u32 v74, vcc_lo, s8, v2
	v_add_co_ci_u32_e32 v75, vcc_lo, s9, v3, vcc_lo
	v_lshlrev_b64 v[2:3], 3, v[10:11]
	s_delay_alu instid0(VALU_DEP_3) | instskip(NEXT) | instid1(VALU_DEP_3)
	v_add_co_u32 v13, vcc_lo, v74, v0
	v_add_co_ci_u32_e32 v14, vcc_lo, v75, v1, vcc_lo
	s_and_not1_b32 vcc_lo, exec_lo, s19
	global_store_b64 v[13:14], v[8:9], off
	s_cbranch_vccnz .LBB199_47
; %bb.46:
	v_add_co_u32 v4, vcc_lo, v72, v2
	v_add_co_ci_u32_e32 v5, vcc_lo, v73, v3, vcc_lo
	flat_load_b64 v[4:5], v[4:5]
	s_waitcnt vmcnt(0) lgkmcnt(0)
	v_mul_f64 v[4:5], v[4:5], s[6:7]
.LBB199_47:
	scratch_load_b64 v[10:11], off, off offset:16
	s_waitcnt vmcnt(1)
	v_add_f64 v[13:14], v[6:7], v[4:5]
	v_add_nc_u32_e32 v4, 8, v12
	v_mov_b32_e32 v8, 0
	v_mov_b32_e32 v9, 0
	v_add_co_u32 v15, vcc_lo, v74, v2
	s_delay_alu instid0(VALU_DEP_4) | instskip(SKIP_3) | instid1(VALU_DEP_4)
	v_ashrrev_i32_e32 v5, 31, v4
	v_mov_b32_e32 v6, 0
	v_mov_b32_e32 v7, 0
	v_add_co_ci_u32_e32 v16, vcc_lo, v75, v3, vcc_lo
	v_lshlrev_b64 v[4:5], 3, v[4:5]
	s_and_b32 vcc_lo, exec_lo, s0
	global_store_b64 v[15:16], v[13:14], off
	s_cbranch_vccnz .LBB199_49
; %bb.48:
	v_add_co_u32 v6, vcc_lo, v72, v4
	v_add_co_ci_u32_e32 v7, vcc_lo, v73, v5, vcc_lo
	flat_load_b64 v[6:7], v[6:7]
	s_waitcnt vmcnt(0) lgkmcnt(0)
	v_mul_f64 v[6:7], v[6:7], s[6:7]
.LBB199_49:
	scratch_load_b64 v[13:14], off, off offset:24
	s_waitcnt vmcnt(1)
	v_add_f64 v[10:11], v[10:11], v[6:7]
	v_add_nc_u32_e32 v6, 12, v12
	v_add_co_u32 v15, vcc_lo, v74, v4
	v_add_co_ci_u32_e32 v16, vcc_lo, v75, v5, vcc_lo
	s_delay_alu instid0(VALU_DEP_3) | instskip(SKIP_1) | instid1(VALU_DEP_1)
	v_ashrrev_i32_e32 v7, 31, v6
	s_and_b32 vcc_lo, exec_lo, s0
	v_lshlrev_b64 v[6:7], 3, v[6:7]
	global_store_b64 v[15:16], v[10:11], off
	s_cbranch_vccnz .LBB199_51
; %bb.50:
	v_add_co_u32 v8, vcc_lo, v72, v6
	v_add_co_ci_u32_e32 v9, vcc_lo, v73, v7, vcc_lo
	flat_load_b64 v[8:9], v[8:9]
	s_waitcnt vmcnt(0) lgkmcnt(0)
	v_mul_f64 v[8:9], v[8:9], s[6:7]
.LBB199_51:
	scratch_load_b64 v[10:11], off, off offset:32
	s_waitcnt vmcnt(1)
	v_add_f64 v[17:18], v[13:14], v[8:9]
	v_dual_mov_b32 v13, 0 :: v_dual_add_nc_u32 v8, 16, v12
	v_add_co_u32 v19, vcc_lo, v74, v6
	v_dual_mov_b32 v14, 0 :: v_dual_mov_b32 v15, 0
	s_delay_alu instid0(VALU_DEP_3) | instskip(SKIP_3) | instid1(VALU_DEP_3)
	v_ashrrev_i32_e32 v9, 31, v8
	v_add_co_ci_u32_e32 v20, vcc_lo, v75, v7, vcc_lo
	v_mov_b32_e32 v16, 0
	s_and_b32 vcc_lo, exec_lo, s0
	v_lshlrev_b64 v[8:9], 3, v[8:9]
	global_store_b64 v[19:20], v[17:18], off
	s_cbranch_vccnz .LBB199_53
; %bb.52:
	v_add_co_u32 v15, vcc_lo, v72, v8
	v_add_co_ci_u32_e32 v16, vcc_lo, v73, v9, vcc_lo
	flat_load_b64 v[15:16], v[15:16]
	s_waitcnt vmcnt(0) lgkmcnt(0)
	v_mul_f64 v[15:16], v[15:16], s[6:7]
.LBB199_53:
	scratch_load_b64 v[17:18], off, off offset:40
	s_waitcnt vmcnt(1)
	v_add_f64 v[15:16], v[10:11], v[15:16]
	v_add_nc_u32_e32 v10, 20, v12
	v_add_co_u32 v19, vcc_lo, v74, v8
	v_add_co_ci_u32_e32 v20, vcc_lo, v75, v9, vcc_lo
	s_delay_alu instid0(VALU_DEP_3) | instskip(SKIP_1) | instid1(VALU_DEP_1)
	v_ashrrev_i32_e32 v11, 31, v10
	s_and_b32 vcc_lo, exec_lo, s0
	v_lshlrev_b64 v[10:11], 3, v[10:11]
	global_store_b64 v[19:20], v[15:16], off
	s_cbranch_vccnz .LBB199_55
; %bb.54:
	v_add_co_u32 v13, vcc_lo, v72, v10
	v_add_co_ci_u32_e32 v14, vcc_lo, v73, v11, vcc_lo
	flat_load_b64 v[13:14], v[13:14]
	s_waitcnt vmcnt(0) lgkmcnt(0)
	v_mul_f64 v[13:14], v[13:14], s[6:7]
.LBB199_55:
	scratch_load_b64 v[15:16], off, off offset:48
	s_waitcnt vmcnt(1)
	v_add_f64 v[21:22], v[17:18], v[13:14]
	v_add_nc_u32_e32 v13, 24, v12
	v_mov_b32_e32 v17, 0
	v_mov_b32_e32 v18, 0
	v_add_co_u32 v23, vcc_lo, v74, v10
	s_delay_alu instid0(VALU_DEP_4) | instskip(SKIP_3) | instid1(VALU_DEP_4)
	v_ashrrev_i32_e32 v14, 31, v13
	v_mov_b32_e32 v19, 0
	v_mov_b32_e32 v20, 0
	v_add_co_ci_u32_e32 v24, vcc_lo, v75, v11, vcc_lo
	v_lshlrev_b64 v[13:14], 3, v[13:14]
	s_and_b32 vcc_lo, exec_lo, s0
	global_store_b64 v[23:24], v[21:22], off
	s_cbranch_vccnz .LBB199_57
; %bb.56:
	v_add_co_u32 v19, vcc_lo, v72, v13
	v_add_co_ci_u32_e32 v20, vcc_lo, v73, v14, vcc_lo
	flat_load_b64 v[19:20], v[19:20]
	s_waitcnt vmcnt(0) lgkmcnt(0)
	v_mul_f64 v[19:20], v[19:20], s[6:7]
.LBB199_57:
	scratch_load_b64 v[21:22], off, off offset:56
	s_waitcnt vmcnt(1)
	v_add_f64 v[19:20], v[15:16], v[19:20]
	v_add_nc_u32_e32 v15, 28, v12
	v_add_co_u32 v23, vcc_lo, v74, v13
	v_add_co_ci_u32_e32 v24, vcc_lo, v75, v14, vcc_lo
	s_delay_alu instid0(VALU_DEP_3) | instskip(SKIP_1) | instid1(VALU_DEP_1)
	v_ashrrev_i32_e32 v16, 31, v15
	s_and_b32 vcc_lo, exec_lo, s0
	v_lshlrev_b64 v[15:16], 3, v[15:16]
	global_store_b64 v[23:24], v[19:20], off
	s_cbranch_vccnz .LBB199_59
; %bb.58:
	v_add_co_u32 v17, vcc_lo, v72, v15
	v_add_co_ci_u32_e32 v18, vcc_lo, v73, v16, vcc_lo
	flat_load_b64 v[17:18], v[17:18]
	s_waitcnt vmcnt(0) lgkmcnt(0)
	v_mul_f64 v[17:18], v[17:18], s[6:7]
.LBB199_59:
	scratch_load_b64 v[19:20], off, off offset:64
	s_waitcnt vmcnt(1)
	v_add_f64 v[25:26], v[21:22], v[17:18]
	v_add_nc_u32_e32 v17, 32, v12
	v_mov_b32_e32 v21, 0
	v_mov_b32_e32 v22, 0
	v_add_co_u32 v27, vcc_lo, v74, v15
	s_delay_alu instid0(VALU_DEP_4) | instskip(SKIP_3) | instid1(VALU_DEP_4)
	v_ashrrev_i32_e32 v18, 31, v17
	v_mov_b32_e32 v23, 0
	v_mov_b32_e32 v24, 0
	v_add_co_ci_u32_e32 v28, vcc_lo, v75, v16, vcc_lo
	v_lshlrev_b64 v[17:18], 3, v[17:18]
	s_and_b32 vcc_lo, exec_lo, s0
	;; [unrolled: 42-line block ×13, first 2 shown]
	global_store_b64 v[76:77], v[67:68], off
	s_cbranch_vccnz .LBB199_105
; %bb.104:
	v_add_co_u32 v67, vcc_lo, v72, v61
	v_add_co_ci_u32_e32 v68, vcc_lo, v73, v62, vcc_lo
	flat_load_b64 v[67:68], v[67:68]
	s_waitcnt vmcnt(0) lgkmcnt(0)
	v_mul_f64 v[69:70], v[67:68], s[6:7]
.LBB199_105:
	scratch_load_b64 v[67:68], off, off offset:248
	s_waitcnt vmcnt(1)
	v_add_f64 v[69:70], v[63:64], v[69:70]
	v_add_nc_u32_e32 v63, 0x7c, v12
	v_add_co_u32 v76, vcc_lo, v74, v61
	v_add_co_ci_u32_e32 v77, vcc_lo, v75, v62, vcc_lo
	s_delay_alu instid0(VALU_DEP_3) | instskip(SKIP_1) | instid1(VALU_DEP_1)
	v_ashrrev_i32_e32 v64, 31, v63
	s_and_b32 vcc_lo, exec_lo, s0
	v_lshlrev_b64 v[63:64], 3, v[63:64]
	global_store_b64 v[76:77], v[69:70], off
	s_cbranch_vccnz .LBB199_107
; %bb.106:
	v_add_co_u32 v65, vcc_lo, v72, v63
	v_add_co_ci_u32_e32 v66, vcc_lo, v73, v64, vcc_lo
	flat_load_b64 v[65:66], v[65:66]
	s_waitcnt vmcnt(0) lgkmcnt(0)
	v_mul_f64 v[65:66], v[65:66], s[6:7]
.LBB199_107:
	scratch_load_b64 v[69:70], off, off offset:256
	s_waitcnt vmcnt(1)
	v_add_f64 v[67:68], v[67:68], v[65:66]
	v_add_nc_u32_e32 v76, 64, v71
	v_add_co_u32 v74, vcc_lo, v74, v63
	v_add_co_ci_u32_e32 v75, vcc_lo, v75, v64, vcc_lo
	s_delay_alu instid0(VALU_DEP_3) | instskip(SKIP_2) | instid1(VALU_DEP_3)
	v_mad_i64_i32 v[65:66], null, v76, s3, 0
	v_mov_b32_e32 v71, 0
	v_mov_b32_e32 v72, 0
	v_lshlrev_b64 v[77:78], 3, v[65:66]
	v_mov_b32_e32 v65, 0
	v_mov_b32_e32 v66, 0
	s_delay_alu instid0(VALU_DEP_3) | instskip(NEXT) | instid1(VALU_DEP_4)
	v_add_co_u32 v12, vcc_lo, s4, v77
	v_add_co_ci_u32_e32 v73, vcc_lo, s5, v78, vcc_lo
	s_mov_b32 vcc_lo, s2
	global_store_b64 v[74:75], v[67:68], off
	s_cbranch_vccz .LBB199_109
; %bb.108:
	v_add_co_u32 v67, vcc_lo, v12, v0
	v_add_co_ci_u32_e32 v68, vcc_lo, v73, v1, vcc_lo
	flat_load_b64 v[67:68], v[67:68]
	s_waitcnt vmcnt(0) lgkmcnt(0)
	v_mul_f64 v[71:72], v[67:68], s[6:7]
.LBB199_109:
	scratch_load_b64 v[67:68], off, off offset:264
	s_waitcnt vmcnt(1)
	v_add_f64 v[69:70], v[69:70], v[71:72]
	v_mad_i64_i32 v[71:72], null, v76, s1, 0
	s_delay_alu instid0(VALU_DEP_1) | instskip(NEXT) | instid1(VALU_DEP_1)
	v_lshlrev_b64 v[71:72], 3, v[71:72]
	v_add_co_u32 v71, vcc_lo, s8, v71
	s_delay_alu instid0(VALU_DEP_2) | instskip(NEXT) | instid1(VALU_DEP_2)
	v_add_co_ci_u32_e32 v72, vcc_lo, s9, v72, vcc_lo
	v_add_co_u32 v0, vcc_lo, v71, v0
	s_delay_alu instid0(VALU_DEP_2)
	v_add_co_ci_u32_e32 v1, vcc_lo, v72, v1, vcc_lo
	s_and_b32 vcc_lo, exec_lo, s0
	global_store_b64 v[0:1], v[69:70], off
	s_cbranch_vccnz .LBB199_111
; %bb.110:
	v_add_co_u32 v0, vcc_lo, v12, v2
	v_add_co_ci_u32_e32 v1, vcc_lo, v73, v3, vcc_lo
	flat_load_b64 v[0:1], v[0:1]
	s_waitcnt vmcnt(0) lgkmcnt(0)
	v_mul_f64 v[65:66], v[0:1], s[6:7]
.LBB199_111:
	scratch_load_b64 v[69:70], off, off offset:272
	s_waitcnt vmcnt(1)
	v_add_f64 v[65:66], v[67:68], v[65:66]
	v_add_co_u32 v67, vcc_lo, v71, v2
	v_mov_b32_e32 v0, 0
	v_add_co_ci_u32_e32 v68, vcc_lo, v72, v3, vcc_lo
	v_dual_mov_b32 v1, 0 :: v_dual_mov_b32 v2, 0
	v_mov_b32_e32 v3, 0
	s_and_b32 vcc_lo, exec_lo, s0
	global_store_b64 v[67:68], v[65:66], off
	s_cbranch_vccnz .LBB199_113
; %bb.112:
	v_add_co_u32 v2, vcc_lo, v12, v4
	v_add_co_ci_u32_e32 v3, vcc_lo, v73, v5, vcc_lo
	flat_load_b64 v[2:3], v[2:3]
	s_waitcnt vmcnt(0) lgkmcnt(0)
	v_mul_f64 v[2:3], v[2:3], s[6:7]
.LBB199_113:
	scratch_load_b64 v[65:66], off, off offset:280
	s_waitcnt vmcnt(1)
	v_add_f64 v[2:3], v[69:70], v[2:3]
	v_add_co_u32 v4, vcc_lo, v71, v4
	v_add_co_ci_u32_e32 v5, vcc_lo, v72, v5, vcc_lo
	s_and_b32 vcc_lo, exec_lo, s0
	global_store_b64 v[4:5], v[2:3], off
	s_cbranch_vccnz .LBB199_115
; %bb.114:
	v_add_co_u32 v0, vcc_lo, v12, v6
	v_add_co_ci_u32_e32 v1, vcc_lo, v73, v7, vcc_lo
	flat_load_b64 v[0:1], v[0:1]
	s_waitcnt vmcnt(0) lgkmcnt(0)
	v_mul_f64 v[0:1], v[0:1], s[6:7]
.LBB199_115:
	scratch_load_b64 v[2:3], off, off offset:288
	s_waitcnt vmcnt(1)
	v_add_f64 v[4:5], v[65:66], v[0:1]
	v_add_co_u32 v65, vcc_lo, v71, v6
	v_mov_b32_e32 v0, 0
	v_add_co_ci_u32_e32 v66, vcc_lo, v72, v7, vcc_lo
	v_dual_mov_b32 v1, 0 :: v_dual_mov_b32 v6, 0
	v_mov_b32_e32 v7, 0
	s_and_b32 vcc_lo, exec_lo, s0
	global_store_b64 v[65:66], v[4:5], off
	s_cbranch_vccnz .LBB199_117
; %bb.116:
	v_add_co_u32 v4, vcc_lo, v12, v8
	v_add_co_ci_u32_e32 v5, vcc_lo, v73, v9, vcc_lo
	flat_load_b64 v[4:5], v[4:5]
	s_waitcnt vmcnt(0) lgkmcnt(0)
	v_mul_f64 v[6:7], v[4:5], s[6:7]
.LBB199_117:
	scratch_load_b64 v[4:5], off, off offset:296
	s_waitcnt vmcnt(1)
	v_add_f64 v[2:3], v[2:3], v[6:7]
	v_add_co_u32 v6, vcc_lo, v71, v8
	v_add_co_ci_u32_e32 v7, vcc_lo, v72, v9, vcc_lo
	s_and_b32 vcc_lo, exec_lo, s0
	global_store_b64 v[6:7], v[2:3], off
	s_cbranch_vccnz .LBB199_119
; %bb.118:
	v_add_co_u32 v0, vcc_lo, v12, v10
	v_add_co_ci_u32_e32 v1, vcc_lo, v73, v11, vcc_lo
	flat_load_b64 v[0:1], v[0:1]
	s_waitcnt vmcnt(0) lgkmcnt(0)
	v_mul_f64 v[0:1], v[0:1], s[6:7]
.LBB199_119:
	scratch_load_b64 v[2:3], off, off offset:304
	s_waitcnt vmcnt(1)
	v_add_f64 v[4:5], v[4:5], v[0:1]
	v_add_co_u32 v8, vcc_lo, v71, v10
	v_mov_b32_e32 v0, 0
	v_dual_mov_b32 v1, 0 :: v_dual_mov_b32 v6, 0
	v_add_co_ci_u32_e32 v9, vcc_lo, v72, v11, vcc_lo
	v_mov_b32_e32 v7, 0
	s_and_b32 vcc_lo, exec_lo, s0
	global_store_b64 v[8:9], v[4:5], off
	s_cbranch_vccnz .LBB199_121
; %bb.120:
	v_add_co_u32 v4, vcc_lo, v12, v13
	v_add_co_ci_u32_e32 v5, vcc_lo, v73, v14, vcc_lo
	flat_load_b64 v[4:5], v[4:5]
	s_waitcnt vmcnt(0) lgkmcnt(0)
	v_mul_f64 v[6:7], v[4:5], s[6:7]
.LBB199_121:
	scratch_load_b64 v[4:5], off, off offset:312
	s_waitcnt vmcnt(1)
	v_add_f64 v[2:3], v[2:3], v[6:7]
	v_add_co_u32 v6, vcc_lo, v71, v13
	v_add_co_ci_u32_e32 v7, vcc_lo, v72, v14, vcc_lo
	s_and_b32 vcc_lo, exec_lo, s0
	global_store_b64 v[6:7], v[2:3], off
	s_cbranch_vccnz .LBB199_123
; %bb.122:
	v_add_co_u32 v0, vcc_lo, v12, v15
	v_add_co_ci_u32_e32 v1, vcc_lo, v73, v16, vcc_lo
	flat_load_b64 v[0:1], v[0:1]
	s_waitcnt vmcnt(0) lgkmcnt(0)
	v_mul_f64 v[0:1], v[0:1], s[6:7]
.LBB199_123:
	scratch_load_b64 v[2:3], off, off offset:320
	s_waitcnt vmcnt(1)
	v_add_f64 v[4:5], v[4:5], v[0:1]
	v_add_co_u32 v8, vcc_lo, v71, v15
	v_mov_b32_e32 v0, 0
	v_dual_mov_b32 v1, 0 :: v_dual_mov_b32 v6, 0
	v_add_co_ci_u32_e32 v9, vcc_lo, v72, v16, vcc_lo
	;; [unrolled: 33-line block ×13, first 2 shown]
	v_mov_b32_e32 v7, 0
	s_and_b32 vcc_lo, exec_lo, s0
	global_store_b64 v[8:9], v[4:5], off
	s_cbranch_vccnz .LBB199_169
; %bb.168:
	v_add_co_u32 v4, vcc_lo, v12, v61
	v_add_co_ci_u32_e32 v5, vcc_lo, v73, v62, vcc_lo
	flat_load_b64 v[4:5], v[4:5]
	s_waitcnt vmcnt(0) lgkmcnt(0)
	v_mul_f64 v[6:7], v[4:5], s[6:7]
.LBB199_169:
	scratch_load_b64 v[4:5], off, off offset:504
	s_waitcnt vmcnt(1)
	v_add_f64 v[2:3], v[2:3], v[6:7]
	v_add_co_u32 v6, vcc_lo, v71, v61
	v_add_co_ci_u32_e32 v7, vcc_lo, v72, v62, vcc_lo
	s_and_b32 vcc_lo, exec_lo, s0
	global_store_b64 v[6:7], v[2:3], off
	s_cbranch_vccnz .LBB199_171
; %bb.170:
	v_add_co_u32 v0, vcc_lo, v12, v63
	v_add_co_ci_u32_e32 v1, vcc_lo, v73, v64, vcc_lo
	flat_load_b64 v[0:1], v[0:1]
	s_waitcnt vmcnt(0) lgkmcnt(0)
	v_mul_f64 v[0:1], v[0:1], s[6:7]
.LBB199_171:
	s_waitcnt vmcnt(0)
	s_delay_alu instid0(VALU_DEP_1)
	v_add_f64 v[0:1], v[4:5], v[0:1]
	v_add_co_u32 v2, vcc_lo, v71, v63
	v_add_co_ci_u32_e32 v3, vcc_lo, v72, v64, vcc_lo
	global_store_b64 v[2:3], v[0:1], off
	s_endpgm
	.section	.rodata,"a",@progbits
	.p2align	6, 0x0
	.amdhsa_kernel _ZN12_GLOBAL__N_120geam_min_plus_kernelIdddLi4ELi64ELi128ELi128ELi4ELi4ELi64ELi64ELi4ELc84ELc84ELb1ELb0ELb0EdKddEEviiiT16_PT17_ilS4_ilS2_S4_ilPT18_ili26rocblas_geam_ex_operation_
		.amdhsa_group_segment_fixed_size 16384
		.amdhsa_private_segment_fixed_size 528
		.amdhsa_kernarg_size 136
		.amdhsa_user_sgpr_count 14
		.amdhsa_user_sgpr_dispatch_ptr 0
		.amdhsa_user_sgpr_queue_ptr 0
		.amdhsa_user_sgpr_kernarg_segment_ptr 1
		.amdhsa_user_sgpr_dispatch_id 0
		.amdhsa_user_sgpr_private_segment_size 0
		.amdhsa_wavefront_size32 1
		.amdhsa_uses_dynamic_stack 0
		.amdhsa_enable_private_segment 1
		.amdhsa_system_sgpr_workgroup_id_x 1
		.amdhsa_system_sgpr_workgroup_id_y 0
		.amdhsa_system_sgpr_workgroup_id_z 1
		.amdhsa_system_sgpr_workgroup_info 0
		.amdhsa_system_vgpr_workitem_id 1
		.amdhsa_next_free_vgpr 255
		.amdhsa_next_free_sgpr 24
		.amdhsa_reserve_vcc 1
		.amdhsa_float_round_mode_32 0
		.amdhsa_float_round_mode_16_64 0
		.amdhsa_float_denorm_mode_32 3
		.amdhsa_float_denorm_mode_16_64 3
		.amdhsa_dx10_clamp 1
		.amdhsa_ieee_mode 1
		.amdhsa_fp16_overflow 0
		.amdhsa_workgroup_processor_mode 1
		.amdhsa_memory_ordered 1
		.amdhsa_forward_progress 0
		.amdhsa_shared_vgpr_count 0
		.amdhsa_exception_fp_ieee_invalid_op 0
		.amdhsa_exception_fp_denorm_src 0
		.amdhsa_exception_fp_ieee_div_zero 0
		.amdhsa_exception_fp_ieee_overflow 0
		.amdhsa_exception_fp_ieee_underflow 0
		.amdhsa_exception_fp_ieee_inexact 0
		.amdhsa_exception_int_div_zero 0
	.end_amdhsa_kernel
	.section	.text._ZN12_GLOBAL__N_120geam_min_plus_kernelIdddLi4ELi64ELi128ELi128ELi4ELi4ELi64ELi64ELi4ELc84ELc84ELb1ELb0ELb0EdKddEEviiiT16_PT17_ilS4_ilS2_S4_ilPT18_ili26rocblas_geam_ex_operation_,"axG",@progbits,_ZN12_GLOBAL__N_120geam_min_plus_kernelIdddLi4ELi64ELi128ELi128ELi4ELi4ELi64ELi64ELi4ELc84ELc84ELb1ELb0ELb0EdKddEEviiiT16_PT17_ilS4_ilS2_S4_ilPT18_ili26rocblas_geam_ex_operation_,comdat
.Lfunc_end199:
	.size	_ZN12_GLOBAL__N_120geam_min_plus_kernelIdddLi4ELi64ELi128ELi128ELi4ELi4ELi64ELi64ELi4ELc84ELc84ELb1ELb0ELb0EdKddEEviiiT16_PT17_ilS4_ilS2_S4_ilPT18_ili26rocblas_geam_ex_operation_, .Lfunc_end199-_ZN12_GLOBAL__N_120geam_min_plus_kernelIdddLi4ELi64ELi128ELi128ELi4ELi4ELi64ELi64ELi4ELc84ELc84ELb1ELb0ELb0EdKddEEviiiT16_PT17_ilS4_ilS2_S4_ilPT18_ili26rocblas_geam_ex_operation_
                                        ; -- End function
	.section	.AMDGPU.csdata,"",@progbits
; Kernel info:
; codeLenInByte = 42984
; NumSgprs: 26
; NumVgprs: 255
; ScratchSize: 528
; MemoryBound: 1
; FloatMode: 240
; IeeeMode: 1
; LDSByteSize: 16384 bytes/workgroup (compile time only)
; SGPRBlocks: 3
; VGPRBlocks: 31
; NumSGPRsForWavesPerEU: 26
; NumVGPRsForWavesPerEU: 255
; Occupancy: 5
; WaveLimiterHint : 1
; COMPUTE_PGM_RSRC2:SCRATCH_EN: 1
; COMPUTE_PGM_RSRC2:USER_SGPR: 14
; COMPUTE_PGM_RSRC2:TRAP_HANDLER: 0
; COMPUTE_PGM_RSRC2:TGID_X_EN: 1
; COMPUTE_PGM_RSRC2:TGID_Y_EN: 0
; COMPUTE_PGM_RSRC2:TGID_Z_EN: 1
; COMPUTE_PGM_RSRC2:TIDIG_COMP_CNT: 1
	.section	.text._ZN12_GLOBAL__N_120geam_min_plus_kernelIdddLi4ELi64ELi128ELi128ELi4ELi4ELi64ELi64ELi4ELc84ELc84ELb0ELb0ELb0EdKddEEviiiT16_PT17_ilS4_ilS2_S4_ilPT18_ili26rocblas_geam_ex_operation_,"axG",@progbits,_ZN12_GLOBAL__N_120geam_min_plus_kernelIdddLi4ELi64ELi128ELi128ELi4ELi4ELi64ELi64ELi4ELc84ELc84ELb0ELb0ELb0EdKddEEviiiT16_PT17_ilS4_ilS2_S4_ilPT18_ili26rocblas_geam_ex_operation_,comdat
	.globl	_ZN12_GLOBAL__N_120geam_min_plus_kernelIdddLi4ELi64ELi128ELi128ELi4ELi4ELi64ELi64ELi4ELc84ELc84ELb0ELb0ELb0EdKddEEviiiT16_PT17_ilS4_ilS2_S4_ilPT18_ili26rocblas_geam_ex_operation_ ; -- Begin function _ZN12_GLOBAL__N_120geam_min_plus_kernelIdddLi4ELi64ELi128ELi128ELi4ELi4ELi64ELi64ELi4ELc84ELc84ELb0ELb0ELb0EdKddEEviiiT16_PT17_ilS4_ilS2_S4_ilPT18_ili26rocblas_geam_ex_operation_
	.p2align	8
	.type	_ZN12_GLOBAL__N_120geam_min_plus_kernelIdddLi4ELi64ELi128ELi128ELi4ELi4ELi64ELi64ELi4ELc84ELc84ELb0ELb0ELb0EdKddEEviiiT16_PT17_ilS4_ilS2_S4_ilPT18_ili26rocblas_geam_ex_operation_,@function
_ZN12_GLOBAL__N_120geam_min_plus_kernelIdddLi4ELi64ELi128ELi128ELi4ELi4ELi64ELi64ELi4ELc84ELc84ELb0ELb0ELb0EdKddEEviiiT16_PT17_ilS4_ilS2_S4_ilPT18_ili26rocblas_geam_ex_operation_: ; @_ZN12_GLOBAL__N_120geam_min_plus_kernelIdddLi4ELi64ELi128ELi128ELi4ELi4ELi64ELi64ELi4ELc84ELc84ELb0ELb0ELb0EdKddEEviiiT16_PT17_ilS4_ilS2_S4_ilPT18_ili26rocblas_geam_ex_operation_
; %bb.0:
	s_clause 0x1
	s_load_b128 s[16:19], s[0:1], 0x10
	s_load_b128 s[8:11], s[0:1], 0x28
	s_mov_b64 s[12:13], 0
	s_waitcnt lgkmcnt(0)
	v_cmp_eq_f64_e64 s20, s[16:17], 0
	s_delay_alu instid0(VALU_DEP_1)
	s_and_b32 vcc_lo, exec_lo, s20
	s_cbranch_vccnz .LBB200_2
; %bb.1:
	s_mul_i32 s2, s15, s9
	s_mul_hi_u32 s3, s15, s8
	s_delay_alu instid0(SALU_CYCLE_1) | instskip(SKIP_1) | instid1(SALU_CYCLE_1)
	s_add_i32 s3, s3, s2
	s_mul_i32 s2, s15, s8
	s_lshl_b64 s[2:3], s[2:3], 3
	s_delay_alu instid0(SALU_CYCLE_1)
	s_add_u32 s12, s18, s2
	s_addc_u32 s13, s19, s3
.LBB200_2:
	s_clause 0x1
	s_load_b128 s[4:7], s[0:1], 0x40
	s_load_b64 s[2:3], s[0:1], 0x50
	s_and_not1_b32 vcc_lo, exec_lo, s20
	s_cbranch_vccnz .LBB200_4
; %bb.3:
	s_mov_b32 s20, 0
	s_mov_b64 s[18:19], 0
	s_cbranch_execz .LBB200_5
	s_branch .LBB200_6
.LBB200_4:
	s_mov_b32 s20, -1
                                        ; implicit-def: $sgpr18_sgpr19
.LBB200_5:
	s_waitcnt lgkmcnt(0)
	s_mul_i32 s5, s15, s5
	s_mul_hi_u32 s8, s15, s4
	s_mul_i32 s4, s15, s4
	s_add_i32 s5, s8, s5
	s_mov_b32 s20, 0
	s_lshl_b64 s[4:5], s[4:5], 3
	s_delay_alu instid0(SALU_CYCLE_1)
	s_add_u32 s18, s10, s4
	s_addc_u32 s19, s11, s5
.LBB200_6:
	s_waitcnt lgkmcnt(0)
	v_cmp_eq_f64_e64 s4, s[6:7], 0
	v_cmp_neq_f64_e64 s26, s[16:17], 0
	s_load_b128 s[8:11], s[0:1], 0x60
	s_delay_alu instid0(VALU_DEP_2)
	s_and_b32 vcc_lo, exec_lo, s4
	s_mov_b64 s[4:5], 0
	s_cbranch_vccnz .LBB200_8
; %bb.7:
	s_waitcnt lgkmcnt(0)
	s_mul_i32 s4, s15, s9
	s_mul_hi_u32 s5, s15, s8
	s_mul_i32 s9, s20, s8
	s_add_i32 s4, s5, s4
	s_delay_alu instid0(SALU_CYCLE_1) | instskip(SKIP_1) | instid1(SALU_CYCLE_1)
	s_add_i32 s5, s4, s9
	s_mul_i32 s4, s15, s8
	s_lshl_b64 s[4:5], s[4:5], 3
	s_delay_alu instid0(SALU_CYCLE_1)
	s_add_u32 s4, s2, s4
	s_addc_u32 s5, s3, s5
.LBB200_8:
	s_waitcnt lgkmcnt(0)
	s_load_b32 s8, s[0:1], 0x0
	s_mov_b32 s2, 0
	v_bfe_u32 v82, v0, 10, 10
	s_mov_b32 s3, s2
	v_dual_mov_b32 v0, s2 :: v_dual_and_b32 v81, 0x3ff, v0
	v_mov_b32_e32 v1, s3
	s_load_b32 s3, s[0:1], 0x20
	s_delay_alu instid0(VALU_DEP_2) | instskip(SKIP_1) | instid1(VALU_DEP_2)
	v_lshl_add_u32 v4, v82, 2, v81
	v_and_b32_e32 v83, 3, v81
	v_lshrrev_b32_e32 v8, 2, v4
	s_delay_alu instid0(VALU_DEP_2) | instskip(SKIP_2) | instid1(SALU_CYCLE_1)
	v_lshlrev_b32_e32 v9, 3, v83
	s_waitcnt lgkmcnt(0)
	s_add_i32 s2, s8, -1
	s_ashr_i32 s8, s2, 31
	s_delay_alu instid0(SALU_CYCLE_1) | instskip(NEXT) | instid1(SALU_CYCLE_1)
	s_lshr_b32 s8, s8, 25
	s_add_i32 s2, s2, s8
	s_delay_alu instid0(SALU_CYCLE_1) | instskip(NEXT) | instid1(SALU_CYCLE_1)
	s_ashr_i32 s2, s2, 7
	s_add_i32 s9, s2, 1
	s_not_b32 s2, s2
	v_cvt_f32_u32_e32 v2, s9
	s_delay_alu instid0(VALU_DEP_1)
	v_rcp_iflag_f32_e32 v2, v2
	s_waitcnt_depctr 0xfff
	v_mul_f32_e32 v2, 0x4f7ffffe, v2
	s_clause 0xe
	scratch_store_b64 off, v[0:1], off
	scratch_store_b64 off, v[0:1], off offset:8
	scratch_store_b64 off, v[0:1], off offset:16
	;; [unrolled: 1-line block ×14, first 2 shown]
	v_cvt_u32_f32_e32 v2, v2
	s_clause 0xe
	scratch_store_b64 off, v[0:1], off offset:120
	scratch_store_b64 off, v[0:1], off offset:128
	scratch_store_b64 off, v[0:1], off offset:136
	scratch_store_b64 off, v[0:1], off offset:144
	scratch_store_b64 off, v[0:1], off offset:152
	scratch_store_b64 off, v[0:1], off offset:160
	scratch_store_b64 off, v[0:1], off offset:168
	scratch_store_b64 off, v[0:1], off offset:176
	scratch_store_b64 off, v[0:1], off offset:184
	scratch_store_b64 off, v[0:1], off offset:192
	scratch_store_b64 off, v[0:1], off offset:200
	scratch_store_b64 off, v[0:1], off offset:208
	scratch_store_b64 off, v[0:1], off offset:216
	scratch_store_b64 off, v[0:1], off offset:224
	scratch_store_b64 off, v[0:1], off offset:232
	v_readfirstlane_b32 s8, v2
	v_cndmask_b32_e64 v2, 0, 1, s26
	s_clause 0x9
	scratch_store_b64 off, v[0:1], off offset:240
	scratch_store_b64 off, v[0:1], off offset:248
	;; [unrolled: 1-line block ×10, first 2 shown]
	s_mul_i32 s2, s2, s8
	s_clause 0x3
	scratch_store_b64 off, v[0:1], off offset:320
	scratch_store_b64 off, v[0:1], off offset:328
	;; [unrolled: 1-line block ×4, first 2 shown]
	s_mul_hi_u32 s2, s8, s2
	s_clause 0x3
	scratch_store_b64 off, v[0:1], off offset:352
	scratch_store_b64 off, v[0:1], off offset:360
	scratch_store_b64 off, v[0:1], off offset:368
	scratch_store_b64 off, v[0:1], off offset:376
	s_add_i32 s8, s8, s2
	s_clause 0x1
	scratch_store_b64 off, v[0:1], off offset:384
	scratch_store_b64 off, v[0:1], off offset:392
	s_mul_hi_u32 s2, s14, s8
	s_clause 0x6
	scratch_store_b64 off, v[0:1], off offset:400
	scratch_store_b64 off, v[0:1], off offset:408
	;; [unrolled: 1-line block ×7, first 2 shown]
	s_mul_i32 s8, s2, s9
	s_add_i32 s21, s2, 1
	s_sub_i32 s8, s14, s8
	s_clause 0x1
	scratch_store_b64 off, v[0:1], off offset:456
	scratch_store_b64 off, v[0:1], off offset:464
	s_sub_i32 s22, s8, s9
	s_cmp_ge_u32 s8, s9
	s_clause 0x2
	scratch_store_b64 off, v[0:1], off offset:472
	scratch_store_b64 off, v[0:1], off offset:480
	;; [unrolled: 1-line block ×3, first 2 shown]
	s_cselect_b32 s2, s21, s2
	s_cselect_b32 s8, s22, s8
	s_add_i32 s21, s2, 1
	s_cmp_ge_u32 s8, s9
	s_clause 0x1
	scratch_store_b64 off, v[0:1], off offset:496
	scratch_store_b64 off, v[0:1], off offset:504
	s_cselect_b32 s8, s21, s2
	s_and_not1_b32 vcc_lo, exec_lo, s26
	s_mul_i32 s2, s8, s9
	s_delay_alu instid0(SALU_CYCLE_1) | instskip(NEXT) | instid1(SALU_CYCLE_1)
	s_sub_i32 s2, s14, s2
	s_lshl_b32 s14, s2, 7
	v_cmp_ne_u32_e64 s2, 1, v2
	v_add_nc_u32_e32 v79, s14, v8
	s_delay_alu instid0(VALU_DEP_1)
	v_add_nc_u32_e32 v78, 64, v79
	s_cbranch_vccnz .LBB200_10
; %bb.9:
	v_mad_i64_i32 v[0:1], null, v79, s3, 0
	s_delay_alu instid0(VALU_DEP_2) | instskip(SKIP_1) | instid1(VALU_DEP_1)
	v_mad_i64_i32 v[2:3], null, v78, s3, 0
	v_add_co_u32 v5, s9, s12, v9
	v_add_co_ci_u32_e64 v6, null, s13, 0, s9
	s_delay_alu instid0(VALU_DEP_4) | instskip(NEXT) | instid1(VALU_DEP_4)
	v_lshlrev_b64 v[0:1], 3, v[0:1]
	v_lshlrev_b64 v[2:3], 3, v[2:3]
	s_delay_alu instid0(VALU_DEP_2) | instskip(NEXT) | instid1(VALU_DEP_3)
	v_add_co_u32 v0, vcc_lo, v5, v0
	v_add_co_ci_u32_e32 v1, vcc_lo, v6, v1, vcc_lo
	s_delay_alu instid0(VALU_DEP_3) | instskip(NEXT) | instid1(VALU_DEP_4)
	v_add_co_u32 v2, vcc_lo, v5, v2
	v_add_co_ci_u32_e32 v3, vcc_lo, v6, v3, vcc_lo
	s_clause 0x1
	flat_load_b64 v[0:1], v[0:1]
	flat_load_b64 v[2:3], v[2:3]
	s_waitcnt vmcnt(1) lgkmcnt(1)
	v_mul_f64 v[0:1], v[0:1], s[16:17]
	s_waitcnt vmcnt(0) lgkmcnt(0)
	v_mul_f64 v[2:3], v[2:3], s[16:17]
	s_branch .LBB200_11
.LBB200_10:
	v_mov_b32_e32 v0, 0
	v_dual_mov_b32 v1, 0 :: v_dual_mov_b32 v2, 0
	v_mov_b32_e32 v3, 0
.LBB200_11:
	s_load_b32 s23, s[0:1], 0x38
	v_and_b32_e32 v10, 63, v4
	s_lshl_b32 s21, s8, 7
	v_lshrrev_b32_e32 v84, 6, v4
	s_and_b32 vcc_lo, exec_lo, s2
	s_delay_alu instid0(VALU_DEP_2) | instskip(NEXT) | instid1(VALU_DEP_1)
	v_or_b32_e32 v68, s21, v10
	v_ashrrev_i32_e32 v69, 31, v68
	s_waitcnt lgkmcnt(0)
	s_ashr_i32 s24, s23, 31
	s_cbranch_vccnz .LBB200_15
; %bb.12:
	v_mad_i64_i32 v[4:5], null, s23, v84, 0
	v_lshlrev_b64 v[6:7], 3, v[68:69]
	s_delay_alu instid0(VALU_DEP_2) | instskip(NEXT) | instid1(VALU_DEP_1)
	v_lshlrev_b64 v[4:5], 3, v[4:5]
	v_add_co_u32 v4, vcc_lo, s18, v4
	s_delay_alu instid0(VALU_DEP_2) | instskip(NEXT) | instid1(VALU_DEP_2)
	v_add_co_ci_u32_e32 v5, vcc_lo, s19, v5, vcc_lo
	v_add_co_u32 v4, vcc_lo, v4, v6
	s_delay_alu instid0(VALU_DEP_2)
	v_add_co_ci_u32_e32 v5, vcc_lo, v5, v7, vcc_lo
	s_clause 0x1
	flat_load_b64 v[6:7], v[4:5]
	flat_load_b64 v[11:12], v[4:5] offset:512
	s_waitcnt vmcnt(1) lgkmcnt(1)
	v_mul_f64 v[4:5], v[6:7], s[16:17]
	s_waitcnt vmcnt(0) lgkmcnt(0)
	v_mul_f64 v[6:7], v[11:12], s[16:17]
	s_and_b32 vcc_lo, exec_lo, s2
	s_cbranch_vccnz .LBB200_16
.LBB200_13:
	v_mad_i64_i32 v[11:12], null, v79, s3, 0
	v_mad_i64_i32 v[13:14], null, v78, s3, 0
	v_add_co_u32 v15, s8, s12, v9
	s_delay_alu instid0(VALU_DEP_1) | instskip(NEXT) | instid1(VALU_DEP_4)
	v_add_co_ci_u32_e64 v16, null, s13, 0, s8
	v_lshlrev_b64 v[11:12], 3, v[11:12]
	s_delay_alu instid0(VALU_DEP_4) | instskip(NEXT) | instid1(VALU_DEP_2)
	v_lshlrev_b64 v[13:14], 3, v[13:14]
	v_add_co_u32 v11, vcc_lo, v15, v11
	s_delay_alu instid0(VALU_DEP_3) | instskip(NEXT) | instid1(VALU_DEP_3)
	v_add_co_ci_u32_e32 v12, vcc_lo, v16, v12, vcc_lo
	v_add_co_u32 v13, vcc_lo, v15, v13
	s_delay_alu instid0(VALU_DEP_4)
	v_add_co_ci_u32_e32 v14, vcc_lo, v16, v14, vcc_lo
	s_clause 0x1
	flat_load_b64 v[11:12], v[11:12] offset:32
	flat_load_b64 v[13:14], v[13:14] offset:32
	s_waitcnt vmcnt(1) lgkmcnt(1)
	v_mul_f64 v[70:71], v[11:12], s[16:17]
	s_waitcnt vmcnt(0) lgkmcnt(0)
	v_mul_f64 v[72:73], v[13:14], s[16:17]
	v_add_nc_u32_e32 v85, 4, v84
	s_and_b32 vcc_lo, exec_lo, s2
	s_mov_b64 s[8:9], 0
	s_cbranch_vccnz .LBB200_17
.LBB200_14:
	s_delay_alu instid0(VALU_DEP_1) | instskip(SKIP_1) | instid1(VALU_DEP_2)
	v_mad_i64_i32 v[11:12], null, s23, v85, 0
	v_lshlrev_b64 v[13:14], 3, v[68:69]
	v_lshlrev_b64 v[11:12], 3, v[11:12]
	s_delay_alu instid0(VALU_DEP_1) | instskip(NEXT) | instid1(VALU_DEP_2)
	v_add_co_u32 v11, vcc_lo, s18, v11
	v_add_co_ci_u32_e32 v12, vcc_lo, s19, v12, vcc_lo
	s_delay_alu instid0(VALU_DEP_2) | instskip(NEXT) | instid1(VALU_DEP_2)
	v_add_co_u32 v11, vcc_lo, v11, v13
	v_add_co_ci_u32_e32 v12, vcc_lo, v12, v14, vcc_lo
	s_clause 0x1
	flat_load_b64 v[13:14], v[11:12]
	flat_load_b64 v[11:12], v[11:12] offset:512
	s_waitcnt vmcnt(1) lgkmcnt(1)
	v_mul_f64 v[74:75], v[13:14], s[16:17]
	s_waitcnt vmcnt(0) lgkmcnt(0)
	v_mul_f64 v[76:77], v[11:12], s[16:17]
	s_branch .LBB200_18
.LBB200_15:
	v_mov_b32_e32 v4, 0
	v_dual_mov_b32 v5, 0 :: v_dual_mov_b32 v6, 0
	v_mov_b32_e32 v7, 0
	s_and_b32 vcc_lo, exec_lo, s2
	s_cbranch_vccz .LBB200_13
.LBB200_16:
	v_mov_b32_e32 v70, 0
	v_dual_mov_b32 v71, 0 :: v_dual_mov_b32 v72, 0
	v_mov_b32_e32 v73, 0
	v_add_nc_u32_e32 v85, 4, v84
	s_and_b32 vcc_lo, exec_lo, s2
	s_mov_b64 s[8:9], 0
	s_cbranch_vccz .LBB200_14
.LBB200_17:
	v_mov_b32_e32 v74, 0
	v_dual_mov_b32 v75, 0 :: v_dual_mov_b32 v76, 0
	v_mov_b32_e32 v77, 0
.LBB200_18:
	v_cmp_neq_f64_e64 s22, s[6:7], 0
	v_dual_mov_b32 v91, 0 :: v_dual_lshlrev_b32 v10, 5, v10
	v_dual_mov_b32 v93, 16 :: v_dual_lshlrev_b32 v86, 5, v81
	v_lshl_or_b32 v87, v8, 5, v9
	s_delay_alu instid0(VALU_DEP_3) | instskip(NEXT) | instid1(VALU_DEP_3)
	v_lshl_add_u32 v80, v84, 3, v10
	v_dual_mov_b32 v95, 32 :: v_dual_add_nc_u32 v48, 0x800, v86
	v_dual_mov_b32 v97, 48 :: v_dual_lshlrev_b32 v88, 5, v82
	ds_store_2addr_stride64_b64 v87, v[0:1], v[2:3] offset1:4
	ds_store_2addr_stride64_b64 v80, v[4:5], v[6:7] offset0:16 offset1:20
	s_waitcnt lgkmcnt(0)
	s_waitcnt_vscnt null, 0x0
	s_barrier
	buffer_gl0_inv
	ds_load_2addr_b64 v[0:3], v86 offset1:16
	ds_load_2addr_b64 v[4:7], v86 offset0:32 offset1:48
	ds_load_2addr_b64 v[8:11], v86 offset0:64 offset1:80
	;; [unrolled: 1-line block ×4, first 2 shown]
	ds_load_2addr_b64 v[20:23], v48 offset1:16
	ds_load_2addr_b64 v[24:27], v48 offset0:32 offset1:48
	ds_load_2addr_b64 v[28:31], v48 offset0:64 offset1:80
	;; [unrolled: 1-line block ×10, first 2 shown]
	ds_load_2addr_stride64_b64 v[64:67], v88 offset0:16 offset1:20
	v_or_b32_e32 v89, 0x2000, v80
	v_dual_mov_b32 v99, 64 :: v_dual_add_nc_u32 v90, 0x2000, v88
	v_dual_mov_b32 v92, 8 :: v_dual_mov_b32 v101, 0x50
	v_dual_mov_b32 v94, 24 :: v_dual_mov_b32 v103, 0x60
	;; [unrolled: 1-line block ×4, first 2 shown]
	v_mov_b32_e32 v100, 0x48
	v_mov_b32_e32 v102, 0x58
	;; [unrolled: 1-line block ×19, first 2 shown]
	s_mov_b32 s25, -1
.LBB200_19:                             ; =>This Inner Loop Header: Depth=1
	scratch_load_b64 v[123:124], v91, off
	scratch_load_b64 v[125:126], v92, off
	;; [unrolled: 1-line block ×32, first 2 shown]
	s_cmp_eq_u32 s8, 1
	s_waitcnt lgkmcnt(16)
	v_max_f64 v[189:190], v[0:1], v[0:1]
	s_cselect_b32 vcc_lo, -1, 0
	v_max_f64 v[191:192], v[2:3], v[2:3]
	s_waitcnt lgkmcnt(0)
	v_dual_cndmask_b32 v188, v65, v67 :: v_dual_cndmask_b32 v187, v64, v66
	v_max_f64 v[193:194], v[4:5], v[4:5]
	v_max_f64 v[195:196], v[6:7], v[6:7]
	;; [unrolled: 1-line block ×31, first 2 shown]
	s_mov_b64 s[8:9], 1
	s_and_b32 vcc_lo, exec_lo, s25
	s_mov_b32 s25, 0
	v_min_f64 v[189:190], v[189:190], v[187:188]
	v_min_f64 v[191:192], v[191:192], v[187:188]
	;; [unrolled: 1-line block ×32, first 2 shown]
	s_waitcnt vmcnt(31)
	v_add_f64 v[123:124], v[123:124], v[189:190]
	s_waitcnt vmcnt(30)
	v_add_f64 v[125:126], v[191:192], v[125:126]
	;; [unrolled: 2-line block ×32, first 2 shown]
	scratch_store_b64 v91, v[123:124], off
	scratch_store_b64 v92, v[125:126], off
	;; [unrolled: 1-line block ×32, first 2 shown]
	v_mov_b32_e32 v91, 0x100
	v_mov_b32_e32 v92, 0x108
	;; [unrolled: 1-line block ×32, first 2 shown]
	s_cbranch_vccnz .LBB200_19
; %bb.20:
	v_dual_mov_b32 v91, 0 :: v_dual_add_nc_u32 v60, 0x800, v86
	ds_load_2addr_b64 v[0:3], v86 offset0:1 offset1:17
	ds_load_2addr_b64 v[4:7], v86 offset0:33 offset1:49
	;; [unrolled: 1-line block ×12, first 2 shown]
	v_dual_mov_b32 v93, 16 :: v_dual_add_nc_u32 v64, 8, v90
	ds_load_2addr_b64 v[48:51], v60 offset0:129 offset1:145
	ds_load_2addr_b64 v[52:55], v60 offset0:161 offset1:177
	;; [unrolled: 1-line block ×4, first 2 shown]
	ds_load_2addr_stride64_b64 v[64:67], v64 offset1:4
	v_dual_mov_b32 v92, 8 :: v_dual_mov_b32 v95, 32
	v_dual_mov_b32 v94, 24 :: v_dual_mov_b32 v97, 48
	;; [unrolled: 1-line block ×4, first 2 shown]
	v_mov_b32_e32 v100, 0x48
	v_mov_b32_e32 v102, 0x58
	;; [unrolled: 1-line block ×22, first 2 shown]
	s_mov_b64 s[8:9], 0
	s_mov_b32 s25, -1
.LBB200_21:                             ; =>This Inner Loop Header: Depth=1
	scratch_load_b64 v[123:124], v91, off
	scratch_load_b64 v[125:126], v92, off
	scratch_load_b64 v[127:128], v93, off
	scratch_load_b64 v[129:130], v94, off
	scratch_load_b64 v[131:132], v95, off
	scratch_load_b64 v[133:134], v96, off
	scratch_load_b64 v[135:136], v97, off
	scratch_load_b64 v[137:138], v98, off
	scratch_load_b64 v[139:140], v99, off
	scratch_load_b64 v[141:142], v100, off
	scratch_load_b64 v[143:144], v101, off
	scratch_load_b64 v[145:146], v102, off
	scratch_load_b64 v[147:148], v103, off
	scratch_load_b64 v[149:150], v104, off
	scratch_load_b64 v[151:152], v105, off
	scratch_load_b64 v[153:154], v106, off
	scratch_load_b64 v[155:156], v107, off
	scratch_load_b64 v[157:158], v108, off
	scratch_load_b64 v[159:160], v109, off
	scratch_load_b64 v[161:162], v110, off
	scratch_load_b64 v[163:164], v111, off
	scratch_load_b64 v[165:166], v112, off
	scratch_load_b64 v[167:168], v113, off
	scratch_load_b64 v[169:170], v114, off
	scratch_load_b64 v[171:172], v115, off
	scratch_load_b64 v[173:174], v116, off
	scratch_load_b64 v[175:176], v117, off
	scratch_load_b64 v[177:178], v118, off
	scratch_load_b64 v[179:180], v119, off
	scratch_load_b64 v[181:182], v120, off
	scratch_load_b64 v[183:184], v121, off
	scratch_load_b64 v[185:186], v122, off
	s_cmp_eq_u32 s8, 1
	s_waitcnt lgkmcnt(16)
	v_max_f64 v[189:190], v[0:1], v[0:1]
	s_cselect_b32 vcc_lo, -1, 0
	v_max_f64 v[191:192], v[2:3], v[2:3]
	s_waitcnt lgkmcnt(0)
	v_dual_cndmask_b32 v188, v65, v67 :: v_dual_cndmask_b32 v187, v64, v66
	v_max_f64 v[193:194], v[4:5], v[4:5]
	v_max_f64 v[195:196], v[6:7], v[6:7]
	;; [unrolled: 1-line block ×31, first 2 shown]
	s_mov_b64 s[8:9], 1
	s_and_b32 vcc_lo, exec_lo, s25
	s_mov_b32 s25, 0
	v_min_f64 v[189:190], v[189:190], v[187:188]
	v_min_f64 v[191:192], v[191:192], v[187:188]
	;; [unrolled: 1-line block ×32, first 2 shown]
	s_waitcnt vmcnt(31)
	v_add_f64 v[123:124], v[123:124], v[189:190]
	s_waitcnt vmcnt(30)
	v_add_f64 v[125:126], v[191:192], v[125:126]
	s_waitcnt vmcnt(29)
	v_add_f64 v[127:128], v[193:194], v[127:128]
	s_waitcnt vmcnt(28)
	v_add_f64 v[129:130], v[195:196], v[129:130]
	s_waitcnt vmcnt(27)
	v_add_f64 v[131:132], v[197:198], v[131:132]
	s_waitcnt vmcnt(26)
	v_add_f64 v[133:134], v[199:200], v[133:134]
	s_waitcnt vmcnt(25)
	v_add_f64 v[135:136], v[201:202], v[135:136]
	s_waitcnt vmcnt(24)
	v_add_f64 v[137:138], v[203:204], v[137:138]
	s_waitcnt vmcnt(23)
	v_add_f64 v[139:140], v[205:206], v[139:140]
	s_waitcnt vmcnt(22)
	v_add_f64 v[141:142], v[207:208], v[141:142]
	s_waitcnt vmcnt(21)
	v_add_f64 v[143:144], v[209:210], v[143:144]
	s_waitcnt vmcnt(20)
	v_add_f64 v[145:146], v[211:212], v[145:146]
	s_waitcnt vmcnt(19)
	v_add_f64 v[147:148], v[213:214], v[147:148]
	s_waitcnt vmcnt(18)
	v_add_f64 v[149:150], v[215:216], v[149:150]
	s_waitcnt vmcnt(17)
	v_add_f64 v[151:152], v[217:218], v[151:152]
	s_waitcnt vmcnt(16)
	v_add_f64 v[153:154], v[219:220], v[153:154]
	s_waitcnt vmcnt(15)
	v_add_f64 v[155:156], v[221:222], v[155:156]
	s_waitcnt vmcnt(14)
	v_add_f64 v[157:158], v[223:224], v[157:158]
	s_waitcnt vmcnt(13)
	v_add_f64 v[159:160], v[225:226], v[159:160]
	s_waitcnt vmcnt(12)
	v_add_f64 v[161:162], v[227:228], v[161:162]
	s_waitcnt vmcnt(11)
	v_add_f64 v[163:164], v[229:230], v[163:164]
	s_waitcnt vmcnt(10)
	v_add_f64 v[165:166], v[231:232], v[165:166]
	s_waitcnt vmcnt(9)
	v_add_f64 v[167:168], v[233:234], v[167:168]
	s_waitcnt vmcnt(8)
	v_add_f64 v[169:170], v[235:236], v[169:170]
	s_waitcnt vmcnt(7)
	v_add_f64 v[171:172], v[237:238], v[171:172]
	s_waitcnt vmcnt(6)
	v_add_f64 v[173:174], v[239:240], v[173:174]
	s_waitcnt vmcnt(5)
	v_add_f64 v[175:176], v[241:242], v[175:176]
	s_waitcnt vmcnt(4)
	v_add_f64 v[177:178], v[243:244], v[177:178]
	s_waitcnt vmcnt(3)
	v_add_f64 v[179:180], v[245:246], v[179:180]
	s_waitcnt vmcnt(2)
	v_add_f64 v[181:182], v[247:248], v[181:182]
	s_waitcnt vmcnt(1)
	v_add_f64 v[183:184], v[249:250], v[183:184]
	s_waitcnt vmcnt(0)
	v_add_f64 v[185:186], v[187:188], v[185:186]
	scratch_store_b64 v91, v[123:124], off
	scratch_store_b64 v92, v[125:126], off
	;; [unrolled: 1-line block ×32, first 2 shown]
	v_mov_b32_e32 v91, 0x100
	v_mov_b32_e32 v92, 0x108
	;; [unrolled: 1-line block ×32, first 2 shown]
	s_cbranch_vccnz .LBB200_21
; %bb.22:
	v_dual_mov_b32 v91, 0 :: v_dual_add_nc_u32 v60, 0x800, v86
	ds_load_2addr_b64 v[0:3], v86 offset0:2 offset1:18
	ds_load_2addr_b64 v[4:7], v86 offset0:34 offset1:50
	;; [unrolled: 1-line block ×12, first 2 shown]
	v_dual_mov_b32 v93, 16 :: v_dual_add_nc_u32 v64, 16, v90
	ds_load_2addr_b64 v[48:51], v60 offset0:130 offset1:146
	ds_load_2addr_b64 v[52:55], v60 offset0:162 offset1:178
	;; [unrolled: 1-line block ×4, first 2 shown]
	ds_load_2addr_stride64_b64 v[64:67], v64 offset1:4
	v_dual_mov_b32 v92, 8 :: v_dual_mov_b32 v95, 32
	v_dual_mov_b32 v94, 24 :: v_dual_mov_b32 v97, 48
	;; [unrolled: 1-line block ×4, first 2 shown]
	v_mov_b32_e32 v100, 0x48
	v_mov_b32_e32 v102, 0x58
	;; [unrolled: 1-line block ×22, first 2 shown]
	s_mov_b64 s[8:9], 0
	s_mov_b32 s25, -1
.LBB200_23:                             ; =>This Inner Loop Header: Depth=1
	scratch_load_b64 v[123:124], v91, off
	scratch_load_b64 v[125:126], v92, off
	;; [unrolled: 1-line block ×32, first 2 shown]
	s_cmp_eq_u32 s8, 1
	s_waitcnt lgkmcnt(16)
	v_max_f64 v[189:190], v[0:1], v[0:1]
	s_cselect_b32 vcc_lo, -1, 0
	v_max_f64 v[191:192], v[2:3], v[2:3]
	s_waitcnt lgkmcnt(0)
	v_dual_cndmask_b32 v188, v65, v67 :: v_dual_cndmask_b32 v187, v64, v66
	v_max_f64 v[193:194], v[4:5], v[4:5]
	v_max_f64 v[195:196], v[6:7], v[6:7]
	;; [unrolled: 1-line block ×31, first 2 shown]
	s_mov_b64 s[8:9], 1
	s_and_b32 vcc_lo, exec_lo, s25
	s_mov_b32 s25, 0
	v_min_f64 v[189:190], v[189:190], v[187:188]
	v_min_f64 v[191:192], v[191:192], v[187:188]
	;; [unrolled: 1-line block ×32, first 2 shown]
	s_waitcnt vmcnt(31)
	v_add_f64 v[123:124], v[123:124], v[189:190]
	s_waitcnt vmcnt(30)
	v_add_f64 v[125:126], v[191:192], v[125:126]
	;; [unrolled: 2-line block ×32, first 2 shown]
	scratch_store_b64 v91, v[123:124], off
	scratch_store_b64 v92, v[125:126], off
	scratch_store_b64 v93, v[127:128], off
	scratch_store_b64 v94, v[129:130], off
	scratch_store_b64 v95, v[131:132], off
	scratch_store_b64 v96, v[133:134], off
	scratch_store_b64 v97, v[135:136], off
	scratch_store_b64 v98, v[137:138], off
	scratch_store_b64 v99, v[139:140], off
	scratch_store_b64 v100, v[141:142], off
	scratch_store_b64 v101, v[143:144], off
	scratch_store_b64 v102, v[145:146], off
	scratch_store_b64 v103, v[147:148], off
	scratch_store_b64 v104, v[149:150], off
	scratch_store_b64 v105, v[151:152], off
	scratch_store_b64 v106, v[153:154], off
	scratch_store_b64 v107, v[155:156], off
	scratch_store_b64 v108, v[157:158], off
	scratch_store_b64 v109, v[159:160], off
	scratch_store_b64 v110, v[161:162], off
	scratch_store_b64 v111, v[163:164], off
	scratch_store_b64 v112, v[165:166], off
	scratch_store_b64 v113, v[167:168], off
	scratch_store_b64 v114, v[169:170], off
	scratch_store_b64 v115, v[171:172], off
	scratch_store_b64 v116, v[173:174], off
	scratch_store_b64 v117, v[175:176], off
	scratch_store_b64 v118, v[177:178], off
	scratch_store_b64 v119, v[179:180], off
	scratch_store_b64 v120, v[181:182], off
	scratch_store_b64 v121, v[183:184], off
	scratch_store_b64 v122, v[185:186], off
	v_mov_b32_e32 v91, 0x100
	v_mov_b32_e32 v92, 0x108
	;; [unrolled: 1-line block ×32, first 2 shown]
	s_cbranch_vccnz .LBB200_23
; %bb.24:
	v_dual_mov_b32 v91, 0 :: v_dual_add_nc_u32 v60, 0x800, v86
	ds_load_2addr_b64 v[0:3], v86 offset0:3 offset1:19
	ds_load_2addr_b64 v[4:7], v86 offset0:35 offset1:51
	;; [unrolled: 1-line block ×12, first 2 shown]
	v_dual_mov_b32 v93, 16 :: v_dual_add_nc_u32 v64, 24, v90
	ds_load_2addr_b64 v[48:51], v60 offset0:131 offset1:147
	ds_load_2addr_b64 v[52:55], v60 offset0:163 offset1:179
	;; [unrolled: 1-line block ×4, first 2 shown]
	ds_load_2addr_stride64_b64 v[64:67], v64 offset1:4
	v_dual_mov_b32 v92, 8 :: v_dual_mov_b32 v95, 32
	v_dual_mov_b32 v94, 24 :: v_dual_mov_b32 v97, 48
	;; [unrolled: 1-line block ×4, first 2 shown]
	v_mov_b32_e32 v100, 0x48
	v_mov_b32_e32 v102, 0x58
	;; [unrolled: 1-line block ×22, first 2 shown]
	s_mov_b64 s[8:9], 0
	s_mov_b32 s25, -1
.LBB200_25:                             ; =>This Inner Loop Header: Depth=1
	scratch_load_b64 v[123:124], v91, off
	scratch_load_b64 v[125:126], v92, off
	;; [unrolled: 1-line block ×32, first 2 shown]
	s_cmp_eq_u32 s8, 1
	s_waitcnt lgkmcnt(16)
	v_max_f64 v[189:190], v[0:1], v[0:1]
	s_cselect_b32 vcc_lo, -1, 0
	v_max_f64 v[191:192], v[2:3], v[2:3]
	s_waitcnt lgkmcnt(0)
	v_dual_cndmask_b32 v188, v65, v67 :: v_dual_cndmask_b32 v187, v64, v66
	v_max_f64 v[193:194], v[4:5], v[4:5]
	v_max_f64 v[195:196], v[6:7], v[6:7]
	;; [unrolled: 1-line block ×31, first 2 shown]
	s_mov_b64 s[8:9], 1
	s_and_b32 vcc_lo, exec_lo, s25
	s_mov_b32 s25, 0
	v_min_f64 v[189:190], v[189:190], v[187:188]
	v_min_f64 v[191:192], v[191:192], v[187:188]
	;; [unrolled: 1-line block ×32, first 2 shown]
	s_waitcnt vmcnt(31)
	v_add_f64 v[123:124], v[123:124], v[189:190]
	s_waitcnt vmcnt(30)
	v_add_f64 v[125:126], v[191:192], v[125:126]
	;; [unrolled: 2-line block ×32, first 2 shown]
	scratch_store_b64 v91, v[123:124], off
	scratch_store_b64 v92, v[125:126], off
	;; [unrolled: 1-line block ×32, first 2 shown]
	v_mov_b32_e32 v91, 0x100
	v_mov_b32_e32 v92, 0x108
	;; [unrolled: 1-line block ×32, first 2 shown]
	s_cbranch_vccnz .LBB200_25
; %bb.26:
	s_load_b32 s8, s[0:1], 0x8
	s_mov_b32 s25, 8
	ds_store_2addr_stride64_b64 v87, v[70:71], v[72:73] offset0:8 offset1:12
	ds_store_2addr_stride64_b64 v80, v[74:75], v[76:77] offset0:24 offset1:28
	s_waitcnt lgkmcnt(0)
	s_waitcnt_vscnt null, 0x0
	s_barrier
	buffer_gl0_inv
	s_cmp_gt_i32 s8, 8
	s_cbranch_scc0 .LBB200_55
; %bb.27:
	v_mad_i64_i32 v[0:1], null, v79, s3, 0
	v_mad_i64_i32 v[4:5], null, v78, s3, 0
	v_lshlrev_b64 v[2:3], 3, v[68:69]
	v_lshl_add_u32 v93, v81, 5, 0x1000
	v_dual_mov_b32 v68, 0 :: v_dual_add_nc_u32 v91, 0x1000, v87
	v_lshlrev_b64 v[69:70], 3, v[0:1]
	v_or_b32_e32 v92, 0x3000, v80
	v_add_co_u32 v95, vcc_lo, s18, v2
	v_lshlrev_b64 v[71:72], 3, v[4:5]
	v_lshl_add_u32 v94, v82, 5, 0x3000
	v_add_co_ci_u32_e32 v96, vcc_lo, s19, v3, vcc_lo
	v_add_nc_u32_e32 v97, 0x800, v93
	s_add_i32 s18, s8, -8
	s_mov_b32 s19, 0
	s_and_b32 s3, exec_lo, s26
.LBB200_28:                             ; =>This Loop Header: Depth=1
                                        ;     Child Loop BB200_34 Depth 2
                                        ;     Child Loop BB200_36 Depth 2
                                        ;     Child Loop BB200_38 Depth 2
                                        ;     Child Loop BB200_40 Depth 2
                                        ;     Child Loop BB200_47 Depth 2
                                        ;     Child Loop BB200_49 Depth 2
                                        ;     Child Loop BB200_51 Depth 2
                                        ;     Child Loop BB200_53 Depth 2
	s_and_b32 vcc_lo, exec_lo, s2
	s_cbranch_vccnz .LBB200_31
; %bb.29:                               ;   in Loop: Header=BB200_28 Depth=1
	v_or_b32_e32 v67, s25, v83
	s_delay_alu instid0(VALU_DEP_1) | instskip(NEXT) | instid1(VALU_DEP_1)
	v_lshlrev_b64 v[0:1], 3, v[67:68]
	v_add_co_u32 v2, vcc_lo, s12, v0
	s_delay_alu instid0(VALU_DEP_2) | instskip(NEXT) | instid1(VALU_DEP_2)
	v_add_co_ci_u32_e32 v3, vcc_lo, s13, v1, vcc_lo
	v_add_co_u32 v0, vcc_lo, v2, v69
	s_delay_alu instid0(VALU_DEP_2)
	v_add_co_ci_u32_e32 v1, vcc_lo, v3, v70, vcc_lo
	v_add_co_u32 v2, vcc_lo, v2, v71
	v_add_co_ci_u32_e32 v3, vcc_lo, v3, v72, vcc_lo
	s_clause 0x1
	flat_load_b64 v[0:1], v[0:1]
	flat_load_b64 v[2:3], v[2:3]
	s_waitcnt vmcnt(1) lgkmcnt(1)
	v_mul_f64 v[73:74], v[0:1], s[16:17]
	s_waitcnt vmcnt(0) lgkmcnt(0)
	v_mul_f64 v[75:76], v[2:3], s[16:17]
	s_and_b32 vcc_lo, exec_lo, s2
	s_mov_b64 s[8:9], 0
	s_cbranch_vccnz .LBB200_32
.LBB200_30:                             ;   in Loop: Header=BB200_28 Depth=1
	v_add_nc_u32_e32 v4, s25, v84
	s_delay_alu instid0(VALU_DEP_1) | instskip(NEXT) | instid1(VALU_DEP_1)
	v_mad_u64_u32 v[0:1], null, v4, s23, 0
	v_mad_u64_u32 v[2:3], null, v4, s24, v[1:2]
	s_delay_alu instid0(VALU_DEP_1) | instskip(NEXT) | instid1(VALU_DEP_1)
	v_mov_b32_e32 v1, v2
	v_lshlrev_b64 v[0:1], 3, v[0:1]
	s_delay_alu instid0(VALU_DEP_1) | instskip(NEXT) | instid1(VALU_DEP_2)
	v_add_co_u32 v0, vcc_lo, v95, v0
	v_add_co_ci_u32_e32 v1, vcc_lo, v96, v1, vcc_lo
	s_clause 0x1
	flat_load_b64 v[2:3], v[0:1]
	flat_load_b64 v[0:1], v[0:1] offset:512
	s_waitcnt vmcnt(1) lgkmcnt(1)
	v_mul_f64 v[77:78], v[2:3], s[16:17]
	s_waitcnt vmcnt(0) lgkmcnt(0)
	v_mul_f64 v[79:80], v[0:1], s[16:17]
	s_branch .LBB200_33
.LBB200_31:                             ;   in Loop: Header=BB200_28 Depth=1
	v_mov_b32_e32 v73, 0
	v_dual_mov_b32 v74, 0 :: v_dual_mov_b32 v75, 0
	v_mov_b32_e32 v76, 0
	s_and_b32 vcc_lo, exec_lo, s2
	s_mov_b64 s[8:9], 0
	s_cbranch_vccz .LBB200_30
.LBB200_32:                             ;   in Loop: Header=BB200_28 Depth=1
	v_mov_b32_e32 v77, 0
	v_dual_mov_b32 v78, 0 :: v_dual_mov_b32 v79, 0
	v_mov_b32_e32 v80, 0
.LBB200_33:                             ;   in Loop: Header=BB200_28 Depth=1
	ds_load_2addr_b64 v[0:3], v93 offset1:16
	ds_load_2addr_b64 v[4:7], v93 offset0:32 offset1:48
	ds_load_2addr_b64 v[8:11], v93 offset0:64 offset1:80
	;; [unrolled: 1-line block ×7, first 2 shown]
	ds_load_2addr_b64 v[32:35], v97 offset1:16
	ds_load_2addr_b64 v[36:39], v97 offset0:32 offset1:48
	ds_load_2addr_b64 v[40:43], v97 offset0:64 offset1:80
	;; [unrolled: 1-line block ×7, first 2 shown]
	ds_load_2addr_stride64_b64 v[64:67], v94 offset1:4
	v_dual_mov_b32 v129, 0 :: v_dual_mov_b32 v128, 8
	v_dual_mov_b32 v127, 16 :: v_dual_mov_b32 v126, 24
	;; [unrolled: 1-line block ×5, first 2 shown]
	v_mov_b32_e32 v119, 0x50
	v_mov_b32_e32 v118, 0x58
	;; [unrolled: 1-line block ×22, first 2 shown]
	s_mov_b32 s26, -1
.LBB200_34:                             ;   Parent Loop BB200_28 Depth=1
                                        ; =>  This Inner Loop Header: Depth=2
	scratch_load_b64 v[134:135], v129, off
	s_cmp_eq_u32 s8, 1
	s_waitcnt lgkmcnt(16)
	v_max_f64 v[132:133], v[0:1], v[0:1]
	s_cselect_b32 vcc_lo, -1, 0
	s_mov_b64 s[8:9], 1
	s_waitcnt lgkmcnt(0)
	v_dual_cndmask_b32 v131, v65, v67 :: v_dual_cndmask_b32 v130, v64, v66
	s_and_b32 vcc_lo, exec_lo, s26
	s_mov_b32 s26, 0
	s_delay_alu instid0(VALU_DEP_1) | instskip(NEXT) | instid1(VALU_DEP_1)
	v_max_f64 v[130:131], v[130:131], v[130:131]
	v_min_f64 v[132:133], v[132:133], v[130:131]
	s_waitcnt vmcnt(0)
	s_delay_alu instid0(VALU_DEP_1) | instskip(SKIP_3) | instid1(VALU_DEP_1)
	v_add_f64 v[132:133], v[134:135], v[132:133]
	scratch_load_b64 v[134:135], v128, off
	scratch_store_b64 v129, v[132:133], off
	v_max_f64 v[132:133], v[2:3], v[2:3]
	v_min_f64 v[132:133], v[132:133], v[130:131]
	s_waitcnt vmcnt(0)
	s_delay_alu instid0(VALU_DEP_1) | instskip(SKIP_3) | instid1(VALU_DEP_1)
	v_add_f64 v[132:133], v[132:133], v[134:135]
	scratch_store_b64 v128, v[132:133], off
	scratch_load_b64 v[132:133], v127, off
	v_max_f64 v[128:129], v[4:5], v[4:5]
	v_min_f64 v[128:129], v[128:129], v[130:131]
	s_waitcnt vmcnt(0)
	s_delay_alu instid0(VALU_DEP_1) | instskip(SKIP_3) | instid1(VALU_DEP_1)
	v_add_f64 v[128:129], v[128:129], v[132:133]
	scratch_load_b64 v[132:133], v126, off
	scratch_store_b64 v127, v[128:129], off
	v_max_f64 v[127:128], v[6:7], v[6:7]
	v_min_f64 v[127:128], v[127:128], v[130:131]
	s_waitcnt vmcnt(0)
	s_delay_alu instid0(VALU_DEP_1) | instskip(SKIP_3) | instid1(VALU_DEP_1)
	v_add_f64 v[127:128], v[127:128], v[132:133]
	scratch_store_b64 v126, v[127:128], off
	scratch_load_b64 v[128:129], v125, off
	v_max_f64 v[126:127], v[8:9], v[8:9]
	v_min_f64 v[126:127], v[126:127], v[130:131]
	s_waitcnt vmcnt(0)
	s_delay_alu instid0(VALU_DEP_1) | instskip(SKIP_4) | instid1(VALU_DEP_1)
	v_add_f64 v[126:127], v[126:127], v[128:129]
	v_mov_b32_e32 v129, 0x100
	scratch_store_b64 v125, v[126:127], off
	scratch_load_b64 v[127:128], v124, off
	v_max_f64 v[125:126], v[10:11], v[10:11]
	v_min_f64 v[125:126], v[125:126], v[130:131]
	s_waitcnt vmcnt(0)
	s_delay_alu instid0(VALU_DEP_1) | instskip(SKIP_4) | instid1(VALU_DEP_1)
	v_add_f64 v[125:126], v[125:126], v[127:128]
	v_mov_b32_e32 v128, 0x108
	;; [unrolled: 8-line block ×27, first 2 shown]
	scratch_store_b64 v99, v[100:101], off
	scratch_load_b64 v[101:102], v98, off
	v_max_f64 v[99:100], v[62:63], v[62:63]
	v_min_f64 v[99:100], v[99:100], v[130:131]
	s_waitcnt vmcnt(0)
	s_delay_alu instid0(VALU_DEP_1)
	v_add_f64 v[99:100], v[99:100], v[101:102]
	v_mov_b32_e32 v102, 0x1d8
	v_mov_b32_e32 v101, 0x1e0
	scratch_store_b64 v98, v[99:100], off
	v_mov_b32_e32 v100, 0x1e8
	v_mov_b32_e32 v99, 0x1f0
	;; [unrolled: 1-line block ×3, first 2 shown]
	s_cbranch_vccnz .LBB200_34
; %bb.35:                               ;   in Loop: Header=BB200_28 Depth=1
	ds_load_2addr_b64 v[0:3], v93 offset0:1 offset1:17
	ds_load_2addr_b64 v[4:7], v93 offset0:33 offset1:49
	;; [unrolled: 1-line block ×12, first 2 shown]
	v_dual_mov_b32 v129, 0 :: v_dual_add_nc_u32 v64, 8, v94
	ds_load_2addr_b64 v[48:51], v97 offset0:129 offset1:145
	ds_load_2addr_b64 v[52:55], v97 offset0:161 offset1:177
	;; [unrolled: 1-line block ×4, first 2 shown]
	ds_load_2addr_stride64_b64 v[64:67], v64 offset1:4
	v_dual_mov_b32 v128, 8 :: v_dual_mov_b32 v127, 16
	v_dual_mov_b32 v126, 24 :: v_dual_mov_b32 v125, 32
	;; [unrolled: 1-line block ×4, first 2 shown]
	v_mov_b32_e32 v120, 0x48
	v_mov_b32_e32 v119, 0x50
	v_mov_b32_e32 v118, 0x58
	v_mov_b32_e32 v117, 0x60
	v_mov_b32_e32 v116, 0x68
	v_mov_b32_e32 v115, 0x70
	v_mov_b32_e32 v114, 0x78
	v_mov_b32_e32 v113, 0x80
	v_mov_b32_e32 v112, 0x88
	v_mov_b32_e32 v111, 0x90
	v_mov_b32_e32 v110, 0x98
	v_mov_b32_e32 v109, 0xa0
	v_mov_b32_e32 v108, 0xa8
	v_mov_b32_e32 v107, 0xb0
	v_mov_b32_e32 v106, 0xb8
	v_mov_b32_e32 v105, 0xc0
	v_mov_b32_e32 v104, 0xc8
	v_mov_b32_e32 v103, 0xd0
	v_mov_b32_e32 v102, 0xd8
	v_mov_b32_e32 v101, 0xe0
	v_mov_b32_e32 v100, 0xe8
	v_mov_b32_e32 v99, 0xf0
	v_mov_b32_e32 v98, 0xf8
	s_mov_b64 s[8:9], 0
	s_mov_b32 s26, -1
.LBB200_36:                             ;   Parent Loop BB200_28 Depth=1
                                        ; =>  This Inner Loop Header: Depth=2
	scratch_load_b64 v[134:135], v129, off
	s_cmp_eq_u32 s8, 1
	s_waitcnt lgkmcnt(16)
	v_max_f64 v[132:133], v[0:1], v[0:1]
	s_cselect_b32 vcc_lo, -1, 0
	s_mov_b64 s[8:9], 1
	s_waitcnt lgkmcnt(0)
	v_dual_cndmask_b32 v131, v65, v67 :: v_dual_cndmask_b32 v130, v64, v66
	s_and_b32 vcc_lo, exec_lo, s26
	s_mov_b32 s26, 0
	s_delay_alu instid0(VALU_DEP_1) | instskip(NEXT) | instid1(VALU_DEP_1)
	v_max_f64 v[130:131], v[130:131], v[130:131]
	v_min_f64 v[132:133], v[132:133], v[130:131]
	s_waitcnt vmcnt(0)
	s_delay_alu instid0(VALU_DEP_1) | instskip(SKIP_3) | instid1(VALU_DEP_1)
	v_add_f64 v[132:133], v[134:135], v[132:133]
	scratch_load_b64 v[134:135], v128, off
	scratch_store_b64 v129, v[132:133], off
	v_max_f64 v[132:133], v[2:3], v[2:3]
	v_min_f64 v[132:133], v[132:133], v[130:131]
	s_waitcnt vmcnt(0)
	s_delay_alu instid0(VALU_DEP_1) | instskip(SKIP_3) | instid1(VALU_DEP_1)
	v_add_f64 v[132:133], v[132:133], v[134:135]
	scratch_store_b64 v128, v[132:133], off
	scratch_load_b64 v[132:133], v127, off
	v_max_f64 v[128:129], v[4:5], v[4:5]
	v_min_f64 v[128:129], v[128:129], v[130:131]
	s_waitcnt vmcnt(0)
	s_delay_alu instid0(VALU_DEP_1) | instskip(SKIP_3) | instid1(VALU_DEP_1)
	v_add_f64 v[128:129], v[128:129], v[132:133]
	scratch_load_b64 v[132:133], v126, off
	scratch_store_b64 v127, v[128:129], off
	v_max_f64 v[127:128], v[6:7], v[6:7]
	v_min_f64 v[127:128], v[127:128], v[130:131]
	s_waitcnt vmcnt(0)
	s_delay_alu instid0(VALU_DEP_1) | instskip(SKIP_3) | instid1(VALU_DEP_1)
	v_add_f64 v[127:128], v[127:128], v[132:133]
	scratch_store_b64 v126, v[127:128], off
	scratch_load_b64 v[128:129], v125, off
	v_max_f64 v[126:127], v[8:9], v[8:9]
	v_min_f64 v[126:127], v[126:127], v[130:131]
	s_waitcnt vmcnt(0)
	s_delay_alu instid0(VALU_DEP_1) | instskip(SKIP_4) | instid1(VALU_DEP_1)
	v_add_f64 v[126:127], v[126:127], v[128:129]
	v_mov_b32_e32 v129, 0x100
	scratch_store_b64 v125, v[126:127], off
	scratch_load_b64 v[127:128], v124, off
	v_max_f64 v[125:126], v[10:11], v[10:11]
	v_min_f64 v[125:126], v[125:126], v[130:131]
	s_waitcnt vmcnt(0)
	s_delay_alu instid0(VALU_DEP_1) | instskip(SKIP_4) | instid1(VALU_DEP_1)
	v_add_f64 v[125:126], v[125:126], v[127:128]
	v_mov_b32_e32 v128, 0x108
	;; [unrolled: 8-line block ×27, first 2 shown]
	scratch_store_b64 v99, v[100:101], off
	scratch_load_b64 v[101:102], v98, off
	v_max_f64 v[99:100], v[62:63], v[62:63]
	v_min_f64 v[99:100], v[99:100], v[130:131]
	s_waitcnt vmcnt(0)
	s_delay_alu instid0(VALU_DEP_1)
	v_add_f64 v[99:100], v[99:100], v[101:102]
	v_mov_b32_e32 v102, 0x1d8
	v_mov_b32_e32 v101, 0x1e0
	scratch_store_b64 v98, v[99:100], off
	v_mov_b32_e32 v100, 0x1e8
	v_mov_b32_e32 v99, 0x1f0
	;; [unrolled: 1-line block ×3, first 2 shown]
	s_cbranch_vccnz .LBB200_36
; %bb.37:                               ;   in Loop: Header=BB200_28 Depth=1
	ds_load_2addr_b64 v[0:3], v93 offset0:2 offset1:18
	ds_load_2addr_b64 v[4:7], v93 offset0:34 offset1:50
	;; [unrolled: 1-line block ×12, first 2 shown]
	v_dual_mov_b32 v129, 0 :: v_dual_add_nc_u32 v64, 16, v94
	ds_load_2addr_b64 v[48:51], v97 offset0:130 offset1:146
	ds_load_2addr_b64 v[52:55], v97 offset0:162 offset1:178
	;; [unrolled: 1-line block ×4, first 2 shown]
	ds_load_2addr_stride64_b64 v[64:67], v64 offset1:4
	v_dual_mov_b32 v128, 8 :: v_dual_mov_b32 v127, 16
	v_dual_mov_b32 v126, 24 :: v_dual_mov_b32 v125, 32
	v_dual_mov_b32 v124, 40 :: v_dual_mov_b32 v123, 48
	v_dual_mov_b32 v122, 56 :: v_dual_mov_b32 v121, 64
	v_mov_b32_e32 v120, 0x48
	v_mov_b32_e32 v119, 0x50
	;; [unrolled: 1-line block ×23, first 2 shown]
	s_mov_b64 s[8:9], 0
	s_mov_b32 s26, -1
.LBB200_38:                             ;   Parent Loop BB200_28 Depth=1
                                        ; =>  This Inner Loop Header: Depth=2
	scratch_load_b64 v[134:135], v129, off
	s_cmp_eq_u32 s8, 1
	s_waitcnt lgkmcnt(16)
	v_max_f64 v[132:133], v[0:1], v[0:1]
	s_cselect_b32 vcc_lo, -1, 0
	s_mov_b64 s[8:9], 1
	s_waitcnt lgkmcnt(0)
	v_dual_cndmask_b32 v131, v65, v67 :: v_dual_cndmask_b32 v130, v64, v66
	s_and_b32 vcc_lo, exec_lo, s26
	s_mov_b32 s26, 0
	s_delay_alu instid0(VALU_DEP_1) | instskip(NEXT) | instid1(VALU_DEP_1)
	v_max_f64 v[130:131], v[130:131], v[130:131]
	v_min_f64 v[132:133], v[132:133], v[130:131]
	s_waitcnt vmcnt(0)
	s_delay_alu instid0(VALU_DEP_1) | instskip(SKIP_3) | instid1(VALU_DEP_1)
	v_add_f64 v[132:133], v[134:135], v[132:133]
	scratch_load_b64 v[134:135], v128, off
	scratch_store_b64 v129, v[132:133], off
	v_max_f64 v[132:133], v[2:3], v[2:3]
	v_min_f64 v[132:133], v[132:133], v[130:131]
	s_waitcnt vmcnt(0)
	s_delay_alu instid0(VALU_DEP_1) | instskip(SKIP_3) | instid1(VALU_DEP_1)
	v_add_f64 v[132:133], v[132:133], v[134:135]
	scratch_store_b64 v128, v[132:133], off
	scratch_load_b64 v[132:133], v127, off
	v_max_f64 v[128:129], v[4:5], v[4:5]
	v_min_f64 v[128:129], v[128:129], v[130:131]
	s_waitcnt vmcnt(0)
	s_delay_alu instid0(VALU_DEP_1) | instskip(SKIP_3) | instid1(VALU_DEP_1)
	v_add_f64 v[128:129], v[128:129], v[132:133]
	scratch_load_b64 v[132:133], v126, off
	scratch_store_b64 v127, v[128:129], off
	v_max_f64 v[127:128], v[6:7], v[6:7]
	v_min_f64 v[127:128], v[127:128], v[130:131]
	s_waitcnt vmcnt(0)
	s_delay_alu instid0(VALU_DEP_1) | instskip(SKIP_3) | instid1(VALU_DEP_1)
	v_add_f64 v[127:128], v[127:128], v[132:133]
	scratch_store_b64 v126, v[127:128], off
	scratch_load_b64 v[128:129], v125, off
	v_max_f64 v[126:127], v[8:9], v[8:9]
	v_min_f64 v[126:127], v[126:127], v[130:131]
	s_waitcnt vmcnt(0)
	s_delay_alu instid0(VALU_DEP_1) | instskip(SKIP_4) | instid1(VALU_DEP_1)
	v_add_f64 v[126:127], v[126:127], v[128:129]
	v_mov_b32_e32 v129, 0x100
	scratch_store_b64 v125, v[126:127], off
	scratch_load_b64 v[127:128], v124, off
	v_max_f64 v[125:126], v[10:11], v[10:11]
	v_min_f64 v[125:126], v[125:126], v[130:131]
	s_waitcnt vmcnt(0)
	s_delay_alu instid0(VALU_DEP_1) | instskip(SKIP_4) | instid1(VALU_DEP_1)
	v_add_f64 v[125:126], v[125:126], v[127:128]
	v_mov_b32_e32 v128, 0x108
	;; [unrolled: 8-line block ×27, first 2 shown]
	scratch_store_b64 v99, v[100:101], off
	scratch_load_b64 v[101:102], v98, off
	v_max_f64 v[99:100], v[62:63], v[62:63]
	v_min_f64 v[99:100], v[99:100], v[130:131]
	s_waitcnt vmcnt(0)
	s_delay_alu instid0(VALU_DEP_1)
	v_add_f64 v[99:100], v[99:100], v[101:102]
	v_mov_b32_e32 v102, 0x1d8
	v_mov_b32_e32 v101, 0x1e0
	scratch_store_b64 v98, v[99:100], off
	v_mov_b32_e32 v100, 0x1e8
	v_mov_b32_e32 v99, 0x1f0
	;; [unrolled: 1-line block ×3, first 2 shown]
	s_cbranch_vccnz .LBB200_38
; %bb.39:                               ;   in Loop: Header=BB200_28 Depth=1
	ds_load_2addr_b64 v[0:3], v93 offset0:3 offset1:19
	ds_load_2addr_b64 v[4:7], v93 offset0:35 offset1:51
	;; [unrolled: 1-line block ×12, first 2 shown]
	v_dual_mov_b32 v129, 0 :: v_dual_add_nc_u32 v64, 24, v94
	ds_load_2addr_b64 v[48:51], v97 offset0:131 offset1:147
	ds_load_2addr_b64 v[52:55], v97 offset0:163 offset1:179
	;; [unrolled: 1-line block ×4, first 2 shown]
	ds_load_2addr_stride64_b64 v[64:67], v64 offset1:4
	v_dual_mov_b32 v128, 8 :: v_dual_mov_b32 v127, 16
	v_dual_mov_b32 v126, 24 :: v_dual_mov_b32 v125, 32
	;; [unrolled: 1-line block ×4, first 2 shown]
	v_mov_b32_e32 v120, 0x48
	v_mov_b32_e32 v119, 0x50
	;; [unrolled: 1-line block ×23, first 2 shown]
	s_mov_b64 s[8:9], 0
	s_mov_b32 s26, -1
.LBB200_40:                             ;   Parent Loop BB200_28 Depth=1
                                        ; =>  This Inner Loop Header: Depth=2
	scratch_load_b64 v[134:135], v129, off
	s_cmp_eq_u32 s8, 1
	s_waitcnt lgkmcnt(16)
	v_max_f64 v[132:133], v[0:1], v[0:1]
	s_cselect_b32 vcc_lo, -1, 0
	s_mov_b64 s[8:9], 1
	s_waitcnt lgkmcnt(0)
	v_dual_cndmask_b32 v131, v65, v67 :: v_dual_cndmask_b32 v130, v64, v66
	s_and_b32 vcc_lo, exec_lo, s26
	s_mov_b32 s26, 0
	s_delay_alu instid0(VALU_DEP_1) | instskip(NEXT) | instid1(VALU_DEP_1)
	v_max_f64 v[130:131], v[130:131], v[130:131]
	v_min_f64 v[132:133], v[132:133], v[130:131]
	s_waitcnt vmcnt(0)
	s_delay_alu instid0(VALU_DEP_1) | instskip(SKIP_3) | instid1(VALU_DEP_1)
	v_add_f64 v[132:133], v[134:135], v[132:133]
	scratch_load_b64 v[134:135], v128, off
	scratch_store_b64 v129, v[132:133], off
	v_max_f64 v[132:133], v[2:3], v[2:3]
	v_min_f64 v[132:133], v[132:133], v[130:131]
	s_waitcnt vmcnt(0)
	s_delay_alu instid0(VALU_DEP_1) | instskip(SKIP_3) | instid1(VALU_DEP_1)
	v_add_f64 v[132:133], v[132:133], v[134:135]
	scratch_store_b64 v128, v[132:133], off
	scratch_load_b64 v[132:133], v127, off
	v_max_f64 v[128:129], v[4:5], v[4:5]
	v_min_f64 v[128:129], v[128:129], v[130:131]
	s_waitcnt vmcnt(0)
	s_delay_alu instid0(VALU_DEP_1) | instskip(SKIP_3) | instid1(VALU_DEP_1)
	v_add_f64 v[128:129], v[128:129], v[132:133]
	scratch_load_b64 v[132:133], v126, off
	scratch_store_b64 v127, v[128:129], off
	v_max_f64 v[127:128], v[6:7], v[6:7]
	v_min_f64 v[127:128], v[127:128], v[130:131]
	s_waitcnt vmcnt(0)
	s_delay_alu instid0(VALU_DEP_1) | instskip(SKIP_3) | instid1(VALU_DEP_1)
	v_add_f64 v[127:128], v[127:128], v[132:133]
	scratch_store_b64 v126, v[127:128], off
	scratch_load_b64 v[128:129], v125, off
	v_max_f64 v[126:127], v[8:9], v[8:9]
	v_min_f64 v[126:127], v[126:127], v[130:131]
	s_waitcnt vmcnt(0)
	s_delay_alu instid0(VALU_DEP_1) | instskip(SKIP_4) | instid1(VALU_DEP_1)
	v_add_f64 v[126:127], v[126:127], v[128:129]
	v_mov_b32_e32 v129, 0x100
	scratch_store_b64 v125, v[126:127], off
	scratch_load_b64 v[127:128], v124, off
	v_max_f64 v[125:126], v[10:11], v[10:11]
	v_min_f64 v[125:126], v[125:126], v[130:131]
	s_waitcnt vmcnt(0)
	s_delay_alu instid0(VALU_DEP_1) | instskip(SKIP_4) | instid1(VALU_DEP_1)
	v_add_f64 v[125:126], v[125:126], v[127:128]
	v_mov_b32_e32 v128, 0x108
	;; [unrolled: 8-line block ×27, first 2 shown]
	scratch_store_b64 v99, v[100:101], off
	scratch_load_b64 v[101:102], v98, off
	v_max_f64 v[99:100], v[62:63], v[62:63]
	v_min_f64 v[99:100], v[99:100], v[130:131]
	s_waitcnt vmcnt(0)
	s_delay_alu instid0(VALU_DEP_1)
	v_add_f64 v[99:100], v[99:100], v[101:102]
	v_mov_b32_e32 v102, 0x1d8
	v_mov_b32_e32 v101, 0x1e0
	scratch_store_b64 v98, v[99:100], off
	v_mov_b32_e32 v100, 0x1e8
	v_mov_b32_e32 v99, 0x1f0
	;; [unrolled: 1-line block ×3, first 2 shown]
	s_cbranch_vccnz .LBB200_40
; %bb.41:                               ;   in Loop: Header=BB200_28 Depth=1
	s_mov_b32 vcc_lo, s3
	ds_store_2addr_stride64_b64 v87, v[73:74], v[75:76] offset1:4
	ds_store_2addr_stride64_b64 v89, v[77:78], v[79:80] offset1:4
	s_waitcnt lgkmcnt(0)
	s_waitcnt_vscnt null, 0x0
	s_barrier
	buffer_gl0_inv
	s_cbranch_vccz .LBB200_44
; %bb.42:                               ;   in Loop: Header=BB200_28 Depth=1
	v_or_b32_e32 v67, s25, v83
	s_delay_alu instid0(VALU_DEP_1) | instskip(NEXT) | instid1(VALU_DEP_1)
	v_lshlrev_b64 v[0:1], 3, v[67:68]
	v_add_co_u32 v2, vcc_lo, s12, v0
	s_delay_alu instid0(VALU_DEP_2) | instskip(NEXT) | instid1(VALU_DEP_2)
	v_add_co_ci_u32_e32 v3, vcc_lo, s13, v1, vcc_lo
	v_add_co_u32 v0, vcc_lo, v2, v69
	s_delay_alu instid0(VALU_DEP_2)
	v_add_co_ci_u32_e32 v1, vcc_lo, v3, v70, vcc_lo
	v_add_co_u32 v2, vcc_lo, v2, v71
	v_add_co_ci_u32_e32 v3, vcc_lo, v3, v72, vcc_lo
	s_clause 0x1
	flat_load_b64 v[0:1], v[0:1] offset:32
	flat_load_b64 v[2:3], v[2:3] offset:32
	s_waitcnt vmcnt(1) lgkmcnt(1)
	v_mul_f64 v[73:74], v[0:1], s[16:17]
	s_waitcnt vmcnt(0) lgkmcnt(0)
	v_mul_f64 v[75:76], v[2:3], s[16:17]
	s_and_b32 vcc_lo, exec_lo, s2
	s_mov_b64 s[8:9], 0
	s_cbranch_vccnz .LBB200_45
.LBB200_43:                             ;   in Loop: Header=BB200_28 Depth=1
	v_add_nc_u32_e32 v4, s25, v85
	s_delay_alu instid0(VALU_DEP_1) | instskip(NEXT) | instid1(VALU_DEP_1)
	v_mad_u64_u32 v[0:1], null, v4, s23, 0
	v_mad_u64_u32 v[2:3], null, v4, s24, v[1:2]
	s_delay_alu instid0(VALU_DEP_1) | instskip(NEXT) | instid1(VALU_DEP_1)
	v_mov_b32_e32 v1, v2
	v_lshlrev_b64 v[0:1], 3, v[0:1]
	s_delay_alu instid0(VALU_DEP_1) | instskip(NEXT) | instid1(VALU_DEP_2)
	v_add_co_u32 v0, vcc_lo, v95, v0
	v_add_co_ci_u32_e32 v1, vcc_lo, v96, v1, vcc_lo
	s_clause 0x1
	flat_load_b64 v[2:3], v[0:1]
	flat_load_b64 v[0:1], v[0:1] offset:512
	s_waitcnt vmcnt(1) lgkmcnt(1)
	v_mul_f64 v[77:78], v[2:3], s[16:17]
	s_waitcnt vmcnt(0) lgkmcnt(0)
	v_mul_f64 v[79:80], v[0:1], s[16:17]
	s_branch .LBB200_46
.LBB200_44:                             ;   in Loop: Header=BB200_28 Depth=1
	v_mov_b32_e32 v73, 0
	v_dual_mov_b32 v74, 0 :: v_dual_mov_b32 v75, 0
	v_mov_b32_e32 v76, 0
	s_and_b32 vcc_lo, exec_lo, s2
	s_mov_b64 s[8:9], 0
	s_cbranch_vccz .LBB200_43
.LBB200_45:                             ;   in Loop: Header=BB200_28 Depth=1
	v_mov_b32_e32 v77, 0
	v_dual_mov_b32 v78, 0 :: v_dual_mov_b32 v79, 0
	v_mov_b32_e32 v80, 0
.LBB200_46:                             ;   in Loop: Header=BB200_28 Depth=1
	v_dual_mov_b32 v129, 8 :: v_dual_add_nc_u32 v98, 0x800, v86
	ds_load_2addr_b64 v[0:3], v86 offset1:16
	ds_load_2addr_b64 v[4:7], v86 offset0:32 offset1:48
	ds_load_2addr_b64 v[8:11], v86 offset0:64 offset1:80
	;; [unrolled: 1-line block ×7, first 2 shown]
	ds_load_2addr_b64 v[32:35], v98 offset1:16
	ds_load_2addr_b64 v[36:39], v98 offset0:32 offset1:48
	ds_load_2addr_b64 v[40:43], v98 offset0:64 offset1:80
	;; [unrolled: 1-line block ×7, first 2 shown]
	ds_load_2addr_stride64_b64 v[64:67], v90 offset1:4
	v_dual_mov_b32 v130, 0 :: v_dual_mov_b32 v127, 24
	v_dual_mov_b32 v128, 16 :: v_dual_mov_b32 v125, 40
	;; [unrolled: 1-line block ×5, first 2 shown]
	v_mov_b32_e32 v120, 0x50
	v_mov_b32_e32 v118, 0x60
	;; [unrolled: 1-line block ×21, first 2 shown]
	s_mov_b32 s26, -1
.LBB200_47:                             ;   Parent Loop BB200_28 Depth=1
                                        ; =>  This Inner Loop Header: Depth=2
	scratch_load_b64 v[135:136], v130, off
	s_cmp_eq_u32 s8, 1
	s_waitcnt lgkmcnt(16)
	v_max_f64 v[133:134], v[0:1], v[0:1]
	s_cselect_b32 vcc_lo, -1, 0
	s_mov_b64 s[8:9], 1
	s_waitcnt lgkmcnt(0)
	v_dual_cndmask_b32 v132, v65, v67 :: v_dual_cndmask_b32 v131, v64, v66
	s_and_b32 vcc_lo, exec_lo, s26
	s_mov_b32 s26, 0
	s_delay_alu instid0(VALU_DEP_1) | instskip(NEXT) | instid1(VALU_DEP_1)
	v_max_f64 v[131:132], v[131:132], v[131:132]
	v_min_f64 v[133:134], v[133:134], v[131:132]
	s_waitcnt vmcnt(0)
	s_delay_alu instid0(VALU_DEP_1) | instskip(SKIP_3) | instid1(VALU_DEP_1)
	v_add_f64 v[133:134], v[135:136], v[133:134]
	scratch_load_b64 v[135:136], v129, off
	scratch_store_b64 v130, v[133:134], off
	v_max_f64 v[133:134], v[2:3], v[2:3]
	v_min_f64 v[133:134], v[133:134], v[131:132]
	s_waitcnt vmcnt(0)
	s_delay_alu instid0(VALU_DEP_1) | instskip(SKIP_3) | instid1(VALU_DEP_1)
	v_add_f64 v[133:134], v[133:134], v[135:136]
	scratch_store_b64 v129, v[133:134], off
	scratch_load_b64 v[133:134], v128, off
	v_max_f64 v[129:130], v[4:5], v[4:5]
	v_min_f64 v[129:130], v[129:130], v[131:132]
	s_waitcnt vmcnt(0)
	s_delay_alu instid0(VALU_DEP_1) | instskip(SKIP_3) | instid1(VALU_DEP_1)
	v_add_f64 v[129:130], v[129:130], v[133:134]
	scratch_load_b64 v[133:134], v127, off
	scratch_store_b64 v128, v[129:130], off
	v_max_f64 v[128:129], v[6:7], v[6:7]
	v_min_f64 v[128:129], v[128:129], v[131:132]
	s_waitcnt vmcnt(0)
	s_delay_alu instid0(VALU_DEP_1) | instskip(SKIP_3) | instid1(VALU_DEP_1)
	v_add_f64 v[128:129], v[128:129], v[133:134]
	scratch_store_b64 v127, v[128:129], off
	scratch_load_b64 v[129:130], v126, off
	v_max_f64 v[127:128], v[8:9], v[8:9]
	v_min_f64 v[127:128], v[127:128], v[131:132]
	s_waitcnt vmcnt(0)
	s_delay_alu instid0(VALU_DEP_1) | instskip(SKIP_4) | instid1(VALU_DEP_1)
	v_add_f64 v[127:128], v[127:128], v[129:130]
	v_mov_b32_e32 v130, 0x100
	scratch_store_b64 v126, v[127:128], off
	scratch_load_b64 v[128:129], v125, off
	v_max_f64 v[126:127], v[10:11], v[10:11]
	v_min_f64 v[126:127], v[126:127], v[131:132]
	s_waitcnt vmcnt(0)
	s_delay_alu instid0(VALU_DEP_1) | instskip(SKIP_4) | instid1(VALU_DEP_1)
	v_add_f64 v[126:127], v[126:127], v[128:129]
	v_mov_b32_e32 v129, 0x108
	scratch_store_b64 v125, v[126:127], off
	scratch_load_b64 v[127:128], v124, off
	v_max_f64 v[125:126], v[12:13], v[12:13]
	v_min_f64 v[125:126], v[125:126], v[131:132]
	s_waitcnt vmcnt(0)
	s_delay_alu instid0(VALU_DEP_1) | instskip(SKIP_4) | instid1(VALU_DEP_1)
	v_add_f64 v[125:126], v[125:126], v[127:128]
	v_mov_b32_e32 v128, 0x110
	scratch_store_b64 v124, v[125:126], off
	scratch_load_b64 v[126:127], v123, off
	v_max_f64 v[124:125], v[14:15], v[14:15]
	v_min_f64 v[124:125], v[124:125], v[131:132]
	s_waitcnt vmcnt(0)
	s_delay_alu instid0(VALU_DEP_1) | instskip(SKIP_4) | instid1(VALU_DEP_1)
	v_add_f64 v[124:125], v[124:125], v[126:127]
	v_mov_b32_e32 v127, 0x118
	scratch_store_b64 v123, v[124:125], off
	scratch_load_b64 v[125:126], v122, off
	v_max_f64 v[123:124], v[16:17], v[16:17]
	v_min_f64 v[123:124], v[123:124], v[131:132]
	s_waitcnt vmcnt(0)
	s_delay_alu instid0(VALU_DEP_1) | instskip(SKIP_4) | instid1(VALU_DEP_1)
	v_add_f64 v[123:124], v[123:124], v[125:126]
	v_mov_b32_e32 v126, 0x120
	scratch_store_b64 v122, v[123:124], off
	scratch_load_b64 v[124:125], v121, off
	v_max_f64 v[122:123], v[18:19], v[18:19]
	v_min_f64 v[122:123], v[122:123], v[131:132]
	s_waitcnt vmcnt(0)
	s_delay_alu instid0(VALU_DEP_1) | instskip(SKIP_4) | instid1(VALU_DEP_1)
	v_add_f64 v[122:123], v[122:123], v[124:125]
	v_mov_b32_e32 v125, 0x128
	scratch_store_b64 v121, v[122:123], off
	scratch_load_b64 v[123:124], v120, off
	v_max_f64 v[121:122], v[20:21], v[20:21]
	v_min_f64 v[121:122], v[121:122], v[131:132]
	s_waitcnt vmcnt(0)
	s_delay_alu instid0(VALU_DEP_1) | instskip(SKIP_4) | instid1(VALU_DEP_1)
	v_add_f64 v[121:122], v[121:122], v[123:124]
	v_mov_b32_e32 v124, 0x130
	scratch_store_b64 v120, v[121:122], off
	scratch_load_b64 v[122:123], v119, off
	v_max_f64 v[120:121], v[22:23], v[22:23]
	v_min_f64 v[120:121], v[120:121], v[131:132]
	s_waitcnt vmcnt(0)
	s_delay_alu instid0(VALU_DEP_1) | instskip(SKIP_4) | instid1(VALU_DEP_1)
	v_add_f64 v[120:121], v[120:121], v[122:123]
	v_mov_b32_e32 v123, 0x138
	scratch_store_b64 v119, v[120:121], off
	scratch_load_b64 v[121:122], v118, off
	v_max_f64 v[119:120], v[24:25], v[24:25]
	v_min_f64 v[119:120], v[119:120], v[131:132]
	s_waitcnt vmcnt(0)
	s_delay_alu instid0(VALU_DEP_1) | instskip(SKIP_4) | instid1(VALU_DEP_1)
	v_add_f64 v[119:120], v[119:120], v[121:122]
	v_mov_b32_e32 v122, 0x140
	scratch_store_b64 v118, v[119:120], off
	scratch_load_b64 v[120:121], v117, off
	v_max_f64 v[118:119], v[26:27], v[26:27]
	v_min_f64 v[118:119], v[118:119], v[131:132]
	s_waitcnt vmcnt(0)
	s_delay_alu instid0(VALU_DEP_1) | instskip(SKIP_4) | instid1(VALU_DEP_1)
	v_add_f64 v[118:119], v[118:119], v[120:121]
	v_mov_b32_e32 v121, 0x148
	scratch_store_b64 v117, v[118:119], off
	scratch_load_b64 v[119:120], v116, off
	v_max_f64 v[117:118], v[28:29], v[28:29]
	v_min_f64 v[117:118], v[117:118], v[131:132]
	s_waitcnt vmcnt(0)
	s_delay_alu instid0(VALU_DEP_1) | instskip(SKIP_4) | instid1(VALU_DEP_1)
	v_add_f64 v[117:118], v[117:118], v[119:120]
	v_mov_b32_e32 v120, 0x150
	scratch_store_b64 v116, v[117:118], off
	scratch_load_b64 v[118:119], v115, off
	v_max_f64 v[116:117], v[30:31], v[30:31]
	v_min_f64 v[116:117], v[116:117], v[131:132]
	s_waitcnt vmcnt(0)
	s_delay_alu instid0(VALU_DEP_1) | instskip(SKIP_4) | instid1(VALU_DEP_1)
	v_add_f64 v[116:117], v[116:117], v[118:119]
	v_mov_b32_e32 v119, 0x158
	scratch_store_b64 v115, v[116:117], off
	scratch_load_b64 v[117:118], v114, off
	v_max_f64 v[115:116], v[32:33], v[32:33]
	v_min_f64 v[115:116], v[115:116], v[131:132]
	s_waitcnt vmcnt(0)
	s_delay_alu instid0(VALU_DEP_1) | instskip(SKIP_4) | instid1(VALU_DEP_1)
	v_add_f64 v[115:116], v[115:116], v[117:118]
	v_mov_b32_e32 v118, 0x160
	scratch_store_b64 v114, v[115:116], off
	scratch_load_b64 v[116:117], v113, off
	v_max_f64 v[114:115], v[34:35], v[34:35]
	v_min_f64 v[114:115], v[114:115], v[131:132]
	s_waitcnt vmcnt(0)
	s_delay_alu instid0(VALU_DEP_1) | instskip(SKIP_4) | instid1(VALU_DEP_1)
	v_add_f64 v[114:115], v[114:115], v[116:117]
	v_mov_b32_e32 v117, 0x168
	scratch_store_b64 v113, v[114:115], off
	scratch_load_b64 v[115:116], v112, off
	v_max_f64 v[113:114], v[36:37], v[36:37]
	v_min_f64 v[113:114], v[113:114], v[131:132]
	s_waitcnt vmcnt(0)
	s_delay_alu instid0(VALU_DEP_1) | instskip(SKIP_4) | instid1(VALU_DEP_1)
	v_add_f64 v[113:114], v[113:114], v[115:116]
	v_mov_b32_e32 v116, 0x170
	scratch_store_b64 v112, v[113:114], off
	scratch_load_b64 v[114:115], v111, off
	v_max_f64 v[112:113], v[38:39], v[38:39]
	v_min_f64 v[112:113], v[112:113], v[131:132]
	s_waitcnt vmcnt(0)
	s_delay_alu instid0(VALU_DEP_1) | instskip(SKIP_4) | instid1(VALU_DEP_1)
	v_add_f64 v[112:113], v[112:113], v[114:115]
	v_mov_b32_e32 v115, 0x178
	scratch_store_b64 v111, v[112:113], off
	scratch_load_b64 v[113:114], v110, off
	v_max_f64 v[111:112], v[40:41], v[40:41]
	v_min_f64 v[111:112], v[111:112], v[131:132]
	s_waitcnt vmcnt(0)
	s_delay_alu instid0(VALU_DEP_1) | instskip(SKIP_4) | instid1(VALU_DEP_1)
	v_add_f64 v[111:112], v[111:112], v[113:114]
	v_mov_b32_e32 v114, 0x180
	scratch_store_b64 v110, v[111:112], off
	scratch_load_b64 v[112:113], v109, off
	v_max_f64 v[110:111], v[42:43], v[42:43]
	v_min_f64 v[110:111], v[110:111], v[131:132]
	s_waitcnt vmcnt(0)
	s_delay_alu instid0(VALU_DEP_1) | instskip(SKIP_4) | instid1(VALU_DEP_1)
	v_add_f64 v[110:111], v[110:111], v[112:113]
	v_mov_b32_e32 v113, 0x188
	scratch_store_b64 v109, v[110:111], off
	scratch_load_b64 v[111:112], v108, off
	v_max_f64 v[109:110], v[44:45], v[44:45]
	v_min_f64 v[109:110], v[109:110], v[131:132]
	s_waitcnt vmcnt(0)
	s_delay_alu instid0(VALU_DEP_1) | instskip(SKIP_4) | instid1(VALU_DEP_1)
	v_add_f64 v[109:110], v[109:110], v[111:112]
	v_mov_b32_e32 v112, 0x190
	scratch_store_b64 v108, v[109:110], off
	scratch_load_b64 v[110:111], v107, off
	v_max_f64 v[108:109], v[46:47], v[46:47]
	v_min_f64 v[108:109], v[108:109], v[131:132]
	s_waitcnt vmcnt(0)
	s_delay_alu instid0(VALU_DEP_1) | instskip(SKIP_4) | instid1(VALU_DEP_1)
	v_add_f64 v[108:109], v[108:109], v[110:111]
	v_mov_b32_e32 v111, 0x198
	scratch_store_b64 v107, v[108:109], off
	scratch_load_b64 v[109:110], v106, off
	v_max_f64 v[107:108], v[48:49], v[48:49]
	v_min_f64 v[107:108], v[107:108], v[131:132]
	s_waitcnt vmcnt(0)
	s_delay_alu instid0(VALU_DEP_1) | instskip(SKIP_4) | instid1(VALU_DEP_1)
	v_add_f64 v[107:108], v[107:108], v[109:110]
	v_mov_b32_e32 v110, 0x1a0
	scratch_store_b64 v106, v[107:108], off
	scratch_load_b64 v[108:109], v105, off
	v_max_f64 v[106:107], v[50:51], v[50:51]
	v_min_f64 v[106:107], v[106:107], v[131:132]
	s_waitcnt vmcnt(0)
	s_delay_alu instid0(VALU_DEP_1) | instskip(SKIP_4) | instid1(VALU_DEP_1)
	v_add_f64 v[106:107], v[106:107], v[108:109]
	v_mov_b32_e32 v109, 0x1a8
	scratch_store_b64 v105, v[106:107], off
	scratch_load_b64 v[107:108], v104, off
	v_max_f64 v[105:106], v[52:53], v[52:53]
	v_min_f64 v[105:106], v[105:106], v[131:132]
	s_waitcnt vmcnt(0)
	s_delay_alu instid0(VALU_DEP_1) | instskip(SKIP_4) | instid1(VALU_DEP_1)
	v_add_f64 v[105:106], v[105:106], v[107:108]
	v_mov_b32_e32 v108, 0x1b0
	scratch_store_b64 v104, v[105:106], off
	scratch_load_b64 v[106:107], v103, off
	v_max_f64 v[104:105], v[54:55], v[54:55]
	v_min_f64 v[104:105], v[104:105], v[131:132]
	s_waitcnt vmcnt(0)
	s_delay_alu instid0(VALU_DEP_1) | instskip(SKIP_4) | instid1(VALU_DEP_1)
	v_add_f64 v[104:105], v[104:105], v[106:107]
	v_mov_b32_e32 v107, 0x1b8
	scratch_store_b64 v103, v[104:105], off
	scratch_load_b64 v[105:106], v102, off
	v_max_f64 v[103:104], v[56:57], v[56:57]
	v_min_f64 v[103:104], v[103:104], v[131:132]
	s_waitcnt vmcnt(0)
	s_delay_alu instid0(VALU_DEP_1) | instskip(SKIP_4) | instid1(VALU_DEP_1)
	v_add_f64 v[103:104], v[103:104], v[105:106]
	v_mov_b32_e32 v106, 0x1c0
	scratch_store_b64 v102, v[103:104], off
	scratch_load_b64 v[104:105], v101, off
	v_max_f64 v[102:103], v[58:59], v[58:59]
	v_min_f64 v[102:103], v[102:103], v[131:132]
	s_waitcnt vmcnt(0)
	s_delay_alu instid0(VALU_DEP_1) | instskip(SKIP_4) | instid1(VALU_DEP_1)
	v_add_f64 v[102:103], v[102:103], v[104:105]
	v_mov_b32_e32 v105, 0x1c8
	scratch_store_b64 v101, v[102:103], off
	scratch_load_b64 v[103:104], v100, off
	v_max_f64 v[101:102], v[60:61], v[60:61]
	v_min_f64 v[101:102], v[101:102], v[131:132]
	s_waitcnt vmcnt(0)
	s_delay_alu instid0(VALU_DEP_1) | instskip(SKIP_4) | instid1(VALU_DEP_1)
	v_add_f64 v[101:102], v[101:102], v[103:104]
	v_mov_b32_e32 v104, 0x1d0
	scratch_store_b64 v100, v[101:102], off
	scratch_load_b64 v[102:103], v99, off
	v_max_f64 v[100:101], v[62:63], v[62:63]
	v_min_f64 v[100:101], v[100:101], v[131:132]
	s_waitcnt vmcnt(0)
	s_delay_alu instid0(VALU_DEP_1)
	v_add_f64 v[100:101], v[100:101], v[102:103]
	v_mov_b32_e32 v103, 0x1d8
	v_mov_b32_e32 v102, 0x1e0
	scratch_store_b64 v99, v[100:101], off
	v_mov_b32_e32 v101, 0x1e8
	v_mov_b32_e32 v100, 0x1f0
	;; [unrolled: 1-line block ×3, first 2 shown]
	s_cbranch_vccnz .LBB200_47
; %bb.48:                               ;   in Loop: Header=BB200_28 Depth=1
	ds_load_2addr_b64 v[0:3], v86 offset0:1 offset1:17
	ds_load_2addr_b64 v[4:7], v86 offset0:33 offset1:49
	;; [unrolled: 1-line block ×12, first 2 shown]
	v_dual_mov_b32 v129, 8 :: v_dual_add_nc_u32 v64, 8, v90
	ds_load_2addr_b64 v[48:51], v98 offset0:129 offset1:145
	ds_load_2addr_b64 v[52:55], v98 offset0:161 offset1:177
	;; [unrolled: 1-line block ×4, first 2 shown]
	ds_load_2addr_stride64_b64 v[64:67], v64 offset1:4
	v_dual_mov_b32 v130, 0 :: v_dual_mov_b32 v127, 24
	v_dual_mov_b32 v128, 16 :: v_dual_mov_b32 v125, 40
	;; [unrolled: 1-line block ×5, first 2 shown]
	v_mov_b32_e32 v120, 0x50
	v_mov_b32_e32 v118, 0x60
	;; [unrolled: 1-line block ×21, first 2 shown]
	s_mov_b64 s[8:9], 0
	s_mov_b32 s26, -1
.LBB200_49:                             ;   Parent Loop BB200_28 Depth=1
                                        ; =>  This Inner Loop Header: Depth=2
	scratch_load_b64 v[135:136], v130, off
	s_cmp_eq_u32 s8, 1
	s_waitcnt lgkmcnt(16)
	v_max_f64 v[133:134], v[0:1], v[0:1]
	s_cselect_b32 vcc_lo, -1, 0
	s_mov_b64 s[8:9], 1
	s_waitcnt lgkmcnt(0)
	v_dual_cndmask_b32 v132, v65, v67 :: v_dual_cndmask_b32 v131, v64, v66
	s_and_b32 vcc_lo, exec_lo, s26
	s_mov_b32 s26, 0
	s_delay_alu instid0(VALU_DEP_1) | instskip(NEXT) | instid1(VALU_DEP_1)
	v_max_f64 v[131:132], v[131:132], v[131:132]
	v_min_f64 v[133:134], v[133:134], v[131:132]
	s_waitcnt vmcnt(0)
	s_delay_alu instid0(VALU_DEP_1) | instskip(SKIP_3) | instid1(VALU_DEP_1)
	v_add_f64 v[133:134], v[135:136], v[133:134]
	scratch_load_b64 v[135:136], v129, off
	scratch_store_b64 v130, v[133:134], off
	v_max_f64 v[133:134], v[2:3], v[2:3]
	v_min_f64 v[133:134], v[133:134], v[131:132]
	s_waitcnt vmcnt(0)
	s_delay_alu instid0(VALU_DEP_1) | instskip(SKIP_3) | instid1(VALU_DEP_1)
	v_add_f64 v[133:134], v[133:134], v[135:136]
	scratch_store_b64 v129, v[133:134], off
	scratch_load_b64 v[133:134], v128, off
	v_max_f64 v[129:130], v[4:5], v[4:5]
	v_min_f64 v[129:130], v[129:130], v[131:132]
	s_waitcnt vmcnt(0)
	s_delay_alu instid0(VALU_DEP_1) | instskip(SKIP_3) | instid1(VALU_DEP_1)
	v_add_f64 v[129:130], v[129:130], v[133:134]
	scratch_load_b64 v[133:134], v127, off
	scratch_store_b64 v128, v[129:130], off
	v_max_f64 v[128:129], v[6:7], v[6:7]
	v_min_f64 v[128:129], v[128:129], v[131:132]
	s_waitcnt vmcnt(0)
	s_delay_alu instid0(VALU_DEP_1) | instskip(SKIP_3) | instid1(VALU_DEP_1)
	v_add_f64 v[128:129], v[128:129], v[133:134]
	scratch_store_b64 v127, v[128:129], off
	scratch_load_b64 v[129:130], v126, off
	v_max_f64 v[127:128], v[8:9], v[8:9]
	v_min_f64 v[127:128], v[127:128], v[131:132]
	s_waitcnt vmcnt(0)
	s_delay_alu instid0(VALU_DEP_1) | instskip(SKIP_4) | instid1(VALU_DEP_1)
	v_add_f64 v[127:128], v[127:128], v[129:130]
	v_mov_b32_e32 v130, 0x100
	scratch_store_b64 v126, v[127:128], off
	scratch_load_b64 v[128:129], v125, off
	v_max_f64 v[126:127], v[10:11], v[10:11]
	v_min_f64 v[126:127], v[126:127], v[131:132]
	s_waitcnt vmcnt(0)
	s_delay_alu instid0(VALU_DEP_1) | instskip(SKIP_4) | instid1(VALU_DEP_1)
	v_add_f64 v[126:127], v[126:127], v[128:129]
	v_mov_b32_e32 v129, 0x108
	scratch_store_b64 v125, v[126:127], off
	scratch_load_b64 v[127:128], v124, off
	v_max_f64 v[125:126], v[12:13], v[12:13]
	v_min_f64 v[125:126], v[125:126], v[131:132]
	s_waitcnt vmcnt(0)
	s_delay_alu instid0(VALU_DEP_1) | instskip(SKIP_4) | instid1(VALU_DEP_1)
	v_add_f64 v[125:126], v[125:126], v[127:128]
	v_mov_b32_e32 v128, 0x110
	scratch_store_b64 v124, v[125:126], off
	scratch_load_b64 v[126:127], v123, off
	v_max_f64 v[124:125], v[14:15], v[14:15]
	v_min_f64 v[124:125], v[124:125], v[131:132]
	s_waitcnt vmcnt(0)
	s_delay_alu instid0(VALU_DEP_1) | instskip(SKIP_4) | instid1(VALU_DEP_1)
	v_add_f64 v[124:125], v[124:125], v[126:127]
	v_mov_b32_e32 v127, 0x118
	scratch_store_b64 v123, v[124:125], off
	scratch_load_b64 v[125:126], v122, off
	v_max_f64 v[123:124], v[16:17], v[16:17]
	v_min_f64 v[123:124], v[123:124], v[131:132]
	s_waitcnt vmcnt(0)
	s_delay_alu instid0(VALU_DEP_1) | instskip(SKIP_4) | instid1(VALU_DEP_1)
	v_add_f64 v[123:124], v[123:124], v[125:126]
	v_mov_b32_e32 v126, 0x120
	scratch_store_b64 v122, v[123:124], off
	scratch_load_b64 v[124:125], v121, off
	v_max_f64 v[122:123], v[18:19], v[18:19]
	v_min_f64 v[122:123], v[122:123], v[131:132]
	s_waitcnt vmcnt(0)
	s_delay_alu instid0(VALU_DEP_1) | instskip(SKIP_4) | instid1(VALU_DEP_1)
	v_add_f64 v[122:123], v[122:123], v[124:125]
	v_mov_b32_e32 v125, 0x128
	scratch_store_b64 v121, v[122:123], off
	scratch_load_b64 v[123:124], v120, off
	v_max_f64 v[121:122], v[20:21], v[20:21]
	v_min_f64 v[121:122], v[121:122], v[131:132]
	s_waitcnt vmcnt(0)
	s_delay_alu instid0(VALU_DEP_1) | instskip(SKIP_4) | instid1(VALU_DEP_1)
	v_add_f64 v[121:122], v[121:122], v[123:124]
	v_mov_b32_e32 v124, 0x130
	scratch_store_b64 v120, v[121:122], off
	scratch_load_b64 v[122:123], v119, off
	v_max_f64 v[120:121], v[22:23], v[22:23]
	v_min_f64 v[120:121], v[120:121], v[131:132]
	s_waitcnt vmcnt(0)
	s_delay_alu instid0(VALU_DEP_1) | instskip(SKIP_4) | instid1(VALU_DEP_1)
	v_add_f64 v[120:121], v[120:121], v[122:123]
	v_mov_b32_e32 v123, 0x138
	scratch_store_b64 v119, v[120:121], off
	scratch_load_b64 v[121:122], v118, off
	v_max_f64 v[119:120], v[24:25], v[24:25]
	v_min_f64 v[119:120], v[119:120], v[131:132]
	s_waitcnt vmcnt(0)
	s_delay_alu instid0(VALU_DEP_1) | instskip(SKIP_4) | instid1(VALU_DEP_1)
	v_add_f64 v[119:120], v[119:120], v[121:122]
	v_mov_b32_e32 v122, 0x140
	scratch_store_b64 v118, v[119:120], off
	scratch_load_b64 v[120:121], v117, off
	v_max_f64 v[118:119], v[26:27], v[26:27]
	v_min_f64 v[118:119], v[118:119], v[131:132]
	s_waitcnt vmcnt(0)
	s_delay_alu instid0(VALU_DEP_1) | instskip(SKIP_4) | instid1(VALU_DEP_1)
	v_add_f64 v[118:119], v[118:119], v[120:121]
	v_mov_b32_e32 v121, 0x148
	scratch_store_b64 v117, v[118:119], off
	scratch_load_b64 v[119:120], v116, off
	v_max_f64 v[117:118], v[28:29], v[28:29]
	v_min_f64 v[117:118], v[117:118], v[131:132]
	s_waitcnt vmcnt(0)
	s_delay_alu instid0(VALU_DEP_1) | instskip(SKIP_4) | instid1(VALU_DEP_1)
	v_add_f64 v[117:118], v[117:118], v[119:120]
	v_mov_b32_e32 v120, 0x150
	scratch_store_b64 v116, v[117:118], off
	scratch_load_b64 v[118:119], v115, off
	v_max_f64 v[116:117], v[30:31], v[30:31]
	v_min_f64 v[116:117], v[116:117], v[131:132]
	s_waitcnt vmcnt(0)
	s_delay_alu instid0(VALU_DEP_1) | instskip(SKIP_4) | instid1(VALU_DEP_1)
	v_add_f64 v[116:117], v[116:117], v[118:119]
	v_mov_b32_e32 v119, 0x158
	scratch_store_b64 v115, v[116:117], off
	scratch_load_b64 v[117:118], v114, off
	v_max_f64 v[115:116], v[32:33], v[32:33]
	v_min_f64 v[115:116], v[115:116], v[131:132]
	s_waitcnt vmcnt(0)
	s_delay_alu instid0(VALU_DEP_1) | instskip(SKIP_4) | instid1(VALU_DEP_1)
	v_add_f64 v[115:116], v[115:116], v[117:118]
	v_mov_b32_e32 v118, 0x160
	scratch_store_b64 v114, v[115:116], off
	scratch_load_b64 v[116:117], v113, off
	v_max_f64 v[114:115], v[34:35], v[34:35]
	v_min_f64 v[114:115], v[114:115], v[131:132]
	s_waitcnt vmcnt(0)
	s_delay_alu instid0(VALU_DEP_1) | instskip(SKIP_4) | instid1(VALU_DEP_1)
	v_add_f64 v[114:115], v[114:115], v[116:117]
	v_mov_b32_e32 v117, 0x168
	scratch_store_b64 v113, v[114:115], off
	scratch_load_b64 v[115:116], v112, off
	v_max_f64 v[113:114], v[36:37], v[36:37]
	v_min_f64 v[113:114], v[113:114], v[131:132]
	s_waitcnt vmcnt(0)
	s_delay_alu instid0(VALU_DEP_1) | instskip(SKIP_4) | instid1(VALU_DEP_1)
	v_add_f64 v[113:114], v[113:114], v[115:116]
	v_mov_b32_e32 v116, 0x170
	scratch_store_b64 v112, v[113:114], off
	scratch_load_b64 v[114:115], v111, off
	v_max_f64 v[112:113], v[38:39], v[38:39]
	v_min_f64 v[112:113], v[112:113], v[131:132]
	s_waitcnt vmcnt(0)
	s_delay_alu instid0(VALU_DEP_1) | instskip(SKIP_4) | instid1(VALU_DEP_1)
	v_add_f64 v[112:113], v[112:113], v[114:115]
	v_mov_b32_e32 v115, 0x178
	scratch_store_b64 v111, v[112:113], off
	scratch_load_b64 v[113:114], v110, off
	v_max_f64 v[111:112], v[40:41], v[40:41]
	v_min_f64 v[111:112], v[111:112], v[131:132]
	s_waitcnt vmcnt(0)
	s_delay_alu instid0(VALU_DEP_1) | instskip(SKIP_4) | instid1(VALU_DEP_1)
	v_add_f64 v[111:112], v[111:112], v[113:114]
	v_mov_b32_e32 v114, 0x180
	scratch_store_b64 v110, v[111:112], off
	scratch_load_b64 v[112:113], v109, off
	v_max_f64 v[110:111], v[42:43], v[42:43]
	v_min_f64 v[110:111], v[110:111], v[131:132]
	s_waitcnt vmcnt(0)
	s_delay_alu instid0(VALU_DEP_1) | instskip(SKIP_4) | instid1(VALU_DEP_1)
	v_add_f64 v[110:111], v[110:111], v[112:113]
	v_mov_b32_e32 v113, 0x188
	scratch_store_b64 v109, v[110:111], off
	scratch_load_b64 v[111:112], v108, off
	v_max_f64 v[109:110], v[44:45], v[44:45]
	v_min_f64 v[109:110], v[109:110], v[131:132]
	s_waitcnt vmcnt(0)
	s_delay_alu instid0(VALU_DEP_1) | instskip(SKIP_4) | instid1(VALU_DEP_1)
	v_add_f64 v[109:110], v[109:110], v[111:112]
	v_mov_b32_e32 v112, 0x190
	scratch_store_b64 v108, v[109:110], off
	scratch_load_b64 v[110:111], v107, off
	v_max_f64 v[108:109], v[46:47], v[46:47]
	v_min_f64 v[108:109], v[108:109], v[131:132]
	s_waitcnt vmcnt(0)
	s_delay_alu instid0(VALU_DEP_1) | instskip(SKIP_4) | instid1(VALU_DEP_1)
	v_add_f64 v[108:109], v[108:109], v[110:111]
	v_mov_b32_e32 v111, 0x198
	scratch_store_b64 v107, v[108:109], off
	scratch_load_b64 v[109:110], v106, off
	v_max_f64 v[107:108], v[48:49], v[48:49]
	v_min_f64 v[107:108], v[107:108], v[131:132]
	s_waitcnt vmcnt(0)
	s_delay_alu instid0(VALU_DEP_1) | instskip(SKIP_4) | instid1(VALU_DEP_1)
	v_add_f64 v[107:108], v[107:108], v[109:110]
	v_mov_b32_e32 v110, 0x1a0
	scratch_store_b64 v106, v[107:108], off
	scratch_load_b64 v[108:109], v105, off
	v_max_f64 v[106:107], v[50:51], v[50:51]
	v_min_f64 v[106:107], v[106:107], v[131:132]
	s_waitcnt vmcnt(0)
	s_delay_alu instid0(VALU_DEP_1) | instskip(SKIP_4) | instid1(VALU_DEP_1)
	v_add_f64 v[106:107], v[106:107], v[108:109]
	v_mov_b32_e32 v109, 0x1a8
	scratch_store_b64 v105, v[106:107], off
	scratch_load_b64 v[107:108], v104, off
	v_max_f64 v[105:106], v[52:53], v[52:53]
	v_min_f64 v[105:106], v[105:106], v[131:132]
	s_waitcnt vmcnt(0)
	s_delay_alu instid0(VALU_DEP_1) | instskip(SKIP_4) | instid1(VALU_DEP_1)
	v_add_f64 v[105:106], v[105:106], v[107:108]
	v_mov_b32_e32 v108, 0x1b0
	scratch_store_b64 v104, v[105:106], off
	scratch_load_b64 v[106:107], v103, off
	v_max_f64 v[104:105], v[54:55], v[54:55]
	v_min_f64 v[104:105], v[104:105], v[131:132]
	s_waitcnt vmcnt(0)
	s_delay_alu instid0(VALU_DEP_1) | instskip(SKIP_4) | instid1(VALU_DEP_1)
	v_add_f64 v[104:105], v[104:105], v[106:107]
	v_mov_b32_e32 v107, 0x1b8
	scratch_store_b64 v103, v[104:105], off
	scratch_load_b64 v[105:106], v102, off
	v_max_f64 v[103:104], v[56:57], v[56:57]
	v_min_f64 v[103:104], v[103:104], v[131:132]
	s_waitcnt vmcnt(0)
	s_delay_alu instid0(VALU_DEP_1) | instskip(SKIP_4) | instid1(VALU_DEP_1)
	v_add_f64 v[103:104], v[103:104], v[105:106]
	v_mov_b32_e32 v106, 0x1c0
	scratch_store_b64 v102, v[103:104], off
	scratch_load_b64 v[104:105], v101, off
	v_max_f64 v[102:103], v[58:59], v[58:59]
	v_min_f64 v[102:103], v[102:103], v[131:132]
	s_waitcnt vmcnt(0)
	s_delay_alu instid0(VALU_DEP_1) | instskip(SKIP_4) | instid1(VALU_DEP_1)
	v_add_f64 v[102:103], v[102:103], v[104:105]
	v_mov_b32_e32 v105, 0x1c8
	scratch_store_b64 v101, v[102:103], off
	scratch_load_b64 v[103:104], v100, off
	v_max_f64 v[101:102], v[60:61], v[60:61]
	v_min_f64 v[101:102], v[101:102], v[131:132]
	s_waitcnt vmcnt(0)
	s_delay_alu instid0(VALU_DEP_1) | instskip(SKIP_4) | instid1(VALU_DEP_1)
	v_add_f64 v[101:102], v[101:102], v[103:104]
	v_mov_b32_e32 v104, 0x1d0
	scratch_store_b64 v100, v[101:102], off
	scratch_load_b64 v[102:103], v99, off
	v_max_f64 v[100:101], v[62:63], v[62:63]
	v_min_f64 v[100:101], v[100:101], v[131:132]
	s_waitcnt vmcnt(0)
	s_delay_alu instid0(VALU_DEP_1)
	v_add_f64 v[100:101], v[100:101], v[102:103]
	v_mov_b32_e32 v103, 0x1d8
	v_mov_b32_e32 v102, 0x1e0
	scratch_store_b64 v99, v[100:101], off
	v_mov_b32_e32 v101, 0x1e8
	v_mov_b32_e32 v100, 0x1f0
	;; [unrolled: 1-line block ×3, first 2 shown]
	s_cbranch_vccnz .LBB200_49
; %bb.50:                               ;   in Loop: Header=BB200_28 Depth=1
	ds_load_2addr_b64 v[0:3], v86 offset0:2 offset1:18
	ds_load_2addr_b64 v[4:7], v86 offset0:34 offset1:50
	;; [unrolled: 1-line block ×12, first 2 shown]
	v_dual_mov_b32 v129, 8 :: v_dual_add_nc_u32 v64, 16, v90
	ds_load_2addr_b64 v[48:51], v98 offset0:130 offset1:146
	ds_load_2addr_b64 v[52:55], v98 offset0:162 offset1:178
	;; [unrolled: 1-line block ×4, first 2 shown]
	ds_load_2addr_stride64_b64 v[64:67], v64 offset1:4
	v_dual_mov_b32 v130, 0 :: v_dual_mov_b32 v127, 24
	v_dual_mov_b32 v128, 16 :: v_dual_mov_b32 v125, 40
	;; [unrolled: 1-line block ×5, first 2 shown]
	v_mov_b32_e32 v120, 0x50
	v_mov_b32_e32 v118, 0x60
	;; [unrolled: 1-line block ×21, first 2 shown]
	s_mov_b64 s[8:9], 0
	s_mov_b32 s26, -1
.LBB200_51:                             ;   Parent Loop BB200_28 Depth=1
                                        ; =>  This Inner Loop Header: Depth=2
	scratch_load_b64 v[135:136], v130, off
	s_cmp_eq_u32 s8, 1
	s_waitcnt lgkmcnt(16)
	v_max_f64 v[133:134], v[0:1], v[0:1]
	s_cselect_b32 vcc_lo, -1, 0
	s_mov_b64 s[8:9], 1
	s_waitcnt lgkmcnt(0)
	v_dual_cndmask_b32 v132, v65, v67 :: v_dual_cndmask_b32 v131, v64, v66
	s_and_b32 vcc_lo, exec_lo, s26
	s_mov_b32 s26, 0
	s_delay_alu instid0(VALU_DEP_1) | instskip(NEXT) | instid1(VALU_DEP_1)
	v_max_f64 v[131:132], v[131:132], v[131:132]
	v_min_f64 v[133:134], v[133:134], v[131:132]
	s_waitcnt vmcnt(0)
	s_delay_alu instid0(VALU_DEP_1) | instskip(SKIP_3) | instid1(VALU_DEP_1)
	v_add_f64 v[133:134], v[135:136], v[133:134]
	scratch_load_b64 v[135:136], v129, off
	scratch_store_b64 v130, v[133:134], off
	v_max_f64 v[133:134], v[2:3], v[2:3]
	v_min_f64 v[133:134], v[133:134], v[131:132]
	s_waitcnt vmcnt(0)
	s_delay_alu instid0(VALU_DEP_1) | instskip(SKIP_3) | instid1(VALU_DEP_1)
	v_add_f64 v[133:134], v[133:134], v[135:136]
	scratch_store_b64 v129, v[133:134], off
	scratch_load_b64 v[133:134], v128, off
	v_max_f64 v[129:130], v[4:5], v[4:5]
	v_min_f64 v[129:130], v[129:130], v[131:132]
	s_waitcnt vmcnt(0)
	s_delay_alu instid0(VALU_DEP_1) | instskip(SKIP_3) | instid1(VALU_DEP_1)
	v_add_f64 v[129:130], v[129:130], v[133:134]
	scratch_load_b64 v[133:134], v127, off
	scratch_store_b64 v128, v[129:130], off
	v_max_f64 v[128:129], v[6:7], v[6:7]
	v_min_f64 v[128:129], v[128:129], v[131:132]
	s_waitcnt vmcnt(0)
	s_delay_alu instid0(VALU_DEP_1) | instskip(SKIP_3) | instid1(VALU_DEP_1)
	v_add_f64 v[128:129], v[128:129], v[133:134]
	scratch_store_b64 v127, v[128:129], off
	scratch_load_b64 v[129:130], v126, off
	v_max_f64 v[127:128], v[8:9], v[8:9]
	v_min_f64 v[127:128], v[127:128], v[131:132]
	s_waitcnt vmcnt(0)
	s_delay_alu instid0(VALU_DEP_1) | instskip(SKIP_4) | instid1(VALU_DEP_1)
	v_add_f64 v[127:128], v[127:128], v[129:130]
	v_mov_b32_e32 v130, 0x100
	scratch_store_b64 v126, v[127:128], off
	scratch_load_b64 v[128:129], v125, off
	v_max_f64 v[126:127], v[10:11], v[10:11]
	v_min_f64 v[126:127], v[126:127], v[131:132]
	s_waitcnt vmcnt(0)
	s_delay_alu instid0(VALU_DEP_1) | instskip(SKIP_4) | instid1(VALU_DEP_1)
	v_add_f64 v[126:127], v[126:127], v[128:129]
	v_mov_b32_e32 v129, 0x108
	;; [unrolled: 8-line block ×27, first 2 shown]
	scratch_store_b64 v100, v[101:102], off
	scratch_load_b64 v[102:103], v99, off
	v_max_f64 v[100:101], v[62:63], v[62:63]
	v_min_f64 v[100:101], v[100:101], v[131:132]
	s_waitcnt vmcnt(0)
	s_delay_alu instid0(VALU_DEP_1)
	v_add_f64 v[100:101], v[100:101], v[102:103]
	v_mov_b32_e32 v103, 0x1d8
	v_mov_b32_e32 v102, 0x1e0
	scratch_store_b64 v99, v[100:101], off
	v_mov_b32_e32 v101, 0x1e8
	v_mov_b32_e32 v100, 0x1f0
	;; [unrolled: 1-line block ×3, first 2 shown]
	s_cbranch_vccnz .LBB200_51
; %bb.52:                               ;   in Loop: Header=BB200_28 Depth=1
	ds_load_2addr_b64 v[0:3], v86 offset0:3 offset1:19
	ds_load_2addr_b64 v[4:7], v86 offset0:35 offset1:51
	;; [unrolled: 1-line block ×12, first 2 shown]
	v_dual_mov_b32 v129, 0 :: v_dual_add_nc_u32 v64, 24, v90
	ds_load_2addr_b64 v[48:51], v98 offset0:131 offset1:147
	ds_load_2addr_b64 v[52:55], v98 offset0:163 offset1:179
	;; [unrolled: 1-line block ×4, first 2 shown]
	ds_load_2addr_stride64_b64 v[64:67], v64 offset1:4
	v_dual_mov_b32 v128, 8 :: v_dual_mov_b32 v127, 16
	v_dual_mov_b32 v126, 24 :: v_dual_mov_b32 v125, 32
	;; [unrolled: 1-line block ×4, first 2 shown]
	v_mov_b32_e32 v120, 0x48
	v_mov_b32_e32 v119, 0x50
	;; [unrolled: 1-line block ×23, first 2 shown]
	s_mov_b64 s[8:9], 0
	s_mov_b32 s26, -1
.LBB200_53:                             ;   Parent Loop BB200_28 Depth=1
                                        ; =>  This Inner Loop Header: Depth=2
	scratch_load_b64 v[134:135], v129, off
	s_cmp_eq_u32 s8, 1
	s_waitcnt lgkmcnt(16)
	v_max_f64 v[132:133], v[0:1], v[0:1]
	s_cselect_b32 vcc_lo, -1, 0
	s_mov_b64 s[8:9], 1
	s_waitcnt lgkmcnt(0)
	v_dual_cndmask_b32 v131, v65, v67 :: v_dual_cndmask_b32 v130, v64, v66
	s_and_b32 vcc_lo, exec_lo, s26
	s_mov_b32 s26, 0
	s_delay_alu instid0(VALU_DEP_1) | instskip(NEXT) | instid1(VALU_DEP_1)
	v_max_f64 v[130:131], v[130:131], v[130:131]
	v_min_f64 v[132:133], v[132:133], v[130:131]
	s_waitcnt vmcnt(0)
	s_delay_alu instid0(VALU_DEP_1) | instskip(SKIP_3) | instid1(VALU_DEP_1)
	v_add_f64 v[132:133], v[134:135], v[132:133]
	scratch_load_b64 v[134:135], v128, off
	scratch_store_b64 v129, v[132:133], off
	v_max_f64 v[132:133], v[2:3], v[2:3]
	v_min_f64 v[132:133], v[132:133], v[130:131]
	s_waitcnt vmcnt(0)
	s_delay_alu instid0(VALU_DEP_1) | instskip(SKIP_3) | instid1(VALU_DEP_1)
	v_add_f64 v[132:133], v[132:133], v[134:135]
	scratch_store_b64 v128, v[132:133], off
	scratch_load_b64 v[132:133], v127, off
	v_max_f64 v[128:129], v[4:5], v[4:5]
	v_min_f64 v[128:129], v[128:129], v[130:131]
	s_waitcnt vmcnt(0)
	s_delay_alu instid0(VALU_DEP_1) | instskip(SKIP_3) | instid1(VALU_DEP_1)
	v_add_f64 v[128:129], v[128:129], v[132:133]
	scratch_load_b64 v[132:133], v126, off
	scratch_store_b64 v127, v[128:129], off
	v_max_f64 v[127:128], v[6:7], v[6:7]
	v_min_f64 v[127:128], v[127:128], v[130:131]
	s_waitcnt vmcnt(0)
	s_delay_alu instid0(VALU_DEP_1) | instskip(SKIP_3) | instid1(VALU_DEP_1)
	v_add_f64 v[127:128], v[127:128], v[132:133]
	scratch_store_b64 v126, v[127:128], off
	scratch_load_b64 v[128:129], v125, off
	v_max_f64 v[126:127], v[8:9], v[8:9]
	v_min_f64 v[126:127], v[126:127], v[130:131]
	s_waitcnt vmcnt(0)
	s_delay_alu instid0(VALU_DEP_1) | instskip(SKIP_4) | instid1(VALU_DEP_1)
	v_add_f64 v[126:127], v[126:127], v[128:129]
	v_mov_b32_e32 v129, 0x100
	scratch_store_b64 v125, v[126:127], off
	scratch_load_b64 v[127:128], v124, off
	v_max_f64 v[125:126], v[10:11], v[10:11]
	v_min_f64 v[125:126], v[125:126], v[130:131]
	s_waitcnt vmcnt(0)
	s_delay_alu instid0(VALU_DEP_1) | instskip(SKIP_4) | instid1(VALU_DEP_1)
	v_add_f64 v[125:126], v[125:126], v[127:128]
	v_mov_b32_e32 v128, 0x108
	;; [unrolled: 8-line block ×27, first 2 shown]
	scratch_store_b64 v99, v[100:101], off
	scratch_load_b64 v[101:102], v98, off
	v_max_f64 v[99:100], v[62:63], v[62:63]
	v_min_f64 v[99:100], v[99:100], v[130:131]
	s_waitcnt vmcnt(0)
	s_delay_alu instid0(VALU_DEP_1)
	v_add_f64 v[99:100], v[99:100], v[101:102]
	v_mov_b32_e32 v102, 0x1d8
	v_mov_b32_e32 v101, 0x1e0
	scratch_store_b64 v98, v[99:100], off
	v_mov_b32_e32 v100, 0x1e8
	v_mov_b32_e32 v99, 0x1f0
	;; [unrolled: 1-line block ×3, first 2 shown]
	s_cbranch_vccnz .LBB200_53
; %bb.54:                               ;   in Loop: Header=BB200_28 Depth=1
	s_add_i32 s19, s19, 8
	s_add_i32 s25, s25, 8
	s_cmp_ge_i32 s19, s18
	ds_store_2addr_stride64_b64 v91, v[73:74], v[75:76] offset1:4
	ds_store_2addr_stride64_b64 v92, v[77:78], v[79:80] offset1:4
	s_waitcnt lgkmcnt(0)
	s_waitcnt_vscnt null, 0x0
	s_barrier
	buffer_gl0_inv
	s_cbranch_scc0 .LBB200_28
.LBB200_55:
	v_dual_mov_b32 v71, 8 :: v_dual_add_nc_u32 v28, 0x1000, v86
	v_dual_mov_b32 v75, 40 :: v_dual_add_nc_u32 v60, 0x1800, v86
	;; [unrolled: 1-line block ×3, first 2 shown]
	ds_load_2addr_b64 v[0:3], v28 offset1:16
	ds_load_2addr_b64 v[4:7], v28 offset0:32 offset1:48
	ds_load_2addr_b64 v[8:11], v28 offset0:64 offset1:80
	;; [unrolled: 1-line block ×7, first 2 shown]
	ds_load_2addr_b64 v[32:35], v60 offset1:16
	ds_load_2addr_b64 v[36:39], v60 offset0:32 offset1:48
	ds_load_2addr_b64 v[40:43], v60 offset0:64 offset1:80
	;; [unrolled: 1-line block ×7, first 2 shown]
	ds_load_2addr_stride64_b64 v[64:67], v88 offset0:24 offset1:28
	v_dual_mov_b32 v70, 0 :: v_dual_add_nc_u32 v69, 0x3000, v88
	v_dual_mov_b32 v72, 16 :: v_dual_mov_b32 v77, 56
	v_dual_mov_b32 v74, 32 :: v_dual_mov_b32 v79, 0x48
	;; [unrolled: 1-line block ×4, first 2 shown]
	v_mov_b32_e32 v80, 0x50
	v_mov_b32_e32 v84, 0x60
	v_mov_b32_e32 v86, 0x70
	v_mov_b32_e32 v87, 0x78
	v_mov_b32_e32 v88, 0x80
	v_mov_b32_e32 v89, 0x88
	v_mov_b32_e32 v90, 0x90
	v_mov_b32_e32 v91, 0x98
	v_mov_b32_e32 v92, 0xa0
	v_mov_b32_e32 v93, 0xa8
	v_mov_b32_e32 v94, 0xb0
	v_mov_b32_e32 v95, 0xb8
	v_mov_b32_e32 v96, 0xc0
	v_mov_b32_e32 v97, 0xc8
	v_mov_b32_e32 v98, 0xd0
	v_mov_b32_e32 v99, 0xd8
	v_mov_b32_e32 v100, 0xe0
	v_mov_b32_e32 v101, 0xe8
	v_mov_b32_e32 v102, 0xf0
	v_mov_b32_e32 v103, 0xf8
	s_mov_b64 s[2:3], 0
	s_mov_b32 s8, -1
.LBB200_56:                             ; =>This Inner Loop Header: Depth=1
	scratch_load_b64 v[104:105], v70, off
	scratch_load_b64 v[106:107], v71, off
	;; [unrolled: 1-line block ×32, first 2 shown]
	s_cmp_eq_u32 s2, 1
	s_waitcnt lgkmcnt(16)
	v_max_f64 v[170:171], v[0:1], v[0:1]
	s_cselect_b32 vcc_lo, -1, 0
	v_max_f64 v[172:173], v[2:3], v[2:3]
	s_waitcnt lgkmcnt(0)
	v_dual_cndmask_b32 v169, v65, v67 :: v_dual_cndmask_b32 v168, v64, v66
	v_max_f64 v[174:175], v[4:5], v[4:5]
	v_max_f64 v[176:177], v[6:7], v[6:7]
	;; [unrolled: 1-line block ×31, first 2 shown]
	s_mov_b64 s[2:3], 1
	s_and_b32 vcc_lo, exec_lo, s8
	s_mov_b32 s8, 0
	v_min_f64 v[170:171], v[170:171], v[168:169]
	v_min_f64 v[172:173], v[172:173], v[168:169]
	;; [unrolled: 1-line block ×32, first 2 shown]
	s_waitcnt vmcnt(31)
	v_add_f64 v[104:105], v[104:105], v[170:171]
	s_waitcnt vmcnt(30)
	v_add_f64 v[106:107], v[172:173], v[106:107]
	;; [unrolled: 2-line block ×32, first 2 shown]
	scratch_store_b64 v70, v[104:105], off
	scratch_store_b64 v71, v[106:107], off
	;; [unrolled: 1-line block ×32, first 2 shown]
	v_mov_b32_e32 v70, 0x100
	v_mov_b32_e32 v71, 0x108
	;; [unrolled: 1-line block ×32, first 2 shown]
	s_cbranch_vccnz .LBB200_56
; %bb.57:
	v_dual_mov_b32 v71, 8 :: v_dual_add_nc_u32 v60, 0x800, v68
	ds_load_2addr_b64 v[0:3], v68 offset0:1 offset1:17
	ds_load_2addr_b64 v[4:7], v68 offset0:33 offset1:49
	;; [unrolled: 1-line block ×12, first 2 shown]
	v_dual_mov_b32 v73, 24 :: v_dual_add_nc_u32 v64, 8, v69
	ds_load_2addr_b64 v[48:51], v60 offset0:129 offset1:145
	ds_load_2addr_b64 v[52:55], v60 offset0:161 offset1:177
	;; [unrolled: 1-line block ×4, first 2 shown]
	ds_load_2addr_stride64_b64 v[64:67], v64 offset1:4
	v_dual_mov_b32 v70, 0 :: v_dual_mov_b32 v75, 40
	v_dual_mov_b32 v72, 16 :: v_dual_mov_b32 v77, 56
	;; [unrolled: 1-line block ×5, first 2 shown]
	v_mov_b32_e32 v80, 0x50
	v_mov_b32_e32 v84, 0x60
	;; [unrolled: 1-line block ×20, first 2 shown]
	s_mov_b64 s[2:3], 0
	s_mov_b32 s8, -1
.LBB200_58:                             ; =>This Inner Loop Header: Depth=1
	scratch_load_b64 v[104:105], v70, off
	scratch_load_b64 v[106:107], v71, off
	;; [unrolled: 1-line block ×32, first 2 shown]
	s_cmp_eq_u32 s2, 1
	s_waitcnt lgkmcnt(16)
	v_max_f64 v[170:171], v[0:1], v[0:1]
	s_cselect_b32 vcc_lo, -1, 0
	v_max_f64 v[172:173], v[2:3], v[2:3]
	s_waitcnt lgkmcnt(0)
	v_dual_cndmask_b32 v169, v65, v67 :: v_dual_cndmask_b32 v168, v64, v66
	v_max_f64 v[174:175], v[4:5], v[4:5]
	v_max_f64 v[176:177], v[6:7], v[6:7]
	;; [unrolled: 1-line block ×31, first 2 shown]
	s_mov_b64 s[2:3], 1
	s_and_b32 vcc_lo, exec_lo, s8
	s_mov_b32 s8, 0
	v_min_f64 v[170:171], v[170:171], v[168:169]
	v_min_f64 v[172:173], v[172:173], v[168:169]
	;; [unrolled: 1-line block ×32, first 2 shown]
	s_waitcnt vmcnt(31)
	v_add_f64 v[104:105], v[104:105], v[170:171]
	s_waitcnt vmcnt(30)
	v_add_f64 v[106:107], v[172:173], v[106:107]
	;; [unrolled: 2-line block ×32, first 2 shown]
	scratch_store_b64 v70, v[104:105], off
	scratch_store_b64 v71, v[106:107], off
	scratch_store_b64 v72, v[108:109], off
	scratch_store_b64 v73, v[110:111], off
	scratch_store_b64 v74, v[112:113], off
	scratch_store_b64 v75, v[114:115], off
	scratch_store_b64 v76, v[116:117], off
	scratch_store_b64 v77, v[118:119], off
	scratch_store_b64 v78, v[120:121], off
	scratch_store_b64 v79, v[122:123], off
	scratch_store_b64 v80, v[124:125], off
	scratch_store_b64 v83, v[126:127], off
	scratch_store_b64 v84, v[128:129], off
	scratch_store_b64 v85, v[130:131], off
	scratch_store_b64 v86, v[132:133], off
	scratch_store_b64 v87, v[134:135], off
	scratch_store_b64 v88, v[136:137], off
	scratch_store_b64 v89, v[138:139], off
	scratch_store_b64 v90, v[140:141], off
	scratch_store_b64 v91, v[142:143], off
	scratch_store_b64 v92, v[144:145], off
	scratch_store_b64 v93, v[146:147], off
	scratch_store_b64 v94, v[148:149], off
	scratch_store_b64 v95, v[150:151], off
	scratch_store_b64 v96, v[152:153], off
	scratch_store_b64 v97, v[154:155], off
	scratch_store_b64 v98, v[156:157], off
	scratch_store_b64 v99, v[158:159], off
	scratch_store_b64 v100, v[160:161], off
	scratch_store_b64 v101, v[162:163], off
	scratch_store_b64 v102, v[164:165], off
	scratch_store_b64 v103, v[166:167], off
	v_mov_b32_e32 v70, 0x100
	v_mov_b32_e32 v71, 0x108
	;; [unrolled: 1-line block ×32, first 2 shown]
	s_cbranch_vccnz .LBB200_58
; %bb.59:
	v_dual_mov_b32 v71, 8 :: v_dual_add_nc_u32 v60, 0x800, v68
	ds_load_2addr_b64 v[0:3], v68 offset0:2 offset1:18
	ds_load_2addr_b64 v[4:7], v68 offset0:34 offset1:50
	;; [unrolled: 1-line block ×12, first 2 shown]
	v_dual_mov_b32 v73, 24 :: v_dual_add_nc_u32 v64, 16, v69
	ds_load_2addr_b64 v[48:51], v60 offset0:130 offset1:146
	ds_load_2addr_b64 v[52:55], v60 offset0:162 offset1:178
	;; [unrolled: 1-line block ×4, first 2 shown]
	ds_load_2addr_stride64_b64 v[64:67], v64 offset1:4
	v_dual_mov_b32 v70, 0 :: v_dual_mov_b32 v75, 40
	v_dual_mov_b32 v72, 16 :: v_dual_mov_b32 v77, 56
	v_dual_mov_b32 v74, 32 :: v_dual_mov_b32 v79, 0x48
	v_dual_mov_b32 v76, 48 :: v_dual_mov_b32 v83, 0x58
	v_dual_mov_b32 v78, 64 :: v_dual_mov_b32 v85, 0x68
	v_mov_b32_e32 v80, 0x50
	v_mov_b32_e32 v84, 0x60
	v_mov_b32_e32 v86, 0x70
	v_mov_b32_e32 v87, 0x78
	v_mov_b32_e32 v88, 0x80
	v_mov_b32_e32 v89, 0x88
	v_mov_b32_e32 v90, 0x90
	v_mov_b32_e32 v91, 0x98
	v_mov_b32_e32 v92, 0xa0
	v_mov_b32_e32 v93, 0xa8
	v_mov_b32_e32 v94, 0xb0
	v_mov_b32_e32 v95, 0xb8
	v_mov_b32_e32 v96, 0xc0
	v_mov_b32_e32 v97, 0xc8
	v_mov_b32_e32 v98, 0xd0
	v_mov_b32_e32 v99, 0xd8
	v_mov_b32_e32 v100, 0xe0
	v_mov_b32_e32 v101, 0xe8
	v_mov_b32_e32 v102, 0xf0
	v_mov_b32_e32 v103, 0xf8
	s_mov_b64 s[2:3], 0
	s_mov_b32 s8, -1
.LBB200_60:                             ; =>This Inner Loop Header: Depth=1
	scratch_load_b64 v[104:105], v70, off
	scratch_load_b64 v[106:107], v71, off
	;; [unrolled: 1-line block ×32, first 2 shown]
	s_cmp_eq_u32 s2, 1
	s_waitcnt lgkmcnt(16)
	v_max_f64 v[170:171], v[0:1], v[0:1]
	s_cselect_b32 vcc_lo, -1, 0
	v_max_f64 v[172:173], v[2:3], v[2:3]
	s_waitcnt lgkmcnt(0)
	v_dual_cndmask_b32 v169, v65, v67 :: v_dual_cndmask_b32 v168, v64, v66
	v_max_f64 v[174:175], v[4:5], v[4:5]
	v_max_f64 v[176:177], v[6:7], v[6:7]
	;; [unrolled: 1-line block ×31, first 2 shown]
	s_mov_b64 s[2:3], 1
	s_and_b32 vcc_lo, exec_lo, s8
	s_mov_b32 s8, 0
	v_min_f64 v[170:171], v[170:171], v[168:169]
	v_min_f64 v[172:173], v[172:173], v[168:169]
	;; [unrolled: 1-line block ×32, first 2 shown]
	s_waitcnt vmcnt(31)
	v_add_f64 v[104:105], v[104:105], v[170:171]
	s_waitcnt vmcnt(30)
	v_add_f64 v[106:107], v[172:173], v[106:107]
	;; [unrolled: 2-line block ×32, first 2 shown]
	scratch_store_b64 v70, v[104:105], off
	scratch_store_b64 v71, v[106:107], off
	;; [unrolled: 1-line block ×32, first 2 shown]
	v_mov_b32_e32 v70, 0x100
	v_mov_b32_e32 v71, 0x108
	;; [unrolled: 1-line block ×32, first 2 shown]
	s_cbranch_vccnz .LBB200_60
; %bb.61:
	v_add_nc_u32_e32 v60, 0x800, v68
	ds_load_2addr_b64 v[0:3], v68 offset0:3 offset1:19
	ds_load_2addr_b64 v[4:7], v68 offset0:35 offset1:51
	;; [unrolled: 1-line block ×4, first 2 shown]
	v_dual_mov_b32 v71, 24 :: v_dual_add_nc_u32 v64, 24, v69
	v_mov_b32_e32 v69, 8
	ds_load_2addr_b64 v[16:19], v68 offset0:131 offset1:147
	ds_load_2addr_b64 v[20:23], v68 offset0:163 offset1:179
	;; [unrolled: 1-line block ×12, first 2 shown]
	ds_load_2addr_stride64_b64 v[64:67], v64 offset1:4
	v_dual_mov_b32 v68, 0 :: v_dual_mov_b32 v73, 40
	v_dual_mov_b32 v70, 16 :: v_dual_mov_b32 v75, 56
	;; [unrolled: 1-line block ×5, first 2 shown]
	v_mov_b32_e32 v78, 0x50
	v_mov_b32_e32 v80, 0x60
	;; [unrolled: 1-line block ×20, first 2 shown]
	s_mov_b64 s[2:3], 0
	s_mov_b32 s8, -1
.LBB200_62:                             ; =>This Inner Loop Header: Depth=1
	scratch_load_b64 v[102:103], v68, off
	scratch_load_b64 v[104:105], v69, off
	;; [unrolled: 1-line block ×32, first 2 shown]
	s_cmp_eq_u32 s2, 1
	s_waitcnt lgkmcnt(16)
	v_max_f64 v[168:169], v[0:1], v[0:1]
	s_cselect_b32 vcc_lo, -1, 0
	v_max_f64 v[170:171], v[2:3], v[2:3]
	s_waitcnt lgkmcnt(0)
	v_dual_cndmask_b32 v167, v65, v67 :: v_dual_cndmask_b32 v166, v64, v66
	v_max_f64 v[172:173], v[4:5], v[4:5]
	v_max_f64 v[174:175], v[6:7], v[6:7]
	;; [unrolled: 1-line block ×31, first 2 shown]
	s_mov_b64 s[2:3], 1
	s_and_b32 vcc_lo, exec_lo, s8
	s_mov_b32 s8, 0
	v_min_f64 v[168:169], v[168:169], v[166:167]
	v_min_f64 v[170:171], v[170:171], v[166:167]
	;; [unrolled: 1-line block ×32, first 2 shown]
	s_waitcnt vmcnt(31)
	v_add_f64 v[102:103], v[102:103], v[168:169]
	s_waitcnt vmcnt(30)
	v_add_f64 v[104:105], v[170:171], v[104:105]
	;; [unrolled: 2-line block ×32, first 2 shown]
	scratch_store_b64 v68, v[102:103], off
	scratch_store_b64 v69, v[104:105], off
	;; [unrolled: 1-line block ×32, first 2 shown]
	v_mov_b32_e32 v68, 0x100
	v_mov_b32_e32 v69, 0x108
	;; [unrolled: 1-line block ×32, first 2 shown]
	s_cbranch_vccnz .LBB200_62
; %bb.63:
	scratch_load_b64 v[2:3], off, off
	s_load_b32 s3, s[0:1], 0x58
	v_dual_mov_b32 v4, 0 :: v_dual_add_nc_u32 v71, s21, v82
	v_dual_mov_b32 v5, 0 :: v_dual_add_nc_u32 v12, s14, v81
	v_mov_b32_e32 v8, 0
	v_mov_b32_e32 v9, 0
	s_and_b32 s2, exec_lo, s22
	s_delay_alu instid0(VALU_DEP_3) | instskip(SKIP_2) | instid1(VALU_DEP_1)
	v_ashrrev_i32_e32 v13, 31, v12
	s_waitcnt lgkmcnt(0)
	v_mad_i64_i32 v[0:1], null, v71, s3, 0
	v_lshlrev_b64 v[0:1], 3, v[0:1]
	s_delay_alu instid0(VALU_DEP_1) | instskip(NEXT) | instid1(VALU_DEP_2)
	v_add_co_u32 v72, vcc_lo, s4, v0
	v_add_co_ci_u32_e32 v73, vcc_lo, s5, v1, vcc_lo
	v_lshlrev_b64 v[0:1], 3, v[12:13]
	s_mov_b32 vcc_lo, s2
	s_cbranch_vccz .LBB200_65
; %bb.64:
	s_delay_alu instid0(VALU_DEP_1) | instskip(NEXT) | instid1(VALU_DEP_2)
	v_add_co_u32 v6, vcc_lo, v72, v0
	v_add_co_ci_u32_e32 v7, vcc_lo, v73, v1, vcc_lo
	flat_load_b64 v[6:7], v[6:7]
	s_waitcnt vmcnt(0) lgkmcnt(0)
	v_mul_f64 v[8:9], v[6:7], s[6:7]
.LBB200_65:
	scratch_load_b64 v[6:7], off, off offset:8
	s_clause 0x1
	s_load_b64 s[8:9], s[0:1], 0x78
	s_load_b32 s1, s[0:1], 0x70
	s_waitcnt vmcnt(1)
	v_add_f64 v[8:9], v[2:3], v[8:9]
	v_add_nc_u32_e32 v10, 4, v12
	v_cndmask_b32_e64 v13, 0, 1, s22
	s_delay_alu instid0(VALU_DEP_2) | instskip(SKIP_4) | instid1(SALU_CYCLE_1)
	v_ashrrev_i32_e32 v11, 31, v10
	s_waitcnt lgkmcnt(0)
	s_mul_i32 s0, s15, s9
	v_mad_i64_i32 v[2:3], null, v71, s1, 0
	s_mul_hi_u32 s9, s15, s8
	s_add_i32 s0, s9, s0
	s_mul_i32 s9, s20, s8
	s_mul_i32 s8, s15, s8
	s_add_i32 s9, s0, s9
	s_delay_alu instid0(VALU_DEP_1) | instskip(SKIP_4) | instid1(VALU_DEP_2)
	v_lshlrev_b64 v[2:3], 3, v[2:3]
	s_lshl_b64 s[8:9], s[8:9], 3
	v_cmp_ne_u32_e64 s0, 1, v13
	s_add_u32 s8, s10, s8
	s_addc_u32 s9, s11, s9
	v_add_co_u32 v74, vcc_lo, s8, v2
	v_add_co_ci_u32_e32 v75, vcc_lo, s9, v3, vcc_lo
	v_lshlrev_b64 v[2:3], 3, v[10:11]
	s_delay_alu instid0(VALU_DEP_3) | instskip(NEXT) | instid1(VALU_DEP_3)
	v_add_co_u32 v13, vcc_lo, v74, v0
	v_add_co_ci_u32_e32 v14, vcc_lo, v75, v1, vcc_lo
	s_and_not1_b32 vcc_lo, exec_lo, s22
	global_store_b64 v[13:14], v[8:9], off
	s_cbranch_vccnz .LBB200_67
; %bb.66:
	v_add_co_u32 v4, vcc_lo, v72, v2
	v_add_co_ci_u32_e32 v5, vcc_lo, v73, v3, vcc_lo
	flat_load_b64 v[4:5], v[4:5]
	s_waitcnt vmcnt(0) lgkmcnt(0)
	v_mul_f64 v[4:5], v[4:5], s[6:7]
.LBB200_67:
	scratch_load_b64 v[10:11], off, off offset:16
	s_waitcnt vmcnt(1)
	v_add_f64 v[13:14], v[6:7], v[4:5]
	v_add_nc_u32_e32 v4, 8, v12
	v_mov_b32_e32 v8, 0
	v_mov_b32_e32 v9, 0
	v_add_co_u32 v15, vcc_lo, v74, v2
	s_delay_alu instid0(VALU_DEP_4) | instskip(SKIP_3) | instid1(VALU_DEP_4)
	v_ashrrev_i32_e32 v5, 31, v4
	v_mov_b32_e32 v6, 0
	v_mov_b32_e32 v7, 0
	v_add_co_ci_u32_e32 v16, vcc_lo, v75, v3, vcc_lo
	v_lshlrev_b64 v[4:5], 3, v[4:5]
	s_and_b32 vcc_lo, exec_lo, s0
	global_store_b64 v[15:16], v[13:14], off
	s_cbranch_vccnz .LBB200_69
; %bb.68:
	v_add_co_u32 v6, vcc_lo, v72, v4
	v_add_co_ci_u32_e32 v7, vcc_lo, v73, v5, vcc_lo
	flat_load_b64 v[6:7], v[6:7]
	s_waitcnt vmcnt(0) lgkmcnt(0)
	v_mul_f64 v[6:7], v[6:7], s[6:7]
.LBB200_69:
	scratch_load_b64 v[13:14], off, off offset:24
	s_waitcnt vmcnt(1)
	v_add_f64 v[10:11], v[10:11], v[6:7]
	v_add_nc_u32_e32 v6, 12, v12
	v_add_co_u32 v15, vcc_lo, v74, v4
	v_add_co_ci_u32_e32 v16, vcc_lo, v75, v5, vcc_lo
	s_delay_alu instid0(VALU_DEP_3) | instskip(SKIP_1) | instid1(VALU_DEP_1)
	v_ashrrev_i32_e32 v7, 31, v6
	s_and_b32 vcc_lo, exec_lo, s0
	v_lshlrev_b64 v[6:7], 3, v[6:7]
	global_store_b64 v[15:16], v[10:11], off
	s_cbranch_vccnz .LBB200_71
; %bb.70:
	v_add_co_u32 v8, vcc_lo, v72, v6
	v_add_co_ci_u32_e32 v9, vcc_lo, v73, v7, vcc_lo
	flat_load_b64 v[8:9], v[8:9]
	s_waitcnt vmcnt(0) lgkmcnt(0)
	v_mul_f64 v[8:9], v[8:9], s[6:7]
.LBB200_71:
	scratch_load_b64 v[10:11], off, off offset:32
	s_waitcnt vmcnt(1)
	v_add_f64 v[17:18], v[13:14], v[8:9]
	v_dual_mov_b32 v13, 0 :: v_dual_add_nc_u32 v8, 16, v12
	v_add_co_u32 v19, vcc_lo, v74, v6
	v_dual_mov_b32 v14, 0 :: v_dual_mov_b32 v15, 0
	s_delay_alu instid0(VALU_DEP_3) | instskip(SKIP_3) | instid1(VALU_DEP_3)
	v_ashrrev_i32_e32 v9, 31, v8
	v_add_co_ci_u32_e32 v20, vcc_lo, v75, v7, vcc_lo
	v_mov_b32_e32 v16, 0
	s_and_b32 vcc_lo, exec_lo, s0
	v_lshlrev_b64 v[8:9], 3, v[8:9]
	global_store_b64 v[19:20], v[17:18], off
	s_cbranch_vccnz .LBB200_73
; %bb.72:
	v_add_co_u32 v15, vcc_lo, v72, v8
	v_add_co_ci_u32_e32 v16, vcc_lo, v73, v9, vcc_lo
	flat_load_b64 v[15:16], v[15:16]
	s_waitcnt vmcnt(0) lgkmcnt(0)
	v_mul_f64 v[15:16], v[15:16], s[6:7]
.LBB200_73:
	scratch_load_b64 v[17:18], off, off offset:40
	s_waitcnt vmcnt(1)
	v_add_f64 v[15:16], v[10:11], v[15:16]
	v_add_nc_u32_e32 v10, 20, v12
	v_add_co_u32 v19, vcc_lo, v74, v8
	v_add_co_ci_u32_e32 v20, vcc_lo, v75, v9, vcc_lo
	s_delay_alu instid0(VALU_DEP_3) | instskip(SKIP_1) | instid1(VALU_DEP_1)
	v_ashrrev_i32_e32 v11, 31, v10
	s_and_b32 vcc_lo, exec_lo, s0
	v_lshlrev_b64 v[10:11], 3, v[10:11]
	global_store_b64 v[19:20], v[15:16], off
	s_cbranch_vccnz .LBB200_75
; %bb.74:
	v_add_co_u32 v13, vcc_lo, v72, v10
	v_add_co_ci_u32_e32 v14, vcc_lo, v73, v11, vcc_lo
	flat_load_b64 v[13:14], v[13:14]
	s_waitcnt vmcnt(0) lgkmcnt(0)
	v_mul_f64 v[13:14], v[13:14], s[6:7]
.LBB200_75:
	scratch_load_b64 v[15:16], off, off offset:48
	s_waitcnt vmcnt(1)
	v_add_f64 v[21:22], v[17:18], v[13:14]
	v_add_nc_u32_e32 v13, 24, v12
	v_mov_b32_e32 v17, 0
	v_mov_b32_e32 v18, 0
	v_add_co_u32 v23, vcc_lo, v74, v10
	s_delay_alu instid0(VALU_DEP_4) | instskip(SKIP_3) | instid1(VALU_DEP_4)
	v_ashrrev_i32_e32 v14, 31, v13
	v_mov_b32_e32 v19, 0
	v_mov_b32_e32 v20, 0
	v_add_co_ci_u32_e32 v24, vcc_lo, v75, v11, vcc_lo
	v_lshlrev_b64 v[13:14], 3, v[13:14]
	s_and_b32 vcc_lo, exec_lo, s0
	global_store_b64 v[23:24], v[21:22], off
	s_cbranch_vccnz .LBB200_77
; %bb.76:
	v_add_co_u32 v19, vcc_lo, v72, v13
	v_add_co_ci_u32_e32 v20, vcc_lo, v73, v14, vcc_lo
	flat_load_b64 v[19:20], v[19:20]
	s_waitcnt vmcnt(0) lgkmcnt(0)
	v_mul_f64 v[19:20], v[19:20], s[6:7]
.LBB200_77:
	scratch_load_b64 v[21:22], off, off offset:56
	s_waitcnt vmcnt(1)
	v_add_f64 v[19:20], v[15:16], v[19:20]
	v_add_nc_u32_e32 v15, 28, v12
	v_add_co_u32 v23, vcc_lo, v74, v13
	v_add_co_ci_u32_e32 v24, vcc_lo, v75, v14, vcc_lo
	s_delay_alu instid0(VALU_DEP_3) | instskip(SKIP_1) | instid1(VALU_DEP_1)
	v_ashrrev_i32_e32 v16, 31, v15
	s_and_b32 vcc_lo, exec_lo, s0
	v_lshlrev_b64 v[15:16], 3, v[15:16]
	global_store_b64 v[23:24], v[19:20], off
	s_cbranch_vccnz .LBB200_79
; %bb.78:
	v_add_co_u32 v17, vcc_lo, v72, v15
	v_add_co_ci_u32_e32 v18, vcc_lo, v73, v16, vcc_lo
	flat_load_b64 v[17:18], v[17:18]
	s_waitcnt vmcnt(0) lgkmcnt(0)
	v_mul_f64 v[17:18], v[17:18], s[6:7]
.LBB200_79:
	scratch_load_b64 v[19:20], off, off offset:64
	s_waitcnt vmcnt(1)
	v_add_f64 v[25:26], v[21:22], v[17:18]
	v_add_nc_u32_e32 v17, 32, v12
	v_mov_b32_e32 v21, 0
	v_mov_b32_e32 v22, 0
	v_add_co_u32 v27, vcc_lo, v74, v15
	s_delay_alu instid0(VALU_DEP_4) | instskip(SKIP_3) | instid1(VALU_DEP_4)
	v_ashrrev_i32_e32 v18, 31, v17
	v_mov_b32_e32 v23, 0
	v_mov_b32_e32 v24, 0
	v_add_co_ci_u32_e32 v28, vcc_lo, v75, v16, vcc_lo
	v_lshlrev_b64 v[17:18], 3, v[17:18]
	s_and_b32 vcc_lo, exec_lo, s0
	;; [unrolled: 42-line block ×13, first 2 shown]
	global_store_b64 v[76:77], v[67:68], off
	s_cbranch_vccnz .LBB200_125
; %bb.124:
	v_add_co_u32 v67, vcc_lo, v72, v61
	v_add_co_ci_u32_e32 v68, vcc_lo, v73, v62, vcc_lo
	flat_load_b64 v[67:68], v[67:68]
	s_waitcnt vmcnt(0) lgkmcnt(0)
	v_mul_f64 v[69:70], v[67:68], s[6:7]
.LBB200_125:
	scratch_load_b64 v[67:68], off, off offset:248
	s_waitcnt vmcnt(1)
	v_add_f64 v[69:70], v[63:64], v[69:70]
	v_add_nc_u32_e32 v63, 0x7c, v12
	v_add_co_u32 v76, vcc_lo, v74, v61
	v_add_co_ci_u32_e32 v77, vcc_lo, v75, v62, vcc_lo
	s_delay_alu instid0(VALU_DEP_3) | instskip(SKIP_1) | instid1(VALU_DEP_1)
	v_ashrrev_i32_e32 v64, 31, v63
	s_and_b32 vcc_lo, exec_lo, s0
	v_lshlrev_b64 v[63:64], 3, v[63:64]
	global_store_b64 v[76:77], v[69:70], off
	s_cbranch_vccnz .LBB200_127
; %bb.126:
	v_add_co_u32 v65, vcc_lo, v72, v63
	v_add_co_ci_u32_e32 v66, vcc_lo, v73, v64, vcc_lo
	flat_load_b64 v[65:66], v[65:66]
	s_waitcnt vmcnt(0) lgkmcnt(0)
	v_mul_f64 v[65:66], v[65:66], s[6:7]
.LBB200_127:
	scratch_load_b64 v[69:70], off, off offset:256
	s_waitcnt vmcnt(1)
	v_add_f64 v[67:68], v[67:68], v[65:66]
	v_add_nc_u32_e32 v76, 64, v71
	v_add_co_u32 v74, vcc_lo, v74, v63
	v_add_co_ci_u32_e32 v75, vcc_lo, v75, v64, vcc_lo
	s_delay_alu instid0(VALU_DEP_3) | instskip(SKIP_2) | instid1(VALU_DEP_3)
	v_mad_i64_i32 v[65:66], null, v76, s3, 0
	v_mov_b32_e32 v71, 0
	v_mov_b32_e32 v72, 0
	v_lshlrev_b64 v[77:78], 3, v[65:66]
	v_mov_b32_e32 v65, 0
	v_mov_b32_e32 v66, 0
	s_delay_alu instid0(VALU_DEP_3) | instskip(NEXT) | instid1(VALU_DEP_4)
	v_add_co_u32 v12, vcc_lo, s4, v77
	v_add_co_ci_u32_e32 v73, vcc_lo, s5, v78, vcc_lo
	s_mov_b32 vcc_lo, s2
	global_store_b64 v[74:75], v[67:68], off
	s_cbranch_vccz .LBB200_129
; %bb.128:
	v_add_co_u32 v67, vcc_lo, v12, v0
	v_add_co_ci_u32_e32 v68, vcc_lo, v73, v1, vcc_lo
	flat_load_b64 v[67:68], v[67:68]
	s_waitcnt vmcnt(0) lgkmcnt(0)
	v_mul_f64 v[71:72], v[67:68], s[6:7]
.LBB200_129:
	scratch_load_b64 v[67:68], off, off offset:264
	s_waitcnt vmcnt(1)
	v_add_f64 v[69:70], v[69:70], v[71:72]
	v_mad_i64_i32 v[71:72], null, v76, s1, 0
	s_delay_alu instid0(VALU_DEP_1) | instskip(NEXT) | instid1(VALU_DEP_1)
	v_lshlrev_b64 v[71:72], 3, v[71:72]
	v_add_co_u32 v71, vcc_lo, s8, v71
	s_delay_alu instid0(VALU_DEP_2) | instskip(NEXT) | instid1(VALU_DEP_2)
	v_add_co_ci_u32_e32 v72, vcc_lo, s9, v72, vcc_lo
	v_add_co_u32 v0, vcc_lo, v71, v0
	s_delay_alu instid0(VALU_DEP_2)
	v_add_co_ci_u32_e32 v1, vcc_lo, v72, v1, vcc_lo
	s_and_b32 vcc_lo, exec_lo, s0
	global_store_b64 v[0:1], v[69:70], off
	s_cbranch_vccnz .LBB200_131
; %bb.130:
	v_add_co_u32 v0, vcc_lo, v12, v2
	v_add_co_ci_u32_e32 v1, vcc_lo, v73, v3, vcc_lo
	flat_load_b64 v[0:1], v[0:1]
	s_waitcnt vmcnt(0) lgkmcnt(0)
	v_mul_f64 v[65:66], v[0:1], s[6:7]
.LBB200_131:
	scratch_load_b64 v[69:70], off, off offset:272
	s_waitcnt vmcnt(1)
	v_add_f64 v[65:66], v[67:68], v[65:66]
	v_add_co_u32 v67, vcc_lo, v71, v2
	v_mov_b32_e32 v0, 0
	v_add_co_ci_u32_e32 v68, vcc_lo, v72, v3, vcc_lo
	v_dual_mov_b32 v1, 0 :: v_dual_mov_b32 v2, 0
	v_mov_b32_e32 v3, 0
	s_and_b32 vcc_lo, exec_lo, s0
	global_store_b64 v[67:68], v[65:66], off
	s_cbranch_vccnz .LBB200_133
; %bb.132:
	v_add_co_u32 v2, vcc_lo, v12, v4
	v_add_co_ci_u32_e32 v3, vcc_lo, v73, v5, vcc_lo
	flat_load_b64 v[2:3], v[2:3]
	s_waitcnt vmcnt(0) lgkmcnt(0)
	v_mul_f64 v[2:3], v[2:3], s[6:7]
.LBB200_133:
	scratch_load_b64 v[65:66], off, off offset:280
	s_waitcnt vmcnt(1)
	v_add_f64 v[2:3], v[69:70], v[2:3]
	v_add_co_u32 v4, vcc_lo, v71, v4
	v_add_co_ci_u32_e32 v5, vcc_lo, v72, v5, vcc_lo
	s_and_b32 vcc_lo, exec_lo, s0
	global_store_b64 v[4:5], v[2:3], off
	s_cbranch_vccnz .LBB200_135
; %bb.134:
	v_add_co_u32 v0, vcc_lo, v12, v6
	v_add_co_ci_u32_e32 v1, vcc_lo, v73, v7, vcc_lo
	flat_load_b64 v[0:1], v[0:1]
	s_waitcnt vmcnt(0) lgkmcnt(0)
	v_mul_f64 v[0:1], v[0:1], s[6:7]
.LBB200_135:
	scratch_load_b64 v[2:3], off, off offset:288
	s_waitcnt vmcnt(1)
	v_add_f64 v[4:5], v[65:66], v[0:1]
	v_add_co_u32 v65, vcc_lo, v71, v6
	v_mov_b32_e32 v0, 0
	v_add_co_ci_u32_e32 v66, vcc_lo, v72, v7, vcc_lo
	v_dual_mov_b32 v1, 0 :: v_dual_mov_b32 v6, 0
	v_mov_b32_e32 v7, 0
	s_and_b32 vcc_lo, exec_lo, s0
	global_store_b64 v[65:66], v[4:5], off
	s_cbranch_vccnz .LBB200_137
; %bb.136:
	v_add_co_u32 v4, vcc_lo, v12, v8
	v_add_co_ci_u32_e32 v5, vcc_lo, v73, v9, vcc_lo
	flat_load_b64 v[4:5], v[4:5]
	s_waitcnt vmcnt(0) lgkmcnt(0)
	v_mul_f64 v[6:7], v[4:5], s[6:7]
.LBB200_137:
	scratch_load_b64 v[4:5], off, off offset:296
	s_waitcnt vmcnt(1)
	v_add_f64 v[2:3], v[2:3], v[6:7]
	v_add_co_u32 v6, vcc_lo, v71, v8
	v_add_co_ci_u32_e32 v7, vcc_lo, v72, v9, vcc_lo
	s_and_b32 vcc_lo, exec_lo, s0
	global_store_b64 v[6:7], v[2:3], off
	s_cbranch_vccnz .LBB200_139
; %bb.138:
	v_add_co_u32 v0, vcc_lo, v12, v10
	v_add_co_ci_u32_e32 v1, vcc_lo, v73, v11, vcc_lo
	flat_load_b64 v[0:1], v[0:1]
	s_waitcnt vmcnt(0) lgkmcnt(0)
	v_mul_f64 v[0:1], v[0:1], s[6:7]
.LBB200_139:
	scratch_load_b64 v[2:3], off, off offset:304
	s_waitcnt vmcnt(1)
	v_add_f64 v[4:5], v[4:5], v[0:1]
	v_add_co_u32 v8, vcc_lo, v71, v10
	v_mov_b32_e32 v0, 0
	v_dual_mov_b32 v1, 0 :: v_dual_mov_b32 v6, 0
	v_add_co_ci_u32_e32 v9, vcc_lo, v72, v11, vcc_lo
	v_mov_b32_e32 v7, 0
	s_and_b32 vcc_lo, exec_lo, s0
	global_store_b64 v[8:9], v[4:5], off
	s_cbranch_vccnz .LBB200_141
; %bb.140:
	v_add_co_u32 v4, vcc_lo, v12, v13
	v_add_co_ci_u32_e32 v5, vcc_lo, v73, v14, vcc_lo
	flat_load_b64 v[4:5], v[4:5]
	s_waitcnt vmcnt(0) lgkmcnt(0)
	v_mul_f64 v[6:7], v[4:5], s[6:7]
.LBB200_141:
	scratch_load_b64 v[4:5], off, off offset:312
	s_waitcnt vmcnt(1)
	v_add_f64 v[2:3], v[2:3], v[6:7]
	v_add_co_u32 v6, vcc_lo, v71, v13
	v_add_co_ci_u32_e32 v7, vcc_lo, v72, v14, vcc_lo
	s_and_b32 vcc_lo, exec_lo, s0
	global_store_b64 v[6:7], v[2:3], off
	s_cbranch_vccnz .LBB200_143
; %bb.142:
	v_add_co_u32 v0, vcc_lo, v12, v15
	v_add_co_ci_u32_e32 v1, vcc_lo, v73, v16, vcc_lo
	flat_load_b64 v[0:1], v[0:1]
	s_waitcnt vmcnt(0) lgkmcnt(0)
	v_mul_f64 v[0:1], v[0:1], s[6:7]
.LBB200_143:
	scratch_load_b64 v[2:3], off, off offset:320
	s_waitcnt vmcnt(1)
	v_add_f64 v[4:5], v[4:5], v[0:1]
	v_add_co_u32 v8, vcc_lo, v71, v15
	v_mov_b32_e32 v0, 0
	v_dual_mov_b32 v1, 0 :: v_dual_mov_b32 v6, 0
	v_add_co_ci_u32_e32 v9, vcc_lo, v72, v16, vcc_lo
	;; [unrolled: 33-line block ×13, first 2 shown]
	v_mov_b32_e32 v7, 0
	s_and_b32 vcc_lo, exec_lo, s0
	global_store_b64 v[8:9], v[4:5], off
	s_cbranch_vccnz .LBB200_189
; %bb.188:
	v_add_co_u32 v4, vcc_lo, v12, v61
	v_add_co_ci_u32_e32 v5, vcc_lo, v73, v62, vcc_lo
	flat_load_b64 v[4:5], v[4:5]
	s_waitcnt vmcnt(0) lgkmcnt(0)
	v_mul_f64 v[6:7], v[4:5], s[6:7]
.LBB200_189:
	scratch_load_b64 v[4:5], off, off offset:504
	s_waitcnt vmcnt(1)
	v_add_f64 v[2:3], v[2:3], v[6:7]
	v_add_co_u32 v6, vcc_lo, v71, v61
	v_add_co_ci_u32_e32 v7, vcc_lo, v72, v62, vcc_lo
	s_and_b32 vcc_lo, exec_lo, s0
	global_store_b64 v[6:7], v[2:3], off
	s_cbranch_vccnz .LBB200_191
; %bb.190:
	v_add_co_u32 v0, vcc_lo, v12, v63
	v_add_co_ci_u32_e32 v1, vcc_lo, v73, v64, vcc_lo
	flat_load_b64 v[0:1], v[0:1]
	s_waitcnt vmcnt(0) lgkmcnt(0)
	v_mul_f64 v[0:1], v[0:1], s[6:7]
.LBB200_191:
	s_waitcnt vmcnt(0)
	s_delay_alu instid0(VALU_DEP_1)
	v_add_f64 v[0:1], v[4:5], v[0:1]
	v_add_co_u32 v2, vcc_lo, v71, v63
	v_add_co_ci_u32_e32 v3, vcc_lo, v72, v64, vcc_lo
	global_store_b64 v[2:3], v[0:1], off
	s_endpgm
	.section	.rodata,"a",@progbits
	.p2align	6, 0x0
	.amdhsa_kernel _ZN12_GLOBAL__N_120geam_min_plus_kernelIdddLi4ELi64ELi128ELi128ELi4ELi4ELi64ELi64ELi4ELc84ELc84ELb0ELb0ELb0EdKddEEviiiT16_PT17_ilS4_ilS2_S4_ilPT18_ili26rocblas_geam_ex_operation_
		.amdhsa_group_segment_fixed_size 16384
		.amdhsa_private_segment_fixed_size 528
		.amdhsa_kernarg_size 136
		.amdhsa_user_sgpr_count 14
		.amdhsa_user_sgpr_dispatch_ptr 0
		.amdhsa_user_sgpr_queue_ptr 0
		.amdhsa_user_sgpr_kernarg_segment_ptr 1
		.amdhsa_user_sgpr_dispatch_id 0
		.amdhsa_user_sgpr_private_segment_size 0
		.amdhsa_wavefront_size32 1
		.amdhsa_uses_dynamic_stack 0
		.amdhsa_enable_private_segment 1
		.amdhsa_system_sgpr_workgroup_id_x 1
		.amdhsa_system_sgpr_workgroup_id_y 0
		.amdhsa_system_sgpr_workgroup_id_z 1
		.amdhsa_system_sgpr_workgroup_info 0
		.amdhsa_system_vgpr_workitem_id 1
		.amdhsa_next_free_vgpr 253
		.amdhsa_next_free_sgpr 27
		.amdhsa_reserve_vcc 1
		.amdhsa_float_round_mode_32 0
		.amdhsa_float_round_mode_16_64 0
		.amdhsa_float_denorm_mode_32 3
		.amdhsa_float_denorm_mode_16_64 3
		.amdhsa_dx10_clamp 1
		.amdhsa_ieee_mode 1
		.amdhsa_fp16_overflow 0
		.amdhsa_workgroup_processor_mode 1
		.amdhsa_memory_ordered 1
		.amdhsa_forward_progress 0
		.amdhsa_shared_vgpr_count 0
		.amdhsa_exception_fp_ieee_invalid_op 0
		.amdhsa_exception_fp_denorm_src 0
		.amdhsa_exception_fp_ieee_div_zero 0
		.amdhsa_exception_fp_ieee_overflow 0
		.amdhsa_exception_fp_ieee_underflow 0
		.amdhsa_exception_fp_ieee_inexact 0
		.amdhsa_exception_int_div_zero 0
	.end_amdhsa_kernel
	.section	.text._ZN12_GLOBAL__N_120geam_min_plus_kernelIdddLi4ELi64ELi128ELi128ELi4ELi4ELi64ELi64ELi4ELc84ELc84ELb0ELb0ELb0EdKddEEviiiT16_PT17_ilS4_ilS2_S4_ilPT18_ili26rocblas_geam_ex_operation_,"axG",@progbits,_ZN12_GLOBAL__N_120geam_min_plus_kernelIdddLi4ELi64ELi128ELi128ELi4ELi4ELi64ELi64ELi4ELc84ELc84ELb0ELb0ELb0EdKddEEviiiT16_PT17_ilS4_ilS2_S4_ilPT18_ili26rocblas_geam_ex_operation_,comdat
.Lfunc_end200:
	.size	_ZN12_GLOBAL__N_120geam_min_plus_kernelIdddLi4ELi64ELi128ELi128ELi4ELi4ELi64ELi64ELi4ELc84ELc84ELb0ELb0ELb0EdKddEEviiiT16_PT17_ilS4_ilS2_S4_ilPT18_ili26rocblas_geam_ex_operation_, .Lfunc_end200-_ZN12_GLOBAL__N_120geam_min_plus_kernelIdddLi4ELi64ELi128ELi128ELi4ELi4ELi64ELi64ELi4ELc84ELc84ELb0ELb0ELb0EdKddEEviiiT16_PT17_ilS4_ilS2_S4_ilPT18_ili26rocblas_geam_ex_operation_
                                        ; -- End function
	.section	.AMDGPU.csdata,"",@progbits
; Kernel info:
; codeLenInByte = 43604
; NumSgprs: 29
; NumVgprs: 253
; ScratchSize: 528
; MemoryBound: 1
; FloatMode: 240
; IeeeMode: 1
; LDSByteSize: 16384 bytes/workgroup (compile time only)
; SGPRBlocks: 3
; VGPRBlocks: 31
; NumSGPRsForWavesPerEU: 29
; NumVGPRsForWavesPerEU: 253
; Occupancy: 5
; WaveLimiterHint : 1
; COMPUTE_PGM_RSRC2:SCRATCH_EN: 1
; COMPUTE_PGM_RSRC2:USER_SGPR: 14
; COMPUTE_PGM_RSRC2:TRAP_HANDLER: 0
; COMPUTE_PGM_RSRC2:TGID_X_EN: 1
; COMPUTE_PGM_RSRC2:TGID_Y_EN: 0
; COMPUTE_PGM_RSRC2:TGID_Z_EN: 1
; COMPUTE_PGM_RSRC2:TIDIG_COMP_CNT: 1
	.section	.text._ZN12_GLOBAL__N_120geam_min_plus_kernelIdddLi4ELi64ELi128ELi128ELi4ELi4ELi64ELi64ELi4ELc84ELc84ELb0ELb1ELb0EPKdS1_dEEviiiT16_PT17_ilS5_ilS3_S5_ilPT18_ili26rocblas_geam_ex_operation_,"axG",@progbits,_ZN12_GLOBAL__N_120geam_min_plus_kernelIdddLi4ELi64ELi128ELi128ELi4ELi4ELi64ELi64ELi4ELc84ELc84ELb0ELb1ELb0EPKdS1_dEEviiiT16_PT17_ilS5_ilS3_S5_ilPT18_ili26rocblas_geam_ex_operation_,comdat
	.globl	_ZN12_GLOBAL__N_120geam_min_plus_kernelIdddLi4ELi64ELi128ELi128ELi4ELi4ELi64ELi64ELi4ELc84ELc84ELb0ELb1ELb0EPKdS1_dEEviiiT16_PT17_ilS5_ilS3_S5_ilPT18_ili26rocblas_geam_ex_operation_ ; -- Begin function _ZN12_GLOBAL__N_120geam_min_plus_kernelIdddLi4ELi64ELi128ELi128ELi4ELi4ELi64ELi64ELi4ELc84ELc84ELb0ELb1ELb0EPKdS1_dEEviiiT16_PT17_ilS5_ilS3_S5_ilPT18_ili26rocblas_geam_ex_operation_
	.p2align	8
	.type	_ZN12_GLOBAL__N_120geam_min_plus_kernelIdddLi4ELi64ELi128ELi128ELi4ELi4ELi64ELi64ELi4ELc84ELc84ELb0ELb1ELb0EPKdS1_dEEviiiT16_PT17_ilS5_ilS3_S5_ilPT18_ili26rocblas_geam_ex_operation_,@function
_ZN12_GLOBAL__N_120geam_min_plus_kernelIdddLi4ELi64ELi128ELi128ELi4ELi4ELi64ELi64ELi4ELc84ELc84ELb0ELb1ELb0EPKdS1_dEEviiiT16_PT17_ilS5_ilS3_S5_ilPT18_ili26rocblas_geam_ex_operation_: ; @_ZN12_GLOBAL__N_120geam_min_plus_kernelIdddLi4ELi64ELi128ELi128ELi4ELi4ELi64ELi64ELi4ELc84ELc84ELb0ELb1ELb0EPKdS1_dEEviiiT16_PT17_ilS5_ilS3_S5_ilPT18_ili26rocblas_geam_ex_operation_
; %bb.0:
	s_clause 0x1
	s_load_b128 s[8:11], s[0:1], 0x10
	s_load_b128 s[4:7], s[0:1], 0x28
	s_mov_b32 s12, s15
	s_mov_b32 s13, 0
	s_delay_alu instid0(SALU_CYCLE_1)
	s_lshl_b64 s[22:23], s[12:13], 3
	s_waitcnt lgkmcnt(0)
	s_add_u32 s2, s8, s22
	s_addc_u32 s3, s9, s23
	s_load_b64 s[20:21], s[2:3], 0x0
	s_clause 0x1
	s_load_b128 s[16:19], s[0:1], 0x40
	s_load_b64 s[2:3], s[0:1], 0x50
	s_waitcnt lgkmcnt(0)
	s_add_u32 s8, s18, s22
	v_cmp_eq_f64_e64 s15, s[20:21], 0
	v_cmp_neq_f64_e64 s13, s[20:21], 0
	s_addc_u32 s9, s19, s23
	s_mov_b64 s[18:19], 0
	s_mov_b64 s[22:23], 0
	s_delay_alu instid0(VALU_DEP_2)
	s_and_b32 vcc_lo, exec_lo, s15
	s_cbranch_vccnz .LBB201_2
; %bb.1:
	s_mul_i32 s5, s12, s5
	s_mul_hi_u32 s15, s12, s4
	s_mul_i32 s4, s12, s4
	s_add_i32 s5, s15, s5
	s_delay_alu instid0(SALU_CYCLE_1) | instskip(NEXT) | instid1(SALU_CYCLE_1)
	s_lshl_b64 s[4:5], s[4:5], 3
	s_add_u32 s22, s10, s4
	s_addc_u32 s23, s11, s5
.LBB201_2:
	s_load_b64 s[34:35], s[8:9], 0x0
	s_delay_alu instid0(VALU_DEP_1)
	s_and_not1_b32 vcc_lo, exec_lo, s13
	s_cbranch_vccnz .LBB201_4
; %bb.3:
	s_mul_i32 s4, s12, s17
	s_mul_hi_u32 s5, s12, s16
	s_delay_alu instid0(SALU_CYCLE_1) | instskip(SKIP_1) | instid1(SALU_CYCLE_1)
	s_add_i32 s5, s5, s4
	s_mul_i32 s4, s12, s16
	s_lshl_b64 s[4:5], s[4:5], 3
	s_delay_alu instid0(SALU_CYCLE_1)
	s_add_u32 s18, s6, s4
	s_addc_u32 s19, s7, s5
.LBB201_4:
	s_waitcnt lgkmcnt(0)
	v_cmp_eq_f64_e64 s4, s[34:35], 0
	v_cmp_neq_f64_e64 s42, s[34:35], 0
	s_load_b128 s[8:11], s[0:1], 0x60
	s_mov_b64 s[40:41], 0
	s_delay_alu instid0(VALU_DEP_2)
	s_and_b32 vcc_lo, exec_lo, s4
	s_cbranch_vccnz .LBB201_6
; %bb.5:
	s_waitcnt lgkmcnt(0)
	s_mul_i32 s4, s12, s9
	s_mul_hi_u32 s5, s12, s8
	s_delay_alu instid0(SALU_CYCLE_1) | instskip(SKIP_1) | instid1(SALU_CYCLE_1)
	s_add_i32 s5, s5, s4
	s_mul_i32 s4, s12, s8
	s_lshl_b64 s[4:5], s[4:5], 3
	s_delay_alu instid0(SALU_CYCLE_1)
	s_add_u32 s40, s2, s4
	s_addc_u32 s41, s3, s5
.LBB201_6:
	s_clause 0x1
	s_load_b128 s[36:39], s[0:1], 0x0
	s_load_b32 s17, s[0:1], 0x20
	s_mov_b32 s2, 0
	v_bfe_u32 v83, v0, 10, 10
	s_mov_b32 s3, s2
	s_delay_alu instid0(SALU_CYCLE_1) | instskip(SKIP_2) | instid1(VALU_DEP_3)
	v_dual_mov_b32 v5, s3 :: v_dual_and_b32 v82, 0x3ff, v0
	v_mov_b32_e32 v4, s2
	v_cmp_eq_f64_e64 s13, s[20:21], 0
	v_and_b32_e32 v84, 3, v82
	v_lshl_add_u32 v6, v83, 2, v82
	s_delay_alu instid0(VALU_DEP_1) | instskip(SKIP_2) | instid1(SALU_CYCLE_1)
	v_lshrrev_b32_e32 v8, 2, v6
	s_waitcnt lgkmcnt(0)
	s_add_i32 s2, s36, -1
	s_ashr_i32 s3, s2, 31
	s_delay_alu instid0(SALU_CYCLE_1) | instskip(NEXT) | instid1(SALU_CYCLE_1)
	s_lshr_b32 s3, s3, 25
	s_add_i32 s2, s2, s3
	s_delay_alu instid0(SALU_CYCLE_1) | instskip(NEXT) | instid1(SALU_CYCLE_1)
	s_ashr_i32 s2, s2, 7
	s_add_i32 s3, s2, 1
	s_not_b32 s2, s2
	v_cvt_f32_u32_e32 v0, s3
	s_delay_alu instid0(VALU_DEP_1) | instskip(SKIP_2) | instid1(VALU_DEP_1)
	v_rcp_iflag_f32_e32 v0, v0
	s_waitcnt_depctr 0xfff
	v_mul_f32_e32 v0, 0x4f7ffffe, v0
	v_cvt_u32_f32_e32 v0, v0
	s_delay_alu instid0(VALU_DEP_1) | instskip(NEXT) | instid1(VALU_DEP_1)
	v_readfirstlane_b32 s4, v0
	s_mul_i32 s2, s2, s4
	s_delay_alu instid0(SALU_CYCLE_1) | instskip(NEXT) | instid1(SALU_CYCLE_1)
	s_mul_hi_u32 s2, s4, s2
	s_add_i32 s4, s4, s2
	s_delay_alu instid0(SALU_CYCLE_1) | instskip(NEXT) | instid1(SALU_CYCLE_1)
	s_mul_hi_u32 s2, s14, s4
	s_mul_i32 s4, s2, s3
	s_add_i32 s5, s2, 1
	s_sub_i32 s4, s14, s4
	s_delay_alu instid0(SALU_CYCLE_1)
	s_sub_i32 s6, s4, s3
	s_cmp_ge_u32 s4, s3
	s_cselect_b32 s2, s5, s2
	s_cselect_b32 s4, s6, s4
	s_add_i32 s5, s2, 1
	s_cmp_ge_u32 s4, s3
	s_cselect_b32 s4, s5, s2
	s_delay_alu instid0(SALU_CYCLE_1) | instskip(NEXT) | instid1(SALU_CYCLE_1)
	s_mul_i32 s2, s4, s3
	s_sub_i32 s2, s14, s2
	s_add_i32 s14, s38, -1
	s_lshl_b32 s8, s2, 7
	v_min_i32_e32 v0, s14, v84
	v_add_nc_u32_e32 v78, s8, v8
	s_delay_alu instid0(VALU_DEP_2) | instskip(NEXT) | instid1(VALU_DEP_2)
	v_ashrrev_i32_e32 v1, 31, v0
	v_cmp_le_i32_e64 s2, s36, v78
	s_delay_alu instid0(VALU_DEP_2)
	v_lshlrev_b64 v[2:3], 3, v[0:1]
	v_mov_b32_e32 v0, 0
	v_mov_b32_e32 v1, 0
	s_clause 0xd
	scratch_store_b64 off, v[4:5], off
	scratch_store_b64 off, v[4:5], off offset:8
	scratch_store_b64 off, v[4:5], off offset:16
	;; [unrolled: 1-line block ×13, first 2 shown]
	v_add_co_u32 v7, s3, s22, v2
	s_delay_alu instid0(VALU_DEP_1)
	v_add_co_ci_u32_e64 v9, s3, s23, v3, s3
	v_mov_b32_e32 v3, v1
	v_cmp_le_i32_e32 vcc_lo, s38, v84
	v_mov_b32_e32 v2, v0
	s_clause 0x5
	scratch_store_b64 off, v[4:5], off offset:112
	scratch_store_b64 off, v[4:5], off offset:120
	;; [unrolled: 1-line block ×6, first 2 shown]
	s_or_b32 s3, vcc_lo, s2
	s_clause 0x8
	scratch_store_b64 off, v[4:5], off offset:160
	scratch_store_b64 off, v[4:5], off offset:168
	;; [unrolled: 1-line block ×9, first 2 shown]
	s_or_b32 s3, s13, s3
	s_clause 0x3
	scratch_store_b64 off, v[4:5], off offset:232
	scratch_store_b64 off, v[4:5], off offset:240
	scratch_store_b64 off, v[4:5], off offset:248
	scratch_store_b64 off, v[4:5], off offset:256
	s_xor_b32 s3, s3, -1
	s_clause 0x1e
	scratch_store_b64 off, v[4:5], off offset:264
	scratch_store_b64 off, v[4:5], off offset:272
	;; [unrolled: 1-line block ×31, first 2 shown]
	s_and_saveexec_b32 s5, s3
	s_cbranch_execz .LBB201_8
; %bb.7:
	v_mad_i64_i32 v[2:3], null, v78, s17, 0
	s_delay_alu instid0(VALU_DEP_1) | instskip(NEXT) | instid1(VALU_DEP_1)
	v_lshlrev_b64 v[2:3], 3, v[2:3]
	v_add_co_u32 v2, s3, v7, v2
	s_delay_alu instid0(VALU_DEP_1)
	v_add_co_ci_u32_e64 v3, s3, v9, v3, s3
	flat_load_b64 v[2:3], v[2:3]
	s_waitcnt vmcnt(0) lgkmcnt(0)
	v_mul_f64 v[2:3], s[20:21], v[2:3]
.LBB201_8:
	s_or_b32 exec_lo, exec_lo, s5
	v_add_nc_u32_e32 v79, 64, v78
	v_dual_mov_b32 v5, v1 :: v_dual_mov_b32 v4, v0
	s_delay_alu instid0(VALU_DEP_2) | instskip(NEXT) | instid1(VALU_DEP_1)
	v_cmp_le_i32_e64 s3, s36, v79
	s_or_b32 s5, vcc_lo, s3
	s_delay_alu instid0(SALU_CYCLE_1) | instskip(NEXT) | instid1(SALU_CYCLE_1)
	s_or_b32 s5, s13, s5
	s_xor_b32 s6, s5, -1
	s_delay_alu instid0(SALU_CYCLE_1)
	s_and_saveexec_b32 s5, s6
	s_cbranch_execz .LBB201_10
; %bb.9:
	v_mad_i64_i32 v[4:5], null, v79, s17, 0
	s_delay_alu instid0(VALU_DEP_1) | instskip(NEXT) | instid1(VALU_DEP_1)
	v_lshlrev_b64 v[4:5], 3, v[4:5]
	v_add_co_u32 v4, vcc_lo, v7, v4
	s_delay_alu instid0(VALU_DEP_2)
	v_add_co_ci_u32_e32 v5, vcc_lo, v9, v5, vcc_lo
	flat_load_b64 v[4:5], v[4:5]
	s_waitcnt vmcnt(0) lgkmcnt(0)
	v_mul_f64 v[4:5], s[20:21], v[4:5]
.LBB201_10:
	s_or_b32 exec_lo, exec_lo, s5
	s_load_b32 s15, s[0:1], 0x38
	v_lshrrev_b32_e32 v85, 6, v6
	v_and_b32_e32 v9, 63, v6
	s_lshl_b32 s9, s4, 7
	s_delay_alu instid0(VALU_DEP_2) | instskip(NEXT) | instid1(VALU_DEP_2)
	v_min_i32_e32 v10, s14, v85
	v_or_b32_e32 v72, s9, v9
	v_cmp_le_i32_e32 vcc_lo, s38, v85
	s_delay_alu instid0(VALU_DEP_2) | instskip(SKIP_1) | instid1(VALU_DEP_2)
	v_cmp_le_i32_e64 s4, s37, v72
	v_ashrrev_i32_e32 v73, 31, v72
	s_or_b32 s6, s4, vcc_lo
	s_waitcnt lgkmcnt(0)
	v_mad_i64_i32 v[6:7], null, s15, v10, 0
	s_delay_alu instid0(VALU_DEP_1) | instskip(NEXT) | instid1(VALU_DEP_1)
	v_lshlrev_b64 v[6:7], 3, v[6:7]
	v_add_co_u32 v10, s5, s18, v6
	s_delay_alu instid0(VALU_DEP_1) | instskip(SKIP_1) | instid1(SALU_CYCLE_1)
	v_add_co_ci_u32_e64 v11, s5, s19, v7, s5
	s_or_b32 s5, s13, s6
	s_xor_b32 s5, s5, -1
	s_delay_alu instid0(SALU_CYCLE_1)
	s_and_saveexec_b32 s6, s5
	s_cbranch_execz .LBB201_12
; %bb.11:
	v_lshlrev_b64 v[0:1], 3, v[72:73]
	s_delay_alu instid0(VALU_DEP_1) | instskip(NEXT) | instid1(VALU_DEP_1)
	v_add_co_u32 v0, s5, v10, v0
	v_add_co_ci_u32_e64 v1, s5, v11, v1, s5
	flat_load_b64 v[0:1], v[0:1]
	s_waitcnt vmcnt(0) lgkmcnt(0)
	v_mul_f64 v[0:1], s[20:21], v[0:1]
.LBB201_12:
	s_or_b32 exec_lo, exec_lo, s6
	v_or_b32_e32 v6, 64, v72
	v_mov_b32_e32 v68, 0
	v_mov_b32_e32 v69, 0
	s_delay_alu instid0(VALU_DEP_3) | instskip(NEXT) | instid1(VALU_DEP_2)
	v_cmp_le_i32_e64 s5, s37, v6
	v_dual_mov_b32 v6, v68 :: v_dual_mov_b32 v7, v69
	s_delay_alu instid0(VALU_DEP_2) | instskip(NEXT) | instid1(SALU_CYCLE_1)
	s_or_b32 s6, s5, vcc_lo
	s_or_b32 s6, s13, s6
	s_delay_alu instid0(SALU_CYCLE_1) | instskip(NEXT) | instid1(SALU_CYCLE_1)
	s_xor_b32 s7, s6, -1
	s_and_saveexec_b32 s6, s7
	s_cbranch_execz .LBB201_14
; %bb.13:
	v_lshlrev_b64 v[6:7], 3, v[72:73]
	s_delay_alu instid0(VALU_DEP_1) | instskip(NEXT) | instid1(VALU_DEP_2)
	v_add_co_u32 v6, vcc_lo, v10, v6
	v_add_co_ci_u32_e32 v7, vcc_lo, v11, v7, vcc_lo
	flat_load_b64 v[6:7], v[6:7] offset:512
	s_waitcnt vmcnt(0) lgkmcnt(0)
	v_mul_f64 v[6:7], s[20:21], v[6:7]
.LBB201_14:
	s_or_b32 exec_lo, exec_lo, s6
	v_or_b32_e32 v12, 4, v84
	s_delay_alu instid0(VALU_DEP_1) | instskip(SKIP_1) | instid1(VALU_DEP_2)
	v_min_i32_e32 v10, s14, v12
	v_cmp_le_i32_e32 vcc_lo, s38, v12
	v_ashrrev_i32_e32 v11, 31, v10
	s_or_b32 s7, vcc_lo, s2
	s_delay_alu instid0(VALU_DEP_1) | instskip(NEXT) | instid1(VALU_DEP_1)
	v_lshlrev_b64 v[10:11], 3, v[10:11]
	v_add_co_u32 v10, s6, s22, v10
	s_delay_alu instid0(VALU_DEP_1) | instskip(SKIP_1) | instid1(SALU_CYCLE_1)
	v_add_co_ci_u32_e64 v11, s6, s23, v11, s6
	s_or_b32 s6, s13, s7
	s_xor_b32 s6, s6, -1
	s_delay_alu instid0(SALU_CYCLE_1)
	s_and_saveexec_b32 s7, s6
	s_cbranch_execz .LBB201_16
; %bb.15:
	v_mad_i64_i32 v[12:13], null, v78, s17, 0
	s_delay_alu instid0(VALU_DEP_1) | instskip(NEXT) | instid1(VALU_DEP_1)
	v_lshlrev_b64 v[12:13], 3, v[12:13]
	v_add_co_u32 v12, s6, v10, v12
	s_delay_alu instid0(VALU_DEP_1)
	v_add_co_ci_u32_e64 v13, s6, v11, v13, s6
	flat_load_b64 v[12:13], v[12:13]
	s_waitcnt vmcnt(0) lgkmcnt(0)
	v_mul_f64 v[68:69], s[20:21], v[12:13]
.LBB201_16:
	s_or_b32 exec_lo, exec_lo, s7
	v_mov_b32_e32 v70, 0
	v_mov_b32_e32 v71, 0
	s_or_b32 s6, vcc_lo, s3
	s_delay_alu instid0(SALU_CYCLE_1) | instskip(NEXT) | instid1(SALU_CYCLE_1)
	s_or_b32 s6, s13, s6
	s_xor_b32 s7, s6, -1
	s_delay_alu instid0(VALU_DEP_1)
	v_dual_mov_b32 v75, v71 :: v_dual_mov_b32 v74, v70
	s_and_saveexec_b32 s6, s7
	s_cbranch_execz .LBB201_18
; %bb.17:
	v_mad_i64_i32 v[12:13], null, v79, s17, 0
	s_delay_alu instid0(VALU_DEP_1) | instskip(NEXT) | instid1(VALU_DEP_1)
	v_lshlrev_b64 v[12:13], 3, v[12:13]
	v_add_co_u32 v10, vcc_lo, v10, v12
	s_delay_alu instid0(VALU_DEP_2)
	v_add_co_ci_u32_e32 v11, vcc_lo, v11, v13, vcc_lo
	flat_load_b64 v[10:11], v[10:11]
	s_waitcnt vmcnt(0) lgkmcnt(0)
	v_mul_f64 v[74:75], s[20:21], v[10:11]
.LBB201_18:
	s_or_b32 exec_lo, exec_lo, s6
	v_add_nc_u32_e32 v12, 4, v85
	s_delay_alu instid0(VALU_DEP_1) | instskip(SKIP_1) | instid1(VALU_DEP_2)
	v_min_i32_e32 v13, s14, v12
	v_cmp_le_i32_e32 vcc_lo, s38, v12
	v_mad_i64_i32 v[10:11], null, s15, v13, 0
	s_or_b32 s7, s4, vcc_lo
	s_delay_alu instid0(VALU_DEP_1) | instskip(NEXT) | instid1(VALU_DEP_1)
	v_lshlrev_b64 v[10:11], 3, v[10:11]
	v_add_co_u32 v10, s6, s18, v10
	s_delay_alu instid0(VALU_DEP_1) | instskip(SKIP_1) | instid1(SALU_CYCLE_1)
	v_add_co_ci_u32_e64 v11, s6, s19, v11, s6
	s_or_b32 s6, s13, s7
	s_xor_b32 s6, s6, -1
	s_delay_alu instid0(SALU_CYCLE_1)
	s_and_saveexec_b32 s7, s6
	s_cbranch_execz .LBB201_20
; %bb.19:
	v_lshlrev_b64 v[12:13], 3, v[72:73]
	s_delay_alu instid0(VALU_DEP_1) | instskip(NEXT) | instid1(VALU_DEP_1)
	v_add_co_u32 v12, s6, v10, v12
	v_add_co_ci_u32_e64 v13, s6, v11, v13, s6
	flat_load_b64 v[12:13], v[12:13]
	s_waitcnt vmcnt(0) lgkmcnt(0)
	v_mul_f64 v[70:71], s[20:21], v[12:13]
.LBB201_20:
	s_or_b32 exec_lo, exec_lo, s7
	s_or_b32 s6, s5, vcc_lo
	v_mov_b32_e32 v76, 0
	v_mov_b32_e32 v77, 0
	s_or_b32 s6, s13, s6
	s_delay_alu instid0(SALU_CYCLE_1) | instskip(NEXT) | instid1(SALU_CYCLE_1)
	s_xor_b32 s7, s6, -1
	s_and_saveexec_b32 s6, s7
	s_cbranch_execz .LBB201_22
; %bb.21:
	v_lshlrev_b64 v[12:13], 3, v[72:73]
	s_delay_alu instid0(VALU_DEP_1) | instskip(NEXT) | instid1(VALU_DEP_2)
	v_add_co_u32 v10, vcc_lo, v10, v12
	v_add_co_ci_u32_e32 v11, vcc_lo, v11, v13, vcc_lo
	flat_load_b64 v[10:11], v[10:11] offset:512
	s_waitcnt vmcnt(0) lgkmcnt(0)
	v_mul_f64 v[76:77], s[20:21], v[10:11]
.LBB201_22:
	s_or_b32 exec_lo, exec_lo, s6
	v_dual_mov_b32 v81, 0 :: v_dual_lshlrev_b32 v10, 3, v84
	v_dual_mov_b32 v92, 16 :: v_dual_lshlrev_b32 v9, 5, v9
	;; [unrolled: 1-line block ×3, first 2 shown]
	s_delay_alu instid0(VALU_DEP_3) | instskip(NEXT) | instid1(VALU_DEP_3)
	v_lshl_or_b32 v87, v8, 5, v10
	v_lshl_add_u32 v80, v85, 3, v9
	s_delay_alu instid0(VALU_DEP_3)
	v_dual_mov_b32 v93, 24 :: v_dual_add_nc_u32 v48, 0x800, v86
	v_dual_mov_b32 v95, 40 :: v_dual_lshlrev_b32 v88, 5, v83
	ds_store_2addr_stride64_b64 v87, v[2:3], v[4:5] offset1:4
	ds_store_2addr_stride64_b64 v80, v[0:1], v[6:7] offset0:16 offset1:20
	s_waitcnt lgkmcnt(0)
	s_waitcnt_vscnt null, 0x0
	s_barrier
	buffer_gl0_inv
	ds_load_2addr_b64 v[0:3], v86 offset1:16
	ds_load_2addr_b64 v[4:7], v86 offset0:32 offset1:48
	ds_load_2addr_b64 v[8:11], v86 offset0:64 offset1:80
	;; [unrolled: 1-line block ×4, first 2 shown]
	ds_load_2addr_b64 v[20:23], v48 offset1:16
	ds_load_2addr_b64 v[24:27], v48 offset0:32 offset1:48
	ds_load_2addr_b64 v[28:31], v48 offset0:64 offset1:80
	ds_load_2addr_b64 v[32:35], v48 offset0:96 offset1:112
	ds_load_2addr_b64 v[36:39], v48 offset0:128 offset1:144
	ds_load_2addr_b64 v[40:43], v48 offset0:160 offset1:176
	ds_load_2addr_b64 v[44:47], v48 offset0:192 offset1:208
	ds_load_2addr_b64 v[48:51], v48 offset0:224 offset1:240
	ds_load_2addr_b64 v[52:55], v86 offset0:160 offset1:176
	ds_load_2addr_b64 v[56:59], v86 offset0:192 offset1:208
	ds_load_2addr_b64 v[60:63], v86 offset0:224 offset1:240
	ds_load_2addr_stride64_b64 v[64:67], v88 offset0:16 offset1:20
	v_or_b32_e32 v89, 0x2000, v80
	v_dual_mov_b32 v97, 56 :: v_dual_add_nc_u32 v90, 0x2000, v88
	v_dual_mov_b32 v94, 32 :: v_dual_mov_b32 v99, 0x48
	v_dual_mov_b32 v96, 48 :: v_dual_mov_b32 v101, 0x58
	;; [unrolled: 1-line block ×3, first 2 shown]
	v_mov_b32_e32 v100, 0x50
	v_mov_b32_e32 v102, 0x60
	;; [unrolled: 1-line block ×20, first 2 shown]
	s_mov_b64 s[6:7], 0
	s_mov_b32 s16, -1
.LBB201_23:                             ; =>This Inner Loop Header: Depth=1
	scratch_load_b64 v[122:123], v81, off
	scratch_load_b64 v[124:125], v91, off
	;; [unrolled: 1-line block ×32, first 2 shown]
	s_cmp_eq_u32 s6, 1
	s_waitcnt lgkmcnt(16)
	v_max_f64 v[188:189], v[0:1], v[0:1]
	s_cselect_b32 vcc_lo, -1, 0
	v_max_f64 v[190:191], v[2:3], v[2:3]
	s_waitcnt lgkmcnt(0)
	v_dual_cndmask_b32 v187, v65, v67 :: v_dual_cndmask_b32 v186, v64, v66
	v_max_f64 v[192:193], v[4:5], v[4:5]
	v_max_f64 v[194:195], v[6:7], v[6:7]
	;; [unrolled: 1-line block ×31, first 2 shown]
	s_mov_b64 s[6:7], 1
	s_and_b32 vcc_lo, exec_lo, s16
	s_mov_b32 s16, 0
	v_min_f64 v[188:189], v[188:189], v[186:187]
	v_min_f64 v[190:191], v[190:191], v[186:187]
	;; [unrolled: 1-line block ×32, first 2 shown]
	s_waitcnt vmcnt(31)
	v_add_f64 v[122:123], v[122:123], v[188:189]
	s_waitcnt vmcnt(30)
	v_add_f64 v[124:125], v[190:191], v[124:125]
	;; [unrolled: 2-line block ×32, first 2 shown]
	scratch_store_b64 v81, v[122:123], off
	scratch_store_b64 v91, v[124:125], off
	;; [unrolled: 1-line block ×32, first 2 shown]
	v_mov_b32_e32 v81, 0x100
	v_mov_b32_e32 v91, 0x108
	;; [unrolled: 1-line block ×32, first 2 shown]
	s_cbranch_vccnz .LBB201_23
; %bb.24:
	v_dual_mov_b32 v81, 0 :: v_dual_add_nc_u32 v60, 0x800, v86
	ds_load_2addr_b64 v[0:3], v86 offset0:1 offset1:17
	ds_load_2addr_b64 v[4:7], v86 offset0:33 offset1:49
	;; [unrolled: 1-line block ×12, first 2 shown]
	v_dual_mov_b32 v91, 8 :: v_dual_add_nc_u32 v64, 8, v90
	ds_load_2addr_b64 v[48:51], v60 offset0:129 offset1:145
	ds_load_2addr_b64 v[52:55], v60 offset0:161 offset1:177
	;; [unrolled: 1-line block ×4, first 2 shown]
	ds_load_2addr_stride64_b64 v[64:67], v64 offset1:4
	v_dual_mov_b32 v92, 16 :: v_dual_mov_b32 v93, 24
	v_dual_mov_b32 v94, 32 :: v_dual_mov_b32 v95, 40
	v_dual_mov_b32 v96, 48 :: v_dual_mov_b32 v97, 56
	v_dual_mov_b32 v98, 64 :: v_dual_mov_b32 v99, 0x48
	v_mov_b32_e32 v100, 0x50
	v_mov_b32_e32 v101, 0x58
	;; [unrolled: 1-line block ×22, first 2 shown]
	s_mov_b64 s[6:7], 0
	s_mov_b32 s16, -1
.LBB201_25:                             ; =>This Inner Loop Header: Depth=1
	scratch_load_b64 v[122:123], v81, off
	scratch_load_b64 v[124:125], v91, off
	;; [unrolled: 1-line block ×32, first 2 shown]
	s_cmp_eq_u32 s6, 1
	s_waitcnt lgkmcnt(16)
	v_max_f64 v[188:189], v[0:1], v[0:1]
	s_cselect_b32 vcc_lo, -1, 0
	v_max_f64 v[190:191], v[2:3], v[2:3]
	s_waitcnt lgkmcnt(0)
	v_dual_cndmask_b32 v187, v65, v67 :: v_dual_cndmask_b32 v186, v64, v66
	v_max_f64 v[192:193], v[4:5], v[4:5]
	v_max_f64 v[194:195], v[6:7], v[6:7]
	;; [unrolled: 1-line block ×31, first 2 shown]
	s_mov_b64 s[6:7], 1
	s_and_b32 vcc_lo, exec_lo, s16
	s_mov_b32 s16, 0
	v_min_f64 v[188:189], v[188:189], v[186:187]
	v_min_f64 v[190:191], v[190:191], v[186:187]
	;; [unrolled: 1-line block ×32, first 2 shown]
	s_waitcnt vmcnt(31)
	v_add_f64 v[122:123], v[122:123], v[188:189]
	s_waitcnt vmcnt(30)
	v_add_f64 v[124:125], v[190:191], v[124:125]
	;; [unrolled: 2-line block ×32, first 2 shown]
	scratch_store_b64 v81, v[122:123], off
	scratch_store_b64 v91, v[124:125], off
	scratch_store_b64 v92, v[126:127], off
	scratch_store_b64 v93, v[128:129], off
	scratch_store_b64 v94, v[130:131], off
	scratch_store_b64 v95, v[132:133], off
	scratch_store_b64 v96, v[134:135], off
	scratch_store_b64 v97, v[136:137], off
	scratch_store_b64 v98, v[138:139], off
	scratch_store_b64 v99, v[140:141], off
	scratch_store_b64 v100, v[142:143], off
	scratch_store_b64 v101, v[144:145], off
	scratch_store_b64 v102, v[146:147], off
	scratch_store_b64 v103, v[148:149], off
	scratch_store_b64 v104, v[150:151], off
	scratch_store_b64 v105, v[152:153], off
	scratch_store_b64 v106, v[154:155], off
	scratch_store_b64 v107, v[156:157], off
	scratch_store_b64 v108, v[158:159], off
	scratch_store_b64 v109, v[160:161], off
	scratch_store_b64 v110, v[162:163], off
	scratch_store_b64 v111, v[164:165], off
	scratch_store_b64 v112, v[166:167], off
	scratch_store_b64 v113, v[168:169], off
	scratch_store_b64 v114, v[170:171], off
	scratch_store_b64 v115, v[172:173], off
	scratch_store_b64 v116, v[174:175], off
	scratch_store_b64 v117, v[176:177], off
	scratch_store_b64 v118, v[178:179], off
	scratch_store_b64 v119, v[180:181], off
	scratch_store_b64 v120, v[182:183], off
	scratch_store_b64 v121, v[184:185], off
	v_mov_b32_e32 v81, 0x100
	v_mov_b32_e32 v91, 0x108
	;; [unrolled: 1-line block ×32, first 2 shown]
	s_cbranch_vccnz .LBB201_25
; %bb.26:
	v_dual_mov_b32 v81, 0 :: v_dual_add_nc_u32 v60, 0x800, v86
	ds_load_2addr_b64 v[0:3], v86 offset0:2 offset1:18
	ds_load_2addr_b64 v[4:7], v86 offset0:34 offset1:50
	;; [unrolled: 1-line block ×12, first 2 shown]
	v_dual_mov_b32 v91, 8 :: v_dual_add_nc_u32 v64, 16, v90
	ds_load_2addr_b64 v[48:51], v60 offset0:130 offset1:146
	ds_load_2addr_b64 v[52:55], v60 offset0:162 offset1:178
	;; [unrolled: 1-line block ×4, first 2 shown]
	ds_load_2addr_stride64_b64 v[64:67], v64 offset1:4
	v_dual_mov_b32 v92, 16 :: v_dual_mov_b32 v93, 24
	v_dual_mov_b32 v94, 32 :: v_dual_mov_b32 v95, 40
	v_dual_mov_b32 v96, 48 :: v_dual_mov_b32 v97, 56
	v_dual_mov_b32 v98, 64 :: v_dual_mov_b32 v99, 0x48
	v_mov_b32_e32 v100, 0x50
	v_mov_b32_e32 v101, 0x58
	;; [unrolled: 1-line block ×22, first 2 shown]
	s_mov_b64 s[6:7], 0
	s_mov_b32 s16, -1
.LBB201_27:                             ; =>This Inner Loop Header: Depth=1
	scratch_load_b64 v[122:123], v81, off
	scratch_load_b64 v[124:125], v91, off
	;; [unrolled: 1-line block ×32, first 2 shown]
	s_cmp_eq_u32 s6, 1
	s_waitcnt lgkmcnt(16)
	v_max_f64 v[188:189], v[0:1], v[0:1]
	s_cselect_b32 vcc_lo, -1, 0
	v_max_f64 v[190:191], v[2:3], v[2:3]
	s_waitcnt lgkmcnt(0)
	v_dual_cndmask_b32 v187, v65, v67 :: v_dual_cndmask_b32 v186, v64, v66
	v_max_f64 v[192:193], v[4:5], v[4:5]
	v_max_f64 v[194:195], v[6:7], v[6:7]
	;; [unrolled: 1-line block ×31, first 2 shown]
	s_mov_b64 s[6:7], 1
	s_and_b32 vcc_lo, exec_lo, s16
	s_mov_b32 s16, 0
	v_min_f64 v[188:189], v[188:189], v[186:187]
	v_min_f64 v[190:191], v[190:191], v[186:187]
	;; [unrolled: 1-line block ×32, first 2 shown]
	s_waitcnt vmcnt(31)
	v_add_f64 v[122:123], v[122:123], v[188:189]
	s_waitcnt vmcnt(30)
	v_add_f64 v[124:125], v[190:191], v[124:125]
	s_waitcnt vmcnt(29)
	v_add_f64 v[126:127], v[192:193], v[126:127]
	s_waitcnt vmcnt(28)
	v_add_f64 v[128:129], v[194:195], v[128:129]
	s_waitcnt vmcnt(27)
	v_add_f64 v[130:131], v[196:197], v[130:131]
	s_waitcnt vmcnt(26)
	v_add_f64 v[132:133], v[198:199], v[132:133]
	s_waitcnt vmcnt(25)
	v_add_f64 v[134:135], v[200:201], v[134:135]
	s_waitcnt vmcnt(24)
	v_add_f64 v[136:137], v[202:203], v[136:137]
	s_waitcnt vmcnt(23)
	v_add_f64 v[138:139], v[204:205], v[138:139]
	s_waitcnt vmcnt(22)
	v_add_f64 v[140:141], v[206:207], v[140:141]
	s_waitcnt vmcnt(21)
	v_add_f64 v[142:143], v[208:209], v[142:143]
	s_waitcnt vmcnt(20)
	v_add_f64 v[144:145], v[210:211], v[144:145]
	s_waitcnt vmcnt(19)
	v_add_f64 v[146:147], v[212:213], v[146:147]
	s_waitcnt vmcnt(18)
	v_add_f64 v[148:149], v[214:215], v[148:149]
	s_waitcnt vmcnt(17)
	v_add_f64 v[150:151], v[216:217], v[150:151]
	s_waitcnt vmcnt(16)
	v_add_f64 v[152:153], v[218:219], v[152:153]
	s_waitcnt vmcnt(15)
	v_add_f64 v[154:155], v[220:221], v[154:155]
	s_waitcnt vmcnt(14)
	v_add_f64 v[156:157], v[222:223], v[156:157]
	s_waitcnt vmcnt(13)
	v_add_f64 v[158:159], v[224:225], v[158:159]
	s_waitcnt vmcnt(12)
	v_add_f64 v[160:161], v[226:227], v[160:161]
	s_waitcnt vmcnt(11)
	v_add_f64 v[162:163], v[228:229], v[162:163]
	s_waitcnt vmcnt(10)
	v_add_f64 v[164:165], v[230:231], v[164:165]
	s_waitcnt vmcnt(9)
	v_add_f64 v[166:167], v[232:233], v[166:167]
	s_waitcnt vmcnt(8)
	v_add_f64 v[168:169], v[234:235], v[168:169]
	s_waitcnt vmcnt(7)
	v_add_f64 v[170:171], v[236:237], v[170:171]
	s_waitcnt vmcnt(6)
	v_add_f64 v[172:173], v[238:239], v[172:173]
	s_waitcnt vmcnt(5)
	v_add_f64 v[174:175], v[240:241], v[174:175]
	s_waitcnt vmcnt(4)
	v_add_f64 v[176:177], v[242:243], v[176:177]
	s_waitcnt vmcnt(3)
	v_add_f64 v[178:179], v[244:245], v[178:179]
	s_waitcnt vmcnt(2)
	v_add_f64 v[180:181], v[246:247], v[180:181]
	s_waitcnt vmcnt(1)
	v_add_f64 v[182:183], v[248:249], v[182:183]
	s_waitcnt vmcnt(0)
	v_add_f64 v[184:185], v[186:187], v[184:185]
	scratch_store_b64 v81, v[122:123], off
	scratch_store_b64 v91, v[124:125], off
	;; [unrolled: 1-line block ×32, first 2 shown]
	v_mov_b32_e32 v81, 0x100
	v_mov_b32_e32 v91, 0x108
	;; [unrolled: 1-line block ×32, first 2 shown]
	s_cbranch_vccnz .LBB201_27
; %bb.28:
	v_dual_mov_b32 v81, 0 :: v_dual_add_nc_u32 v60, 0x800, v86
	ds_load_2addr_b64 v[0:3], v86 offset0:3 offset1:19
	ds_load_2addr_b64 v[4:7], v86 offset0:35 offset1:51
	;; [unrolled: 1-line block ×12, first 2 shown]
	v_dual_mov_b32 v91, 8 :: v_dual_add_nc_u32 v64, 24, v90
	ds_load_2addr_b64 v[48:51], v60 offset0:131 offset1:147
	ds_load_2addr_b64 v[52:55], v60 offset0:163 offset1:179
	;; [unrolled: 1-line block ×4, first 2 shown]
	ds_load_2addr_stride64_b64 v[64:67], v64 offset1:4
	v_dual_mov_b32 v92, 16 :: v_dual_mov_b32 v93, 24
	v_dual_mov_b32 v94, 32 :: v_dual_mov_b32 v95, 40
	;; [unrolled: 1-line block ×4, first 2 shown]
	v_mov_b32_e32 v100, 0x50
	v_mov_b32_e32 v101, 0x58
	;; [unrolled: 1-line block ×22, first 2 shown]
	s_mov_b64 s[6:7], 0
	s_mov_b32 s16, -1
.LBB201_29:                             ; =>This Inner Loop Header: Depth=1
	scratch_load_b64 v[122:123], v81, off
	scratch_load_b64 v[124:125], v91, off
	;; [unrolled: 1-line block ×32, first 2 shown]
	s_cmp_eq_u32 s6, 1
	s_waitcnt lgkmcnt(16)
	v_max_f64 v[188:189], v[0:1], v[0:1]
	s_cselect_b32 vcc_lo, -1, 0
	v_max_f64 v[190:191], v[2:3], v[2:3]
	s_waitcnt lgkmcnt(0)
	v_dual_cndmask_b32 v187, v65, v67 :: v_dual_cndmask_b32 v186, v64, v66
	v_max_f64 v[192:193], v[4:5], v[4:5]
	v_max_f64 v[194:195], v[6:7], v[6:7]
	;; [unrolled: 1-line block ×31, first 2 shown]
	s_mov_b64 s[6:7], 1
	s_and_b32 vcc_lo, exec_lo, s16
	s_mov_b32 s16, 0
	v_min_f64 v[188:189], v[188:189], v[186:187]
	v_min_f64 v[190:191], v[190:191], v[186:187]
	;; [unrolled: 1-line block ×32, first 2 shown]
	s_waitcnt vmcnt(31)
	v_add_f64 v[122:123], v[122:123], v[188:189]
	s_waitcnt vmcnt(30)
	v_add_f64 v[124:125], v[190:191], v[124:125]
	;; [unrolled: 2-line block ×32, first 2 shown]
	scratch_store_b64 v81, v[122:123], off
	scratch_store_b64 v91, v[124:125], off
	scratch_store_b64 v92, v[126:127], off
	scratch_store_b64 v93, v[128:129], off
	scratch_store_b64 v94, v[130:131], off
	scratch_store_b64 v95, v[132:133], off
	scratch_store_b64 v96, v[134:135], off
	scratch_store_b64 v97, v[136:137], off
	scratch_store_b64 v98, v[138:139], off
	scratch_store_b64 v99, v[140:141], off
	scratch_store_b64 v100, v[142:143], off
	scratch_store_b64 v101, v[144:145], off
	scratch_store_b64 v102, v[146:147], off
	scratch_store_b64 v103, v[148:149], off
	scratch_store_b64 v104, v[150:151], off
	scratch_store_b64 v105, v[152:153], off
	scratch_store_b64 v106, v[154:155], off
	scratch_store_b64 v107, v[156:157], off
	scratch_store_b64 v108, v[158:159], off
	scratch_store_b64 v109, v[160:161], off
	scratch_store_b64 v110, v[162:163], off
	scratch_store_b64 v111, v[164:165], off
	scratch_store_b64 v112, v[166:167], off
	scratch_store_b64 v113, v[168:169], off
	scratch_store_b64 v114, v[170:171], off
	scratch_store_b64 v115, v[172:173], off
	scratch_store_b64 v116, v[174:175], off
	scratch_store_b64 v117, v[176:177], off
	scratch_store_b64 v118, v[178:179], off
	scratch_store_b64 v119, v[180:181], off
	scratch_store_b64 v120, v[182:183], off
	scratch_store_b64 v121, v[184:185], off
	v_mov_b32_e32 v81, 0x100
	v_mov_b32_e32 v91, 0x108
	;; [unrolled: 1-line block ×32, first 2 shown]
	s_cbranch_vccnz .LBB201_29
; %bb.30:
	s_cmp_gt_i32 s38, 8
	s_mov_b32 s16, 8
	ds_store_2addr_stride64_b64 v87, v[68:69], v[74:75] offset0:8 offset1:12
	ds_store_2addr_stride64_b64 v80, v[70:71], v[76:77] offset0:24 offset1:28
	s_waitcnt lgkmcnt(0)
	s_waitcnt_vscnt null, 0x0
	s_barrier
	buffer_gl0_inv
	s_cbranch_scc0 .LBB201_65
; %bb.31:
	v_mad_i64_i32 v[0:1], null, v78, s17, 0
	v_mad_i64_i32 v[2:3], null, v79, s17, 0
	v_lshl_add_u32 v93, v82, 5, 0x1000
	v_lshlrev_b64 v[72:73], 3, v[72:73]
	v_add_nc_u32_e32 v91, 0x1000, v87
	v_or_b32_e32 v92, 0x3000, v80
	v_lshlrev_b64 v[68:69], 3, v[0:1]
	v_lshl_add_u32 v94, v83, 5, 0x3000
	v_lshlrev_b64 v[70:71], 3, v[2:3]
	v_add_nc_u32_e32 v95, 0x800, v93
	s_add_i32 s17, s38, -8
	s_mov_b32 s24, 0
.LBB201_32:                             ; =>This Loop Header: Depth=1
                                        ;     Child Loop BB201_41 Depth 2
                                        ;     Child Loop BB201_43 Depth 2
	;; [unrolled: 1-line block ×8, first 2 shown]
	v_or_b32_e32 v96, s16, v84
	v_mov_b32_e32 v74, 0
	v_mov_b32_e32 v75, 0
	s_delay_alu instid0(VALU_DEP_3) | instskip(SKIP_1) | instid1(VALU_DEP_3)
	v_min_i32_e32 v0, s14, v96
	v_cmp_le_i32_e32 vcc_lo, s38, v96
	v_dual_mov_b32 v77, v75 :: v_dual_mov_b32 v76, v74
	s_delay_alu instid0(VALU_DEP_3) | instskip(SKIP_1) | instid1(VALU_DEP_1)
	v_ashrrev_i32_e32 v1, 31, v0
	s_or_b32 s7, s2, vcc_lo
	v_lshlrev_b64 v[0:1], 3, v[0:1]
	s_delay_alu instid0(VALU_DEP_1) | instskip(NEXT) | instid1(VALU_DEP_1)
	v_add_co_u32 v0, s6, s22, v0
	v_add_co_ci_u32_e64 v1, s6, s23, v1, s6
	s_or_b32 s6, s13, s7
	s_delay_alu instid0(SALU_CYCLE_1) | instskip(NEXT) | instid1(SALU_CYCLE_1)
	s_xor_b32 s6, s6, -1
	s_and_saveexec_b32 s7, s6
	s_cbranch_execz .LBB201_34
; %bb.33:                               ;   in Loop: Header=BB201_32 Depth=1
	v_add_co_u32 v2, s6, v0, v68
	s_delay_alu instid0(VALU_DEP_1)
	v_add_co_ci_u32_e64 v3, s6, v1, v69, s6
	flat_load_b64 v[2:3], v[2:3]
	s_waitcnt vmcnt(0) lgkmcnt(0)
	v_mul_f64 v[76:77], s[20:21], v[2:3]
.LBB201_34:                             ;   in Loop: Header=BB201_32 Depth=1
	s_or_b32 exec_lo, exec_lo, s7
	s_or_b32 s6, s3, vcc_lo
	s_delay_alu instid0(SALU_CYCLE_1) | instskip(NEXT) | instid1(SALU_CYCLE_1)
	s_or_b32 s6, s13, s6
	s_xor_b32 s7, s6, -1
	s_delay_alu instid0(SALU_CYCLE_1)
	s_and_saveexec_b32 s6, s7
	s_cbranch_execz .LBB201_36
; %bb.35:                               ;   in Loop: Header=BB201_32 Depth=1
	v_add_co_u32 v0, vcc_lo, v0, v70
	v_add_co_ci_u32_e32 v1, vcc_lo, v1, v71, vcc_lo
	flat_load_b64 v[0:1], v[0:1]
	s_waitcnt vmcnt(0) lgkmcnt(0)
	v_mul_f64 v[74:75], s[20:21], v[0:1]
.LBB201_36:                             ;   in Loop: Header=BB201_32 Depth=1
	s_or_b32 exec_lo, exec_lo, s6
	v_add_nc_u32_e32 v2, s16, v85
	v_mov_b32_e32 v78, 0
	v_mov_b32_e32 v79, 0
	s_delay_alu instid0(VALU_DEP_3) | instskip(SKIP_1) | instid1(VALU_DEP_3)
	v_min_i32_e32 v3, s14, v2
	v_cmp_le_i32_e32 vcc_lo, s38, v2
	v_dual_mov_b32 v81, v79 :: v_dual_mov_b32 v80, v78
	s_delay_alu instid0(VALU_DEP_3) | instskip(SKIP_1) | instid1(VALU_DEP_1)
	v_mad_i64_i32 v[0:1], null, v3, s15, 0
	s_or_b32 s7, s4, vcc_lo
	v_lshlrev_b64 v[0:1], 3, v[0:1]
	s_delay_alu instid0(VALU_DEP_1) | instskip(NEXT) | instid1(VALU_DEP_1)
	v_add_co_u32 v0, s6, s18, v0
	v_add_co_ci_u32_e64 v1, s6, s19, v1, s6
	s_or_b32 s6, s13, s7
	s_delay_alu instid0(SALU_CYCLE_1) | instskip(NEXT) | instid1(SALU_CYCLE_1)
	s_xor_b32 s6, s6, -1
	s_and_saveexec_b32 s7, s6
	s_cbranch_execz .LBB201_38
; %bb.37:                               ;   in Loop: Header=BB201_32 Depth=1
	v_add_co_u32 v2, s6, v0, v72
	s_delay_alu instid0(VALU_DEP_1)
	v_add_co_ci_u32_e64 v3, s6, v1, v73, s6
	flat_load_b64 v[2:3], v[2:3]
	s_waitcnt vmcnt(0) lgkmcnt(0)
	v_mul_f64 v[80:81], s[20:21], v[2:3]
.LBB201_38:                             ;   in Loop: Header=BB201_32 Depth=1
	s_or_b32 exec_lo, exec_lo, s7
	s_or_b32 s6, s5, vcc_lo
	s_delay_alu instid0(SALU_CYCLE_1) | instskip(NEXT) | instid1(SALU_CYCLE_1)
	s_or_b32 s6, s13, s6
	s_xor_b32 s7, s6, -1
	s_delay_alu instid0(SALU_CYCLE_1)
	s_and_saveexec_b32 s6, s7
	s_cbranch_execz .LBB201_40
; %bb.39:                               ;   in Loop: Header=BB201_32 Depth=1
	v_add_co_u32 v0, vcc_lo, v0, v72
	v_add_co_ci_u32_e32 v1, vcc_lo, v1, v73, vcc_lo
	flat_load_b64 v[0:1], v[0:1] offset:512
	s_waitcnt vmcnt(0) lgkmcnt(0)
	v_mul_f64 v[78:79], s[20:21], v[0:1]
.LBB201_40:                             ;   in Loop: Header=BB201_32 Depth=1
	s_or_b32 exec_lo, exec_lo, s6
	ds_load_2addr_b64 v[0:3], v93 offset1:16
	ds_load_2addr_b64 v[4:7], v93 offset0:32 offset1:48
	ds_load_2addr_b64 v[8:11], v93 offset0:64 offset1:80
	;; [unrolled: 1-line block ×7, first 2 shown]
	ds_load_2addr_b64 v[32:35], v95 offset1:16
	ds_load_2addr_b64 v[36:39], v95 offset0:32 offset1:48
	ds_load_2addr_b64 v[40:43], v95 offset0:64 offset1:80
	;; [unrolled: 1-line block ×7, first 2 shown]
	ds_load_2addr_stride64_b64 v[64:67], v94 offset1:4
	v_dual_mov_b32 v128, 0 :: v_dual_mov_b32 v127, 8
	v_dual_mov_b32 v126, 16 :: v_dual_mov_b32 v125, 24
	;; [unrolled: 1-line block ×5, first 2 shown]
	v_mov_b32_e32 v118, 0x50
	v_mov_b32_e32 v117, 0x58
	;; [unrolled: 1-line block ×22, first 2 shown]
	s_mov_b64 s[6:7], 0
	s_mov_b32 s25, -1
.LBB201_41:                             ;   Parent Loop BB201_32 Depth=1
                                        ; =>  This Inner Loop Header: Depth=2
	scratch_load_b64 v[133:134], v128, off
	s_cmp_eq_u32 s6, 1
	s_waitcnt lgkmcnt(16)
	v_max_f64 v[131:132], v[0:1], v[0:1]
	s_cselect_b32 vcc_lo, -1, 0
	s_mov_b64 s[6:7], 1
	s_waitcnt lgkmcnt(0)
	v_dual_cndmask_b32 v130, v65, v67 :: v_dual_cndmask_b32 v129, v64, v66
	s_and_b32 vcc_lo, exec_lo, s25
	s_mov_b32 s25, 0
	s_delay_alu instid0(VALU_DEP_1) | instskip(NEXT) | instid1(VALU_DEP_1)
	v_max_f64 v[129:130], v[129:130], v[129:130]
	v_min_f64 v[131:132], v[131:132], v[129:130]
	s_waitcnt vmcnt(0)
	s_delay_alu instid0(VALU_DEP_1) | instskip(SKIP_3) | instid1(VALU_DEP_1)
	v_add_f64 v[131:132], v[133:134], v[131:132]
	scratch_load_b64 v[133:134], v127, off
	scratch_store_b64 v128, v[131:132], off
	v_max_f64 v[131:132], v[2:3], v[2:3]
	v_min_f64 v[131:132], v[131:132], v[129:130]
	s_waitcnt vmcnt(0)
	s_delay_alu instid0(VALU_DEP_1) | instskip(SKIP_3) | instid1(VALU_DEP_1)
	v_add_f64 v[131:132], v[131:132], v[133:134]
	scratch_store_b64 v127, v[131:132], off
	scratch_load_b64 v[131:132], v126, off
	v_max_f64 v[127:128], v[4:5], v[4:5]
	v_min_f64 v[127:128], v[127:128], v[129:130]
	s_waitcnt vmcnt(0)
	s_delay_alu instid0(VALU_DEP_1) | instskip(SKIP_3) | instid1(VALU_DEP_1)
	v_add_f64 v[127:128], v[127:128], v[131:132]
	scratch_load_b64 v[131:132], v125, off
	scratch_store_b64 v126, v[127:128], off
	v_max_f64 v[126:127], v[6:7], v[6:7]
	v_min_f64 v[126:127], v[126:127], v[129:130]
	s_waitcnt vmcnt(0)
	s_delay_alu instid0(VALU_DEP_1) | instskip(SKIP_3) | instid1(VALU_DEP_1)
	v_add_f64 v[126:127], v[126:127], v[131:132]
	scratch_store_b64 v125, v[126:127], off
	scratch_load_b64 v[127:128], v124, off
	v_max_f64 v[125:126], v[8:9], v[8:9]
	v_min_f64 v[125:126], v[125:126], v[129:130]
	s_waitcnt vmcnt(0)
	s_delay_alu instid0(VALU_DEP_1) | instskip(SKIP_4) | instid1(VALU_DEP_1)
	v_add_f64 v[125:126], v[125:126], v[127:128]
	v_mov_b32_e32 v128, 0x100
	scratch_store_b64 v124, v[125:126], off
	scratch_load_b64 v[126:127], v123, off
	v_max_f64 v[124:125], v[10:11], v[10:11]
	v_min_f64 v[124:125], v[124:125], v[129:130]
	s_waitcnt vmcnt(0)
	s_delay_alu instid0(VALU_DEP_1) | instskip(SKIP_4) | instid1(VALU_DEP_1)
	v_add_f64 v[124:125], v[124:125], v[126:127]
	v_mov_b32_e32 v127, 0x108
	;; [unrolled: 8-line block ×27, first 2 shown]
	scratch_store_b64 v98, v[99:100], off
	scratch_load_b64 v[100:101], v97, off
	v_max_f64 v[98:99], v[62:63], v[62:63]
	v_min_f64 v[98:99], v[98:99], v[129:130]
	s_waitcnt vmcnt(0)
	s_delay_alu instid0(VALU_DEP_1)
	v_add_f64 v[98:99], v[98:99], v[100:101]
	v_mov_b32_e32 v101, 0x1d8
	v_mov_b32_e32 v100, 0x1e0
	scratch_store_b64 v97, v[98:99], off
	v_mov_b32_e32 v99, 0x1e8
	v_mov_b32_e32 v98, 0x1f0
	;; [unrolled: 1-line block ×3, first 2 shown]
	s_cbranch_vccnz .LBB201_41
; %bb.42:                               ;   in Loop: Header=BB201_32 Depth=1
	ds_load_2addr_b64 v[0:3], v93 offset0:1 offset1:17
	ds_load_2addr_b64 v[4:7], v93 offset0:33 offset1:49
	;; [unrolled: 1-line block ×12, first 2 shown]
	v_dual_mov_b32 v127, 8 :: v_dual_add_nc_u32 v64, 8, v94
	ds_load_2addr_b64 v[48:51], v95 offset0:129 offset1:145
	ds_load_2addr_b64 v[52:55], v95 offset0:161 offset1:177
	;; [unrolled: 1-line block ×4, first 2 shown]
	ds_load_2addr_stride64_b64 v[64:67], v64 offset1:4
	v_dual_mov_b32 v128, 0 :: v_dual_mov_b32 v125, 24
	v_dual_mov_b32 v126, 16 :: v_dual_mov_b32 v123, 40
	;; [unrolled: 1-line block ×5, first 2 shown]
	v_mov_b32_e32 v118, 0x50
	v_mov_b32_e32 v116, 0x60
	;; [unrolled: 1-line block ×21, first 2 shown]
	s_mov_b64 s[6:7], 0
	s_mov_b32 s25, -1
.LBB201_43:                             ;   Parent Loop BB201_32 Depth=1
                                        ; =>  This Inner Loop Header: Depth=2
	scratch_load_b64 v[133:134], v128, off
	s_cmp_eq_u32 s6, 1
	s_waitcnt lgkmcnt(16)
	v_max_f64 v[131:132], v[0:1], v[0:1]
	s_cselect_b32 vcc_lo, -1, 0
	s_mov_b64 s[6:7], 1
	s_waitcnt lgkmcnt(0)
	v_dual_cndmask_b32 v130, v65, v67 :: v_dual_cndmask_b32 v129, v64, v66
	s_and_b32 vcc_lo, exec_lo, s25
	s_mov_b32 s25, 0
	s_delay_alu instid0(VALU_DEP_1) | instskip(NEXT) | instid1(VALU_DEP_1)
	v_max_f64 v[129:130], v[129:130], v[129:130]
	v_min_f64 v[131:132], v[131:132], v[129:130]
	s_waitcnt vmcnt(0)
	s_delay_alu instid0(VALU_DEP_1) | instskip(SKIP_3) | instid1(VALU_DEP_1)
	v_add_f64 v[131:132], v[133:134], v[131:132]
	scratch_load_b64 v[133:134], v127, off
	scratch_store_b64 v128, v[131:132], off
	v_max_f64 v[131:132], v[2:3], v[2:3]
	v_min_f64 v[131:132], v[131:132], v[129:130]
	s_waitcnt vmcnt(0)
	s_delay_alu instid0(VALU_DEP_1) | instskip(SKIP_3) | instid1(VALU_DEP_1)
	v_add_f64 v[131:132], v[131:132], v[133:134]
	scratch_store_b64 v127, v[131:132], off
	scratch_load_b64 v[131:132], v126, off
	v_max_f64 v[127:128], v[4:5], v[4:5]
	v_min_f64 v[127:128], v[127:128], v[129:130]
	s_waitcnt vmcnt(0)
	s_delay_alu instid0(VALU_DEP_1) | instskip(SKIP_3) | instid1(VALU_DEP_1)
	v_add_f64 v[127:128], v[127:128], v[131:132]
	scratch_load_b64 v[131:132], v125, off
	scratch_store_b64 v126, v[127:128], off
	v_max_f64 v[126:127], v[6:7], v[6:7]
	v_min_f64 v[126:127], v[126:127], v[129:130]
	s_waitcnt vmcnt(0)
	s_delay_alu instid0(VALU_DEP_1) | instskip(SKIP_3) | instid1(VALU_DEP_1)
	v_add_f64 v[126:127], v[126:127], v[131:132]
	scratch_store_b64 v125, v[126:127], off
	scratch_load_b64 v[127:128], v124, off
	v_max_f64 v[125:126], v[8:9], v[8:9]
	v_min_f64 v[125:126], v[125:126], v[129:130]
	s_waitcnt vmcnt(0)
	s_delay_alu instid0(VALU_DEP_1) | instskip(SKIP_4) | instid1(VALU_DEP_1)
	v_add_f64 v[125:126], v[125:126], v[127:128]
	v_mov_b32_e32 v128, 0x100
	scratch_store_b64 v124, v[125:126], off
	scratch_load_b64 v[126:127], v123, off
	v_max_f64 v[124:125], v[10:11], v[10:11]
	v_min_f64 v[124:125], v[124:125], v[129:130]
	s_waitcnt vmcnt(0)
	s_delay_alu instid0(VALU_DEP_1) | instskip(SKIP_4) | instid1(VALU_DEP_1)
	v_add_f64 v[124:125], v[124:125], v[126:127]
	v_mov_b32_e32 v127, 0x108
	scratch_store_b64 v123, v[124:125], off
	scratch_load_b64 v[125:126], v122, off
	v_max_f64 v[123:124], v[12:13], v[12:13]
	v_min_f64 v[123:124], v[123:124], v[129:130]
	s_waitcnt vmcnt(0)
	s_delay_alu instid0(VALU_DEP_1) | instskip(SKIP_4) | instid1(VALU_DEP_1)
	v_add_f64 v[123:124], v[123:124], v[125:126]
	v_mov_b32_e32 v126, 0x110
	scratch_store_b64 v122, v[123:124], off
	scratch_load_b64 v[124:125], v121, off
	v_max_f64 v[122:123], v[14:15], v[14:15]
	v_min_f64 v[122:123], v[122:123], v[129:130]
	s_waitcnt vmcnt(0)
	s_delay_alu instid0(VALU_DEP_1) | instskip(SKIP_4) | instid1(VALU_DEP_1)
	v_add_f64 v[122:123], v[122:123], v[124:125]
	v_mov_b32_e32 v125, 0x118
	scratch_store_b64 v121, v[122:123], off
	scratch_load_b64 v[123:124], v120, off
	v_max_f64 v[121:122], v[16:17], v[16:17]
	v_min_f64 v[121:122], v[121:122], v[129:130]
	s_waitcnt vmcnt(0)
	s_delay_alu instid0(VALU_DEP_1) | instskip(SKIP_4) | instid1(VALU_DEP_1)
	v_add_f64 v[121:122], v[121:122], v[123:124]
	v_mov_b32_e32 v124, 0x120
	scratch_store_b64 v120, v[121:122], off
	scratch_load_b64 v[122:123], v119, off
	v_max_f64 v[120:121], v[18:19], v[18:19]
	v_min_f64 v[120:121], v[120:121], v[129:130]
	s_waitcnt vmcnt(0)
	s_delay_alu instid0(VALU_DEP_1) | instskip(SKIP_4) | instid1(VALU_DEP_1)
	v_add_f64 v[120:121], v[120:121], v[122:123]
	v_mov_b32_e32 v123, 0x128
	scratch_store_b64 v119, v[120:121], off
	scratch_load_b64 v[121:122], v118, off
	v_max_f64 v[119:120], v[20:21], v[20:21]
	v_min_f64 v[119:120], v[119:120], v[129:130]
	s_waitcnt vmcnt(0)
	s_delay_alu instid0(VALU_DEP_1) | instskip(SKIP_4) | instid1(VALU_DEP_1)
	v_add_f64 v[119:120], v[119:120], v[121:122]
	v_mov_b32_e32 v122, 0x130
	scratch_store_b64 v118, v[119:120], off
	scratch_load_b64 v[120:121], v117, off
	v_max_f64 v[118:119], v[22:23], v[22:23]
	v_min_f64 v[118:119], v[118:119], v[129:130]
	s_waitcnt vmcnt(0)
	s_delay_alu instid0(VALU_DEP_1) | instskip(SKIP_4) | instid1(VALU_DEP_1)
	v_add_f64 v[118:119], v[118:119], v[120:121]
	v_mov_b32_e32 v121, 0x138
	scratch_store_b64 v117, v[118:119], off
	scratch_load_b64 v[119:120], v116, off
	v_max_f64 v[117:118], v[24:25], v[24:25]
	v_min_f64 v[117:118], v[117:118], v[129:130]
	s_waitcnt vmcnt(0)
	s_delay_alu instid0(VALU_DEP_1) | instskip(SKIP_4) | instid1(VALU_DEP_1)
	v_add_f64 v[117:118], v[117:118], v[119:120]
	v_mov_b32_e32 v120, 0x140
	scratch_store_b64 v116, v[117:118], off
	scratch_load_b64 v[118:119], v115, off
	v_max_f64 v[116:117], v[26:27], v[26:27]
	v_min_f64 v[116:117], v[116:117], v[129:130]
	s_waitcnt vmcnt(0)
	s_delay_alu instid0(VALU_DEP_1) | instskip(SKIP_4) | instid1(VALU_DEP_1)
	v_add_f64 v[116:117], v[116:117], v[118:119]
	v_mov_b32_e32 v119, 0x148
	scratch_store_b64 v115, v[116:117], off
	scratch_load_b64 v[117:118], v114, off
	v_max_f64 v[115:116], v[28:29], v[28:29]
	v_min_f64 v[115:116], v[115:116], v[129:130]
	s_waitcnt vmcnt(0)
	s_delay_alu instid0(VALU_DEP_1) | instskip(SKIP_4) | instid1(VALU_DEP_1)
	v_add_f64 v[115:116], v[115:116], v[117:118]
	v_mov_b32_e32 v118, 0x150
	scratch_store_b64 v114, v[115:116], off
	scratch_load_b64 v[116:117], v113, off
	v_max_f64 v[114:115], v[30:31], v[30:31]
	v_min_f64 v[114:115], v[114:115], v[129:130]
	s_waitcnt vmcnt(0)
	s_delay_alu instid0(VALU_DEP_1) | instskip(SKIP_4) | instid1(VALU_DEP_1)
	v_add_f64 v[114:115], v[114:115], v[116:117]
	v_mov_b32_e32 v117, 0x158
	scratch_store_b64 v113, v[114:115], off
	scratch_load_b64 v[115:116], v112, off
	v_max_f64 v[113:114], v[32:33], v[32:33]
	v_min_f64 v[113:114], v[113:114], v[129:130]
	s_waitcnt vmcnt(0)
	s_delay_alu instid0(VALU_DEP_1) | instskip(SKIP_4) | instid1(VALU_DEP_1)
	v_add_f64 v[113:114], v[113:114], v[115:116]
	v_mov_b32_e32 v116, 0x160
	scratch_store_b64 v112, v[113:114], off
	scratch_load_b64 v[114:115], v111, off
	v_max_f64 v[112:113], v[34:35], v[34:35]
	v_min_f64 v[112:113], v[112:113], v[129:130]
	s_waitcnt vmcnt(0)
	s_delay_alu instid0(VALU_DEP_1) | instskip(SKIP_4) | instid1(VALU_DEP_1)
	v_add_f64 v[112:113], v[112:113], v[114:115]
	v_mov_b32_e32 v115, 0x168
	scratch_store_b64 v111, v[112:113], off
	scratch_load_b64 v[113:114], v110, off
	v_max_f64 v[111:112], v[36:37], v[36:37]
	v_min_f64 v[111:112], v[111:112], v[129:130]
	s_waitcnt vmcnt(0)
	s_delay_alu instid0(VALU_DEP_1) | instskip(SKIP_4) | instid1(VALU_DEP_1)
	v_add_f64 v[111:112], v[111:112], v[113:114]
	v_mov_b32_e32 v114, 0x170
	scratch_store_b64 v110, v[111:112], off
	scratch_load_b64 v[112:113], v109, off
	v_max_f64 v[110:111], v[38:39], v[38:39]
	v_min_f64 v[110:111], v[110:111], v[129:130]
	s_waitcnt vmcnt(0)
	s_delay_alu instid0(VALU_DEP_1) | instskip(SKIP_4) | instid1(VALU_DEP_1)
	v_add_f64 v[110:111], v[110:111], v[112:113]
	v_mov_b32_e32 v113, 0x178
	scratch_store_b64 v109, v[110:111], off
	scratch_load_b64 v[111:112], v108, off
	v_max_f64 v[109:110], v[40:41], v[40:41]
	v_min_f64 v[109:110], v[109:110], v[129:130]
	s_waitcnt vmcnt(0)
	s_delay_alu instid0(VALU_DEP_1) | instskip(SKIP_4) | instid1(VALU_DEP_1)
	v_add_f64 v[109:110], v[109:110], v[111:112]
	v_mov_b32_e32 v112, 0x180
	scratch_store_b64 v108, v[109:110], off
	scratch_load_b64 v[110:111], v107, off
	v_max_f64 v[108:109], v[42:43], v[42:43]
	v_min_f64 v[108:109], v[108:109], v[129:130]
	s_waitcnt vmcnt(0)
	s_delay_alu instid0(VALU_DEP_1) | instskip(SKIP_4) | instid1(VALU_DEP_1)
	v_add_f64 v[108:109], v[108:109], v[110:111]
	v_mov_b32_e32 v111, 0x188
	scratch_store_b64 v107, v[108:109], off
	scratch_load_b64 v[109:110], v106, off
	v_max_f64 v[107:108], v[44:45], v[44:45]
	v_min_f64 v[107:108], v[107:108], v[129:130]
	s_waitcnt vmcnt(0)
	s_delay_alu instid0(VALU_DEP_1) | instskip(SKIP_4) | instid1(VALU_DEP_1)
	v_add_f64 v[107:108], v[107:108], v[109:110]
	v_mov_b32_e32 v110, 0x190
	scratch_store_b64 v106, v[107:108], off
	scratch_load_b64 v[108:109], v105, off
	v_max_f64 v[106:107], v[46:47], v[46:47]
	v_min_f64 v[106:107], v[106:107], v[129:130]
	s_waitcnt vmcnt(0)
	s_delay_alu instid0(VALU_DEP_1) | instskip(SKIP_4) | instid1(VALU_DEP_1)
	v_add_f64 v[106:107], v[106:107], v[108:109]
	v_mov_b32_e32 v109, 0x198
	scratch_store_b64 v105, v[106:107], off
	scratch_load_b64 v[107:108], v104, off
	v_max_f64 v[105:106], v[48:49], v[48:49]
	v_min_f64 v[105:106], v[105:106], v[129:130]
	s_waitcnt vmcnt(0)
	s_delay_alu instid0(VALU_DEP_1) | instskip(SKIP_4) | instid1(VALU_DEP_1)
	v_add_f64 v[105:106], v[105:106], v[107:108]
	v_mov_b32_e32 v108, 0x1a0
	scratch_store_b64 v104, v[105:106], off
	scratch_load_b64 v[106:107], v103, off
	v_max_f64 v[104:105], v[50:51], v[50:51]
	v_min_f64 v[104:105], v[104:105], v[129:130]
	s_waitcnt vmcnt(0)
	s_delay_alu instid0(VALU_DEP_1) | instskip(SKIP_4) | instid1(VALU_DEP_1)
	v_add_f64 v[104:105], v[104:105], v[106:107]
	v_mov_b32_e32 v107, 0x1a8
	scratch_store_b64 v103, v[104:105], off
	scratch_load_b64 v[105:106], v102, off
	v_max_f64 v[103:104], v[52:53], v[52:53]
	v_min_f64 v[103:104], v[103:104], v[129:130]
	s_waitcnt vmcnt(0)
	s_delay_alu instid0(VALU_DEP_1) | instskip(SKIP_4) | instid1(VALU_DEP_1)
	v_add_f64 v[103:104], v[103:104], v[105:106]
	v_mov_b32_e32 v106, 0x1b0
	scratch_store_b64 v102, v[103:104], off
	scratch_load_b64 v[104:105], v101, off
	v_max_f64 v[102:103], v[54:55], v[54:55]
	v_min_f64 v[102:103], v[102:103], v[129:130]
	s_waitcnt vmcnt(0)
	s_delay_alu instid0(VALU_DEP_1) | instskip(SKIP_4) | instid1(VALU_DEP_1)
	v_add_f64 v[102:103], v[102:103], v[104:105]
	v_mov_b32_e32 v105, 0x1b8
	scratch_store_b64 v101, v[102:103], off
	scratch_load_b64 v[103:104], v100, off
	v_max_f64 v[101:102], v[56:57], v[56:57]
	v_min_f64 v[101:102], v[101:102], v[129:130]
	s_waitcnt vmcnt(0)
	s_delay_alu instid0(VALU_DEP_1) | instskip(SKIP_4) | instid1(VALU_DEP_1)
	v_add_f64 v[101:102], v[101:102], v[103:104]
	v_mov_b32_e32 v104, 0x1c0
	scratch_store_b64 v100, v[101:102], off
	scratch_load_b64 v[102:103], v99, off
	v_max_f64 v[100:101], v[58:59], v[58:59]
	v_min_f64 v[100:101], v[100:101], v[129:130]
	s_waitcnt vmcnt(0)
	s_delay_alu instid0(VALU_DEP_1) | instskip(SKIP_4) | instid1(VALU_DEP_1)
	v_add_f64 v[100:101], v[100:101], v[102:103]
	v_mov_b32_e32 v103, 0x1c8
	scratch_store_b64 v99, v[100:101], off
	scratch_load_b64 v[101:102], v98, off
	v_max_f64 v[99:100], v[60:61], v[60:61]
	v_min_f64 v[99:100], v[99:100], v[129:130]
	s_waitcnt vmcnt(0)
	s_delay_alu instid0(VALU_DEP_1) | instskip(SKIP_4) | instid1(VALU_DEP_1)
	v_add_f64 v[99:100], v[99:100], v[101:102]
	v_mov_b32_e32 v102, 0x1d0
	scratch_store_b64 v98, v[99:100], off
	scratch_load_b64 v[100:101], v97, off
	v_max_f64 v[98:99], v[62:63], v[62:63]
	v_min_f64 v[98:99], v[98:99], v[129:130]
	s_waitcnt vmcnt(0)
	s_delay_alu instid0(VALU_DEP_1)
	v_add_f64 v[98:99], v[98:99], v[100:101]
	v_mov_b32_e32 v101, 0x1d8
	v_mov_b32_e32 v100, 0x1e0
	scratch_store_b64 v97, v[98:99], off
	v_mov_b32_e32 v99, 0x1e8
	v_mov_b32_e32 v98, 0x1f0
	v_mov_b32_e32 v97, 0x1f8
	s_cbranch_vccnz .LBB201_43
; %bb.44:                               ;   in Loop: Header=BB201_32 Depth=1
	ds_load_2addr_b64 v[0:3], v93 offset0:2 offset1:18
	ds_load_2addr_b64 v[4:7], v93 offset0:34 offset1:50
	;; [unrolled: 1-line block ×12, first 2 shown]
	v_dual_mov_b32 v127, 8 :: v_dual_add_nc_u32 v64, 16, v94
	ds_load_2addr_b64 v[48:51], v95 offset0:130 offset1:146
	ds_load_2addr_b64 v[52:55], v95 offset0:162 offset1:178
	;; [unrolled: 1-line block ×4, first 2 shown]
	ds_load_2addr_stride64_b64 v[64:67], v64 offset1:4
	v_dual_mov_b32 v128, 0 :: v_dual_mov_b32 v125, 24
	v_dual_mov_b32 v126, 16 :: v_dual_mov_b32 v123, 40
	v_dual_mov_b32 v124, 32 :: v_dual_mov_b32 v121, 56
	v_dual_mov_b32 v122, 48 :: v_dual_mov_b32 v119, 0x48
	v_dual_mov_b32 v120, 64 :: v_dual_mov_b32 v117, 0x58
	v_mov_b32_e32 v118, 0x50
	v_mov_b32_e32 v116, 0x60
	;; [unrolled: 1-line block ×21, first 2 shown]
	s_mov_b64 s[6:7], 0
	s_mov_b32 s25, -1
.LBB201_45:                             ;   Parent Loop BB201_32 Depth=1
                                        ; =>  This Inner Loop Header: Depth=2
	scratch_load_b64 v[133:134], v128, off
	s_cmp_eq_u32 s6, 1
	s_waitcnt lgkmcnt(16)
	v_max_f64 v[131:132], v[0:1], v[0:1]
	s_cselect_b32 vcc_lo, -1, 0
	s_mov_b64 s[6:7], 1
	s_waitcnt lgkmcnt(0)
	v_dual_cndmask_b32 v130, v65, v67 :: v_dual_cndmask_b32 v129, v64, v66
	s_and_b32 vcc_lo, exec_lo, s25
	s_mov_b32 s25, 0
	s_delay_alu instid0(VALU_DEP_1) | instskip(NEXT) | instid1(VALU_DEP_1)
	v_max_f64 v[129:130], v[129:130], v[129:130]
	v_min_f64 v[131:132], v[131:132], v[129:130]
	s_waitcnt vmcnt(0)
	s_delay_alu instid0(VALU_DEP_1) | instskip(SKIP_3) | instid1(VALU_DEP_1)
	v_add_f64 v[131:132], v[133:134], v[131:132]
	scratch_load_b64 v[133:134], v127, off
	scratch_store_b64 v128, v[131:132], off
	v_max_f64 v[131:132], v[2:3], v[2:3]
	v_min_f64 v[131:132], v[131:132], v[129:130]
	s_waitcnt vmcnt(0)
	s_delay_alu instid0(VALU_DEP_1) | instskip(SKIP_3) | instid1(VALU_DEP_1)
	v_add_f64 v[131:132], v[131:132], v[133:134]
	scratch_store_b64 v127, v[131:132], off
	scratch_load_b64 v[131:132], v126, off
	v_max_f64 v[127:128], v[4:5], v[4:5]
	v_min_f64 v[127:128], v[127:128], v[129:130]
	s_waitcnt vmcnt(0)
	s_delay_alu instid0(VALU_DEP_1) | instskip(SKIP_3) | instid1(VALU_DEP_1)
	v_add_f64 v[127:128], v[127:128], v[131:132]
	scratch_load_b64 v[131:132], v125, off
	scratch_store_b64 v126, v[127:128], off
	v_max_f64 v[126:127], v[6:7], v[6:7]
	v_min_f64 v[126:127], v[126:127], v[129:130]
	s_waitcnt vmcnt(0)
	s_delay_alu instid0(VALU_DEP_1) | instskip(SKIP_3) | instid1(VALU_DEP_1)
	v_add_f64 v[126:127], v[126:127], v[131:132]
	scratch_store_b64 v125, v[126:127], off
	scratch_load_b64 v[127:128], v124, off
	v_max_f64 v[125:126], v[8:9], v[8:9]
	v_min_f64 v[125:126], v[125:126], v[129:130]
	s_waitcnt vmcnt(0)
	s_delay_alu instid0(VALU_DEP_1) | instskip(SKIP_4) | instid1(VALU_DEP_1)
	v_add_f64 v[125:126], v[125:126], v[127:128]
	v_mov_b32_e32 v128, 0x100
	scratch_store_b64 v124, v[125:126], off
	scratch_load_b64 v[126:127], v123, off
	v_max_f64 v[124:125], v[10:11], v[10:11]
	v_min_f64 v[124:125], v[124:125], v[129:130]
	s_waitcnt vmcnt(0)
	s_delay_alu instid0(VALU_DEP_1) | instskip(SKIP_4) | instid1(VALU_DEP_1)
	v_add_f64 v[124:125], v[124:125], v[126:127]
	v_mov_b32_e32 v127, 0x108
	scratch_store_b64 v123, v[124:125], off
	scratch_load_b64 v[125:126], v122, off
	v_max_f64 v[123:124], v[12:13], v[12:13]
	v_min_f64 v[123:124], v[123:124], v[129:130]
	s_waitcnt vmcnt(0)
	s_delay_alu instid0(VALU_DEP_1) | instskip(SKIP_4) | instid1(VALU_DEP_1)
	v_add_f64 v[123:124], v[123:124], v[125:126]
	v_mov_b32_e32 v126, 0x110
	scratch_store_b64 v122, v[123:124], off
	scratch_load_b64 v[124:125], v121, off
	v_max_f64 v[122:123], v[14:15], v[14:15]
	v_min_f64 v[122:123], v[122:123], v[129:130]
	s_waitcnt vmcnt(0)
	s_delay_alu instid0(VALU_DEP_1) | instskip(SKIP_4) | instid1(VALU_DEP_1)
	v_add_f64 v[122:123], v[122:123], v[124:125]
	v_mov_b32_e32 v125, 0x118
	scratch_store_b64 v121, v[122:123], off
	scratch_load_b64 v[123:124], v120, off
	v_max_f64 v[121:122], v[16:17], v[16:17]
	v_min_f64 v[121:122], v[121:122], v[129:130]
	s_waitcnt vmcnt(0)
	s_delay_alu instid0(VALU_DEP_1) | instskip(SKIP_4) | instid1(VALU_DEP_1)
	v_add_f64 v[121:122], v[121:122], v[123:124]
	v_mov_b32_e32 v124, 0x120
	scratch_store_b64 v120, v[121:122], off
	scratch_load_b64 v[122:123], v119, off
	v_max_f64 v[120:121], v[18:19], v[18:19]
	v_min_f64 v[120:121], v[120:121], v[129:130]
	s_waitcnt vmcnt(0)
	s_delay_alu instid0(VALU_DEP_1) | instskip(SKIP_4) | instid1(VALU_DEP_1)
	v_add_f64 v[120:121], v[120:121], v[122:123]
	v_mov_b32_e32 v123, 0x128
	scratch_store_b64 v119, v[120:121], off
	scratch_load_b64 v[121:122], v118, off
	v_max_f64 v[119:120], v[20:21], v[20:21]
	v_min_f64 v[119:120], v[119:120], v[129:130]
	s_waitcnt vmcnt(0)
	s_delay_alu instid0(VALU_DEP_1) | instskip(SKIP_4) | instid1(VALU_DEP_1)
	v_add_f64 v[119:120], v[119:120], v[121:122]
	v_mov_b32_e32 v122, 0x130
	scratch_store_b64 v118, v[119:120], off
	scratch_load_b64 v[120:121], v117, off
	v_max_f64 v[118:119], v[22:23], v[22:23]
	v_min_f64 v[118:119], v[118:119], v[129:130]
	s_waitcnt vmcnt(0)
	s_delay_alu instid0(VALU_DEP_1) | instskip(SKIP_4) | instid1(VALU_DEP_1)
	v_add_f64 v[118:119], v[118:119], v[120:121]
	v_mov_b32_e32 v121, 0x138
	scratch_store_b64 v117, v[118:119], off
	scratch_load_b64 v[119:120], v116, off
	v_max_f64 v[117:118], v[24:25], v[24:25]
	v_min_f64 v[117:118], v[117:118], v[129:130]
	s_waitcnt vmcnt(0)
	s_delay_alu instid0(VALU_DEP_1) | instskip(SKIP_4) | instid1(VALU_DEP_1)
	v_add_f64 v[117:118], v[117:118], v[119:120]
	v_mov_b32_e32 v120, 0x140
	scratch_store_b64 v116, v[117:118], off
	scratch_load_b64 v[118:119], v115, off
	v_max_f64 v[116:117], v[26:27], v[26:27]
	v_min_f64 v[116:117], v[116:117], v[129:130]
	s_waitcnt vmcnt(0)
	s_delay_alu instid0(VALU_DEP_1) | instskip(SKIP_4) | instid1(VALU_DEP_1)
	v_add_f64 v[116:117], v[116:117], v[118:119]
	v_mov_b32_e32 v119, 0x148
	scratch_store_b64 v115, v[116:117], off
	scratch_load_b64 v[117:118], v114, off
	v_max_f64 v[115:116], v[28:29], v[28:29]
	v_min_f64 v[115:116], v[115:116], v[129:130]
	s_waitcnt vmcnt(0)
	s_delay_alu instid0(VALU_DEP_1) | instskip(SKIP_4) | instid1(VALU_DEP_1)
	v_add_f64 v[115:116], v[115:116], v[117:118]
	v_mov_b32_e32 v118, 0x150
	scratch_store_b64 v114, v[115:116], off
	scratch_load_b64 v[116:117], v113, off
	v_max_f64 v[114:115], v[30:31], v[30:31]
	v_min_f64 v[114:115], v[114:115], v[129:130]
	s_waitcnt vmcnt(0)
	s_delay_alu instid0(VALU_DEP_1) | instskip(SKIP_4) | instid1(VALU_DEP_1)
	v_add_f64 v[114:115], v[114:115], v[116:117]
	v_mov_b32_e32 v117, 0x158
	scratch_store_b64 v113, v[114:115], off
	scratch_load_b64 v[115:116], v112, off
	v_max_f64 v[113:114], v[32:33], v[32:33]
	v_min_f64 v[113:114], v[113:114], v[129:130]
	s_waitcnt vmcnt(0)
	s_delay_alu instid0(VALU_DEP_1) | instskip(SKIP_4) | instid1(VALU_DEP_1)
	v_add_f64 v[113:114], v[113:114], v[115:116]
	v_mov_b32_e32 v116, 0x160
	scratch_store_b64 v112, v[113:114], off
	scratch_load_b64 v[114:115], v111, off
	v_max_f64 v[112:113], v[34:35], v[34:35]
	v_min_f64 v[112:113], v[112:113], v[129:130]
	s_waitcnt vmcnt(0)
	s_delay_alu instid0(VALU_DEP_1) | instskip(SKIP_4) | instid1(VALU_DEP_1)
	v_add_f64 v[112:113], v[112:113], v[114:115]
	v_mov_b32_e32 v115, 0x168
	scratch_store_b64 v111, v[112:113], off
	scratch_load_b64 v[113:114], v110, off
	v_max_f64 v[111:112], v[36:37], v[36:37]
	v_min_f64 v[111:112], v[111:112], v[129:130]
	s_waitcnt vmcnt(0)
	s_delay_alu instid0(VALU_DEP_1) | instskip(SKIP_4) | instid1(VALU_DEP_1)
	v_add_f64 v[111:112], v[111:112], v[113:114]
	v_mov_b32_e32 v114, 0x170
	scratch_store_b64 v110, v[111:112], off
	scratch_load_b64 v[112:113], v109, off
	v_max_f64 v[110:111], v[38:39], v[38:39]
	v_min_f64 v[110:111], v[110:111], v[129:130]
	s_waitcnt vmcnt(0)
	s_delay_alu instid0(VALU_DEP_1) | instskip(SKIP_4) | instid1(VALU_DEP_1)
	v_add_f64 v[110:111], v[110:111], v[112:113]
	v_mov_b32_e32 v113, 0x178
	scratch_store_b64 v109, v[110:111], off
	scratch_load_b64 v[111:112], v108, off
	v_max_f64 v[109:110], v[40:41], v[40:41]
	v_min_f64 v[109:110], v[109:110], v[129:130]
	s_waitcnt vmcnt(0)
	s_delay_alu instid0(VALU_DEP_1) | instskip(SKIP_4) | instid1(VALU_DEP_1)
	v_add_f64 v[109:110], v[109:110], v[111:112]
	v_mov_b32_e32 v112, 0x180
	scratch_store_b64 v108, v[109:110], off
	scratch_load_b64 v[110:111], v107, off
	v_max_f64 v[108:109], v[42:43], v[42:43]
	v_min_f64 v[108:109], v[108:109], v[129:130]
	s_waitcnt vmcnt(0)
	s_delay_alu instid0(VALU_DEP_1) | instskip(SKIP_4) | instid1(VALU_DEP_1)
	v_add_f64 v[108:109], v[108:109], v[110:111]
	v_mov_b32_e32 v111, 0x188
	scratch_store_b64 v107, v[108:109], off
	scratch_load_b64 v[109:110], v106, off
	v_max_f64 v[107:108], v[44:45], v[44:45]
	v_min_f64 v[107:108], v[107:108], v[129:130]
	s_waitcnt vmcnt(0)
	s_delay_alu instid0(VALU_DEP_1) | instskip(SKIP_4) | instid1(VALU_DEP_1)
	v_add_f64 v[107:108], v[107:108], v[109:110]
	v_mov_b32_e32 v110, 0x190
	scratch_store_b64 v106, v[107:108], off
	scratch_load_b64 v[108:109], v105, off
	v_max_f64 v[106:107], v[46:47], v[46:47]
	v_min_f64 v[106:107], v[106:107], v[129:130]
	s_waitcnt vmcnt(0)
	s_delay_alu instid0(VALU_DEP_1) | instskip(SKIP_4) | instid1(VALU_DEP_1)
	v_add_f64 v[106:107], v[106:107], v[108:109]
	v_mov_b32_e32 v109, 0x198
	scratch_store_b64 v105, v[106:107], off
	scratch_load_b64 v[107:108], v104, off
	v_max_f64 v[105:106], v[48:49], v[48:49]
	v_min_f64 v[105:106], v[105:106], v[129:130]
	s_waitcnt vmcnt(0)
	s_delay_alu instid0(VALU_DEP_1) | instskip(SKIP_4) | instid1(VALU_DEP_1)
	v_add_f64 v[105:106], v[105:106], v[107:108]
	v_mov_b32_e32 v108, 0x1a0
	scratch_store_b64 v104, v[105:106], off
	scratch_load_b64 v[106:107], v103, off
	v_max_f64 v[104:105], v[50:51], v[50:51]
	v_min_f64 v[104:105], v[104:105], v[129:130]
	s_waitcnt vmcnt(0)
	s_delay_alu instid0(VALU_DEP_1) | instskip(SKIP_4) | instid1(VALU_DEP_1)
	v_add_f64 v[104:105], v[104:105], v[106:107]
	v_mov_b32_e32 v107, 0x1a8
	scratch_store_b64 v103, v[104:105], off
	scratch_load_b64 v[105:106], v102, off
	v_max_f64 v[103:104], v[52:53], v[52:53]
	v_min_f64 v[103:104], v[103:104], v[129:130]
	s_waitcnt vmcnt(0)
	s_delay_alu instid0(VALU_DEP_1) | instskip(SKIP_4) | instid1(VALU_DEP_1)
	v_add_f64 v[103:104], v[103:104], v[105:106]
	v_mov_b32_e32 v106, 0x1b0
	scratch_store_b64 v102, v[103:104], off
	scratch_load_b64 v[104:105], v101, off
	v_max_f64 v[102:103], v[54:55], v[54:55]
	v_min_f64 v[102:103], v[102:103], v[129:130]
	s_waitcnt vmcnt(0)
	s_delay_alu instid0(VALU_DEP_1) | instskip(SKIP_4) | instid1(VALU_DEP_1)
	v_add_f64 v[102:103], v[102:103], v[104:105]
	v_mov_b32_e32 v105, 0x1b8
	scratch_store_b64 v101, v[102:103], off
	scratch_load_b64 v[103:104], v100, off
	v_max_f64 v[101:102], v[56:57], v[56:57]
	v_min_f64 v[101:102], v[101:102], v[129:130]
	s_waitcnt vmcnt(0)
	s_delay_alu instid0(VALU_DEP_1) | instskip(SKIP_4) | instid1(VALU_DEP_1)
	v_add_f64 v[101:102], v[101:102], v[103:104]
	v_mov_b32_e32 v104, 0x1c0
	scratch_store_b64 v100, v[101:102], off
	scratch_load_b64 v[102:103], v99, off
	v_max_f64 v[100:101], v[58:59], v[58:59]
	v_min_f64 v[100:101], v[100:101], v[129:130]
	s_waitcnt vmcnt(0)
	s_delay_alu instid0(VALU_DEP_1) | instskip(SKIP_4) | instid1(VALU_DEP_1)
	v_add_f64 v[100:101], v[100:101], v[102:103]
	v_mov_b32_e32 v103, 0x1c8
	scratch_store_b64 v99, v[100:101], off
	scratch_load_b64 v[101:102], v98, off
	v_max_f64 v[99:100], v[60:61], v[60:61]
	v_min_f64 v[99:100], v[99:100], v[129:130]
	s_waitcnt vmcnt(0)
	s_delay_alu instid0(VALU_DEP_1) | instskip(SKIP_4) | instid1(VALU_DEP_1)
	v_add_f64 v[99:100], v[99:100], v[101:102]
	v_mov_b32_e32 v102, 0x1d0
	scratch_store_b64 v98, v[99:100], off
	scratch_load_b64 v[100:101], v97, off
	v_max_f64 v[98:99], v[62:63], v[62:63]
	v_min_f64 v[98:99], v[98:99], v[129:130]
	s_waitcnt vmcnt(0)
	s_delay_alu instid0(VALU_DEP_1)
	v_add_f64 v[98:99], v[98:99], v[100:101]
	v_mov_b32_e32 v101, 0x1d8
	v_mov_b32_e32 v100, 0x1e0
	scratch_store_b64 v97, v[98:99], off
	v_mov_b32_e32 v99, 0x1e8
	v_mov_b32_e32 v98, 0x1f0
	;; [unrolled: 1-line block ×3, first 2 shown]
	s_cbranch_vccnz .LBB201_45
; %bb.46:                               ;   in Loop: Header=BB201_32 Depth=1
	ds_load_2addr_b64 v[0:3], v93 offset0:3 offset1:19
	ds_load_2addr_b64 v[4:7], v93 offset0:35 offset1:51
	;; [unrolled: 1-line block ×12, first 2 shown]
	v_dual_mov_b32 v127, 8 :: v_dual_add_nc_u32 v64, 24, v94
	ds_load_2addr_b64 v[48:51], v95 offset0:131 offset1:147
	ds_load_2addr_b64 v[52:55], v95 offset0:163 offset1:179
	;; [unrolled: 1-line block ×4, first 2 shown]
	ds_load_2addr_stride64_b64 v[64:67], v64 offset1:4
	v_dual_mov_b32 v128, 0 :: v_dual_mov_b32 v125, 24
	v_dual_mov_b32 v126, 16 :: v_dual_mov_b32 v123, 40
	;; [unrolled: 1-line block ×5, first 2 shown]
	v_mov_b32_e32 v118, 0x50
	v_mov_b32_e32 v116, 0x60
	;; [unrolled: 1-line block ×21, first 2 shown]
	s_mov_b64 s[6:7], 0
	s_mov_b32 s25, -1
.LBB201_47:                             ;   Parent Loop BB201_32 Depth=1
                                        ; =>  This Inner Loop Header: Depth=2
	scratch_load_b64 v[133:134], v128, off
	s_cmp_eq_u32 s6, 1
	s_waitcnt lgkmcnt(16)
	v_max_f64 v[131:132], v[0:1], v[0:1]
	s_cselect_b32 vcc_lo, -1, 0
	s_mov_b64 s[6:7], 1
	s_waitcnt lgkmcnt(0)
	v_dual_cndmask_b32 v130, v65, v67 :: v_dual_cndmask_b32 v129, v64, v66
	s_and_b32 vcc_lo, exec_lo, s25
	s_mov_b32 s25, 0
	s_delay_alu instid0(VALU_DEP_1) | instskip(NEXT) | instid1(VALU_DEP_1)
	v_max_f64 v[129:130], v[129:130], v[129:130]
	v_min_f64 v[131:132], v[131:132], v[129:130]
	s_waitcnt vmcnt(0)
	s_delay_alu instid0(VALU_DEP_1) | instskip(SKIP_3) | instid1(VALU_DEP_1)
	v_add_f64 v[131:132], v[133:134], v[131:132]
	scratch_load_b64 v[133:134], v127, off
	scratch_store_b64 v128, v[131:132], off
	v_max_f64 v[131:132], v[2:3], v[2:3]
	v_min_f64 v[131:132], v[131:132], v[129:130]
	s_waitcnt vmcnt(0)
	s_delay_alu instid0(VALU_DEP_1) | instskip(SKIP_3) | instid1(VALU_DEP_1)
	v_add_f64 v[131:132], v[131:132], v[133:134]
	scratch_store_b64 v127, v[131:132], off
	scratch_load_b64 v[131:132], v126, off
	v_max_f64 v[127:128], v[4:5], v[4:5]
	v_min_f64 v[127:128], v[127:128], v[129:130]
	s_waitcnt vmcnt(0)
	s_delay_alu instid0(VALU_DEP_1) | instskip(SKIP_3) | instid1(VALU_DEP_1)
	v_add_f64 v[127:128], v[127:128], v[131:132]
	scratch_load_b64 v[131:132], v125, off
	scratch_store_b64 v126, v[127:128], off
	v_max_f64 v[126:127], v[6:7], v[6:7]
	v_min_f64 v[126:127], v[126:127], v[129:130]
	s_waitcnt vmcnt(0)
	s_delay_alu instid0(VALU_DEP_1) | instskip(SKIP_3) | instid1(VALU_DEP_1)
	v_add_f64 v[126:127], v[126:127], v[131:132]
	scratch_store_b64 v125, v[126:127], off
	scratch_load_b64 v[127:128], v124, off
	v_max_f64 v[125:126], v[8:9], v[8:9]
	v_min_f64 v[125:126], v[125:126], v[129:130]
	s_waitcnt vmcnt(0)
	s_delay_alu instid0(VALU_DEP_1) | instskip(SKIP_4) | instid1(VALU_DEP_1)
	v_add_f64 v[125:126], v[125:126], v[127:128]
	v_mov_b32_e32 v128, 0x100
	scratch_store_b64 v124, v[125:126], off
	scratch_load_b64 v[126:127], v123, off
	v_max_f64 v[124:125], v[10:11], v[10:11]
	v_min_f64 v[124:125], v[124:125], v[129:130]
	s_waitcnt vmcnt(0)
	s_delay_alu instid0(VALU_DEP_1) | instskip(SKIP_4) | instid1(VALU_DEP_1)
	v_add_f64 v[124:125], v[124:125], v[126:127]
	v_mov_b32_e32 v127, 0x108
	;; [unrolled: 8-line block ×27, first 2 shown]
	scratch_store_b64 v98, v[99:100], off
	scratch_load_b64 v[100:101], v97, off
	v_max_f64 v[98:99], v[62:63], v[62:63]
	v_min_f64 v[98:99], v[98:99], v[129:130]
	s_waitcnt vmcnt(0)
	s_delay_alu instid0(VALU_DEP_1)
	v_add_f64 v[98:99], v[98:99], v[100:101]
	v_mov_b32_e32 v101, 0x1d8
	v_mov_b32_e32 v100, 0x1e0
	scratch_store_b64 v97, v[98:99], off
	v_mov_b32_e32 v99, 0x1e8
	v_mov_b32_e32 v98, 0x1f0
	;; [unrolled: 1-line block ×3, first 2 shown]
	s_cbranch_vccnz .LBB201_47
; %bb.48:                               ;   in Loop: Header=BB201_32 Depth=1
	v_or_b32_e32 v2, 4, v96
	ds_store_2addr_stride64_b64 v87, v[76:77], v[74:75] offset1:4
	v_mov_b32_e32 v74, 0
	v_mov_b32_e32 v75, 0
	ds_store_2addr_stride64_b64 v89, v[80:81], v[78:79] offset1:4
	v_min_i32_e32 v0, s14, v2
	v_cmp_le_i32_e32 vcc_lo, s38, v2
	s_waitcnt lgkmcnt(0)
	s_waitcnt_vscnt null, 0x0
	v_dual_mov_b32 v77, v75 :: v_dual_mov_b32 v76, v74
	v_ashrrev_i32_e32 v1, 31, v0
	s_or_b32 s7, s2, vcc_lo
	s_barrier
	buffer_gl0_inv
	v_lshlrev_b64 v[0:1], 3, v[0:1]
	s_delay_alu instid0(VALU_DEP_1) | instskip(NEXT) | instid1(VALU_DEP_1)
	v_add_co_u32 v0, s6, s22, v0
	v_add_co_ci_u32_e64 v1, s6, s23, v1, s6
	s_or_b32 s6, s13, s7
	s_delay_alu instid0(SALU_CYCLE_1) | instskip(NEXT) | instid1(SALU_CYCLE_1)
	s_xor_b32 s6, s6, -1
	s_and_saveexec_b32 s7, s6
	s_delay_alu instid0(SALU_CYCLE_1)
	s_xor_b32 s7, exec_lo, s7
	s_cbranch_execz .LBB201_50
; %bb.49:                               ;   in Loop: Header=BB201_32 Depth=1
	v_add_co_u32 v2, s6, v0, v68
	s_delay_alu instid0(VALU_DEP_1)
	v_add_co_ci_u32_e64 v3, s6, v1, v69, s6
	flat_load_b64 v[2:3], v[2:3]
	s_waitcnt vmcnt(0) lgkmcnt(0)
	v_mul_f64 v[76:77], s[20:21], v[2:3]
.LBB201_50:                             ;   in Loop: Header=BB201_32 Depth=1
	s_or_b32 exec_lo, exec_lo, s7
	s_or_b32 s6, s3, vcc_lo
	s_delay_alu instid0(SALU_CYCLE_1) | instskip(NEXT) | instid1(SALU_CYCLE_1)
	s_or_b32 s6, s13, s6
	s_xor_b32 s7, s6, -1
	s_delay_alu instid0(SALU_CYCLE_1)
	s_and_saveexec_b32 s6, s7
	s_cbranch_execz .LBB201_52
; %bb.51:                               ;   in Loop: Header=BB201_32 Depth=1
	v_add_co_u32 v0, vcc_lo, v0, v70
	v_add_co_ci_u32_e32 v1, vcc_lo, v1, v71, vcc_lo
	flat_load_b64 v[0:1], v[0:1]
	s_waitcnt vmcnt(0) lgkmcnt(0)
	v_mul_f64 v[74:75], s[20:21], v[0:1]
.LBB201_52:                             ;   in Loop: Header=BB201_32 Depth=1
	s_or_b32 exec_lo, exec_lo, s6
	v_add3_u32 v2, v85, s16, 4
	v_mov_b32_e32 v78, 0
	v_mov_b32_e32 v79, 0
	s_delay_alu instid0(VALU_DEP_3) | instskip(SKIP_1) | instid1(VALU_DEP_3)
	v_min_i32_e32 v3, s14, v2
	v_cmp_le_i32_e32 vcc_lo, s38, v2
	v_dual_mov_b32 v81, v79 :: v_dual_mov_b32 v80, v78
	s_delay_alu instid0(VALU_DEP_3) | instskip(SKIP_1) | instid1(VALU_DEP_1)
	v_mad_i64_i32 v[0:1], null, v3, s15, 0
	s_or_b32 s7, s4, vcc_lo
	v_lshlrev_b64 v[0:1], 3, v[0:1]
	s_delay_alu instid0(VALU_DEP_1) | instskip(NEXT) | instid1(VALU_DEP_1)
	v_add_co_u32 v0, s6, s18, v0
	v_add_co_ci_u32_e64 v1, s6, s19, v1, s6
	s_or_b32 s6, s13, s7
	s_delay_alu instid0(SALU_CYCLE_1) | instskip(NEXT) | instid1(SALU_CYCLE_1)
	s_xor_b32 s6, s6, -1
	s_and_saveexec_b32 s7, s6
	s_cbranch_execz .LBB201_54
; %bb.53:                               ;   in Loop: Header=BB201_32 Depth=1
	v_add_co_u32 v2, s6, v0, v72
	s_delay_alu instid0(VALU_DEP_1)
	v_add_co_ci_u32_e64 v3, s6, v1, v73, s6
	flat_load_b64 v[2:3], v[2:3]
	s_waitcnt vmcnt(0) lgkmcnt(0)
	v_mul_f64 v[80:81], s[20:21], v[2:3]
.LBB201_54:                             ;   in Loop: Header=BB201_32 Depth=1
	s_or_b32 exec_lo, exec_lo, s7
	s_or_b32 s6, s5, vcc_lo
	s_delay_alu instid0(SALU_CYCLE_1) | instskip(NEXT) | instid1(SALU_CYCLE_1)
	s_or_b32 s6, s13, s6
	s_xor_b32 s7, s6, -1
	s_delay_alu instid0(SALU_CYCLE_1)
	s_and_saveexec_b32 s6, s7
	s_cbranch_execz .LBB201_56
; %bb.55:                               ;   in Loop: Header=BB201_32 Depth=1
	v_add_co_u32 v0, vcc_lo, v0, v72
	v_add_co_ci_u32_e32 v1, vcc_lo, v1, v73, vcc_lo
	flat_load_b64 v[0:1], v[0:1] offset:512
	s_waitcnt vmcnt(0) lgkmcnt(0)
	v_mul_f64 v[78:79], s[20:21], v[0:1]
.LBB201_56:                             ;   in Loop: Header=BB201_32 Depth=1
	s_or_b32 exec_lo, exec_lo, s6
	v_dual_mov_b32 v127, 8 :: v_dual_add_nc_u32 v96, 0x800, v86
	ds_load_2addr_b64 v[0:3], v86 offset1:16
	ds_load_2addr_b64 v[4:7], v86 offset0:32 offset1:48
	ds_load_2addr_b64 v[8:11], v86 offset0:64 offset1:80
	;; [unrolled: 1-line block ×7, first 2 shown]
	ds_load_2addr_b64 v[32:35], v96 offset1:16
	ds_load_2addr_b64 v[36:39], v96 offset0:32 offset1:48
	ds_load_2addr_b64 v[40:43], v96 offset0:64 offset1:80
	;; [unrolled: 1-line block ×7, first 2 shown]
	ds_load_2addr_stride64_b64 v[64:67], v90 offset1:4
	v_dual_mov_b32 v128, 0 :: v_dual_mov_b32 v125, 24
	v_dual_mov_b32 v126, 16 :: v_dual_mov_b32 v123, 40
	;; [unrolled: 1-line block ×5, first 2 shown]
	v_mov_b32_e32 v118, 0x50
	v_mov_b32_e32 v116, 0x60
	;; [unrolled: 1-line block ×21, first 2 shown]
	s_mov_b64 s[6:7], 0
	s_mov_b32 s25, -1
.LBB201_57:                             ;   Parent Loop BB201_32 Depth=1
                                        ; =>  This Inner Loop Header: Depth=2
	scratch_load_b64 v[133:134], v128, off
	s_cmp_eq_u32 s6, 1
	s_waitcnt lgkmcnt(16)
	v_max_f64 v[131:132], v[0:1], v[0:1]
	s_cselect_b32 vcc_lo, -1, 0
	s_mov_b64 s[6:7], 1
	s_waitcnt lgkmcnt(0)
	v_dual_cndmask_b32 v130, v65, v67 :: v_dual_cndmask_b32 v129, v64, v66
	s_and_b32 vcc_lo, exec_lo, s25
	s_mov_b32 s25, 0
	s_delay_alu instid0(VALU_DEP_1) | instskip(NEXT) | instid1(VALU_DEP_1)
	v_max_f64 v[129:130], v[129:130], v[129:130]
	v_min_f64 v[131:132], v[131:132], v[129:130]
	s_waitcnt vmcnt(0)
	s_delay_alu instid0(VALU_DEP_1) | instskip(SKIP_3) | instid1(VALU_DEP_1)
	v_add_f64 v[131:132], v[133:134], v[131:132]
	scratch_load_b64 v[133:134], v127, off
	scratch_store_b64 v128, v[131:132], off
	v_max_f64 v[131:132], v[2:3], v[2:3]
	v_min_f64 v[131:132], v[131:132], v[129:130]
	s_waitcnt vmcnt(0)
	s_delay_alu instid0(VALU_DEP_1) | instskip(SKIP_3) | instid1(VALU_DEP_1)
	v_add_f64 v[131:132], v[131:132], v[133:134]
	scratch_store_b64 v127, v[131:132], off
	scratch_load_b64 v[131:132], v126, off
	v_max_f64 v[127:128], v[4:5], v[4:5]
	v_min_f64 v[127:128], v[127:128], v[129:130]
	s_waitcnt vmcnt(0)
	s_delay_alu instid0(VALU_DEP_1) | instskip(SKIP_3) | instid1(VALU_DEP_1)
	v_add_f64 v[127:128], v[127:128], v[131:132]
	scratch_load_b64 v[131:132], v125, off
	scratch_store_b64 v126, v[127:128], off
	v_max_f64 v[126:127], v[6:7], v[6:7]
	v_min_f64 v[126:127], v[126:127], v[129:130]
	s_waitcnt vmcnt(0)
	s_delay_alu instid0(VALU_DEP_1) | instskip(SKIP_3) | instid1(VALU_DEP_1)
	v_add_f64 v[126:127], v[126:127], v[131:132]
	scratch_store_b64 v125, v[126:127], off
	scratch_load_b64 v[127:128], v124, off
	v_max_f64 v[125:126], v[8:9], v[8:9]
	v_min_f64 v[125:126], v[125:126], v[129:130]
	s_waitcnt vmcnt(0)
	s_delay_alu instid0(VALU_DEP_1) | instskip(SKIP_4) | instid1(VALU_DEP_1)
	v_add_f64 v[125:126], v[125:126], v[127:128]
	v_mov_b32_e32 v128, 0x100
	scratch_store_b64 v124, v[125:126], off
	scratch_load_b64 v[126:127], v123, off
	v_max_f64 v[124:125], v[10:11], v[10:11]
	v_min_f64 v[124:125], v[124:125], v[129:130]
	s_waitcnt vmcnt(0)
	s_delay_alu instid0(VALU_DEP_1) | instskip(SKIP_4) | instid1(VALU_DEP_1)
	v_add_f64 v[124:125], v[124:125], v[126:127]
	v_mov_b32_e32 v127, 0x108
	;; [unrolled: 8-line block ×27, first 2 shown]
	scratch_store_b64 v98, v[99:100], off
	scratch_load_b64 v[100:101], v97, off
	v_max_f64 v[98:99], v[62:63], v[62:63]
	v_min_f64 v[98:99], v[98:99], v[129:130]
	s_waitcnt vmcnt(0)
	s_delay_alu instid0(VALU_DEP_1)
	v_add_f64 v[98:99], v[98:99], v[100:101]
	v_mov_b32_e32 v101, 0x1d8
	v_mov_b32_e32 v100, 0x1e0
	scratch_store_b64 v97, v[98:99], off
	v_mov_b32_e32 v99, 0x1e8
	v_mov_b32_e32 v98, 0x1f0
	;; [unrolled: 1-line block ×3, first 2 shown]
	s_cbranch_vccnz .LBB201_57
; %bb.58:                               ;   in Loop: Header=BB201_32 Depth=1
	ds_load_2addr_b64 v[0:3], v86 offset0:1 offset1:17
	ds_load_2addr_b64 v[4:7], v86 offset0:33 offset1:49
	;; [unrolled: 1-line block ×12, first 2 shown]
	v_dual_mov_b32 v127, 8 :: v_dual_add_nc_u32 v64, 8, v90
	ds_load_2addr_b64 v[48:51], v96 offset0:129 offset1:145
	ds_load_2addr_b64 v[52:55], v96 offset0:161 offset1:177
	;; [unrolled: 1-line block ×4, first 2 shown]
	ds_load_2addr_stride64_b64 v[64:67], v64 offset1:4
	v_dual_mov_b32 v128, 0 :: v_dual_mov_b32 v125, 24
	v_dual_mov_b32 v126, 16 :: v_dual_mov_b32 v123, 40
	;; [unrolled: 1-line block ×5, first 2 shown]
	v_mov_b32_e32 v118, 0x50
	v_mov_b32_e32 v116, 0x60
	;; [unrolled: 1-line block ×21, first 2 shown]
	s_mov_b64 s[6:7], 0
	s_mov_b32 s25, -1
.LBB201_59:                             ;   Parent Loop BB201_32 Depth=1
                                        ; =>  This Inner Loop Header: Depth=2
	scratch_load_b64 v[133:134], v128, off
	s_cmp_eq_u32 s6, 1
	s_waitcnt lgkmcnt(16)
	v_max_f64 v[131:132], v[0:1], v[0:1]
	s_cselect_b32 vcc_lo, -1, 0
	s_mov_b64 s[6:7], 1
	s_waitcnt lgkmcnt(0)
	v_dual_cndmask_b32 v130, v65, v67 :: v_dual_cndmask_b32 v129, v64, v66
	s_and_b32 vcc_lo, exec_lo, s25
	s_mov_b32 s25, 0
	s_delay_alu instid0(VALU_DEP_1) | instskip(NEXT) | instid1(VALU_DEP_1)
	v_max_f64 v[129:130], v[129:130], v[129:130]
	v_min_f64 v[131:132], v[131:132], v[129:130]
	s_waitcnt vmcnt(0)
	s_delay_alu instid0(VALU_DEP_1) | instskip(SKIP_3) | instid1(VALU_DEP_1)
	v_add_f64 v[131:132], v[133:134], v[131:132]
	scratch_load_b64 v[133:134], v127, off
	scratch_store_b64 v128, v[131:132], off
	v_max_f64 v[131:132], v[2:3], v[2:3]
	v_min_f64 v[131:132], v[131:132], v[129:130]
	s_waitcnt vmcnt(0)
	s_delay_alu instid0(VALU_DEP_1) | instskip(SKIP_3) | instid1(VALU_DEP_1)
	v_add_f64 v[131:132], v[131:132], v[133:134]
	scratch_store_b64 v127, v[131:132], off
	scratch_load_b64 v[131:132], v126, off
	v_max_f64 v[127:128], v[4:5], v[4:5]
	v_min_f64 v[127:128], v[127:128], v[129:130]
	s_waitcnt vmcnt(0)
	s_delay_alu instid0(VALU_DEP_1) | instskip(SKIP_3) | instid1(VALU_DEP_1)
	v_add_f64 v[127:128], v[127:128], v[131:132]
	scratch_load_b64 v[131:132], v125, off
	scratch_store_b64 v126, v[127:128], off
	v_max_f64 v[126:127], v[6:7], v[6:7]
	v_min_f64 v[126:127], v[126:127], v[129:130]
	s_waitcnt vmcnt(0)
	s_delay_alu instid0(VALU_DEP_1) | instskip(SKIP_3) | instid1(VALU_DEP_1)
	v_add_f64 v[126:127], v[126:127], v[131:132]
	scratch_store_b64 v125, v[126:127], off
	scratch_load_b64 v[127:128], v124, off
	v_max_f64 v[125:126], v[8:9], v[8:9]
	v_min_f64 v[125:126], v[125:126], v[129:130]
	s_waitcnt vmcnt(0)
	s_delay_alu instid0(VALU_DEP_1) | instskip(SKIP_4) | instid1(VALU_DEP_1)
	v_add_f64 v[125:126], v[125:126], v[127:128]
	v_mov_b32_e32 v128, 0x100
	scratch_store_b64 v124, v[125:126], off
	scratch_load_b64 v[126:127], v123, off
	v_max_f64 v[124:125], v[10:11], v[10:11]
	v_min_f64 v[124:125], v[124:125], v[129:130]
	s_waitcnt vmcnt(0)
	s_delay_alu instid0(VALU_DEP_1) | instskip(SKIP_4) | instid1(VALU_DEP_1)
	v_add_f64 v[124:125], v[124:125], v[126:127]
	v_mov_b32_e32 v127, 0x108
	;; [unrolled: 8-line block ×27, first 2 shown]
	scratch_store_b64 v98, v[99:100], off
	scratch_load_b64 v[100:101], v97, off
	v_max_f64 v[98:99], v[62:63], v[62:63]
	v_min_f64 v[98:99], v[98:99], v[129:130]
	s_waitcnt vmcnt(0)
	s_delay_alu instid0(VALU_DEP_1)
	v_add_f64 v[98:99], v[98:99], v[100:101]
	v_mov_b32_e32 v101, 0x1d8
	v_mov_b32_e32 v100, 0x1e0
	scratch_store_b64 v97, v[98:99], off
	v_mov_b32_e32 v99, 0x1e8
	v_mov_b32_e32 v98, 0x1f0
	;; [unrolled: 1-line block ×3, first 2 shown]
	s_cbranch_vccnz .LBB201_59
; %bb.60:                               ;   in Loop: Header=BB201_32 Depth=1
	ds_load_2addr_b64 v[0:3], v86 offset0:2 offset1:18
	ds_load_2addr_b64 v[4:7], v86 offset0:34 offset1:50
	;; [unrolled: 1-line block ×12, first 2 shown]
	v_dual_mov_b32 v127, 8 :: v_dual_add_nc_u32 v64, 16, v90
	ds_load_2addr_b64 v[48:51], v96 offset0:130 offset1:146
	ds_load_2addr_b64 v[52:55], v96 offset0:162 offset1:178
	;; [unrolled: 1-line block ×4, first 2 shown]
	ds_load_2addr_stride64_b64 v[64:67], v64 offset1:4
	v_dual_mov_b32 v128, 0 :: v_dual_mov_b32 v125, 24
	v_dual_mov_b32 v126, 16 :: v_dual_mov_b32 v123, 40
	;; [unrolled: 1-line block ×5, first 2 shown]
	v_mov_b32_e32 v118, 0x50
	v_mov_b32_e32 v116, 0x60
	v_mov_b32_e32 v115, 0x68
	v_mov_b32_e32 v114, 0x70
	v_mov_b32_e32 v113, 0x78
	v_mov_b32_e32 v112, 0x80
	v_mov_b32_e32 v111, 0x88
	v_mov_b32_e32 v110, 0x90
	v_mov_b32_e32 v109, 0x98
	v_mov_b32_e32 v108, 0xa0
	v_mov_b32_e32 v107, 0xa8
	v_mov_b32_e32 v106, 0xb0
	v_mov_b32_e32 v105, 0xb8
	v_mov_b32_e32 v104, 0xc0
	v_mov_b32_e32 v103, 0xc8
	v_mov_b32_e32 v102, 0xd0
	v_mov_b32_e32 v101, 0xd8
	v_mov_b32_e32 v100, 0xe0
	v_mov_b32_e32 v99, 0xe8
	v_mov_b32_e32 v98, 0xf0
	v_mov_b32_e32 v97, 0xf8
	s_mov_b64 s[6:7], 0
	s_mov_b32 s25, -1
.LBB201_61:                             ;   Parent Loop BB201_32 Depth=1
                                        ; =>  This Inner Loop Header: Depth=2
	scratch_load_b64 v[133:134], v128, off
	s_cmp_eq_u32 s6, 1
	s_waitcnt lgkmcnt(16)
	v_max_f64 v[131:132], v[0:1], v[0:1]
	s_cselect_b32 vcc_lo, -1, 0
	s_mov_b64 s[6:7], 1
	s_waitcnt lgkmcnt(0)
	v_dual_cndmask_b32 v130, v65, v67 :: v_dual_cndmask_b32 v129, v64, v66
	s_and_b32 vcc_lo, exec_lo, s25
	s_mov_b32 s25, 0
	s_delay_alu instid0(VALU_DEP_1) | instskip(NEXT) | instid1(VALU_DEP_1)
	v_max_f64 v[129:130], v[129:130], v[129:130]
	v_min_f64 v[131:132], v[131:132], v[129:130]
	s_waitcnt vmcnt(0)
	s_delay_alu instid0(VALU_DEP_1) | instskip(SKIP_3) | instid1(VALU_DEP_1)
	v_add_f64 v[131:132], v[133:134], v[131:132]
	scratch_load_b64 v[133:134], v127, off
	scratch_store_b64 v128, v[131:132], off
	v_max_f64 v[131:132], v[2:3], v[2:3]
	v_min_f64 v[131:132], v[131:132], v[129:130]
	s_waitcnt vmcnt(0)
	s_delay_alu instid0(VALU_DEP_1) | instskip(SKIP_3) | instid1(VALU_DEP_1)
	v_add_f64 v[131:132], v[131:132], v[133:134]
	scratch_store_b64 v127, v[131:132], off
	scratch_load_b64 v[131:132], v126, off
	v_max_f64 v[127:128], v[4:5], v[4:5]
	v_min_f64 v[127:128], v[127:128], v[129:130]
	s_waitcnt vmcnt(0)
	s_delay_alu instid0(VALU_DEP_1) | instskip(SKIP_3) | instid1(VALU_DEP_1)
	v_add_f64 v[127:128], v[127:128], v[131:132]
	scratch_load_b64 v[131:132], v125, off
	scratch_store_b64 v126, v[127:128], off
	v_max_f64 v[126:127], v[6:7], v[6:7]
	v_min_f64 v[126:127], v[126:127], v[129:130]
	s_waitcnt vmcnt(0)
	s_delay_alu instid0(VALU_DEP_1) | instskip(SKIP_3) | instid1(VALU_DEP_1)
	v_add_f64 v[126:127], v[126:127], v[131:132]
	scratch_store_b64 v125, v[126:127], off
	scratch_load_b64 v[127:128], v124, off
	v_max_f64 v[125:126], v[8:9], v[8:9]
	v_min_f64 v[125:126], v[125:126], v[129:130]
	s_waitcnt vmcnt(0)
	s_delay_alu instid0(VALU_DEP_1) | instskip(SKIP_4) | instid1(VALU_DEP_1)
	v_add_f64 v[125:126], v[125:126], v[127:128]
	v_mov_b32_e32 v128, 0x100
	scratch_store_b64 v124, v[125:126], off
	scratch_load_b64 v[126:127], v123, off
	v_max_f64 v[124:125], v[10:11], v[10:11]
	v_min_f64 v[124:125], v[124:125], v[129:130]
	s_waitcnt vmcnt(0)
	s_delay_alu instid0(VALU_DEP_1) | instskip(SKIP_4) | instid1(VALU_DEP_1)
	v_add_f64 v[124:125], v[124:125], v[126:127]
	v_mov_b32_e32 v127, 0x108
	;; [unrolled: 8-line block ×27, first 2 shown]
	scratch_store_b64 v98, v[99:100], off
	scratch_load_b64 v[100:101], v97, off
	v_max_f64 v[98:99], v[62:63], v[62:63]
	v_min_f64 v[98:99], v[98:99], v[129:130]
	s_waitcnt vmcnt(0)
	s_delay_alu instid0(VALU_DEP_1)
	v_add_f64 v[98:99], v[98:99], v[100:101]
	v_mov_b32_e32 v101, 0x1d8
	v_mov_b32_e32 v100, 0x1e0
	scratch_store_b64 v97, v[98:99], off
	v_mov_b32_e32 v99, 0x1e8
	v_mov_b32_e32 v98, 0x1f0
	;; [unrolled: 1-line block ×3, first 2 shown]
	s_cbranch_vccnz .LBB201_61
; %bb.62:                               ;   in Loop: Header=BB201_32 Depth=1
	ds_load_2addr_b64 v[0:3], v86 offset0:3 offset1:19
	ds_load_2addr_b64 v[4:7], v86 offset0:35 offset1:51
	;; [unrolled: 1-line block ×12, first 2 shown]
	v_dual_mov_b32 v127, 0 :: v_dual_add_nc_u32 v64, 24, v90
	ds_load_2addr_b64 v[48:51], v96 offset0:131 offset1:147
	ds_load_2addr_b64 v[52:55], v96 offset0:163 offset1:179
	ds_load_2addr_b64 v[56:59], v96 offset0:195 offset1:211
	ds_load_2addr_b64 v[60:63], v96 offset0:227 offset1:243
	ds_load_2addr_stride64_b64 v[64:67], v64 offset1:4
	v_dual_mov_b32 v126, 8 :: v_dual_mov_b32 v125, 16
	v_dual_mov_b32 v124, 24 :: v_dual_mov_b32 v123, 32
	;; [unrolled: 1-line block ×4, first 2 shown]
	v_mov_b32_e32 v118, 0x48
	v_mov_b32_e32 v117, 0x50
	;; [unrolled: 1-line block ×23, first 2 shown]
	s_mov_b64 s[6:7], 0
	s_mov_b32 s25, -1
.LBB201_63:                             ;   Parent Loop BB201_32 Depth=1
                                        ; =>  This Inner Loop Header: Depth=2
	scratch_load_b64 v[132:133], v127, off
	s_cmp_eq_u32 s6, 1
	s_waitcnt lgkmcnt(16)
	v_max_f64 v[130:131], v[0:1], v[0:1]
	s_cselect_b32 vcc_lo, -1, 0
	s_mov_b64 s[6:7], 1
	s_waitcnt lgkmcnt(0)
	v_dual_cndmask_b32 v129, v65, v67 :: v_dual_cndmask_b32 v128, v64, v66
	s_and_b32 vcc_lo, exec_lo, s25
	s_mov_b32 s25, 0
	s_delay_alu instid0(VALU_DEP_1) | instskip(NEXT) | instid1(VALU_DEP_1)
	v_max_f64 v[128:129], v[128:129], v[128:129]
	v_min_f64 v[130:131], v[130:131], v[128:129]
	s_waitcnt vmcnt(0)
	s_delay_alu instid0(VALU_DEP_1) | instskip(SKIP_3) | instid1(VALU_DEP_1)
	v_add_f64 v[130:131], v[132:133], v[130:131]
	scratch_load_b64 v[132:133], v126, off
	scratch_store_b64 v127, v[130:131], off
	v_max_f64 v[130:131], v[2:3], v[2:3]
	v_min_f64 v[130:131], v[130:131], v[128:129]
	s_waitcnt vmcnt(0)
	s_delay_alu instid0(VALU_DEP_1) | instskip(SKIP_3) | instid1(VALU_DEP_1)
	v_add_f64 v[130:131], v[130:131], v[132:133]
	scratch_store_b64 v126, v[130:131], off
	scratch_load_b64 v[130:131], v125, off
	v_max_f64 v[126:127], v[4:5], v[4:5]
	v_min_f64 v[126:127], v[126:127], v[128:129]
	s_waitcnt vmcnt(0)
	s_delay_alu instid0(VALU_DEP_1) | instskip(SKIP_3) | instid1(VALU_DEP_1)
	v_add_f64 v[126:127], v[126:127], v[130:131]
	scratch_load_b64 v[130:131], v124, off
	scratch_store_b64 v125, v[126:127], off
	v_max_f64 v[125:126], v[6:7], v[6:7]
	v_min_f64 v[125:126], v[125:126], v[128:129]
	s_waitcnt vmcnt(0)
	s_delay_alu instid0(VALU_DEP_1) | instskip(SKIP_3) | instid1(VALU_DEP_1)
	v_add_f64 v[125:126], v[125:126], v[130:131]
	scratch_store_b64 v124, v[125:126], off
	scratch_load_b64 v[126:127], v123, off
	v_max_f64 v[124:125], v[8:9], v[8:9]
	v_min_f64 v[124:125], v[124:125], v[128:129]
	s_waitcnt vmcnt(0)
	s_delay_alu instid0(VALU_DEP_1) | instskip(SKIP_4) | instid1(VALU_DEP_1)
	v_add_f64 v[124:125], v[124:125], v[126:127]
	v_mov_b32_e32 v127, 0x100
	scratch_store_b64 v123, v[124:125], off
	scratch_load_b64 v[125:126], v122, off
	v_max_f64 v[123:124], v[10:11], v[10:11]
	v_min_f64 v[123:124], v[123:124], v[128:129]
	s_waitcnt vmcnt(0)
	s_delay_alu instid0(VALU_DEP_1) | instskip(SKIP_4) | instid1(VALU_DEP_1)
	v_add_f64 v[123:124], v[123:124], v[125:126]
	v_mov_b32_e32 v126, 0x108
	;; [unrolled: 8-line block ×27, first 2 shown]
	scratch_store_b64 v97, v[98:99], off
	scratch_load_b64 v[99:100], v96, off
	v_max_f64 v[97:98], v[62:63], v[62:63]
	v_min_f64 v[97:98], v[97:98], v[128:129]
	s_waitcnt vmcnt(0)
	s_delay_alu instid0(VALU_DEP_1)
	v_add_f64 v[97:98], v[97:98], v[99:100]
	v_mov_b32_e32 v100, 0x1d8
	v_mov_b32_e32 v99, 0x1e0
	scratch_store_b64 v96, v[97:98], off
	v_mov_b32_e32 v98, 0x1e8
	v_mov_b32_e32 v97, 0x1f0
	;; [unrolled: 1-line block ×3, first 2 shown]
	s_cbranch_vccnz .LBB201_63
; %bb.64:                               ;   in Loop: Header=BB201_32 Depth=1
	s_add_i32 s24, s24, 8
	s_add_i32 s16, s16, 8
	s_cmp_ge_i32 s24, s17
	ds_store_2addr_stride64_b64 v91, v[76:77], v[74:75] offset1:4
	ds_store_2addr_stride64_b64 v92, v[80:81], v[78:79] offset1:4
	s_waitcnt lgkmcnt(0)
	s_waitcnt_vscnt null, 0x0
	s_barrier
	buffer_gl0_inv
	s_cbranch_scc0 .LBB201_32
.LBB201_65:
	v_dual_mov_b32 v71, 8 :: v_dual_add_nc_u32 v28, 0x1000, v86
	v_dual_mov_b32 v75, 40 :: v_dual_add_nc_u32 v60, 0x1800, v86
	;; [unrolled: 1-line block ×3, first 2 shown]
	ds_load_2addr_b64 v[0:3], v28 offset1:16
	ds_load_2addr_b64 v[4:7], v28 offset0:32 offset1:48
	ds_load_2addr_b64 v[8:11], v28 offset0:64 offset1:80
	;; [unrolled: 1-line block ×7, first 2 shown]
	ds_load_2addr_b64 v[32:35], v60 offset1:16
	ds_load_2addr_b64 v[36:39], v60 offset0:32 offset1:48
	ds_load_2addr_b64 v[40:43], v60 offset0:64 offset1:80
	;; [unrolled: 1-line block ×7, first 2 shown]
	ds_load_2addr_stride64_b64 v[64:67], v88 offset0:24 offset1:28
	v_dual_mov_b32 v70, 0 :: v_dual_add_nc_u32 v69, 0x3000, v88
	v_dual_mov_b32 v72, 16 :: v_dual_mov_b32 v77, 56
	v_dual_mov_b32 v74, 32 :: v_dual_mov_b32 v79, 0x48
	;; [unrolled: 1-line block ×4, first 2 shown]
	v_mov_b32_e32 v80, 0x50
	v_mov_b32_e32 v84, 0x60
	;; [unrolled: 1-line block ×20, first 2 shown]
	s_mov_b64 s[2:3], 0
	s_mov_b32 s4, -1
.LBB201_66:                             ; =>This Inner Loop Header: Depth=1
	scratch_load_b64 v[104:105], v70, off
	scratch_load_b64 v[106:107], v71, off
	;; [unrolled: 1-line block ×32, first 2 shown]
	s_cmp_eq_u32 s2, 1
	s_waitcnt lgkmcnt(16)
	v_max_f64 v[170:171], v[0:1], v[0:1]
	s_cselect_b32 vcc_lo, -1, 0
	v_max_f64 v[172:173], v[2:3], v[2:3]
	s_waitcnt lgkmcnt(0)
	v_dual_cndmask_b32 v169, v65, v67 :: v_dual_cndmask_b32 v168, v64, v66
	v_max_f64 v[174:175], v[4:5], v[4:5]
	v_max_f64 v[176:177], v[6:7], v[6:7]
	;; [unrolled: 1-line block ×31, first 2 shown]
	s_mov_b64 s[2:3], 1
	s_and_b32 vcc_lo, exec_lo, s4
	s_mov_b32 s4, 0
	v_min_f64 v[170:171], v[170:171], v[168:169]
	v_min_f64 v[172:173], v[172:173], v[168:169]
	;; [unrolled: 1-line block ×32, first 2 shown]
	s_waitcnt vmcnt(31)
	v_add_f64 v[104:105], v[104:105], v[170:171]
	s_waitcnt vmcnt(30)
	v_add_f64 v[106:107], v[172:173], v[106:107]
	;; [unrolled: 2-line block ×32, first 2 shown]
	scratch_store_b64 v70, v[104:105], off
	scratch_store_b64 v71, v[106:107], off
	;; [unrolled: 1-line block ×32, first 2 shown]
	v_mov_b32_e32 v70, 0x100
	v_mov_b32_e32 v71, 0x108
	;; [unrolled: 1-line block ×32, first 2 shown]
	s_cbranch_vccnz .LBB201_66
; %bb.67:
	v_dual_mov_b32 v71, 8 :: v_dual_add_nc_u32 v60, 0x800, v68
	ds_load_2addr_b64 v[0:3], v68 offset0:1 offset1:17
	ds_load_2addr_b64 v[4:7], v68 offset0:33 offset1:49
	;; [unrolled: 1-line block ×12, first 2 shown]
	v_dual_mov_b32 v73, 24 :: v_dual_add_nc_u32 v64, 8, v69
	ds_load_2addr_b64 v[48:51], v60 offset0:129 offset1:145
	ds_load_2addr_b64 v[52:55], v60 offset0:161 offset1:177
	;; [unrolled: 1-line block ×4, first 2 shown]
	ds_load_2addr_stride64_b64 v[64:67], v64 offset1:4
	v_dual_mov_b32 v70, 0 :: v_dual_mov_b32 v75, 40
	v_dual_mov_b32 v72, 16 :: v_dual_mov_b32 v77, 56
	;; [unrolled: 1-line block ×5, first 2 shown]
	v_mov_b32_e32 v80, 0x50
	v_mov_b32_e32 v84, 0x60
	;; [unrolled: 1-line block ×20, first 2 shown]
	s_mov_b64 s[2:3], 0
	s_mov_b32 s4, -1
.LBB201_68:                             ; =>This Inner Loop Header: Depth=1
	scratch_load_b64 v[104:105], v70, off
	scratch_load_b64 v[106:107], v71, off
	scratch_load_b64 v[108:109], v72, off
	scratch_load_b64 v[110:111], v73, off
	scratch_load_b64 v[112:113], v74, off
	scratch_load_b64 v[114:115], v75, off
	scratch_load_b64 v[116:117], v76, off
	scratch_load_b64 v[118:119], v77, off
	scratch_load_b64 v[120:121], v78, off
	scratch_load_b64 v[122:123], v79, off
	scratch_load_b64 v[124:125], v80, off
	scratch_load_b64 v[126:127], v81, off
	scratch_load_b64 v[128:129], v84, off
	scratch_load_b64 v[130:131], v85, off
	scratch_load_b64 v[132:133], v86, off
	scratch_load_b64 v[134:135], v87, off
	scratch_load_b64 v[136:137], v88, off
	scratch_load_b64 v[138:139], v89, off
	scratch_load_b64 v[140:141], v90, off
	scratch_load_b64 v[142:143], v91, off
	scratch_load_b64 v[144:145], v92, off
	scratch_load_b64 v[146:147], v93, off
	scratch_load_b64 v[148:149], v94, off
	scratch_load_b64 v[150:151], v95, off
	scratch_load_b64 v[152:153], v96, off
	scratch_load_b64 v[154:155], v97, off
	scratch_load_b64 v[156:157], v98, off
	scratch_load_b64 v[158:159], v99, off
	scratch_load_b64 v[160:161], v100, off
	scratch_load_b64 v[162:163], v101, off
	scratch_load_b64 v[164:165], v102, off
	scratch_load_b64 v[166:167], v103, off
	s_cmp_eq_u32 s2, 1
	s_waitcnt lgkmcnt(16)
	v_max_f64 v[170:171], v[0:1], v[0:1]
	s_cselect_b32 vcc_lo, -1, 0
	v_max_f64 v[172:173], v[2:3], v[2:3]
	s_waitcnt lgkmcnt(0)
	v_dual_cndmask_b32 v169, v65, v67 :: v_dual_cndmask_b32 v168, v64, v66
	v_max_f64 v[174:175], v[4:5], v[4:5]
	v_max_f64 v[176:177], v[6:7], v[6:7]
	;; [unrolled: 1-line block ×31, first 2 shown]
	s_mov_b64 s[2:3], 1
	s_and_b32 vcc_lo, exec_lo, s4
	s_mov_b32 s4, 0
	v_min_f64 v[170:171], v[170:171], v[168:169]
	v_min_f64 v[172:173], v[172:173], v[168:169]
	v_min_f64 v[174:175], v[174:175], v[168:169]
	v_min_f64 v[176:177], v[176:177], v[168:169]
	v_min_f64 v[178:179], v[178:179], v[168:169]
	v_min_f64 v[180:181], v[180:181], v[168:169]
	v_min_f64 v[182:183], v[182:183], v[168:169]
	v_min_f64 v[184:185], v[184:185], v[168:169]
	v_min_f64 v[186:187], v[186:187], v[168:169]
	v_min_f64 v[188:189], v[188:189], v[168:169]
	v_min_f64 v[190:191], v[190:191], v[168:169]
	v_min_f64 v[192:193], v[192:193], v[168:169]
	v_min_f64 v[194:195], v[194:195], v[168:169]
	v_min_f64 v[196:197], v[196:197], v[168:169]
	v_min_f64 v[198:199], v[198:199], v[168:169]
	v_min_f64 v[200:201], v[200:201], v[168:169]
	v_min_f64 v[202:203], v[202:203], v[168:169]
	v_min_f64 v[204:205], v[204:205], v[168:169]
	v_min_f64 v[206:207], v[206:207], v[168:169]
	v_min_f64 v[208:209], v[208:209], v[168:169]
	v_min_f64 v[210:211], v[210:211], v[168:169]
	v_min_f64 v[212:213], v[212:213], v[168:169]
	v_min_f64 v[214:215], v[214:215], v[168:169]
	v_min_f64 v[216:217], v[216:217], v[168:169]
	v_min_f64 v[218:219], v[218:219], v[168:169]
	v_min_f64 v[220:221], v[220:221], v[168:169]
	v_min_f64 v[222:223], v[222:223], v[168:169]
	v_min_f64 v[224:225], v[224:225], v[168:169]
	v_min_f64 v[226:227], v[226:227], v[168:169]
	v_min_f64 v[228:229], v[228:229], v[168:169]
	v_min_f64 v[230:231], v[230:231], v[168:169]
	v_min_f64 v[168:169], v[232:233], v[168:169]
	s_waitcnt vmcnt(31)
	v_add_f64 v[104:105], v[104:105], v[170:171]
	s_waitcnt vmcnt(30)
	v_add_f64 v[106:107], v[172:173], v[106:107]
	;; [unrolled: 2-line block ×32, first 2 shown]
	scratch_store_b64 v70, v[104:105], off
	scratch_store_b64 v71, v[106:107], off
	;; [unrolled: 1-line block ×32, first 2 shown]
	v_mov_b32_e32 v70, 0x100
	v_mov_b32_e32 v71, 0x108
	;; [unrolled: 1-line block ×32, first 2 shown]
	s_cbranch_vccnz .LBB201_68
; %bb.69:
	v_dual_mov_b32 v71, 8 :: v_dual_add_nc_u32 v60, 0x800, v68
	ds_load_2addr_b64 v[0:3], v68 offset0:2 offset1:18
	ds_load_2addr_b64 v[4:7], v68 offset0:34 offset1:50
	;; [unrolled: 1-line block ×12, first 2 shown]
	v_dual_mov_b32 v73, 24 :: v_dual_add_nc_u32 v64, 16, v69
	ds_load_2addr_b64 v[48:51], v60 offset0:130 offset1:146
	ds_load_2addr_b64 v[52:55], v60 offset0:162 offset1:178
	;; [unrolled: 1-line block ×4, first 2 shown]
	ds_load_2addr_stride64_b64 v[64:67], v64 offset1:4
	v_dual_mov_b32 v70, 0 :: v_dual_mov_b32 v75, 40
	v_dual_mov_b32 v72, 16 :: v_dual_mov_b32 v77, 56
	;; [unrolled: 1-line block ×5, first 2 shown]
	v_mov_b32_e32 v80, 0x50
	v_mov_b32_e32 v84, 0x60
	;; [unrolled: 1-line block ×20, first 2 shown]
	s_mov_b64 s[2:3], 0
	s_mov_b32 s4, -1
.LBB201_70:                             ; =>This Inner Loop Header: Depth=1
	scratch_load_b64 v[104:105], v70, off
	scratch_load_b64 v[106:107], v71, off
	;; [unrolled: 1-line block ×32, first 2 shown]
	s_cmp_eq_u32 s2, 1
	s_waitcnt lgkmcnt(16)
	v_max_f64 v[170:171], v[0:1], v[0:1]
	s_cselect_b32 vcc_lo, -1, 0
	v_max_f64 v[172:173], v[2:3], v[2:3]
	s_waitcnt lgkmcnt(0)
	v_dual_cndmask_b32 v169, v65, v67 :: v_dual_cndmask_b32 v168, v64, v66
	v_max_f64 v[174:175], v[4:5], v[4:5]
	v_max_f64 v[176:177], v[6:7], v[6:7]
	;; [unrolled: 1-line block ×31, first 2 shown]
	s_mov_b64 s[2:3], 1
	s_and_b32 vcc_lo, exec_lo, s4
	s_mov_b32 s4, 0
	v_min_f64 v[170:171], v[170:171], v[168:169]
	v_min_f64 v[172:173], v[172:173], v[168:169]
	v_min_f64 v[174:175], v[174:175], v[168:169]
	v_min_f64 v[176:177], v[176:177], v[168:169]
	v_min_f64 v[178:179], v[178:179], v[168:169]
	v_min_f64 v[180:181], v[180:181], v[168:169]
	v_min_f64 v[182:183], v[182:183], v[168:169]
	v_min_f64 v[184:185], v[184:185], v[168:169]
	v_min_f64 v[186:187], v[186:187], v[168:169]
	v_min_f64 v[188:189], v[188:189], v[168:169]
	v_min_f64 v[190:191], v[190:191], v[168:169]
	v_min_f64 v[192:193], v[192:193], v[168:169]
	v_min_f64 v[194:195], v[194:195], v[168:169]
	v_min_f64 v[196:197], v[196:197], v[168:169]
	v_min_f64 v[198:199], v[198:199], v[168:169]
	v_min_f64 v[200:201], v[200:201], v[168:169]
	v_min_f64 v[202:203], v[202:203], v[168:169]
	v_min_f64 v[204:205], v[204:205], v[168:169]
	v_min_f64 v[206:207], v[206:207], v[168:169]
	v_min_f64 v[208:209], v[208:209], v[168:169]
	v_min_f64 v[210:211], v[210:211], v[168:169]
	v_min_f64 v[212:213], v[212:213], v[168:169]
	v_min_f64 v[214:215], v[214:215], v[168:169]
	v_min_f64 v[216:217], v[216:217], v[168:169]
	v_min_f64 v[218:219], v[218:219], v[168:169]
	v_min_f64 v[220:221], v[220:221], v[168:169]
	v_min_f64 v[222:223], v[222:223], v[168:169]
	v_min_f64 v[224:225], v[224:225], v[168:169]
	v_min_f64 v[226:227], v[226:227], v[168:169]
	v_min_f64 v[228:229], v[228:229], v[168:169]
	v_min_f64 v[230:231], v[230:231], v[168:169]
	v_min_f64 v[168:169], v[232:233], v[168:169]
	s_waitcnt vmcnt(31)
	v_add_f64 v[104:105], v[104:105], v[170:171]
	s_waitcnt vmcnt(30)
	v_add_f64 v[106:107], v[172:173], v[106:107]
	;; [unrolled: 2-line block ×32, first 2 shown]
	scratch_store_b64 v70, v[104:105], off
	scratch_store_b64 v71, v[106:107], off
	;; [unrolled: 1-line block ×32, first 2 shown]
	v_mov_b32_e32 v70, 0x100
	v_mov_b32_e32 v71, 0x108
	;; [unrolled: 1-line block ×32, first 2 shown]
	s_cbranch_vccnz .LBB201_70
; %bb.71:
	v_add_nc_u32_e32 v60, 0x800, v68
	ds_load_2addr_b64 v[0:3], v68 offset0:3 offset1:19
	ds_load_2addr_b64 v[4:7], v68 offset0:35 offset1:51
	ds_load_2addr_b64 v[8:11], v68 offset0:67 offset1:83
	ds_load_2addr_b64 v[12:15], v68 offset0:99 offset1:115
	v_dual_mov_b32 v71, 24 :: v_dual_add_nc_u32 v64, 24, v69
	v_mov_b32_e32 v69, 8
	ds_load_2addr_b64 v[16:19], v68 offset0:131 offset1:147
	ds_load_2addr_b64 v[20:23], v68 offset0:163 offset1:179
	;; [unrolled: 1-line block ×12, first 2 shown]
	ds_load_2addr_stride64_b64 v[64:67], v64 offset1:4
	v_dual_mov_b32 v68, 0 :: v_dual_mov_b32 v73, 40
	v_dual_mov_b32 v70, 16 :: v_dual_mov_b32 v75, 56
	;; [unrolled: 1-line block ×5, first 2 shown]
	v_mov_b32_e32 v78, 0x50
	v_mov_b32_e32 v80, 0x60
	;; [unrolled: 1-line block ×20, first 2 shown]
	s_mov_b64 s[2:3], 0
	s_mov_b32 s4, -1
.LBB201_72:                             ; =>This Inner Loop Header: Depth=1
	scratch_load_b64 v[102:103], v68, off
	scratch_load_b64 v[104:105], v69, off
	;; [unrolled: 1-line block ×32, first 2 shown]
	s_cmp_eq_u32 s2, 1
	s_waitcnt lgkmcnt(16)
	v_max_f64 v[168:169], v[0:1], v[0:1]
	s_cselect_b32 vcc_lo, -1, 0
	v_max_f64 v[170:171], v[2:3], v[2:3]
	s_waitcnt lgkmcnt(0)
	v_dual_cndmask_b32 v167, v65, v67 :: v_dual_cndmask_b32 v166, v64, v66
	v_max_f64 v[172:173], v[4:5], v[4:5]
	v_max_f64 v[174:175], v[6:7], v[6:7]
	;; [unrolled: 1-line block ×31, first 2 shown]
	s_mov_b64 s[2:3], 1
	s_and_b32 vcc_lo, exec_lo, s4
	s_mov_b32 s4, 0
	v_min_f64 v[168:169], v[168:169], v[166:167]
	v_min_f64 v[170:171], v[170:171], v[166:167]
	;; [unrolled: 1-line block ×32, first 2 shown]
	s_waitcnt vmcnt(31)
	v_add_f64 v[102:103], v[102:103], v[168:169]
	s_waitcnt vmcnt(30)
	v_add_f64 v[104:105], v[170:171], v[104:105]
	;; [unrolled: 2-line block ×32, first 2 shown]
	scratch_store_b64 v68, v[102:103], off
	scratch_store_b64 v69, v[104:105], off
	;; [unrolled: 1-line block ×32, first 2 shown]
	v_mov_b32_e32 v68, 0x100
	v_mov_b32_e32 v69, 0x108
	;; [unrolled: 1-line block ×32, first 2 shown]
	s_cbranch_vccnz .LBB201_72
; %bb.73:
	s_clause 0x2
	s_load_b64 s[2:3], s[0:1], 0x78
	s_load_b32 s39, s[0:1], 0x58
	s_load_b32 s38, s[0:1], 0x70
	v_add_nc_u32_e32 v71, s9, v83
	v_add_nc_u32_e32 v0, s8, v82
	v_cndmask_b32_e64 v70, 0, 1, s42
	s_delay_alu instid0(VALU_DEP_3)
	v_cmp_gt_i32_e64 s8, s37, v71
	s_waitcnt lgkmcnt(0)
	s_mul_i32 s0, s12, s3
	v_mad_i64_i32 v[1:2], null, v71, s39, 0
	v_mad_i64_i32 v[3:4], null, v71, s38, 0
	s_mul_hi_u32 s1, s12, s2
	s_mul_i32 s2, s12, s2
	s_add_i32 s3, s1, s0
	v_cmp_gt_i32_e64 s0, s36, v0
	s_delay_alu instid0(VALU_DEP_3) | instskip(SKIP_1) | instid1(VALU_DEP_3)
	v_lshlrev_b64 v[5:6], 3, v[1:2]
	s_lshl_b64 s[2:3], s[2:3], 3
	v_lshlrev_b64 v[2:3], 3, v[3:4]
	s_add_u32 s43, s10, s2
	s_addc_u32 s44, s11, s3
	v_ashrrev_i32_e32 v1, 31, v0
	v_add_co_u32 v68, vcc_lo, s40, v5
	v_add_co_ci_u32_e32 v69, vcc_lo, s41, v6, vcc_lo
	v_add_co_u32 v72, vcc_lo, s43, v2
	v_add_co_ci_u32_e32 v73, vcc_lo, s44, v3, vcc_lo
	s_and_b32 s1, s8, s0
	s_delay_alu instid0(SALU_CYCLE_1) | instskip(NEXT) | instid1(SALU_CYCLE_1)
	s_and_saveexec_b32 s2, s1
	s_xor_b32 s1, exec_lo, s2
	s_cbranch_execz .LBB201_78
; %bb.74:
	scratch_load_b64 v[2:3], off, off
	v_lshlrev_b64 v[4:5], 3, v[0:1]
	s_and_not1_b32 vcc_lo, exec_lo, s42
	s_cbranch_vccnz .LBB201_76
; %bb.75:
	s_delay_alu instid0(VALU_DEP_1) | instskip(NEXT) | instid1(VALU_DEP_2)
	v_add_co_u32 v6, vcc_lo, v68, v4
	v_add_co_ci_u32_e32 v7, vcc_lo, v69, v5, vcc_lo
	flat_load_b64 v[6:7], v[6:7]
	s_waitcnt vmcnt(0) lgkmcnt(0)
	v_mul_f64 v[6:7], s[34:35], v[6:7]
	s_branch .LBB201_77
.LBB201_76:
	v_mov_b32_e32 v6, 0
	v_mov_b32_e32 v7, 0
.LBB201_77:
	s_waitcnt vmcnt(0)
	s_delay_alu instid0(VALU_DEP_1)
	v_add_f64 v[2:3], v[2:3], v[6:7]
	v_add_co_u32 v4, vcc_lo, v72, v4
	v_add_co_ci_u32_e32 v5, vcc_lo, v73, v5, vcc_lo
	global_store_b64 v[4:5], v[2:3], off
.LBB201_78:
	s_or_b32 exec_lo, exec_lo, s1
	v_add_nc_u32_e32 v2, 4, v0
	s_delay_alu instid0(VALU_DEP_1) | instskip(SKIP_1) | instid1(VALU_DEP_2)
	v_cmp_gt_i32_e64 s1, s36, v2
	v_ashrrev_i32_e32 v3, 31, v2
	s_and_b32 s3, s8, s1
	s_delay_alu instid0(SALU_CYCLE_1)
	s_and_saveexec_b32 s2, s3
	s_cbranch_execz .LBB201_83
; %bb.79:
	scratch_load_b64 v[4:5], off, off offset:8
	v_lshlrev_b64 v[6:7], 3, v[2:3]
	s_and_not1_b32 vcc_lo, exec_lo, s42
	s_cbranch_vccnz .LBB201_81
; %bb.80:
	s_delay_alu instid0(VALU_DEP_1) | instskip(NEXT) | instid1(VALU_DEP_2)
	v_add_co_u32 v8, vcc_lo, v68, v6
	v_add_co_ci_u32_e32 v9, vcc_lo, v69, v7, vcc_lo
	flat_load_b64 v[8:9], v[8:9]
	s_waitcnt vmcnt(0) lgkmcnt(0)
	v_mul_f64 v[8:9], s[34:35], v[8:9]
	s_branch .LBB201_82
.LBB201_81:
	v_mov_b32_e32 v8, 0
	v_mov_b32_e32 v9, 0
.LBB201_82:
	s_waitcnt vmcnt(0)
	s_delay_alu instid0(VALU_DEP_1)
	v_add_f64 v[4:5], v[4:5], v[8:9]
	v_add_co_u32 v6, vcc_lo, v72, v6
	v_add_co_ci_u32_e32 v7, vcc_lo, v73, v7, vcc_lo
	global_store_b64 v[6:7], v[4:5], off
.LBB201_83:
	s_or_b32 exec_lo, exec_lo, s2
	v_add_nc_u32_e32 v4, 8, v0
	s_delay_alu instid0(VALU_DEP_1) | instskip(SKIP_1) | instid1(VALU_DEP_2)
	v_cmp_gt_i32_e64 s2, s36, v4
	v_ashrrev_i32_e32 v5, 31, v4
	s_and_b32 s4, s8, s2
	s_delay_alu instid0(SALU_CYCLE_1)
	s_and_saveexec_b32 s3, s4
	s_cbranch_execz .LBB201_88
; %bb.84:
	scratch_load_b64 v[6:7], off, off offset:16
	v_lshlrev_b64 v[8:9], 3, v[4:5]
	s_and_not1_b32 vcc_lo, exec_lo, s42
	s_cbranch_vccnz .LBB201_86
; %bb.85:
	s_delay_alu instid0(VALU_DEP_1) | instskip(NEXT) | instid1(VALU_DEP_2)
	v_add_co_u32 v10, vcc_lo, v68, v8
	v_add_co_ci_u32_e32 v11, vcc_lo, v69, v9, vcc_lo
	flat_load_b64 v[10:11], v[10:11]
	s_waitcnt vmcnt(0) lgkmcnt(0)
	v_mul_f64 v[10:11], s[34:35], v[10:11]
	s_branch .LBB201_87
.LBB201_86:
	v_mov_b32_e32 v10, 0
	v_mov_b32_e32 v11, 0
.LBB201_87:
	s_waitcnt vmcnt(0)
	s_delay_alu instid0(VALU_DEP_1)
	v_add_f64 v[6:7], v[6:7], v[10:11]
	v_add_co_u32 v8, vcc_lo, v72, v8
	v_add_co_ci_u32_e32 v9, vcc_lo, v73, v9, vcc_lo
	global_store_b64 v[8:9], v[6:7], off
.LBB201_88:
	;; [unrolled: 33-line block ×31, first 2 shown]
	s_or_b32 exec_lo, exec_lo, s8
	v_add_nc_u32_e32 v68, 64, v71
	s_delay_alu instid0(VALU_DEP_1) | instskip(SKIP_2) | instid1(VALU_DEP_3)
	v_mad_i64_i32 v[64:65], null, v68, s39, 0
	v_mad_i64_i32 v[66:67], null, v68, s38, 0
	v_cmp_gt_i32_e64 s8, s37, v68
	v_lshlrev_b64 v[64:65], 3, v[64:65]
	s_delay_alu instid0(VALU_DEP_2) | instskip(NEXT) | instid1(VALU_DEP_3)
	s_and_b32 s0, s8, s0
	v_lshlrev_b64 v[66:67], 3, v[66:67]
	s_delay_alu instid0(VALU_DEP_2) | instskip(NEXT) | instid1(VALU_DEP_3)
	v_add_co_u32 v71, vcc_lo, s40, v64
	v_add_co_ci_u32_e32 v72, vcc_lo, s41, v65, vcc_lo
	s_delay_alu instid0(VALU_DEP_3) | instskip(NEXT) | instid1(VALU_DEP_4)
	v_add_co_u32 v68, vcc_lo, s43, v66
	v_add_co_ci_u32_e32 v69, vcc_lo, s44, v67, vcc_lo
	s_and_saveexec_b32 s36, s0
	s_delay_alu instid0(SALU_CYCLE_1)
	s_xor_b32 s0, exec_lo, s36
	s_cbranch_execnz .LBB201_266
; %bb.234:
	s_or_b32 exec_lo, exec_lo, s0
	s_and_b32 s1, s8, s1
	s_delay_alu instid0(SALU_CYCLE_1)
	s_and_saveexec_b32 s0, s1
	s_cbranch_execnz .LBB201_270
.LBB201_235:
	s_or_b32 exec_lo, exec_lo, s0
	s_and_b32 s1, s8, s2
	s_delay_alu instid0(SALU_CYCLE_1)
	s_and_saveexec_b32 s0, s1
	s_cbranch_execnz .LBB201_274
.LBB201_236:
	s_or_b32 exec_lo, exec_lo, s0
	s_and_b32 s1, s8, s3
	s_delay_alu instid0(SALU_CYCLE_1)
	s_and_saveexec_b32 s0, s1
	s_cbranch_execnz .LBB201_278
.LBB201_237:
	s_or_b32 exec_lo, exec_lo, s0
	s_and_b32 s1, s8, s4
	s_delay_alu instid0(SALU_CYCLE_1)
	s_and_saveexec_b32 s0, s1
	s_cbranch_execnz .LBB201_282
.LBB201_238:
	s_or_b32 exec_lo, exec_lo, s0
	s_and_b32 s1, s8, s5
	s_delay_alu instid0(SALU_CYCLE_1)
	s_and_saveexec_b32 s0, s1
	s_cbranch_execnz .LBB201_286
.LBB201_239:
	s_or_b32 exec_lo, exec_lo, s0
	s_and_b32 s1, s8, s6
	s_delay_alu instid0(SALU_CYCLE_1)
	s_and_saveexec_b32 s0, s1
	s_cbranch_execnz .LBB201_290
.LBB201_240:
	s_or_b32 exec_lo, exec_lo, s0
	s_and_b32 s1, s8, s7
	s_delay_alu instid0(SALU_CYCLE_1)
	s_and_saveexec_b32 s0, s1
	s_cbranch_execnz .LBB201_294
.LBB201_241:
	s_or_b32 exec_lo, exec_lo, s0
	s_and_b32 s1, s8, s9
	s_delay_alu instid0(SALU_CYCLE_1)
	s_and_saveexec_b32 s0, s1
	s_cbranch_execnz .LBB201_298
.LBB201_242:
	s_or_b32 exec_lo, exec_lo, s0
	s_and_b32 s1, s8, s10
	s_delay_alu instid0(SALU_CYCLE_1)
	s_and_saveexec_b32 s0, s1
	s_cbranch_execnz .LBB201_302
.LBB201_243:
	s_or_b32 exec_lo, exec_lo, s0
	s_and_b32 s1, s8, s11
	s_delay_alu instid0(SALU_CYCLE_1)
	s_and_saveexec_b32 s0, s1
	s_cbranch_execnz .LBB201_306
.LBB201_244:
	s_or_b32 exec_lo, exec_lo, s0
	s_and_b32 s1, s8, s12
	s_delay_alu instid0(SALU_CYCLE_1)
	s_and_saveexec_b32 s0, s1
	s_cbranch_execnz .LBB201_310
.LBB201_245:
	s_or_b32 exec_lo, exec_lo, s0
	s_and_b32 s1, s8, s13
	s_delay_alu instid0(SALU_CYCLE_1)
	s_and_saveexec_b32 s0, s1
	s_cbranch_execnz .LBB201_314
.LBB201_246:
	s_or_b32 exec_lo, exec_lo, s0
	s_and_b32 s1, s8, s14
	s_delay_alu instid0(SALU_CYCLE_1)
	s_and_saveexec_b32 s0, s1
	s_cbranch_execnz .LBB201_318
.LBB201_247:
	s_or_b32 exec_lo, exec_lo, s0
	s_and_b32 s1, s8, s15
	s_delay_alu instid0(SALU_CYCLE_1)
	s_and_saveexec_b32 s0, s1
	s_cbranch_execnz .LBB201_322
.LBB201_248:
	s_or_b32 exec_lo, exec_lo, s0
	s_and_b32 s1, s8, s16
	s_delay_alu instid0(SALU_CYCLE_1)
	s_and_saveexec_b32 s0, s1
	s_cbranch_execnz .LBB201_326
.LBB201_249:
	s_or_b32 exec_lo, exec_lo, s0
	s_and_b32 s1, s8, s17
	s_delay_alu instid0(SALU_CYCLE_1)
	s_and_saveexec_b32 s0, s1
	s_cbranch_execnz .LBB201_330
.LBB201_250:
	s_or_b32 exec_lo, exec_lo, s0
	s_and_b32 s1, s8, s18
	s_delay_alu instid0(SALU_CYCLE_1)
	s_and_saveexec_b32 s0, s1
	s_cbranch_execnz .LBB201_334
.LBB201_251:
	s_or_b32 exec_lo, exec_lo, s0
	s_and_b32 s1, s8, s19
	s_delay_alu instid0(SALU_CYCLE_1)
	s_and_saveexec_b32 s0, s1
	s_cbranch_execnz .LBB201_338
.LBB201_252:
	s_or_b32 exec_lo, exec_lo, s0
	s_and_b32 s1, s8, s20
	s_delay_alu instid0(SALU_CYCLE_1)
	s_and_saveexec_b32 s0, s1
	s_cbranch_execnz .LBB201_342
.LBB201_253:
	s_or_b32 exec_lo, exec_lo, s0
	s_and_b32 s1, s8, s21
	s_delay_alu instid0(SALU_CYCLE_1)
	s_and_saveexec_b32 s0, s1
	s_cbranch_execnz .LBB201_346
.LBB201_254:
	s_or_b32 exec_lo, exec_lo, s0
	s_and_b32 s1, s8, s22
	s_delay_alu instid0(SALU_CYCLE_1)
	s_and_saveexec_b32 s0, s1
	s_cbranch_execnz .LBB201_350
.LBB201_255:
	s_or_b32 exec_lo, exec_lo, s0
	s_and_b32 s1, s8, s23
	s_delay_alu instid0(SALU_CYCLE_1)
	s_and_saveexec_b32 s0, s1
	s_cbranch_execnz .LBB201_354
.LBB201_256:
	s_or_b32 exec_lo, exec_lo, s0
	s_and_b32 s1, s8, s24
	s_delay_alu instid0(SALU_CYCLE_1)
	s_and_saveexec_b32 s0, s1
	s_cbranch_execnz .LBB201_358
.LBB201_257:
	s_or_b32 exec_lo, exec_lo, s0
	s_and_b32 s1, s8, s25
	s_delay_alu instid0(SALU_CYCLE_1)
	s_and_saveexec_b32 s0, s1
	s_cbranch_execnz .LBB201_362
.LBB201_258:
	s_or_b32 exec_lo, exec_lo, s0
	s_and_b32 s1, s8, s26
	s_delay_alu instid0(SALU_CYCLE_1)
	s_and_saveexec_b32 s0, s1
	s_cbranch_execnz .LBB201_366
.LBB201_259:
	s_or_b32 exec_lo, exec_lo, s0
	s_and_b32 s1, s8, s27
	s_delay_alu instid0(SALU_CYCLE_1)
	s_and_saveexec_b32 s0, s1
	s_cbranch_execnz .LBB201_370
.LBB201_260:
	s_or_b32 exec_lo, exec_lo, s0
	s_and_b32 s1, s8, s28
	s_delay_alu instid0(SALU_CYCLE_1)
	s_and_saveexec_b32 s0, s1
	s_cbranch_execnz .LBB201_374
.LBB201_261:
	s_or_b32 exec_lo, exec_lo, s0
	s_and_b32 s1, s8, s29
	s_delay_alu instid0(SALU_CYCLE_1)
	s_and_saveexec_b32 s0, s1
	s_cbranch_execnz .LBB201_378
.LBB201_262:
	s_or_b32 exec_lo, exec_lo, s0
	s_and_b32 s1, s8, s30
	s_delay_alu instid0(SALU_CYCLE_1)
	s_and_saveexec_b32 s0, s1
	s_cbranch_execnz .LBB201_382
.LBB201_263:
	s_or_b32 exec_lo, exec_lo, s0
	s_and_b32 s1, s8, s31
	s_delay_alu instid0(SALU_CYCLE_1)
	s_and_saveexec_b32 s0, s1
	s_cbranch_execnz .LBB201_386
.LBB201_264:
	s_or_b32 exec_lo, exec_lo, s0
	s_and_b32 s0, s8, s33
	s_delay_alu instid0(SALU_CYCLE_1)
	s_and_saveexec_b32 s1, s0
	s_cbranch_execnz .LBB201_390
.LBB201_265:
	s_endpgm
.LBB201_266:
	scratch_load_b64 v[64:65], off, off offset:256
	v_lshlrev_b64 v[0:1], 3, v[0:1]
	s_and_not1_b32 vcc_lo, exec_lo, s42
	s_cbranch_vccnz .LBB201_268
; %bb.267:
	s_delay_alu instid0(VALU_DEP_1) | instskip(NEXT) | instid1(VALU_DEP_2)
	v_add_co_u32 v66, vcc_lo, v71, v0
	v_add_co_ci_u32_e32 v67, vcc_lo, v72, v1, vcc_lo
	flat_load_b64 v[66:67], v[66:67]
	s_waitcnt vmcnt(0) lgkmcnt(0)
	v_mul_f64 v[66:67], s[34:35], v[66:67]
	s_branch .LBB201_269
.LBB201_268:
	v_mov_b32_e32 v66, 0
	v_mov_b32_e32 v67, 0
.LBB201_269:
	s_waitcnt vmcnt(0)
	s_delay_alu instid0(VALU_DEP_1)
	v_add_f64 v[64:65], v[64:65], v[66:67]
	v_add_co_u32 v0, vcc_lo, v68, v0
	v_add_co_ci_u32_e32 v1, vcc_lo, v69, v1, vcc_lo
	global_store_b64 v[0:1], v[64:65], off
	s_or_b32 exec_lo, exec_lo, s0
	s_and_b32 s1, s8, s1
	s_delay_alu instid0(SALU_CYCLE_1)
	s_and_saveexec_b32 s0, s1
	s_cbranch_execz .LBB201_235
.LBB201_270:
	scratch_load_b64 v[0:1], off, off offset:264
	v_cmp_ne_u32_e32 vcc_lo, 1, v70
	v_lshlrev_b64 v[2:3], 3, v[2:3]
	s_cbranch_vccnz .LBB201_272
; %bb.271:
	s_delay_alu instid0(VALU_DEP_1) | instskip(NEXT) | instid1(VALU_DEP_2)
	v_add_co_u32 v64, vcc_lo, v71, v2
	v_add_co_ci_u32_e32 v65, vcc_lo, v72, v3, vcc_lo
	flat_load_b64 v[64:65], v[64:65]
	s_waitcnt vmcnt(0) lgkmcnt(0)
	v_mul_f64 v[64:65], s[34:35], v[64:65]
	s_branch .LBB201_273
.LBB201_272:
	v_mov_b32_e32 v64, 0
	v_mov_b32_e32 v65, 0
.LBB201_273:
	s_waitcnt vmcnt(0)
	s_delay_alu instid0(VALU_DEP_1)
	v_add_f64 v[0:1], v[0:1], v[64:65]
	v_add_co_u32 v2, vcc_lo, v68, v2
	v_add_co_ci_u32_e32 v3, vcc_lo, v69, v3, vcc_lo
	global_store_b64 v[2:3], v[0:1], off
	s_or_b32 exec_lo, exec_lo, s0
	s_and_b32 s1, s8, s2
	s_delay_alu instid0(SALU_CYCLE_1)
	s_and_saveexec_b32 s0, s1
	s_cbranch_execz .LBB201_236
.LBB201_274:
	scratch_load_b64 v[0:1], off, off offset:272
	v_cmp_ne_u32_e32 vcc_lo, 1, v70
	v_lshlrev_b64 v[2:3], 3, v[4:5]
	s_cbranch_vccnz .LBB201_276
; %bb.275:
	s_delay_alu instid0(VALU_DEP_1) | instskip(NEXT) | instid1(VALU_DEP_2)
	v_add_co_u32 v4, vcc_lo, v71, v2
	v_add_co_ci_u32_e32 v5, vcc_lo, v72, v3, vcc_lo
	flat_load_b64 v[4:5], v[4:5]
	s_waitcnt vmcnt(0) lgkmcnt(0)
	v_mul_f64 v[4:5], s[34:35], v[4:5]
	s_branch .LBB201_277
.LBB201_276:
	v_mov_b32_e32 v4, 0
	v_mov_b32_e32 v5, 0
.LBB201_277:
	s_waitcnt vmcnt(0)
	s_delay_alu instid0(VALU_DEP_1)
	v_add_f64 v[0:1], v[0:1], v[4:5]
	v_add_co_u32 v2, vcc_lo, v68, v2
	v_add_co_ci_u32_e32 v3, vcc_lo, v69, v3, vcc_lo
	global_store_b64 v[2:3], v[0:1], off
	s_or_b32 exec_lo, exec_lo, s0
	s_and_b32 s1, s8, s3
	s_delay_alu instid0(SALU_CYCLE_1)
	s_and_saveexec_b32 s0, s1
	s_cbranch_execz .LBB201_237
.LBB201_278:
	scratch_load_b64 v[0:1], off, off offset:280
	v_cmp_ne_u32_e32 vcc_lo, 1, v70
	v_lshlrev_b64 v[2:3], 3, v[6:7]
	s_cbranch_vccnz .LBB201_280
; %bb.279:
	s_delay_alu instid0(VALU_DEP_1) | instskip(NEXT) | instid1(VALU_DEP_2)
	v_add_co_u32 v4, vcc_lo, v71, v2
	v_add_co_ci_u32_e32 v5, vcc_lo, v72, v3, vcc_lo
	flat_load_b64 v[4:5], v[4:5]
	s_waitcnt vmcnt(0) lgkmcnt(0)
	v_mul_f64 v[4:5], s[34:35], v[4:5]
	s_branch .LBB201_281
.LBB201_280:
	v_mov_b32_e32 v4, 0
	v_mov_b32_e32 v5, 0
.LBB201_281:
	s_waitcnt vmcnt(0)
	s_delay_alu instid0(VALU_DEP_1)
	v_add_f64 v[0:1], v[0:1], v[4:5]
	v_add_co_u32 v2, vcc_lo, v68, v2
	v_add_co_ci_u32_e32 v3, vcc_lo, v69, v3, vcc_lo
	global_store_b64 v[2:3], v[0:1], off
	s_or_b32 exec_lo, exec_lo, s0
	s_and_b32 s1, s8, s4
	s_delay_alu instid0(SALU_CYCLE_1)
	s_and_saveexec_b32 s0, s1
	s_cbranch_execz .LBB201_238
.LBB201_282:
	scratch_load_b64 v[0:1], off, off offset:288
	v_cmp_ne_u32_e32 vcc_lo, 1, v70
	v_lshlrev_b64 v[2:3], 3, v[8:9]
	s_cbranch_vccnz .LBB201_284
; %bb.283:
	s_delay_alu instid0(VALU_DEP_1) | instskip(NEXT) | instid1(VALU_DEP_2)
	v_add_co_u32 v4, vcc_lo, v71, v2
	v_add_co_ci_u32_e32 v5, vcc_lo, v72, v3, vcc_lo
	flat_load_b64 v[4:5], v[4:5]
	s_waitcnt vmcnt(0) lgkmcnt(0)
	v_mul_f64 v[4:5], s[34:35], v[4:5]
	s_branch .LBB201_285
.LBB201_284:
	v_mov_b32_e32 v4, 0
	v_mov_b32_e32 v5, 0
.LBB201_285:
	s_waitcnt vmcnt(0)
	s_delay_alu instid0(VALU_DEP_1)
	v_add_f64 v[0:1], v[0:1], v[4:5]
	v_add_co_u32 v2, vcc_lo, v68, v2
	v_add_co_ci_u32_e32 v3, vcc_lo, v69, v3, vcc_lo
	global_store_b64 v[2:3], v[0:1], off
	s_or_b32 exec_lo, exec_lo, s0
	s_and_b32 s1, s8, s5
	s_delay_alu instid0(SALU_CYCLE_1)
	s_and_saveexec_b32 s0, s1
	s_cbranch_execz .LBB201_239
.LBB201_286:
	scratch_load_b64 v[0:1], off, off offset:296
	v_cmp_ne_u32_e32 vcc_lo, 1, v70
	v_lshlrev_b64 v[2:3], 3, v[10:11]
	s_cbranch_vccnz .LBB201_288
; %bb.287:
	s_delay_alu instid0(VALU_DEP_1) | instskip(NEXT) | instid1(VALU_DEP_2)
	v_add_co_u32 v4, vcc_lo, v71, v2
	v_add_co_ci_u32_e32 v5, vcc_lo, v72, v3, vcc_lo
	flat_load_b64 v[4:5], v[4:5]
	s_waitcnt vmcnt(0) lgkmcnt(0)
	v_mul_f64 v[4:5], s[34:35], v[4:5]
	s_branch .LBB201_289
.LBB201_288:
	v_mov_b32_e32 v4, 0
	v_mov_b32_e32 v5, 0
.LBB201_289:
	s_waitcnt vmcnt(0)
	s_delay_alu instid0(VALU_DEP_1)
	v_add_f64 v[0:1], v[0:1], v[4:5]
	v_add_co_u32 v2, vcc_lo, v68, v2
	v_add_co_ci_u32_e32 v3, vcc_lo, v69, v3, vcc_lo
	global_store_b64 v[2:3], v[0:1], off
	s_or_b32 exec_lo, exec_lo, s0
	s_and_b32 s1, s8, s6
	s_delay_alu instid0(SALU_CYCLE_1)
	s_and_saveexec_b32 s0, s1
	s_cbranch_execz .LBB201_240
.LBB201_290:
	scratch_load_b64 v[0:1], off, off offset:304
	v_cmp_ne_u32_e32 vcc_lo, 1, v70
	v_lshlrev_b64 v[2:3], 3, v[12:13]
	s_cbranch_vccnz .LBB201_292
; %bb.291:
	s_delay_alu instid0(VALU_DEP_1) | instskip(NEXT) | instid1(VALU_DEP_2)
	v_add_co_u32 v4, vcc_lo, v71, v2
	v_add_co_ci_u32_e32 v5, vcc_lo, v72, v3, vcc_lo
	flat_load_b64 v[4:5], v[4:5]
	s_waitcnt vmcnt(0) lgkmcnt(0)
	v_mul_f64 v[4:5], s[34:35], v[4:5]
	s_branch .LBB201_293
.LBB201_292:
	v_mov_b32_e32 v4, 0
	v_mov_b32_e32 v5, 0
.LBB201_293:
	s_waitcnt vmcnt(0)
	s_delay_alu instid0(VALU_DEP_1)
	v_add_f64 v[0:1], v[0:1], v[4:5]
	v_add_co_u32 v2, vcc_lo, v68, v2
	v_add_co_ci_u32_e32 v3, vcc_lo, v69, v3, vcc_lo
	global_store_b64 v[2:3], v[0:1], off
	s_or_b32 exec_lo, exec_lo, s0
	s_and_b32 s1, s8, s7
	s_delay_alu instid0(SALU_CYCLE_1)
	s_and_saveexec_b32 s0, s1
	s_cbranch_execz .LBB201_241
.LBB201_294:
	scratch_load_b64 v[0:1], off, off offset:312
	v_cmp_ne_u32_e32 vcc_lo, 1, v70
	v_lshlrev_b64 v[2:3], 3, v[14:15]
	s_cbranch_vccnz .LBB201_296
; %bb.295:
	s_delay_alu instid0(VALU_DEP_1) | instskip(NEXT) | instid1(VALU_DEP_2)
	v_add_co_u32 v4, vcc_lo, v71, v2
	v_add_co_ci_u32_e32 v5, vcc_lo, v72, v3, vcc_lo
	flat_load_b64 v[4:5], v[4:5]
	s_waitcnt vmcnt(0) lgkmcnt(0)
	v_mul_f64 v[4:5], s[34:35], v[4:5]
	s_branch .LBB201_297
.LBB201_296:
	v_mov_b32_e32 v4, 0
	v_mov_b32_e32 v5, 0
.LBB201_297:
	s_waitcnt vmcnt(0)
	s_delay_alu instid0(VALU_DEP_1)
	v_add_f64 v[0:1], v[0:1], v[4:5]
	v_add_co_u32 v2, vcc_lo, v68, v2
	v_add_co_ci_u32_e32 v3, vcc_lo, v69, v3, vcc_lo
	global_store_b64 v[2:3], v[0:1], off
	s_or_b32 exec_lo, exec_lo, s0
	s_and_b32 s1, s8, s9
	s_delay_alu instid0(SALU_CYCLE_1)
	s_and_saveexec_b32 s0, s1
	s_cbranch_execz .LBB201_242
.LBB201_298:
	scratch_load_b64 v[0:1], off, off offset:320
	v_cmp_ne_u32_e32 vcc_lo, 1, v70
	v_lshlrev_b64 v[2:3], 3, v[16:17]
	s_cbranch_vccnz .LBB201_300
; %bb.299:
	s_delay_alu instid0(VALU_DEP_1) | instskip(NEXT) | instid1(VALU_DEP_2)
	v_add_co_u32 v4, vcc_lo, v71, v2
	v_add_co_ci_u32_e32 v5, vcc_lo, v72, v3, vcc_lo
	flat_load_b64 v[4:5], v[4:5]
	s_waitcnt vmcnt(0) lgkmcnt(0)
	v_mul_f64 v[4:5], s[34:35], v[4:5]
	s_branch .LBB201_301
.LBB201_300:
	v_mov_b32_e32 v4, 0
	v_mov_b32_e32 v5, 0
.LBB201_301:
	s_waitcnt vmcnt(0)
	s_delay_alu instid0(VALU_DEP_1)
	v_add_f64 v[0:1], v[0:1], v[4:5]
	v_add_co_u32 v2, vcc_lo, v68, v2
	v_add_co_ci_u32_e32 v3, vcc_lo, v69, v3, vcc_lo
	global_store_b64 v[2:3], v[0:1], off
	s_or_b32 exec_lo, exec_lo, s0
	s_and_b32 s1, s8, s10
	s_delay_alu instid0(SALU_CYCLE_1)
	s_and_saveexec_b32 s0, s1
	s_cbranch_execz .LBB201_243
.LBB201_302:
	scratch_load_b64 v[0:1], off, off offset:328
	v_cmp_ne_u32_e32 vcc_lo, 1, v70
	v_lshlrev_b64 v[2:3], 3, v[18:19]
	s_cbranch_vccnz .LBB201_304
; %bb.303:
	s_delay_alu instid0(VALU_DEP_1) | instskip(NEXT) | instid1(VALU_DEP_2)
	v_add_co_u32 v4, vcc_lo, v71, v2
	v_add_co_ci_u32_e32 v5, vcc_lo, v72, v3, vcc_lo
	flat_load_b64 v[4:5], v[4:5]
	s_waitcnt vmcnt(0) lgkmcnt(0)
	v_mul_f64 v[4:5], s[34:35], v[4:5]
	s_branch .LBB201_305
.LBB201_304:
	v_mov_b32_e32 v4, 0
	v_mov_b32_e32 v5, 0
.LBB201_305:
	s_waitcnt vmcnt(0)
	s_delay_alu instid0(VALU_DEP_1)
	v_add_f64 v[0:1], v[0:1], v[4:5]
	v_add_co_u32 v2, vcc_lo, v68, v2
	v_add_co_ci_u32_e32 v3, vcc_lo, v69, v3, vcc_lo
	global_store_b64 v[2:3], v[0:1], off
	s_or_b32 exec_lo, exec_lo, s0
	s_and_b32 s1, s8, s11
	s_delay_alu instid0(SALU_CYCLE_1)
	s_and_saveexec_b32 s0, s1
	s_cbranch_execz .LBB201_244
.LBB201_306:
	scratch_load_b64 v[0:1], off, off offset:336
	v_cmp_ne_u32_e32 vcc_lo, 1, v70
	v_lshlrev_b64 v[2:3], 3, v[20:21]
	s_cbranch_vccnz .LBB201_308
; %bb.307:
	s_delay_alu instid0(VALU_DEP_1) | instskip(NEXT) | instid1(VALU_DEP_2)
	v_add_co_u32 v4, vcc_lo, v71, v2
	v_add_co_ci_u32_e32 v5, vcc_lo, v72, v3, vcc_lo
	flat_load_b64 v[4:5], v[4:5]
	s_waitcnt vmcnt(0) lgkmcnt(0)
	v_mul_f64 v[4:5], s[34:35], v[4:5]
	s_branch .LBB201_309
.LBB201_308:
	v_mov_b32_e32 v4, 0
	v_mov_b32_e32 v5, 0
.LBB201_309:
	s_waitcnt vmcnt(0)
	s_delay_alu instid0(VALU_DEP_1)
	v_add_f64 v[0:1], v[0:1], v[4:5]
	v_add_co_u32 v2, vcc_lo, v68, v2
	v_add_co_ci_u32_e32 v3, vcc_lo, v69, v3, vcc_lo
	global_store_b64 v[2:3], v[0:1], off
	s_or_b32 exec_lo, exec_lo, s0
	s_and_b32 s1, s8, s12
	s_delay_alu instid0(SALU_CYCLE_1)
	s_and_saveexec_b32 s0, s1
	s_cbranch_execz .LBB201_245
.LBB201_310:
	scratch_load_b64 v[0:1], off, off offset:344
	v_cmp_ne_u32_e32 vcc_lo, 1, v70
	v_lshlrev_b64 v[2:3], 3, v[22:23]
	s_cbranch_vccnz .LBB201_312
; %bb.311:
	s_delay_alu instid0(VALU_DEP_1) | instskip(NEXT) | instid1(VALU_DEP_2)
	v_add_co_u32 v4, vcc_lo, v71, v2
	v_add_co_ci_u32_e32 v5, vcc_lo, v72, v3, vcc_lo
	flat_load_b64 v[4:5], v[4:5]
	s_waitcnt vmcnt(0) lgkmcnt(0)
	v_mul_f64 v[4:5], s[34:35], v[4:5]
	s_branch .LBB201_313
.LBB201_312:
	v_mov_b32_e32 v4, 0
	v_mov_b32_e32 v5, 0
.LBB201_313:
	s_waitcnt vmcnt(0)
	s_delay_alu instid0(VALU_DEP_1)
	v_add_f64 v[0:1], v[0:1], v[4:5]
	v_add_co_u32 v2, vcc_lo, v68, v2
	v_add_co_ci_u32_e32 v3, vcc_lo, v69, v3, vcc_lo
	global_store_b64 v[2:3], v[0:1], off
	s_or_b32 exec_lo, exec_lo, s0
	s_and_b32 s1, s8, s13
	s_delay_alu instid0(SALU_CYCLE_1)
	s_and_saveexec_b32 s0, s1
	s_cbranch_execz .LBB201_246
.LBB201_314:
	scratch_load_b64 v[0:1], off, off offset:352
	v_cmp_ne_u32_e32 vcc_lo, 1, v70
	v_lshlrev_b64 v[2:3], 3, v[24:25]
	s_cbranch_vccnz .LBB201_316
; %bb.315:
	s_delay_alu instid0(VALU_DEP_1) | instskip(NEXT) | instid1(VALU_DEP_2)
	v_add_co_u32 v4, vcc_lo, v71, v2
	v_add_co_ci_u32_e32 v5, vcc_lo, v72, v3, vcc_lo
	flat_load_b64 v[4:5], v[4:5]
	s_waitcnt vmcnt(0) lgkmcnt(0)
	v_mul_f64 v[4:5], s[34:35], v[4:5]
	s_branch .LBB201_317
.LBB201_316:
	v_mov_b32_e32 v4, 0
	v_mov_b32_e32 v5, 0
.LBB201_317:
	s_waitcnt vmcnt(0)
	s_delay_alu instid0(VALU_DEP_1)
	v_add_f64 v[0:1], v[0:1], v[4:5]
	v_add_co_u32 v2, vcc_lo, v68, v2
	v_add_co_ci_u32_e32 v3, vcc_lo, v69, v3, vcc_lo
	global_store_b64 v[2:3], v[0:1], off
	s_or_b32 exec_lo, exec_lo, s0
	s_and_b32 s1, s8, s14
	s_delay_alu instid0(SALU_CYCLE_1)
	s_and_saveexec_b32 s0, s1
	s_cbranch_execz .LBB201_247
.LBB201_318:
	scratch_load_b64 v[0:1], off, off offset:360
	v_cmp_ne_u32_e32 vcc_lo, 1, v70
	v_lshlrev_b64 v[2:3], 3, v[26:27]
	s_cbranch_vccnz .LBB201_320
; %bb.319:
	s_delay_alu instid0(VALU_DEP_1) | instskip(NEXT) | instid1(VALU_DEP_2)
	v_add_co_u32 v4, vcc_lo, v71, v2
	v_add_co_ci_u32_e32 v5, vcc_lo, v72, v3, vcc_lo
	flat_load_b64 v[4:5], v[4:5]
	s_waitcnt vmcnt(0) lgkmcnt(0)
	v_mul_f64 v[4:5], s[34:35], v[4:5]
	s_branch .LBB201_321
.LBB201_320:
	v_mov_b32_e32 v4, 0
	v_mov_b32_e32 v5, 0
.LBB201_321:
	s_waitcnt vmcnt(0)
	s_delay_alu instid0(VALU_DEP_1)
	v_add_f64 v[0:1], v[0:1], v[4:5]
	v_add_co_u32 v2, vcc_lo, v68, v2
	v_add_co_ci_u32_e32 v3, vcc_lo, v69, v3, vcc_lo
	global_store_b64 v[2:3], v[0:1], off
	s_or_b32 exec_lo, exec_lo, s0
	s_and_b32 s1, s8, s15
	s_delay_alu instid0(SALU_CYCLE_1)
	s_and_saveexec_b32 s0, s1
	s_cbranch_execz .LBB201_248
.LBB201_322:
	scratch_load_b64 v[0:1], off, off offset:368
	v_cmp_ne_u32_e32 vcc_lo, 1, v70
	v_lshlrev_b64 v[2:3], 3, v[28:29]
	s_cbranch_vccnz .LBB201_324
; %bb.323:
	s_delay_alu instid0(VALU_DEP_1) | instskip(NEXT) | instid1(VALU_DEP_2)
	v_add_co_u32 v4, vcc_lo, v71, v2
	v_add_co_ci_u32_e32 v5, vcc_lo, v72, v3, vcc_lo
	flat_load_b64 v[4:5], v[4:5]
	s_waitcnt vmcnt(0) lgkmcnt(0)
	v_mul_f64 v[4:5], s[34:35], v[4:5]
	s_branch .LBB201_325
.LBB201_324:
	v_mov_b32_e32 v4, 0
	v_mov_b32_e32 v5, 0
.LBB201_325:
	s_waitcnt vmcnt(0)
	s_delay_alu instid0(VALU_DEP_1)
	v_add_f64 v[0:1], v[0:1], v[4:5]
	v_add_co_u32 v2, vcc_lo, v68, v2
	v_add_co_ci_u32_e32 v3, vcc_lo, v69, v3, vcc_lo
	global_store_b64 v[2:3], v[0:1], off
	s_or_b32 exec_lo, exec_lo, s0
	s_and_b32 s1, s8, s16
	s_delay_alu instid0(SALU_CYCLE_1)
	s_and_saveexec_b32 s0, s1
	s_cbranch_execz .LBB201_249
.LBB201_326:
	scratch_load_b64 v[0:1], off, off offset:376
	v_cmp_ne_u32_e32 vcc_lo, 1, v70
	v_lshlrev_b64 v[2:3], 3, v[30:31]
	s_cbranch_vccnz .LBB201_328
; %bb.327:
	s_delay_alu instid0(VALU_DEP_1) | instskip(NEXT) | instid1(VALU_DEP_2)
	v_add_co_u32 v4, vcc_lo, v71, v2
	v_add_co_ci_u32_e32 v5, vcc_lo, v72, v3, vcc_lo
	flat_load_b64 v[4:5], v[4:5]
	s_waitcnt vmcnt(0) lgkmcnt(0)
	v_mul_f64 v[4:5], s[34:35], v[4:5]
	s_branch .LBB201_329
.LBB201_328:
	v_mov_b32_e32 v4, 0
	v_mov_b32_e32 v5, 0
.LBB201_329:
	s_waitcnt vmcnt(0)
	s_delay_alu instid0(VALU_DEP_1)
	v_add_f64 v[0:1], v[0:1], v[4:5]
	v_add_co_u32 v2, vcc_lo, v68, v2
	v_add_co_ci_u32_e32 v3, vcc_lo, v69, v3, vcc_lo
	global_store_b64 v[2:3], v[0:1], off
	s_or_b32 exec_lo, exec_lo, s0
	s_and_b32 s1, s8, s17
	s_delay_alu instid0(SALU_CYCLE_1)
	s_and_saveexec_b32 s0, s1
	s_cbranch_execz .LBB201_250
.LBB201_330:
	scratch_load_b64 v[0:1], off, off offset:384
	v_cmp_ne_u32_e32 vcc_lo, 1, v70
	v_lshlrev_b64 v[2:3], 3, v[32:33]
	s_cbranch_vccnz .LBB201_332
; %bb.331:
	s_delay_alu instid0(VALU_DEP_1) | instskip(NEXT) | instid1(VALU_DEP_2)
	v_add_co_u32 v4, vcc_lo, v71, v2
	v_add_co_ci_u32_e32 v5, vcc_lo, v72, v3, vcc_lo
	flat_load_b64 v[4:5], v[4:5]
	s_waitcnt vmcnt(0) lgkmcnt(0)
	v_mul_f64 v[4:5], s[34:35], v[4:5]
	s_branch .LBB201_333
.LBB201_332:
	v_mov_b32_e32 v4, 0
	v_mov_b32_e32 v5, 0
.LBB201_333:
	s_waitcnt vmcnt(0)
	s_delay_alu instid0(VALU_DEP_1)
	v_add_f64 v[0:1], v[0:1], v[4:5]
	v_add_co_u32 v2, vcc_lo, v68, v2
	v_add_co_ci_u32_e32 v3, vcc_lo, v69, v3, vcc_lo
	global_store_b64 v[2:3], v[0:1], off
	s_or_b32 exec_lo, exec_lo, s0
	s_and_b32 s1, s8, s18
	s_delay_alu instid0(SALU_CYCLE_1)
	s_and_saveexec_b32 s0, s1
	s_cbranch_execz .LBB201_251
.LBB201_334:
	scratch_load_b64 v[0:1], off, off offset:392
	v_cmp_ne_u32_e32 vcc_lo, 1, v70
	v_lshlrev_b64 v[2:3], 3, v[34:35]
	s_cbranch_vccnz .LBB201_336
; %bb.335:
	s_delay_alu instid0(VALU_DEP_1) | instskip(NEXT) | instid1(VALU_DEP_2)
	v_add_co_u32 v4, vcc_lo, v71, v2
	v_add_co_ci_u32_e32 v5, vcc_lo, v72, v3, vcc_lo
	flat_load_b64 v[4:5], v[4:5]
	s_waitcnt vmcnt(0) lgkmcnt(0)
	v_mul_f64 v[4:5], s[34:35], v[4:5]
	s_branch .LBB201_337
.LBB201_336:
	v_mov_b32_e32 v4, 0
	v_mov_b32_e32 v5, 0
.LBB201_337:
	s_waitcnt vmcnt(0)
	s_delay_alu instid0(VALU_DEP_1)
	v_add_f64 v[0:1], v[0:1], v[4:5]
	v_add_co_u32 v2, vcc_lo, v68, v2
	v_add_co_ci_u32_e32 v3, vcc_lo, v69, v3, vcc_lo
	global_store_b64 v[2:3], v[0:1], off
	s_or_b32 exec_lo, exec_lo, s0
	s_and_b32 s1, s8, s19
	s_delay_alu instid0(SALU_CYCLE_1)
	s_and_saveexec_b32 s0, s1
	s_cbranch_execz .LBB201_252
.LBB201_338:
	scratch_load_b64 v[0:1], off, off offset:400
	v_cmp_ne_u32_e32 vcc_lo, 1, v70
	v_lshlrev_b64 v[2:3], 3, v[36:37]
	s_cbranch_vccnz .LBB201_340
; %bb.339:
	s_delay_alu instid0(VALU_DEP_1) | instskip(NEXT) | instid1(VALU_DEP_2)
	v_add_co_u32 v4, vcc_lo, v71, v2
	v_add_co_ci_u32_e32 v5, vcc_lo, v72, v3, vcc_lo
	flat_load_b64 v[4:5], v[4:5]
	s_waitcnt vmcnt(0) lgkmcnt(0)
	v_mul_f64 v[4:5], s[34:35], v[4:5]
	s_branch .LBB201_341
.LBB201_340:
	v_mov_b32_e32 v4, 0
	v_mov_b32_e32 v5, 0
.LBB201_341:
	s_waitcnt vmcnt(0)
	s_delay_alu instid0(VALU_DEP_1)
	v_add_f64 v[0:1], v[0:1], v[4:5]
	v_add_co_u32 v2, vcc_lo, v68, v2
	v_add_co_ci_u32_e32 v3, vcc_lo, v69, v3, vcc_lo
	global_store_b64 v[2:3], v[0:1], off
	s_or_b32 exec_lo, exec_lo, s0
	s_and_b32 s1, s8, s20
	s_delay_alu instid0(SALU_CYCLE_1)
	s_and_saveexec_b32 s0, s1
	s_cbranch_execz .LBB201_253
.LBB201_342:
	scratch_load_b64 v[0:1], off, off offset:408
	v_cmp_ne_u32_e32 vcc_lo, 1, v70
	v_lshlrev_b64 v[2:3], 3, v[38:39]
	s_cbranch_vccnz .LBB201_344
; %bb.343:
	s_delay_alu instid0(VALU_DEP_1) | instskip(NEXT) | instid1(VALU_DEP_2)
	v_add_co_u32 v4, vcc_lo, v71, v2
	v_add_co_ci_u32_e32 v5, vcc_lo, v72, v3, vcc_lo
	flat_load_b64 v[4:5], v[4:5]
	s_waitcnt vmcnt(0) lgkmcnt(0)
	v_mul_f64 v[4:5], s[34:35], v[4:5]
	s_branch .LBB201_345
.LBB201_344:
	v_mov_b32_e32 v4, 0
	v_mov_b32_e32 v5, 0
.LBB201_345:
	s_waitcnt vmcnt(0)
	s_delay_alu instid0(VALU_DEP_1)
	v_add_f64 v[0:1], v[0:1], v[4:5]
	v_add_co_u32 v2, vcc_lo, v68, v2
	v_add_co_ci_u32_e32 v3, vcc_lo, v69, v3, vcc_lo
	global_store_b64 v[2:3], v[0:1], off
	s_or_b32 exec_lo, exec_lo, s0
	s_and_b32 s1, s8, s21
	s_delay_alu instid0(SALU_CYCLE_1)
	s_and_saveexec_b32 s0, s1
	s_cbranch_execz .LBB201_254
.LBB201_346:
	scratch_load_b64 v[0:1], off, off offset:416
	v_cmp_ne_u32_e32 vcc_lo, 1, v70
	v_lshlrev_b64 v[2:3], 3, v[40:41]
	s_cbranch_vccnz .LBB201_348
; %bb.347:
	s_delay_alu instid0(VALU_DEP_1) | instskip(NEXT) | instid1(VALU_DEP_2)
	v_add_co_u32 v4, vcc_lo, v71, v2
	v_add_co_ci_u32_e32 v5, vcc_lo, v72, v3, vcc_lo
	flat_load_b64 v[4:5], v[4:5]
	s_waitcnt vmcnt(0) lgkmcnt(0)
	v_mul_f64 v[4:5], s[34:35], v[4:5]
	s_branch .LBB201_349
.LBB201_348:
	v_mov_b32_e32 v4, 0
	v_mov_b32_e32 v5, 0
.LBB201_349:
	s_waitcnt vmcnt(0)
	s_delay_alu instid0(VALU_DEP_1)
	v_add_f64 v[0:1], v[0:1], v[4:5]
	v_add_co_u32 v2, vcc_lo, v68, v2
	v_add_co_ci_u32_e32 v3, vcc_lo, v69, v3, vcc_lo
	global_store_b64 v[2:3], v[0:1], off
	s_or_b32 exec_lo, exec_lo, s0
	s_and_b32 s1, s8, s22
	s_delay_alu instid0(SALU_CYCLE_1)
	s_and_saveexec_b32 s0, s1
	s_cbranch_execz .LBB201_255
.LBB201_350:
	scratch_load_b64 v[0:1], off, off offset:424
	v_cmp_ne_u32_e32 vcc_lo, 1, v70
	v_lshlrev_b64 v[2:3], 3, v[42:43]
	s_cbranch_vccnz .LBB201_352
; %bb.351:
	s_delay_alu instid0(VALU_DEP_1) | instskip(NEXT) | instid1(VALU_DEP_2)
	v_add_co_u32 v4, vcc_lo, v71, v2
	v_add_co_ci_u32_e32 v5, vcc_lo, v72, v3, vcc_lo
	flat_load_b64 v[4:5], v[4:5]
	s_waitcnt vmcnt(0) lgkmcnt(0)
	v_mul_f64 v[4:5], s[34:35], v[4:5]
	s_branch .LBB201_353
.LBB201_352:
	v_mov_b32_e32 v4, 0
	v_mov_b32_e32 v5, 0
.LBB201_353:
	s_waitcnt vmcnt(0)
	s_delay_alu instid0(VALU_DEP_1)
	v_add_f64 v[0:1], v[0:1], v[4:5]
	v_add_co_u32 v2, vcc_lo, v68, v2
	v_add_co_ci_u32_e32 v3, vcc_lo, v69, v3, vcc_lo
	global_store_b64 v[2:3], v[0:1], off
	s_or_b32 exec_lo, exec_lo, s0
	s_and_b32 s1, s8, s23
	s_delay_alu instid0(SALU_CYCLE_1)
	s_and_saveexec_b32 s0, s1
	s_cbranch_execz .LBB201_256
.LBB201_354:
	scratch_load_b64 v[0:1], off, off offset:432
	v_cmp_ne_u32_e32 vcc_lo, 1, v70
	v_lshlrev_b64 v[2:3], 3, v[44:45]
	s_cbranch_vccnz .LBB201_356
; %bb.355:
	s_delay_alu instid0(VALU_DEP_1) | instskip(NEXT) | instid1(VALU_DEP_2)
	v_add_co_u32 v4, vcc_lo, v71, v2
	v_add_co_ci_u32_e32 v5, vcc_lo, v72, v3, vcc_lo
	flat_load_b64 v[4:5], v[4:5]
	s_waitcnt vmcnt(0) lgkmcnt(0)
	v_mul_f64 v[4:5], s[34:35], v[4:5]
	s_branch .LBB201_357
.LBB201_356:
	v_mov_b32_e32 v4, 0
	v_mov_b32_e32 v5, 0
.LBB201_357:
	s_waitcnt vmcnt(0)
	s_delay_alu instid0(VALU_DEP_1)
	v_add_f64 v[0:1], v[0:1], v[4:5]
	v_add_co_u32 v2, vcc_lo, v68, v2
	v_add_co_ci_u32_e32 v3, vcc_lo, v69, v3, vcc_lo
	global_store_b64 v[2:3], v[0:1], off
	s_or_b32 exec_lo, exec_lo, s0
	s_and_b32 s1, s8, s24
	s_delay_alu instid0(SALU_CYCLE_1)
	s_and_saveexec_b32 s0, s1
	s_cbranch_execz .LBB201_257
.LBB201_358:
	scratch_load_b64 v[0:1], off, off offset:440
	v_cmp_ne_u32_e32 vcc_lo, 1, v70
	v_lshlrev_b64 v[2:3], 3, v[46:47]
	s_cbranch_vccnz .LBB201_360
; %bb.359:
	s_delay_alu instid0(VALU_DEP_1) | instskip(NEXT) | instid1(VALU_DEP_2)
	v_add_co_u32 v4, vcc_lo, v71, v2
	v_add_co_ci_u32_e32 v5, vcc_lo, v72, v3, vcc_lo
	flat_load_b64 v[4:5], v[4:5]
	s_waitcnt vmcnt(0) lgkmcnt(0)
	v_mul_f64 v[4:5], s[34:35], v[4:5]
	s_branch .LBB201_361
.LBB201_360:
	v_mov_b32_e32 v4, 0
	v_mov_b32_e32 v5, 0
.LBB201_361:
	s_waitcnt vmcnt(0)
	s_delay_alu instid0(VALU_DEP_1)
	v_add_f64 v[0:1], v[0:1], v[4:5]
	v_add_co_u32 v2, vcc_lo, v68, v2
	v_add_co_ci_u32_e32 v3, vcc_lo, v69, v3, vcc_lo
	global_store_b64 v[2:3], v[0:1], off
	s_or_b32 exec_lo, exec_lo, s0
	s_and_b32 s1, s8, s25
	s_delay_alu instid0(SALU_CYCLE_1)
	s_and_saveexec_b32 s0, s1
	s_cbranch_execz .LBB201_258
.LBB201_362:
	scratch_load_b64 v[0:1], off, off offset:448
	v_cmp_ne_u32_e32 vcc_lo, 1, v70
	v_lshlrev_b64 v[2:3], 3, v[48:49]
	s_cbranch_vccnz .LBB201_364
; %bb.363:
	s_delay_alu instid0(VALU_DEP_1) | instskip(NEXT) | instid1(VALU_DEP_2)
	v_add_co_u32 v4, vcc_lo, v71, v2
	v_add_co_ci_u32_e32 v5, vcc_lo, v72, v3, vcc_lo
	flat_load_b64 v[4:5], v[4:5]
	s_waitcnt vmcnt(0) lgkmcnt(0)
	v_mul_f64 v[4:5], s[34:35], v[4:5]
	s_branch .LBB201_365
.LBB201_364:
	v_mov_b32_e32 v4, 0
	v_mov_b32_e32 v5, 0
.LBB201_365:
	s_waitcnt vmcnt(0)
	s_delay_alu instid0(VALU_DEP_1)
	v_add_f64 v[0:1], v[0:1], v[4:5]
	v_add_co_u32 v2, vcc_lo, v68, v2
	v_add_co_ci_u32_e32 v3, vcc_lo, v69, v3, vcc_lo
	global_store_b64 v[2:3], v[0:1], off
	s_or_b32 exec_lo, exec_lo, s0
	s_and_b32 s1, s8, s26
	s_delay_alu instid0(SALU_CYCLE_1)
	s_and_saveexec_b32 s0, s1
	s_cbranch_execz .LBB201_259
.LBB201_366:
	scratch_load_b64 v[0:1], off, off offset:456
	v_cmp_ne_u32_e32 vcc_lo, 1, v70
	v_lshlrev_b64 v[2:3], 3, v[50:51]
	s_cbranch_vccnz .LBB201_368
; %bb.367:
	s_delay_alu instid0(VALU_DEP_1) | instskip(NEXT) | instid1(VALU_DEP_2)
	v_add_co_u32 v4, vcc_lo, v71, v2
	v_add_co_ci_u32_e32 v5, vcc_lo, v72, v3, vcc_lo
	flat_load_b64 v[4:5], v[4:5]
	s_waitcnt vmcnt(0) lgkmcnt(0)
	v_mul_f64 v[4:5], s[34:35], v[4:5]
	s_branch .LBB201_369
.LBB201_368:
	v_mov_b32_e32 v4, 0
	v_mov_b32_e32 v5, 0
.LBB201_369:
	s_waitcnt vmcnt(0)
	s_delay_alu instid0(VALU_DEP_1)
	v_add_f64 v[0:1], v[0:1], v[4:5]
	v_add_co_u32 v2, vcc_lo, v68, v2
	v_add_co_ci_u32_e32 v3, vcc_lo, v69, v3, vcc_lo
	global_store_b64 v[2:3], v[0:1], off
	s_or_b32 exec_lo, exec_lo, s0
	s_and_b32 s1, s8, s27
	s_delay_alu instid0(SALU_CYCLE_1)
	s_and_saveexec_b32 s0, s1
	s_cbranch_execz .LBB201_260
.LBB201_370:
	scratch_load_b64 v[0:1], off, off offset:464
	v_cmp_ne_u32_e32 vcc_lo, 1, v70
	v_lshlrev_b64 v[2:3], 3, v[52:53]
	s_cbranch_vccnz .LBB201_372
; %bb.371:
	s_delay_alu instid0(VALU_DEP_1) | instskip(NEXT) | instid1(VALU_DEP_2)
	v_add_co_u32 v4, vcc_lo, v71, v2
	v_add_co_ci_u32_e32 v5, vcc_lo, v72, v3, vcc_lo
	flat_load_b64 v[4:5], v[4:5]
	s_waitcnt vmcnt(0) lgkmcnt(0)
	v_mul_f64 v[4:5], s[34:35], v[4:5]
	s_branch .LBB201_373
.LBB201_372:
	v_mov_b32_e32 v4, 0
	v_mov_b32_e32 v5, 0
.LBB201_373:
	s_waitcnt vmcnt(0)
	s_delay_alu instid0(VALU_DEP_1)
	v_add_f64 v[0:1], v[0:1], v[4:5]
	v_add_co_u32 v2, vcc_lo, v68, v2
	v_add_co_ci_u32_e32 v3, vcc_lo, v69, v3, vcc_lo
	global_store_b64 v[2:3], v[0:1], off
	s_or_b32 exec_lo, exec_lo, s0
	s_and_b32 s1, s8, s28
	s_delay_alu instid0(SALU_CYCLE_1)
	s_and_saveexec_b32 s0, s1
	s_cbranch_execz .LBB201_261
.LBB201_374:
	scratch_load_b64 v[0:1], off, off offset:472
	v_cmp_ne_u32_e32 vcc_lo, 1, v70
	v_lshlrev_b64 v[2:3], 3, v[54:55]
	s_cbranch_vccnz .LBB201_376
; %bb.375:
	s_delay_alu instid0(VALU_DEP_1) | instskip(NEXT) | instid1(VALU_DEP_2)
	v_add_co_u32 v4, vcc_lo, v71, v2
	v_add_co_ci_u32_e32 v5, vcc_lo, v72, v3, vcc_lo
	flat_load_b64 v[4:5], v[4:5]
	s_waitcnt vmcnt(0) lgkmcnt(0)
	v_mul_f64 v[4:5], s[34:35], v[4:5]
	s_branch .LBB201_377
.LBB201_376:
	v_mov_b32_e32 v4, 0
	v_mov_b32_e32 v5, 0
.LBB201_377:
	s_waitcnt vmcnt(0)
	s_delay_alu instid0(VALU_DEP_1)
	v_add_f64 v[0:1], v[0:1], v[4:5]
	v_add_co_u32 v2, vcc_lo, v68, v2
	v_add_co_ci_u32_e32 v3, vcc_lo, v69, v3, vcc_lo
	global_store_b64 v[2:3], v[0:1], off
	s_or_b32 exec_lo, exec_lo, s0
	s_and_b32 s1, s8, s29
	s_delay_alu instid0(SALU_CYCLE_1)
	s_and_saveexec_b32 s0, s1
	s_cbranch_execz .LBB201_262
.LBB201_378:
	scratch_load_b64 v[0:1], off, off offset:480
	v_cmp_ne_u32_e32 vcc_lo, 1, v70
	v_lshlrev_b64 v[2:3], 3, v[56:57]
	s_cbranch_vccnz .LBB201_380
; %bb.379:
	s_delay_alu instid0(VALU_DEP_1) | instskip(NEXT) | instid1(VALU_DEP_2)
	v_add_co_u32 v4, vcc_lo, v71, v2
	v_add_co_ci_u32_e32 v5, vcc_lo, v72, v3, vcc_lo
	flat_load_b64 v[4:5], v[4:5]
	s_waitcnt vmcnt(0) lgkmcnt(0)
	v_mul_f64 v[4:5], s[34:35], v[4:5]
	s_branch .LBB201_381
.LBB201_380:
	v_mov_b32_e32 v4, 0
	v_mov_b32_e32 v5, 0
.LBB201_381:
	s_waitcnt vmcnt(0)
	s_delay_alu instid0(VALU_DEP_1)
	v_add_f64 v[0:1], v[0:1], v[4:5]
	v_add_co_u32 v2, vcc_lo, v68, v2
	v_add_co_ci_u32_e32 v3, vcc_lo, v69, v3, vcc_lo
	global_store_b64 v[2:3], v[0:1], off
	s_or_b32 exec_lo, exec_lo, s0
	s_and_b32 s1, s8, s30
	s_delay_alu instid0(SALU_CYCLE_1)
	s_and_saveexec_b32 s0, s1
	s_cbranch_execz .LBB201_263
.LBB201_382:
	scratch_load_b64 v[0:1], off, off offset:488
	v_cmp_ne_u32_e32 vcc_lo, 1, v70
	v_lshlrev_b64 v[2:3], 3, v[58:59]
	s_cbranch_vccnz .LBB201_384
; %bb.383:
	s_delay_alu instid0(VALU_DEP_1) | instskip(NEXT) | instid1(VALU_DEP_2)
	v_add_co_u32 v4, vcc_lo, v71, v2
	v_add_co_ci_u32_e32 v5, vcc_lo, v72, v3, vcc_lo
	flat_load_b64 v[4:5], v[4:5]
	s_waitcnt vmcnt(0) lgkmcnt(0)
	v_mul_f64 v[4:5], s[34:35], v[4:5]
	s_branch .LBB201_385
.LBB201_384:
	v_mov_b32_e32 v4, 0
	v_mov_b32_e32 v5, 0
.LBB201_385:
	s_waitcnt vmcnt(0)
	s_delay_alu instid0(VALU_DEP_1)
	v_add_f64 v[0:1], v[0:1], v[4:5]
	v_add_co_u32 v2, vcc_lo, v68, v2
	v_add_co_ci_u32_e32 v3, vcc_lo, v69, v3, vcc_lo
	global_store_b64 v[2:3], v[0:1], off
	s_or_b32 exec_lo, exec_lo, s0
	s_and_b32 s1, s8, s31
	s_delay_alu instid0(SALU_CYCLE_1)
	s_and_saveexec_b32 s0, s1
	s_cbranch_execz .LBB201_264
.LBB201_386:
	scratch_load_b64 v[0:1], off, off offset:496
	v_cmp_ne_u32_e32 vcc_lo, 1, v70
	v_lshlrev_b64 v[2:3], 3, v[60:61]
	s_cbranch_vccnz .LBB201_388
; %bb.387:
	s_delay_alu instid0(VALU_DEP_1) | instskip(NEXT) | instid1(VALU_DEP_2)
	v_add_co_u32 v4, vcc_lo, v71, v2
	v_add_co_ci_u32_e32 v5, vcc_lo, v72, v3, vcc_lo
	flat_load_b64 v[4:5], v[4:5]
	s_waitcnt vmcnt(0) lgkmcnt(0)
	v_mul_f64 v[4:5], s[34:35], v[4:5]
	s_branch .LBB201_389
.LBB201_388:
	v_mov_b32_e32 v4, 0
	v_mov_b32_e32 v5, 0
.LBB201_389:
	s_waitcnt vmcnt(0)
	s_delay_alu instid0(VALU_DEP_1)
	v_add_f64 v[0:1], v[0:1], v[4:5]
	v_add_co_u32 v2, vcc_lo, v68, v2
	v_add_co_ci_u32_e32 v3, vcc_lo, v69, v3, vcc_lo
	global_store_b64 v[2:3], v[0:1], off
	s_or_b32 exec_lo, exec_lo, s0
	s_and_b32 s0, s8, s33
	s_delay_alu instid0(SALU_CYCLE_1)
	s_and_saveexec_b32 s1, s0
	s_cbranch_execz .LBB201_265
.LBB201_390:
	scratch_load_b64 v[0:1], off, off offset:504
	v_cmp_ne_u32_e32 vcc_lo, 1, v70
	v_lshlrev_b64 v[2:3], 3, v[62:63]
	s_cbranch_vccnz .LBB201_392
; %bb.391:
	s_delay_alu instid0(VALU_DEP_1) | instskip(NEXT) | instid1(VALU_DEP_2)
	v_add_co_u32 v4, vcc_lo, v71, v2
	v_add_co_ci_u32_e32 v5, vcc_lo, v72, v3, vcc_lo
	flat_load_b64 v[4:5], v[4:5]
	s_waitcnt vmcnt(0) lgkmcnt(0)
	v_mul_f64 v[4:5], s[34:35], v[4:5]
	s_branch .LBB201_393
.LBB201_392:
	v_mov_b32_e32 v4, 0
	v_mov_b32_e32 v5, 0
.LBB201_393:
	s_waitcnt vmcnt(0)
	s_delay_alu instid0(VALU_DEP_1)
	v_add_f64 v[0:1], v[0:1], v[4:5]
	v_add_co_u32 v2, vcc_lo, v68, v2
	v_add_co_ci_u32_e32 v3, vcc_lo, v69, v3, vcc_lo
	global_store_b64 v[2:3], v[0:1], off
	s_endpgm
	.section	.rodata,"a",@progbits
	.p2align	6, 0x0
	.amdhsa_kernel _ZN12_GLOBAL__N_120geam_min_plus_kernelIdddLi4ELi64ELi128ELi128ELi4ELi4ELi64ELi64ELi4ELc84ELc84ELb0ELb1ELb0EPKdS1_dEEviiiT16_PT17_ilS5_ilS3_S5_ilPT18_ili26rocblas_geam_ex_operation_
		.amdhsa_group_segment_fixed_size 16384
		.amdhsa_private_segment_fixed_size 528
		.amdhsa_kernarg_size 136
		.amdhsa_user_sgpr_count 14
		.amdhsa_user_sgpr_dispatch_ptr 0
		.amdhsa_user_sgpr_queue_ptr 0
		.amdhsa_user_sgpr_kernarg_segment_ptr 1
		.amdhsa_user_sgpr_dispatch_id 0
		.amdhsa_user_sgpr_private_segment_size 0
		.amdhsa_wavefront_size32 1
		.amdhsa_uses_dynamic_stack 0
		.amdhsa_enable_private_segment 1
		.amdhsa_system_sgpr_workgroup_id_x 1
		.amdhsa_system_sgpr_workgroup_id_y 0
		.amdhsa_system_sgpr_workgroup_id_z 1
		.amdhsa_system_sgpr_workgroup_info 0
		.amdhsa_system_vgpr_workitem_id 1
		.amdhsa_next_free_vgpr 252
		.amdhsa_next_free_sgpr 46
		.amdhsa_reserve_vcc 1
		.amdhsa_float_round_mode_32 0
		.amdhsa_float_round_mode_16_64 0
		.amdhsa_float_denorm_mode_32 3
		.amdhsa_float_denorm_mode_16_64 3
		.amdhsa_dx10_clamp 1
		.amdhsa_ieee_mode 1
		.amdhsa_fp16_overflow 0
		.amdhsa_workgroup_processor_mode 1
		.amdhsa_memory_ordered 1
		.amdhsa_forward_progress 0
		.amdhsa_shared_vgpr_count 0
		.amdhsa_exception_fp_ieee_invalid_op 0
		.amdhsa_exception_fp_denorm_src 0
		.amdhsa_exception_fp_ieee_div_zero 0
		.amdhsa_exception_fp_ieee_overflow 0
		.amdhsa_exception_fp_ieee_underflow 0
		.amdhsa_exception_fp_ieee_inexact 0
		.amdhsa_exception_int_div_zero 0
	.end_amdhsa_kernel
	.section	.text._ZN12_GLOBAL__N_120geam_min_plus_kernelIdddLi4ELi64ELi128ELi128ELi4ELi4ELi64ELi64ELi4ELc84ELc84ELb0ELb1ELb0EPKdS1_dEEviiiT16_PT17_ilS5_ilS3_S5_ilPT18_ili26rocblas_geam_ex_operation_,"axG",@progbits,_ZN12_GLOBAL__N_120geam_min_plus_kernelIdddLi4ELi64ELi128ELi128ELi4ELi4ELi64ELi64ELi4ELc84ELc84ELb0ELb1ELb0EPKdS1_dEEviiiT16_PT17_ilS5_ilS3_S5_ilPT18_ili26rocblas_geam_ex_operation_,comdat
.Lfunc_end201:
	.size	_ZN12_GLOBAL__N_120geam_min_plus_kernelIdddLi4ELi64ELi128ELi128ELi4ELi4ELi64ELi64ELi4ELc84ELc84ELb0ELb1ELb0EPKdS1_dEEviiiT16_PT17_ilS5_ilS3_S5_ilPT18_ili26rocblas_geam_ex_operation_, .Lfunc_end201-_ZN12_GLOBAL__N_120geam_min_plus_kernelIdddLi4ELi64ELi128ELi128ELi4ELi4ELi64ELi64ELi4ELc84ELc84ELb0ELb1ELb0EPKdS1_dEEviiiT16_PT17_ilS5_ilS3_S5_ilPT18_ili26rocblas_geam_ex_operation_
                                        ; -- End function
	.section	.AMDGPU.csdata,"",@progbits
; Kernel info:
; codeLenInByte = 47384
; NumSgprs: 48
; NumVgprs: 252
; ScratchSize: 528
; MemoryBound: 1
; FloatMode: 240
; IeeeMode: 1
; LDSByteSize: 16384 bytes/workgroup (compile time only)
; SGPRBlocks: 5
; VGPRBlocks: 31
; NumSGPRsForWavesPerEU: 48
; NumVGPRsForWavesPerEU: 252
; Occupancy: 5
; WaveLimiterHint : 1
; COMPUTE_PGM_RSRC2:SCRATCH_EN: 1
; COMPUTE_PGM_RSRC2:USER_SGPR: 14
; COMPUTE_PGM_RSRC2:TRAP_HANDLER: 0
; COMPUTE_PGM_RSRC2:TGID_X_EN: 1
; COMPUTE_PGM_RSRC2:TGID_Y_EN: 0
; COMPUTE_PGM_RSRC2:TGID_Z_EN: 1
; COMPUTE_PGM_RSRC2:TIDIG_COMP_CNT: 1
	.section	.text._ZN12_GLOBAL__N_120geam_min_plus_kernelIdddLi4ELi64ELi128ELi128ELi4ELi4ELi64ELi64ELi4ELc84ELc84ELb1ELb1ELb0EdKddEEviiiT16_PT17_ilS4_ilS2_S4_ilPT18_ili26rocblas_geam_ex_operation_,"axG",@progbits,_ZN12_GLOBAL__N_120geam_min_plus_kernelIdddLi4ELi64ELi128ELi128ELi4ELi4ELi64ELi64ELi4ELc84ELc84ELb1ELb1ELb0EdKddEEviiiT16_PT17_ilS4_ilS2_S4_ilPT18_ili26rocblas_geam_ex_operation_,comdat
	.globl	_ZN12_GLOBAL__N_120geam_min_plus_kernelIdddLi4ELi64ELi128ELi128ELi4ELi4ELi64ELi64ELi4ELc84ELc84ELb1ELb1ELb0EdKddEEviiiT16_PT17_ilS4_ilS2_S4_ilPT18_ili26rocblas_geam_ex_operation_ ; -- Begin function _ZN12_GLOBAL__N_120geam_min_plus_kernelIdddLi4ELi64ELi128ELi128ELi4ELi4ELi64ELi64ELi4ELc84ELc84ELb1ELb1ELb0EdKddEEviiiT16_PT17_ilS4_ilS2_S4_ilPT18_ili26rocblas_geam_ex_operation_
	.p2align	8
	.type	_ZN12_GLOBAL__N_120geam_min_plus_kernelIdddLi4ELi64ELi128ELi128ELi4ELi4ELi64ELi64ELi4ELc84ELc84ELb1ELb1ELb0EdKddEEviiiT16_PT17_ilS4_ilS2_S4_ilPT18_ili26rocblas_geam_ex_operation_,@function
_ZN12_GLOBAL__N_120geam_min_plus_kernelIdddLi4ELi64ELi128ELi128ELi4ELi4ELi64ELi64ELi4ELc84ELc84ELb1ELb1ELb0EdKddEEviiiT16_PT17_ilS4_ilS2_S4_ilPT18_ili26rocblas_geam_ex_operation_: ; @_ZN12_GLOBAL__N_120geam_min_plus_kernelIdddLi4ELi64ELi128ELi128ELi4ELi4ELi64ELi64ELi4ELc84ELc84ELb1ELb1ELb0EdKddEEviiiT16_PT17_ilS4_ilS2_S4_ilPT18_ili26rocblas_geam_ex_operation_
; %bb.0:
	s_clause 0x1
	s_load_b128 s[8:11], s[0:1], 0x10
	s_load_b128 s[4:7], s[0:1], 0x28
	s_mov_b64 s[12:13], 0
	s_waitcnt lgkmcnt(0)
	v_cmp_eq_f64_e64 s8, s[8:9], 0
	s_delay_alu instid0(VALU_DEP_1)
	s_and_b32 vcc_lo, exec_lo, s8
	s_cbranch_vccnz .LBB202_2
; %bb.1:
	s_mul_i32 s2, s15, s5
	s_mul_hi_u32 s3, s15, s4
	s_delay_alu instid0(SALU_CYCLE_1) | instskip(SKIP_1) | instid1(SALU_CYCLE_1)
	s_add_i32 s3, s3, s2
	s_mul_i32 s2, s15, s4
	s_lshl_b64 s[2:3], s[2:3], 3
	s_delay_alu instid0(SALU_CYCLE_1)
	s_add_u32 s12, s10, s2
	s_addc_u32 s13, s11, s3
.LBB202_2:
	s_clause 0x1
	s_load_b128 s[36:39], s[0:1], 0x40
	s_load_b64 s[2:3], s[0:1], 0x50
	s_and_not1_b32 vcc_lo, exec_lo, s8
	s_cbranch_vccnz .LBB202_4
; %bb.3:
	s_mov_b32 s18, 0
	s_mov_b64 s[16:17], 0
	s_cbranch_execz .LBB202_5
	s_branch .LBB202_6
.LBB202_4:
	s_mov_b32 s18, -1
                                        ; implicit-def: $sgpr16_sgpr17
.LBB202_5:
	s_waitcnt lgkmcnt(0)
	s_mul_i32 s4, s15, s37
	s_mul_hi_u32 s5, s15, s36
	s_mov_b32 s18, 0
	s_add_i32 s5, s5, s4
	s_mul_i32 s4, s15, s36
	s_delay_alu instid0(SALU_CYCLE_1) | instskip(NEXT) | instid1(SALU_CYCLE_1)
	s_lshl_b64 s[4:5], s[4:5], 3
	s_add_u32 s16, s6, s4
	s_addc_u32 s17, s7, s5
.LBB202_6:
	s_waitcnt lgkmcnt(0)
	v_cmp_eq_f64_e64 s4, s[38:39], 0
	v_cmp_neq_f64_e64 s36, s[38:39], 0
	s_load_b128 s[8:11], s[0:1], 0x60
	s_mov_b64 s[34:35], 0
	s_delay_alu instid0(VALU_DEP_2)
	s_and_b32 vcc_lo, exec_lo, s4
	s_cbranch_vccnz .LBB202_8
; %bb.7:
	s_waitcnt lgkmcnt(0)
	s_mul_i32 s4, s15, s9
	s_mul_hi_u32 s5, s15, s8
	s_mul_i32 s6, s18, s8
	s_add_i32 s4, s5, s4
	s_delay_alu instid0(SALU_CYCLE_1) | instskip(SKIP_1) | instid1(SALU_CYCLE_1)
	s_add_i32 s5, s4, s6
	s_mul_i32 s4, s15, s8
	s_lshl_b64 s[4:5], s[4:5], 3
	s_delay_alu instid0(SALU_CYCLE_1)
	s_add_u32 s34, s2, s4
	s_addc_u32 s35, s3, s5
.LBB202_8:
	s_clause 0x1
	s_load_b128 s[40:43], s[0:1], 0x0
	s_load_b32 s21, s[0:1], 0x20
	s_mov_b32 s2, 0
	v_bfe_u32 v87, v0, 10, 10
	s_mov_b32 s3, s2
	v_and_b32_e32 v86, 0x3ff, v0
	v_dual_mov_b32 v6, s3 :: v_dual_mov_b32 v5, s2
	s_delay_alu instid0(VALU_DEP_2) | instskip(SKIP_1) | instid1(VALU_DEP_2)
	v_lshl_add_u32 v4, v87, 2, v86
	v_and_b32_e32 v88, 3, v86
	v_lshrrev_b32_e32 v8, 2, v4
	s_waitcnt lgkmcnt(0)
	s_add_i32 s2, s40, -1
	s_delay_alu instid0(SALU_CYCLE_1) | instskip(NEXT) | instid1(SALU_CYCLE_1)
	s_ashr_i32 s3, s2, 31
	s_lshr_b32 s3, s3, 25
	s_delay_alu instid0(SALU_CYCLE_1) | instskip(NEXT) | instid1(SALU_CYCLE_1)
	s_add_i32 s2, s2, s3
	s_ashr_i32 s2, s2, 7
	s_delay_alu instid0(SALU_CYCLE_1) | instskip(SKIP_2) | instid1(VALU_DEP_1)
	s_add_i32 s3, s2, 1
	s_not_b32 s2, s2
	v_cvt_f32_u32_e32 v0, s3
	v_rcp_iflag_f32_e32 v0, v0
	s_waitcnt_depctr 0xfff
	v_mul_f32_e32 v0, 0x4f7ffffe, v0
	s_delay_alu instid0(VALU_DEP_1) | instskip(NEXT) | instid1(VALU_DEP_1)
	v_cvt_u32_f32_e32 v0, v0
	v_readfirstlane_b32 s4, v0
	v_mov_b32_e32 v0, 0
	v_mov_b32_e32 v1, 0
	v_lshlrev_b32_e32 v9, 3, v88
	v_cmp_le_i32_e32 vcc_lo, s42, v88
	s_mul_i32 s2, s2, s4
	s_clause 0xa
	scratch_store_b64 off, v[5:6], off
	scratch_store_b64 off, v[5:6], off offset:8
	scratch_store_b64 off, v[5:6], off offset:16
	scratch_store_b64 off, v[5:6], off offset:24
	scratch_store_b64 off, v[5:6], off offset:32
	scratch_store_b64 off, v[5:6], off offset:40
	scratch_store_b64 off, v[5:6], off offset:48
	scratch_store_b64 off, v[5:6], off offset:56
	scratch_store_b64 off, v[5:6], off offset:64
	scratch_store_b64 off, v[5:6], off offset:72
	scratch_store_b64 off, v[5:6], off offset:80
	s_mul_hi_u32 s2, s4, s2
	s_clause 0x3
	scratch_store_b64 off, v[5:6], off offset:88
	scratch_store_b64 off, v[5:6], off offset:96
	;; [unrolled: 1-line block ×4, first 2 shown]
	s_add_i32 s4, s4, s2
	s_clause 0x1
	scratch_store_b64 off, v[5:6], off offset:120
	scratch_store_b64 off, v[5:6], off offset:128
	s_mul_hi_u32 s2, s14, s4
	s_clause 0x3
	scratch_store_b64 off, v[5:6], off offset:136
	scratch_store_b64 off, v[5:6], off offset:144
	;; [unrolled: 1-line block ×4, first 2 shown]
	s_mul_i32 s4, s2, s3
	s_add_i32 s5, s2, 1
	s_sub_i32 s4, s14, s4
	s_clause 0x8
	scratch_store_b64 off, v[5:6], off offset:168
	scratch_store_b64 off, v[5:6], off offset:176
	;; [unrolled: 1-line block ×9, first 2 shown]
	s_sub_i32 s6, s4, s3
	s_cmp_ge_u32 s4, s3
	s_clause 0x3
	scratch_store_b64 off, v[5:6], off offset:240
	scratch_store_b64 off, v[5:6], off offset:248
	;; [unrolled: 1-line block ×4, first 2 shown]
	s_cselect_b32 s2, s5, s2
	s_cselect_b32 s4, s6, s4
	s_add_i32 s5, s2, 1
	s_cmp_ge_u32 s4, s3
	s_clause 0x3
	scratch_store_b64 off, v[5:6], off offset:272
	scratch_store_b64 off, v[5:6], off offset:280
	;; [unrolled: 1-line block ×4, first 2 shown]
	s_cselect_b32 s4, s5, s2
	s_clause 0x1
	scratch_store_b64 off, v[5:6], off offset:304
	scratch_store_b64 off, v[5:6], off offset:312
	s_mul_i32 s2, s4, s3
	v_add_co_u32 v11, s3, s12, v9
	s_sub_i32 s2, s14, s2
	v_mov_b32_e32 v3, v1
	s_lshl_b32 s8, s2, 7
	v_add_co_ci_u32_e64 v12, null, s13, 0, s3
	v_add_nc_u32_e32 v78, s8, v8
	v_mov_b32_e32 v2, v0
	s_clause 0x3
	scratch_store_b64 off, v[5:6], off offset:320
	scratch_store_b64 off, v[5:6], off offset:328
	;; [unrolled: 1-line block ×4, first 2 shown]
	v_cmp_le_i32_e64 s2, s40, v78
	s_clause 0x3
	scratch_store_b64 off, v[5:6], off offset:352
	scratch_store_b64 off, v[5:6], off offset:360
	;; [unrolled: 1-line block ×4, first 2 shown]
	s_or_b32 s3, vcc_lo, s2
	s_clause 0x1
	scratch_store_b64 off, v[5:6], off offset:384
	scratch_store_b64 off, v[5:6], off offset:392
	s_xor_b32 s3, s3, -1
	s_clause 0xd
	scratch_store_b64 off, v[5:6], off offset:400
	scratch_store_b64 off, v[5:6], off offset:408
	;; [unrolled: 1-line block ×14, first 2 shown]
	s_and_saveexec_b32 s5, s3
	s_cbranch_execz .LBB202_10
; %bb.9:
	v_mad_i64_i32 v[2:3], null, v78, s21, 0
	s_delay_alu instid0(VALU_DEP_1) | instskip(NEXT) | instid1(VALU_DEP_1)
	v_lshlrev_b64 v[2:3], 3, v[2:3]
	v_add_co_u32 v2, s3, v11, v2
	s_delay_alu instid0(VALU_DEP_1)
	v_add_co_ci_u32_e64 v3, s3, v12, v3, s3
	flat_load_b64 v[2:3], v[2:3]
.LBB202_10:
	s_or_b32 exec_lo, exec_lo, s5
	v_add_nc_u32_e32 v79, 64, v78
	s_delay_alu instid0(VALU_DEP_1) | instskip(NEXT) | instid1(VALU_DEP_1)
	v_cmp_le_i32_e64 s3, s40, v79
	s_or_b32 s5, vcc_lo, s3
	s_delay_alu instid0(SALU_CYCLE_1) | instskip(NEXT) | instid1(SALU_CYCLE_1)
	s_xor_b32 s6, s5, -1
	s_and_saveexec_b32 s5, s6
	s_cbranch_execz .LBB202_12
; %bb.11:
	v_mad_i64_i32 v[0:1], null, v79, s21, 0
	s_delay_alu instid0(VALU_DEP_1) | instskip(NEXT) | instid1(VALU_DEP_1)
	v_lshlrev_b64 v[0:1], 3, v[0:1]
	v_add_co_u32 v0, vcc_lo, v11, v0
	s_delay_alu instid0(VALU_DEP_2)
	v_add_co_ci_u32_e32 v1, vcc_lo, v12, v1, vcc_lo
	flat_load_b64 v[0:1], v[0:1]
.LBB202_12:
	s_or_b32 exec_lo, exec_lo, s5
	s_load_b32 s14, s[0:1], 0x38
	v_lshrrev_b32_e32 v89, 6, v4
	v_and_b32_e32 v10, 63, v4
	s_lshl_b32 s9, s4, 7
	s_delay_alu instid0(VALU_DEP_2) | instskip(SKIP_2) | instid1(VALU_DEP_1)
	v_cmp_le_i32_e32 vcc_lo, s42, v89
	s_waitcnt lgkmcnt(0)
	v_mad_i64_i32 v[5:6], null, s14, v89, 0
	v_lshlrev_b64 v[6:7], 3, v[5:6]
	v_mov_b32_e32 v4, 0
	v_mov_b32_e32 v5, 0
	v_or_b32_e32 v74, s9, v10
	s_delay_alu instid0(VALU_DEP_4) | instskip(NEXT) | instid1(VALU_DEP_2)
	v_add_co_u32 v13, s5, s16, v6
	v_cmp_le_i32_e64 s4, s41, v74
	v_ashrrev_i32_e32 v75, 31, v74
	v_add_co_ci_u32_e64 v14, s5, s17, v7, s5
	v_dual_mov_b32 v7, v5 :: v_dual_mov_b32 v6, v4
	s_delay_alu instid0(VALU_DEP_4) | instskip(NEXT) | instid1(SALU_CYCLE_1)
	s_or_b32 s5, s4, vcc_lo
	s_xor_b32 s5, s5, -1
	s_delay_alu instid0(SALU_CYCLE_1)
	s_and_saveexec_b32 s6, s5
	s_cbranch_execz .LBB202_14
; %bb.13:
	v_lshlrev_b64 v[6:7], 3, v[74:75]
	s_delay_alu instid0(VALU_DEP_1) | instskip(NEXT) | instid1(VALU_DEP_1)
	v_add_co_u32 v6, s5, v13, v6
	v_add_co_ci_u32_e64 v7, s5, v14, v7, s5
	flat_load_b64 v[6:7], v[6:7]
.LBB202_14:
	s_or_b32 exec_lo, exec_lo, s6
	v_or_b32_e32 v15, 64, v74
	s_ashr_i32 s19, s14, 31
	s_delay_alu instid0(VALU_DEP_1) | instskip(NEXT) | instid1(VALU_DEP_1)
	v_cmp_le_i32_e64 s5, s41, v15
	s_or_b32 s6, s5, vcc_lo
	s_delay_alu instid0(SALU_CYCLE_1) | instskip(NEXT) | instid1(SALU_CYCLE_1)
	s_xor_b32 s7, s6, -1
	s_and_saveexec_b32 s6, s7
	s_cbranch_execz .LBB202_16
; %bb.15:
	v_lshlrev_b64 v[4:5], 3, v[74:75]
	s_delay_alu instid0(VALU_DEP_1) | instskip(NEXT) | instid1(VALU_DEP_2)
	v_add_co_u32 v4, vcc_lo, v13, v4
	v_add_co_ci_u32_e32 v5, vcc_lo, v14, v5, vcc_lo
	flat_load_b64 v[4:5], v[4:5] offset:512
.LBB202_16:
	s_or_b32 exec_lo, exec_lo, s6
	v_or_b32_e32 v13, 4, v88
	v_mov_b32_e32 v68, 0
	v_mov_b32_e32 v69, 0
	s_delay_alu instid0(VALU_DEP_3) | instskip(NEXT) | instid1(VALU_DEP_2)
	v_cmp_le_i32_e32 vcc_lo, s42, v13
	v_dual_mov_b32 v71, v69 :: v_dual_mov_b32 v70, v68
	s_or_b32 s6, vcc_lo, s2
	s_delay_alu instid0(SALU_CYCLE_1) | instskip(NEXT) | instid1(SALU_CYCLE_1)
	s_xor_b32 s6, s6, -1
	s_and_saveexec_b32 s7, s6
	s_cbranch_execz .LBB202_18
; %bb.17:
	v_mad_i64_i32 v[13:14], null, v78, s21, 0
	s_delay_alu instid0(VALU_DEP_1) | instskip(NEXT) | instid1(VALU_DEP_1)
	v_lshlrev_b64 v[13:14], 3, v[13:14]
	v_add_co_u32 v13, s6, v11, v13
	s_delay_alu instid0(VALU_DEP_1)
	v_add_co_ci_u32_e64 v14, s6, v12, v14, s6
	flat_load_b64 v[70:71], v[13:14] offset:32
.LBB202_18:
	s_or_b32 exec_lo, exec_lo, s7
	s_or_b32 s6, vcc_lo, s3
	s_delay_alu instid0(SALU_CYCLE_1) | instskip(NEXT) | instid1(SALU_CYCLE_1)
	s_xor_b32 s7, s6, -1
	s_and_saveexec_b32 s6, s7
	s_cbranch_execz .LBB202_20
; %bb.19:
	v_mad_i64_i32 v[13:14], null, v79, s21, 0
	s_delay_alu instid0(VALU_DEP_1) | instskip(NEXT) | instid1(VALU_DEP_1)
	v_lshlrev_b64 v[13:14], 3, v[13:14]
	v_add_co_u32 v11, vcc_lo, v11, v13
	s_delay_alu instid0(VALU_DEP_2)
	v_add_co_ci_u32_e32 v12, vcc_lo, v12, v14, vcc_lo
	flat_load_b64 v[68:69], v[11:12] offset:32
.LBB202_20:
	s_or_b32 exec_lo, exec_lo, s6
	v_dual_mov_b32 v72, 0 :: v_dual_add_nc_u32 v13, 4, v89
	v_mov_b32_e32 v73, 0
	s_delay_alu instid0(VALU_DEP_2) | instskip(SKIP_1) | instid1(VALU_DEP_3)
	v_mad_i64_i32 v[11:12], null, s14, v13, 0
	v_cmp_le_i32_e32 vcc_lo, s42, v13
	v_dual_mov_b32 v77, v73 :: v_dual_mov_b32 v76, v72
	s_delay_alu instid0(VALU_DEP_3) | instskip(NEXT) | instid1(VALU_DEP_1)
	v_lshlrev_b64 v[11:12], 3, v[11:12]
	v_add_co_u32 v11, s6, s16, v11
	s_delay_alu instid0(VALU_DEP_1) | instskip(SKIP_1) | instid1(SALU_CYCLE_1)
	v_add_co_ci_u32_e64 v12, s6, s17, v12, s6
	s_or_b32 s6, s4, vcc_lo
	s_xor_b32 s6, s6, -1
	s_delay_alu instid0(SALU_CYCLE_1)
	s_and_saveexec_b32 s7, s6
	s_cbranch_execz .LBB202_22
; %bb.21:
	v_lshlrev_b64 v[13:14], 3, v[74:75]
	s_delay_alu instid0(VALU_DEP_1) | instskip(NEXT) | instid1(VALU_DEP_1)
	v_add_co_u32 v13, s6, v11, v13
	v_add_co_ci_u32_e64 v14, s6, v12, v14, s6
	flat_load_b64 v[76:77], v[13:14]
.LBB202_22:
	s_or_b32 exec_lo, exec_lo, s7
	s_or_b32 s6, s5, vcc_lo
	s_delay_alu instid0(SALU_CYCLE_1) | instskip(NEXT) | instid1(SALU_CYCLE_1)
	s_xor_b32 s7, s6, -1
	s_and_saveexec_b32 s6, s7
	s_cbranch_execz .LBB202_24
; %bb.23:
	v_lshlrev_b64 v[13:14], 3, v[74:75]
	s_delay_alu instid0(VALU_DEP_1) | instskip(NEXT) | instid1(VALU_DEP_2)
	v_add_co_u32 v11, vcc_lo, v11, v13
	v_add_co_ci_u32_e32 v12, vcc_lo, v12, v14, vcc_lo
	flat_load_b64 v[72:73], v[11:12] offset:512
.LBB202_24:
	s_or_b32 exec_lo, exec_lo, s6
	v_dual_mov_b32 v81, 0 :: v_dual_lshlrev_b32 v10, 5, v10
	v_dual_mov_b32 v83, 16 :: v_dual_lshlrev_b32 v90, 5, v86
	v_lshl_or_b32 v91, v8, 5, v9
	s_delay_alu instid0(VALU_DEP_3) | instskip(NEXT) | instid1(VALU_DEP_3)
	v_lshl_add_u32 v80, v89, 3, v10
	v_dual_mov_b32 v85, 32 :: v_dual_add_nc_u32 v48, 0x800, v90
	v_dual_mov_b32 v95, 40 :: v_dual_lshlrev_b32 v92, 5, v87
	s_waitcnt vmcnt(0)
	ds_store_2addr_stride64_b64 v91, v[2:3], v[0:1] offset1:4
	s_waitcnt lgkmcnt(1)
	ds_store_2addr_stride64_b64 v80, v[6:7], v[4:5] offset0:16 offset1:20
	s_waitcnt lgkmcnt(0)
	s_waitcnt_vscnt null, 0x0
	s_barrier
	buffer_gl0_inv
	ds_load_2addr_b64 v[0:3], v90 offset1:16
	ds_load_2addr_b64 v[4:7], v90 offset0:32 offset1:48
	ds_load_2addr_b64 v[8:11], v90 offset0:64 offset1:80
	;; [unrolled: 1-line block ×4, first 2 shown]
	ds_load_2addr_b64 v[20:23], v48 offset1:16
	ds_load_2addr_b64 v[24:27], v48 offset0:32 offset1:48
	ds_load_2addr_b64 v[28:31], v48 offset0:64 offset1:80
	;; [unrolled: 1-line block ×10, first 2 shown]
	ds_load_2addr_stride64_b64 v[64:67], v92 offset0:16 offset1:20
	v_or_b32_e32 v93, 0x2000, v80
	v_dual_mov_b32 v97, 56 :: v_dual_add_nc_u32 v94, 0x2000, v92
	v_dual_mov_b32 v82, 8 :: v_dual_mov_b32 v99, 0x48
	v_dual_mov_b32 v84, 24 :: v_dual_mov_b32 v101, 0x58
	;; [unrolled: 1-line block ×4, first 2 shown]
	v_mov_b32_e32 v100, 0x50
	v_mov_b32_e32 v102, 0x60
	v_mov_b32_e32 v104, 0x70
	v_mov_b32_e32 v106, 0x80
	v_mov_b32_e32 v107, 0x88
	v_mov_b32_e32 v108, 0x90
	v_mov_b32_e32 v109, 0x98
	v_mov_b32_e32 v110, 0xa0
	v_mov_b32_e32 v111, 0xa8
	v_mov_b32_e32 v112, 0xb0
	v_mov_b32_e32 v113, 0xb8
	v_mov_b32_e32 v114, 0xc0
	v_mov_b32_e32 v115, 0xc8
	v_mov_b32_e32 v116, 0xd0
	v_mov_b32_e32 v117, 0xd8
	v_mov_b32_e32 v118, 0xe0
	v_mov_b32_e32 v119, 0xe8
	v_mov_b32_e32 v120, 0xf0
	v_mov_b32_e32 v121, 0xf8
	s_mov_b64 s[6:7], 0
	s_mov_b32 s20, -1
.LBB202_25:                             ; =>This Inner Loop Header: Depth=1
	scratch_load_b64 v[122:123], v81, off
	scratch_load_b64 v[124:125], v82, off
	;; [unrolled: 1-line block ×32, first 2 shown]
	s_cmp_eq_u32 s6, 1
	s_waitcnt lgkmcnt(16)
	v_max_f64 v[188:189], v[0:1], v[0:1]
	s_cselect_b32 vcc_lo, -1, 0
	v_max_f64 v[190:191], v[2:3], v[2:3]
	s_waitcnt lgkmcnt(0)
	v_dual_cndmask_b32 v187, v65, v67 :: v_dual_cndmask_b32 v186, v64, v66
	v_max_f64 v[192:193], v[4:5], v[4:5]
	v_max_f64 v[194:195], v[6:7], v[6:7]
	;; [unrolled: 1-line block ×31, first 2 shown]
	s_mov_b64 s[6:7], 1
	s_and_b32 vcc_lo, exec_lo, s20
	s_mov_b32 s20, 0
	v_min_f64 v[188:189], v[188:189], v[186:187]
	v_min_f64 v[190:191], v[190:191], v[186:187]
	;; [unrolled: 1-line block ×32, first 2 shown]
	s_waitcnt vmcnt(31)
	v_add_f64 v[122:123], v[122:123], v[188:189]
	s_waitcnt vmcnt(30)
	v_add_f64 v[124:125], v[190:191], v[124:125]
	;; [unrolled: 2-line block ×32, first 2 shown]
	scratch_store_b64 v81, v[122:123], off
	scratch_store_b64 v82, v[124:125], off
	;; [unrolled: 1-line block ×32, first 2 shown]
	v_mov_b32_e32 v81, 0x100
	v_mov_b32_e32 v82, 0x108
	;; [unrolled: 1-line block ×32, first 2 shown]
	s_cbranch_vccnz .LBB202_25
; %bb.26:
	v_dual_mov_b32 v81, 0 :: v_dual_add_nc_u32 v60, 0x800, v90
	ds_load_2addr_b64 v[0:3], v90 offset0:1 offset1:17
	ds_load_2addr_b64 v[4:7], v90 offset0:33 offset1:49
	;; [unrolled: 1-line block ×12, first 2 shown]
	v_dual_mov_b32 v83, 16 :: v_dual_add_nc_u32 v64, 8, v94
	ds_load_2addr_b64 v[48:51], v60 offset0:129 offset1:145
	ds_load_2addr_b64 v[52:55], v60 offset0:161 offset1:177
	;; [unrolled: 1-line block ×4, first 2 shown]
	ds_load_2addr_stride64_b64 v[64:67], v64 offset1:4
	v_dual_mov_b32 v82, 8 :: v_dual_mov_b32 v85, 32
	v_dual_mov_b32 v84, 24 :: v_dual_mov_b32 v95, 40
	;; [unrolled: 1-line block ×4, first 2 shown]
	v_mov_b32_e32 v100, 0x50
	v_mov_b32_e32 v101, 0x58
	;; [unrolled: 1-line block ×22, first 2 shown]
	s_mov_b64 s[6:7], 0
	s_mov_b32 s20, -1
.LBB202_27:                             ; =>This Inner Loop Header: Depth=1
	scratch_load_b64 v[122:123], v81, off
	scratch_load_b64 v[124:125], v82, off
	;; [unrolled: 1-line block ×32, first 2 shown]
	s_cmp_eq_u32 s6, 1
	s_waitcnt lgkmcnt(16)
	v_max_f64 v[188:189], v[0:1], v[0:1]
	s_cselect_b32 vcc_lo, -1, 0
	v_max_f64 v[190:191], v[2:3], v[2:3]
	s_waitcnt lgkmcnt(0)
	v_dual_cndmask_b32 v187, v65, v67 :: v_dual_cndmask_b32 v186, v64, v66
	v_max_f64 v[192:193], v[4:5], v[4:5]
	v_max_f64 v[194:195], v[6:7], v[6:7]
	;; [unrolled: 1-line block ×31, first 2 shown]
	s_mov_b64 s[6:7], 1
	s_and_b32 vcc_lo, exec_lo, s20
	s_mov_b32 s20, 0
	v_min_f64 v[188:189], v[188:189], v[186:187]
	v_min_f64 v[190:191], v[190:191], v[186:187]
	v_min_f64 v[192:193], v[192:193], v[186:187]
	v_min_f64 v[194:195], v[194:195], v[186:187]
	v_min_f64 v[196:197], v[196:197], v[186:187]
	v_min_f64 v[198:199], v[198:199], v[186:187]
	v_min_f64 v[200:201], v[200:201], v[186:187]
	v_min_f64 v[202:203], v[202:203], v[186:187]
	v_min_f64 v[204:205], v[204:205], v[186:187]
	v_min_f64 v[206:207], v[206:207], v[186:187]
	v_min_f64 v[208:209], v[208:209], v[186:187]
	v_min_f64 v[210:211], v[210:211], v[186:187]
	v_min_f64 v[212:213], v[212:213], v[186:187]
	v_min_f64 v[214:215], v[214:215], v[186:187]
	v_min_f64 v[216:217], v[216:217], v[186:187]
	v_min_f64 v[218:219], v[218:219], v[186:187]
	v_min_f64 v[220:221], v[220:221], v[186:187]
	v_min_f64 v[222:223], v[222:223], v[186:187]
	v_min_f64 v[224:225], v[224:225], v[186:187]
	v_min_f64 v[226:227], v[226:227], v[186:187]
	v_min_f64 v[228:229], v[228:229], v[186:187]
	v_min_f64 v[230:231], v[230:231], v[186:187]
	v_min_f64 v[232:233], v[232:233], v[186:187]
	v_min_f64 v[234:235], v[234:235], v[186:187]
	v_min_f64 v[236:237], v[236:237], v[186:187]
	v_min_f64 v[238:239], v[238:239], v[186:187]
	v_min_f64 v[240:241], v[240:241], v[186:187]
	v_min_f64 v[242:243], v[242:243], v[186:187]
	v_min_f64 v[244:245], v[244:245], v[186:187]
	v_min_f64 v[246:247], v[246:247], v[186:187]
	v_min_f64 v[248:249], v[248:249], v[186:187]
	v_min_f64 v[186:187], v[250:251], v[186:187]
	s_waitcnt vmcnt(31)
	v_add_f64 v[122:123], v[122:123], v[188:189]
	s_waitcnt vmcnt(30)
	v_add_f64 v[124:125], v[190:191], v[124:125]
	s_waitcnt vmcnt(29)
	v_add_f64 v[126:127], v[192:193], v[126:127]
	s_waitcnt vmcnt(28)
	v_add_f64 v[128:129], v[194:195], v[128:129]
	s_waitcnt vmcnt(27)
	v_add_f64 v[130:131], v[196:197], v[130:131]
	s_waitcnt vmcnt(26)
	v_add_f64 v[132:133], v[198:199], v[132:133]
	s_waitcnt vmcnt(25)
	v_add_f64 v[134:135], v[200:201], v[134:135]
	s_waitcnt vmcnt(24)
	v_add_f64 v[136:137], v[202:203], v[136:137]
	s_waitcnt vmcnt(23)
	v_add_f64 v[138:139], v[204:205], v[138:139]
	s_waitcnt vmcnt(22)
	v_add_f64 v[140:141], v[206:207], v[140:141]
	s_waitcnt vmcnt(21)
	v_add_f64 v[142:143], v[208:209], v[142:143]
	s_waitcnt vmcnt(20)
	v_add_f64 v[144:145], v[210:211], v[144:145]
	s_waitcnt vmcnt(19)
	v_add_f64 v[146:147], v[212:213], v[146:147]
	s_waitcnt vmcnt(18)
	v_add_f64 v[148:149], v[214:215], v[148:149]
	s_waitcnt vmcnt(17)
	v_add_f64 v[150:151], v[216:217], v[150:151]
	s_waitcnt vmcnt(16)
	v_add_f64 v[152:153], v[218:219], v[152:153]
	s_waitcnt vmcnt(15)
	v_add_f64 v[154:155], v[220:221], v[154:155]
	s_waitcnt vmcnt(14)
	v_add_f64 v[156:157], v[222:223], v[156:157]
	s_waitcnt vmcnt(13)
	v_add_f64 v[158:159], v[224:225], v[158:159]
	s_waitcnt vmcnt(12)
	v_add_f64 v[160:161], v[226:227], v[160:161]
	s_waitcnt vmcnt(11)
	v_add_f64 v[162:163], v[228:229], v[162:163]
	s_waitcnt vmcnt(10)
	v_add_f64 v[164:165], v[230:231], v[164:165]
	s_waitcnt vmcnt(9)
	v_add_f64 v[166:167], v[232:233], v[166:167]
	s_waitcnt vmcnt(8)
	v_add_f64 v[168:169], v[234:235], v[168:169]
	s_waitcnt vmcnt(7)
	v_add_f64 v[170:171], v[236:237], v[170:171]
	s_waitcnt vmcnt(6)
	v_add_f64 v[172:173], v[238:239], v[172:173]
	s_waitcnt vmcnt(5)
	v_add_f64 v[174:175], v[240:241], v[174:175]
	s_waitcnt vmcnt(4)
	v_add_f64 v[176:177], v[242:243], v[176:177]
	s_waitcnt vmcnt(3)
	v_add_f64 v[178:179], v[244:245], v[178:179]
	s_waitcnt vmcnt(2)
	v_add_f64 v[180:181], v[246:247], v[180:181]
	s_waitcnt vmcnt(1)
	v_add_f64 v[182:183], v[248:249], v[182:183]
	s_waitcnt vmcnt(0)
	v_add_f64 v[184:185], v[186:187], v[184:185]
	scratch_store_b64 v81, v[122:123], off
	scratch_store_b64 v82, v[124:125], off
	;; [unrolled: 1-line block ×32, first 2 shown]
	v_mov_b32_e32 v81, 0x100
	v_mov_b32_e32 v82, 0x108
	;; [unrolled: 1-line block ×32, first 2 shown]
	s_cbranch_vccnz .LBB202_27
; %bb.28:
	v_dual_mov_b32 v81, 0 :: v_dual_add_nc_u32 v60, 0x800, v90
	ds_load_2addr_b64 v[0:3], v90 offset0:2 offset1:18
	ds_load_2addr_b64 v[4:7], v90 offset0:34 offset1:50
	;; [unrolled: 1-line block ×12, first 2 shown]
	v_dual_mov_b32 v83, 16 :: v_dual_add_nc_u32 v64, 16, v94
	ds_load_2addr_b64 v[48:51], v60 offset0:130 offset1:146
	ds_load_2addr_b64 v[52:55], v60 offset0:162 offset1:178
	;; [unrolled: 1-line block ×4, first 2 shown]
	ds_load_2addr_stride64_b64 v[64:67], v64 offset1:4
	v_dual_mov_b32 v82, 8 :: v_dual_mov_b32 v85, 32
	v_dual_mov_b32 v84, 24 :: v_dual_mov_b32 v95, 40
	;; [unrolled: 1-line block ×4, first 2 shown]
	v_mov_b32_e32 v100, 0x50
	v_mov_b32_e32 v101, 0x58
	;; [unrolled: 1-line block ×22, first 2 shown]
	s_mov_b64 s[6:7], 0
	s_mov_b32 s20, -1
.LBB202_29:                             ; =>This Inner Loop Header: Depth=1
	scratch_load_b64 v[122:123], v81, off
	scratch_load_b64 v[124:125], v82, off
	;; [unrolled: 1-line block ×32, first 2 shown]
	s_cmp_eq_u32 s6, 1
	s_waitcnt lgkmcnt(16)
	v_max_f64 v[188:189], v[0:1], v[0:1]
	s_cselect_b32 vcc_lo, -1, 0
	v_max_f64 v[190:191], v[2:3], v[2:3]
	s_waitcnt lgkmcnt(0)
	v_dual_cndmask_b32 v187, v65, v67 :: v_dual_cndmask_b32 v186, v64, v66
	v_max_f64 v[192:193], v[4:5], v[4:5]
	v_max_f64 v[194:195], v[6:7], v[6:7]
	;; [unrolled: 1-line block ×31, first 2 shown]
	s_mov_b64 s[6:7], 1
	s_and_b32 vcc_lo, exec_lo, s20
	s_mov_b32 s20, 0
	v_min_f64 v[188:189], v[188:189], v[186:187]
	v_min_f64 v[190:191], v[190:191], v[186:187]
	;; [unrolled: 1-line block ×32, first 2 shown]
	s_waitcnt vmcnt(31)
	v_add_f64 v[122:123], v[122:123], v[188:189]
	s_waitcnt vmcnt(30)
	v_add_f64 v[124:125], v[190:191], v[124:125]
	;; [unrolled: 2-line block ×32, first 2 shown]
	scratch_store_b64 v81, v[122:123], off
	scratch_store_b64 v82, v[124:125], off
	;; [unrolled: 1-line block ×32, first 2 shown]
	v_mov_b32_e32 v81, 0x100
	v_mov_b32_e32 v82, 0x108
	;; [unrolled: 1-line block ×32, first 2 shown]
	s_cbranch_vccnz .LBB202_29
; %bb.30:
	v_dual_mov_b32 v81, 0 :: v_dual_add_nc_u32 v60, 0x800, v90
	ds_load_2addr_b64 v[0:3], v90 offset0:3 offset1:19
	ds_load_2addr_b64 v[4:7], v90 offset0:35 offset1:51
	;; [unrolled: 1-line block ×12, first 2 shown]
	v_dual_mov_b32 v83, 16 :: v_dual_add_nc_u32 v64, 24, v94
	ds_load_2addr_b64 v[48:51], v60 offset0:131 offset1:147
	ds_load_2addr_b64 v[52:55], v60 offset0:163 offset1:179
	;; [unrolled: 1-line block ×4, first 2 shown]
	ds_load_2addr_stride64_b64 v[64:67], v64 offset1:4
	v_dual_mov_b32 v82, 8 :: v_dual_mov_b32 v85, 32
	v_dual_mov_b32 v84, 24 :: v_dual_mov_b32 v95, 40
	;; [unrolled: 1-line block ×4, first 2 shown]
	v_mov_b32_e32 v100, 0x50
	v_mov_b32_e32 v101, 0x58
	;; [unrolled: 1-line block ×22, first 2 shown]
	s_mov_b64 s[6:7], 0
	s_mov_b32 s20, -1
.LBB202_31:                             ; =>This Inner Loop Header: Depth=1
	scratch_load_b64 v[122:123], v81, off
	scratch_load_b64 v[124:125], v82, off
	scratch_load_b64 v[126:127], v83, off
	scratch_load_b64 v[128:129], v84, off
	scratch_load_b64 v[130:131], v85, off
	scratch_load_b64 v[132:133], v95, off
	scratch_load_b64 v[134:135], v96, off
	scratch_load_b64 v[136:137], v97, off
	scratch_load_b64 v[138:139], v98, off
	scratch_load_b64 v[140:141], v99, off
	scratch_load_b64 v[142:143], v100, off
	scratch_load_b64 v[144:145], v101, off
	scratch_load_b64 v[146:147], v102, off
	scratch_load_b64 v[148:149], v103, off
	scratch_load_b64 v[150:151], v104, off
	scratch_load_b64 v[152:153], v105, off
	scratch_load_b64 v[154:155], v106, off
	scratch_load_b64 v[156:157], v107, off
	scratch_load_b64 v[158:159], v108, off
	scratch_load_b64 v[160:161], v109, off
	scratch_load_b64 v[162:163], v110, off
	scratch_load_b64 v[164:165], v111, off
	scratch_load_b64 v[166:167], v112, off
	scratch_load_b64 v[168:169], v113, off
	scratch_load_b64 v[170:171], v114, off
	scratch_load_b64 v[172:173], v115, off
	scratch_load_b64 v[174:175], v116, off
	scratch_load_b64 v[176:177], v117, off
	scratch_load_b64 v[178:179], v118, off
	scratch_load_b64 v[180:181], v119, off
	scratch_load_b64 v[182:183], v120, off
	scratch_load_b64 v[184:185], v121, off
	s_cmp_eq_u32 s6, 1
	s_waitcnt lgkmcnt(16)
	v_max_f64 v[188:189], v[0:1], v[0:1]
	s_cselect_b32 vcc_lo, -1, 0
	v_max_f64 v[190:191], v[2:3], v[2:3]
	s_waitcnt lgkmcnt(0)
	v_dual_cndmask_b32 v187, v65, v67 :: v_dual_cndmask_b32 v186, v64, v66
	v_max_f64 v[192:193], v[4:5], v[4:5]
	v_max_f64 v[194:195], v[6:7], v[6:7]
	;; [unrolled: 1-line block ×31, first 2 shown]
	s_mov_b64 s[6:7], 1
	s_and_b32 vcc_lo, exec_lo, s20
	s_mov_b32 s20, 0
	v_min_f64 v[188:189], v[188:189], v[186:187]
	v_min_f64 v[190:191], v[190:191], v[186:187]
	v_min_f64 v[192:193], v[192:193], v[186:187]
	v_min_f64 v[194:195], v[194:195], v[186:187]
	v_min_f64 v[196:197], v[196:197], v[186:187]
	v_min_f64 v[198:199], v[198:199], v[186:187]
	v_min_f64 v[200:201], v[200:201], v[186:187]
	v_min_f64 v[202:203], v[202:203], v[186:187]
	v_min_f64 v[204:205], v[204:205], v[186:187]
	v_min_f64 v[206:207], v[206:207], v[186:187]
	v_min_f64 v[208:209], v[208:209], v[186:187]
	v_min_f64 v[210:211], v[210:211], v[186:187]
	v_min_f64 v[212:213], v[212:213], v[186:187]
	v_min_f64 v[214:215], v[214:215], v[186:187]
	v_min_f64 v[216:217], v[216:217], v[186:187]
	v_min_f64 v[218:219], v[218:219], v[186:187]
	v_min_f64 v[220:221], v[220:221], v[186:187]
	v_min_f64 v[222:223], v[222:223], v[186:187]
	v_min_f64 v[224:225], v[224:225], v[186:187]
	v_min_f64 v[226:227], v[226:227], v[186:187]
	v_min_f64 v[228:229], v[228:229], v[186:187]
	v_min_f64 v[230:231], v[230:231], v[186:187]
	v_min_f64 v[232:233], v[232:233], v[186:187]
	v_min_f64 v[234:235], v[234:235], v[186:187]
	v_min_f64 v[236:237], v[236:237], v[186:187]
	v_min_f64 v[238:239], v[238:239], v[186:187]
	v_min_f64 v[240:241], v[240:241], v[186:187]
	v_min_f64 v[242:243], v[242:243], v[186:187]
	v_min_f64 v[244:245], v[244:245], v[186:187]
	v_min_f64 v[246:247], v[246:247], v[186:187]
	v_min_f64 v[248:249], v[248:249], v[186:187]
	v_min_f64 v[186:187], v[250:251], v[186:187]
	s_waitcnt vmcnt(31)
	v_add_f64 v[122:123], v[122:123], v[188:189]
	s_waitcnt vmcnt(30)
	v_add_f64 v[124:125], v[190:191], v[124:125]
	;; [unrolled: 2-line block ×32, first 2 shown]
	scratch_store_b64 v81, v[122:123], off
	scratch_store_b64 v82, v[124:125], off
	scratch_store_b64 v83, v[126:127], off
	scratch_store_b64 v84, v[128:129], off
	scratch_store_b64 v85, v[130:131], off
	scratch_store_b64 v95, v[132:133], off
	scratch_store_b64 v96, v[134:135], off
	scratch_store_b64 v97, v[136:137], off
	scratch_store_b64 v98, v[138:139], off
	scratch_store_b64 v99, v[140:141], off
	scratch_store_b64 v100, v[142:143], off
	scratch_store_b64 v101, v[144:145], off
	scratch_store_b64 v102, v[146:147], off
	scratch_store_b64 v103, v[148:149], off
	scratch_store_b64 v104, v[150:151], off
	scratch_store_b64 v105, v[152:153], off
	scratch_store_b64 v106, v[154:155], off
	scratch_store_b64 v107, v[156:157], off
	scratch_store_b64 v108, v[158:159], off
	scratch_store_b64 v109, v[160:161], off
	scratch_store_b64 v110, v[162:163], off
	scratch_store_b64 v111, v[164:165], off
	scratch_store_b64 v112, v[166:167], off
	scratch_store_b64 v113, v[168:169], off
	scratch_store_b64 v114, v[170:171], off
	scratch_store_b64 v115, v[172:173], off
	scratch_store_b64 v116, v[174:175], off
	scratch_store_b64 v117, v[176:177], off
	scratch_store_b64 v118, v[178:179], off
	scratch_store_b64 v119, v[180:181], off
	scratch_store_b64 v120, v[182:183], off
	scratch_store_b64 v121, v[184:185], off
	v_mov_b32_e32 v81, 0x100
	v_mov_b32_e32 v82, 0x108
	;; [unrolled: 1-line block ×32, first 2 shown]
	s_cbranch_vccnz .LBB202_31
; %bb.32:
	s_cmp_gt_i32 s42, 8
	s_mov_b32 s20, 8
	ds_store_2addr_stride64_b64 v91, v[70:71], v[68:69] offset0:8 offset1:12
	ds_store_2addr_stride64_b64 v80, v[76:77], v[72:73] offset0:24 offset1:28
	s_waitcnt lgkmcnt(0)
	s_waitcnt_vscnt null, 0x0
	s_barrier
	buffer_gl0_inv
	s_cbranch_scc0 .LBB202_67
; %bb.33:
	v_mad_i64_i32 v[0:1], null, v78, s21, 0
	v_mad_i64_i32 v[2:3], null, v79, s21, 0
	v_lshl_add_u32 v97, v86, 5, 0x1000
	v_lshlrev_b64 v[74:75], 3, v[74:75]
	v_add_nc_u32_e32 v95, 0x1000, v91
	v_or_b32_e32 v96, 0x3000, v80
	v_lshlrev_b64 v[68:69], 3, v[0:1]
	v_lshl_add_u32 v98, v87, 5, 0x3000
	v_lshlrev_b64 v[70:71], 3, v[2:3]
	v_mov_b32_e32 v73, 0
	v_add_nc_u32_e32 v103, 0x800, v97
	s_add_i32 s21, s42, -8
	v_add_co_u32 v99, vcc_lo, s12, v68
	v_add_co_ci_u32_e32 v100, vcc_lo, s13, v69, vcc_lo
	v_add_co_u32 v101, vcc_lo, s12, v70
	v_add_co_ci_u32_e32 v102, vcc_lo, s13, v71, vcc_lo
	s_mov_b32 s22, 0
.LBB202_34:                             ; =>This Loop Header: Depth=1
                                        ;     Child Loop BB202_43 Depth 2
                                        ;     Child Loop BB202_45 Depth 2
	;; [unrolled: 1-line block ×8, first 2 shown]
	v_or_b32_e32 v72, s20, v88
	v_mov_b32_e32 v76, 0
	v_mov_b32_e32 v77, 0
	s_delay_alu instid0(VALU_DEP_3) | instskip(SKIP_1) | instid1(VALU_DEP_3)
	v_lshlrev_b64 v[0:1], 3, v[72:73]
	v_cmp_le_i32_e32 vcc_lo, s42, v72
	v_dual_mov_b32 v81, v77 :: v_dual_mov_b32 v80, v76
	s_delay_alu instid0(VALU_DEP_3) | instskip(NEXT) | instid1(VALU_DEP_1)
	v_add_co_u32 v0, s6, s12, v0
	v_add_co_ci_u32_e64 v1, s6, s13, v1, s6
	s_or_b32 s6, s2, vcc_lo
	s_delay_alu instid0(SALU_CYCLE_1) | instskip(NEXT) | instid1(SALU_CYCLE_1)
	s_xor_b32 s6, s6, -1
	s_and_saveexec_b32 s7, s6
	s_cbranch_execz .LBB202_36
; %bb.35:                               ;   in Loop: Header=BB202_34 Depth=1
	v_add_co_u32 v2, s6, v0, v68
	s_delay_alu instid0(VALU_DEP_1)
	v_add_co_ci_u32_e64 v3, s6, v1, v69, s6
	flat_load_b64 v[80:81], v[2:3]
.LBB202_36:                             ;   in Loop: Header=BB202_34 Depth=1
	s_or_b32 exec_lo, exec_lo, s7
	s_or_b32 s6, s3, vcc_lo
	s_delay_alu instid0(SALU_CYCLE_1) | instskip(NEXT) | instid1(SALU_CYCLE_1)
	s_xor_b32 s7, s6, -1
	s_and_saveexec_b32 s6, s7
	s_cbranch_execz .LBB202_38
; %bb.37:                               ;   in Loop: Header=BB202_34 Depth=1
	v_add_co_u32 v0, vcc_lo, v0, v70
	v_add_co_ci_u32_e32 v1, vcc_lo, v1, v71, vcc_lo
	flat_load_b64 v[76:77], v[0:1]
.LBB202_38:                             ;   in Loop: Header=BB202_34 Depth=1
	s_or_b32 exec_lo, exec_lo, s6
	v_add_nc_u32_e32 v4, s20, v89
	v_mov_b32_e32 v82, 0
	v_mov_b32_e32 v83, 0
	s_delay_alu instid0(VALU_DEP_3) | instskip(NEXT) | instid1(VALU_DEP_2)
	v_mad_u64_u32 v[0:1], null, v4, s14, 0
	v_dual_mov_b32 v85, v83 :: v_dual_mov_b32 v84, v82
	s_delay_alu instid0(VALU_DEP_2) | instskip(NEXT) | instid1(VALU_DEP_1)
	v_mad_u64_u32 v[2:3], null, v4, s19, v[1:2]
	v_mov_b32_e32 v1, v2
	v_cmp_le_i32_e32 vcc_lo, s42, v4
	s_delay_alu instid0(VALU_DEP_2) | instskip(NEXT) | instid1(VALU_DEP_1)
	v_lshlrev_b64 v[0:1], 3, v[0:1]
	v_add_co_u32 v0, s6, s16, v0
	s_delay_alu instid0(VALU_DEP_1) | instskip(SKIP_1) | instid1(SALU_CYCLE_1)
	v_add_co_ci_u32_e64 v1, s6, s17, v1, s6
	s_or_b32 s6, s4, vcc_lo
	s_xor_b32 s6, s6, -1
	s_delay_alu instid0(SALU_CYCLE_1)
	s_and_saveexec_b32 s7, s6
	s_cbranch_execz .LBB202_40
; %bb.39:                               ;   in Loop: Header=BB202_34 Depth=1
	v_add_co_u32 v2, s6, v0, v74
	s_delay_alu instid0(VALU_DEP_1)
	v_add_co_ci_u32_e64 v3, s6, v1, v75, s6
	flat_load_b64 v[84:85], v[2:3]
.LBB202_40:                             ;   in Loop: Header=BB202_34 Depth=1
	s_or_b32 exec_lo, exec_lo, s7
	s_or_b32 s6, s5, vcc_lo
	s_delay_alu instid0(SALU_CYCLE_1) | instskip(NEXT) | instid1(SALU_CYCLE_1)
	s_xor_b32 s7, s6, -1
	s_and_saveexec_b32 s6, s7
	s_cbranch_execz .LBB202_42
; %bb.41:                               ;   in Loop: Header=BB202_34 Depth=1
	v_add_co_u32 v0, vcc_lo, v0, v74
	v_add_co_ci_u32_e32 v1, vcc_lo, v1, v75, vcc_lo
	flat_load_b64 v[82:83], v[0:1] offset:512
.LBB202_42:                             ;   in Loop: Header=BB202_34 Depth=1
	s_or_b32 exec_lo, exec_lo, s6
	ds_load_2addr_b64 v[0:3], v97 offset1:16
	ds_load_2addr_b64 v[4:7], v97 offset0:32 offset1:48
	ds_load_2addr_b64 v[8:11], v97 offset0:64 offset1:80
	;; [unrolled: 1-line block ×7, first 2 shown]
	ds_load_2addr_b64 v[32:35], v103 offset1:16
	ds_load_2addr_b64 v[36:39], v103 offset0:32 offset1:48
	ds_load_2addr_b64 v[40:43], v103 offset0:64 offset1:80
	;; [unrolled: 1-line block ×7, first 2 shown]
	ds_load_2addr_stride64_b64 v[64:67], v98 offset1:4
	v_dual_mov_b32 v133, 0 :: v_dual_mov_b32 v132, 8
	v_dual_mov_b32 v131, 16 :: v_dual_mov_b32 v130, 24
	;; [unrolled: 1-line block ×5, first 2 shown]
	v_mov_b32_e32 v123, 0x50
	v_mov_b32_e32 v122, 0x58
	;; [unrolled: 1-line block ×22, first 2 shown]
	s_mov_b64 s[6:7], 0
	s_mov_b32 s23, -1
.LBB202_43:                             ;   Parent Loop BB202_34 Depth=1
                                        ; =>  This Inner Loop Header: Depth=2
	scratch_load_b64 v[138:139], v133, off
	s_cmp_eq_u32 s6, 1
	s_waitcnt lgkmcnt(16)
	v_max_f64 v[136:137], v[0:1], v[0:1]
	s_cselect_b32 vcc_lo, -1, 0
	s_mov_b64 s[6:7], 1
	s_waitcnt lgkmcnt(0)
	v_dual_cndmask_b32 v135, v65, v67 :: v_dual_cndmask_b32 v134, v64, v66
	s_and_b32 vcc_lo, exec_lo, s23
	s_mov_b32 s23, 0
	s_delay_alu instid0(VALU_DEP_1) | instskip(NEXT) | instid1(VALU_DEP_1)
	v_max_f64 v[134:135], v[134:135], v[134:135]
	v_min_f64 v[136:137], v[136:137], v[134:135]
	s_waitcnt vmcnt(0)
	s_delay_alu instid0(VALU_DEP_1) | instskip(SKIP_3) | instid1(VALU_DEP_1)
	v_add_f64 v[136:137], v[138:139], v[136:137]
	scratch_load_b64 v[138:139], v132, off
	scratch_store_b64 v133, v[136:137], off
	v_max_f64 v[136:137], v[2:3], v[2:3]
	v_min_f64 v[136:137], v[136:137], v[134:135]
	s_waitcnt vmcnt(0)
	s_delay_alu instid0(VALU_DEP_1) | instskip(SKIP_3) | instid1(VALU_DEP_1)
	v_add_f64 v[136:137], v[136:137], v[138:139]
	scratch_store_b64 v132, v[136:137], off
	scratch_load_b64 v[136:137], v131, off
	v_max_f64 v[132:133], v[4:5], v[4:5]
	v_min_f64 v[132:133], v[132:133], v[134:135]
	s_waitcnt vmcnt(0)
	s_delay_alu instid0(VALU_DEP_1) | instskip(SKIP_3) | instid1(VALU_DEP_1)
	v_add_f64 v[132:133], v[132:133], v[136:137]
	scratch_load_b64 v[136:137], v130, off
	scratch_store_b64 v131, v[132:133], off
	v_max_f64 v[131:132], v[6:7], v[6:7]
	v_min_f64 v[131:132], v[131:132], v[134:135]
	s_waitcnt vmcnt(0)
	s_delay_alu instid0(VALU_DEP_1) | instskip(SKIP_3) | instid1(VALU_DEP_1)
	v_add_f64 v[131:132], v[131:132], v[136:137]
	scratch_store_b64 v130, v[131:132], off
	scratch_load_b64 v[132:133], v129, off
	v_max_f64 v[130:131], v[8:9], v[8:9]
	v_min_f64 v[130:131], v[130:131], v[134:135]
	s_waitcnt vmcnt(0)
	s_delay_alu instid0(VALU_DEP_1) | instskip(SKIP_4) | instid1(VALU_DEP_1)
	v_add_f64 v[130:131], v[130:131], v[132:133]
	v_mov_b32_e32 v133, 0x100
	scratch_store_b64 v129, v[130:131], off
	scratch_load_b64 v[131:132], v128, off
	v_max_f64 v[129:130], v[10:11], v[10:11]
	v_min_f64 v[129:130], v[129:130], v[134:135]
	s_waitcnt vmcnt(0)
	s_delay_alu instid0(VALU_DEP_1) | instskip(SKIP_4) | instid1(VALU_DEP_1)
	v_add_f64 v[129:130], v[129:130], v[131:132]
	v_mov_b32_e32 v132, 0x108
	;; [unrolled: 8-line block ×26, first 2 shown]
	scratch_store_b64 v104, v[105:106], off
	scratch_load_b64 v[106:107], v79, off
	v_max_f64 v[104:105], v[60:61], v[60:61]
	v_min_f64 v[104:105], v[104:105], v[134:135]
	s_waitcnt vmcnt(0)
	s_delay_alu instid0(VALU_DEP_1) | instskip(SKIP_4) | instid1(VALU_DEP_2)
	v_add_f64 v[104:105], v[104:105], v[106:107]
	scratch_load_b64 v[106:107], v78, off
	scratch_store_b64 v79, v[104:105], off
	v_max_f64 v[104:105], v[62:63], v[62:63]
	v_mov_b32_e32 v79, 0x1f0
	v_min_f64 v[104:105], v[104:105], v[134:135]
	s_waitcnt vmcnt(0)
	s_delay_alu instid0(VALU_DEP_1)
	v_add_f64 v[104:105], v[104:105], v[106:107]
	v_mov_b32_e32 v107, 0x1d0
	v_mov_b32_e32 v106, 0x1d8
	scratch_store_b64 v78, v[104:105], off
	v_mov_b32_e32 v105, 0x1e0
	v_mov_b32_e32 v104, 0x1e8
	v_mov_b32_e32 v78, 0x1f8
	s_cbranch_vccnz .LBB202_43
; %bb.44:                               ;   in Loop: Header=BB202_34 Depth=1
	ds_load_2addr_b64 v[0:3], v97 offset0:1 offset1:17
	ds_load_2addr_b64 v[4:7], v97 offset0:33 offset1:49
	;; [unrolled: 1-line block ×12, first 2 shown]
	v_dual_mov_b32 v133, 0 :: v_dual_add_nc_u32 v64, 8, v98
	ds_load_2addr_b64 v[48:51], v103 offset0:129 offset1:145
	ds_load_2addr_b64 v[52:55], v103 offset0:161 offset1:177
	;; [unrolled: 1-line block ×4, first 2 shown]
	ds_load_2addr_stride64_b64 v[64:67], v64 offset1:4
	v_dual_mov_b32 v132, 8 :: v_dual_mov_b32 v131, 16
	v_dual_mov_b32 v130, 24 :: v_dual_mov_b32 v129, 32
	;; [unrolled: 1-line block ×4, first 2 shown]
	v_mov_b32_e32 v124, 0x48
	v_mov_b32_e32 v123, 0x50
	;; [unrolled: 1-line block ×23, first 2 shown]
	s_mov_b64 s[6:7], 0
	s_mov_b32 s23, -1
.LBB202_45:                             ;   Parent Loop BB202_34 Depth=1
                                        ; =>  This Inner Loop Header: Depth=2
	scratch_load_b64 v[138:139], v133, off
	s_cmp_eq_u32 s6, 1
	s_waitcnt lgkmcnt(16)
	v_max_f64 v[136:137], v[0:1], v[0:1]
	s_cselect_b32 vcc_lo, -1, 0
	s_mov_b64 s[6:7], 1
	s_waitcnt lgkmcnt(0)
	v_dual_cndmask_b32 v135, v65, v67 :: v_dual_cndmask_b32 v134, v64, v66
	s_and_b32 vcc_lo, exec_lo, s23
	s_mov_b32 s23, 0
	s_delay_alu instid0(VALU_DEP_1) | instskip(NEXT) | instid1(VALU_DEP_1)
	v_max_f64 v[134:135], v[134:135], v[134:135]
	v_min_f64 v[136:137], v[136:137], v[134:135]
	s_waitcnt vmcnt(0)
	s_delay_alu instid0(VALU_DEP_1) | instskip(SKIP_3) | instid1(VALU_DEP_1)
	v_add_f64 v[136:137], v[138:139], v[136:137]
	scratch_load_b64 v[138:139], v132, off
	scratch_store_b64 v133, v[136:137], off
	v_max_f64 v[136:137], v[2:3], v[2:3]
	v_min_f64 v[136:137], v[136:137], v[134:135]
	s_waitcnt vmcnt(0)
	s_delay_alu instid0(VALU_DEP_1) | instskip(SKIP_3) | instid1(VALU_DEP_1)
	v_add_f64 v[136:137], v[136:137], v[138:139]
	scratch_store_b64 v132, v[136:137], off
	scratch_load_b64 v[136:137], v131, off
	v_max_f64 v[132:133], v[4:5], v[4:5]
	v_min_f64 v[132:133], v[132:133], v[134:135]
	s_waitcnt vmcnt(0)
	s_delay_alu instid0(VALU_DEP_1) | instskip(SKIP_3) | instid1(VALU_DEP_1)
	v_add_f64 v[132:133], v[132:133], v[136:137]
	scratch_load_b64 v[136:137], v130, off
	scratch_store_b64 v131, v[132:133], off
	v_max_f64 v[131:132], v[6:7], v[6:7]
	v_min_f64 v[131:132], v[131:132], v[134:135]
	s_waitcnt vmcnt(0)
	s_delay_alu instid0(VALU_DEP_1) | instskip(SKIP_3) | instid1(VALU_DEP_1)
	v_add_f64 v[131:132], v[131:132], v[136:137]
	scratch_store_b64 v130, v[131:132], off
	scratch_load_b64 v[132:133], v129, off
	v_max_f64 v[130:131], v[8:9], v[8:9]
	v_min_f64 v[130:131], v[130:131], v[134:135]
	s_waitcnt vmcnt(0)
	s_delay_alu instid0(VALU_DEP_1) | instskip(SKIP_4) | instid1(VALU_DEP_1)
	v_add_f64 v[130:131], v[130:131], v[132:133]
	v_mov_b32_e32 v133, 0x100
	scratch_store_b64 v129, v[130:131], off
	scratch_load_b64 v[131:132], v128, off
	v_max_f64 v[129:130], v[10:11], v[10:11]
	v_min_f64 v[129:130], v[129:130], v[134:135]
	s_waitcnt vmcnt(0)
	s_delay_alu instid0(VALU_DEP_1) | instskip(SKIP_4) | instid1(VALU_DEP_1)
	v_add_f64 v[129:130], v[129:130], v[131:132]
	v_mov_b32_e32 v132, 0x108
	;; [unrolled: 8-line block ×26, first 2 shown]
	scratch_store_b64 v104, v[105:106], off
	scratch_load_b64 v[106:107], v79, off
	v_max_f64 v[104:105], v[60:61], v[60:61]
	v_min_f64 v[104:105], v[104:105], v[134:135]
	s_waitcnt vmcnt(0)
	s_delay_alu instid0(VALU_DEP_1) | instskip(SKIP_4) | instid1(VALU_DEP_2)
	v_add_f64 v[104:105], v[104:105], v[106:107]
	scratch_load_b64 v[106:107], v78, off
	scratch_store_b64 v79, v[104:105], off
	v_max_f64 v[104:105], v[62:63], v[62:63]
	v_mov_b32_e32 v79, 0x1f0
	v_min_f64 v[104:105], v[104:105], v[134:135]
	s_waitcnt vmcnt(0)
	s_delay_alu instid0(VALU_DEP_1)
	v_add_f64 v[104:105], v[104:105], v[106:107]
	v_mov_b32_e32 v107, 0x1d0
	v_mov_b32_e32 v106, 0x1d8
	scratch_store_b64 v78, v[104:105], off
	v_mov_b32_e32 v105, 0x1e0
	v_mov_b32_e32 v104, 0x1e8
	;; [unrolled: 1-line block ×3, first 2 shown]
	s_cbranch_vccnz .LBB202_45
; %bb.46:                               ;   in Loop: Header=BB202_34 Depth=1
	ds_load_2addr_b64 v[0:3], v97 offset0:2 offset1:18
	ds_load_2addr_b64 v[4:7], v97 offset0:34 offset1:50
	;; [unrolled: 1-line block ×12, first 2 shown]
	v_dual_mov_b32 v133, 0 :: v_dual_add_nc_u32 v64, 16, v98
	ds_load_2addr_b64 v[48:51], v103 offset0:130 offset1:146
	ds_load_2addr_b64 v[52:55], v103 offset0:162 offset1:178
	;; [unrolled: 1-line block ×4, first 2 shown]
	ds_load_2addr_stride64_b64 v[64:67], v64 offset1:4
	v_dual_mov_b32 v132, 8 :: v_dual_mov_b32 v131, 16
	v_dual_mov_b32 v130, 24 :: v_dual_mov_b32 v129, 32
	;; [unrolled: 1-line block ×4, first 2 shown]
	v_mov_b32_e32 v124, 0x48
	v_mov_b32_e32 v123, 0x50
	;; [unrolled: 1-line block ×23, first 2 shown]
	s_mov_b64 s[6:7], 0
	s_mov_b32 s23, -1
.LBB202_47:                             ;   Parent Loop BB202_34 Depth=1
                                        ; =>  This Inner Loop Header: Depth=2
	scratch_load_b64 v[138:139], v133, off
	s_cmp_eq_u32 s6, 1
	s_waitcnt lgkmcnt(16)
	v_max_f64 v[136:137], v[0:1], v[0:1]
	s_cselect_b32 vcc_lo, -1, 0
	s_mov_b64 s[6:7], 1
	s_waitcnt lgkmcnt(0)
	v_dual_cndmask_b32 v135, v65, v67 :: v_dual_cndmask_b32 v134, v64, v66
	s_and_b32 vcc_lo, exec_lo, s23
	s_mov_b32 s23, 0
	s_delay_alu instid0(VALU_DEP_1) | instskip(NEXT) | instid1(VALU_DEP_1)
	v_max_f64 v[134:135], v[134:135], v[134:135]
	v_min_f64 v[136:137], v[136:137], v[134:135]
	s_waitcnt vmcnt(0)
	s_delay_alu instid0(VALU_DEP_1) | instskip(SKIP_3) | instid1(VALU_DEP_1)
	v_add_f64 v[136:137], v[138:139], v[136:137]
	scratch_load_b64 v[138:139], v132, off
	scratch_store_b64 v133, v[136:137], off
	v_max_f64 v[136:137], v[2:3], v[2:3]
	v_min_f64 v[136:137], v[136:137], v[134:135]
	s_waitcnt vmcnt(0)
	s_delay_alu instid0(VALU_DEP_1) | instskip(SKIP_3) | instid1(VALU_DEP_1)
	v_add_f64 v[136:137], v[136:137], v[138:139]
	scratch_store_b64 v132, v[136:137], off
	scratch_load_b64 v[136:137], v131, off
	v_max_f64 v[132:133], v[4:5], v[4:5]
	v_min_f64 v[132:133], v[132:133], v[134:135]
	s_waitcnt vmcnt(0)
	s_delay_alu instid0(VALU_DEP_1) | instskip(SKIP_3) | instid1(VALU_DEP_1)
	v_add_f64 v[132:133], v[132:133], v[136:137]
	scratch_load_b64 v[136:137], v130, off
	scratch_store_b64 v131, v[132:133], off
	v_max_f64 v[131:132], v[6:7], v[6:7]
	v_min_f64 v[131:132], v[131:132], v[134:135]
	s_waitcnt vmcnt(0)
	s_delay_alu instid0(VALU_DEP_1) | instskip(SKIP_3) | instid1(VALU_DEP_1)
	v_add_f64 v[131:132], v[131:132], v[136:137]
	scratch_store_b64 v130, v[131:132], off
	scratch_load_b64 v[132:133], v129, off
	v_max_f64 v[130:131], v[8:9], v[8:9]
	v_min_f64 v[130:131], v[130:131], v[134:135]
	s_waitcnt vmcnt(0)
	s_delay_alu instid0(VALU_DEP_1) | instskip(SKIP_4) | instid1(VALU_DEP_1)
	v_add_f64 v[130:131], v[130:131], v[132:133]
	v_mov_b32_e32 v133, 0x100
	scratch_store_b64 v129, v[130:131], off
	scratch_load_b64 v[131:132], v128, off
	v_max_f64 v[129:130], v[10:11], v[10:11]
	v_min_f64 v[129:130], v[129:130], v[134:135]
	s_waitcnt vmcnt(0)
	s_delay_alu instid0(VALU_DEP_1) | instskip(SKIP_4) | instid1(VALU_DEP_1)
	v_add_f64 v[129:130], v[129:130], v[131:132]
	v_mov_b32_e32 v132, 0x108
	;; [unrolled: 8-line block ×26, first 2 shown]
	scratch_store_b64 v104, v[105:106], off
	scratch_load_b64 v[106:107], v79, off
	v_max_f64 v[104:105], v[60:61], v[60:61]
	v_min_f64 v[104:105], v[104:105], v[134:135]
	s_waitcnt vmcnt(0)
	s_delay_alu instid0(VALU_DEP_1) | instskip(SKIP_4) | instid1(VALU_DEP_2)
	v_add_f64 v[104:105], v[104:105], v[106:107]
	scratch_load_b64 v[106:107], v78, off
	scratch_store_b64 v79, v[104:105], off
	v_max_f64 v[104:105], v[62:63], v[62:63]
	v_mov_b32_e32 v79, 0x1f0
	v_min_f64 v[104:105], v[104:105], v[134:135]
	s_waitcnt vmcnt(0)
	s_delay_alu instid0(VALU_DEP_1)
	v_add_f64 v[104:105], v[104:105], v[106:107]
	v_mov_b32_e32 v107, 0x1d0
	v_mov_b32_e32 v106, 0x1d8
	scratch_store_b64 v78, v[104:105], off
	v_mov_b32_e32 v105, 0x1e0
	v_mov_b32_e32 v104, 0x1e8
	;; [unrolled: 1-line block ×3, first 2 shown]
	s_cbranch_vccnz .LBB202_47
; %bb.48:                               ;   in Loop: Header=BB202_34 Depth=1
	ds_load_2addr_b64 v[0:3], v97 offset0:3 offset1:19
	ds_load_2addr_b64 v[4:7], v97 offset0:35 offset1:51
	;; [unrolled: 1-line block ×12, first 2 shown]
	v_dual_mov_b32 v133, 0 :: v_dual_add_nc_u32 v64, 24, v98
	ds_load_2addr_b64 v[48:51], v103 offset0:131 offset1:147
	ds_load_2addr_b64 v[52:55], v103 offset0:163 offset1:179
	;; [unrolled: 1-line block ×4, first 2 shown]
	ds_load_2addr_stride64_b64 v[64:67], v64 offset1:4
	v_dual_mov_b32 v132, 8 :: v_dual_mov_b32 v131, 16
	v_dual_mov_b32 v130, 24 :: v_dual_mov_b32 v129, 32
	;; [unrolled: 1-line block ×4, first 2 shown]
	v_mov_b32_e32 v124, 0x48
	v_mov_b32_e32 v123, 0x50
	;; [unrolled: 1-line block ×23, first 2 shown]
	s_mov_b64 s[6:7], 0
	s_mov_b32 s23, -1
.LBB202_49:                             ;   Parent Loop BB202_34 Depth=1
                                        ; =>  This Inner Loop Header: Depth=2
	scratch_load_b64 v[138:139], v133, off
	s_cmp_eq_u32 s6, 1
	s_waitcnt lgkmcnt(16)
	v_max_f64 v[136:137], v[0:1], v[0:1]
	s_cselect_b32 vcc_lo, -1, 0
	s_mov_b64 s[6:7], 1
	s_waitcnt lgkmcnt(0)
	v_dual_cndmask_b32 v135, v65, v67 :: v_dual_cndmask_b32 v134, v64, v66
	s_and_b32 vcc_lo, exec_lo, s23
	s_mov_b32 s23, 0
	s_delay_alu instid0(VALU_DEP_1) | instskip(NEXT) | instid1(VALU_DEP_1)
	v_max_f64 v[134:135], v[134:135], v[134:135]
	v_min_f64 v[136:137], v[136:137], v[134:135]
	s_waitcnt vmcnt(0)
	s_delay_alu instid0(VALU_DEP_1) | instskip(SKIP_3) | instid1(VALU_DEP_1)
	v_add_f64 v[136:137], v[138:139], v[136:137]
	scratch_load_b64 v[138:139], v132, off
	scratch_store_b64 v133, v[136:137], off
	v_max_f64 v[136:137], v[2:3], v[2:3]
	v_min_f64 v[136:137], v[136:137], v[134:135]
	s_waitcnt vmcnt(0)
	s_delay_alu instid0(VALU_DEP_1) | instskip(SKIP_3) | instid1(VALU_DEP_1)
	v_add_f64 v[136:137], v[136:137], v[138:139]
	scratch_store_b64 v132, v[136:137], off
	scratch_load_b64 v[136:137], v131, off
	v_max_f64 v[132:133], v[4:5], v[4:5]
	v_min_f64 v[132:133], v[132:133], v[134:135]
	s_waitcnt vmcnt(0)
	s_delay_alu instid0(VALU_DEP_1) | instskip(SKIP_3) | instid1(VALU_DEP_1)
	v_add_f64 v[132:133], v[132:133], v[136:137]
	scratch_load_b64 v[136:137], v130, off
	scratch_store_b64 v131, v[132:133], off
	v_max_f64 v[131:132], v[6:7], v[6:7]
	v_min_f64 v[131:132], v[131:132], v[134:135]
	s_waitcnt vmcnt(0)
	s_delay_alu instid0(VALU_DEP_1) | instskip(SKIP_3) | instid1(VALU_DEP_1)
	v_add_f64 v[131:132], v[131:132], v[136:137]
	scratch_store_b64 v130, v[131:132], off
	scratch_load_b64 v[132:133], v129, off
	v_max_f64 v[130:131], v[8:9], v[8:9]
	v_min_f64 v[130:131], v[130:131], v[134:135]
	s_waitcnt vmcnt(0)
	s_delay_alu instid0(VALU_DEP_1) | instskip(SKIP_4) | instid1(VALU_DEP_1)
	v_add_f64 v[130:131], v[130:131], v[132:133]
	v_mov_b32_e32 v133, 0x100
	scratch_store_b64 v129, v[130:131], off
	scratch_load_b64 v[131:132], v128, off
	v_max_f64 v[129:130], v[10:11], v[10:11]
	v_min_f64 v[129:130], v[129:130], v[134:135]
	s_waitcnt vmcnt(0)
	s_delay_alu instid0(VALU_DEP_1) | instskip(SKIP_4) | instid1(VALU_DEP_1)
	v_add_f64 v[129:130], v[129:130], v[131:132]
	v_mov_b32_e32 v132, 0x108
	;; [unrolled: 8-line block ×26, first 2 shown]
	scratch_store_b64 v104, v[105:106], off
	scratch_load_b64 v[106:107], v79, off
	v_max_f64 v[104:105], v[60:61], v[60:61]
	v_min_f64 v[104:105], v[104:105], v[134:135]
	s_waitcnt vmcnt(0)
	s_delay_alu instid0(VALU_DEP_1) | instskip(SKIP_4) | instid1(VALU_DEP_2)
	v_add_f64 v[104:105], v[104:105], v[106:107]
	scratch_load_b64 v[106:107], v78, off
	scratch_store_b64 v79, v[104:105], off
	v_max_f64 v[104:105], v[62:63], v[62:63]
	v_mov_b32_e32 v79, 0x1f0
	v_min_f64 v[104:105], v[104:105], v[134:135]
	s_waitcnt vmcnt(0)
	s_delay_alu instid0(VALU_DEP_1)
	v_add_f64 v[104:105], v[104:105], v[106:107]
	v_mov_b32_e32 v107, 0x1d0
	v_mov_b32_e32 v106, 0x1d8
	scratch_store_b64 v78, v[104:105], off
	v_mov_b32_e32 v105, 0x1e0
	v_mov_b32_e32 v104, 0x1e8
	;; [unrolled: 1-line block ×3, first 2 shown]
	s_cbranch_vccnz .LBB202_49
; %bb.50:                               ;   in Loop: Header=BB202_34 Depth=1
	v_or_b32_e32 v72, 4, v72
	v_mov_b32_e32 v78, 0
	v_mov_b32_e32 v79, 0
	ds_store_2addr_stride64_b64 v91, v[80:81], v[76:77] offset1:4
	v_mov_b32_e32 v76, v78
	v_cmp_le_i32_e32 vcc_lo, s42, v72
	v_lshlrev_b64 v[0:1], 3, v[72:73]
	v_mov_b32_e32 v77, v79
	ds_store_2addr_stride64_b64 v93, v[84:85], v[82:83] offset1:4
	s_waitcnt lgkmcnt(0)
	s_waitcnt_vscnt null, 0x0
	s_or_b32 s6, s2, vcc_lo
	s_barrier
	s_xor_b32 s6, s6, -1
	buffer_gl0_inv
	s_and_saveexec_b32 s7, s6
	s_delay_alu instid0(SALU_CYCLE_1)
	s_xor_b32 s7, exec_lo, s7
	s_cbranch_execz .LBB202_52
; %bb.51:                               ;   in Loop: Header=BB202_34 Depth=1
	v_add_co_u32 v2, s6, v99, v0
	s_delay_alu instid0(VALU_DEP_1)
	v_add_co_ci_u32_e64 v3, s6, v100, v1, s6
	flat_load_b64 v[76:77], v[2:3]
.LBB202_52:                             ;   in Loop: Header=BB202_34 Depth=1
	s_or_b32 exec_lo, exec_lo, s7
	s_or_b32 s6, s3, vcc_lo
	s_delay_alu instid0(SALU_CYCLE_1) | instskip(NEXT) | instid1(SALU_CYCLE_1)
	s_xor_b32 s7, s6, -1
	s_and_saveexec_b32 s6, s7
	s_cbranch_execz .LBB202_54
; %bb.53:                               ;   in Loop: Header=BB202_34 Depth=1
	v_add_co_u32 v0, vcc_lo, v101, v0
	v_add_co_ci_u32_e32 v1, vcc_lo, v102, v1, vcc_lo
	flat_load_b64 v[78:79], v[0:1]
.LBB202_54:                             ;   in Loop: Header=BB202_34 Depth=1
	s_or_b32 exec_lo, exec_lo, s6
	v_add3_u32 v4, v89, s20, 4
	v_mov_b32_e32 v80, 0
	v_mov_b32_e32 v81, 0
	s_delay_alu instid0(VALU_DEP_3) | instskip(SKIP_1) | instid1(VALU_DEP_3)
	v_mad_u64_u32 v[0:1], null, v4, s14, 0
	v_cmp_le_i32_e32 vcc_lo, s42, v4
	v_dual_mov_b32 v83, v81 :: v_dual_mov_b32 v82, v80
	s_delay_alu instid0(VALU_DEP_3) | instskip(NEXT) | instid1(VALU_DEP_1)
	v_mad_u64_u32 v[2:3], null, v4, s19, v[1:2]
	v_mov_b32_e32 v1, v2
	s_delay_alu instid0(VALU_DEP_1) | instskip(NEXT) | instid1(VALU_DEP_1)
	v_lshlrev_b64 v[0:1], 3, v[0:1]
	v_add_co_u32 v0, s6, s16, v0
	s_delay_alu instid0(VALU_DEP_1) | instskip(SKIP_1) | instid1(SALU_CYCLE_1)
	v_add_co_ci_u32_e64 v1, s6, s17, v1, s6
	s_or_b32 s6, s4, vcc_lo
	s_xor_b32 s6, s6, -1
	s_delay_alu instid0(SALU_CYCLE_1)
	s_and_saveexec_b32 s7, s6
	s_cbranch_execz .LBB202_56
; %bb.55:                               ;   in Loop: Header=BB202_34 Depth=1
	v_add_co_u32 v2, s6, v0, v74
	s_delay_alu instid0(VALU_DEP_1)
	v_add_co_ci_u32_e64 v3, s6, v1, v75, s6
	flat_load_b64 v[82:83], v[2:3]
.LBB202_56:                             ;   in Loop: Header=BB202_34 Depth=1
	s_or_b32 exec_lo, exec_lo, s7
	s_or_b32 s6, s5, vcc_lo
	s_delay_alu instid0(SALU_CYCLE_1) | instskip(NEXT) | instid1(SALU_CYCLE_1)
	s_xor_b32 s7, s6, -1
	s_and_saveexec_b32 s6, s7
	s_cbranch_execz .LBB202_58
; %bb.57:                               ;   in Loop: Header=BB202_34 Depth=1
	v_add_co_u32 v0, vcc_lo, v0, v74
	v_add_co_ci_u32_e32 v1, vcc_lo, v1, v75, vcc_lo
	flat_load_b64 v[80:81], v[0:1] offset:512
.LBB202_58:                             ;   in Loop: Header=BB202_34 Depth=1
	s_or_b32 exec_lo, exec_lo, s6
	v_dual_mov_b32 v133, 0 :: v_dual_add_nc_u32 v72, 0x800, v90
	ds_load_2addr_b64 v[0:3], v90 offset1:16
	ds_load_2addr_b64 v[4:7], v90 offset0:32 offset1:48
	ds_load_2addr_b64 v[8:11], v90 offset0:64 offset1:80
	;; [unrolled: 1-line block ×7, first 2 shown]
	ds_load_2addr_b64 v[32:35], v72 offset1:16
	ds_load_2addr_b64 v[36:39], v72 offset0:32 offset1:48
	ds_load_2addr_b64 v[40:43], v72 offset0:64 offset1:80
	;; [unrolled: 1-line block ×7, first 2 shown]
	ds_load_2addr_stride64_b64 v[64:67], v94 offset1:4
	v_dual_mov_b32 v132, 8 :: v_dual_mov_b32 v131, 16
	v_dual_mov_b32 v130, 24 :: v_dual_mov_b32 v129, 32
	;; [unrolled: 1-line block ×4, first 2 shown]
	v_mov_b32_e32 v124, 0x48
	v_mov_b32_e32 v123, 0x50
	;; [unrolled: 1-line block ×23, first 2 shown]
	s_mov_b64 s[6:7], 0
	s_mov_b32 s23, -1
.LBB202_59:                             ;   Parent Loop BB202_34 Depth=1
                                        ; =>  This Inner Loop Header: Depth=2
	scratch_load_b64 v[138:139], v133, off
	s_cmp_eq_u32 s6, 1
	s_waitcnt lgkmcnt(16)
	v_max_f64 v[136:137], v[0:1], v[0:1]
	s_cselect_b32 vcc_lo, -1, 0
	s_mov_b64 s[6:7], 1
	s_waitcnt lgkmcnt(0)
	v_dual_cndmask_b32 v135, v65, v67 :: v_dual_cndmask_b32 v134, v64, v66
	s_and_b32 vcc_lo, exec_lo, s23
	s_mov_b32 s23, 0
	s_delay_alu instid0(VALU_DEP_1) | instskip(NEXT) | instid1(VALU_DEP_1)
	v_max_f64 v[134:135], v[134:135], v[134:135]
	v_min_f64 v[136:137], v[136:137], v[134:135]
	s_waitcnt vmcnt(0)
	s_delay_alu instid0(VALU_DEP_1) | instskip(SKIP_3) | instid1(VALU_DEP_1)
	v_add_f64 v[136:137], v[138:139], v[136:137]
	scratch_load_b64 v[138:139], v132, off
	scratch_store_b64 v133, v[136:137], off
	v_max_f64 v[136:137], v[2:3], v[2:3]
	v_min_f64 v[136:137], v[136:137], v[134:135]
	s_waitcnt vmcnt(0)
	s_delay_alu instid0(VALU_DEP_1) | instskip(SKIP_3) | instid1(VALU_DEP_1)
	v_add_f64 v[136:137], v[136:137], v[138:139]
	scratch_store_b64 v132, v[136:137], off
	scratch_load_b64 v[136:137], v131, off
	v_max_f64 v[132:133], v[4:5], v[4:5]
	v_min_f64 v[132:133], v[132:133], v[134:135]
	s_waitcnt vmcnt(0)
	s_delay_alu instid0(VALU_DEP_1) | instskip(SKIP_3) | instid1(VALU_DEP_1)
	v_add_f64 v[132:133], v[132:133], v[136:137]
	scratch_load_b64 v[136:137], v130, off
	scratch_store_b64 v131, v[132:133], off
	v_max_f64 v[131:132], v[6:7], v[6:7]
	v_min_f64 v[131:132], v[131:132], v[134:135]
	s_waitcnt vmcnt(0)
	s_delay_alu instid0(VALU_DEP_1) | instskip(SKIP_3) | instid1(VALU_DEP_1)
	v_add_f64 v[131:132], v[131:132], v[136:137]
	scratch_store_b64 v130, v[131:132], off
	scratch_load_b64 v[132:133], v129, off
	v_max_f64 v[130:131], v[8:9], v[8:9]
	v_min_f64 v[130:131], v[130:131], v[134:135]
	s_waitcnt vmcnt(0)
	s_delay_alu instid0(VALU_DEP_1) | instskip(SKIP_4) | instid1(VALU_DEP_1)
	v_add_f64 v[130:131], v[130:131], v[132:133]
	v_mov_b32_e32 v133, 0x100
	scratch_store_b64 v129, v[130:131], off
	scratch_load_b64 v[131:132], v128, off
	v_max_f64 v[129:130], v[10:11], v[10:11]
	v_min_f64 v[129:130], v[129:130], v[134:135]
	s_waitcnt vmcnt(0)
	s_delay_alu instid0(VALU_DEP_1) | instskip(SKIP_4) | instid1(VALU_DEP_1)
	v_add_f64 v[129:130], v[129:130], v[131:132]
	v_mov_b32_e32 v132, 0x108
	;; [unrolled: 8-line block ×26, first 2 shown]
	scratch_store_b64 v104, v[105:106], off
	scratch_load_b64 v[106:107], v85, off
	v_max_f64 v[104:105], v[60:61], v[60:61]
	v_min_f64 v[104:105], v[104:105], v[134:135]
	s_waitcnt vmcnt(0)
	s_delay_alu instid0(VALU_DEP_1) | instskip(SKIP_4) | instid1(VALU_DEP_2)
	v_add_f64 v[104:105], v[104:105], v[106:107]
	scratch_load_b64 v[106:107], v84, off
	scratch_store_b64 v85, v[104:105], off
	v_max_f64 v[104:105], v[62:63], v[62:63]
	v_mov_b32_e32 v85, 0x1f0
	v_min_f64 v[104:105], v[104:105], v[134:135]
	s_waitcnt vmcnt(0)
	s_delay_alu instid0(VALU_DEP_1)
	v_add_f64 v[104:105], v[104:105], v[106:107]
	v_mov_b32_e32 v107, 0x1d0
	v_mov_b32_e32 v106, 0x1d8
	scratch_store_b64 v84, v[104:105], off
	v_mov_b32_e32 v105, 0x1e0
	v_mov_b32_e32 v104, 0x1e8
	;; [unrolled: 1-line block ×3, first 2 shown]
	s_cbranch_vccnz .LBB202_59
; %bb.60:                               ;   in Loop: Header=BB202_34 Depth=1
	ds_load_2addr_b64 v[0:3], v90 offset0:1 offset1:17
	ds_load_2addr_b64 v[4:7], v90 offset0:33 offset1:49
	;; [unrolled: 1-line block ×12, first 2 shown]
	v_dual_mov_b32 v133, 0 :: v_dual_add_nc_u32 v64, 8, v94
	ds_load_2addr_b64 v[48:51], v72 offset0:129 offset1:145
	ds_load_2addr_b64 v[52:55], v72 offset0:161 offset1:177
	ds_load_2addr_b64 v[56:59], v72 offset0:193 offset1:209
	ds_load_2addr_b64 v[60:63], v72 offset0:225 offset1:241
	ds_load_2addr_stride64_b64 v[64:67], v64 offset1:4
	v_dual_mov_b32 v132, 8 :: v_dual_mov_b32 v131, 16
	v_dual_mov_b32 v130, 24 :: v_dual_mov_b32 v129, 32
	;; [unrolled: 1-line block ×4, first 2 shown]
	v_mov_b32_e32 v124, 0x48
	v_mov_b32_e32 v123, 0x50
	;; [unrolled: 1-line block ×23, first 2 shown]
	s_mov_b64 s[6:7], 0
	s_mov_b32 s23, -1
.LBB202_61:                             ;   Parent Loop BB202_34 Depth=1
                                        ; =>  This Inner Loop Header: Depth=2
	scratch_load_b64 v[138:139], v133, off
	s_cmp_eq_u32 s6, 1
	s_waitcnt lgkmcnt(16)
	v_max_f64 v[136:137], v[0:1], v[0:1]
	s_cselect_b32 vcc_lo, -1, 0
	s_mov_b64 s[6:7], 1
	s_waitcnt lgkmcnt(0)
	v_dual_cndmask_b32 v135, v65, v67 :: v_dual_cndmask_b32 v134, v64, v66
	s_and_b32 vcc_lo, exec_lo, s23
	s_mov_b32 s23, 0
	s_delay_alu instid0(VALU_DEP_1) | instskip(NEXT) | instid1(VALU_DEP_1)
	v_max_f64 v[134:135], v[134:135], v[134:135]
	v_min_f64 v[136:137], v[136:137], v[134:135]
	s_waitcnt vmcnt(0)
	s_delay_alu instid0(VALU_DEP_1) | instskip(SKIP_3) | instid1(VALU_DEP_1)
	v_add_f64 v[136:137], v[138:139], v[136:137]
	scratch_load_b64 v[138:139], v132, off
	scratch_store_b64 v133, v[136:137], off
	v_max_f64 v[136:137], v[2:3], v[2:3]
	v_min_f64 v[136:137], v[136:137], v[134:135]
	s_waitcnt vmcnt(0)
	s_delay_alu instid0(VALU_DEP_1) | instskip(SKIP_3) | instid1(VALU_DEP_1)
	v_add_f64 v[136:137], v[136:137], v[138:139]
	scratch_store_b64 v132, v[136:137], off
	scratch_load_b64 v[136:137], v131, off
	v_max_f64 v[132:133], v[4:5], v[4:5]
	v_min_f64 v[132:133], v[132:133], v[134:135]
	s_waitcnt vmcnt(0)
	s_delay_alu instid0(VALU_DEP_1) | instskip(SKIP_3) | instid1(VALU_DEP_1)
	v_add_f64 v[132:133], v[132:133], v[136:137]
	scratch_load_b64 v[136:137], v130, off
	scratch_store_b64 v131, v[132:133], off
	v_max_f64 v[131:132], v[6:7], v[6:7]
	v_min_f64 v[131:132], v[131:132], v[134:135]
	s_waitcnt vmcnt(0)
	s_delay_alu instid0(VALU_DEP_1) | instskip(SKIP_3) | instid1(VALU_DEP_1)
	v_add_f64 v[131:132], v[131:132], v[136:137]
	scratch_store_b64 v130, v[131:132], off
	scratch_load_b64 v[132:133], v129, off
	v_max_f64 v[130:131], v[8:9], v[8:9]
	v_min_f64 v[130:131], v[130:131], v[134:135]
	s_waitcnt vmcnt(0)
	s_delay_alu instid0(VALU_DEP_1) | instskip(SKIP_4) | instid1(VALU_DEP_1)
	v_add_f64 v[130:131], v[130:131], v[132:133]
	v_mov_b32_e32 v133, 0x100
	scratch_store_b64 v129, v[130:131], off
	scratch_load_b64 v[131:132], v128, off
	v_max_f64 v[129:130], v[10:11], v[10:11]
	v_min_f64 v[129:130], v[129:130], v[134:135]
	s_waitcnt vmcnt(0)
	s_delay_alu instid0(VALU_DEP_1) | instskip(SKIP_4) | instid1(VALU_DEP_1)
	v_add_f64 v[129:130], v[129:130], v[131:132]
	v_mov_b32_e32 v132, 0x108
	scratch_store_b64 v128, v[129:130], off
	scratch_load_b64 v[130:131], v127, off
	v_max_f64 v[128:129], v[12:13], v[12:13]
	v_min_f64 v[128:129], v[128:129], v[134:135]
	s_waitcnt vmcnt(0)
	s_delay_alu instid0(VALU_DEP_1) | instskip(SKIP_4) | instid1(VALU_DEP_1)
	v_add_f64 v[128:129], v[128:129], v[130:131]
	v_mov_b32_e32 v131, 0x110
	scratch_store_b64 v127, v[128:129], off
	scratch_load_b64 v[129:130], v126, off
	v_max_f64 v[127:128], v[14:15], v[14:15]
	v_min_f64 v[127:128], v[127:128], v[134:135]
	s_waitcnt vmcnt(0)
	s_delay_alu instid0(VALU_DEP_1) | instskip(SKIP_4) | instid1(VALU_DEP_1)
	v_add_f64 v[127:128], v[127:128], v[129:130]
	v_mov_b32_e32 v130, 0x118
	scratch_store_b64 v126, v[127:128], off
	scratch_load_b64 v[128:129], v125, off
	v_max_f64 v[126:127], v[16:17], v[16:17]
	v_min_f64 v[126:127], v[126:127], v[134:135]
	s_waitcnt vmcnt(0)
	s_delay_alu instid0(VALU_DEP_1) | instskip(SKIP_4) | instid1(VALU_DEP_1)
	v_add_f64 v[126:127], v[126:127], v[128:129]
	v_mov_b32_e32 v129, 0x120
	scratch_store_b64 v125, v[126:127], off
	scratch_load_b64 v[127:128], v124, off
	v_max_f64 v[125:126], v[18:19], v[18:19]
	v_min_f64 v[125:126], v[125:126], v[134:135]
	s_waitcnt vmcnt(0)
	s_delay_alu instid0(VALU_DEP_1) | instskip(SKIP_4) | instid1(VALU_DEP_1)
	v_add_f64 v[125:126], v[125:126], v[127:128]
	v_mov_b32_e32 v128, 0x128
	scratch_store_b64 v124, v[125:126], off
	scratch_load_b64 v[126:127], v123, off
	v_max_f64 v[124:125], v[20:21], v[20:21]
	v_min_f64 v[124:125], v[124:125], v[134:135]
	s_waitcnt vmcnt(0)
	s_delay_alu instid0(VALU_DEP_1) | instskip(SKIP_4) | instid1(VALU_DEP_1)
	v_add_f64 v[124:125], v[124:125], v[126:127]
	v_mov_b32_e32 v127, 0x130
	scratch_store_b64 v123, v[124:125], off
	scratch_load_b64 v[125:126], v122, off
	v_max_f64 v[123:124], v[22:23], v[22:23]
	v_min_f64 v[123:124], v[123:124], v[134:135]
	s_waitcnt vmcnt(0)
	s_delay_alu instid0(VALU_DEP_1) | instskip(SKIP_4) | instid1(VALU_DEP_1)
	v_add_f64 v[123:124], v[123:124], v[125:126]
	v_mov_b32_e32 v126, 0x138
	scratch_store_b64 v122, v[123:124], off
	scratch_load_b64 v[124:125], v121, off
	v_max_f64 v[122:123], v[24:25], v[24:25]
	v_min_f64 v[122:123], v[122:123], v[134:135]
	s_waitcnt vmcnt(0)
	s_delay_alu instid0(VALU_DEP_1) | instskip(SKIP_4) | instid1(VALU_DEP_1)
	v_add_f64 v[122:123], v[122:123], v[124:125]
	v_mov_b32_e32 v125, 0x140
	scratch_store_b64 v121, v[122:123], off
	scratch_load_b64 v[123:124], v120, off
	v_max_f64 v[121:122], v[26:27], v[26:27]
	v_min_f64 v[121:122], v[121:122], v[134:135]
	s_waitcnt vmcnt(0)
	s_delay_alu instid0(VALU_DEP_1) | instskip(SKIP_4) | instid1(VALU_DEP_1)
	v_add_f64 v[121:122], v[121:122], v[123:124]
	v_mov_b32_e32 v124, 0x148
	scratch_store_b64 v120, v[121:122], off
	scratch_load_b64 v[122:123], v119, off
	v_max_f64 v[120:121], v[28:29], v[28:29]
	v_min_f64 v[120:121], v[120:121], v[134:135]
	s_waitcnt vmcnt(0)
	s_delay_alu instid0(VALU_DEP_1) | instskip(SKIP_4) | instid1(VALU_DEP_1)
	v_add_f64 v[120:121], v[120:121], v[122:123]
	v_mov_b32_e32 v123, 0x150
	scratch_store_b64 v119, v[120:121], off
	scratch_load_b64 v[121:122], v118, off
	v_max_f64 v[119:120], v[30:31], v[30:31]
	v_min_f64 v[119:120], v[119:120], v[134:135]
	s_waitcnt vmcnt(0)
	s_delay_alu instid0(VALU_DEP_1) | instskip(SKIP_4) | instid1(VALU_DEP_1)
	v_add_f64 v[119:120], v[119:120], v[121:122]
	v_mov_b32_e32 v122, 0x158
	scratch_store_b64 v118, v[119:120], off
	scratch_load_b64 v[120:121], v117, off
	v_max_f64 v[118:119], v[32:33], v[32:33]
	v_min_f64 v[118:119], v[118:119], v[134:135]
	s_waitcnt vmcnt(0)
	s_delay_alu instid0(VALU_DEP_1) | instskip(SKIP_4) | instid1(VALU_DEP_1)
	v_add_f64 v[118:119], v[118:119], v[120:121]
	v_mov_b32_e32 v121, 0x160
	scratch_store_b64 v117, v[118:119], off
	scratch_load_b64 v[119:120], v116, off
	v_max_f64 v[117:118], v[34:35], v[34:35]
	v_min_f64 v[117:118], v[117:118], v[134:135]
	s_waitcnt vmcnt(0)
	s_delay_alu instid0(VALU_DEP_1) | instskip(SKIP_4) | instid1(VALU_DEP_1)
	v_add_f64 v[117:118], v[117:118], v[119:120]
	v_mov_b32_e32 v120, 0x168
	scratch_store_b64 v116, v[117:118], off
	scratch_load_b64 v[118:119], v115, off
	v_max_f64 v[116:117], v[36:37], v[36:37]
	v_min_f64 v[116:117], v[116:117], v[134:135]
	s_waitcnt vmcnt(0)
	s_delay_alu instid0(VALU_DEP_1) | instskip(SKIP_4) | instid1(VALU_DEP_1)
	v_add_f64 v[116:117], v[116:117], v[118:119]
	v_mov_b32_e32 v119, 0x170
	scratch_store_b64 v115, v[116:117], off
	scratch_load_b64 v[117:118], v114, off
	v_max_f64 v[115:116], v[38:39], v[38:39]
	v_min_f64 v[115:116], v[115:116], v[134:135]
	s_waitcnt vmcnt(0)
	s_delay_alu instid0(VALU_DEP_1) | instskip(SKIP_4) | instid1(VALU_DEP_1)
	v_add_f64 v[115:116], v[115:116], v[117:118]
	v_mov_b32_e32 v118, 0x178
	scratch_store_b64 v114, v[115:116], off
	scratch_load_b64 v[116:117], v113, off
	v_max_f64 v[114:115], v[40:41], v[40:41]
	v_min_f64 v[114:115], v[114:115], v[134:135]
	s_waitcnt vmcnt(0)
	s_delay_alu instid0(VALU_DEP_1) | instskip(SKIP_4) | instid1(VALU_DEP_1)
	v_add_f64 v[114:115], v[114:115], v[116:117]
	v_mov_b32_e32 v117, 0x180
	scratch_store_b64 v113, v[114:115], off
	scratch_load_b64 v[115:116], v112, off
	v_max_f64 v[113:114], v[42:43], v[42:43]
	v_min_f64 v[113:114], v[113:114], v[134:135]
	s_waitcnt vmcnt(0)
	s_delay_alu instid0(VALU_DEP_1) | instskip(SKIP_4) | instid1(VALU_DEP_1)
	v_add_f64 v[113:114], v[113:114], v[115:116]
	v_mov_b32_e32 v116, 0x188
	scratch_store_b64 v112, v[113:114], off
	scratch_load_b64 v[114:115], v111, off
	v_max_f64 v[112:113], v[44:45], v[44:45]
	v_min_f64 v[112:113], v[112:113], v[134:135]
	s_waitcnt vmcnt(0)
	s_delay_alu instid0(VALU_DEP_1) | instskip(SKIP_4) | instid1(VALU_DEP_1)
	v_add_f64 v[112:113], v[112:113], v[114:115]
	v_mov_b32_e32 v115, 0x190
	scratch_store_b64 v111, v[112:113], off
	scratch_load_b64 v[113:114], v110, off
	v_max_f64 v[111:112], v[46:47], v[46:47]
	v_min_f64 v[111:112], v[111:112], v[134:135]
	s_waitcnt vmcnt(0)
	s_delay_alu instid0(VALU_DEP_1) | instskip(SKIP_4) | instid1(VALU_DEP_1)
	v_add_f64 v[111:112], v[111:112], v[113:114]
	v_mov_b32_e32 v114, 0x198
	scratch_store_b64 v110, v[111:112], off
	scratch_load_b64 v[112:113], v109, off
	v_max_f64 v[110:111], v[48:49], v[48:49]
	v_min_f64 v[110:111], v[110:111], v[134:135]
	s_waitcnt vmcnt(0)
	s_delay_alu instid0(VALU_DEP_1) | instskip(SKIP_4) | instid1(VALU_DEP_1)
	v_add_f64 v[110:111], v[110:111], v[112:113]
	v_mov_b32_e32 v113, 0x1a0
	scratch_store_b64 v109, v[110:111], off
	scratch_load_b64 v[111:112], v108, off
	v_max_f64 v[109:110], v[50:51], v[50:51]
	v_min_f64 v[109:110], v[109:110], v[134:135]
	s_waitcnt vmcnt(0)
	s_delay_alu instid0(VALU_DEP_1) | instskip(SKIP_4) | instid1(VALU_DEP_1)
	v_add_f64 v[109:110], v[109:110], v[111:112]
	v_mov_b32_e32 v112, 0x1a8
	scratch_store_b64 v108, v[109:110], off
	scratch_load_b64 v[110:111], v107, off
	v_max_f64 v[108:109], v[52:53], v[52:53]
	v_min_f64 v[108:109], v[108:109], v[134:135]
	s_waitcnt vmcnt(0)
	s_delay_alu instid0(VALU_DEP_1) | instskip(SKIP_4) | instid1(VALU_DEP_1)
	v_add_f64 v[108:109], v[108:109], v[110:111]
	v_mov_b32_e32 v111, 0x1b0
	scratch_store_b64 v107, v[108:109], off
	scratch_load_b64 v[109:110], v106, off
	v_max_f64 v[107:108], v[54:55], v[54:55]
	v_min_f64 v[107:108], v[107:108], v[134:135]
	s_waitcnt vmcnt(0)
	s_delay_alu instid0(VALU_DEP_1) | instskip(SKIP_4) | instid1(VALU_DEP_1)
	v_add_f64 v[107:108], v[107:108], v[109:110]
	v_mov_b32_e32 v110, 0x1b8
	scratch_store_b64 v106, v[107:108], off
	scratch_load_b64 v[108:109], v105, off
	v_max_f64 v[106:107], v[56:57], v[56:57]
	v_min_f64 v[106:107], v[106:107], v[134:135]
	s_waitcnt vmcnt(0)
	s_delay_alu instid0(VALU_DEP_1) | instskip(SKIP_4) | instid1(VALU_DEP_1)
	v_add_f64 v[106:107], v[106:107], v[108:109]
	v_mov_b32_e32 v109, 0x1c0
	scratch_store_b64 v105, v[106:107], off
	scratch_load_b64 v[107:108], v104, off
	v_max_f64 v[105:106], v[58:59], v[58:59]
	v_min_f64 v[105:106], v[105:106], v[134:135]
	s_waitcnt vmcnt(0)
	s_delay_alu instid0(VALU_DEP_1) | instskip(SKIP_4) | instid1(VALU_DEP_1)
	v_add_f64 v[105:106], v[105:106], v[107:108]
	v_mov_b32_e32 v108, 0x1c8
	scratch_store_b64 v104, v[105:106], off
	scratch_load_b64 v[106:107], v85, off
	v_max_f64 v[104:105], v[60:61], v[60:61]
	v_min_f64 v[104:105], v[104:105], v[134:135]
	s_waitcnt vmcnt(0)
	s_delay_alu instid0(VALU_DEP_1) | instskip(SKIP_4) | instid1(VALU_DEP_2)
	v_add_f64 v[104:105], v[104:105], v[106:107]
	scratch_load_b64 v[106:107], v84, off
	scratch_store_b64 v85, v[104:105], off
	v_max_f64 v[104:105], v[62:63], v[62:63]
	v_mov_b32_e32 v85, 0x1f0
	v_min_f64 v[104:105], v[104:105], v[134:135]
	s_waitcnt vmcnt(0)
	s_delay_alu instid0(VALU_DEP_1)
	v_add_f64 v[104:105], v[104:105], v[106:107]
	v_mov_b32_e32 v107, 0x1d0
	v_mov_b32_e32 v106, 0x1d8
	scratch_store_b64 v84, v[104:105], off
	v_mov_b32_e32 v105, 0x1e0
	v_mov_b32_e32 v104, 0x1e8
	;; [unrolled: 1-line block ×3, first 2 shown]
	s_cbranch_vccnz .LBB202_61
; %bb.62:                               ;   in Loop: Header=BB202_34 Depth=1
	ds_load_2addr_b64 v[0:3], v90 offset0:2 offset1:18
	ds_load_2addr_b64 v[4:7], v90 offset0:34 offset1:50
	;; [unrolled: 1-line block ×12, first 2 shown]
	v_dual_mov_b32 v133, 0 :: v_dual_add_nc_u32 v64, 16, v94
	ds_load_2addr_b64 v[48:51], v72 offset0:130 offset1:146
	ds_load_2addr_b64 v[52:55], v72 offset0:162 offset1:178
	ds_load_2addr_b64 v[56:59], v72 offset0:194 offset1:210
	ds_load_2addr_b64 v[60:63], v72 offset0:226 offset1:242
	ds_load_2addr_stride64_b64 v[64:67], v64 offset1:4
	v_dual_mov_b32 v132, 8 :: v_dual_mov_b32 v131, 16
	v_dual_mov_b32 v130, 24 :: v_dual_mov_b32 v129, 32
	;; [unrolled: 1-line block ×4, first 2 shown]
	v_mov_b32_e32 v124, 0x48
	v_mov_b32_e32 v123, 0x50
	;; [unrolled: 1-line block ×23, first 2 shown]
	s_mov_b64 s[6:7], 0
	s_mov_b32 s23, -1
.LBB202_63:                             ;   Parent Loop BB202_34 Depth=1
                                        ; =>  This Inner Loop Header: Depth=2
	scratch_load_b64 v[138:139], v133, off
	s_cmp_eq_u32 s6, 1
	s_waitcnt lgkmcnt(16)
	v_max_f64 v[136:137], v[0:1], v[0:1]
	s_cselect_b32 vcc_lo, -1, 0
	s_mov_b64 s[6:7], 1
	s_waitcnt lgkmcnt(0)
	v_dual_cndmask_b32 v135, v65, v67 :: v_dual_cndmask_b32 v134, v64, v66
	s_and_b32 vcc_lo, exec_lo, s23
	s_mov_b32 s23, 0
	s_delay_alu instid0(VALU_DEP_1) | instskip(NEXT) | instid1(VALU_DEP_1)
	v_max_f64 v[134:135], v[134:135], v[134:135]
	v_min_f64 v[136:137], v[136:137], v[134:135]
	s_waitcnt vmcnt(0)
	s_delay_alu instid0(VALU_DEP_1) | instskip(SKIP_3) | instid1(VALU_DEP_1)
	v_add_f64 v[136:137], v[138:139], v[136:137]
	scratch_load_b64 v[138:139], v132, off
	scratch_store_b64 v133, v[136:137], off
	v_max_f64 v[136:137], v[2:3], v[2:3]
	v_min_f64 v[136:137], v[136:137], v[134:135]
	s_waitcnt vmcnt(0)
	s_delay_alu instid0(VALU_DEP_1) | instskip(SKIP_3) | instid1(VALU_DEP_1)
	v_add_f64 v[136:137], v[136:137], v[138:139]
	scratch_store_b64 v132, v[136:137], off
	scratch_load_b64 v[136:137], v131, off
	v_max_f64 v[132:133], v[4:5], v[4:5]
	v_min_f64 v[132:133], v[132:133], v[134:135]
	s_waitcnt vmcnt(0)
	s_delay_alu instid0(VALU_DEP_1) | instskip(SKIP_3) | instid1(VALU_DEP_1)
	v_add_f64 v[132:133], v[132:133], v[136:137]
	scratch_load_b64 v[136:137], v130, off
	scratch_store_b64 v131, v[132:133], off
	v_max_f64 v[131:132], v[6:7], v[6:7]
	v_min_f64 v[131:132], v[131:132], v[134:135]
	s_waitcnt vmcnt(0)
	s_delay_alu instid0(VALU_DEP_1) | instskip(SKIP_3) | instid1(VALU_DEP_1)
	v_add_f64 v[131:132], v[131:132], v[136:137]
	scratch_store_b64 v130, v[131:132], off
	scratch_load_b64 v[132:133], v129, off
	v_max_f64 v[130:131], v[8:9], v[8:9]
	v_min_f64 v[130:131], v[130:131], v[134:135]
	s_waitcnt vmcnt(0)
	s_delay_alu instid0(VALU_DEP_1) | instskip(SKIP_4) | instid1(VALU_DEP_1)
	v_add_f64 v[130:131], v[130:131], v[132:133]
	v_mov_b32_e32 v133, 0x100
	scratch_store_b64 v129, v[130:131], off
	scratch_load_b64 v[131:132], v128, off
	v_max_f64 v[129:130], v[10:11], v[10:11]
	v_min_f64 v[129:130], v[129:130], v[134:135]
	s_waitcnt vmcnt(0)
	s_delay_alu instid0(VALU_DEP_1) | instskip(SKIP_4) | instid1(VALU_DEP_1)
	v_add_f64 v[129:130], v[129:130], v[131:132]
	v_mov_b32_e32 v132, 0x108
	;; [unrolled: 8-line block ×26, first 2 shown]
	scratch_store_b64 v104, v[105:106], off
	scratch_load_b64 v[106:107], v85, off
	v_max_f64 v[104:105], v[60:61], v[60:61]
	v_min_f64 v[104:105], v[104:105], v[134:135]
	s_waitcnt vmcnt(0)
	s_delay_alu instid0(VALU_DEP_1) | instskip(SKIP_4) | instid1(VALU_DEP_2)
	v_add_f64 v[104:105], v[104:105], v[106:107]
	scratch_load_b64 v[106:107], v84, off
	scratch_store_b64 v85, v[104:105], off
	v_max_f64 v[104:105], v[62:63], v[62:63]
	v_mov_b32_e32 v85, 0x1f0
	v_min_f64 v[104:105], v[104:105], v[134:135]
	s_waitcnt vmcnt(0)
	s_delay_alu instid0(VALU_DEP_1)
	v_add_f64 v[104:105], v[104:105], v[106:107]
	v_mov_b32_e32 v107, 0x1d0
	v_mov_b32_e32 v106, 0x1d8
	scratch_store_b64 v84, v[104:105], off
	v_mov_b32_e32 v105, 0x1e0
	v_mov_b32_e32 v104, 0x1e8
	;; [unrolled: 1-line block ×3, first 2 shown]
	s_cbranch_vccnz .LBB202_63
; %bb.64:                               ;   in Loop: Header=BB202_34 Depth=1
	ds_load_2addr_b64 v[0:3], v90 offset0:3 offset1:19
	ds_load_2addr_b64 v[4:7], v90 offset0:35 offset1:51
	ds_load_2addr_b64 v[8:11], v90 offset0:67 offset1:83
	ds_load_2addr_b64 v[12:15], v90 offset0:99 offset1:115
	ds_load_2addr_b64 v[16:19], v90 offset0:131 offset1:147
	ds_load_2addr_b64 v[20:23], v90 offset0:163 offset1:179
	ds_load_2addr_b64 v[24:27], v90 offset0:195 offset1:211
	ds_load_2addr_b64 v[28:31], v90 offset0:227 offset1:243
	ds_load_2addr_b64 v[32:35], v72 offset0:3 offset1:19
	ds_load_2addr_b64 v[36:39], v72 offset0:35 offset1:51
	ds_load_2addr_b64 v[40:43], v72 offset0:67 offset1:83
	ds_load_2addr_b64 v[44:47], v72 offset0:99 offset1:115
	v_dual_mov_b32 v131, 8 :: v_dual_add_nc_u32 v64, 24, v94
	ds_load_2addr_b64 v[48:51], v72 offset0:131 offset1:147
	ds_load_2addr_b64 v[52:55], v72 offset0:163 offset1:179
	;; [unrolled: 1-line block ×4, first 2 shown]
	ds_load_2addr_stride64_b64 v[64:67], v64 offset1:4
	v_dual_mov_b32 v132, 0 :: v_dual_mov_b32 v129, 24
	v_dual_mov_b32 v130, 16 :: v_dual_mov_b32 v127, 40
	;; [unrolled: 1-line block ×5, first 2 shown]
	v_mov_b32_e32 v122, 0x50
	v_mov_b32_e32 v120, 0x60
	;; [unrolled: 1-line block ×21, first 2 shown]
	s_mov_b64 s[6:7], 0
	s_mov_b32 s23, -1
.LBB202_65:                             ;   Parent Loop BB202_34 Depth=1
                                        ; =>  This Inner Loop Header: Depth=2
	scratch_load_b64 v[137:138], v132, off
	s_cmp_eq_u32 s6, 1
	s_waitcnt lgkmcnt(16)
	v_max_f64 v[135:136], v[0:1], v[0:1]
	s_cselect_b32 vcc_lo, -1, 0
	s_mov_b64 s[6:7], 1
	s_waitcnt lgkmcnt(0)
	v_dual_cndmask_b32 v134, v65, v67 :: v_dual_cndmask_b32 v133, v64, v66
	s_and_b32 vcc_lo, exec_lo, s23
	s_mov_b32 s23, 0
	s_delay_alu instid0(VALU_DEP_1) | instskip(NEXT) | instid1(VALU_DEP_1)
	v_max_f64 v[133:134], v[133:134], v[133:134]
	v_min_f64 v[135:136], v[135:136], v[133:134]
	s_waitcnt vmcnt(0)
	s_delay_alu instid0(VALU_DEP_1) | instskip(SKIP_3) | instid1(VALU_DEP_1)
	v_add_f64 v[135:136], v[137:138], v[135:136]
	scratch_load_b64 v[137:138], v131, off
	scratch_store_b64 v132, v[135:136], off
	v_max_f64 v[135:136], v[2:3], v[2:3]
	v_min_f64 v[135:136], v[135:136], v[133:134]
	s_waitcnt vmcnt(0)
	s_delay_alu instid0(VALU_DEP_1) | instskip(SKIP_3) | instid1(VALU_DEP_1)
	v_add_f64 v[135:136], v[135:136], v[137:138]
	scratch_store_b64 v131, v[135:136], off
	scratch_load_b64 v[135:136], v130, off
	v_max_f64 v[131:132], v[4:5], v[4:5]
	v_min_f64 v[131:132], v[131:132], v[133:134]
	s_waitcnt vmcnt(0)
	s_delay_alu instid0(VALU_DEP_1) | instskip(SKIP_3) | instid1(VALU_DEP_1)
	v_add_f64 v[131:132], v[131:132], v[135:136]
	scratch_load_b64 v[135:136], v129, off
	scratch_store_b64 v130, v[131:132], off
	v_max_f64 v[130:131], v[6:7], v[6:7]
	v_min_f64 v[130:131], v[130:131], v[133:134]
	s_waitcnt vmcnt(0)
	s_delay_alu instid0(VALU_DEP_1) | instskip(SKIP_3) | instid1(VALU_DEP_1)
	v_add_f64 v[130:131], v[130:131], v[135:136]
	scratch_store_b64 v129, v[130:131], off
	scratch_load_b64 v[131:132], v128, off
	v_max_f64 v[129:130], v[8:9], v[8:9]
	v_min_f64 v[129:130], v[129:130], v[133:134]
	s_waitcnt vmcnt(0)
	s_delay_alu instid0(VALU_DEP_1) | instskip(SKIP_4) | instid1(VALU_DEP_1)
	v_add_f64 v[129:130], v[129:130], v[131:132]
	v_mov_b32_e32 v132, 0x100
	scratch_store_b64 v128, v[129:130], off
	scratch_load_b64 v[130:131], v127, off
	v_max_f64 v[128:129], v[10:11], v[10:11]
	v_min_f64 v[128:129], v[128:129], v[133:134]
	s_waitcnt vmcnt(0)
	s_delay_alu instid0(VALU_DEP_1) | instskip(SKIP_4) | instid1(VALU_DEP_1)
	v_add_f64 v[128:129], v[128:129], v[130:131]
	v_mov_b32_e32 v131, 0x108
	;; [unrolled: 8-line block ×25, first 2 shown]
	scratch_store_b64 v104, v[105:106], off
	scratch_load_b64 v[106:107], v85, off
	v_max_f64 v[104:105], v[58:59], v[58:59]
	v_min_f64 v[104:105], v[104:105], v[133:134]
	s_waitcnt vmcnt(0)
	s_delay_alu instid0(VALU_DEP_1) | instskip(SKIP_3) | instid1(VALU_DEP_1)
	v_add_f64 v[104:105], v[104:105], v[106:107]
	scratch_load_b64 v[106:107], v84, off
	scratch_store_b64 v85, v[104:105], off
	v_max_f64 v[104:105], v[60:61], v[60:61]
	v_min_f64 v[104:105], v[104:105], v[133:134]
	s_waitcnt vmcnt(0)
	s_delay_alu instid0(VALU_DEP_1)
	v_add_f64 v[104:105], v[104:105], v[106:107]
	v_mov_b32_e32 v107, 0x1c8
	v_mov_b32_e32 v106, 0x1d0
	scratch_store_b64 v84, v[104:105], off
	scratch_load_b64 v[104:105], v72, off
	v_max_f64 v[84:85], v[62:63], v[62:63]
	s_delay_alu instid0(VALU_DEP_1) | instskip(SKIP_1) | instid1(VALU_DEP_1)
	v_min_f64 v[84:85], v[84:85], v[133:134]
	s_waitcnt vmcnt(0)
	v_add_f64 v[84:85], v[84:85], v[104:105]
	v_mov_b32_e32 v105, 0x1d8
	v_mov_b32_e32 v104, 0x1e0
	scratch_store_b64 v72, v[84:85], off
	v_mov_b32_e32 v85, 0x1e8
	v_mov_b32_e32 v84, 0x1f0
	;; [unrolled: 1-line block ×3, first 2 shown]
	s_cbranch_vccnz .LBB202_65
; %bb.66:                               ;   in Loop: Header=BB202_34 Depth=1
	s_add_i32 s22, s22, 8
	s_add_i32 s20, s20, 8
	s_cmp_ge_i32 s22, s21
	ds_store_2addr_stride64_b64 v95, v[76:77], v[78:79] offset1:4
	ds_store_2addr_stride64_b64 v96, v[82:83], v[80:81] offset1:4
	s_waitcnt lgkmcnt(0)
	s_waitcnt_vscnt null, 0x0
	s_barrier
	buffer_gl0_inv
	s_cbranch_scc0 .LBB202_34
.LBB202_67:
	v_dual_mov_b32 v71, 8 :: v_dual_add_nc_u32 v28, 0x1000, v90
	v_dual_mov_b32 v75, 40 :: v_dual_add_nc_u32 v60, 0x1800, v90
	;; [unrolled: 1-line block ×3, first 2 shown]
	ds_load_2addr_b64 v[0:3], v28 offset1:16
	ds_load_2addr_b64 v[4:7], v28 offset0:32 offset1:48
	ds_load_2addr_b64 v[8:11], v28 offset0:64 offset1:80
	;; [unrolled: 1-line block ×7, first 2 shown]
	ds_load_2addr_b64 v[32:35], v60 offset1:16
	ds_load_2addr_b64 v[36:39], v60 offset0:32 offset1:48
	ds_load_2addr_b64 v[40:43], v60 offset0:64 offset1:80
	;; [unrolled: 1-line block ×7, first 2 shown]
	ds_load_2addr_stride64_b64 v[64:67], v92 offset0:24 offset1:28
	v_dual_mov_b32 v70, 0 :: v_dual_add_nc_u32 v69, 0x3000, v92
	v_dual_mov_b32 v72, 16 :: v_dual_mov_b32 v77, 56
	v_dual_mov_b32 v74, 32 :: v_dual_mov_b32 v79, 0x48
	;; [unrolled: 1-line block ×4, first 2 shown]
	v_mov_b32_e32 v80, 0x50
	v_mov_b32_e32 v82, 0x60
	;; [unrolled: 1-line block ×20, first 2 shown]
	s_mov_b64 s[2:3], 0
	s_mov_b32 s4, -1
.LBB202_68:                             ; =>This Inner Loop Header: Depth=1
	scratch_load_b64 v[104:105], v70, off
	scratch_load_b64 v[106:107], v71, off
	;; [unrolled: 1-line block ×32, first 2 shown]
	s_cmp_eq_u32 s2, 1
	s_waitcnt lgkmcnt(16)
	v_max_f64 v[170:171], v[0:1], v[0:1]
	s_cselect_b32 vcc_lo, -1, 0
	v_max_f64 v[172:173], v[2:3], v[2:3]
	s_waitcnt lgkmcnt(0)
	v_dual_cndmask_b32 v169, v65, v67 :: v_dual_cndmask_b32 v168, v64, v66
	v_max_f64 v[174:175], v[4:5], v[4:5]
	v_max_f64 v[176:177], v[6:7], v[6:7]
	v_max_f64 v[178:179], v[8:9], v[8:9]
	v_max_f64 v[180:181], v[10:11], v[10:11]
	v_max_f64 v[168:169], v[168:169], v[168:169]
	v_max_f64 v[182:183], v[12:13], v[12:13]
	v_max_f64 v[184:185], v[14:15], v[14:15]
	v_max_f64 v[186:187], v[16:17], v[16:17]
	v_max_f64 v[188:189], v[18:19], v[18:19]
	v_max_f64 v[190:191], v[20:21], v[20:21]
	v_max_f64 v[192:193], v[22:23], v[22:23]
	v_max_f64 v[194:195], v[24:25], v[24:25]
	v_max_f64 v[196:197], v[26:27], v[26:27]
	v_max_f64 v[198:199], v[28:29], v[28:29]
	v_max_f64 v[200:201], v[30:31], v[30:31]
	v_max_f64 v[202:203], v[32:33], v[32:33]
	v_max_f64 v[204:205], v[34:35], v[34:35]
	v_max_f64 v[206:207], v[36:37], v[36:37]
	v_max_f64 v[208:209], v[38:39], v[38:39]
	v_max_f64 v[210:211], v[40:41], v[40:41]
	v_max_f64 v[212:213], v[42:43], v[42:43]
	v_max_f64 v[214:215], v[44:45], v[44:45]
	v_max_f64 v[216:217], v[46:47], v[46:47]
	v_max_f64 v[218:219], v[48:49], v[48:49]
	v_max_f64 v[220:221], v[50:51], v[50:51]
	v_max_f64 v[222:223], v[52:53], v[52:53]
	v_max_f64 v[224:225], v[54:55], v[54:55]
	v_max_f64 v[226:227], v[56:57], v[56:57]
	v_max_f64 v[228:229], v[58:59], v[58:59]
	v_max_f64 v[230:231], v[60:61], v[60:61]
	v_max_f64 v[232:233], v[62:63], v[62:63]
	s_mov_b64 s[2:3], 1
	s_and_b32 vcc_lo, exec_lo, s4
	s_mov_b32 s4, 0
	v_min_f64 v[170:171], v[170:171], v[168:169]
	v_min_f64 v[172:173], v[172:173], v[168:169]
	;; [unrolled: 1-line block ×32, first 2 shown]
	s_waitcnt vmcnt(31)
	v_add_f64 v[104:105], v[104:105], v[170:171]
	s_waitcnt vmcnt(30)
	v_add_f64 v[106:107], v[172:173], v[106:107]
	s_waitcnt vmcnt(29)
	v_add_f64 v[108:109], v[174:175], v[108:109]
	s_waitcnt vmcnt(28)
	v_add_f64 v[110:111], v[176:177], v[110:111]
	s_waitcnt vmcnt(27)
	v_add_f64 v[112:113], v[178:179], v[112:113]
	s_waitcnt vmcnt(26)
	v_add_f64 v[114:115], v[180:181], v[114:115]
	s_waitcnt vmcnt(25)
	v_add_f64 v[116:117], v[182:183], v[116:117]
	s_waitcnt vmcnt(24)
	v_add_f64 v[118:119], v[184:185], v[118:119]
	s_waitcnt vmcnt(23)
	v_add_f64 v[120:121], v[186:187], v[120:121]
	s_waitcnt vmcnt(22)
	v_add_f64 v[122:123], v[188:189], v[122:123]
	s_waitcnt vmcnt(21)
	v_add_f64 v[124:125], v[190:191], v[124:125]
	s_waitcnt vmcnt(20)
	v_add_f64 v[126:127], v[192:193], v[126:127]
	s_waitcnt vmcnt(19)
	v_add_f64 v[128:129], v[194:195], v[128:129]
	s_waitcnt vmcnt(18)
	v_add_f64 v[130:131], v[196:197], v[130:131]
	s_waitcnt vmcnt(17)
	v_add_f64 v[132:133], v[198:199], v[132:133]
	s_waitcnt vmcnt(16)
	v_add_f64 v[134:135], v[200:201], v[134:135]
	s_waitcnt vmcnt(15)
	v_add_f64 v[136:137], v[202:203], v[136:137]
	s_waitcnt vmcnt(14)
	v_add_f64 v[138:139], v[204:205], v[138:139]
	s_waitcnt vmcnt(13)
	v_add_f64 v[140:141], v[206:207], v[140:141]
	s_waitcnt vmcnt(12)
	v_add_f64 v[142:143], v[208:209], v[142:143]
	s_waitcnt vmcnt(11)
	v_add_f64 v[144:145], v[210:211], v[144:145]
	s_waitcnt vmcnt(10)
	v_add_f64 v[146:147], v[212:213], v[146:147]
	s_waitcnt vmcnt(9)
	v_add_f64 v[148:149], v[214:215], v[148:149]
	s_waitcnt vmcnt(8)
	v_add_f64 v[150:151], v[216:217], v[150:151]
	s_waitcnt vmcnt(7)
	v_add_f64 v[152:153], v[218:219], v[152:153]
	s_waitcnt vmcnt(6)
	v_add_f64 v[154:155], v[220:221], v[154:155]
	s_waitcnt vmcnt(5)
	v_add_f64 v[156:157], v[222:223], v[156:157]
	s_waitcnt vmcnt(4)
	v_add_f64 v[158:159], v[224:225], v[158:159]
	s_waitcnt vmcnt(3)
	v_add_f64 v[160:161], v[226:227], v[160:161]
	s_waitcnt vmcnt(2)
	v_add_f64 v[162:163], v[228:229], v[162:163]
	s_waitcnt vmcnt(1)
	v_add_f64 v[164:165], v[230:231], v[164:165]
	s_waitcnt vmcnt(0)
	v_add_f64 v[166:167], v[168:169], v[166:167]
	scratch_store_b64 v70, v[104:105], off
	scratch_store_b64 v71, v[106:107], off
	;; [unrolled: 1-line block ×32, first 2 shown]
	v_mov_b32_e32 v70, 0x100
	v_mov_b32_e32 v71, 0x108
	;; [unrolled: 1-line block ×32, first 2 shown]
	s_cbranch_vccnz .LBB202_68
; %bb.69:
	v_dual_mov_b32 v71, 8 :: v_dual_add_nc_u32 v60, 0x800, v68
	ds_load_2addr_b64 v[0:3], v68 offset0:1 offset1:17
	ds_load_2addr_b64 v[4:7], v68 offset0:33 offset1:49
	;; [unrolled: 1-line block ×12, first 2 shown]
	v_dual_mov_b32 v73, 24 :: v_dual_add_nc_u32 v64, 8, v69
	ds_load_2addr_b64 v[48:51], v60 offset0:129 offset1:145
	ds_load_2addr_b64 v[52:55], v60 offset0:161 offset1:177
	;; [unrolled: 1-line block ×4, first 2 shown]
	ds_load_2addr_stride64_b64 v[64:67], v64 offset1:4
	v_dual_mov_b32 v70, 0 :: v_dual_mov_b32 v75, 40
	v_dual_mov_b32 v72, 16 :: v_dual_mov_b32 v77, 56
	;; [unrolled: 1-line block ×5, first 2 shown]
	v_mov_b32_e32 v80, 0x50
	v_mov_b32_e32 v82, 0x60
	v_mov_b32_e32 v84, 0x70
	v_mov_b32_e32 v85, 0x78
	v_mov_b32_e32 v88, 0x80
	v_mov_b32_e32 v89, 0x88
	v_mov_b32_e32 v90, 0x90
	v_mov_b32_e32 v91, 0x98
	v_mov_b32_e32 v92, 0xa0
	v_mov_b32_e32 v93, 0xa8
	v_mov_b32_e32 v94, 0xb0
	v_mov_b32_e32 v95, 0xb8
	v_mov_b32_e32 v96, 0xc0
	v_mov_b32_e32 v97, 0xc8
	v_mov_b32_e32 v98, 0xd0
	v_mov_b32_e32 v99, 0xd8
	v_mov_b32_e32 v100, 0xe0
	v_mov_b32_e32 v101, 0xe8
	v_mov_b32_e32 v102, 0xf0
	v_mov_b32_e32 v103, 0xf8
	s_mov_b64 s[2:3], 0
	s_mov_b32 s4, -1
.LBB202_70:                             ; =>This Inner Loop Header: Depth=1
	scratch_load_b64 v[104:105], v70, off
	scratch_load_b64 v[106:107], v71, off
	;; [unrolled: 1-line block ×32, first 2 shown]
	s_cmp_eq_u32 s2, 1
	s_waitcnt lgkmcnt(16)
	v_max_f64 v[170:171], v[0:1], v[0:1]
	s_cselect_b32 vcc_lo, -1, 0
	v_max_f64 v[172:173], v[2:3], v[2:3]
	s_waitcnt lgkmcnt(0)
	v_dual_cndmask_b32 v169, v65, v67 :: v_dual_cndmask_b32 v168, v64, v66
	v_max_f64 v[174:175], v[4:5], v[4:5]
	v_max_f64 v[176:177], v[6:7], v[6:7]
	;; [unrolled: 1-line block ×31, first 2 shown]
	s_mov_b64 s[2:3], 1
	s_and_b32 vcc_lo, exec_lo, s4
	s_mov_b32 s4, 0
	v_min_f64 v[170:171], v[170:171], v[168:169]
	v_min_f64 v[172:173], v[172:173], v[168:169]
	;; [unrolled: 1-line block ×32, first 2 shown]
	s_waitcnt vmcnt(31)
	v_add_f64 v[104:105], v[104:105], v[170:171]
	s_waitcnt vmcnt(30)
	v_add_f64 v[106:107], v[172:173], v[106:107]
	;; [unrolled: 2-line block ×32, first 2 shown]
	scratch_store_b64 v70, v[104:105], off
	scratch_store_b64 v71, v[106:107], off
	;; [unrolled: 1-line block ×32, first 2 shown]
	v_mov_b32_e32 v70, 0x100
	v_mov_b32_e32 v71, 0x108
	;; [unrolled: 1-line block ×32, first 2 shown]
	s_cbranch_vccnz .LBB202_70
; %bb.71:
	v_dual_mov_b32 v71, 8 :: v_dual_add_nc_u32 v60, 0x800, v68
	ds_load_2addr_b64 v[0:3], v68 offset0:2 offset1:18
	ds_load_2addr_b64 v[4:7], v68 offset0:34 offset1:50
	;; [unrolled: 1-line block ×12, first 2 shown]
	v_dual_mov_b32 v73, 24 :: v_dual_add_nc_u32 v64, 16, v69
	ds_load_2addr_b64 v[48:51], v60 offset0:130 offset1:146
	ds_load_2addr_b64 v[52:55], v60 offset0:162 offset1:178
	;; [unrolled: 1-line block ×4, first 2 shown]
	ds_load_2addr_stride64_b64 v[64:67], v64 offset1:4
	v_dual_mov_b32 v70, 0 :: v_dual_mov_b32 v75, 40
	v_dual_mov_b32 v72, 16 :: v_dual_mov_b32 v77, 56
	;; [unrolled: 1-line block ×5, first 2 shown]
	v_mov_b32_e32 v80, 0x50
	v_mov_b32_e32 v82, 0x60
	;; [unrolled: 1-line block ×20, first 2 shown]
	s_mov_b64 s[2:3], 0
	s_mov_b32 s4, -1
.LBB202_72:                             ; =>This Inner Loop Header: Depth=1
	scratch_load_b64 v[104:105], v70, off
	scratch_load_b64 v[106:107], v71, off
	;; [unrolled: 1-line block ×32, first 2 shown]
	s_cmp_eq_u32 s2, 1
	s_waitcnt lgkmcnt(16)
	v_max_f64 v[170:171], v[0:1], v[0:1]
	s_cselect_b32 vcc_lo, -1, 0
	v_max_f64 v[172:173], v[2:3], v[2:3]
	s_waitcnt lgkmcnt(0)
	v_dual_cndmask_b32 v169, v65, v67 :: v_dual_cndmask_b32 v168, v64, v66
	v_max_f64 v[174:175], v[4:5], v[4:5]
	v_max_f64 v[176:177], v[6:7], v[6:7]
	;; [unrolled: 1-line block ×31, first 2 shown]
	s_mov_b64 s[2:3], 1
	s_and_b32 vcc_lo, exec_lo, s4
	s_mov_b32 s4, 0
	v_min_f64 v[170:171], v[170:171], v[168:169]
	v_min_f64 v[172:173], v[172:173], v[168:169]
	;; [unrolled: 1-line block ×32, first 2 shown]
	s_waitcnt vmcnt(31)
	v_add_f64 v[104:105], v[104:105], v[170:171]
	s_waitcnt vmcnt(30)
	v_add_f64 v[106:107], v[172:173], v[106:107]
	;; [unrolled: 2-line block ×32, first 2 shown]
	scratch_store_b64 v70, v[104:105], off
	scratch_store_b64 v71, v[106:107], off
	;; [unrolled: 1-line block ×32, first 2 shown]
	v_mov_b32_e32 v70, 0x100
	v_mov_b32_e32 v71, 0x108
	;; [unrolled: 1-line block ×32, first 2 shown]
	s_cbranch_vccnz .LBB202_72
; %bb.73:
	v_add_nc_u32_e32 v60, 0x800, v68
	ds_load_2addr_b64 v[0:3], v68 offset0:3 offset1:19
	ds_load_2addr_b64 v[4:7], v68 offset0:35 offset1:51
	;; [unrolled: 1-line block ×4, first 2 shown]
	v_dual_mov_b32 v71, 24 :: v_dual_add_nc_u32 v64, 24, v69
	v_mov_b32_e32 v69, 8
	ds_load_2addr_b64 v[16:19], v68 offset0:131 offset1:147
	ds_load_2addr_b64 v[20:23], v68 offset0:163 offset1:179
	;; [unrolled: 1-line block ×12, first 2 shown]
	ds_load_2addr_stride64_b64 v[64:67], v64 offset1:4
	v_dual_mov_b32 v68, 0 :: v_dual_mov_b32 v73, 40
	v_dual_mov_b32 v70, 16 :: v_dual_mov_b32 v75, 56
	;; [unrolled: 1-line block ×5, first 2 shown]
	v_mov_b32_e32 v78, 0x50
	v_mov_b32_e32 v80, 0x60
	;; [unrolled: 1-line block ×20, first 2 shown]
	s_mov_b64 s[2:3], 0
	s_mov_b32 s4, -1
.LBB202_74:                             ; =>This Inner Loop Header: Depth=1
	scratch_load_b64 v[102:103], v68, off
	scratch_load_b64 v[104:105], v69, off
	;; [unrolled: 1-line block ×32, first 2 shown]
	s_cmp_eq_u32 s2, 1
	s_waitcnt lgkmcnt(16)
	v_max_f64 v[168:169], v[0:1], v[0:1]
	s_cselect_b32 vcc_lo, -1, 0
	v_max_f64 v[170:171], v[2:3], v[2:3]
	s_waitcnt lgkmcnt(0)
	v_dual_cndmask_b32 v167, v65, v67 :: v_dual_cndmask_b32 v166, v64, v66
	v_max_f64 v[172:173], v[4:5], v[4:5]
	v_max_f64 v[174:175], v[6:7], v[6:7]
	;; [unrolled: 1-line block ×31, first 2 shown]
	s_mov_b64 s[2:3], 1
	s_and_b32 vcc_lo, exec_lo, s4
	s_mov_b32 s4, 0
	v_min_f64 v[168:169], v[168:169], v[166:167]
	v_min_f64 v[170:171], v[170:171], v[166:167]
	v_min_f64 v[172:173], v[172:173], v[166:167]
	v_min_f64 v[174:175], v[174:175], v[166:167]
	v_min_f64 v[176:177], v[176:177], v[166:167]
	v_min_f64 v[178:179], v[178:179], v[166:167]
	v_min_f64 v[180:181], v[180:181], v[166:167]
	v_min_f64 v[182:183], v[182:183], v[166:167]
	v_min_f64 v[184:185], v[184:185], v[166:167]
	v_min_f64 v[186:187], v[186:187], v[166:167]
	v_min_f64 v[188:189], v[188:189], v[166:167]
	v_min_f64 v[190:191], v[190:191], v[166:167]
	v_min_f64 v[192:193], v[192:193], v[166:167]
	v_min_f64 v[194:195], v[194:195], v[166:167]
	v_min_f64 v[196:197], v[196:197], v[166:167]
	v_min_f64 v[198:199], v[198:199], v[166:167]
	v_min_f64 v[200:201], v[200:201], v[166:167]
	v_min_f64 v[202:203], v[202:203], v[166:167]
	v_min_f64 v[204:205], v[204:205], v[166:167]
	v_min_f64 v[206:207], v[206:207], v[166:167]
	v_min_f64 v[208:209], v[208:209], v[166:167]
	v_min_f64 v[210:211], v[210:211], v[166:167]
	v_min_f64 v[212:213], v[212:213], v[166:167]
	v_min_f64 v[214:215], v[214:215], v[166:167]
	v_min_f64 v[216:217], v[216:217], v[166:167]
	v_min_f64 v[218:219], v[218:219], v[166:167]
	v_min_f64 v[220:221], v[220:221], v[166:167]
	v_min_f64 v[222:223], v[222:223], v[166:167]
	v_min_f64 v[224:225], v[224:225], v[166:167]
	v_min_f64 v[226:227], v[226:227], v[166:167]
	v_min_f64 v[228:229], v[228:229], v[166:167]
	v_min_f64 v[166:167], v[230:231], v[166:167]
	s_waitcnt vmcnt(31)
	v_add_f64 v[102:103], v[102:103], v[168:169]
	s_waitcnt vmcnt(30)
	v_add_f64 v[104:105], v[170:171], v[104:105]
	;; [unrolled: 2-line block ×32, first 2 shown]
	scratch_store_b64 v68, v[102:103], off
	scratch_store_b64 v69, v[104:105], off
	;; [unrolled: 1-line block ×32, first 2 shown]
	v_mov_b32_e32 v68, 0x100
	v_mov_b32_e32 v69, 0x108
	;; [unrolled: 1-line block ×32, first 2 shown]
	s_cbranch_vccnz .LBB202_74
; %bb.75:
	s_clause 0x2
	s_load_b64 s[2:3], s[0:1], 0x78
	s_load_b32 s42, s[0:1], 0x58
	s_load_b32 s37, s[0:1], 0x70
	v_add_nc_u32_e32 v71, s9, v87
	v_add_nc_u32_e32 v0, s8, v86
	v_cndmask_b32_e64 v70, 0, 1, s36
	s_delay_alu instid0(VALU_DEP_3)
	v_cmp_gt_i32_e64 s8, s41, v71
	s_waitcnt lgkmcnt(0)
	s_mul_i32 s0, s15, s3
	v_mad_i64_i32 v[1:2], null, v71, s42, 0
	v_mad_i64_i32 v[3:4], null, v71, s37, 0
	s_mul_hi_u32 s1, s15, s2
	s_mul_i32 s3, s18, s2
	s_add_i32 s0, s1, s0
	s_mul_i32 s2, s15, s2
	s_delay_alu instid0(VALU_DEP_2) | instskip(SKIP_1) | instid1(VALU_DEP_2)
	v_lshlrev_b64 v[5:6], 3, v[1:2]
	s_add_i32 s3, s0, s3
	v_lshlrev_b64 v[2:3], 3, v[3:4]
	s_lshl_b64 s[2:3], s[2:3], 3
	v_cmp_gt_i32_e64 s0, s40, v0
	s_add_u32 s43, s10, s2
	v_add_co_u32 v68, vcc_lo, s34, v5
	v_add_co_ci_u32_e32 v69, vcc_lo, s35, v6, vcc_lo
	s_addc_u32 s44, s11, s3
	v_add_co_u32 v72, vcc_lo, s43, v2
	v_ashrrev_i32_e32 v1, 31, v0
	v_add_co_ci_u32_e32 v73, vcc_lo, s44, v3, vcc_lo
	s_and_b32 s1, s8, s0
	s_delay_alu instid0(SALU_CYCLE_1) | instskip(NEXT) | instid1(SALU_CYCLE_1)
	s_and_saveexec_b32 s2, s1
	s_xor_b32 s1, exec_lo, s2
	s_cbranch_execz .LBB202_80
; %bb.76:
	scratch_load_b64 v[2:3], off, off
	v_lshlrev_b64 v[4:5], 3, v[0:1]
	s_and_not1_b32 vcc_lo, exec_lo, s36
	s_cbranch_vccnz .LBB202_78
; %bb.77:
	s_delay_alu instid0(VALU_DEP_1) | instskip(NEXT) | instid1(VALU_DEP_2)
	v_add_co_u32 v6, vcc_lo, v68, v4
	v_add_co_ci_u32_e32 v7, vcc_lo, v69, v5, vcc_lo
	flat_load_b64 v[6:7], v[6:7]
	s_waitcnt vmcnt(0) lgkmcnt(0)
	v_mul_f64 v[6:7], v[6:7], s[38:39]
	s_branch .LBB202_79
.LBB202_78:
	v_mov_b32_e32 v6, 0
	v_mov_b32_e32 v7, 0
.LBB202_79:
	s_waitcnt vmcnt(0)
	s_delay_alu instid0(VALU_DEP_1)
	v_add_f64 v[2:3], v[2:3], v[6:7]
	v_add_co_u32 v4, vcc_lo, v72, v4
	v_add_co_ci_u32_e32 v5, vcc_lo, v73, v5, vcc_lo
	global_store_b64 v[4:5], v[2:3], off
.LBB202_80:
	s_or_b32 exec_lo, exec_lo, s1
	v_add_nc_u32_e32 v2, 4, v0
	s_delay_alu instid0(VALU_DEP_1) | instskip(SKIP_1) | instid1(VALU_DEP_2)
	v_cmp_gt_i32_e64 s1, s40, v2
	v_ashrrev_i32_e32 v3, 31, v2
	s_and_b32 s3, s8, s1
	s_delay_alu instid0(SALU_CYCLE_1)
	s_and_saveexec_b32 s2, s3
	s_cbranch_execz .LBB202_85
; %bb.81:
	scratch_load_b64 v[4:5], off, off offset:8
	v_lshlrev_b64 v[6:7], 3, v[2:3]
	s_and_not1_b32 vcc_lo, exec_lo, s36
	s_cbranch_vccnz .LBB202_83
; %bb.82:
	s_delay_alu instid0(VALU_DEP_1) | instskip(NEXT) | instid1(VALU_DEP_2)
	v_add_co_u32 v8, vcc_lo, v68, v6
	v_add_co_ci_u32_e32 v9, vcc_lo, v69, v7, vcc_lo
	flat_load_b64 v[8:9], v[8:9]
	s_waitcnt vmcnt(0) lgkmcnt(0)
	v_mul_f64 v[8:9], v[8:9], s[38:39]
	s_branch .LBB202_84
.LBB202_83:
	v_mov_b32_e32 v8, 0
	v_mov_b32_e32 v9, 0
.LBB202_84:
	s_waitcnt vmcnt(0)
	s_delay_alu instid0(VALU_DEP_1)
	v_add_f64 v[4:5], v[4:5], v[8:9]
	v_add_co_u32 v6, vcc_lo, v72, v6
	v_add_co_ci_u32_e32 v7, vcc_lo, v73, v7, vcc_lo
	global_store_b64 v[6:7], v[4:5], off
.LBB202_85:
	s_or_b32 exec_lo, exec_lo, s2
	v_add_nc_u32_e32 v4, 8, v0
	s_delay_alu instid0(VALU_DEP_1) | instskip(SKIP_1) | instid1(VALU_DEP_2)
	v_cmp_gt_i32_e64 s2, s40, v4
	v_ashrrev_i32_e32 v5, 31, v4
	s_and_b32 s4, s8, s2
	s_delay_alu instid0(SALU_CYCLE_1)
	s_and_saveexec_b32 s3, s4
	s_cbranch_execz .LBB202_90
; %bb.86:
	scratch_load_b64 v[6:7], off, off offset:16
	v_lshlrev_b64 v[8:9], 3, v[4:5]
	s_and_not1_b32 vcc_lo, exec_lo, s36
	s_cbranch_vccnz .LBB202_88
; %bb.87:
	s_delay_alu instid0(VALU_DEP_1) | instskip(NEXT) | instid1(VALU_DEP_2)
	v_add_co_u32 v10, vcc_lo, v68, v8
	v_add_co_ci_u32_e32 v11, vcc_lo, v69, v9, vcc_lo
	flat_load_b64 v[10:11], v[10:11]
	s_waitcnt vmcnt(0) lgkmcnt(0)
	v_mul_f64 v[10:11], v[10:11], s[38:39]
	s_branch .LBB202_89
.LBB202_88:
	v_mov_b32_e32 v10, 0
	v_mov_b32_e32 v11, 0
.LBB202_89:
	s_waitcnt vmcnt(0)
	s_delay_alu instid0(VALU_DEP_1)
	v_add_f64 v[6:7], v[6:7], v[10:11]
	v_add_co_u32 v8, vcc_lo, v72, v8
	v_add_co_ci_u32_e32 v9, vcc_lo, v73, v9, vcc_lo
	global_store_b64 v[8:9], v[6:7], off
.LBB202_90:
	;; [unrolled: 33-line block ×31, first 2 shown]
	s_or_b32 exec_lo, exec_lo, s8
	v_add_nc_u32_e32 v68, 64, v71
	s_delay_alu instid0(VALU_DEP_1) | instskip(SKIP_2) | instid1(VALU_DEP_3)
	v_mad_i64_i32 v[64:65], null, v68, s42, 0
	v_mad_i64_i32 v[66:67], null, v68, s37, 0
	v_cmp_gt_i32_e64 s8, s41, v68
	v_lshlrev_b64 v[64:65], 3, v[64:65]
	s_delay_alu instid0(VALU_DEP_2) | instskip(NEXT) | instid1(VALU_DEP_3)
	s_and_b32 s0, s8, s0
	v_lshlrev_b64 v[66:67], 3, v[66:67]
	s_delay_alu instid0(VALU_DEP_2) | instskip(NEXT) | instid1(VALU_DEP_3)
	v_add_co_u32 v71, vcc_lo, s34, v64
	v_add_co_ci_u32_e32 v72, vcc_lo, s35, v65, vcc_lo
	s_delay_alu instid0(VALU_DEP_3) | instskip(NEXT) | instid1(VALU_DEP_4)
	v_add_co_u32 v68, vcc_lo, s43, v66
	v_add_co_ci_u32_e32 v69, vcc_lo, s44, v67, vcc_lo
	s_and_saveexec_b32 s34, s0
	s_delay_alu instid0(SALU_CYCLE_1)
	s_xor_b32 s0, exec_lo, s34
	s_cbranch_execnz .LBB202_268
; %bb.236:
	s_or_b32 exec_lo, exec_lo, s0
	s_and_b32 s1, s8, s1
	s_delay_alu instid0(SALU_CYCLE_1)
	s_and_saveexec_b32 s0, s1
	s_cbranch_execnz .LBB202_272
.LBB202_237:
	s_or_b32 exec_lo, exec_lo, s0
	s_and_b32 s1, s8, s2
	s_delay_alu instid0(SALU_CYCLE_1)
	s_and_saveexec_b32 s0, s1
	s_cbranch_execnz .LBB202_276
.LBB202_238:
	s_or_b32 exec_lo, exec_lo, s0
	s_and_b32 s1, s8, s3
	s_delay_alu instid0(SALU_CYCLE_1)
	s_and_saveexec_b32 s0, s1
	s_cbranch_execnz .LBB202_280
.LBB202_239:
	s_or_b32 exec_lo, exec_lo, s0
	s_and_b32 s1, s8, s4
	s_delay_alu instid0(SALU_CYCLE_1)
	s_and_saveexec_b32 s0, s1
	s_cbranch_execnz .LBB202_284
.LBB202_240:
	s_or_b32 exec_lo, exec_lo, s0
	s_and_b32 s1, s8, s5
	s_delay_alu instid0(SALU_CYCLE_1)
	s_and_saveexec_b32 s0, s1
	s_cbranch_execnz .LBB202_288
.LBB202_241:
	s_or_b32 exec_lo, exec_lo, s0
	s_and_b32 s1, s8, s6
	s_delay_alu instid0(SALU_CYCLE_1)
	s_and_saveexec_b32 s0, s1
	s_cbranch_execnz .LBB202_292
.LBB202_242:
	s_or_b32 exec_lo, exec_lo, s0
	s_and_b32 s1, s8, s7
	s_delay_alu instid0(SALU_CYCLE_1)
	s_and_saveexec_b32 s0, s1
	s_cbranch_execnz .LBB202_296
.LBB202_243:
	s_or_b32 exec_lo, exec_lo, s0
	s_and_b32 s1, s8, s9
	s_delay_alu instid0(SALU_CYCLE_1)
	s_and_saveexec_b32 s0, s1
	s_cbranch_execnz .LBB202_300
.LBB202_244:
	s_or_b32 exec_lo, exec_lo, s0
	s_and_b32 s1, s8, s10
	s_delay_alu instid0(SALU_CYCLE_1)
	s_and_saveexec_b32 s0, s1
	s_cbranch_execnz .LBB202_304
.LBB202_245:
	s_or_b32 exec_lo, exec_lo, s0
	s_and_b32 s1, s8, s11
	s_delay_alu instid0(SALU_CYCLE_1)
	s_and_saveexec_b32 s0, s1
	s_cbranch_execnz .LBB202_308
.LBB202_246:
	s_or_b32 exec_lo, exec_lo, s0
	s_and_b32 s1, s8, s12
	s_delay_alu instid0(SALU_CYCLE_1)
	s_and_saveexec_b32 s0, s1
	s_cbranch_execnz .LBB202_312
.LBB202_247:
	s_or_b32 exec_lo, exec_lo, s0
	s_and_b32 s1, s8, s13
	s_delay_alu instid0(SALU_CYCLE_1)
	s_and_saveexec_b32 s0, s1
	s_cbranch_execnz .LBB202_316
.LBB202_248:
	s_or_b32 exec_lo, exec_lo, s0
	s_and_b32 s1, s8, s14
	s_delay_alu instid0(SALU_CYCLE_1)
	s_and_saveexec_b32 s0, s1
	s_cbranch_execnz .LBB202_320
.LBB202_249:
	s_or_b32 exec_lo, exec_lo, s0
	s_and_b32 s1, s8, s15
	s_delay_alu instid0(SALU_CYCLE_1)
	s_and_saveexec_b32 s0, s1
	s_cbranch_execnz .LBB202_324
.LBB202_250:
	s_or_b32 exec_lo, exec_lo, s0
	s_and_b32 s1, s8, s16
	s_delay_alu instid0(SALU_CYCLE_1)
	s_and_saveexec_b32 s0, s1
	s_cbranch_execnz .LBB202_328
.LBB202_251:
	s_or_b32 exec_lo, exec_lo, s0
	s_and_b32 s1, s8, s17
	s_delay_alu instid0(SALU_CYCLE_1)
	s_and_saveexec_b32 s0, s1
	s_cbranch_execnz .LBB202_332
.LBB202_252:
	s_or_b32 exec_lo, exec_lo, s0
	s_and_b32 s1, s8, s18
	s_delay_alu instid0(SALU_CYCLE_1)
	s_and_saveexec_b32 s0, s1
	s_cbranch_execnz .LBB202_336
.LBB202_253:
	s_or_b32 exec_lo, exec_lo, s0
	s_and_b32 s1, s8, s19
	s_delay_alu instid0(SALU_CYCLE_1)
	s_and_saveexec_b32 s0, s1
	s_cbranch_execnz .LBB202_340
.LBB202_254:
	s_or_b32 exec_lo, exec_lo, s0
	s_and_b32 s1, s8, s20
	s_delay_alu instid0(SALU_CYCLE_1)
	s_and_saveexec_b32 s0, s1
	s_cbranch_execnz .LBB202_344
.LBB202_255:
	s_or_b32 exec_lo, exec_lo, s0
	s_and_b32 s1, s8, s21
	s_delay_alu instid0(SALU_CYCLE_1)
	s_and_saveexec_b32 s0, s1
	s_cbranch_execnz .LBB202_348
.LBB202_256:
	s_or_b32 exec_lo, exec_lo, s0
	s_and_b32 s1, s8, s22
	s_delay_alu instid0(SALU_CYCLE_1)
	s_and_saveexec_b32 s0, s1
	s_cbranch_execnz .LBB202_352
.LBB202_257:
	s_or_b32 exec_lo, exec_lo, s0
	s_and_b32 s1, s8, s23
	s_delay_alu instid0(SALU_CYCLE_1)
	s_and_saveexec_b32 s0, s1
	s_cbranch_execnz .LBB202_356
.LBB202_258:
	s_or_b32 exec_lo, exec_lo, s0
	s_and_b32 s1, s8, s24
	s_delay_alu instid0(SALU_CYCLE_1)
	s_and_saveexec_b32 s0, s1
	s_cbranch_execnz .LBB202_360
.LBB202_259:
	s_or_b32 exec_lo, exec_lo, s0
	s_and_b32 s1, s8, s25
	s_delay_alu instid0(SALU_CYCLE_1)
	s_and_saveexec_b32 s0, s1
	s_cbranch_execnz .LBB202_364
.LBB202_260:
	s_or_b32 exec_lo, exec_lo, s0
	s_and_b32 s1, s8, s26
	s_delay_alu instid0(SALU_CYCLE_1)
	s_and_saveexec_b32 s0, s1
	s_cbranch_execnz .LBB202_368
.LBB202_261:
	s_or_b32 exec_lo, exec_lo, s0
	s_and_b32 s1, s8, s27
	s_delay_alu instid0(SALU_CYCLE_1)
	s_and_saveexec_b32 s0, s1
	s_cbranch_execnz .LBB202_372
.LBB202_262:
	s_or_b32 exec_lo, exec_lo, s0
	s_and_b32 s1, s8, s28
	s_delay_alu instid0(SALU_CYCLE_1)
	s_and_saveexec_b32 s0, s1
	s_cbranch_execnz .LBB202_376
.LBB202_263:
	s_or_b32 exec_lo, exec_lo, s0
	s_and_b32 s1, s8, s29
	s_delay_alu instid0(SALU_CYCLE_1)
	s_and_saveexec_b32 s0, s1
	s_cbranch_execnz .LBB202_380
.LBB202_264:
	s_or_b32 exec_lo, exec_lo, s0
	s_and_b32 s1, s8, s30
	s_delay_alu instid0(SALU_CYCLE_1)
	s_and_saveexec_b32 s0, s1
	s_cbranch_execnz .LBB202_384
.LBB202_265:
	s_or_b32 exec_lo, exec_lo, s0
	s_and_b32 s1, s8, s31
	s_delay_alu instid0(SALU_CYCLE_1)
	s_and_saveexec_b32 s0, s1
	s_cbranch_execnz .LBB202_388
.LBB202_266:
	s_or_b32 exec_lo, exec_lo, s0
	s_and_b32 s0, s8, s33
	s_delay_alu instid0(SALU_CYCLE_1)
	s_and_saveexec_b32 s1, s0
	s_cbranch_execnz .LBB202_392
.LBB202_267:
	s_endpgm
.LBB202_268:
	scratch_load_b64 v[64:65], off, off offset:256
	v_lshlrev_b64 v[0:1], 3, v[0:1]
	s_and_not1_b32 vcc_lo, exec_lo, s36
	s_cbranch_vccnz .LBB202_270
; %bb.269:
	s_delay_alu instid0(VALU_DEP_1) | instskip(NEXT) | instid1(VALU_DEP_2)
	v_add_co_u32 v66, vcc_lo, v71, v0
	v_add_co_ci_u32_e32 v67, vcc_lo, v72, v1, vcc_lo
	flat_load_b64 v[66:67], v[66:67]
	s_waitcnt vmcnt(0) lgkmcnt(0)
	v_mul_f64 v[66:67], v[66:67], s[38:39]
	s_branch .LBB202_271
.LBB202_270:
	v_mov_b32_e32 v66, 0
	v_mov_b32_e32 v67, 0
.LBB202_271:
	s_waitcnt vmcnt(0)
	s_delay_alu instid0(VALU_DEP_1)
	v_add_f64 v[64:65], v[64:65], v[66:67]
	v_add_co_u32 v0, vcc_lo, v68, v0
	v_add_co_ci_u32_e32 v1, vcc_lo, v69, v1, vcc_lo
	global_store_b64 v[0:1], v[64:65], off
	s_or_b32 exec_lo, exec_lo, s0
	s_and_b32 s1, s8, s1
	s_delay_alu instid0(SALU_CYCLE_1)
	s_and_saveexec_b32 s0, s1
	s_cbranch_execz .LBB202_237
.LBB202_272:
	scratch_load_b64 v[0:1], off, off offset:264
	v_cmp_ne_u32_e32 vcc_lo, 1, v70
	v_lshlrev_b64 v[2:3], 3, v[2:3]
	s_cbranch_vccnz .LBB202_274
; %bb.273:
	s_delay_alu instid0(VALU_DEP_1) | instskip(NEXT) | instid1(VALU_DEP_2)
	v_add_co_u32 v64, vcc_lo, v71, v2
	v_add_co_ci_u32_e32 v65, vcc_lo, v72, v3, vcc_lo
	flat_load_b64 v[64:65], v[64:65]
	s_waitcnt vmcnt(0) lgkmcnt(0)
	v_mul_f64 v[64:65], v[64:65], s[38:39]
	s_branch .LBB202_275
.LBB202_274:
	v_mov_b32_e32 v64, 0
	v_mov_b32_e32 v65, 0
.LBB202_275:
	s_waitcnt vmcnt(0)
	s_delay_alu instid0(VALU_DEP_1)
	v_add_f64 v[0:1], v[0:1], v[64:65]
	v_add_co_u32 v2, vcc_lo, v68, v2
	v_add_co_ci_u32_e32 v3, vcc_lo, v69, v3, vcc_lo
	global_store_b64 v[2:3], v[0:1], off
	s_or_b32 exec_lo, exec_lo, s0
	s_and_b32 s1, s8, s2
	s_delay_alu instid0(SALU_CYCLE_1)
	s_and_saveexec_b32 s0, s1
	s_cbranch_execz .LBB202_238
.LBB202_276:
	scratch_load_b64 v[0:1], off, off offset:272
	v_cmp_ne_u32_e32 vcc_lo, 1, v70
	v_lshlrev_b64 v[2:3], 3, v[4:5]
	s_cbranch_vccnz .LBB202_278
; %bb.277:
	s_delay_alu instid0(VALU_DEP_1) | instskip(NEXT) | instid1(VALU_DEP_2)
	v_add_co_u32 v4, vcc_lo, v71, v2
	v_add_co_ci_u32_e32 v5, vcc_lo, v72, v3, vcc_lo
	flat_load_b64 v[4:5], v[4:5]
	s_waitcnt vmcnt(0) lgkmcnt(0)
	v_mul_f64 v[4:5], v[4:5], s[38:39]
	s_branch .LBB202_279
.LBB202_278:
	v_mov_b32_e32 v4, 0
	v_mov_b32_e32 v5, 0
.LBB202_279:
	s_waitcnt vmcnt(0)
	s_delay_alu instid0(VALU_DEP_1)
	v_add_f64 v[0:1], v[0:1], v[4:5]
	v_add_co_u32 v2, vcc_lo, v68, v2
	v_add_co_ci_u32_e32 v3, vcc_lo, v69, v3, vcc_lo
	global_store_b64 v[2:3], v[0:1], off
	s_or_b32 exec_lo, exec_lo, s0
	s_and_b32 s1, s8, s3
	s_delay_alu instid0(SALU_CYCLE_1)
	s_and_saveexec_b32 s0, s1
	s_cbranch_execz .LBB202_239
.LBB202_280:
	scratch_load_b64 v[0:1], off, off offset:280
	v_cmp_ne_u32_e32 vcc_lo, 1, v70
	v_lshlrev_b64 v[2:3], 3, v[6:7]
	s_cbranch_vccnz .LBB202_282
; %bb.281:
	s_delay_alu instid0(VALU_DEP_1) | instskip(NEXT) | instid1(VALU_DEP_2)
	v_add_co_u32 v4, vcc_lo, v71, v2
	v_add_co_ci_u32_e32 v5, vcc_lo, v72, v3, vcc_lo
	flat_load_b64 v[4:5], v[4:5]
	s_waitcnt vmcnt(0) lgkmcnt(0)
	v_mul_f64 v[4:5], v[4:5], s[38:39]
	s_branch .LBB202_283
.LBB202_282:
	v_mov_b32_e32 v4, 0
	v_mov_b32_e32 v5, 0
.LBB202_283:
	s_waitcnt vmcnt(0)
	s_delay_alu instid0(VALU_DEP_1)
	v_add_f64 v[0:1], v[0:1], v[4:5]
	v_add_co_u32 v2, vcc_lo, v68, v2
	v_add_co_ci_u32_e32 v3, vcc_lo, v69, v3, vcc_lo
	global_store_b64 v[2:3], v[0:1], off
	s_or_b32 exec_lo, exec_lo, s0
	s_and_b32 s1, s8, s4
	s_delay_alu instid0(SALU_CYCLE_1)
	s_and_saveexec_b32 s0, s1
	s_cbranch_execz .LBB202_240
.LBB202_284:
	scratch_load_b64 v[0:1], off, off offset:288
	v_cmp_ne_u32_e32 vcc_lo, 1, v70
	v_lshlrev_b64 v[2:3], 3, v[8:9]
	s_cbranch_vccnz .LBB202_286
; %bb.285:
	s_delay_alu instid0(VALU_DEP_1) | instskip(NEXT) | instid1(VALU_DEP_2)
	v_add_co_u32 v4, vcc_lo, v71, v2
	v_add_co_ci_u32_e32 v5, vcc_lo, v72, v3, vcc_lo
	flat_load_b64 v[4:5], v[4:5]
	s_waitcnt vmcnt(0) lgkmcnt(0)
	v_mul_f64 v[4:5], v[4:5], s[38:39]
	s_branch .LBB202_287
.LBB202_286:
	v_mov_b32_e32 v4, 0
	v_mov_b32_e32 v5, 0
.LBB202_287:
	s_waitcnt vmcnt(0)
	s_delay_alu instid0(VALU_DEP_1)
	v_add_f64 v[0:1], v[0:1], v[4:5]
	v_add_co_u32 v2, vcc_lo, v68, v2
	v_add_co_ci_u32_e32 v3, vcc_lo, v69, v3, vcc_lo
	global_store_b64 v[2:3], v[0:1], off
	s_or_b32 exec_lo, exec_lo, s0
	s_and_b32 s1, s8, s5
	s_delay_alu instid0(SALU_CYCLE_1)
	s_and_saveexec_b32 s0, s1
	s_cbranch_execz .LBB202_241
.LBB202_288:
	scratch_load_b64 v[0:1], off, off offset:296
	v_cmp_ne_u32_e32 vcc_lo, 1, v70
	v_lshlrev_b64 v[2:3], 3, v[10:11]
	s_cbranch_vccnz .LBB202_290
; %bb.289:
	s_delay_alu instid0(VALU_DEP_1) | instskip(NEXT) | instid1(VALU_DEP_2)
	v_add_co_u32 v4, vcc_lo, v71, v2
	v_add_co_ci_u32_e32 v5, vcc_lo, v72, v3, vcc_lo
	flat_load_b64 v[4:5], v[4:5]
	s_waitcnt vmcnt(0) lgkmcnt(0)
	v_mul_f64 v[4:5], v[4:5], s[38:39]
	s_branch .LBB202_291
.LBB202_290:
	v_mov_b32_e32 v4, 0
	v_mov_b32_e32 v5, 0
.LBB202_291:
	s_waitcnt vmcnt(0)
	s_delay_alu instid0(VALU_DEP_1)
	v_add_f64 v[0:1], v[0:1], v[4:5]
	v_add_co_u32 v2, vcc_lo, v68, v2
	v_add_co_ci_u32_e32 v3, vcc_lo, v69, v3, vcc_lo
	global_store_b64 v[2:3], v[0:1], off
	s_or_b32 exec_lo, exec_lo, s0
	s_and_b32 s1, s8, s6
	s_delay_alu instid0(SALU_CYCLE_1)
	s_and_saveexec_b32 s0, s1
	s_cbranch_execz .LBB202_242
.LBB202_292:
	scratch_load_b64 v[0:1], off, off offset:304
	v_cmp_ne_u32_e32 vcc_lo, 1, v70
	v_lshlrev_b64 v[2:3], 3, v[12:13]
	s_cbranch_vccnz .LBB202_294
; %bb.293:
	s_delay_alu instid0(VALU_DEP_1) | instskip(NEXT) | instid1(VALU_DEP_2)
	v_add_co_u32 v4, vcc_lo, v71, v2
	v_add_co_ci_u32_e32 v5, vcc_lo, v72, v3, vcc_lo
	flat_load_b64 v[4:5], v[4:5]
	s_waitcnt vmcnt(0) lgkmcnt(0)
	v_mul_f64 v[4:5], v[4:5], s[38:39]
	s_branch .LBB202_295
.LBB202_294:
	v_mov_b32_e32 v4, 0
	v_mov_b32_e32 v5, 0
.LBB202_295:
	s_waitcnt vmcnt(0)
	s_delay_alu instid0(VALU_DEP_1)
	v_add_f64 v[0:1], v[0:1], v[4:5]
	v_add_co_u32 v2, vcc_lo, v68, v2
	v_add_co_ci_u32_e32 v3, vcc_lo, v69, v3, vcc_lo
	global_store_b64 v[2:3], v[0:1], off
	s_or_b32 exec_lo, exec_lo, s0
	s_and_b32 s1, s8, s7
	s_delay_alu instid0(SALU_CYCLE_1)
	s_and_saveexec_b32 s0, s1
	s_cbranch_execz .LBB202_243
.LBB202_296:
	scratch_load_b64 v[0:1], off, off offset:312
	v_cmp_ne_u32_e32 vcc_lo, 1, v70
	v_lshlrev_b64 v[2:3], 3, v[14:15]
	s_cbranch_vccnz .LBB202_298
; %bb.297:
	s_delay_alu instid0(VALU_DEP_1) | instskip(NEXT) | instid1(VALU_DEP_2)
	v_add_co_u32 v4, vcc_lo, v71, v2
	v_add_co_ci_u32_e32 v5, vcc_lo, v72, v3, vcc_lo
	flat_load_b64 v[4:5], v[4:5]
	s_waitcnt vmcnt(0) lgkmcnt(0)
	v_mul_f64 v[4:5], v[4:5], s[38:39]
	s_branch .LBB202_299
.LBB202_298:
	v_mov_b32_e32 v4, 0
	v_mov_b32_e32 v5, 0
.LBB202_299:
	s_waitcnt vmcnt(0)
	s_delay_alu instid0(VALU_DEP_1)
	v_add_f64 v[0:1], v[0:1], v[4:5]
	v_add_co_u32 v2, vcc_lo, v68, v2
	v_add_co_ci_u32_e32 v3, vcc_lo, v69, v3, vcc_lo
	global_store_b64 v[2:3], v[0:1], off
	s_or_b32 exec_lo, exec_lo, s0
	s_and_b32 s1, s8, s9
	s_delay_alu instid0(SALU_CYCLE_1)
	s_and_saveexec_b32 s0, s1
	s_cbranch_execz .LBB202_244
.LBB202_300:
	scratch_load_b64 v[0:1], off, off offset:320
	v_cmp_ne_u32_e32 vcc_lo, 1, v70
	v_lshlrev_b64 v[2:3], 3, v[16:17]
	s_cbranch_vccnz .LBB202_302
; %bb.301:
	s_delay_alu instid0(VALU_DEP_1) | instskip(NEXT) | instid1(VALU_DEP_2)
	v_add_co_u32 v4, vcc_lo, v71, v2
	v_add_co_ci_u32_e32 v5, vcc_lo, v72, v3, vcc_lo
	flat_load_b64 v[4:5], v[4:5]
	s_waitcnt vmcnt(0) lgkmcnt(0)
	v_mul_f64 v[4:5], v[4:5], s[38:39]
	s_branch .LBB202_303
.LBB202_302:
	v_mov_b32_e32 v4, 0
	v_mov_b32_e32 v5, 0
.LBB202_303:
	s_waitcnt vmcnt(0)
	s_delay_alu instid0(VALU_DEP_1)
	v_add_f64 v[0:1], v[0:1], v[4:5]
	v_add_co_u32 v2, vcc_lo, v68, v2
	v_add_co_ci_u32_e32 v3, vcc_lo, v69, v3, vcc_lo
	global_store_b64 v[2:3], v[0:1], off
	s_or_b32 exec_lo, exec_lo, s0
	s_and_b32 s1, s8, s10
	s_delay_alu instid0(SALU_CYCLE_1)
	s_and_saveexec_b32 s0, s1
	s_cbranch_execz .LBB202_245
.LBB202_304:
	scratch_load_b64 v[0:1], off, off offset:328
	v_cmp_ne_u32_e32 vcc_lo, 1, v70
	v_lshlrev_b64 v[2:3], 3, v[18:19]
	s_cbranch_vccnz .LBB202_306
; %bb.305:
	s_delay_alu instid0(VALU_DEP_1) | instskip(NEXT) | instid1(VALU_DEP_2)
	v_add_co_u32 v4, vcc_lo, v71, v2
	v_add_co_ci_u32_e32 v5, vcc_lo, v72, v3, vcc_lo
	flat_load_b64 v[4:5], v[4:5]
	s_waitcnt vmcnt(0) lgkmcnt(0)
	v_mul_f64 v[4:5], v[4:5], s[38:39]
	s_branch .LBB202_307
.LBB202_306:
	v_mov_b32_e32 v4, 0
	v_mov_b32_e32 v5, 0
.LBB202_307:
	s_waitcnt vmcnt(0)
	s_delay_alu instid0(VALU_DEP_1)
	v_add_f64 v[0:1], v[0:1], v[4:5]
	v_add_co_u32 v2, vcc_lo, v68, v2
	v_add_co_ci_u32_e32 v3, vcc_lo, v69, v3, vcc_lo
	global_store_b64 v[2:3], v[0:1], off
	s_or_b32 exec_lo, exec_lo, s0
	s_and_b32 s1, s8, s11
	s_delay_alu instid0(SALU_CYCLE_1)
	s_and_saveexec_b32 s0, s1
	s_cbranch_execz .LBB202_246
.LBB202_308:
	scratch_load_b64 v[0:1], off, off offset:336
	v_cmp_ne_u32_e32 vcc_lo, 1, v70
	v_lshlrev_b64 v[2:3], 3, v[20:21]
	s_cbranch_vccnz .LBB202_310
; %bb.309:
	s_delay_alu instid0(VALU_DEP_1) | instskip(NEXT) | instid1(VALU_DEP_2)
	v_add_co_u32 v4, vcc_lo, v71, v2
	v_add_co_ci_u32_e32 v5, vcc_lo, v72, v3, vcc_lo
	flat_load_b64 v[4:5], v[4:5]
	s_waitcnt vmcnt(0) lgkmcnt(0)
	v_mul_f64 v[4:5], v[4:5], s[38:39]
	s_branch .LBB202_311
.LBB202_310:
	v_mov_b32_e32 v4, 0
	v_mov_b32_e32 v5, 0
.LBB202_311:
	s_waitcnt vmcnt(0)
	s_delay_alu instid0(VALU_DEP_1)
	v_add_f64 v[0:1], v[0:1], v[4:5]
	v_add_co_u32 v2, vcc_lo, v68, v2
	v_add_co_ci_u32_e32 v3, vcc_lo, v69, v3, vcc_lo
	global_store_b64 v[2:3], v[0:1], off
	s_or_b32 exec_lo, exec_lo, s0
	s_and_b32 s1, s8, s12
	s_delay_alu instid0(SALU_CYCLE_1)
	s_and_saveexec_b32 s0, s1
	s_cbranch_execz .LBB202_247
.LBB202_312:
	scratch_load_b64 v[0:1], off, off offset:344
	v_cmp_ne_u32_e32 vcc_lo, 1, v70
	v_lshlrev_b64 v[2:3], 3, v[22:23]
	s_cbranch_vccnz .LBB202_314
; %bb.313:
	s_delay_alu instid0(VALU_DEP_1) | instskip(NEXT) | instid1(VALU_DEP_2)
	v_add_co_u32 v4, vcc_lo, v71, v2
	v_add_co_ci_u32_e32 v5, vcc_lo, v72, v3, vcc_lo
	flat_load_b64 v[4:5], v[4:5]
	s_waitcnt vmcnt(0) lgkmcnt(0)
	v_mul_f64 v[4:5], v[4:5], s[38:39]
	s_branch .LBB202_315
.LBB202_314:
	v_mov_b32_e32 v4, 0
	v_mov_b32_e32 v5, 0
.LBB202_315:
	s_waitcnt vmcnt(0)
	s_delay_alu instid0(VALU_DEP_1)
	v_add_f64 v[0:1], v[0:1], v[4:5]
	v_add_co_u32 v2, vcc_lo, v68, v2
	v_add_co_ci_u32_e32 v3, vcc_lo, v69, v3, vcc_lo
	global_store_b64 v[2:3], v[0:1], off
	s_or_b32 exec_lo, exec_lo, s0
	s_and_b32 s1, s8, s13
	s_delay_alu instid0(SALU_CYCLE_1)
	s_and_saveexec_b32 s0, s1
	s_cbranch_execz .LBB202_248
.LBB202_316:
	scratch_load_b64 v[0:1], off, off offset:352
	v_cmp_ne_u32_e32 vcc_lo, 1, v70
	v_lshlrev_b64 v[2:3], 3, v[24:25]
	s_cbranch_vccnz .LBB202_318
; %bb.317:
	s_delay_alu instid0(VALU_DEP_1) | instskip(NEXT) | instid1(VALU_DEP_2)
	v_add_co_u32 v4, vcc_lo, v71, v2
	v_add_co_ci_u32_e32 v5, vcc_lo, v72, v3, vcc_lo
	flat_load_b64 v[4:5], v[4:5]
	s_waitcnt vmcnt(0) lgkmcnt(0)
	v_mul_f64 v[4:5], v[4:5], s[38:39]
	s_branch .LBB202_319
.LBB202_318:
	v_mov_b32_e32 v4, 0
	v_mov_b32_e32 v5, 0
.LBB202_319:
	s_waitcnt vmcnt(0)
	s_delay_alu instid0(VALU_DEP_1)
	v_add_f64 v[0:1], v[0:1], v[4:5]
	v_add_co_u32 v2, vcc_lo, v68, v2
	v_add_co_ci_u32_e32 v3, vcc_lo, v69, v3, vcc_lo
	global_store_b64 v[2:3], v[0:1], off
	s_or_b32 exec_lo, exec_lo, s0
	s_and_b32 s1, s8, s14
	s_delay_alu instid0(SALU_CYCLE_1)
	s_and_saveexec_b32 s0, s1
	s_cbranch_execz .LBB202_249
.LBB202_320:
	scratch_load_b64 v[0:1], off, off offset:360
	v_cmp_ne_u32_e32 vcc_lo, 1, v70
	v_lshlrev_b64 v[2:3], 3, v[26:27]
	s_cbranch_vccnz .LBB202_322
; %bb.321:
	s_delay_alu instid0(VALU_DEP_1) | instskip(NEXT) | instid1(VALU_DEP_2)
	v_add_co_u32 v4, vcc_lo, v71, v2
	v_add_co_ci_u32_e32 v5, vcc_lo, v72, v3, vcc_lo
	flat_load_b64 v[4:5], v[4:5]
	s_waitcnt vmcnt(0) lgkmcnt(0)
	v_mul_f64 v[4:5], v[4:5], s[38:39]
	s_branch .LBB202_323
.LBB202_322:
	v_mov_b32_e32 v4, 0
	v_mov_b32_e32 v5, 0
.LBB202_323:
	s_waitcnt vmcnt(0)
	s_delay_alu instid0(VALU_DEP_1)
	v_add_f64 v[0:1], v[0:1], v[4:5]
	v_add_co_u32 v2, vcc_lo, v68, v2
	v_add_co_ci_u32_e32 v3, vcc_lo, v69, v3, vcc_lo
	global_store_b64 v[2:3], v[0:1], off
	s_or_b32 exec_lo, exec_lo, s0
	s_and_b32 s1, s8, s15
	s_delay_alu instid0(SALU_CYCLE_1)
	s_and_saveexec_b32 s0, s1
	s_cbranch_execz .LBB202_250
.LBB202_324:
	scratch_load_b64 v[0:1], off, off offset:368
	v_cmp_ne_u32_e32 vcc_lo, 1, v70
	v_lshlrev_b64 v[2:3], 3, v[28:29]
	s_cbranch_vccnz .LBB202_326
; %bb.325:
	s_delay_alu instid0(VALU_DEP_1) | instskip(NEXT) | instid1(VALU_DEP_2)
	v_add_co_u32 v4, vcc_lo, v71, v2
	v_add_co_ci_u32_e32 v5, vcc_lo, v72, v3, vcc_lo
	flat_load_b64 v[4:5], v[4:5]
	s_waitcnt vmcnt(0) lgkmcnt(0)
	v_mul_f64 v[4:5], v[4:5], s[38:39]
	s_branch .LBB202_327
.LBB202_326:
	v_mov_b32_e32 v4, 0
	v_mov_b32_e32 v5, 0
.LBB202_327:
	s_waitcnt vmcnt(0)
	s_delay_alu instid0(VALU_DEP_1)
	v_add_f64 v[0:1], v[0:1], v[4:5]
	v_add_co_u32 v2, vcc_lo, v68, v2
	v_add_co_ci_u32_e32 v3, vcc_lo, v69, v3, vcc_lo
	global_store_b64 v[2:3], v[0:1], off
	s_or_b32 exec_lo, exec_lo, s0
	s_and_b32 s1, s8, s16
	s_delay_alu instid0(SALU_CYCLE_1)
	s_and_saveexec_b32 s0, s1
	s_cbranch_execz .LBB202_251
.LBB202_328:
	scratch_load_b64 v[0:1], off, off offset:376
	v_cmp_ne_u32_e32 vcc_lo, 1, v70
	v_lshlrev_b64 v[2:3], 3, v[30:31]
	s_cbranch_vccnz .LBB202_330
; %bb.329:
	s_delay_alu instid0(VALU_DEP_1) | instskip(NEXT) | instid1(VALU_DEP_2)
	v_add_co_u32 v4, vcc_lo, v71, v2
	v_add_co_ci_u32_e32 v5, vcc_lo, v72, v3, vcc_lo
	flat_load_b64 v[4:5], v[4:5]
	s_waitcnt vmcnt(0) lgkmcnt(0)
	v_mul_f64 v[4:5], v[4:5], s[38:39]
	s_branch .LBB202_331
.LBB202_330:
	v_mov_b32_e32 v4, 0
	v_mov_b32_e32 v5, 0
.LBB202_331:
	s_waitcnt vmcnt(0)
	s_delay_alu instid0(VALU_DEP_1)
	v_add_f64 v[0:1], v[0:1], v[4:5]
	v_add_co_u32 v2, vcc_lo, v68, v2
	v_add_co_ci_u32_e32 v3, vcc_lo, v69, v3, vcc_lo
	global_store_b64 v[2:3], v[0:1], off
	s_or_b32 exec_lo, exec_lo, s0
	s_and_b32 s1, s8, s17
	s_delay_alu instid0(SALU_CYCLE_1)
	s_and_saveexec_b32 s0, s1
	s_cbranch_execz .LBB202_252
.LBB202_332:
	scratch_load_b64 v[0:1], off, off offset:384
	v_cmp_ne_u32_e32 vcc_lo, 1, v70
	v_lshlrev_b64 v[2:3], 3, v[32:33]
	s_cbranch_vccnz .LBB202_334
; %bb.333:
	s_delay_alu instid0(VALU_DEP_1) | instskip(NEXT) | instid1(VALU_DEP_2)
	v_add_co_u32 v4, vcc_lo, v71, v2
	v_add_co_ci_u32_e32 v5, vcc_lo, v72, v3, vcc_lo
	flat_load_b64 v[4:5], v[4:5]
	s_waitcnt vmcnt(0) lgkmcnt(0)
	v_mul_f64 v[4:5], v[4:5], s[38:39]
	s_branch .LBB202_335
.LBB202_334:
	v_mov_b32_e32 v4, 0
	v_mov_b32_e32 v5, 0
.LBB202_335:
	s_waitcnt vmcnt(0)
	s_delay_alu instid0(VALU_DEP_1)
	v_add_f64 v[0:1], v[0:1], v[4:5]
	v_add_co_u32 v2, vcc_lo, v68, v2
	v_add_co_ci_u32_e32 v3, vcc_lo, v69, v3, vcc_lo
	global_store_b64 v[2:3], v[0:1], off
	s_or_b32 exec_lo, exec_lo, s0
	s_and_b32 s1, s8, s18
	s_delay_alu instid0(SALU_CYCLE_1)
	s_and_saveexec_b32 s0, s1
	s_cbranch_execz .LBB202_253
.LBB202_336:
	scratch_load_b64 v[0:1], off, off offset:392
	v_cmp_ne_u32_e32 vcc_lo, 1, v70
	v_lshlrev_b64 v[2:3], 3, v[34:35]
	s_cbranch_vccnz .LBB202_338
; %bb.337:
	s_delay_alu instid0(VALU_DEP_1) | instskip(NEXT) | instid1(VALU_DEP_2)
	v_add_co_u32 v4, vcc_lo, v71, v2
	v_add_co_ci_u32_e32 v5, vcc_lo, v72, v3, vcc_lo
	flat_load_b64 v[4:5], v[4:5]
	s_waitcnt vmcnt(0) lgkmcnt(0)
	v_mul_f64 v[4:5], v[4:5], s[38:39]
	s_branch .LBB202_339
.LBB202_338:
	v_mov_b32_e32 v4, 0
	v_mov_b32_e32 v5, 0
.LBB202_339:
	s_waitcnt vmcnt(0)
	s_delay_alu instid0(VALU_DEP_1)
	v_add_f64 v[0:1], v[0:1], v[4:5]
	v_add_co_u32 v2, vcc_lo, v68, v2
	v_add_co_ci_u32_e32 v3, vcc_lo, v69, v3, vcc_lo
	global_store_b64 v[2:3], v[0:1], off
	s_or_b32 exec_lo, exec_lo, s0
	s_and_b32 s1, s8, s19
	s_delay_alu instid0(SALU_CYCLE_1)
	s_and_saveexec_b32 s0, s1
	s_cbranch_execz .LBB202_254
.LBB202_340:
	scratch_load_b64 v[0:1], off, off offset:400
	v_cmp_ne_u32_e32 vcc_lo, 1, v70
	v_lshlrev_b64 v[2:3], 3, v[36:37]
	s_cbranch_vccnz .LBB202_342
; %bb.341:
	s_delay_alu instid0(VALU_DEP_1) | instskip(NEXT) | instid1(VALU_DEP_2)
	v_add_co_u32 v4, vcc_lo, v71, v2
	v_add_co_ci_u32_e32 v5, vcc_lo, v72, v3, vcc_lo
	flat_load_b64 v[4:5], v[4:5]
	s_waitcnt vmcnt(0) lgkmcnt(0)
	v_mul_f64 v[4:5], v[4:5], s[38:39]
	s_branch .LBB202_343
.LBB202_342:
	v_mov_b32_e32 v4, 0
	v_mov_b32_e32 v5, 0
.LBB202_343:
	s_waitcnt vmcnt(0)
	s_delay_alu instid0(VALU_DEP_1)
	v_add_f64 v[0:1], v[0:1], v[4:5]
	v_add_co_u32 v2, vcc_lo, v68, v2
	v_add_co_ci_u32_e32 v3, vcc_lo, v69, v3, vcc_lo
	global_store_b64 v[2:3], v[0:1], off
	s_or_b32 exec_lo, exec_lo, s0
	s_and_b32 s1, s8, s20
	s_delay_alu instid0(SALU_CYCLE_1)
	s_and_saveexec_b32 s0, s1
	s_cbranch_execz .LBB202_255
.LBB202_344:
	scratch_load_b64 v[0:1], off, off offset:408
	v_cmp_ne_u32_e32 vcc_lo, 1, v70
	v_lshlrev_b64 v[2:3], 3, v[38:39]
	s_cbranch_vccnz .LBB202_346
; %bb.345:
	s_delay_alu instid0(VALU_DEP_1) | instskip(NEXT) | instid1(VALU_DEP_2)
	v_add_co_u32 v4, vcc_lo, v71, v2
	v_add_co_ci_u32_e32 v5, vcc_lo, v72, v3, vcc_lo
	flat_load_b64 v[4:5], v[4:5]
	s_waitcnt vmcnt(0) lgkmcnt(0)
	v_mul_f64 v[4:5], v[4:5], s[38:39]
	s_branch .LBB202_347
.LBB202_346:
	v_mov_b32_e32 v4, 0
	v_mov_b32_e32 v5, 0
.LBB202_347:
	s_waitcnt vmcnt(0)
	s_delay_alu instid0(VALU_DEP_1)
	v_add_f64 v[0:1], v[0:1], v[4:5]
	v_add_co_u32 v2, vcc_lo, v68, v2
	v_add_co_ci_u32_e32 v3, vcc_lo, v69, v3, vcc_lo
	global_store_b64 v[2:3], v[0:1], off
	s_or_b32 exec_lo, exec_lo, s0
	s_and_b32 s1, s8, s21
	s_delay_alu instid0(SALU_CYCLE_1)
	s_and_saveexec_b32 s0, s1
	s_cbranch_execz .LBB202_256
.LBB202_348:
	scratch_load_b64 v[0:1], off, off offset:416
	v_cmp_ne_u32_e32 vcc_lo, 1, v70
	v_lshlrev_b64 v[2:3], 3, v[40:41]
	s_cbranch_vccnz .LBB202_350
; %bb.349:
	s_delay_alu instid0(VALU_DEP_1) | instskip(NEXT) | instid1(VALU_DEP_2)
	v_add_co_u32 v4, vcc_lo, v71, v2
	v_add_co_ci_u32_e32 v5, vcc_lo, v72, v3, vcc_lo
	flat_load_b64 v[4:5], v[4:5]
	s_waitcnt vmcnt(0) lgkmcnt(0)
	v_mul_f64 v[4:5], v[4:5], s[38:39]
	s_branch .LBB202_351
.LBB202_350:
	v_mov_b32_e32 v4, 0
	v_mov_b32_e32 v5, 0
.LBB202_351:
	s_waitcnt vmcnt(0)
	s_delay_alu instid0(VALU_DEP_1)
	v_add_f64 v[0:1], v[0:1], v[4:5]
	v_add_co_u32 v2, vcc_lo, v68, v2
	v_add_co_ci_u32_e32 v3, vcc_lo, v69, v3, vcc_lo
	global_store_b64 v[2:3], v[0:1], off
	s_or_b32 exec_lo, exec_lo, s0
	s_and_b32 s1, s8, s22
	s_delay_alu instid0(SALU_CYCLE_1)
	s_and_saveexec_b32 s0, s1
	s_cbranch_execz .LBB202_257
.LBB202_352:
	scratch_load_b64 v[0:1], off, off offset:424
	v_cmp_ne_u32_e32 vcc_lo, 1, v70
	v_lshlrev_b64 v[2:3], 3, v[42:43]
	s_cbranch_vccnz .LBB202_354
; %bb.353:
	s_delay_alu instid0(VALU_DEP_1) | instskip(NEXT) | instid1(VALU_DEP_2)
	v_add_co_u32 v4, vcc_lo, v71, v2
	v_add_co_ci_u32_e32 v5, vcc_lo, v72, v3, vcc_lo
	flat_load_b64 v[4:5], v[4:5]
	s_waitcnt vmcnt(0) lgkmcnt(0)
	v_mul_f64 v[4:5], v[4:5], s[38:39]
	s_branch .LBB202_355
.LBB202_354:
	v_mov_b32_e32 v4, 0
	v_mov_b32_e32 v5, 0
.LBB202_355:
	s_waitcnt vmcnt(0)
	s_delay_alu instid0(VALU_DEP_1)
	v_add_f64 v[0:1], v[0:1], v[4:5]
	v_add_co_u32 v2, vcc_lo, v68, v2
	v_add_co_ci_u32_e32 v3, vcc_lo, v69, v3, vcc_lo
	global_store_b64 v[2:3], v[0:1], off
	s_or_b32 exec_lo, exec_lo, s0
	s_and_b32 s1, s8, s23
	s_delay_alu instid0(SALU_CYCLE_1)
	s_and_saveexec_b32 s0, s1
	s_cbranch_execz .LBB202_258
.LBB202_356:
	scratch_load_b64 v[0:1], off, off offset:432
	v_cmp_ne_u32_e32 vcc_lo, 1, v70
	v_lshlrev_b64 v[2:3], 3, v[44:45]
	s_cbranch_vccnz .LBB202_358
; %bb.357:
	s_delay_alu instid0(VALU_DEP_1) | instskip(NEXT) | instid1(VALU_DEP_2)
	v_add_co_u32 v4, vcc_lo, v71, v2
	v_add_co_ci_u32_e32 v5, vcc_lo, v72, v3, vcc_lo
	flat_load_b64 v[4:5], v[4:5]
	s_waitcnt vmcnt(0) lgkmcnt(0)
	v_mul_f64 v[4:5], v[4:5], s[38:39]
	s_branch .LBB202_359
.LBB202_358:
	v_mov_b32_e32 v4, 0
	v_mov_b32_e32 v5, 0
.LBB202_359:
	s_waitcnt vmcnt(0)
	s_delay_alu instid0(VALU_DEP_1)
	v_add_f64 v[0:1], v[0:1], v[4:5]
	v_add_co_u32 v2, vcc_lo, v68, v2
	v_add_co_ci_u32_e32 v3, vcc_lo, v69, v3, vcc_lo
	global_store_b64 v[2:3], v[0:1], off
	s_or_b32 exec_lo, exec_lo, s0
	s_and_b32 s1, s8, s24
	s_delay_alu instid0(SALU_CYCLE_1)
	s_and_saveexec_b32 s0, s1
	s_cbranch_execz .LBB202_259
.LBB202_360:
	scratch_load_b64 v[0:1], off, off offset:440
	v_cmp_ne_u32_e32 vcc_lo, 1, v70
	v_lshlrev_b64 v[2:3], 3, v[46:47]
	s_cbranch_vccnz .LBB202_362
; %bb.361:
	s_delay_alu instid0(VALU_DEP_1) | instskip(NEXT) | instid1(VALU_DEP_2)
	v_add_co_u32 v4, vcc_lo, v71, v2
	v_add_co_ci_u32_e32 v5, vcc_lo, v72, v3, vcc_lo
	flat_load_b64 v[4:5], v[4:5]
	s_waitcnt vmcnt(0) lgkmcnt(0)
	v_mul_f64 v[4:5], v[4:5], s[38:39]
	s_branch .LBB202_363
.LBB202_362:
	v_mov_b32_e32 v4, 0
	v_mov_b32_e32 v5, 0
.LBB202_363:
	s_waitcnt vmcnt(0)
	s_delay_alu instid0(VALU_DEP_1)
	v_add_f64 v[0:1], v[0:1], v[4:5]
	v_add_co_u32 v2, vcc_lo, v68, v2
	v_add_co_ci_u32_e32 v3, vcc_lo, v69, v3, vcc_lo
	global_store_b64 v[2:3], v[0:1], off
	s_or_b32 exec_lo, exec_lo, s0
	s_and_b32 s1, s8, s25
	s_delay_alu instid0(SALU_CYCLE_1)
	s_and_saveexec_b32 s0, s1
	s_cbranch_execz .LBB202_260
.LBB202_364:
	scratch_load_b64 v[0:1], off, off offset:448
	v_cmp_ne_u32_e32 vcc_lo, 1, v70
	v_lshlrev_b64 v[2:3], 3, v[48:49]
	s_cbranch_vccnz .LBB202_366
; %bb.365:
	s_delay_alu instid0(VALU_DEP_1) | instskip(NEXT) | instid1(VALU_DEP_2)
	v_add_co_u32 v4, vcc_lo, v71, v2
	v_add_co_ci_u32_e32 v5, vcc_lo, v72, v3, vcc_lo
	flat_load_b64 v[4:5], v[4:5]
	s_waitcnt vmcnt(0) lgkmcnt(0)
	v_mul_f64 v[4:5], v[4:5], s[38:39]
	s_branch .LBB202_367
.LBB202_366:
	v_mov_b32_e32 v4, 0
	v_mov_b32_e32 v5, 0
.LBB202_367:
	s_waitcnt vmcnt(0)
	s_delay_alu instid0(VALU_DEP_1)
	v_add_f64 v[0:1], v[0:1], v[4:5]
	v_add_co_u32 v2, vcc_lo, v68, v2
	v_add_co_ci_u32_e32 v3, vcc_lo, v69, v3, vcc_lo
	global_store_b64 v[2:3], v[0:1], off
	s_or_b32 exec_lo, exec_lo, s0
	s_and_b32 s1, s8, s26
	s_delay_alu instid0(SALU_CYCLE_1)
	s_and_saveexec_b32 s0, s1
	s_cbranch_execz .LBB202_261
.LBB202_368:
	scratch_load_b64 v[0:1], off, off offset:456
	v_cmp_ne_u32_e32 vcc_lo, 1, v70
	v_lshlrev_b64 v[2:3], 3, v[50:51]
	s_cbranch_vccnz .LBB202_370
; %bb.369:
	s_delay_alu instid0(VALU_DEP_1) | instskip(NEXT) | instid1(VALU_DEP_2)
	v_add_co_u32 v4, vcc_lo, v71, v2
	v_add_co_ci_u32_e32 v5, vcc_lo, v72, v3, vcc_lo
	flat_load_b64 v[4:5], v[4:5]
	s_waitcnt vmcnt(0) lgkmcnt(0)
	v_mul_f64 v[4:5], v[4:5], s[38:39]
	s_branch .LBB202_371
.LBB202_370:
	v_mov_b32_e32 v4, 0
	v_mov_b32_e32 v5, 0
.LBB202_371:
	s_waitcnt vmcnt(0)
	s_delay_alu instid0(VALU_DEP_1)
	v_add_f64 v[0:1], v[0:1], v[4:5]
	v_add_co_u32 v2, vcc_lo, v68, v2
	v_add_co_ci_u32_e32 v3, vcc_lo, v69, v3, vcc_lo
	global_store_b64 v[2:3], v[0:1], off
	s_or_b32 exec_lo, exec_lo, s0
	s_and_b32 s1, s8, s27
	s_delay_alu instid0(SALU_CYCLE_1)
	s_and_saveexec_b32 s0, s1
	s_cbranch_execz .LBB202_262
.LBB202_372:
	scratch_load_b64 v[0:1], off, off offset:464
	v_cmp_ne_u32_e32 vcc_lo, 1, v70
	v_lshlrev_b64 v[2:3], 3, v[52:53]
	s_cbranch_vccnz .LBB202_374
; %bb.373:
	s_delay_alu instid0(VALU_DEP_1) | instskip(NEXT) | instid1(VALU_DEP_2)
	v_add_co_u32 v4, vcc_lo, v71, v2
	v_add_co_ci_u32_e32 v5, vcc_lo, v72, v3, vcc_lo
	flat_load_b64 v[4:5], v[4:5]
	s_waitcnt vmcnt(0) lgkmcnt(0)
	v_mul_f64 v[4:5], v[4:5], s[38:39]
	s_branch .LBB202_375
.LBB202_374:
	v_mov_b32_e32 v4, 0
	v_mov_b32_e32 v5, 0
.LBB202_375:
	s_waitcnt vmcnt(0)
	s_delay_alu instid0(VALU_DEP_1)
	v_add_f64 v[0:1], v[0:1], v[4:5]
	v_add_co_u32 v2, vcc_lo, v68, v2
	v_add_co_ci_u32_e32 v3, vcc_lo, v69, v3, vcc_lo
	global_store_b64 v[2:3], v[0:1], off
	s_or_b32 exec_lo, exec_lo, s0
	s_and_b32 s1, s8, s28
	s_delay_alu instid0(SALU_CYCLE_1)
	s_and_saveexec_b32 s0, s1
	s_cbranch_execz .LBB202_263
.LBB202_376:
	scratch_load_b64 v[0:1], off, off offset:472
	v_cmp_ne_u32_e32 vcc_lo, 1, v70
	v_lshlrev_b64 v[2:3], 3, v[54:55]
	s_cbranch_vccnz .LBB202_378
; %bb.377:
	s_delay_alu instid0(VALU_DEP_1) | instskip(NEXT) | instid1(VALU_DEP_2)
	v_add_co_u32 v4, vcc_lo, v71, v2
	v_add_co_ci_u32_e32 v5, vcc_lo, v72, v3, vcc_lo
	flat_load_b64 v[4:5], v[4:5]
	s_waitcnt vmcnt(0) lgkmcnt(0)
	v_mul_f64 v[4:5], v[4:5], s[38:39]
	s_branch .LBB202_379
.LBB202_378:
	v_mov_b32_e32 v4, 0
	v_mov_b32_e32 v5, 0
.LBB202_379:
	s_waitcnt vmcnt(0)
	s_delay_alu instid0(VALU_DEP_1)
	v_add_f64 v[0:1], v[0:1], v[4:5]
	v_add_co_u32 v2, vcc_lo, v68, v2
	v_add_co_ci_u32_e32 v3, vcc_lo, v69, v3, vcc_lo
	global_store_b64 v[2:3], v[0:1], off
	s_or_b32 exec_lo, exec_lo, s0
	s_and_b32 s1, s8, s29
	s_delay_alu instid0(SALU_CYCLE_1)
	s_and_saveexec_b32 s0, s1
	s_cbranch_execz .LBB202_264
.LBB202_380:
	scratch_load_b64 v[0:1], off, off offset:480
	v_cmp_ne_u32_e32 vcc_lo, 1, v70
	v_lshlrev_b64 v[2:3], 3, v[56:57]
	s_cbranch_vccnz .LBB202_382
; %bb.381:
	s_delay_alu instid0(VALU_DEP_1) | instskip(NEXT) | instid1(VALU_DEP_2)
	v_add_co_u32 v4, vcc_lo, v71, v2
	v_add_co_ci_u32_e32 v5, vcc_lo, v72, v3, vcc_lo
	flat_load_b64 v[4:5], v[4:5]
	s_waitcnt vmcnt(0) lgkmcnt(0)
	v_mul_f64 v[4:5], v[4:5], s[38:39]
	s_branch .LBB202_383
.LBB202_382:
	v_mov_b32_e32 v4, 0
	v_mov_b32_e32 v5, 0
.LBB202_383:
	s_waitcnt vmcnt(0)
	s_delay_alu instid0(VALU_DEP_1)
	v_add_f64 v[0:1], v[0:1], v[4:5]
	v_add_co_u32 v2, vcc_lo, v68, v2
	v_add_co_ci_u32_e32 v3, vcc_lo, v69, v3, vcc_lo
	global_store_b64 v[2:3], v[0:1], off
	s_or_b32 exec_lo, exec_lo, s0
	s_and_b32 s1, s8, s30
	s_delay_alu instid0(SALU_CYCLE_1)
	s_and_saveexec_b32 s0, s1
	s_cbranch_execz .LBB202_265
.LBB202_384:
	scratch_load_b64 v[0:1], off, off offset:488
	v_cmp_ne_u32_e32 vcc_lo, 1, v70
	v_lshlrev_b64 v[2:3], 3, v[58:59]
	s_cbranch_vccnz .LBB202_386
; %bb.385:
	s_delay_alu instid0(VALU_DEP_1) | instskip(NEXT) | instid1(VALU_DEP_2)
	v_add_co_u32 v4, vcc_lo, v71, v2
	v_add_co_ci_u32_e32 v5, vcc_lo, v72, v3, vcc_lo
	flat_load_b64 v[4:5], v[4:5]
	s_waitcnt vmcnt(0) lgkmcnt(0)
	v_mul_f64 v[4:5], v[4:5], s[38:39]
	s_branch .LBB202_387
.LBB202_386:
	v_mov_b32_e32 v4, 0
	v_mov_b32_e32 v5, 0
.LBB202_387:
	s_waitcnt vmcnt(0)
	s_delay_alu instid0(VALU_DEP_1)
	v_add_f64 v[0:1], v[0:1], v[4:5]
	v_add_co_u32 v2, vcc_lo, v68, v2
	v_add_co_ci_u32_e32 v3, vcc_lo, v69, v3, vcc_lo
	global_store_b64 v[2:3], v[0:1], off
	s_or_b32 exec_lo, exec_lo, s0
	s_and_b32 s1, s8, s31
	s_delay_alu instid0(SALU_CYCLE_1)
	s_and_saveexec_b32 s0, s1
	s_cbranch_execz .LBB202_266
.LBB202_388:
	scratch_load_b64 v[0:1], off, off offset:496
	v_cmp_ne_u32_e32 vcc_lo, 1, v70
	v_lshlrev_b64 v[2:3], 3, v[60:61]
	s_cbranch_vccnz .LBB202_390
; %bb.389:
	s_delay_alu instid0(VALU_DEP_1) | instskip(NEXT) | instid1(VALU_DEP_2)
	v_add_co_u32 v4, vcc_lo, v71, v2
	v_add_co_ci_u32_e32 v5, vcc_lo, v72, v3, vcc_lo
	flat_load_b64 v[4:5], v[4:5]
	s_waitcnt vmcnt(0) lgkmcnt(0)
	v_mul_f64 v[4:5], v[4:5], s[38:39]
	s_branch .LBB202_391
.LBB202_390:
	v_mov_b32_e32 v4, 0
	v_mov_b32_e32 v5, 0
.LBB202_391:
	s_waitcnt vmcnt(0)
	s_delay_alu instid0(VALU_DEP_1)
	v_add_f64 v[0:1], v[0:1], v[4:5]
	v_add_co_u32 v2, vcc_lo, v68, v2
	v_add_co_ci_u32_e32 v3, vcc_lo, v69, v3, vcc_lo
	global_store_b64 v[2:3], v[0:1], off
	s_or_b32 exec_lo, exec_lo, s0
	s_and_b32 s0, s8, s33
	s_delay_alu instid0(SALU_CYCLE_1)
	s_and_saveexec_b32 s1, s0
	s_cbranch_execz .LBB202_267
.LBB202_392:
	scratch_load_b64 v[0:1], off, off offset:504
	v_cmp_ne_u32_e32 vcc_lo, 1, v70
	v_lshlrev_b64 v[2:3], 3, v[62:63]
	s_cbranch_vccnz .LBB202_394
; %bb.393:
	s_delay_alu instid0(VALU_DEP_1) | instskip(NEXT) | instid1(VALU_DEP_2)
	v_add_co_u32 v4, vcc_lo, v71, v2
	v_add_co_ci_u32_e32 v5, vcc_lo, v72, v3, vcc_lo
	flat_load_b64 v[4:5], v[4:5]
	s_waitcnt vmcnt(0) lgkmcnt(0)
	v_mul_f64 v[4:5], v[4:5], s[38:39]
	s_branch .LBB202_395
.LBB202_394:
	v_mov_b32_e32 v4, 0
	v_mov_b32_e32 v5, 0
.LBB202_395:
	s_waitcnt vmcnt(0)
	s_delay_alu instid0(VALU_DEP_1)
	v_add_f64 v[0:1], v[0:1], v[4:5]
	v_add_co_u32 v2, vcc_lo, v68, v2
	v_add_co_ci_u32_e32 v3, vcc_lo, v69, v3, vcc_lo
	global_store_b64 v[2:3], v[0:1], off
	s_endpgm
	.section	.rodata,"a",@progbits
	.p2align	6, 0x0
	.amdhsa_kernel _ZN12_GLOBAL__N_120geam_min_plus_kernelIdddLi4ELi64ELi128ELi128ELi4ELi4ELi64ELi64ELi4ELc84ELc84ELb1ELb1ELb0EdKddEEviiiT16_PT17_ilS4_ilS2_S4_ilPT18_ili26rocblas_geam_ex_operation_
		.amdhsa_group_segment_fixed_size 16384
		.amdhsa_private_segment_fixed_size 528
		.amdhsa_kernarg_size 136
		.amdhsa_user_sgpr_count 14
		.amdhsa_user_sgpr_dispatch_ptr 0
		.amdhsa_user_sgpr_queue_ptr 0
		.amdhsa_user_sgpr_kernarg_segment_ptr 1
		.amdhsa_user_sgpr_dispatch_id 0
		.amdhsa_user_sgpr_private_segment_size 0
		.amdhsa_wavefront_size32 1
		.amdhsa_uses_dynamic_stack 0
		.amdhsa_enable_private_segment 1
		.amdhsa_system_sgpr_workgroup_id_x 1
		.amdhsa_system_sgpr_workgroup_id_y 0
		.amdhsa_system_sgpr_workgroup_id_z 1
		.amdhsa_system_sgpr_workgroup_info 0
		.amdhsa_system_vgpr_workitem_id 1
		.amdhsa_next_free_vgpr 252
		.amdhsa_next_free_sgpr 46
		.amdhsa_reserve_vcc 1
		.amdhsa_float_round_mode_32 0
		.amdhsa_float_round_mode_16_64 0
		.amdhsa_float_denorm_mode_32 3
		.amdhsa_float_denorm_mode_16_64 3
		.amdhsa_dx10_clamp 1
		.amdhsa_ieee_mode 1
		.amdhsa_fp16_overflow 0
		.amdhsa_workgroup_processor_mode 1
		.amdhsa_memory_ordered 1
		.amdhsa_forward_progress 0
		.amdhsa_shared_vgpr_count 0
		.amdhsa_exception_fp_ieee_invalid_op 0
		.amdhsa_exception_fp_denorm_src 0
		.amdhsa_exception_fp_ieee_div_zero 0
		.amdhsa_exception_fp_ieee_overflow 0
		.amdhsa_exception_fp_ieee_underflow 0
		.amdhsa_exception_fp_ieee_inexact 0
		.amdhsa_exception_int_div_zero 0
	.end_amdhsa_kernel
	.section	.text._ZN12_GLOBAL__N_120geam_min_plus_kernelIdddLi4ELi64ELi128ELi128ELi4ELi4ELi64ELi64ELi4ELc84ELc84ELb1ELb1ELb0EdKddEEviiiT16_PT17_ilS4_ilS2_S4_ilPT18_ili26rocblas_geam_ex_operation_,"axG",@progbits,_ZN12_GLOBAL__N_120geam_min_plus_kernelIdddLi4ELi64ELi128ELi128ELi4ELi4ELi64ELi64ELi4ELc84ELc84ELb1ELb1ELb0EdKddEEviiiT16_PT17_ilS4_ilS2_S4_ilPT18_ili26rocblas_geam_ex_operation_,comdat
.Lfunc_end202:
	.size	_ZN12_GLOBAL__N_120geam_min_plus_kernelIdddLi4ELi64ELi128ELi128ELi4ELi4ELi64ELi64ELi4ELc84ELc84ELb1ELb1ELb0EdKddEEviiiT16_PT17_ilS4_ilS2_S4_ilPT18_ili26rocblas_geam_ex_operation_, .Lfunc_end202-_ZN12_GLOBAL__N_120geam_min_plus_kernelIdddLi4ELi64ELi128ELi128ELi4ELi4ELi64ELi64ELi4ELc84ELc84ELb1ELb1ELb0EdKddEEviiiT16_PT17_ilS4_ilS2_S4_ilPT18_ili26rocblas_geam_ex_operation_
                                        ; -- End function
	.section	.AMDGPU.csdata,"",@progbits
; Kernel info:
; codeLenInByte = 47008
; NumSgprs: 48
; NumVgprs: 252
; ScratchSize: 528
; MemoryBound: 1
; FloatMode: 240
; IeeeMode: 1
; LDSByteSize: 16384 bytes/workgroup (compile time only)
; SGPRBlocks: 5
; VGPRBlocks: 31
; NumSGPRsForWavesPerEU: 48
; NumVGPRsForWavesPerEU: 252
; Occupancy: 5
; WaveLimiterHint : 1
; COMPUTE_PGM_RSRC2:SCRATCH_EN: 1
; COMPUTE_PGM_RSRC2:USER_SGPR: 14
; COMPUTE_PGM_RSRC2:TRAP_HANDLER: 0
; COMPUTE_PGM_RSRC2:TGID_X_EN: 1
; COMPUTE_PGM_RSRC2:TGID_Y_EN: 0
; COMPUTE_PGM_RSRC2:TGID_Z_EN: 1
; COMPUTE_PGM_RSRC2:TIDIG_COMP_CNT: 1
	.section	.text._ZN12_GLOBAL__N_120geam_min_plus_kernelIdddLi4ELi64ELi128ELi128ELi4ELi4ELi64ELi64ELi4ELc84ELc84ELb0ELb1ELb0EdKddEEviiiT16_PT17_ilS4_ilS2_S4_ilPT18_ili26rocblas_geam_ex_operation_,"axG",@progbits,_ZN12_GLOBAL__N_120geam_min_plus_kernelIdddLi4ELi64ELi128ELi128ELi4ELi4ELi64ELi64ELi4ELc84ELc84ELb0ELb1ELb0EdKddEEviiiT16_PT17_ilS4_ilS2_S4_ilPT18_ili26rocblas_geam_ex_operation_,comdat
	.globl	_ZN12_GLOBAL__N_120geam_min_plus_kernelIdddLi4ELi64ELi128ELi128ELi4ELi4ELi64ELi64ELi4ELc84ELc84ELb0ELb1ELb0EdKddEEviiiT16_PT17_ilS4_ilS2_S4_ilPT18_ili26rocblas_geam_ex_operation_ ; -- Begin function _ZN12_GLOBAL__N_120geam_min_plus_kernelIdddLi4ELi64ELi128ELi128ELi4ELi4ELi64ELi64ELi4ELc84ELc84ELb0ELb1ELb0EdKddEEviiiT16_PT17_ilS4_ilS2_S4_ilPT18_ili26rocblas_geam_ex_operation_
	.p2align	8
	.type	_ZN12_GLOBAL__N_120geam_min_plus_kernelIdddLi4ELi64ELi128ELi128ELi4ELi4ELi64ELi64ELi4ELc84ELc84ELb0ELb1ELb0EdKddEEviiiT16_PT17_ilS4_ilS2_S4_ilPT18_ili26rocblas_geam_ex_operation_,@function
_ZN12_GLOBAL__N_120geam_min_plus_kernelIdddLi4ELi64ELi128ELi128ELi4ELi4ELi64ELi64ELi4ELc84ELc84ELb0ELb1ELb0EdKddEEviiiT16_PT17_ilS4_ilS2_S4_ilPT18_ili26rocblas_geam_ex_operation_: ; @_ZN12_GLOBAL__N_120geam_min_plus_kernelIdddLi4ELi64ELi128ELi128ELi4ELi4ELi64ELi64ELi4ELc84ELc84ELb0ELb1ELb0EdKddEEviiiT16_PT17_ilS4_ilS2_S4_ilPT18_ili26rocblas_geam_ex_operation_
; %bb.0:
	s_clause 0x1
	s_load_b128 s[16:19], s[0:1], 0x10
	s_load_b128 s[4:7], s[0:1], 0x28
	s_mov_b64 s[12:13], 0
	s_waitcnt lgkmcnt(0)
	v_cmp_eq_f64_e64 s8, s[16:17], 0
	s_delay_alu instid0(VALU_DEP_1)
	s_and_b32 vcc_lo, exec_lo, s8
	s_cbranch_vccnz .LBB203_2
; %bb.1:
	s_mul_i32 s2, s15, s5
	s_mul_hi_u32 s3, s15, s4
	s_delay_alu instid0(SALU_CYCLE_1) | instskip(SKIP_1) | instid1(SALU_CYCLE_1)
	s_add_i32 s3, s3, s2
	s_mul_i32 s2, s15, s4
	s_lshl_b64 s[2:3], s[2:3], 3
	s_delay_alu instid0(SALU_CYCLE_1)
	s_add_u32 s12, s18, s2
	s_addc_u32 s13, s19, s3
.LBB203_2:
	s_clause 0x1
	s_load_b128 s[36:39], s[0:1], 0x40
	s_load_b64 s[2:3], s[0:1], 0x50
	s_and_not1_b32 vcc_lo, exec_lo, s8
	s_cbranch_vccnz .LBB203_4
; %bb.3:
	s_mov_b32 s20, 0
	s_mov_b64 s[18:19], 0
	s_cbranch_execz .LBB203_5
	s_branch .LBB203_6
.LBB203_4:
	s_mov_b32 s20, -1
                                        ; implicit-def: $sgpr18_sgpr19
.LBB203_5:
	s_waitcnt lgkmcnt(0)
	s_mul_i32 s4, s15, s37
	s_mul_hi_u32 s5, s15, s36
	s_mov_b32 s20, 0
	s_add_i32 s5, s5, s4
	s_mul_i32 s4, s15, s36
	s_delay_alu instid0(SALU_CYCLE_1) | instskip(NEXT) | instid1(SALU_CYCLE_1)
	s_lshl_b64 s[4:5], s[4:5], 3
	s_add_u32 s18, s6, s4
	s_addc_u32 s19, s7, s5
.LBB203_6:
	s_waitcnt lgkmcnt(0)
	v_cmp_eq_f64_e64 s4, s[38:39], 0
	v_cmp_neq_f64_e64 s36, s[38:39], 0
	s_load_b128 s[8:11], s[0:1], 0x60
	s_mov_b64 s[34:35], 0
	s_delay_alu instid0(VALU_DEP_2)
	s_and_b32 vcc_lo, exec_lo, s4
	s_cbranch_vccnz .LBB203_8
; %bb.7:
	s_waitcnt lgkmcnt(0)
	s_mul_i32 s4, s15, s9
	s_mul_hi_u32 s5, s15, s8
	s_mul_i32 s6, s20, s8
	s_add_i32 s4, s5, s4
	s_delay_alu instid0(SALU_CYCLE_1) | instskip(SKIP_1) | instid1(SALU_CYCLE_1)
	s_add_i32 s5, s4, s6
	s_mul_i32 s4, s15, s8
	s_lshl_b64 s[4:5], s[4:5], 3
	s_delay_alu instid0(SALU_CYCLE_1)
	s_add_u32 s34, s2, s4
	s_addc_u32 s35, s3, s5
.LBB203_8:
	s_clause 0x1
	s_load_b128 s[40:43], s[0:1], 0x0
	s_load_b32 s24, s[0:1], 0x20
	s_mov_b32 s2, 0
	v_bfe_u32 v83, v0, 10, 10
	s_mov_b32 s3, s2
	s_delay_alu instid0(SALU_CYCLE_1) | instskip(SKIP_2) | instid1(VALU_DEP_3)
	v_dual_mov_b32 v5, s3 :: v_dual_and_b32 v82, 0x3ff, v0
	v_mov_b32_e32 v4, s2
	v_cmp_eq_f64_e64 s21, s[16:17], 0
	v_and_b32_e32 v84, 3, v82
	v_lshl_add_u32 v6, v83, 2, v82
	s_delay_alu instid0(VALU_DEP_1) | instskip(SKIP_2) | instid1(SALU_CYCLE_1)
	v_lshrrev_b32_e32 v8, 2, v6
	s_waitcnt lgkmcnt(0)
	s_add_i32 s2, s40, -1
	s_ashr_i32 s3, s2, 31
	s_delay_alu instid0(SALU_CYCLE_1) | instskip(NEXT) | instid1(SALU_CYCLE_1)
	s_lshr_b32 s3, s3, 25
	s_add_i32 s2, s2, s3
	s_delay_alu instid0(SALU_CYCLE_1) | instskip(NEXT) | instid1(SALU_CYCLE_1)
	s_ashr_i32 s2, s2, 7
	s_add_i32 s3, s2, 1
	s_not_b32 s2, s2
	v_cvt_f32_u32_e32 v0, s3
	s_delay_alu instid0(VALU_DEP_1) | instskip(SKIP_2) | instid1(VALU_DEP_1)
	v_rcp_iflag_f32_e32 v0, v0
	s_waitcnt_depctr 0xfff
	v_mul_f32_e32 v0, 0x4f7ffffe, v0
	v_cvt_u32_f32_e32 v0, v0
	s_delay_alu instid0(VALU_DEP_1) | instskip(NEXT) | instid1(VALU_DEP_1)
	v_readfirstlane_b32 s4, v0
	s_mul_i32 s2, s2, s4
	s_delay_alu instid0(SALU_CYCLE_1) | instskip(NEXT) | instid1(SALU_CYCLE_1)
	s_mul_hi_u32 s2, s4, s2
	s_add_i32 s4, s4, s2
	s_delay_alu instid0(SALU_CYCLE_1) | instskip(NEXT) | instid1(SALU_CYCLE_1)
	s_mul_hi_u32 s2, s14, s4
	s_mul_i32 s4, s2, s3
	s_add_i32 s5, s2, 1
	s_sub_i32 s4, s14, s4
	s_delay_alu instid0(SALU_CYCLE_1)
	s_sub_i32 s6, s4, s3
	s_cmp_ge_u32 s4, s3
	s_cselect_b32 s2, s5, s2
	s_cselect_b32 s4, s6, s4
	s_add_i32 s5, s2, 1
	s_cmp_ge_u32 s4, s3
	s_cselect_b32 s4, s5, s2
	s_delay_alu instid0(SALU_CYCLE_1) | instskip(NEXT) | instid1(SALU_CYCLE_1)
	s_mul_i32 s2, s4, s3
	s_sub_i32 s2, s14, s2
	s_add_i32 s14, s42, -1
	s_lshl_b32 s8, s2, 7
	v_min_i32_e32 v0, s14, v84
	v_add_nc_u32_e32 v78, s8, v8
	s_delay_alu instid0(VALU_DEP_2) | instskip(NEXT) | instid1(VALU_DEP_2)
	v_ashrrev_i32_e32 v1, 31, v0
	v_cmp_le_i32_e64 s2, s40, v78
	s_delay_alu instid0(VALU_DEP_2)
	v_lshlrev_b64 v[2:3], 3, v[0:1]
	v_mov_b32_e32 v0, 0
	v_mov_b32_e32 v1, 0
	s_clause 0xd
	scratch_store_b64 off, v[4:5], off
	scratch_store_b64 off, v[4:5], off offset:8
	scratch_store_b64 off, v[4:5], off offset:16
	;; [unrolled: 1-line block ×13, first 2 shown]
	v_add_co_u32 v7, s3, s12, v2
	s_delay_alu instid0(VALU_DEP_1)
	v_add_co_ci_u32_e64 v9, s3, s13, v3, s3
	v_mov_b32_e32 v3, v1
	v_cmp_le_i32_e32 vcc_lo, s42, v84
	v_mov_b32_e32 v2, v0
	s_clause 0x5
	scratch_store_b64 off, v[4:5], off offset:112
	scratch_store_b64 off, v[4:5], off offset:120
	;; [unrolled: 1-line block ×6, first 2 shown]
	s_or_b32 s3, vcc_lo, s2
	s_clause 0x8
	scratch_store_b64 off, v[4:5], off offset:160
	scratch_store_b64 off, v[4:5], off offset:168
	;; [unrolled: 1-line block ×9, first 2 shown]
	s_or_b32 s3, s21, s3
	s_clause 0x3
	scratch_store_b64 off, v[4:5], off offset:232
	scratch_store_b64 off, v[4:5], off offset:240
	;; [unrolled: 1-line block ×4, first 2 shown]
	s_xor_b32 s3, s3, -1
	s_clause 0x1e
	scratch_store_b64 off, v[4:5], off offset:264
	scratch_store_b64 off, v[4:5], off offset:272
	;; [unrolled: 1-line block ×31, first 2 shown]
	s_and_saveexec_b32 s5, s3
	s_cbranch_execz .LBB203_10
; %bb.9:
	v_mad_i64_i32 v[2:3], null, v78, s24, 0
	s_delay_alu instid0(VALU_DEP_1) | instskip(NEXT) | instid1(VALU_DEP_1)
	v_lshlrev_b64 v[2:3], 3, v[2:3]
	v_add_co_u32 v2, s3, v7, v2
	s_delay_alu instid0(VALU_DEP_1)
	v_add_co_ci_u32_e64 v3, s3, v9, v3, s3
	flat_load_b64 v[2:3], v[2:3]
	s_waitcnt vmcnt(0) lgkmcnt(0)
	v_mul_f64 v[2:3], v[2:3], s[16:17]
.LBB203_10:
	s_or_b32 exec_lo, exec_lo, s5
	v_add_nc_u32_e32 v79, 64, v78
	v_dual_mov_b32 v5, v1 :: v_dual_mov_b32 v4, v0
	s_delay_alu instid0(VALU_DEP_2) | instskip(NEXT) | instid1(VALU_DEP_1)
	v_cmp_le_i32_e64 s3, s40, v79
	s_or_b32 s5, vcc_lo, s3
	s_delay_alu instid0(SALU_CYCLE_1) | instskip(NEXT) | instid1(SALU_CYCLE_1)
	s_or_b32 s5, s21, s5
	s_xor_b32 s6, s5, -1
	s_delay_alu instid0(SALU_CYCLE_1)
	s_and_saveexec_b32 s5, s6
	s_cbranch_execz .LBB203_12
; %bb.11:
	v_mad_i64_i32 v[4:5], null, v79, s24, 0
	s_delay_alu instid0(VALU_DEP_1) | instskip(NEXT) | instid1(VALU_DEP_1)
	v_lshlrev_b64 v[4:5], 3, v[4:5]
	v_add_co_u32 v4, vcc_lo, v7, v4
	s_delay_alu instid0(VALU_DEP_2)
	v_add_co_ci_u32_e32 v5, vcc_lo, v9, v5, vcc_lo
	flat_load_b64 v[4:5], v[4:5]
	s_waitcnt vmcnt(0) lgkmcnt(0)
	v_mul_f64 v[4:5], v[4:5], s[16:17]
.LBB203_12:
	s_or_b32 exec_lo, exec_lo, s5
	s_load_b32 s22, s[0:1], 0x38
	v_lshrrev_b32_e32 v85, 6, v6
	v_and_b32_e32 v9, 63, v6
	s_lshl_b32 s9, s4, 7
	s_delay_alu instid0(VALU_DEP_2) | instskip(NEXT) | instid1(VALU_DEP_2)
	v_min_i32_e32 v10, s14, v85
	v_or_b32_e32 v72, s9, v9
	v_cmp_le_i32_e32 vcc_lo, s42, v85
	s_delay_alu instid0(VALU_DEP_2) | instskip(SKIP_1) | instid1(VALU_DEP_2)
	v_cmp_le_i32_e64 s4, s41, v72
	v_ashrrev_i32_e32 v73, 31, v72
	s_or_b32 s6, s4, vcc_lo
	s_waitcnt lgkmcnt(0)
	v_mad_i64_i32 v[6:7], null, s22, v10, 0
	s_delay_alu instid0(VALU_DEP_1) | instskip(NEXT) | instid1(VALU_DEP_1)
	v_lshlrev_b64 v[6:7], 3, v[6:7]
	v_add_co_u32 v10, s5, s18, v6
	s_delay_alu instid0(VALU_DEP_1) | instskip(SKIP_1) | instid1(SALU_CYCLE_1)
	v_add_co_ci_u32_e64 v11, s5, s19, v7, s5
	s_or_b32 s5, s21, s6
	s_xor_b32 s5, s5, -1
	s_delay_alu instid0(SALU_CYCLE_1)
	s_and_saveexec_b32 s6, s5
	s_cbranch_execz .LBB203_14
; %bb.13:
	v_lshlrev_b64 v[0:1], 3, v[72:73]
	s_delay_alu instid0(VALU_DEP_1) | instskip(NEXT) | instid1(VALU_DEP_1)
	v_add_co_u32 v0, s5, v10, v0
	v_add_co_ci_u32_e64 v1, s5, v11, v1, s5
	flat_load_b64 v[0:1], v[0:1]
	s_waitcnt vmcnt(0) lgkmcnt(0)
	v_mul_f64 v[0:1], v[0:1], s[16:17]
.LBB203_14:
	s_or_b32 exec_lo, exec_lo, s6
	v_or_b32_e32 v6, 64, v72
	v_mov_b32_e32 v68, 0
	v_mov_b32_e32 v69, 0
	s_delay_alu instid0(VALU_DEP_3) | instskip(NEXT) | instid1(VALU_DEP_2)
	v_cmp_le_i32_e64 s5, s41, v6
	v_dual_mov_b32 v6, v68 :: v_dual_mov_b32 v7, v69
	s_delay_alu instid0(VALU_DEP_2) | instskip(NEXT) | instid1(SALU_CYCLE_1)
	s_or_b32 s6, s5, vcc_lo
	s_or_b32 s6, s21, s6
	s_delay_alu instid0(SALU_CYCLE_1) | instskip(NEXT) | instid1(SALU_CYCLE_1)
	s_xor_b32 s7, s6, -1
	s_and_saveexec_b32 s6, s7
	s_cbranch_execz .LBB203_16
; %bb.15:
	v_lshlrev_b64 v[6:7], 3, v[72:73]
	s_delay_alu instid0(VALU_DEP_1) | instskip(NEXT) | instid1(VALU_DEP_2)
	v_add_co_u32 v6, vcc_lo, v10, v6
	v_add_co_ci_u32_e32 v7, vcc_lo, v11, v7, vcc_lo
	flat_load_b64 v[6:7], v[6:7] offset:512
	s_waitcnt vmcnt(0) lgkmcnt(0)
	v_mul_f64 v[6:7], v[6:7], s[16:17]
.LBB203_16:
	s_or_b32 exec_lo, exec_lo, s6
	v_or_b32_e32 v12, 4, v84
	s_delay_alu instid0(VALU_DEP_1) | instskip(SKIP_1) | instid1(VALU_DEP_2)
	v_min_i32_e32 v10, s14, v12
	v_cmp_le_i32_e32 vcc_lo, s42, v12
	v_ashrrev_i32_e32 v11, 31, v10
	s_or_b32 s7, vcc_lo, s2
	s_delay_alu instid0(VALU_DEP_1) | instskip(NEXT) | instid1(VALU_DEP_1)
	v_lshlrev_b64 v[10:11], 3, v[10:11]
	v_add_co_u32 v10, s6, s12, v10
	s_delay_alu instid0(VALU_DEP_1) | instskip(SKIP_1) | instid1(SALU_CYCLE_1)
	v_add_co_ci_u32_e64 v11, s6, s13, v11, s6
	s_or_b32 s6, s21, s7
	s_xor_b32 s6, s6, -1
	s_delay_alu instid0(SALU_CYCLE_1)
	s_and_saveexec_b32 s7, s6
	s_cbranch_execz .LBB203_18
; %bb.17:
	v_mad_i64_i32 v[12:13], null, v78, s24, 0
	s_delay_alu instid0(VALU_DEP_1) | instskip(NEXT) | instid1(VALU_DEP_1)
	v_lshlrev_b64 v[12:13], 3, v[12:13]
	v_add_co_u32 v12, s6, v10, v12
	s_delay_alu instid0(VALU_DEP_1)
	v_add_co_ci_u32_e64 v13, s6, v11, v13, s6
	flat_load_b64 v[12:13], v[12:13]
	s_waitcnt vmcnt(0) lgkmcnt(0)
	v_mul_f64 v[68:69], v[12:13], s[16:17]
.LBB203_18:
	s_or_b32 exec_lo, exec_lo, s7
	v_mov_b32_e32 v70, 0
	v_mov_b32_e32 v71, 0
	s_or_b32 s6, vcc_lo, s3
	s_delay_alu instid0(SALU_CYCLE_1) | instskip(NEXT) | instid1(SALU_CYCLE_1)
	s_or_b32 s6, s21, s6
	s_xor_b32 s7, s6, -1
	s_delay_alu instid0(VALU_DEP_1)
	v_dual_mov_b32 v75, v71 :: v_dual_mov_b32 v74, v70
	s_and_saveexec_b32 s6, s7
	s_cbranch_execz .LBB203_20
; %bb.19:
	v_mad_i64_i32 v[12:13], null, v79, s24, 0
	s_delay_alu instid0(VALU_DEP_1) | instskip(NEXT) | instid1(VALU_DEP_1)
	v_lshlrev_b64 v[12:13], 3, v[12:13]
	v_add_co_u32 v10, vcc_lo, v10, v12
	s_delay_alu instid0(VALU_DEP_2)
	v_add_co_ci_u32_e32 v11, vcc_lo, v11, v13, vcc_lo
	flat_load_b64 v[10:11], v[10:11]
	s_waitcnt vmcnt(0) lgkmcnt(0)
	v_mul_f64 v[74:75], v[10:11], s[16:17]
.LBB203_20:
	s_or_b32 exec_lo, exec_lo, s6
	v_add_nc_u32_e32 v12, 4, v85
	s_delay_alu instid0(VALU_DEP_1) | instskip(SKIP_1) | instid1(VALU_DEP_2)
	v_min_i32_e32 v13, s14, v12
	v_cmp_le_i32_e32 vcc_lo, s42, v12
	v_mad_i64_i32 v[10:11], null, s22, v13, 0
	s_or_b32 s7, s4, vcc_lo
	s_delay_alu instid0(VALU_DEP_1) | instskip(NEXT) | instid1(VALU_DEP_1)
	v_lshlrev_b64 v[10:11], 3, v[10:11]
	v_add_co_u32 v10, s6, s18, v10
	s_delay_alu instid0(VALU_DEP_1) | instskip(SKIP_1) | instid1(SALU_CYCLE_1)
	v_add_co_ci_u32_e64 v11, s6, s19, v11, s6
	s_or_b32 s6, s21, s7
	s_xor_b32 s6, s6, -1
	s_delay_alu instid0(SALU_CYCLE_1)
	s_and_saveexec_b32 s7, s6
	s_cbranch_execz .LBB203_22
; %bb.21:
	v_lshlrev_b64 v[12:13], 3, v[72:73]
	s_delay_alu instid0(VALU_DEP_1) | instskip(NEXT) | instid1(VALU_DEP_1)
	v_add_co_u32 v12, s6, v10, v12
	v_add_co_ci_u32_e64 v13, s6, v11, v13, s6
	flat_load_b64 v[12:13], v[12:13]
	s_waitcnt vmcnt(0) lgkmcnt(0)
	v_mul_f64 v[70:71], v[12:13], s[16:17]
.LBB203_22:
	s_or_b32 exec_lo, exec_lo, s7
	s_or_b32 s6, s5, vcc_lo
	v_mov_b32_e32 v76, 0
	v_mov_b32_e32 v77, 0
	s_or_b32 s6, s21, s6
	s_delay_alu instid0(SALU_CYCLE_1) | instskip(NEXT) | instid1(SALU_CYCLE_1)
	s_xor_b32 s7, s6, -1
	s_and_saveexec_b32 s6, s7
	s_cbranch_execz .LBB203_24
; %bb.23:
	v_lshlrev_b64 v[12:13], 3, v[72:73]
	s_delay_alu instid0(VALU_DEP_1) | instskip(NEXT) | instid1(VALU_DEP_2)
	v_add_co_u32 v10, vcc_lo, v10, v12
	v_add_co_ci_u32_e32 v11, vcc_lo, v11, v13, vcc_lo
	flat_load_b64 v[10:11], v[10:11] offset:512
	s_waitcnt vmcnt(0) lgkmcnt(0)
	v_mul_f64 v[76:77], v[10:11], s[16:17]
.LBB203_24:
	s_or_b32 exec_lo, exec_lo, s6
	v_dual_mov_b32 v81, 0 :: v_dual_lshlrev_b32 v10, 3, v84
	v_dual_mov_b32 v92, 16 :: v_dual_lshlrev_b32 v9, 5, v9
	v_dual_mov_b32 v91, 8 :: v_dual_lshlrev_b32 v86, 5, v82
	s_delay_alu instid0(VALU_DEP_3) | instskip(NEXT) | instid1(VALU_DEP_3)
	v_lshl_or_b32 v87, v8, 5, v10
	v_lshl_add_u32 v80, v85, 3, v9
	s_delay_alu instid0(VALU_DEP_3)
	v_dual_mov_b32 v93, 24 :: v_dual_add_nc_u32 v48, 0x800, v86
	v_dual_mov_b32 v95, 40 :: v_dual_lshlrev_b32 v88, 5, v83
	ds_store_2addr_stride64_b64 v87, v[2:3], v[4:5] offset1:4
	ds_store_2addr_stride64_b64 v80, v[0:1], v[6:7] offset0:16 offset1:20
	s_waitcnt lgkmcnt(0)
	s_waitcnt_vscnt null, 0x0
	s_barrier
	buffer_gl0_inv
	ds_load_2addr_b64 v[0:3], v86 offset1:16
	ds_load_2addr_b64 v[4:7], v86 offset0:32 offset1:48
	ds_load_2addr_b64 v[8:11], v86 offset0:64 offset1:80
	;; [unrolled: 1-line block ×4, first 2 shown]
	ds_load_2addr_b64 v[20:23], v48 offset1:16
	ds_load_2addr_b64 v[24:27], v48 offset0:32 offset1:48
	ds_load_2addr_b64 v[28:31], v48 offset0:64 offset1:80
	;; [unrolled: 1-line block ×10, first 2 shown]
	ds_load_2addr_stride64_b64 v[64:67], v88 offset0:16 offset1:20
	v_or_b32_e32 v89, 0x2000, v80
	v_dual_mov_b32 v97, 56 :: v_dual_add_nc_u32 v90, 0x2000, v88
	v_dual_mov_b32 v94, 32 :: v_dual_mov_b32 v99, 0x48
	v_dual_mov_b32 v96, 48 :: v_dual_mov_b32 v101, 0x58
	;; [unrolled: 1-line block ×3, first 2 shown]
	v_mov_b32_e32 v100, 0x50
	v_mov_b32_e32 v102, 0x60
	;; [unrolled: 1-line block ×20, first 2 shown]
	s_mov_b64 s[6:7], 0
	s_mov_b32 s23, -1
.LBB203_25:                             ; =>This Inner Loop Header: Depth=1
	scratch_load_b64 v[122:123], v81, off
	scratch_load_b64 v[124:125], v91, off
	;; [unrolled: 1-line block ×32, first 2 shown]
	s_cmp_eq_u32 s6, 1
	s_waitcnt lgkmcnt(16)
	v_max_f64 v[188:189], v[0:1], v[0:1]
	s_cselect_b32 vcc_lo, -1, 0
	v_max_f64 v[190:191], v[2:3], v[2:3]
	s_waitcnt lgkmcnt(0)
	v_dual_cndmask_b32 v187, v65, v67 :: v_dual_cndmask_b32 v186, v64, v66
	v_max_f64 v[192:193], v[4:5], v[4:5]
	v_max_f64 v[194:195], v[6:7], v[6:7]
	;; [unrolled: 1-line block ×31, first 2 shown]
	s_mov_b64 s[6:7], 1
	s_and_b32 vcc_lo, exec_lo, s23
	s_mov_b32 s23, 0
	v_min_f64 v[188:189], v[188:189], v[186:187]
	v_min_f64 v[190:191], v[190:191], v[186:187]
	;; [unrolled: 1-line block ×32, first 2 shown]
	s_waitcnt vmcnt(31)
	v_add_f64 v[122:123], v[122:123], v[188:189]
	s_waitcnt vmcnt(30)
	v_add_f64 v[124:125], v[190:191], v[124:125]
	;; [unrolled: 2-line block ×32, first 2 shown]
	scratch_store_b64 v81, v[122:123], off
	scratch_store_b64 v91, v[124:125], off
	;; [unrolled: 1-line block ×32, first 2 shown]
	v_mov_b32_e32 v81, 0x100
	v_mov_b32_e32 v91, 0x108
	;; [unrolled: 1-line block ×32, first 2 shown]
	s_cbranch_vccnz .LBB203_25
; %bb.26:
	v_dual_mov_b32 v81, 0 :: v_dual_add_nc_u32 v60, 0x800, v86
	ds_load_2addr_b64 v[0:3], v86 offset0:1 offset1:17
	ds_load_2addr_b64 v[4:7], v86 offset0:33 offset1:49
	;; [unrolled: 1-line block ×12, first 2 shown]
	v_dual_mov_b32 v91, 8 :: v_dual_add_nc_u32 v64, 8, v90
	ds_load_2addr_b64 v[48:51], v60 offset0:129 offset1:145
	ds_load_2addr_b64 v[52:55], v60 offset0:161 offset1:177
	;; [unrolled: 1-line block ×4, first 2 shown]
	ds_load_2addr_stride64_b64 v[64:67], v64 offset1:4
	v_dual_mov_b32 v92, 16 :: v_dual_mov_b32 v93, 24
	v_dual_mov_b32 v94, 32 :: v_dual_mov_b32 v95, 40
	v_dual_mov_b32 v96, 48 :: v_dual_mov_b32 v97, 56
	v_dual_mov_b32 v98, 64 :: v_dual_mov_b32 v99, 0x48
	v_mov_b32_e32 v100, 0x50
	v_mov_b32_e32 v101, 0x58
	;; [unrolled: 1-line block ×22, first 2 shown]
	s_mov_b64 s[6:7], 0
	s_mov_b32 s23, -1
.LBB203_27:                             ; =>This Inner Loop Header: Depth=1
	scratch_load_b64 v[122:123], v81, off
	scratch_load_b64 v[124:125], v91, off
	;; [unrolled: 1-line block ×32, first 2 shown]
	s_cmp_eq_u32 s6, 1
	s_waitcnt lgkmcnt(16)
	v_max_f64 v[188:189], v[0:1], v[0:1]
	s_cselect_b32 vcc_lo, -1, 0
	v_max_f64 v[190:191], v[2:3], v[2:3]
	s_waitcnt lgkmcnt(0)
	v_dual_cndmask_b32 v187, v65, v67 :: v_dual_cndmask_b32 v186, v64, v66
	v_max_f64 v[192:193], v[4:5], v[4:5]
	v_max_f64 v[194:195], v[6:7], v[6:7]
	v_max_f64 v[196:197], v[8:9], v[8:9]
	v_max_f64 v[198:199], v[10:11], v[10:11]
	v_max_f64 v[186:187], v[186:187], v[186:187]
	v_max_f64 v[200:201], v[12:13], v[12:13]
	v_max_f64 v[202:203], v[14:15], v[14:15]
	v_max_f64 v[204:205], v[16:17], v[16:17]
	v_max_f64 v[206:207], v[18:19], v[18:19]
	v_max_f64 v[208:209], v[20:21], v[20:21]
	v_max_f64 v[210:211], v[22:23], v[22:23]
	v_max_f64 v[212:213], v[24:25], v[24:25]
	v_max_f64 v[214:215], v[26:27], v[26:27]
	v_max_f64 v[216:217], v[28:29], v[28:29]
	v_max_f64 v[218:219], v[30:31], v[30:31]
	v_max_f64 v[220:221], v[32:33], v[32:33]
	v_max_f64 v[222:223], v[34:35], v[34:35]
	v_max_f64 v[224:225], v[36:37], v[36:37]
	v_max_f64 v[226:227], v[38:39], v[38:39]
	v_max_f64 v[228:229], v[40:41], v[40:41]
	v_max_f64 v[230:231], v[42:43], v[42:43]
	v_max_f64 v[232:233], v[44:45], v[44:45]
	v_max_f64 v[234:235], v[46:47], v[46:47]
	v_max_f64 v[236:237], v[48:49], v[48:49]
	v_max_f64 v[238:239], v[50:51], v[50:51]
	v_max_f64 v[240:241], v[52:53], v[52:53]
	v_max_f64 v[242:243], v[54:55], v[54:55]
	v_max_f64 v[244:245], v[56:57], v[56:57]
	v_max_f64 v[246:247], v[58:59], v[58:59]
	v_max_f64 v[248:249], v[60:61], v[60:61]
	v_max_f64 v[250:251], v[62:63], v[62:63]
	s_mov_b64 s[6:7], 1
	s_and_b32 vcc_lo, exec_lo, s23
	s_mov_b32 s23, 0
	v_min_f64 v[188:189], v[188:189], v[186:187]
	v_min_f64 v[190:191], v[190:191], v[186:187]
	;; [unrolled: 1-line block ×32, first 2 shown]
	s_waitcnt vmcnt(31)
	v_add_f64 v[122:123], v[122:123], v[188:189]
	s_waitcnt vmcnt(30)
	v_add_f64 v[124:125], v[190:191], v[124:125]
	;; [unrolled: 2-line block ×32, first 2 shown]
	scratch_store_b64 v81, v[122:123], off
	scratch_store_b64 v91, v[124:125], off
	scratch_store_b64 v92, v[126:127], off
	scratch_store_b64 v93, v[128:129], off
	scratch_store_b64 v94, v[130:131], off
	scratch_store_b64 v95, v[132:133], off
	scratch_store_b64 v96, v[134:135], off
	scratch_store_b64 v97, v[136:137], off
	scratch_store_b64 v98, v[138:139], off
	scratch_store_b64 v99, v[140:141], off
	scratch_store_b64 v100, v[142:143], off
	scratch_store_b64 v101, v[144:145], off
	scratch_store_b64 v102, v[146:147], off
	scratch_store_b64 v103, v[148:149], off
	scratch_store_b64 v104, v[150:151], off
	scratch_store_b64 v105, v[152:153], off
	scratch_store_b64 v106, v[154:155], off
	scratch_store_b64 v107, v[156:157], off
	scratch_store_b64 v108, v[158:159], off
	scratch_store_b64 v109, v[160:161], off
	scratch_store_b64 v110, v[162:163], off
	scratch_store_b64 v111, v[164:165], off
	scratch_store_b64 v112, v[166:167], off
	scratch_store_b64 v113, v[168:169], off
	scratch_store_b64 v114, v[170:171], off
	scratch_store_b64 v115, v[172:173], off
	scratch_store_b64 v116, v[174:175], off
	scratch_store_b64 v117, v[176:177], off
	scratch_store_b64 v118, v[178:179], off
	scratch_store_b64 v119, v[180:181], off
	scratch_store_b64 v120, v[182:183], off
	scratch_store_b64 v121, v[184:185], off
	v_mov_b32_e32 v81, 0x100
	v_mov_b32_e32 v91, 0x108
	;; [unrolled: 1-line block ×32, first 2 shown]
	s_cbranch_vccnz .LBB203_27
; %bb.28:
	v_dual_mov_b32 v81, 0 :: v_dual_add_nc_u32 v60, 0x800, v86
	ds_load_2addr_b64 v[0:3], v86 offset0:2 offset1:18
	ds_load_2addr_b64 v[4:7], v86 offset0:34 offset1:50
	ds_load_2addr_b64 v[8:11], v86 offset0:66 offset1:82
	ds_load_2addr_b64 v[12:15], v86 offset0:98 offset1:114
	ds_load_2addr_b64 v[16:19], v86 offset0:130 offset1:146
	ds_load_2addr_b64 v[20:23], v86 offset0:162 offset1:178
	ds_load_2addr_b64 v[24:27], v86 offset0:194 offset1:210
	ds_load_2addr_b64 v[28:31], v86 offset0:226 offset1:242
	ds_load_2addr_b64 v[32:35], v60 offset0:2 offset1:18
	ds_load_2addr_b64 v[36:39], v60 offset0:34 offset1:50
	ds_load_2addr_b64 v[40:43], v60 offset0:66 offset1:82
	ds_load_2addr_b64 v[44:47], v60 offset0:98 offset1:114
	v_dual_mov_b32 v91, 8 :: v_dual_add_nc_u32 v64, 16, v90
	ds_load_2addr_b64 v[48:51], v60 offset0:130 offset1:146
	ds_load_2addr_b64 v[52:55], v60 offset0:162 offset1:178
	;; [unrolled: 1-line block ×4, first 2 shown]
	ds_load_2addr_stride64_b64 v[64:67], v64 offset1:4
	v_dual_mov_b32 v92, 16 :: v_dual_mov_b32 v93, 24
	v_dual_mov_b32 v94, 32 :: v_dual_mov_b32 v95, 40
	;; [unrolled: 1-line block ×4, first 2 shown]
	v_mov_b32_e32 v100, 0x50
	v_mov_b32_e32 v101, 0x58
	;; [unrolled: 1-line block ×22, first 2 shown]
	s_mov_b64 s[6:7], 0
	s_mov_b32 s23, -1
.LBB203_29:                             ; =>This Inner Loop Header: Depth=1
	scratch_load_b64 v[122:123], v81, off
	scratch_load_b64 v[124:125], v91, off
	;; [unrolled: 1-line block ×32, first 2 shown]
	s_cmp_eq_u32 s6, 1
	s_waitcnt lgkmcnt(16)
	v_max_f64 v[188:189], v[0:1], v[0:1]
	s_cselect_b32 vcc_lo, -1, 0
	v_max_f64 v[190:191], v[2:3], v[2:3]
	s_waitcnt lgkmcnt(0)
	v_dual_cndmask_b32 v187, v65, v67 :: v_dual_cndmask_b32 v186, v64, v66
	v_max_f64 v[192:193], v[4:5], v[4:5]
	v_max_f64 v[194:195], v[6:7], v[6:7]
	v_max_f64 v[196:197], v[8:9], v[8:9]
	v_max_f64 v[198:199], v[10:11], v[10:11]
	v_max_f64 v[186:187], v[186:187], v[186:187]
	v_max_f64 v[200:201], v[12:13], v[12:13]
	v_max_f64 v[202:203], v[14:15], v[14:15]
	v_max_f64 v[204:205], v[16:17], v[16:17]
	v_max_f64 v[206:207], v[18:19], v[18:19]
	v_max_f64 v[208:209], v[20:21], v[20:21]
	v_max_f64 v[210:211], v[22:23], v[22:23]
	v_max_f64 v[212:213], v[24:25], v[24:25]
	v_max_f64 v[214:215], v[26:27], v[26:27]
	v_max_f64 v[216:217], v[28:29], v[28:29]
	v_max_f64 v[218:219], v[30:31], v[30:31]
	v_max_f64 v[220:221], v[32:33], v[32:33]
	v_max_f64 v[222:223], v[34:35], v[34:35]
	v_max_f64 v[224:225], v[36:37], v[36:37]
	v_max_f64 v[226:227], v[38:39], v[38:39]
	v_max_f64 v[228:229], v[40:41], v[40:41]
	v_max_f64 v[230:231], v[42:43], v[42:43]
	v_max_f64 v[232:233], v[44:45], v[44:45]
	v_max_f64 v[234:235], v[46:47], v[46:47]
	v_max_f64 v[236:237], v[48:49], v[48:49]
	v_max_f64 v[238:239], v[50:51], v[50:51]
	v_max_f64 v[240:241], v[52:53], v[52:53]
	v_max_f64 v[242:243], v[54:55], v[54:55]
	v_max_f64 v[244:245], v[56:57], v[56:57]
	v_max_f64 v[246:247], v[58:59], v[58:59]
	v_max_f64 v[248:249], v[60:61], v[60:61]
	v_max_f64 v[250:251], v[62:63], v[62:63]
	s_mov_b64 s[6:7], 1
	s_and_b32 vcc_lo, exec_lo, s23
	s_mov_b32 s23, 0
	v_min_f64 v[188:189], v[188:189], v[186:187]
	v_min_f64 v[190:191], v[190:191], v[186:187]
	;; [unrolled: 1-line block ×32, first 2 shown]
	s_waitcnt vmcnt(31)
	v_add_f64 v[122:123], v[122:123], v[188:189]
	s_waitcnt vmcnt(30)
	v_add_f64 v[124:125], v[190:191], v[124:125]
	;; [unrolled: 2-line block ×32, first 2 shown]
	scratch_store_b64 v81, v[122:123], off
	scratch_store_b64 v91, v[124:125], off
	;; [unrolled: 1-line block ×32, first 2 shown]
	v_mov_b32_e32 v81, 0x100
	v_mov_b32_e32 v91, 0x108
	;; [unrolled: 1-line block ×32, first 2 shown]
	s_cbranch_vccnz .LBB203_29
; %bb.30:
	v_dual_mov_b32 v81, 0 :: v_dual_add_nc_u32 v60, 0x800, v86
	ds_load_2addr_b64 v[0:3], v86 offset0:3 offset1:19
	ds_load_2addr_b64 v[4:7], v86 offset0:35 offset1:51
	;; [unrolled: 1-line block ×12, first 2 shown]
	v_dual_mov_b32 v91, 8 :: v_dual_add_nc_u32 v64, 24, v90
	ds_load_2addr_b64 v[48:51], v60 offset0:131 offset1:147
	ds_load_2addr_b64 v[52:55], v60 offset0:163 offset1:179
	;; [unrolled: 1-line block ×4, first 2 shown]
	ds_load_2addr_stride64_b64 v[64:67], v64 offset1:4
	v_dual_mov_b32 v92, 16 :: v_dual_mov_b32 v93, 24
	v_dual_mov_b32 v94, 32 :: v_dual_mov_b32 v95, 40
	;; [unrolled: 1-line block ×4, first 2 shown]
	v_mov_b32_e32 v100, 0x50
	v_mov_b32_e32 v101, 0x58
	;; [unrolled: 1-line block ×22, first 2 shown]
	s_mov_b64 s[6:7], 0
	s_mov_b32 s23, -1
.LBB203_31:                             ; =>This Inner Loop Header: Depth=1
	scratch_load_b64 v[122:123], v81, off
	scratch_load_b64 v[124:125], v91, off
	;; [unrolled: 1-line block ×32, first 2 shown]
	s_cmp_eq_u32 s6, 1
	s_waitcnt lgkmcnt(16)
	v_max_f64 v[188:189], v[0:1], v[0:1]
	s_cselect_b32 vcc_lo, -1, 0
	v_max_f64 v[190:191], v[2:3], v[2:3]
	s_waitcnt lgkmcnt(0)
	v_dual_cndmask_b32 v187, v65, v67 :: v_dual_cndmask_b32 v186, v64, v66
	v_max_f64 v[192:193], v[4:5], v[4:5]
	v_max_f64 v[194:195], v[6:7], v[6:7]
	;; [unrolled: 1-line block ×31, first 2 shown]
	s_mov_b64 s[6:7], 1
	s_and_b32 vcc_lo, exec_lo, s23
	s_mov_b32 s23, 0
	v_min_f64 v[188:189], v[188:189], v[186:187]
	v_min_f64 v[190:191], v[190:191], v[186:187]
	;; [unrolled: 1-line block ×32, first 2 shown]
	s_waitcnt vmcnt(31)
	v_add_f64 v[122:123], v[122:123], v[188:189]
	s_waitcnt vmcnt(30)
	v_add_f64 v[124:125], v[190:191], v[124:125]
	;; [unrolled: 2-line block ×32, first 2 shown]
	scratch_store_b64 v81, v[122:123], off
	scratch_store_b64 v91, v[124:125], off
	scratch_store_b64 v92, v[126:127], off
	scratch_store_b64 v93, v[128:129], off
	scratch_store_b64 v94, v[130:131], off
	scratch_store_b64 v95, v[132:133], off
	scratch_store_b64 v96, v[134:135], off
	scratch_store_b64 v97, v[136:137], off
	scratch_store_b64 v98, v[138:139], off
	scratch_store_b64 v99, v[140:141], off
	scratch_store_b64 v100, v[142:143], off
	scratch_store_b64 v101, v[144:145], off
	scratch_store_b64 v102, v[146:147], off
	scratch_store_b64 v103, v[148:149], off
	scratch_store_b64 v104, v[150:151], off
	scratch_store_b64 v105, v[152:153], off
	scratch_store_b64 v106, v[154:155], off
	scratch_store_b64 v107, v[156:157], off
	scratch_store_b64 v108, v[158:159], off
	scratch_store_b64 v109, v[160:161], off
	scratch_store_b64 v110, v[162:163], off
	scratch_store_b64 v111, v[164:165], off
	scratch_store_b64 v112, v[166:167], off
	scratch_store_b64 v113, v[168:169], off
	scratch_store_b64 v114, v[170:171], off
	scratch_store_b64 v115, v[172:173], off
	scratch_store_b64 v116, v[174:175], off
	scratch_store_b64 v117, v[176:177], off
	scratch_store_b64 v118, v[178:179], off
	scratch_store_b64 v119, v[180:181], off
	scratch_store_b64 v120, v[182:183], off
	scratch_store_b64 v121, v[184:185], off
	v_mov_b32_e32 v81, 0x100
	v_mov_b32_e32 v91, 0x108
	;; [unrolled: 1-line block ×32, first 2 shown]
	s_cbranch_vccnz .LBB203_31
; %bb.32:
	s_cmp_gt_i32 s42, 8
	s_mov_b32 s23, 8
	ds_store_2addr_stride64_b64 v87, v[68:69], v[74:75] offset0:8 offset1:12
	ds_store_2addr_stride64_b64 v80, v[70:71], v[76:77] offset0:24 offset1:28
	s_waitcnt lgkmcnt(0)
	s_waitcnt_vscnt null, 0x0
	s_barrier
	buffer_gl0_inv
	s_cbranch_scc0 .LBB203_67
; %bb.33:
	v_mad_i64_i32 v[0:1], null, v78, s24, 0
	v_mad_i64_i32 v[2:3], null, v79, s24, 0
	v_lshl_add_u32 v93, v82, 5, 0x1000
	v_lshlrev_b64 v[72:73], 3, v[72:73]
	v_add_nc_u32_e32 v91, 0x1000, v87
	v_or_b32_e32 v92, 0x3000, v80
	v_lshlrev_b64 v[68:69], 3, v[0:1]
	v_lshl_add_u32 v94, v83, 5, 0x3000
	v_lshlrev_b64 v[70:71], 3, v[2:3]
	v_add_nc_u32_e32 v95, 0x800, v93
	s_add_i32 s24, s42, -8
	s_mov_b32 s25, 0
.LBB203_34:                             ; =>This Loop Header: Depth=1
                                        ;     Child Loop BB203_43 Depth 2
                                        ;     Child Loop BB203_45 Depth 2
	;; [unrolled: 1-line block ×8, first 2 shown]
	v_or_b32_e32 v96, s23, v84
	v_mov_b32_e32 v74, 0
	v_mov_b32_e32 v75, 0
	s_delay_alu instid0(VALU_DEP_3) | instskip(SKIP_1) | instid1(VALU_DEP_3)
	v_min_i32_e32 v0, s14, v96
	v_cmp_le_i32_e32 vcc_lo, s42, v96
	v_dual_mov_b32 v77, v75 :: v_dual_mov_b32 v76, v74
	s_delay_alu instid0(VALU_DEP_3) | instskip(SKIP_1) | instid1(VALU_DEP_1)
	v_ashrrev_i32_e32 v1, 31, v0
	s_or_b32 s7, s2, vcc_lo
	v_lshlrev_b64 v[0:1], 3, v[0:1]
	s_delay_alu instid0(VALU_DEP_1) | instskip(NEXT) | instid1(VALU_DEP_1)
	v_add_co_u32 v0, s6, s12, v0
	v_add_co_ci_u32_e64 v1, s6, s13, v1, s6
	s_or_b32 s6, s21, s7
	s_delay_alu instid0(SALU_CYCLE_1) | instskip(NEXT) | instid1(SALU_CYCLE_1)
	s_xor_b32 s6, s6, -1
	s_and_saveexec_b32 s7, s6
	s_cbranch_execz .LBB203_36
; %bb.35:                               ;   in Loop: Header=BB203_34 Depth=1
	v_add_co_u32 v2, s6, v0, v68
	s_delay_alu instid0(VALU_DEP_1)
	v_add_co_ci_u32_e64 v3, s6, v1, v69, s6
	flat_load_b64 v[2:3], v[2:3]
	s_waitcnt vmcnt(0) lgkmcnt(0)
	v_mul_f64 v[76:77], v[2:3], s[16:17]
.LBB203_36:                             ;   in Loop: Header=BB203_34 Depth=1
	s_or_b32 exec_lo, exec_lo, s7
	s_or_b32 s6, s3, vcc_lo
	s_delay_alu instid0(SALU_CYCLE_1) | instskip(NEXT) | instid1(SALU_CYCLE_1)
	s_or_b32 s6, s21, s6
	s_xor_b32 s7, s6, -1
	s_delay_alu instid0(SALU_CYCLE_1)
	s_and_saveexec_b32 s6, s7
	s_cbranch_execz .LBB203_38
; %bb.37:                               ;   in Loop: Header=BB203_34 Depth=1
	v_add_co_u32 v0, vcc_lo, v0, v70
	v_add_co_ci_u32_e32 v1, vcc_lo, v1, v71, vcc_lo
	flat_load_b64 v[0:1], v[0:1]
	s_waitcnt vmcnt(0) lgkmcnt(0)
	v_mul_f64 v[74:75], v[0:1], s[16:17]
.LBB203_38:                             ;   in Loop: Header=BB203_34 Depth=1
	s_or_b32 exec_lo, exec_lo, s6
	v_add_nc_u32_e32 v2, s23, v85
	v_mov_b32_e32 v78, 0
	v_mov_b32_e32 v79, 0
	s_delay_alu instid0(VALU_DEP_3) | instskip(SKIP_1) | instid1(VALU_DEP_3)
	v_min_i32_e32 v3, s14, v2
	v_cmp_le_i32_e32 vcc_lo, s42, v2
	v_dual_mov_b32 v81, v79 :: v_dual_mov_b32 v80, v78
	s_delay_alu instid0(VALU_DEP_3) | instskip(SKIP_1) | instid1(VALU_DEP_1)
	v_mad_i64_i32 v[0:1], null, v3, s22, 0
	s_or_b32 s7, s4, vcc_lo
	v_lshlrev_b64 v[0:1], 3, v[0:1]
	s_delay_alu instid0(VALU_DEP_1) | instskip(NEXT) | instid1(VALU_DEP_1)
	v_add_co_u32 v0, s6, s18, v0
	v_add_co_ci_u32_e64 v1, s6, s19, v1, s6
	s_or_b32 s6, s21, s7
	s_delay_alu instid0(SALU_CYCLE_1) | instskip(NEXT) | instid1(SALU_CYCLE_1)
	s_xor_b32 s6, s6, -1
	s_and_saveexec_b32 s7, s6
	s_cbranch_execz .LBB203_40
; %bb.39:                               ;   in Loop: Header=BB203_34 Depth=1
	v_add_co_u32 v2, s6, v0, v72
	s_delay_alu instid0(VALU_DEP_1)
	v_add_co_ci_u32_e64 v3, s6, v1, v73, s6
	flat_load_b64 v[2:3], v[2:3]
	s_waitcnt vmcnt(0) lgkmcnt(0)
	v_mul_f64 v[80:81], v[2:3], s[16:17]
.LBB203_40:                             ;   in Loop: Header=BB203_34 Depth=1
	s_or_b32 exec_lo, exec_lo, s7
	s_or_b32 s6, s5, vcc_lo
	s_delay_alu instid0(SALU_CYCLE_1) | instskip(NEXT) | instid1(SALU_CYCLE_1)
	s_or_b32 s6, s21, s6
	s_xor_b32 s7, s6, -1
	s_delay_alu instid0(SALU_CYCLE_1)
	s_and_saveexec_b32 s6, s7
	s_cbranch_execz .LBB203_42
; %bb.41:                               ;   in Loop: Header=BB203_34 Depth=1
	v_add_co_u32 v0, vcc_lo, v0, v72
	v_add_co_ci_u32_e32 v1, vcc_lo, v1, v73, vcc_lo
	flat_load_b64 v[0:1], v[0:1] offset:512
	s_waitcnt vmcnt(0) lgkmcnt(0)
	v_mul_f64 v[78:79], v[0:1], s[16:17]
.LBB203_42:                             ;   in Loop: Header=BB203_34 Depth=1
	s_or_b32 exec_lo, exec_lo, s6
	ds_load_2addr_b64 v[0:3], v93 offset1:16
	ds_load_2addr_b64 v[4:7], v93 offset0:32 offset1:48
	ds_load_2addr_b64 v[8:11], v93 offset0:64 offset1:80
	;; [unrolled: 1-line block ×7, first 2 shown]
	ds_load_2addr_b64 v[32:35], v95 offset1:16
	ds_load_2addr_b64 v[36:39], v95 offset0:32 offset1:48
	ds_load_2addr_b64 v[40:43], v95 offset0:64 offset1:80
	;; [unrolled: 1-line block ×7, first 2 shown]
	ds_load_2addr_stride64_b64 v[64:67], v94 offset1:4
	v_dual_mov_b32 v128, 0 :: v_dual_mov_b32 v127, 8
	v_dual_mov_b32 v126, 16 :: v_dual_mov_b32 v125, 24
	;; [unrolled: 1-line block ×5, first 2 shown]
	v_mov_b32_e32 v118, 0x50
	v_mov_b32_e32 v117, 0x58
	;; [unrolled: 1-line block ×22, first 2 shown]
	s_mov_b64 s[6:7], 0
	s_mov_b32 s26, -1
.LBB203_43:                             ;   Parent Loop BB203_34 Depth=1
                                        ; =>  This Inner Loop Header: Depth=2
	scratch_load_b64 v[133:134], v128, off
	s_cmp_eq_u32 s6, 1
	s_waitcnt lgkmcnt(16)
	v_max_f64 v[131:132], v[0:1], v[0:1]
	s_cselect_b32 vcc_lo, -1, 0
	s_mov_b64 s[6:7], 1
	s_waitcnt lgkmcnt(0)
	v_dual_cndmask_b32 v130, v65, v67 :: v_dual_cndmask_b32 v129, v64, v66
	s_and_b32 vcc_lo, exec_lo, s26
	s_mov_b32 s26, 0
	s_delay_alu instid0(VALU_DEP_1) | instskip(NEXT) | instid1(VALU_DEP_1)
	v_max_f64 v[129:130], v[129:130], v[129:130]
	v_min_f64 v[131:132], v[131:132], v[129:130]
	s_waitcnt vmcnt(0)
	s_delay_alu instid0(VALU_DEP_1) | instskip(SKIP_3) | instid1(VALU_DEP_1)
	v_add_f64 v[131:132], v[133:134], v[131:132]
	scratch_load_b64 v[133:134], v127, off
	scratch_store_b64 v128, v[131:132], off
	v_max_f64 v[131:132], v[2:3], v[2:3]
	v_min_f64 v[131:132], v[131:132], v[129:130]
	s_waitcnt vmcnt(0)
	s_delay_alu instid0(VALU_DEP_1) | instskip(SKIP_3) | instid1(VALU_DEP_1)
	v_add_f64 v[131:132], v[131:132], v[133:134]
	scratch_store_b64 v127, v[131:132], off
	scratch_load_b64 v[131:132], v126, off
	v_max_f64 v[127:128], v[4:5], v[4:5]
	v_min_f64 v[127:128], v[127:128], v[129:130]
	s_waitcnt vmcnt(0)
	s_delay_alu instid0(VALU_DEP_1) | instskip(SKIP_3) | instid1(VALU_DEP_1)
	v_add_f64 v[127:128], v[127:128], v[131:132]
	scratch_load_b64 v[131:132], v125, off
	scratch_store_b64 v126, v[127:128], off
	v_max_f64 v[126:127], v[6:7], v[6:7]
	v_min_f64 v[126:127], v[126:127], v[129:130]
	s_waitcnt vmcnt(0)
	s_delay_alu instid0(VALU_DEP_1) | instskip(SKIP_3) | instid1(VALU_DEP_1)
	v_add_f64 v[126:127], v[126:127], v[131:132]
	scratch_store_b64 v125, v[126:127], off
	scratch_load_b64 v[127:128], v124, off
	v_max_f64 v[125:126], v[8:9], v[8:9]
	v_min_f64 v[125:126], v[125:126], v[129:130]
	s_waitcnt vmcnt(0)
	s_delay_alu instid0(VALU_DEP_1) | instskip(SKIP_4) | instid1(VALU_DEP_1)
	v_add_f64 v[125:126], v[125:126], v[127:128]
	v_mov_b32_e32 v128, 0x100
	scratch_store_b64 v124, v[125:126], off
	scratch_load_b64 v[126:127], v123, off
	v_max_f64 v[124:125], v[10:11], v[10:11]
	v_min_f64 v[124:125], v[124:125], v[129:130]
	s_waitcnt vmcnt(0)
	s_delay_alu instid0(VALU_DEP_1) | instskip(SKIP_4) | instid1(VALU_DEP_1)
	v_add_f64 v[124:125], v[124:125], v[126:127]
	v_mov_b32_e32 v127, 0x108
	;; [unrolled: 8-line block ×27, first 2 shown]
	scratch_store_b64 v98, v[99:100], off
	scratch_load_b64 v[100:101], v97, off
	v_max_f64 v[98:99], v[62:63], v[62:63]
	v_min_f64 v[98:99], v[98:99], v[129:130]
	s_waitcnt vmcnt(0)
	s_delay_alu instid0(VALU_DEP_1)
	v_add_f64 v[98:99], v[98:99], v[100:101]
	v_mov_b32_e32 v101, 0x1d8
	v_mov_b32_e32 v100, 0x1e0
	scratch_store_b64 v97, v[98:99], off
	v_mov_b32_e32 v99, 0x1e8
	v_mov_b32_e32 v98, 0x1f0
	;; [unrolled: 1-line block ×3, first 2 shown]
	s_cbranch_vccnz .LBB203_43
; %bb.44:                               ;   in Loop: Header=BB203_34 Depth=1
	ds_load_2addr_b64 v[0:3], v93 offset0:1 offset1:17
	ds_load_2addr_b64 v[4:7], v93 offset0:33 offset1:49
	;; [unrolled: 1-line block ×12, first 2 shown]
	v_dual_mov_b32 v127, 8 :: v_dual_add_nc_u32 v64, 8, v94
	ds_load_2addr_b64 v[48:51], v95 offset0:129 offset1:145
	ds_load_2addr_b64 v[52:55], v95 offset0:161 offset1:177
	;; [unrolled: 1-line block ×4, first 2 shown]
	ds_load_2addr_stride64_b64 v[64:67], v64 offset1:4
	v_dual_mov_b32 v128, 0 :: v_dual_mov_b32 v125, 24
	v_dual_mov_b32 v126, 16 :: v_dual_mov_b32 v123, 40
	;; [unrolled: 1-line block ×5, first 2 shown]
	v_mov_b32_e32 v118, 0x50
	v_mov_b32_e32 v116, 0x60
	;; [unrolled: 1-line block ×21, first 2 shown]
	s_mov_b64 s[6:7], 0
	s_mov_b32 s26, -1
.LBB203_45:                             ;   Parent Loop BB203_34 Depth=1
                                        ; =>  This Inner Loop Header: Depth=2
	scratch_load_b64 v[133:134], v128, off
	s_cmp_eq_u32 s6, 1
	s_waitcnt lgkmcnt(16)
	v_max_f64 v[131:132], v[0:1], v[0:1]
	s_cselect_b32 vcc_lo, -1, 0
	s_mov_b64 s[6:7], 1
	s_waitcnt lgkmcnt(0)
	v_dual_cndmask_b32 v130, v65, v67 :: v_dual_cndmask_b32 v129, v64, v66
	s_and_b32 vcc_lo, exec_lo, s26
	s_mov_b32 s26, 0
	s_delay_alu instid0(VALU_DEP_1) | instskip(NEXT) | instid1(VALU_DEP_1)
	v_max_f64 v[129:130], v[129:130], v[129:130]
	v_min_f64 v[131:132], v[131:132], v[129:130]
	s_waitcnt vmcnt(0)
	s_delay_alu instid0(VALU_DEP_1) | instskip(SKIP_3) | instid1(VALU_DEP_1)
	v_add_f64 v[131:132], v[133:134], v[131:132]
	scratch_load_b64 v[133:134], v127, off
	scratch_store_b64 v128, v[131:132], off
	v_max_f64 v[131:132], v[2:3], v[2:3]
	v_min_f64 v[131:132], v[131:132], v[129:130]
	s_waitcnt vmcnt(0)
	s_delay_alu instid0(VALU_DEP_1) | instskip(SKIP_3) | instid1(VALU_DEP_1)
	v_add_f64 v[131:132], v[131:132], v[133:134]
	scratch_store_b64 v127, v[131:132], off
	scratch_load_b64 v[131:132], v126, off
	v_max_f64 v[127:128], v[4:5], v[4:5]
	v_min_f64 v[127:128], v[127:128], v[129:130]
	s_waitcnt vmcnt(0)
	s_delay_alu instid0(VALU_DEP_1) | instskip(SKIP_3) | instid1(VALU_DEP_1)
	v_add_f64 v[127:128], v[127:128], v[131:132]
	scratch_load_b64 v[131:132], v125, off
	scratch_store_b64 v126, v[127:128], off
	v_max_f64 v[126:127], v[6:7], v[6:7]
	v_min_f64 v[126:127], v[126:127], v[129:130]
	s_waitcnt vmcnt(0)
	s_delay_alu instid0(VALU_DEP_1) | instskip(SKIP_3) | instid1(VALU_DEP_1)
	v_add_f64 v[126:127], v[126:127], v[131:132]
	scratch_store_b64 v125, v[126:127], off
	scratch_load_b64 v[127:128], v124, off
	v_max_f64 v[125:126], v[8:9], v[8:9]
	v_min_f64 v[125:126], v[125:126], v[129:130]
	s_waitcnt vmcnt(0)
	s_delay_alu instid0(VALU_DEP_1) | instskip(SKIP_4) | instid1(VALU_DEP_1)
	v_add_f64 v[125:126], v[125:126], v[127:128]
	v_mov_b32_e32 v128, 0x100
	scratch_store_b64 v124, v[125:126], off
	scratch_load_b64 v[126:127], v123, off
	v_max_f64 v[124:125], v[10:11], v[10:11]
	v_min_f64 v[124:125], v[124:125], v[129:130]
	s_waitcnt vmcnt(0)
	s_delay_alu instid0(VALU_DEP_1) | instskip(SKIP_4) | instid1(VALU_DEP_1)
	v_add_f64 v[124:125], v[124:125], v[126:127]
	v_mov_b32_e32 v127, 0x108
	scratch_store_b64 v123, v[124:125], off
	scratch_load_b64 v[125:126], v122, off
	v_max_f64 v[123:124], v[12:13], v[12:13]
	v_min_f64 v[123:124], v[123:124], v[129:130]
	s_waitcnt vmcnt(0)
	s_delay_alu instid0(VALU_DEP_1) | instskip(SKIP_4) | instid1(VALU_DEP_1)
	v_add_f64 v[123:124], v[123:124], v[125:126]
	v_mov_b32_e32 v126, 0x110
	scratch_store_b64 v122, v[123:124], off
	scratch_load_b64 v[124:125], v121, off
	v_max_f64 v[122:123], v[14:15], v[14:15]
	v_min_f64 v[122:123], v[122:123], v[129:130]
	s_waitcnt vmcnt(0)
	s_delay_alu instid0(VALU_DEP_1) | instskip(SKIP_4) | instid1(VALU_DEP_1)
	v_add_f64 v[122:123], v[122:123], v[124:125]
	v_mov_b32_e32 v125, 0x118
	scratch_store_b64 v121, v[122:123], off
	scratch_load_b64 v[123:124], v120, off
	v_max_f64 v[121:122], v[16:17], v[16:17]
	v_min_f64 v[121:122], v[121:122], v[129:130]
	s_waitcnt vmcnt(0)
	s_delay_alu instid0(VALU_DEP_1) | instskip(SKIP_4) | instid1(VALU_DEP_1)
	v_add_f64 v[121:122], v[121:122], v[123:124]
	v_mov_b32_e32 v124, 0x120
	scratch_store_b64 v120, v[121:122], off
	scratch_load_b64 v[122:123], v119, off
	v_max_f64 v[120:121], v[18:19], v[18:19]
	v_min_f64 v[120:121], v[120:121], v[129:130]
	s_waitcnt vmcnt(0)
	s_delay_alu instid0(VALU_DEP_1) | instskip(SKIP_4) | instid1(VALU_DEP_1)
	v_add_f64 v[120:121], v[120:121], v[122:123]
	v_mov_b32_e32 v123, 0x128
	scratch_store_b64 v119, v[120:121], off
	scratch_load_b64 v[121:122], v118, off
	v_max_f64 v[119:120], v[20:21], v[20:21]
	v_min_f64 v[119:120], v[119:120], v[129:130]
	s_waitcnt vmcnt(0)
	s_delay_alu instid0(VALU_DEP_1) | instskip(SKIP_4) | instid1(VALU_DEP_1)
	v_add_f64 v[119:120], v[119:120], v[121:122]
	v_mov_b32_e32 v122, 0x130
	scratch_store_b64 v118, v[119:120], off
	scratch_load_b64 v[120:121], v117, off
	v_max_f64 v[118:119], v[22:23], v[22:23]
	v_min_f64 v[118:119], v[118:119], v[129:130]
	s_waitcnt vmcnt(0)
	s_delay_alu instid0(VALU_DEP_1) | instskip(SKIP_4) | instid1(VALU_DEP_1)
	v_add_f64 v[118:119], v[118:119], v[120:121]
	v_mov_b32_e32 v121, 0x138
	scratch_store_b64 v117, v[118:119], off
	scratch_load_b64 v[119:120], v116, off
	v_max_f64 v[117:118], v[24:25], v[24:25]
	v_min_f64 v[117:118], v[117:118], v[129:130]
	s_waitcnt vmcnt(0)
	s_delay_alu instid0(VALU_DEP_1) | instskip(SKIP_4) | instid1(VALU_DEP_1)
	v_add_f64 v[117:118], v[117:118], v[119:120]
	v_mov_b32_e32 v120, 0x140
	scratch_store_b64 v116, v[117:118], off
	scratch_load_b64 v[118:119], v115, off
	v_max_f64 v[116:117], v[26:27], v[26:27]
	v_min_f64 v[116:117], v[116:117], v[129:130]
	s_waitcnt vmcnt(0)
	s_delay_alu instid0(VALU_DEP_1) | instskip(SKIP_4) | instid1(VALU_DEP_1)
	v_add_f64 v[116:117], v[116:117], v[118:119]
	v_mov_b32_e32 v119, 0x148
	scratch_store_b64 v115, v[116:117], off
	scratch_load_b64 v[117:118], v114, off
	v_max_f64 v[115:116], v[28:29], v[28:29]
	v_min_f64 v[115:116], v[115:116], v[129:130]
	s_waitcnt vmcnt(0)
	s_delay_alu instid0(VALU_DEP_1) | instskip(SKIP_4) | instid1(VALU_DEP_1)
	v_add_f64 v[115:116], v[115:116], v[117:118]
	v_mov_b32_e32 v118, 0x150
	scratch_store_b64 v114, v[115:116], off
	scratch_load_b64 v[116:117], v113, off
	v_max_f64 v[114:115], v[30:31], v[30:31]
	v_min_f64 v[114:115], v[114:115], v[129:130]
	s_waitcnt vmcnt(0)
	s_delay_alu instid0(VALU_DEP_1) | instskip(SKIP_4) | instid1(VALU_DEP_1)
	v_add_f64 v[114:115], v[114:115], v[116:117]
	v_mov_b32_e32 v117, 0x158
	scratch_store_b64 v113, v[114:115], off
	scratch_load_b64 v[115:116], v112, off
	v_max_f64 v[113:114], v[32:33], v[32:33]
	v_min_f64 v[113:114], v[113:114], v[129:130]
	s_waitcnt vmcnt(0)
	s_delay_alu instid0(VALU_DEP_1) | instskip(SKIP_4) | instid1(VALU_DEP_1)
	v_add_f64 v[113:114], v[113:114], v[115:116]
	v_mov_b32_e32 v116, 0x160
	scratch_store_b64 v112, v[113:114], off
	scratch_load_b64 v[114:115], v111, off
	v_max_f64 v[112:113], v[34:35], v[34:35]
	v_min_f64 v[112:113], v[112:113], v[129:130]
	s_waitcnt vmcnt(0)
	s_delay_alu instid0(VALU_DEP_1) | instskip(SKIP_4) | instid1(VALU_DEP_1)
	v_add_f64 v[112:113], v[112:113], v[114:115]
	v_mov_b32_e32 v115, 0x168
	scratch_store_b64 v111, v[112:113], off
	scratch_load_b64 v[113:114], v110, off
	v_max_f64 v[111:112], v[36:37], v[36:37]
	v_min_f64 v[111:112], v[111:112], v[129:130]
	s_waitcnt vmcnt(0)
	s_delay_alu instid0(VALU_DEP_1) | instskip(SKIP_4) | instid1(VALU_DEP_1)
	v_add_f64 v[111:112], v[111:112], v[113:114]
	v_mov_b32_e32 v114, 0x170
	scratch_store_b64 v110, v[111:112], off
	scratch_load_b64 v[112:113], v109, off
	v_max_f64 v[110:111], v[38:39], v[38:39]
	v_min_f64 v[110:111], v[110:111], v[129:130]
	s_waitcnt vmcnt(0)
	s_delay_alu instid0(VALU_DEP_1) | instskip(SKIP_4) | instid1(VALU_DEP_1)
	v_add_f64 v[110:111], v[110:111], v[112:113]
	v_mov_b32_e32 v113, 0x178
	scratch_store_b64 v109, v[110:111], off
	scratch_load_b64 v[111:112], v108, off
	v_max_f64 v[109:110], v[40:41], v[40:41]
	v_min_f64 v[109:110], v[109:110], v[129:130]
	s_waitcnt vmcnt(0)
	s_delay_alu instid0(VALU_DEP_1) | instskip(SKIP_4) | instid1(VALU_DEP_1)
	v_add_f64 v[109:110], v[109:110], v[111:112]
	v_mov_b32_e32 v112, 0x180
	scratch_store_b64 v108, v[109:110], off
	scratch_load_b64 v[110:111], v107, off
	v_max_f64 v[108:109], v[42:43], v[42:43]
	v_min_f64 v[108:109], v[108:109], v[129:130]
	s_waitcnt vmcnt(0)
	s_delay_alu instid0(VALU_DEP_1) | instskip(SKIP_4) | instid1(VALU_DEP_1)
	v_add_f64 v[108:109], v[108:109], v[110:111]
	v_mov_b32_e32 v111, 0x188
	scratch_store_b64 v107, v[108:109], off
	scratch_load_b64 v[109:110], v106, off
	v_max_f64 v[107:108], v[44:45], v[44:45]
	v_min_f64 v[107:108], v[107:108], v[129:130]
	s_waitcnt vmcnt(0)
	s_delay_alu instid0(VALU_DEP_1) | instskip(SKIP_4) | instid1(VALU_DEP_1)
	v_add_f64 v[107:108], v[107:108], v[109:110]
	v_mov_b32_e32 v110, 0x190
	scratch_store_b64 v106, v[107:108], off
	scratch_load_b64 v[108:109], v105, off
	v_max_f64 v[106:107], v[46:47], v[46:47]
	v_min_f64 v[106:107], v[106:107], v[129:130]
	s_waitcnt vmcnt(0)
	s_delay_alu instid0(VALU_DEP_1) | instskip(SKIP_4) | instid1(VALU_DEP_1)
	v_add_f64 v[106:107], v[106:107], v[108:109]
	v_mov_b32_e32 v109, 0x198
	scratch_store_b64 v105, v[106:107], off
	scratch_load_b64 v[107:108], v104, off
	v_max_f64 v[105:106], v[48:49], v[48:49]
	v_min_f64 v[105:106], v[105:106], v[129:130]
	s_waitcnt vmcnt(0)
	s_delay_alu instid0(VALU_DEP_1) | instskip(SKIP_4) | instid1(VALU_DEP_1)
	v_add_f64 v[105:106], v[105:106], v[107:108]
	v_mov_b32_e32 v108, 0x1a0
	scratch_store_b64 v104, v[105:106], off
	scratch_load_b64 v[106:107], v103, off
	v_max_f64 v[104:105], v[50:51], v[50:51]
	v_min_f64 v[104:105], v[104:105], v[129:130]
	s_waitcnt vmcnt(0)
	s_delay_alu instid0(VALU_DEP_1) | instskip(SKIP_4) | instid1(VALU_DEP_1)
	v_add_f64 v[104:105], v[104:105], v[106:107]
	v_mov_b32_e32 v107, 0x1a8
	scratch_store_b64 v103, v[104:105], off
	scratch_load_b64 v[105:106], v102, off
	v_max_f64 v[103:104], v[52:53], v[52:53]
	v_min_f64 v[103:104], v[103:104], v[129:130]
	s_waitcnt vmcnt(0)
	s_delay_alu instid0(VALU_DEP_1) | instskip(SKIP_4) | instid1(VALU_DEP_1)
	v_add_f64 v[103:104], v[103:104], v[105:106]
	v_mov_b32_e32 v106, 0x1b0
	scratch_store_b64 v102, v[103:104], off
	scratch_load_b64 v[104:105], v101, off
	v_max_f64 v[102:103], v[54:55], v[54:55]
	v_min_f64 v[102:103], v[102:103], v[129:130]
	s_waitcnt vmcnt(0)
	s_delay_alu instid0(VALU_DEP_1) | instskip(SKIP_4) | instid1(VALU_DEP_1)
	v_add_f64 v[102:103], v[102:103], v[104:105]
	v_mov_b32_e32 v105, 0x1b8
	scratch_store_b64 v101, v[102:103], off
	scratch_load_b64 v[103:104], v100, off
	v_max_f64 v[101:102], v[56:57], v[56:57]
	v_min_f64 v[101:102], v[101:102], v[129:130]
	s_waitcnt vmcnt(0)
	s_delay_alu instid0(VALU_DEP_1) | instskip(SKIP_4) | instid1(VALU_DEP_1)
	v_add_f64 v[101:102], v[101:102], v[103:104]
	v_mov_b32_e32 v104, 0x1c0
	scratch_store_b64 v100, v[101:102], off
	scratch_load_b64 v[102:103], v99, off
	v_max_f64 v[100:101], v[58:59], v[58:59]
	v_min_f64 v[100:101], v[100:101], v[129:130]
	s_waitcnt vmcnt(0)
	s_delay_alu instid0(VALU_DEP_1) | instskip(SKIP_4) | instid1(VALU_DEP_1)
	v_add_f64 v[100:101], v[100:101], v[102:103]
	v_mov_b32_e32 v103, 0x1c8
	scratch_store_b64 v99, v[100:101], off
	scratch_load_b64 v[101:102], v98, off
	v_max_f64 v[99:100], v[60:61], v[60:61]
	v_min_f64 v[99:100], v[99:100], v[129:130]
	s_waitcnt vmcnt(0)
	s_delay_alu instid0(VALU_DEP_1) | instskip(SKIP_4) | instid1(VALU_DEP_1)
	v_add_f64 v[99:100], v[99:100], v[101:102]
	v_mov_b32_e32 v102, 0x1d0
	scratch_store_b64 v98, v[99:100], off
	scratch_load_b64 v[100:101], v97, off
	v_max_f64 v[98:99], v[62:63], v[62:63]
	v_min_f64 v[98:99], v[98:99], v[129:130]
	s_waitcnt vmcnt(0)
	s_delay_alu instid0(VALU_DEP_1)
	v_add_f64 v[98:99], v[98:99], v[100:101]
	v_mov_b32_e32 v101, 0x1d8
	v_mov_b32_e32 v100, 0x1e0
	scratch_store_b64 v97, v[98:99], off
	v_mov_b32_e32 v99, 0x1e8
	v_mov_b32_e32 v98, 0x1f0
	;; [unrolled: 1-line block ×3, first 2 shown]
	s_cbranch_vccnz .LBB203_45
; %bb.46:                               ;   in Loop: Header=BB203_34 Depth=1
	ds_load_2addr_b64 v[0:3], v93 offset0:2 offset1:18
	ds_load_2addr_b64 v[4:7], v93 offset0:34 offset1:50
	;; [unrolled: 1-line block ×12, first 2 shown]
	v_dual_mov_b32 v127, 8 :: v_dual_add_nc_u32 v64, 16, v94
	ds_load_2addr_b64 v[48:51], v95 offset0:130 offset1:146
	ds_load_2addr_b64 v[52:55], v95 offset0:162 offset1:178
	ds_load_2addr_b64 v[56:59], v95 offset0:194 offset1:210
	ds_load_2addr_b64 v[60:63], v95 offset0:226 offset1:242
	ds_load_2addr_stride64_b64 v[64:67], v64 offset1:4
	v_dual_mov_b32 v128, 0 :: v_dual_mov_b32 v125, 24
	v_dual_mov_b32 v126, 16 :: v_dual_mov_b32 v123, 40
	;; [unrolled: 1-line block ×5, first 2 shown]
	v_mov_b32_e32 v118, 0x50
	v_mov_b32_e32 v116, 0x60
	;; [unrolled: 1-line block ×21, first 2 shown]
	s_mov_b64 s[6:7], 0
	s_mov_b32 s26, -1
.LBB203_47:                             ;   Parent Loop BB203_34 Depth=1
                                        ; =>  This Inner Loop Header: Depth=2
	scratch_load_b64 v[133:134], v128, off
	s_cmp_eq_u32 s6, 1
	s_waitcnt lgkmcnt(16)
	v_max_f64 v[131:132], v[0:1], v[0:1]
	s_cselect_b32 vcc_lo, -1, 0
	s_mov_b64 s[6:7], 1
	s_waitcnt lgkmcnt(0)
	v_dual_cndmask_b32 v130, v65, v67 :: v_dual_cndmask_b32 v129, v64, v66
	s_and_b32 vcc_lo, exec_lo, s26
	s_mov_b32 s26, 0
	s_delay_alu instid0(VALU_DEP_1) | instskip(NEXT) | instid1(VALU_DEP_1)
	v_max_f64 v[129:130], v[129:130], v[129:130]
	v_min_f64 v[131:132], v[131:132], v[129:130]
	s_waitcnt vmcnt(0)
	s_delay_alu instid0(VALU_DEP_1) | instskip(SKIP_3) | instid1(VALU_DEP_1)
	v_add_f64 v[131:132], v[133:134], v[131:132]
	scratch_load_b64 v[133:134], v127, off
	scratch_store_b64 v128, v[131:132], off
	v_max_f64 v[131:132], v[2:3], v[2:3]
	v_min_f64 v[131:132], v[131:132], v[129:130]
	s_waitcnt vmcnt(0)
	s_delay_alu instid0(VALU_DEP_1) | instskip(SKIP_3) | instid1(VALU_DEP_1)
	v_add_f64 v[131:132], v[131:132], v[133:134]
	scratch_store_b64 v127, v[131:132], off
	scratch_load_b64 v[131:132], v126, off
	v_max_f64 v[127:128], v[4:5], v[4:5]
	v_min_f64 v[127:128], v[127:128], v[129:130]
	s_waitcnt vmcnt(0)
	s_delay_alu instid0(VALU_DEP_1) | instskip(SKIP_3) | instid1(VALU_DEP_1)
	v_add_f64 v[127:128], v[127:128], v[131:132]
	scratch_load_b64 v[131:132], v125, off
	scratch_store_b64 v126, v[127:128], off
	v_max_f64 v[126:127], v[6:7], v[6:7]
	v_min_f64 v[126:127], v[126:127], v[129:130]
	s_waitcnt vmcnt(0)
	s_delay_alu instid0(VALU_DEP_1) | instskip(SKIP_3) | instid1(VALU_DEP_1)
	v_add_f64 v[126:127], v[126:127], v[131:132]
	scratch_store_b64 v125, v[126:127], off
	scratch_load_b64 v[127:128], v124, off
	v_max_f64 v[125:126], v[8:9], v[8:9]
	v_min_f64 v[125:126], v[125:126], v[129:130]
	s_waitcnt vmcnt(0)
	s_delay_alu instid0(VALU_DEP_1) | instskip(SKIP_4) | instid1(VALU_DEP_1)
	v_add_f64 v[125:126], v[125:126], v[127:128]
	v_mov_b32_e32 v128, 0x100
	scratch_store_b64 v124, v[125:126], off
	scratch_load_b64 v[126:127], v123, off
	v_max_f64 v[124:125], v[10:11], v[10:11]
	v_min_f64 v[124:125], v[124:125], v[129:130]
	s_waitcnt vmcnt(0)
	s_delay_alu instid0(VALU_DEP_1) | instskip(SKIP_4) | instid1(VALU_DEP_1)
	v_add_f64 v[124:125], v[124:125], v[126:127]
	v_mov_b32_e32 v127, 0x108
	;; [unrolled: 8-line block ×27, first 2 shown]
	scratch_store_b64 v98, v[99:100], off
	scratch_load_b64 v[100:101], v97, off
	v_max_f64 v[98:99], v[62:63], v[62:63]
	v_min_f64 v[98:99], v[98:99], v[129:130]
	s_waitcnt vmcnt(0)
	s_delay_alu instid0(VALU_DEP_1)
	v_add_f64 v[98:99], v[98:99], v[100:101]
	v_mov_b32_e32 v101, 0x1d8
	v_mov_b32_e32 v100, 0x1e0
	scratch_store_b64 v97, v[98:99], off
	v_mov_b32_e32 v99, 0x1e8
	v_mov_b32_e32 v98, 0x1f0
	;; [unrolled: 1-line block ×3, first 2 shown]
	s_cbranch_vccnz .LBB203_47
; %bb.48:                               ;   in Loop: Header=BB203_34 Depth=1
	ds_load_2addr_b64 v[0:3], v93 offset0:3 offset1:19
	ds_load_2addr_b64 v[4:7], v93 offset0:35 offset1:51
	;; [unrolled: 1-line block ×12, first 2 shown]
	v_dual_mov_b32 v127, 8 :: v_dual_add_nc_u32 v64, 24, v94
	ds_load_2addr_b64 v[48:51], v95 offset0:131 offset1:147
	ds_load_2addr_b64 v[52:55], v95 offset0:163 offset1:179
	;; [unrolled: 1-line block ×4, first 2 shown]
	ds_load_2addr_stride64_b64 v[64:67], v64 offset1:4
	v_dual_mov_b32 v128, 0 :: v_dual_mov_b32 v125, 24
	v_dual_mov_b32 v126, 16 :: v_dual_mov_b32 v123, 40
	;; [unrolled: 1-line block ×5, first 2 shown]
	v_mov_b32_e32 v118, 0x50
	v_mov_b32_e32 v116, 0x60
	;; [unrolled: 1-line block ×21, first 2 shown]
	s_mov_b64 s[6:7], 0
	s_mov_b32 s26, -1
.LBB203_49:                             ;   Parent Loop BB203_34 Depth=1
                                        ; =>  This Inner Loop Header: Depth=2
	scratch_load_b64 v[133:134], v128, off
	s_cmp_eq_u32 s6, 1
	s_waitcnt lgkmcnt(16)
	v_max_f64 v[131:132], v[0:1], v[0:1]
	s_cselect_b32 vcc_lo, -1, 0
	s_mov_b64 s[6:7], 1
	s_waitcnt lgkmcnt(0)
	v_dual_cndmask_b32 v130, v65, v67 :: v_dual_cndmask_b32 v129, v64, v66
	s_and_b32 vcc_lo, exec_lo, s26
	s_mov_b32 s26, 0
	s_delay_alu instid0(VALU_DEP_1) | instskip(NEXT) | instid1(VALU_DEP_1)
	v_max_f64 v[129:130], v[129:130], v[129:130]
	v_min_f64 v[131:132], v[131:132], v[129:130]
	s_waitcnt vmcnt(0)
	s_delay_alu instid0(VALU_DEP_1) | instskip(SKIP_3) | instid1(VALU_DEP_1)
	v_add_f64 v[131:132], v[133:134], v[131:132]
	scratch_load_b64 v[133:134], v127, off
	scratch_store_b64 v128, v[131:132], off
	v_max_f64 v[131:132], v[2:3], v[2:3]
	v_min_f64 v[131:132], v[131:132], v[129:130]
	s_waitcnt vmcnt(0)
	s_delay_alu instid0(VALU_DEP_1) | instskip(SKIP_3) | instid1(VALU_DEP_1)
	v_add_f64 v[131:132], v[131:132], v[133:134]
	scratch_store_b64 v127, v[131:132], off
	scratch_load_b64 v[131:132], v126, off
	v_max_f64 v[127:128], v[4:5], v[4:5]
	v_min_f64 v[127:128], v[127:128], v[129:130]
	s_waitcnt vmcnt(0)
	s_delay_alu instid0(VALU_DEP_1) | instskip(SKIP_3) | instid1(VALU_DEP_1)
	v_add_f64 v[127:128], v[127:128], v[131:132]
	scratch_load_b64 v[131:132], v125, off
	scratch_store_b64 v126, v[127:128], off
	v_max_f64 v[126:127], v[6:7], v[6:7]
	v_min_f64 v[126:127], v[126:127], v[129:130]
	s_waitcnt vmcnt(0)
	s_delay_alu instid0(VALU_DEP_1) | instskip(SKIP_3) | instid1(VALU_DEP_1)
	v_add_f64 v[126:127], v[126:127], v[131:132]
	scratch_store_b64 v125, v[126:127], off
	scratch_load_b64 v[127:128], v124, off
	v_max_f64 v[125:126], v[8:9], v[8:9]
	v_min_f64 v[125:126], v[125:126], v[129:130]
	s_waitcnt vmcnt(0)
	s_delay_alu instid0(VALU_DEP_1) | instskip(SKIP_4) | instid1(VALU_DEP_1)
	v_add_f64 v[125:126], v[125:126], v[127:128]
	v_mov_b32_e32 v128, 0x100
	scratch_store_b64 v124, v[125:126], off
	scratch_load_b64 v[126:127], v123, off
	v_max_f64 v[124:125], v[10:11], v[10:11]
	v_min_f64 v[124:125], v[124:125], v[129:130]
	s_waitcnt vmcnt(0)
	s_delay_alu instid0(VALU_DEP_1) | instskip(SKIP_4) | instid1(VALU_DEP_1)
	v_add_f64 v[124:125], v[124:125], v[126:127]
	v_mov_b32_e32 v127, 0x108
	;; [unrolled: 8-line block ×27, first 2 shown]
	scratch_store_b64 v98, v[99:100], off
	scratch_load_b64 v[100:101], v97, off
	v_max_f64 v[98:99], v[62:63], v[62:63]
	v_min_f64 v[98:99], v[98:99], v[129:130]
	s_waitcnt vmcnt(0)
	s_delay_alu instid0(VALU_DEP_1)
	v_add_f64 v[98:99], v[98:99], v[100:101]
	v_mov_b32_e32 v101, 0x1d8
	v_mov_b32_e32 v100, 0x1e0
	scratch_store_b64 v97, v[98:99], off
	v_mov_b32_e32 v99, 0x1e8
	v_mov_b32_e32 v98, 0x1f0
	;; [unrolled: 1-line block ×3, first 2 shown]
	s_cbranch_vccnz .LBB203_49
; %bb.50:                               ;   in Loop: Header=BB203_34 Depth=1
	v_or_b32_e32 v2, 4, v96
	ds_store_2addr_stride64_b64 v87, v[76:77], v[74:75] offset1:4
	v_mov_b32_e32 v74, 0
	v_mov_b32_e32 v75, 0
	ds_store_2addr_stride64_b64 v89, v[80:81], v[78:79] offset1:4
	v_min_i32_e32 v0, s14, v2
	v_cmp_le_i32_e32 vcc_lo, s42, v2
	s_waitcnt lgkmcnt(0)
	s_waitcnt_vscnt null, 0x0
	v_dual_mov_b32 v77, v75 :: v_dual_mov_b32 v76, v74
	v_ashrrev_i32_e32 v1, 31, v0
	s_or_b32 s7, s2, vcc_lo
	s_barrier
	buffer_gl0_inv
	v_lshlrev_b64 v[0:1], 3, v[0:1]
	s_delay_alu instid0(VALU_DEP_1) | instskip(NEXT) | instid1(VALU_DEP_1)
	v_add_co_u32 v0, s6, s12, v0
	v_add_co_ci_u32_e64 v1, s6, s13, v1, s6
	s_or_b32 s6, s21, s7
	s_delay_alu instid0(SALU_CYCLE_1) | instskip(NEXT) | instid1(SALU_CYCLE_1)
	s_xor_b32 s6, s6, -1
	s_and_saveexec_b32 s7, s6
	s_delay_alu instid0(SALU_CYCLE_1)
	s_xor_b32 s7, exec_lo, s7
	s_cbranch_execz .LBB203_52
; %bb.51:                               ;   in Loop: Header=BB203_34 Depth=1
	v_add_co_u32 v2, s6, v0, v68
	s_delay_alu instid0(VALU_DEP_1)
	v_add_co_ci_u32_e64 v3, s6, v1, v69, s6
	flat_load_b64 v[2:3], v[2:3]
	s_waitcnt vmcnt(0) lgkmcnt(0)
	v_mul_f64 v[76:77], v[2:3], s[16:17]
.LBB203_52:                             ;   in Loop: Header=BB203_34 Depth=1
	s_or_b32 exec_lo, exec_lo, s7
	s_or_b32 s6, s3, vcc_lo
	s_delay_alu instid0(SALU_CYCLE_1) | instskip(NEXT) | instid1(SALU_CYCLE_1)
	s_or_b32 s6, s21, s6
	s_xor_b32 s7, s6, -1
	s_delay_alu instid0(SALU_CYCLE_1)
	s_and_saveexec_b32 s6, s7
	s_cbranch_execz .LBB203_54
; %bb.53:                               ;   in Loop: Header=BB203_34 Depth=1
	v_add_co_u32 v0, vcc_lo, v0, v70
	v_add_co_ci_u32_e32 v1, vcc_lo, v1, v71, vcc_lo
	flat_load_b64 v[0:1], v[0:1]
	s_waitcnt vmcnt(0) lgkmcnt(0)
	v_mul_f64 v[74:75], v[0:1], s[16:17]
.LBB203_54:                             ;   in Loop: Header=BB203_34 Depth=1
	s_or_b32 exec_lo, exec_lo, s6
	v_add3_u32 v2, v85, s23, 4
	v_mov_b32_e32 v78, 0
	v_mov_b32_e32 v79, 0
	s_delay_alu instid0(VALU_DEP_3) | instskip(SKIP_1) | instid1(VALU_DEP_3)
	v_min_i32_e32 v3, s14, v2
	v_cmp_le_i32_e32 vcc_lo, s42, v2
	v_dual_mov_b32 v81, v79 :: v_dual_mov_b32 v80, v78
	s_delay_alu instid0(VALU_DEP_3) | instskip(SKIP_1) | instid1(VALU_DEP_1)
	v_mad_i64_i32 v[0:1], null, v3, s22, 0
	s_or_b32 s7, s4, vcc_lo
	v_lshlrev_b64 v[0:1], 3, v[0:1]
	s_delay_alu instid0(VALU_DEP_1) | instskip(NEXT) | instid1(VALU_DEP_1)
	v_add_co_u32 v0, s6, s18, v0
	v_add_co_ci_u32_e64 v1, s6, s19, v1, s6
	s_or_b32 s6, s21, s7
	s_delay_alu instid0(SALU_CYCLE_1) | instskip(NEXT) | instid1(SALU_CYCLE_1)
	s_xor_b32 s6, s6, -1
	s_and_saveexec_b32 s7, s6
	s_cbranch_execz .LBB203_56
; %bb.55:                               ;   in Loop: Header=BB203_34 Depth=1
	v_add_co_u32 v2, s6, v0, v72
	s_delay_alu instid0(VALU_DEP_1)
	v_add_co_ci_u32_e64 v3, s6, v1, v73, s6
	flat_load_b64 v[2:3], v[2:3]
	s_waitcnt vmcnt(0) lgkmcnt(0)
	v_mul_f64 v[80:81], v[2:3], s[16:17]
.LBB203_56:                             ;   in Loop: Header=BB203_34 Depth=1
	s_or_b32 exec_lo, exec_lo, s7
	s_or_b32 s6, s5, vcc_lo
	s_delay_alu instid0(SALU_CYCLE_1) | instskip(NEXT) | instid1(SALU_CYCLE_1)
	s_or_b32 s6, s21, s6
	s_xor_b32 s7, s6, -1
	s_delay_alu instid0(SALU_CYCLE_1)
	s_and_saveexec_b32 s6, s7
	s_cbranch_execz .LBB203_58
; %bb.57:                               ;   in Loop: Header=BB203_34 Depth=1
	v_add_co_u32 v0, vcc_lo, v0, v72
	v_add_co_ci_u32_e32 v1, vcc_lo, v1, v73, vcc_lo
	flat_load_b64 v[0:1], v[0:1] offset:512
	s_waitcnt vmcnt(0) lgkmcnt(0)
	v_mul_f64 v[78:79], v[0:1], s[16:17]
.LBB203_58:                             ;   in Loop: Header=BB203_34 Depth=1
	s_or_b32 exec_lo, exec_lo, s6
	v_dual_mov_b32 v127, 8 :: v_dual_add_nc_u32 v96, 0x800, v86
	ds_load_2addr_b64 v[0:3], v86 offset1:16
	ds_load_2addr_b64 v[4:7], v86 offset0:32 offset1:48
	ds_load_2addr_b64 v[8:11], v86 offset0:64 offset1:80
	;; [unrolled: 1-line block ×7, first 2 shown]
	ds_load_2addr_b64 v[32:35], v96 offset1:16
	ds_load_2addr_b64 v[36:39], v96 offset0:32 offset1:48
	ds_load_2addr_b64 v[40:43], v96 offset0:64 offset1:80
	;; [unrolled: 1-line block ×7, first 2 shown]
	ds_load_2addr_stride64_b64 v[64:67], v90 offset1:4
	v_dual_mov_b32 v128, 0 :: v_dual_mov_b32 v125, 24
	v_dual_mov_b32 v126, 16 :: v_dual_mov_b32 v123, 40
	;; [unrolled: 1-line block ×5, first 2 shown]
	v_mov_b32_e32 v118, 0x50
	v_mov_b32_e32 v116, 0x60
	;; [unrolled: 1-line block ×21, first 2 shown]
	s_mov_b64 s[6:7], 0
	s_mov_b32 s26, -1
.LBB203_59:                             ;   Parent Loop BB203_34 Depth=1
                                        ; =>  This Inner Loop Header: Depth=2
	scratch_load_b64 v[133:134], v128, off
	s_cmp_eq_u32 s6, 1
	s_waitcnt lgkmcnt(16)
	v_max_f64 v[131:132], v[0:1], v[0:1]
	s_cselect_b32 vcc_lo, -1, 0
	s_mov_b64 s[6:7], 1
	s_waitcnt lgkmcnt(0)
	v_dual_cndmask_b32 v130, v65, v67 :: v_dual_cndmask_b32 v129, v64, v66
	s_and_b32 vcc_lo, exec_lo, s26
	s_mov_b32 s26, 0
	s_delay_alu instid0(VALU_DEP_1) | instskip(NEXT) | instid1(VALU_DEP_1)
	v_max_f64 v[129:130], v[129:130], v[129:130]
	v_min_f64 v[131:132], v[131:132], v[129:130]
	s_waitcnt vmcnt(0)
	s_delay_alu instid0(VALU_DEP_1) | instskip(SKIP_3) | instid1(VALU_DEP_1)
	v_add_f64 v[131:132], v[133:134], v[131:132]
	scratch_load_b64 v[133:134], v127, off
	scratch_store_b64 v128, v[131:132], off
	v_max_f64 v[131:132], v[2:3], v[2:3]
	v_min_f64 v[131:132], v[131:132], v[129:130]
	s_waitcnt vmcnt(0)
	s_delay_alu instid0(VALU_DEP_1) | instskip(SKIP_3) | instid1(VALU_DEP_1)
	v_add_f64 v[131:132], v[131:132], v[133:134]
	scratch_store_b64 v127, v[131:132], off
	scratch_load_b64 v[131:132], v126, off
	v_max_f64 v[127:128], v[4:5], v[4:5]
	v_min_f64 v[127:128], v[127:128], v[129:130]
	s_waitcnt vmcnt(0)
	s_delay_alu instid0(VALU_DEP_1) | instskip(SKIP_3) | instid1(VALU_DEP_1)
	v_add_f64 v[127:128], v[127:128], v[131:132]
	scratch_load_b64 v[131:132], v125, off
	scratch_store_b64 v126, v[127:128], off
	v_max_f64 v[126:127], v[6:7], v[6:7]
	v_min_f64 v[126:127], v[126:127], v[129:130]
	s_waitcnt vmcnt(0)
	s_delay_alu instid0(VALU_DEP_1) | instskip(SKIP_3) | instid1(VALU_DEP_1)
	v_add_f64 v[126:127], v[126:127], v[131:132]
	scratch_store_b64 v125, v[126:127], off
	scratch_load_b64 v[127:128], v124, off
	v_max_f64 v[125:126], v[8:9], v[8:9]
	v_min_f64 v[125:126], v[125:126], v[129:130]
	s_waitcnt vmcnt(0)
	s_delay_alu instid0(VALU_DEP_1) | instskip(SKIP_4) | instid1(VALU_DEP_1)
	v_add_f64 v[125:126], v[125:126], v[127:128]
	v_mov_b32_e32 v128, 0x100
	scratch_store_b64 v124, v[125:126], off
	scratch_load_b64 v[126:127], v123, off
	v_max_f64 v[124:125], v[10:11], v[10:11]
	v_min_f64 v[124:125], v[124:125], v[129:130]
	s_waitcnt vmcnt(0)
	s_delay_alu instid0(VALU_DEP_1) | instskip(SKIP_4) | instid1(VALU_DEP_1)
	v_add_f64 v[124:125], v[124:125], v[126:127]
	v_mov_b32_e32 v127, 0x108
	;; [unrolled: 8-line block ×27, first 2 shown]
	scratch_store_b64 v98, v[99:100], off
	scratch_load_b64 v[100:101], v97, off
	v_max_f64 v[98:99], v[62:63], v[62:63]
	v_min_f64 v[98:99], v[98:99], v[129:130]
	s_waitcnt vmcnt(0)
	s_delay_alu instid0(VALU_DEP_1)
	v_add_f64 v[98:99], v[98:99], v[100:101]
	v_mov_b32_e32 v101, 0x1d8
	v_mov_b32_e32 v100, 0x1e0
	scratch_store_b64 v97, v[98:99], off
	v_mov_b32_e32 v99, 0x1e8
	v_mov_b32_e32 v98, 0x1f0
	;; [unrolled: 1-line block ×3, first 2 shown]
	s_cbranch_vccnz .LBB203_59
; %bb.60:                               ;   in Loop: Header=BB203_34 Depth=1
	ds_load_2addr_b64 v[0:3], v86 offset0:1 offset1:17
	ds_load_2addr_b64 v[4:7], v86 offset0:33 offset1:49
	;; [unrolled: 1-line block ×12, first 2 shown]
	v_dual_mov_b32 v127, 8 :: v_dual_add_nc_u32 v64, 8, v90
	ds_load_2addr_b64 v[48:51], v96 offset0:129 offset1:145
	ds_load_2addr_b64 v[52:55], v96 offset0:161 offset1:177
	;; [unrolled: 1-line block ×4, first 2 shown]
	ds_load_2addr_stride64_b64 v[64:67], v64 offset1:4
	v_dual_mov_b32 v128, 0 :: v_dual_mov_b32 v125, 24
	v_dual_mov_b32 v126, 16 :: v_dual_mov_b32 v123, 40
	;; [unrolled: 1-line block ×5, first 2 shown]
	v_mov_b32_e32 v118, 0x50
	v_mov_b32_e32 v116, 0x60
	v_mov_b32_e32 v115, 0x68
	v_mov_b32_e32 v114, 0x70
	v_mov_b32_e32 v113, 0x78
	v_mov_b32_e32 v112, 0x80
	v_mov_b32_e32 v111, 0x88
	v_mov_b32_e32 v110, 0x90
	v_mov_b32_e32 v109, 0x98
	v_mov_b32_e32 v108, 0xa0
	v_mov_b32_e32 v107, 0xa8
	v_mov_b32_e32 v106, 0xb0
	v_mov_b32_e32 v105, 0xb8
	v_mov_b32_e32 v104, 0xc0
	v_mov_b32_e32 v103, 0xc8
	v_mov_b32_e32 v102, 0xd0
	v_mov_b32_e32 v101, 0xd8
	v_mov_b32_e32 v100, 0xe0
	v_mov_b32_e32 v99, 0xe8
	v_mov_b32_e32 v98, 0xf0
	v_mov_b32_e32 v97, 0xf8
	s_mov_b64 s[6:7], 0
	s_mov_b32 s26, -1
.LBB203_61:                             ;   Parent Loop BB203_34 Depth=1
                                        ; =>  This Inner Loop Header: Depth=2
	scratch_load_b64 v[133:134], v128, off
	s_cmp_eq_u32 s6, 1
	s_waitcnt lgkmcnt(16)
	v_max_f64 v[131:132], v[0:1], v[0:1]
	s_cselect_b32 vcc_lo, -1, 0
	s_mov_b64 s[6:7], 1
	s_waitcnt lgkmcnt(0)
	v_dual_cndmask_b32 v130, v65, v67 :: v_dual_cndmask_b32 v129, v64, v66
	s_and_b32 vcc_lo, exec_lo, s26
	s_mov_b32 s26, 0
	s_delay_alu instid0(VALU_DEP_1) | instskip(NEXT) | instid1(VALU_DEP_1)
	v_max_f64 v[129:130], v[129:130], v[129:130]
	v_min_f64 v[131:132], v[131:132], v[129:130]
	s_waitcnt vmcnt(0)
	s_delay_alu instid0(VALU_DEP_1) | instskip(SKIP_3) | instid1(VALU_DEP_1)
	v_add_f64 v[131:132], v[133:134], v[131:132]
	scratch_load_b64 v[133:134], v127, off
	scratch_store_b64 v128, v[131:132], off
	v_max_f64 v[131:132], v[2:3], v[2:3]
	v_min_f64 v[131:132], v[131:132], v[129:130]
	s_waitcnt vmcnt(0)
	s_delay_alu instid0(VALU_DEP_1) | instskip(SKIP_3) | instid1(VALU_DEP_1)
	v_add_f64 v[131:132], v[131:132], v[133:134]
	scratch_store_b64 v127, v[131:132], off
	scratch_load_b64 v[131:132], v126, off
	v_max_f64 v[127:128], v[4:5], v[4:5]
	v_min_f64 v[127:128], v[127:128], v[129:130]
	s_waitcnt vmcnt(0)
	s_delay_alu instid0(VALU_DEP_1) | instskip(SKIP_3) | instid1(VALU_DEP_1)
	v_add_f64 v[127:128], v[127:128], v[131:132]
	scratch_load_b64 v[131:132], v125, off
	scratch_store_b64 v126, v[127:128], off
	v_max_f64 v[126:127], v[6:7], v[6:7]
	v_min_f64 v[126:127], v[126:127], v[129:130]
	s_waitcnt vmcnt(0)
	s_delay_alu instid0(VALU_DEP_1) | instskip(SKIP_3) | instid1(VALU_DEP_1)
	v_add_f64 v[126:127], v[126:127], v[131:132]
	scratch_store_b64 v125, v[126:127], off
	scratch_load_b64 v[127:128], v124, off
	v_max_f64 v[125:126], v[8:9], v[8:9]
	v_min_f64 v[125:126], v[125:126], v[129:130]
	s_waitcnt vmcnt(0)
	s_delay_alu instid0(VALU_DEP_1) | instskip(SKIP_4) | instid1(VALU_DEP_1)
	v_add_f64 v[125:126], v[125:126], v[127:128]
	v_mov_b32_e32 v128, 0x100
	scratch_store_b64 v124, v[125:126], off
	scratch_load_b64 v[126:127], v123, off
	v_max_f64 v[124:125], v[10:11], v[10:11]
	v_min_f64 v[124:125], v[124:125], v[129:130]
	s_waitcnt vmcnt(0)
	s_delay_alu instid0(VALU_DEP_1) | instskip(SKIP_4) | instid1(VALU_DEP_1)
	v_add_f64 v[124:125], v[124:125], v[126:127]
	v_mov_b32_e32 v127, 0x108
	;; [unrolled: 8-line block ×27, first 2 shown]
	scratch_store_b64 v98, v[99:100], off
	scratch_load_b64 v[100:101], v97, off
	v_max_f64 v[98:99], v[62:63], v[62:63]
	v_min_f64 v[98:99], v[98:99], v[129:130]
	s_waitcnt vmcnt(0)
	s_delay_alu instid0(VALU_DEP_1)
	v_add_f64 v[98:99], v[98:99], v[100:101]
	v_mov_b32_e32 v101, 0x1d8
	v_mov_b32_e32 v100, 0x1e0
	scratch_store_b64 v97, v[98:99], off
	v_mov_b32_e32 v99, 0x1e8
	v_mov_b32_e32 v98, 0x1f0
	;; [unrolled: 1-line block ×3, first 2 shown]
	s_cbranch_vccnz .LBB203_61
; %bb.62:                               ;   in Loop: Header=BB203_34 Depth=1
	ds_load_2addr_b64 v[0:3], v86 offset0:2 offset1:18
	ds_load_2addr_b64 v[4:7], v86 offset0:34 offset1:50
	;; [unrolled: 1-line block ×12, first 2 shown]
	v_dual_mov_b32 v127, 8 :: v_dual_add_nc_u32 v64, 16, v90
	ds_load_2addr_b64 v[48:51], v96 offset0:130 offset1:146
	ds_load_2addr_b64 v[52:55], v96 offset0:162 offset1:178
	;; [unrolled: 1-line block ×4, first 2 shown]
	ds_load_2addr_stride64_b64 v[64:67], v64 offset1:4
	v_dual_mov_b32 v128, 0 :: v_dual_mov_b32 v125, 24
	v_dual_mov_b32 v126, 16 :: v_dual_mov_b32 v123, 40
	;; [unrolled: 1-line block ×5, first 2 shown]
	v_mov_b32_e32 v118, 0x50
	v_mov_b32_e32 v116, 0x60
	;; [unrolled: 1-line block ×21, first 2 shown]
	s_mov_b64 s[6:7], 0
	s_mov_b32 s26, -1
.LBB203_63:                             ;   Parent Loop BB203_34 Depth=1
                                        ; =>  This Inner Loop Header: Depth=2
	scratch_load_b64 v[133:134], v128, off
	s_cmp_eq_u32 s6, 1
	s_waitcnt lgkmcnt(16)
	v_max_f64 v[131:132], v[0:1], v[0:1]
	s_cselect_b32 vcc_lo, -1, 0
	s_mov_b64 s[6:7], 1
	s_waitcnt lgkmcnt(0)
	v_dual_cndmask_b32 v130, v65, v67 :: v_dual_cndmask_b32 v129, v64, v66
	s_and_b32 vcc_lo, exec_lo, s26
	s_mov_b32 s26, 0
	s_delay_alu instid0(VALU_DEP_1) | instskip(NEXT) | instid1(VALU_DEP_1)
	v_max_f64 v[129:130], v[129:130], v[129:130]
	v_min_f64 v[131:132], v[131:132], v[129:130]
	s_waitcnt vmcnt(0)
	s_delay_alu instid0(VALU_DEP_1) | instskip(SKIP_3) | instid1(VALU_DEP_1)
	v_add_f64 v[131:132], v[133:134], v[131:132]
	scratch_load_b64 v[133:134], v127, off
	scratch_store_b64 v128, v[131:132], off
	v_max_f64 v[131:132], v[2:3], v[2:3]
	v_min_f64 v[131:132], v[131:132], v[129:130]
	s_waitcnt vmcnt(0)
	s_delay_alu instid0(VALU_DEP_1) | instskip(SKIP_3) | instid1(VALU_DEP_1)
	v_add_f64 v[131:132], v[131:132], v[133:134]
	scratch_store_b64 v127, v[131:132], off
	scratch_load_b64 v[131:132], v126, off
	v_max_f64 v[127:128], v[4:5], v[4:5]
	v_min_f64 v[127:128], v[127:128], v[129:130]
	s_waitcnt vmcnt(0)
	s_delay_alu instid0(VALU_DEP_1) | instskip(SKIP_3) | instid1(VALU_DEP_1)
	v_add_f64 v[127:128], v[127:128], v[131:132]
	scratch_load_b64 v[131:132], v125, off
	scratch_store_b64 v126, v[127:128], off
	v_max_f64 v[126:127], v[6:7], v[6:7]
	v_min_f64 v[126:127], v[126:127], v[129:130]
	s_waitcnt vmcnt(0)
	s_delay_alu instid0(VALU_DEP_1) | instskip(SKIP_3) | instid1(VALU_DEP_1)
	v_add_f64 v[126:127], v[126:127], v[131:132]
	scratch_store_b64 v125, v[126:127], off
	scratch_load_b64 v[127:128], v124, off
	v_max_f64 v[125:126], v[8:9], v[8:9]
	v_min_f64 v[125:126], v[125:126], v[129:130]
	s_waitcnt vmcnt(0)
	s_delay_alu instid0(VALU_DEP_1) | instskip(SKIP_4) | instid1(VALU_DEP_1)
	v_add_f64 v[125:126], v[125:126], v[127:128]
	v_mov_b32_e32 v128, 0x100
	scratch_store_b64 v124, v[125:126], off
	scratch_load_b64 v[126:127], v123, off
	v_max_f64 v[124:125], v[10:11], v[10:11]
	v_min_f64 v[124:125], v[124:125], v[129:130]
	s_waitcnt vmcnt(0)
	s_delay_alu instid0(VALU_DEP_1) | instskip(SKIP_4) | instid1(VALU_DEP_1)
	v_add_f64 v[124:125], v[124:125], v[126:127]
	v_mov_b32_e32 v127, 0x108
	;; [unrolled: 8-line block ×27, first 2 shown]
	scratch_store_b64 v98, v[99:100], off
	scratch_load_b64 v[100:101], v97, off
	v_max_f64 v[98:99], v[62:63], v[62:63]
	v_min_f64 v[98:99], v[98:99], v[129:130]
	s_waitcnt vmcnt(0)
	s_delay_alu instid0(VALU_DEP_1)
	v_add_f64 v[98:99], v[98:99], v[100:101]
	v_mov_b32_e32 v101, 0x1d8
	v_mov_b32_e32 v100, 0x1e0
	scratch_store_b64 v97, v[98:99], off
	v_mov_b32_e32 v99, 0x1e8
	v_mov_b32_e32 v98, 0x1f0
	;; [unrolled: 1-line block ×3, first 2 shown]
	s_cbranch_vccnz .LBB203_63
; %bb.64:                               ;   in Loop: Header=BB203_34 Depth=1
	ds_load_2addr_b64 v[0:3], v86 offset0:3 offset1:19
	ds_load_2addr_b64 v[4:7], v86 offset0:35 offset1:51
	;; [unrolled: 1-line block ×12, first 2 shown]
	v_dual_mov_b32 v127, 0 :: v_dual_add_nc_u32 v64, 24, v90
	ds_load_2addr_b64 v[48:51], v96 offset0:131 offset1:147
	ds_load_2addr_b64 v[52:55], v96 offset0:163 offset1:179
	;; [unrolled: 1-line block ×4, first 2 shown]
	ds_load_2addr_stride64_b64 v[64:67], v64 offset1:4
	v_dual_mov_b32 v126, 8 :: v_dual_mov_b32 v125, 16
	v_dual_mov_b32 v124, 24 :: v_dual_mov_b32 v123, 32
	;; [unrolled: 1-line block ×4, first 2 shown]
	v_mov_b32_e32 v118, 0x48
	v_mov_b32_e32 v117, 0x50
	;; [unrolled: 1-line block ×23, first 2 shown]
	s_mov_b64 s[6:7], 0
	s_mov_b32 s26, -1
.LBB203_65:                             ;   Parent Loop BB203_34 Depth=1
                                        ; =>  This Inner Loop Header: Depth=2
	scratch_load_b64 v[132:133], v127, off
	s_cmp_eq_u32 s6, 1
	s_waitcnt lgkmcnt(16)
	v_max_f64 v[130:131], v[0:1], v[0:1]
	s_cselect_b32 vcc_lo, -1, 0
	s_mov_b64 s[6:7], 1
	s_waitcnt lgkmcnt(0)
	v_dual_cndmask_b32 v129, v65, v67 :: v_dual_cndmask_b32 v128, v64, v66
	s_and_b32 vcc_lo, exec_lo, s26
	s_mov_b32 s26, 0
	s_delay_alu instid0(VALU_DEP_1) | instskip(NEXT) | instid1(VALU_DEP_1)
	v_max_f64 v[128:129], v[128:129], v[128:129]
	v_min_f64 v[130:131], v[130:131], v[128:129]
	s_waitcnt vmcnt(0)
	s_delay_alu instid0(VALU_DEP_1) | instskip(SKIP_3) | instid1(VALU_DEP_1)
	v_add_f64 v[130:131], v[132:133], v[130:131]
	scratch_load_b64 v[132:133], v126, off
	scratch_store_b64 v127, v[130:131], off
	v_max_f64 v[130:131], v[2:3], v[2:3]
	v_min_f64 v[130:131], v[130:131], v[128:129]
	s_waitcnt vmcnt(0)
	s_delay_alu instid0(VALU_DEP_1) | instskip(SKIP_3) | instid1(VALU_DEP_1)
	v_add_f64 v[130:131], v[130:131], v[132:133]
	scratch_store_b64 v126, v[130:131], off
	scratch_load_b64 v[130:131], v125, off
	v_max_f64 v[126:127], v[4:5], v[4:5]
	v_min_f64 v[126:127], v[126:127], v[128:129]
	s_waitcnt vmcnt(0)
	s_delay_alu instid0(VALU_DEP_1) | instskip(SKIP_3) | instid1(VALU_DEP_1)
	v_add_f64 v[126:127], v[126:127], v[130:131]
	scratch_load_b64 v[130:131], v124, off
	scratch_store_b64 v125, v[126:127], off
	v_max_f64 v[125:126], v[6:7], v[6:7]
	v_min_f64 v[125:126], v[125:126], v[128:129]
	s_waitcnt vmcnt(0)
	s_delay_alu instid0(VALU_DEP_1) | instskip(SKIP_3) | instid1(VALU_DEP_1)
	v_add_f64 v[125:126], v[125:126], v[130:131]
	scratch_store_b64 v124, v[125:126], off
	scratch_load_b64 v[126:127], v123, off
	v_max_f64 v[124:125], v[8:9], v[8:9]
	v_min_f64 v[124:125], v[124:125], v[128:129]
	s_waitcnt vmcnt(0)
	s_delay_alu instid0(VALU_DEP_1) | instskip(SKIP_4) | instid1(VALU_DEP_1)
	v_add_f64 v[124:125], v[124:125], v[126:127]
	v_mov_b32_e32 v127, 0x100
	scratch_store_b64 v123, v[124:125], off
	scratch_load_b64 v[125:126], v122, off
	v_max_f64 v[123:124], v[10:11], v[10:11]
	v_min_f64 v[123:124], v[123:124], v[128:129]
	s_waitcnt vmcnt(0)
	s_delay_alu instid0(VALU_DEP_1) | instskip(SKIP_4) | instid1(VALU_DEP_1)
	v_add_f64 v[123:124], v[123:124], v[125:126]
	v_mov_b32_e32 v126, 0x108
	scratch_store_b64 v122, v[123:124], off
	scratch_load_b64 v[124:125], v121, off
	v_max_f64 v[122:123], v[12:13], v[12:13]
	v_min_f64 v[122:123], v[122:123], v[128:129]
	s_waitcnt vmcnt(0)
	s_delay_alu instid0(VALU_DEP_1) | instskip(SKIP_4) | instid1(VALU_DEP_1)
	v_add_f64 v[122:123], v[122:123], v[124:125]
	v_mov_b32_e32 v125, 0x110
	scratch_store_b64 v121, v[122:123], off
	scratch_load_b64 v[123:124], v120, off
	v_max_f64 v[121:122], v[14:15], v[14:15]
	v_min_f64 v[121:122], v[121:122], v[128:129]
	s_waitcnt vmcnt(0)
	s_delay_alu instid0(VALU_DEP_1) | instskip(SKIP_4) | instid1(VALU_DEP_1)
	v_add_f64 v[121:122], v[121:122], v[123:124]
	v_mov_b32_e32 v124, 0x118
	scratch_store_b64 v120, v[121:122], off
	scratch_load_b64 v[122:123], v119, off
	v_max_f64 v[120:121], v[16:17], v[16:17]
	v_min_f64 v[120:121], v[120:121], v[128:129]
	s_waitcnt vmcnt(0)
	s_delay_alu instid0(VALU_DEP_1) | instskip(SKIP_4) | instid1(VALU_DEP_1)
	v_add_f64 v[120:121], v[120:121], v[122:123]
	v_mov_b32_e32 v123, 0x120
	scratch_store_b64 v119, v[120:121], off
	scratch_load_b64 v[121:122], v118, off
	v_max_f64 v[119:120], v[18:19], v[18:19]
	v_min_f64 v[119:120], v[119:120], v[128:129]
	s_waitcnt vmcnt(0)
	s_delay_alu instid0(VALU_DEP_1) | instskip(SKIP_4) | instid1(VALU_DEP_1)
	v_add_f64 v[119:120], v[119:120], v[121:122]
	v_mov_b32_e32 v122, 0x128
	scratch_store_b64 v118, v[119:120], off
	scratch_load_b64 v[120:121], v117, off
	v_max_f64 v[118:119], v[20:21], v[20:21]
	v_min_f64 v[118:119], v[118:119], v[128:129]
	s_waitcnt vmcnt(0)
	s_delay_alu instid0(VALU_DEP_1) | instskip(SKIP_4) | instid1(VALU_DEP_1)
	v_add_f64 v[118:119], v[118:119], v[120:121]
	v_mov_b32_e32 v121, 0x130
	scratch_store_b64 v117, v[118:119], off
	scratch_load_b64 v[119:120], v116, off
	v_max_f64 v[117:118], v[22:23], v[22:23]
	v_min_f64 v[117:118], v[117:118], v[128:129]
	s_waitcnt vmcnt(0)
	s_delay_alu instid0(VALU_DEP_1) | instskip(SKIP_4) | instid1(VALU_DEP_1)
	v_add_f64 v[117:118], v[117:118], v[119:120]
	v_mov_b32_e32 v120, 0x138
	scratch_store_b64 v116, v[117:118], off
	scratch_load_b64 v[118:119], v115, off
	v_max_f64 v[116:117], v[24:25], v[24:25]
	v_min_f64 v[116:117], v[116:117], v[128:129]
	s_waitcnt vmcnt(0)
	s_delay_alu instid0(VALU_DEP_1) | instskip(SKIP_4) | instid1(VALU_DEP_1)
	v_add_f64 v[116:117], v[116:117], v[118:119]
	v_mov_b32_e32 v119, 0x140
	scratch_store_b64 v115, v[116:117], off
	scratch_load_b64 v[117:118], v114, off
	v_max_f64 v[115:116], v[26:27], v[26:27]
	v_min_f64 v[115:116], v[115:116], v[128:129]
	s_waitcnt vmcnt(0)
	s_delay_alu instid0(VALU_DEP_1) | instskip(SKIP_4) | instid1(VALU_DEP_1)
	v_add_f64 v[115:116], v[115:116], v[117:118]
	v_mov_b32_e32 v118, 0x148
	scratch_store_b64 v114, v[115:116], off
	scratch_load_b64 v[116:117], v113, off
	v_max_f64 v[114:115], v[28:29], v[28:29]
	v_min_f64 v[114:115], v[114:115], v[128:129]
	s_waitcnt vmcnt(0)
	s_delay_alu instid0(VALU_DEP_1) | instskip(SKIP_4) | instid1(VALU_DEP_1)
	v_add_f64 v[114:115], v[114:115], v[116:117]
	v_mov_b32_e32 v117, 0x150
	scratch_store_b64 v113, v[114:115], off
	scratch_load_b64 v[115:116], v112, off
	v_max_f64 v[113:114], v[30:31], v[30:31]
	v_min_f64 v[113:114], v[113:114], v[128:129]
	s_waitcnt vmcnt(0)
	s_delay_alu instid0(VALU_DEP_1) | instskip(SKIP_4) | instid1(VALU_DEP_1)
	v_add_f64 v[113:114], v[113:114], v[115:116]
	v_mov_b32_e32 v116, 0x158
	scratch_store_b64 v112, v[113:114], off
	scratch_load_b64 v[114:115], v111, off
	v_max_f64 v[112:113], v[32:33], v[32:33]
	v_min_f64 v[112:113], v[112:113], v[128:129]
	s_waitcnt vmcnt(0)
	s_delay_alu instid0(VALU_DEP_1) | instskip(SKIP_4) | instid1(VALU_DEP_1)
	v_add_f64 v[112:113], v[112:113], v[114:115]
	v_mov_b32_e32 v115, 0x160
	scratch_store_b64 v111, v[112:113], off
	scratch_load_b64 v[113:114], v110, off
	v_max_f64 v[111:112], v[34:35], v[34:35]
	v_min_f64 v[111:112], v[111:112], v[128:129]
	s_waitcnt vmcnt(0)
	s_delay_alu instid0(VALU_DEP_1) | instskip(SKIP_4) | instid1(VALU_DEP_1)
	v_add_f64 v[111:112], v[111:112], v[113:114]
	v_mov_b32_e32 v114, 0x168
	scratch_store_b64 v110, v[111:112], off
	scratch_load_b64 v[112:113], v109, off
	v_max_f64 v[110:111], v[36:37], v[36:37]
	v_min_f64 v[110:111], v[110:111], v[128:129]
	s_waitcnt vmcnt(0)
	s_delay_alu instid0(VALU_DEP_1) | instskip(SKIP_4) | instid1(VALU_DEP_1)
	v_add_f64 v[110:111], v[110:111], v[112:113]
	v_mov_b32_e32 v113, 0x170
	scratch_store_b64 v109, v[110:111], off
	scratch_load_b64 v[111:112], v108, off
	v_max_f64 v[109:110], v[38:39], v[38:39]
	v_min_f64 v[109:110], v[109:110], v[128:129]
	s_waitcnt vmcnt(0)
	s_delay_alu instid0(VALU_DEP_1) | instskip(SKIP_4) | instid1(VALU_DEP_1)
	v_add_f64 v[109:110], v[109:110], v[111:112]
	v_mov_b32_e32 v112, 0x178
	scratch_store_b64 v108, v[109:110], off
	scratch_load_b64 v[110:111], v107, off
	v_max_f64 v[108:109], v[40:41], v[40:41]
	v_min_f64 v[108:109], v[108:109], v[128:129]
	s_waitcnt vmcnt(0)
	s_delay_alu instid0(VALU_DEP_1) | instskip(SKIP_4) | instid1(VALU_DEP_1)
	v_add_f64 v[108:109], v[108:109], v[110:111]
	v_mov_b32_e32 v111, 0x180
	scratch_store_b64 v107, v[108:109], off
	scratch_load_b64 v[109:110], v106, off
	v_max_f64 v[107:108], v[42:43], v[42:43]
	v_min_f64 v[107:108], v[107:108], v[128:129]
	s_waitcnt vmcnt(0)
	s_delay_alu instid0(VALU_DEP_1) | instskip(SKIP_4) | instid1(VALU_DEP_1)
	v_add_f64 v[107:108], v[107:108], v[109:110]
	v_mov_b32_e32 v110, 0x188
	scratch_store_b64 v106, v[107:108], off
	scratch_load_b64 v[108:109], v105, off
	v_max_f64 v[106:107], v[44:45], v[44:45]
	v_min_f64 v[106:107], v[106:107], v[128:129]
	s_waitcnt vmcnt(0)
	s_delay_alu instid0(VALU_DEP_1) | instskip(SKIP_4) | instid1(VALU_DEP_1)
	v_add_f64 v[106:107], v[106:107], v[108:109]
	v_mov_b32_e32 v109, 0x190
	scratch_store_b64 v105, v[106:107], off
	scratch_load_b64 v[107:108], v104, off
	v_max_f64 v[105:106], v[46:47], v[46:47]
	v_min_f64 v[105:106], v[105:106], v[128:129]
	s_waitcnt vmcnt(0)
	s_delay_alu instid0(VALU_DEP_1) | instskip(SKIP_4) | instid1(VALU_DEP_1)
	v_add_f64 v[105:106], v[105:106], v[107:108]
	v_mov_b32_e32 v108, 0x198
	scratch_store_b64 v104, v[105:106], off
	scratch_load_b64 v[106:107], v103, off
	v_max_f64 v[104:105], v[48:49], v[48:49]
	v_min_f64 v[104:105], v[104:105], v[128:129]
	s_waitcnt vmcnt(0)
	s_delay_alu instid0(VALU_DEP_1) | instskip(SKIP_4) | instid1(VALU_DEP_1)
	v_add_f64 v[104:105], v[104:105], v[106:107]
	v_mov_b32_e32 v107, 0x1a0
	scratch_store_b64 v103, v[104:105], off
	scratch_load_b64 v[105:106], v102, off
	v_max_f64 v[103:104], v[50:51], v[50:51]
	v_min_f64 v[103:104], v[103:104], v[128:129]
	s_waitcnt vmcnt(0)
	s_delay_alu instid0(VALU_DEP_1) | instskip(SKIP_4) | instid1(VALU_DEP_1)
	v_add_f64 v[103:104], v[103:104], v[105:106]
	v_mov_b32_e32 v106, 0x1a8
	scratch_store_b64 v102, v[103:104], off
	scratch_load_b64 v[104:105], v101, off
	v_max_f64 v[102:103], v[52:53], v[52:53]
	v_min_f64 v[102:103], v[102:103], v[128:129]
	s_waitcnt vmcnt(0)
	s_delay_alu instid0(VALU_DEP_1) | instskip(SKIP_4) | instid1(VALU_DEP_1)
	v_add_f64 v[102:103], v[102:103], v[104:105]
	v_mov_b32_e32 v105, 0x1b0
	scratch_store_b64 v101, v[102:103], off
	scratch_load_b64 v[103:104], v100, off
	v_max_f64 v[101:102], v[54:55], v[54:55]
	v_min_f64 v[101:102], v[101:102], v[128:129]
	s_waitcnt vmcnt(0)
	s_delay_alu instid0(VALU_DEP_1) | instskip(SKIP_4) | instid1(VALU_DEP_1)
	v_add_f64 v[101:102], v[101:102], v[103:104]
	v_mov_b32_e32 v104, 0x1b8
	scratch_store_b64 v100, v[101:102], off
	scratch_load_b64 v[102:103], v99, off
	v_max_f64 v[100:101], v[56:57], v[56:57]
	v_min_f64 v[100:101], v[100:101], v[128:129]
	s_waitcnt vmcnt(0)
	s_delay_alu instid0(VALU_DEP_1) | instskip(SKIP_4) | instid1(VALU_DEP_1)
	v_add_f64 v[100:101], v[100:101], v[102:103]
	v_mov_b32_e32 v103, 0x1c0
	scratch_store_b64 v99, v[100:101], off
	scratch_load_b64 v[101:102], v98, off
	v_max_f64 v[99:100], v[58:59], v[58:59]
	v_min_f64 v[99:100], v[99:100], v[128:129]
	s_waitcnt vmcnt(0)
	s_delay_alu instid0(VALU_DEP_1) | instskip(SKIP_4) | instid1(VALU_DEP_1)
	v_add_f64 v[99:100], v[99:100], v[101:102]
	v_mov_b32_e32 v102, 0x1c8
	scratch_store_b64 v98, v[99:100], off
	scratch_load_b64 v[100:101], v97, off
	v_max_f64 v[98:99], v[60:61], v[60:61]
	v_min_f64 v[98:99], v[98:99], v[128:129]
	s_waitcnt vmcnt(0)
	s_delay_alu instid0(VALU_DEP_1) | instskip(SKIP_4) | instid1(VALU_DEP_1)
	v_add_f64 v[98:99], v[98:99], v[100:101]
	v_mov_b32_e32 v101, 0x1d0
	scratch_store_b64 v97, v[98:99], off
	scratch_load_b64 v[99:100], v96, off
	v_max_f64 v[97:98], v[62:63], v[62:63]
	v_min_f64 v[97:98], v[97:98], v[128:129]
	s_waitcnt vmcnt(0)
	s_delay_alu instid0(VALU_DEP_1)
	v_add_f64 v[97:98], v[97:98], v[99:100]
	v_mov_b32_e32 v100, 0x1d8
	v_mov_b32_e32 v99, 0x1e0
	scratch_store_b64 v96, v[97:98], off
	v_mov_b32_e32 v98, 0x1e8
	v_mov_b32_e32 v97, 0x1f0
	v_mov_b32_e32 v96, 0x1f8
	s_cbranch_vccnz .LBB203_65
; %bb.66:                               ;   in Loop: Header=BB203_34 Depth=1
	s_add_i32 s25, s25, 8
	s_add_i32 s23, s23, 8
	s_cmp_ge_i32 s25, s24
	ds_store_2addr_stride64_b64 v91, v[76:77], v[74:75] offset1:4
	ds_store_2addr_stride64_b64 v92, v[80:81], v[78:79] offset1:4
	s_waitcnt lgkmcnt(0)
	s_waitcnt_vscnt null, 0x0
	s_barrier
	buffer_gl0_inv
	s_cbranch_scc0 .LBB203_34
.LBB203_67:
	v_dual_mov_b32 v71, 8 :: v_dual_add_nc_u32 v28, 0x1000, v86
	v_dual_mov_b32 v75, 40 :: v_dual_add_nc_u32 v60, 0x1800, v86
	;; [unrolled: 1-line block ×3, first 2 shown]
	ds_load_2addr_b64 v[0:3], v28 offset1:16
	ds_load_2addr_b64 v[4:7], v28 offset0:32 offset1:48
	ds_load_2addr_b64 v[8:11], v28 offset0:64 offset1:80
	;; [unrolled: 1-line block ×7, first 2 shown]
	ds_load_2addr_b64 v[32:35], v60 offset1:16
	ds_load_2addr_b64 v[36:39], v60 offset0:32 offset1:48
	ds_load_2addr_b64 v[40:43], v60 offset0:64 offset1:80
	;; [unrolled: 1-line block ×7, first 2 shown]
	ds_load_2addr_stride64_b64 v[64:67], v88 offset0:24 offset1:28
	v_dual_mov_b32 v70, 0 :: v_dual_add_nc_u32 v69, 0x3000, v88
	v_dual_mov_b32 v72, 16 :: v_dual_mov_b32 v77, 56
	v_dual_mov_b32 v74, 32 :: v_dual_mov_b32 v79, 0x48
	;; [unrolled: 1-line block ×4, first 2 shown]
	v_mov_b32_e32 v80, 0x50
	v_mov_b32_e32 v84, 0x60
	v_mov_b32_e32 v86, 0x70
	v_mov_b32_e32 v87, 0x78
	v_mov_b32_e32 v88, 0x80
	v_mov_b32_e32 v89, 0x88
	v_mov_b32_e32 v90, 0x90
	v_mov_b32_e32 v91, 0x98
	v_mov_b32_e32 v92, 0xa0
	v_mov_b32_e32 v93, 0xa8
	v_mov_b32_e32 v94, 0xb0
	v_mov_b32_e32 v95, 0xb8
	v_mov_b32_e32 v96, 0xc0
	v_mov_b32_e32 v97, 0xc8
	v_mov_b32_e32 v98, 0xd0
	v_mov_b32_e32 v99, 0xd8
	v_mov_b32_e32 v100, 0xe0
	v_mov_b32_e32 v101, 0xe8
	v_mov_b32_e32 v102, 0xf0
	v_mov_b32_e32 v103, 0xf8
	s_mov_b64 s[2:3], 0
	s_mov_b32 s4, -1
.LBB203_68:                             ; =>This Inner Loop Header: Depth=1
	scratch_load_b64 v[104:105], v70, off
	scratch_load_b64 v[106:107], v71, off
	;; [unrolled: 1-line block ×32, first 2 shown]
	s_cmp_eq_u32 s2, 1
	s_waitcnt lgkmcnt(16)
	v_max_f64 v[170:171], v[0:1], v[0:1]
	s_cselect_b32 vcc_lo, -1, 0
	v_max_f64 v[172:173], v[2:3], v[2:3]
	s_waitcnt lgkmcnt(0)
	v_dual_cndmask_b32 v169, v65, v67 :: v_dual_cndmask_b32 v168, v64, v66
	v_max_f64 v[174:175], v[4:5], v[4:5]
	v_max_f64 v[176:177], v[6:7], v[6:7]
	;; [unrolled: 1-line block ×31, first 2 shown]
	s_mov_b64 s[2:3], 1
	s_and_b32 vcc_lo, exec_lo, s4
	s_mov_b32 s4, 0
	v_min_f64 v[170:171], v[170:171], v[168:169]
	v_min_f64 v[172:173], v[172:173], v[168:169]
	;; [unrolled: 1-line block ×32, first 2 shown]
	s_waitcnt vmcnt(31)
	v_add_f64 v[104:105], v[104:105], v[170:171]
	s_waitcnt vmcnt(30)
	v_add_f64 v[106:107], v[172:173], v[106:107]
	s_waitcnt vmcnt(29)
	v_add_f64 v[108:109], v[174:175], v[108:109]
	s_waitcnt vmcnt(28)
	v_add_f64 v[110:111], v[176:177], v[110:111]
	s_waitcnt vmcnt(27)
	v_add_f64 v[112:113], v[178:179], v[112:113]
	s_waitcnt vmcnt(26)
	v_add_f64 v[114:115], v[180:181], v[114:115]
	s_waitcnt vmcnt(25)
	v_add_f64 v[116:117], v[182:183], v[116:117]
	s_waitcnt vmcnt(24)
	v_add_f64 v[118:119], v[184:185], v[118:119]
	s_waitcnt vmcnt(23)
	v_add_f64 v[120:121], v[186:187], v[120:121]
	s_waitcnt vmcnt(22)
	v_add_f64 v[122:123], v[188:189], v[122:123]
	s_waitcnt vmcnt(21)
	v_add_f64 v[124:125], v[190:191], v[124:125]
	s_waitcnt vmcnt(20)
	v_add_f64 v[126:127], v[192:193], v[126:127]
	s_waitcnt vmcnt(19)
	v_add_f64 v[128:129], v[194:195], v[128:129]
	s_waitcnt vmcnt(18)
	v_add_f64 v[130:131], v[196:197], v[130:131]
	s_waitcnt vmcnt(17)
	v_add_f64 v[132:133], v[198:199], v[132:133]
	s_waitcnt vmcnt(16)
	v_add_f64 v[134:135], v[200:201], v[134:135]
	s_waitcnt vmcnt(15)
	v_add_f64 v[136:137], v[202:203], v[136:137]
	s_waitcnt vmcnt(14)
	v_add_f64 v[138:139], v[204:205], v[138:139]
	s_waitcnt vmcnt(13)
	v_add_f64 v[140:141], v[206:207], v[140:141]
	s_waitcnt vmcnt(12)
	v_add_f64 v[142:143], v[208:209], v[142:143]
	s_waitcnt vmcnt(11)
	v_add_f64 v[144:145], v[210:211], v[144:145]
	s_waitcnt vmcnt(10)
	v_add_f64 v[146:147], v[212:213], v[146:147]
	s_waitcnt vmcnt(9)
	v_add_f64 v[148:149], v[214:215], v[148:149]
	s_waitcnt vmcnt(8)
	v_add_f64 v[150:151], v[216:217], v[150:151]
	s_waitcnt vmcnt(7)
	v_add_f64 v[152:153], v[218:219], v[152:153]
	s_waitcnt vmcnt(6)
	v_add_f64 v[154:155], v[220:221], v[154:155]
	s_waitcnt vmcnt(5)
	v_add_f64 v[156:157], v[222:223], v[156:157]
	s_waitcnt vmcnt(4)
	v_add_f64 v[158:159], v[224:225], v[158:159]
	s_waitcnt vmcnt(3)
	v_add_f64 v[160:161], v[226:227], v[160:161]
	s_waitcnt vmcnt(2)
	v_add_f64 v[162:163], v[228:229], v[162:163]
	s_waitcnt vmcnt(1)
	v_add_f64 v[164:165], v[230:231], v[164:165]
	s_waitcnt vmcnt(0)
	v_add_f64 v[166:167], v[168:169], v[166:167]
	scratch_store_b64 v70, v[104:105], off
	scratch_store_b64 v71, v[106:107], off
	;; [unrolled: 1-line block ×32, first 2 shown]
	v_mov_b32_e32 v70, 0x100
	v_mov_b32_e32 v71, 0x108
	;; [unrolled: 1-line block ×32, first 2 shown]
	s_cbranch_vccnz .LBB203_68
; %bb.69:
	v_dual_mov_b32 v71, 8 :: v_dual_add_nc_u32 v60, 0x800, v68
	ds_load_2addr_b64 v[0:3], v68 offset0:1 offset1:17
	ds_load_2addr_b64 v[4:7], v68 offset0:33 offset1:49
	;; [unrolled: 1-line block ×12, first 2 shown]
	v_dual_mov_b32 v73, 24 :: v_dual_add_nc_u32 v64, 8, v69
	ds_load_2addr_b64 v[48:51], v60 offset0:129 offset1:145
	ds_load_2addr_b64 v[52:55], v60 offset0:161 offset1:177
	;; [unrolled: 1-line block ×4, first 2 shown]
	ds_load_2addr_stride64_b64 v[64:67], v64 offset1:4
	v_dual_mov_b32 v70, 0 :: v_dual_mov_b32 v75, 40
	v_dual_mov_b32 v72, 16 :: v_dual_mov_b32 v77, 56
	;; [unrolled: 1-line block ×5, first 2 shown]
	v_mov_b32_e32 v80, 0x50
	v_mov_b32_e32 v84, 0x60
	;; [unrolled: 1-line block ×20, first 2 shown]
	s_mov_b64 s[2:3], 0
	s_mov_b32 s4, -1
.LBB203_70:                             ; =>This Inner Loop Header: Depth=1
	scratch_load_b64 v[104:105], v70, off
	scratch_load_b64 v[106:107], v71, off
	;; [unrolled: 1-line block ×32, first 2 shown]
	s_cmp_eq_u32 s2, 1
	s_waitcnt lgkmcnt(16)
	v_max_f64 v[170:171], v[0:1], v[0:1]
	s_cselect_b32 vcc_lo, -1, 0
	v_max_f64 v[172:173], v[2:3], v[2:3]
	s_waitcnt lgkmcnt(0)
	v_dual_cndmask_b32 v169, v65, v67 :: v_dual_cndmask_b32 v168, v64, v66
	v_max_f64 v[174:175], v[4:5], v[4:5]
	v_max_f64 v[176:177], v[6:7], v[6:7]
	;; [unrolled: 1-line block ×31, first 2 shown]
	s_mov_b64 s[2:3], 1
	s_and_b32 vcc_lo, exec_lo, s4
	s_mov_b32 s4, 0
	v_min_f64 v[170:171], v[170:171], v[168:169]
	v_min_f64 v[172:173], v[172:173], v[168:169]
	;; [unrolled: 1-line block ×32, first 2 shown]
	s_waitcnt vmcnt(31)
	v_add_f64 v[104:105], v[104:105], v[170:171]
	s_waitcnt vmcnt(30)
	v_add_f64 v[106:107], v[172:173], v[106:107]
	;; [unrolled: 2-line block ×32, first 2 shown]
	scratch_store_b64 v70, v[104:105], off
	scratch_store_b64 v71, v[106:107], off
	;; [unrolled: 1-line block ×32, first 2 shown]
	v_mov_b32_e32 v70, 0x100
	v_mov_b32_e32 v71, 0x108
	;; [unrolled: 1-line block ×32, first 2 shown]
	s_cbranch_vccnz .LBB203_70
; %bb.71:
	v_dual_mov_b32 v71, 8 :: v_dual_add_nc_u32 v60, 0x800, v68
	ds_load_2addr_b64 v[0:3], v68 offset0:2 offset1:18
	ds_load_2addr_b64 v[4:7], v68 offset0:34 offset1:50
	;; [unrolled: 1-line block ×12, first 2 shown]
	v_dual_mov_b32 v73, 24 :: v_dual_add_nc_u32 v64, 16, v69
	ds_load_2addr_b64 v[48:51], v60 offset0:130 offset1:146
	ds_load_2addr_b64 v[52:55], v60 offset0:162 offset1:178
	;; [unrolled: 1-line block ×4, first 2 shown]
	ds_load_2addr_stride64_b64 v[64:67], v64 offset1:4
	v_dual_mov_b32 v70, 0 :: v_dual_mov_b32 v75, 40
	v_dual_mov_b32 v72, 16 :: v_dual_mov_b32 v77, 56
	;; [unrolled: 1-line block ×5, first 2 shown]
	v_mov_b32_e32 v80, 0x50
	v_mov_b32_e32 v84, 0x60
	;; [unrolled: 1-line block ×20, first 2 shown]
	s_mov_b64 s[2:3], 0
	s_mov_b32 s4, -1
.LBB203_72:                             ; =>This Inner Loop Header: Depth=1
	scratch_load_b64 v[104:105], v70, off
	scratch_load_b64 v[106:107], v71, off
	;; [unrolled: 1-line block ×32, first 2 shown]
	s_cmp_eq_u32 s2, 1
	s_waitcnt lgkmcnt(16)
	v_max_f64 v[170:171], v[0:1], v[0:1]
	s_cselect_b32 vcc_lo, -1, 0
	v_max_f64 v[172:173], v[2:3], v[2:3]
	s_waitcnt lgkmcnt(0)
	v_dual_cndmask_b32 v169, v65, v67 :: v_dual_cndmask_b32 v168, v64, v66
	v_max_f64 v[174:175], v[4:5], v[4:5]
	v_max_f64 v[176:177], v[6:7], v[6:7]
	;; [unrolled: 1-line block ×31, first 2 shown]
	s_mov_b64 s[2:3], 1
	s_and_b32 vcc_lo, exec_lo, s4
	s_mov_b32 s4, 0
	v_min_f64 v[170:171], v[170:171], v[168:169]
	v_min_f64 v[172:173], v[172:173], v[168:169]
	;; [unrolled: 1-line block ×32, first 2 shown]
	s_waitcnt vmcnt(31)
	v_add_f64 v[104:105], v[104:105], v[170:171]
	s_waitcnt vmcnt(30)
	v_add_f64 v[106:107], v[172:173], v[106:107]
	;; [unrolled: 2-line block ×32, first 2 shown]
	scratch_store_b64 v70, v[104:105], off
	scratch_store_b64 v71, v[106:107], off
	;; [unrolled: 1-line block ×32, first 2 shown]
	v_mov_b32_e32 v70, 0x100
	v_mov_b32_e32 v71, 0x108
	;; [unrolled: 1-line block ×32, first 2 shown]
	s_cbranch_vccnz .LBB203_72
; %bb.73:
	v_add_nc_u32_e32 v60, 0x800, v68
	ds_load_2addr_b64 v[0:3], v68 offset0:3 offset1:19
	ds_load_2addr_b64 v[4:7], v68 offset0:35 offset1:51
	;; [unrolled: 1-line block ×4, first 2 shown]
	v_dual_mov_b32 v71, 24 :: v_dual_add_nc_u32 v64, 24, v69
	v_mov_b32_e32 v69, 8
	ds_load_2addr_b64 v[16:19], v68 offset0:131 offset1:147
	ds_load_2addr_b64 v[20:23], v68 offset0:163 offset1:179
	;; [unrolled: 1-line block ×12, first 2 shown]
	ds_load_2addr_stride64_b64 v[64:67], v64 offset1:4
	v_dual_mov_b32 v68, 0 :: v_dual_mov_b32 v73, 40
	v_dual_mov_b32 v70, 16 :: v_dual_mov_b32 v75, 56
	;; [unrolled: 1-line block ×5, first 2 shown]
	v_mov_b32_e32 v78, 0x50
	v_mov_b32_e32 v80, 0x60
	;; [unrolled: 1-line block ×20, first 2 shown]
	s_mov_b64 s[2:3], 0
	s_mov_b32 s4, -1
.LBB203_74:                             ; =>This Inner Loop Header: Depth=1
	scratch_load_b64 v[102:103], v68, off
	scratch_load_b64 v[104:105], v69, off
	;; [unrolled: 1-line block ×32, first 2 shown]
	s_cmp_eq_u32 s2, 1
	s_waitcnt lgkmcnt(16)
	v_max_f64 v[168:169], v[0:1], v[0:1]
	s_cselect_b32 vcc_lo, -1, 0
	v_max_f64 v[170:171], v[2:3], v[2:3]
	s_waitcnt lgkmcnt(0)
	v_dual_cndmask_b32 v167, v65, v67 :: v_dual_cndmask_b32 v166, v64, v66
	v_max_f64 v[172:173], v[4:5], v[4:5]
	v_max_f64 v[174:175], v[6:7], v[6:7]
	;; [unrolled: 1-line block ×31, first 2 shown]
	s_mov_b64 s[2:3], 1
	s_and_b32 vcc_lo, exec_lo, s4
	s_mov_b32 s4, 0
	v_min_f64 v[168:169], v[168:169], v[166:167]
	v_min_f64 v[170:171], v[170:171], v[166:167]
	;; [unrolled: 1-line block ×32, first 2 shown]
	s_waitcnt vmcnt(31)
	v_add_f64 v[102:103], v[102:103], v[168:169]
	s_waitcnt vmcnt(30)
	v_add_f64 v[104:105], v[170:171], v[104:105]
	;; [unrolled: 2-line block ×32, first 2 shown]
	scratch_store_b64 v68, v[102:103], off
	scratch_store_b64 v69, v[104:105], off
	;; [unrolled: 1-line block ×32, first 2 shown]
	v_mov_b32_e32 v68, 0x100
	v_mov_b32_e32 v69, 0x108
	v_mov_b32_e32 v70, 0x110
	v_mov_b32_e32 v71, 0x118
	v_mov_b32_e32 v72, 0x120
	v_mov_b32_e32 v73, 0x128
	v_mov_b32_e32 v74, 0x130
	v_mov_b32_e32 v75, 0x138
	v_mov_b32_e32 v76, 0x140
	v_mov_b32_e32 v77, 0x148
	v_mov_b32_e32 v78, 0x150
	v_mov_b32_e32 v79, 0x158
	v_mov_b32_e32 v80, 0x160
	v_mov_b32_e32 v81, 0x168
	v_mov_b32_e32 v84, 0x170
	v_mov_b32_e32 v85, 0x178
	v_mov_b32_e32 v86, 0x180
	v_mov_b32_e32 v87, 0x188
	v_mov_b32_e32 v88, 0x190
	v_mov_b32_e32 v89, 0x198
	v_mov_b32_e32 v90, 0x1a0
	v_mov_b32_e32 v91, 0x1a8
	v_mov_b32_e32 v92, 0x1b0
	v_mov_b32_e32 v93, 0x1b8
	v_mov_b32_e32 v94, 0x1c0
	v_mov_b32_e32 v95, 0x1c8
	v_mov_b32_e32 v96, 0x1d0
	v_mov_b32_e32 v97, 0x1d8
	v_mov_b32_e32 v98, 0x1e0
	v_mov_b32_e32 v99, 0x1e8
	v_mov_b32_e32 v100, 0x1f0
	v_mov_b32_e32 v101, 0x1f8
	s_cbranch_vccnz .LBB203_74
; %bb.75:
	s_clause 0x2
	s_load_b64 s[2:3], s[0:1], 0x78
	s_load_b32 s42, s[0:1], 0x58
	s_load_b32 s37, s[0:1], 0x70
	v_add_nc_u32_e32 v71, s9, v83
	v_add_nc_u32_e32 v0, s8, v82
	v_cndmask_b32_e64 v70, 0, 1, s36
	s_delay_alu instid0(VALU_DEP_3)
	v_cmp_gt_i32_e64 s8, s41, v71
	s_waitcnt lgkmcnt(0)
	s_mul_i32 s0, s15, s3
	v_mad_i64_i32 v[1:2], null, v71, s42, 0
	v_mad_i64_i32 v[3:4], null, v71, s37, 0
	s_mul_hi_u32 s1, s15, s2
	s_mul_i32 s3, s20, s2
	s_add_i32 s0, s1, s0
	s_mul_i32 s2, s15, s2
	s_delay_alu instid0(VALU_DEP_2) | instskip(SKIP_1) | instid1(VALU_DEP_2)
	v_lshlrev_b64 v[5:6], 3, v[1:2]
	s_add_i32 s3, s0, s3
	v_lshlrev_b64 v[2:3], 3, v[3:4]
	s_lshl_b64 s[2:3], s[2:3], 3
	v_cmp_gt_i32_e64 s0, s40, v0
	s_add_u32 s43, s10, s2
	v_add_co_u32 v68, vcc_lo, s34, v5
	v_add_co_ci_u32_e32 v69, vcc_lo, s35, v6, vcc_lo
	s_addc_u32 s44, s11, s3
	v_add_co_u32 v72, vcc_lo, s43, v2
	v_ashrrev_i32_e32 v1, 31, v0
	v_add_co_ci_u32_e32 v73, vcc_lo, s44, v3, vcc_lo
	s_and_b32 s1, s8, s0
	s_delay_alu instid0(SALU_CYCLE_1) | instskip(NEXT) | instid1(SALU_CYCLE_1)
	s_and_saveexec_b32 s2, s1
	s_xor_b32 s1, exec_lo, s2
	s_cbranch_execz .LBB203_80
; %bb.76:
	scratch_load_b64 v[2:3], off, off
	v_lshlrev_b64 v[4:5], 3, v[0:1]
	s_and_not1_b32 vcc_lo, exec_lo, s36
	s_cbranch_vccnz .LBB203_78
; %bb.77:
	s_delay_alu instid0(VALU_DEP_1) | instskip(NEXT) | instid1(VALU_DEP_2)
	v_add_co_u32 v6, vcc_lo, v68, v4
	v_add_co_ci_u32_e32 v7, vcc_lo, v69, v5, vcc_lo
	flat_load_b64 v[6:7], v[6:7]
	s_waitcnt vmcnt(0) lgkmcnt(0)
	v_mul_f64 v[6:7], v[6:7], s[38:39]
	s_branch .LBB203_79
.LBB203_78:
	v_mov_b32_e32 v6, 0
	v_mov_b32_e32 v7, 0
.LBB203_79:
	s_waitcnt vmcnt(0)
	s_delay_alu instid0(VALU_DEP_1)
	v_add_f64 v[2:3], v[2:3], v[6:7]
	v_add_co_u32 v4, vcc_lo, v72, v4
	v_add_co_ci_u32_e32 v5, vcc_lo, v73, v5, vcc_lo
	global_store_b64 v[4:5], v[2:3], off
.LBB203_80:
	s_or_b32 exec_lo, exec_lo, s1
	v_add_nc_u32_e32 v2, 4, v0
	s_delay_alu instid0(VALU_DEP_1) | instskip(SKIP_1) | instid1(VALU_DEP_2)
	v_cmp_gt_i32_e64 s1, s40, v2
	v_ashrrev_i32_e32 v3, 31, v2
	s_and_b32 s3, s8, s1
	s_delay_alu instid0(SALU_CYCLE_1)
	s_and_saveexec_b32 s2, s3
	s_cbranch_execz .LBB203_85
; %bb.81:
	scratch_load_b64 v[4:5], off, off offset:8
	v_lshlrev_b64 v[6:7], 3, v[2:3]
	s_and_not1_b32 vcc_lo, exec_lo, s36
	s_cbranch_vccnz .LBB203_83
; %bb.82:
	s_delay_alu instid0(VALU_DEP_1) | instskip(NEXT) | instid1(VALU_DEP_2)
	v_add_co_u32 v8, vcc_lo, v68, v6
	v_add_co_ci_u32_e32 v9, vcc_lo, v69, v7, vcc_lo
	flat_load_b64 v[8:9], v[8:9]
	s_waitcnt vmcnt(0) lgkmcnt(0)
	v_mul_f64 v[8:9], v[8:9], s[38:39]
	s_branch .LBB203_84
.LBB203_83:
	v_mov_b32_e32 v8, 0
	v_mov_b32_e32 v9, 0
.LBB203_84:
	s_waitcnt vmcnt(0)
	s_delay_alu instid0(VALU_DEP_1)
	v_add_f64 v[4:5], v[4:5], v[8:9]
	v_add_co_u32 v6, vcc_lo, v72, v6
	v_add_co_ci_u32_e32 v7, vcc_lo, v73, v7, vcc_lo
	global_store_b64 v[6:7], v[4:5], off
.LBB203_85:
	s_or_b32 exec_lo, exec_lo, s2
	v_add_nc_u32_e32 v4, 8, v0
	s_delay_alu instid0(VALU_DEP_1) | instskip(SKIP_1) | instid1(VALU_DEP_2)
	v_cmp_gt_i32_e64 s2, s40, v4
	v_ashrrev_i32_e32 v5, 31, v4
	s_and_b32 s4, s8, s2
	s_delay_alu instid0(SALU_CYCLE_1)
	s_and_saveexec_b32 s3, s4
	s_cbranch_execz .LBB203_90
; %bb.86:
	scratch_load_b64 v[6:7], off, off offset:16
	v_lshlrev_b64 v[8:9], 3, v[4:5]
	s_and_not1_b32 vcc_lo, exec_lo, s36
	s_cbranch_vccnz .LBB203_88
; %bb.87:
	s_delay_alu instid0(VALU_DEP_1) | instskip(NEXT) | instid1(VALU_DEP_2)
	v_add_co_u32 v10, vcc_lo, v68, v8
	v_add_co_ci_u32_e32 v11, vcc_lo, v69, v9, vcc_lo
	flat_load_b64 v[10:11], v[10:11]
	s_waitcnt vmcnt(0) lgkmcnt(0)
	v_mul_f64 v[10:11], v[10:11], s[38:39]
	s_branch .LBB203_89
.LBB203_88:
	v_mov_b32_e32 v10, 0
	v_mov_b32_e32 v11, 0
.LBB203_89:
	s_waitcnt vmcnt(0)
	s_delay_alu instid0(VALU_DEP_1)
	v_add_f64 v[6:7], v[6:7], v[10:11]
	v_add_co_u32 v8, vcc_lo, v72, v8
	v_add_co_ci_u32_e32 v9, vcc_lo, v73, v9, vcc_lo
	global_store_b64 v[8:9], v[6:7], off
.LBB203_90:
	;; [unrolled: 33-line block ×31, first 2 shown]
	s_or_b32 exec_lo, exec_lo, s8
	v_add_nc_u32_e32 v68, 64, v71
	s_delay_alu instid0(VALU_DEP_1) | instskip(SKIP_2) | instid1(VALU_DEP_3)
	v_mad_i64_i32 v[64:65], null, v68, s42, 0
	v_mad_i64_i32 v[66:67], null, v68, s37, 0
	v_cmp_gt_i32_e64 s8, s41, v68
	v_lshlrev_b64 v[64:65], 3, v[64:65]
	s_delay_alu instid0(VALU_DEP_2) | instskip(NEXT) | instid1(VALU_DEP_3)
	s_and_b32 s0, s8, s0
	v_lshlrev_b64 v[66:67], 3, v[66:67]
	s_delay_alu instid0(VALU_DEP_2) | instskip(NEXT) | instid1(VALU_DEP_3)
	v_add_co_u32 v71, vcc_lo, s34, v64
	v_add_co_ci_u32_e32 v72, vcc_lo, s35, v65, vcc_lo
	s_delay_alu instid0(VALU_DEP_3) | instskip(NEXT) | instid1(VALU_DEP_4)
	v_add_co_u32 v68, vcc_lo, s43, v66
	v_add_co_ci_u32_e32 v69, vcc_lo, s44, v67, vcc_lo
	s_and_saveexec_b32 s34, s0
	s_delay_alu instid0(SALU_CYCLE_1)
	s_xor_b32 s0, exec_lo, s34
	s_cbranch_execnz .LBB203_268
; %bb.236:
	s_or_b32 exec_lo, exec_lo, s0
	s_and_b32 s1, s8, s1
	s_delay_alu instid0(SALU_CYCLE_1)
	s_and_saveexec_b32 s0, s1
	s_cbranch_execnz .LBB203_272
.LBB203_237:
	s_or_b32 exec_lo, exec_lo, s0
	s_and_b32 s1, s8, s2
	s_delay_alu instid0(SALU_CYCLE_1)
	s_and_saveexec_b32 s0, s1
	s_cbranch_execnz .LBB203_276
.LBB203_238:
	s_or_b32 exec_lo, exec_lo, s0
	s_and_b32 s1, s8, s3
	s_delay_alu instid0(SALU_CYCLE_1)
	s_and_saveexec_b32 s0, s1
	s_cbranch_execnz .LBB203_280
.LBB203_239:
	s_or_b32 exec_lo, exec_lo, s0
	s_and_b32 s1, s8, s4
	s_delay_alu instid0(SALU_CYCLE_1)
	s_and_saveexec_b32 s0, s1
	s_cbranch_execnz .LBB203_284
.LBB203_240:
	s_or_b32 exec_lo, exec_lo, s0
	s_and_b32 s1, s8, s5
	s_delay_alu instid0(SALU_CYCLE_1)
	s_and_saveexec_b32 s0, s1
	s_cbranch_execnz .LBB203_288
.LBB203_241:
	s_or_b32 exec_lo, exec_lo, s0
	s_and_b32 s1, s8, s6
	s_delay_alu instid0(SALU_CYCLE_1)
	s_and_saveexec_b32 s0, s1
	s_cbranch_execnz .LBB203_292
.LBB203_242:
	s_or_b32 exec_lo, exec_lo, s0
	s_and_b32 s1, s8, s7
	s_delay_alu instid0(SALU_CYCLE_1)
	s_and_saveexec_b32 s0, s1
	s_cbranch_execnz .LBB203_296
.LBB203_243:
	s_or_b32 exec_lo, exec_lo, s0
	s_and_b32 s1, s8, s9
	s_delay_alu instid0(SALU_CYCLE_1)
	s_and_saveexec_b32 s0, s1
	s_cbranch_execnz .LBB203_300
.LBB203_244:
	s_or_b32 exec_lo, exec_lo, s0
	s_and_b32 s1, s8, s10
	s_delay_alu instid0(SALU_CYCLE_1)
	s_and_saveexec_b32 s0, s1
	s_cbranch_execnz .LBB203_304
.LBB203_245:
	s_or_b32 exec_lo, exec_lo, s0
	s_and_b32 s1, s8, s11
	s_delay_alu instid0(SALU_CYCLE_1)
	s_and_saveexec_b32 s0, s1
	s_cbranch_execnz .LBB203_308
.LBB203_246:
	s_or_b32 exec_lo, exec_lo, s0
	s_and_b32 s1, s8, s12
	s_delay_alu instid0(SALU_CYCLE_1)
	s_and_saveexec_b32 s0, s1
	s_cbranch_execnz .LBB203_312
.LBB203_247:
	s_or_b32 exec_lo, exec_lo, s0
	s_and_b32 s1, s8, s13
	s_delay_alu instid0(SALU_CYCLE_1)
	s_and_saveexec_b32 s0, s1
	s_cbranch_execnz .LBB203_316
.LBB203_248:
	s_or_b32 exec_lo, exec_lo, s0
	s_and_b32 s1, s8, s14
	s_delay_alu instid0(SALU_CYCLE_1)
	s_and_saveexec_b32 s0, s1
	s_cbranch_execnz .LBB203_320
.LBB203_249:
	s_or_b32 exec_lo, exec_lo, s0
	s_and_b32 s1, s8, s15
	s_delay_alu instid0(SALU_CYCLE_1)
	s_and_saveexec_b32 s0, s1
	s_cbranch_execnz .LBB203_324
.LBB203_250:
	s_or_b32 exec_lo, exec_lo, s0
	s_and_b32 s1, s8, s16
	s_delay_alu instid0(SALU_CYCLE_1)
	s_and_saveexec_b32 s0, s1
	s_cbranch_execnz .LBB203_328
.LBB203_251:
	s_or_b32 exec_lo, exec_lo, s0
	s_and_b32 s1, s8, s17
	s_delay_alu instid0(SALU_CYCLE_1)
	s_and_saveexec_b32 s0, s1
	s_cbranch_execnz .LBB203_332
.LBB203_252:
	s_or_b32 exec_lo, exec_lo, s0
	s_and_b32 s1, s8, s18
	s_delay_alu instid0(SALU_CYCLE_1)
	s_and_saveexec_b32 s0, s1
	s_cbranch_execnz .LBB203_336
.LBB203_253:
	s_or_b32 exec_lo, exec_lo, s0
	s_and_b32 s1, s8, s19
	s_delay_alu instid0(SALU_CYCLE_1)
	s_and_saveexec_b32 s0, s1
	s_cbranch_execnz .LBB203_340
.LBB203_254:
	s_or_b32 exec_lo, exec_lo, s0
	s_and_b32 s1, s8, s20
	s_delay_alu instid0(SALU_CYCLE_1)
	s_and_saveexec_b32 s0, s1
	s_cbranch_execnz .LBB203_344
.LBB203_255:
	s_or_b32 exec_lo, exec_lo, s0
	s_and_b32 s1, s8, s21
	s_delay_alu instid0(SALU_CYCLE_1)
	s_and_saveexec_b32 s0, s1
	s_cbranch_execnz .LBB203_348
.LBB203_256:
	s_or_b32 exec_lo, exec_lo, s0
	s_and_b32 s1, s8, s22
	s_delay_alu instid0(SALU_CYCLE_1)
	s_and_saveexec_b32 s0, s1
	s_cbranch_execnz .LBB203_352
.LBB203_257:
	s_or_b32 exec_lo, exec_lo, s0
	s_and_b32 s1, s8, s23
	s_delay_alu instid0(SALU_CYCLE_1)
	s_and_saveexec_b32 s0, s1
	s_cbranch_execnz .LBB203_356
.LBB203_258:
	s_or_b32 exec_lo, exec_lo, s0
	s_and_b32 s1, s8, s24
	s_delay_alu instid0(SALU_CYCLE_1)
	s_and_saveexec_b32 s0, s1
	s_cbranch_execnz .LBB203_360
.LBB203_259:
	s_or_b32 exec_lo, exec_lo, s0
	s_and_b32 s1, s8, s25
	s_delay_alu instid0(SALU_CYCLE_1)
	s_and_saveexec_b32 s0, s1
	s_cbranch_execnz .LBB203_364
.LBB203_260:
	s_or_b32 exec_lo, exec_lo, s0
	s_and_b32 s1, s8, s26
	s_delay_alu instid0(SALU_CYCLE_1)
	s_and_saveexec_b32 s0, s1
	s_cbranch_execnz .LBB203_368
.LBB203_261:
	s_or_b32 exec_lo, exec_lo, s0
	s_and_b32 s1, s8, s27
	s_delay_alu instid0(SALU_CYCLE_1)
	s_and_saveexec_b32 s0, s1
	s_cbranch_execnz .LBB203_372
.LBB203_262:
	s_or_b32 exec_lo, exec_lo, s0
	s_and_b32 s1, s8, s28
	s_delay_alu instid0(SALU_CYCLE_1)
	s_and_saveexec_b32 s0, s1
	s_cbranch_execnz .LBB203_376
.LBB203_263:
	s_or_b32 exec_lo, exec_lo, s0
	s_and_b32 s1, s8, s29
	s_delay_alu instid0(SALU_CYCLE_1)
	s_and_saveexec_b32 s0, s1
	s_cbranch_execnz .LBB203_380
.LBB203_264:
	s_or_b32 exec_lo, exec_lo, s0
	s_and_b32 s1, s8, s30
	s_delay_alu instid0(SALU_CYCLE_1)
	s_and_saveexec_b32 s0, s1
	s_cbranch_execnz .LBB203_384
.LBB203_265:
	s_or_b32 exec_lo, exec_lo, s0
	s_and_b32 s1, s8, s31
	s_delay_alu instid0(SALU_CYCLE_1)
	s_and_saveexec_b32 s0, s1
	s_cbranch_execnz .LBB203_388
.LBB203_266:
	s_or_b32 exec_lo, exec_lo, s0
	s_and_b32 s0, s8, s33
	s_delay_alu instid0(SALU_CYCLE_1)
	s_and_saveexec_b32 s1, s0
	s_cbranch_execnz .LBB203_392
.LBB203_267:
	s_endpgm
.LBB203_268:
	scratch_load_b64 v[64:65], off, off offset:256
	v_lshlrev_b64 v[0:1], 3, v[0:1]
	s_and_not1_b32 vcc_lo, exec_lo, s36
	s_cbranch_vccnz .LBB203_270
; %bb.269:
	s_delay_alu instid0(VALU_DEP_1) | instskip(NEXT) | instid1(VALU_DEP_2)
	v_add_co_u32 v66, vcc_lo, v71, v0
	v_add_co_ci_u32_e32 v67, vcc_lo, v72, v1, vcc_lo
	flat_load_b64 v[66:67], v[66:67]
	s_waitcnt vmcnt(0) lgkmcnt(0)
	v_mul_f64 v[66:67], v[66:67], s[38:39]
	s_branch .LBB203_271
.LBB203_270:
	v_mov_b32_e32 v66, 0
	v_mov_b32_e32 v67, 0
.LBB203_271:
	s_waitcnt vmcnt(0)
	s_delay_alu instid0(VALU_DEP_1)
	v_add_f64 v[64:65], v[64:65], v[66:67]
	v_add_co_u32 v0, vcc_lo, v68, v0
	v_add_co_ci_u32_e32 v1, vcc_lo, v69, v1, vcc_lo
	global_store_b64 v[0:1], v[64:65], off
	s_or_b32 exec_lo, exec_lo, s0
	s_and_b32 s1, s8, s1
	s_delay_alu instid0(SALU_CYCLE_1)
	s_and_saveexec_b32 s0, s1
	s_cbranch_execz .LBB203_237
.LBB203_272:
	scratch_load_b64 v[0:1], off, off offset:264
	v_cmp_ne_u32_e32 vcc_lo, 1, v70
	v_lshlrev_b64 v[2:3], 3, v[2:3]
	s_cbranch_vccnz .LBB203_274
; %bb.273:
	s_delay_alu instid0(VALU_DEP_1) | instskip(NEXT) | instid1(VALU_DEP_2)
	v_add_co_u32 v64, vcc_lo, v71, v2
	v_add_co_ci_u32_e32 v65, vcc_lo, v72, v3, vcc_lo
	flat_load_b64 v[64:65], v[64:65]
	s_waitcnt vmcnt(0) lgkmcnt(0)
	v_mul_f64 v[64:65], v[64:65], s[38:39]
	s_branch .LBB203_275
.LBB203_274:
	v_mov_b32_e32 v64, 0
	v_mov_b32_e32 v65, 0
.LBB203_275:
	s_waitcnt vmcnt(0)
	s_delay_alu instid0(VALU_DEP_1)
	v_add_f64 v[0:1], v[0:1], v[64:65]
	v_add_co_u32 v2, vcc_lo, v68, v2
	v_add_co_ci_u32_e32 v3, vcc_lo, v69, v3, vcc_lo
	global_store_b64 v[2:3], v[0:1], off
	s_or_b32 exec_lo, exec_lo, s0
	s_and_b32 s1, s8, s2
	s_delay_alu instid0(SALU_CYCLE_1)
	s_and_saveexec_b32 s0, s1
	s_cbranch_execz .LBB203_238
.LBB203_276:
	scratch_load_b64 v[0:1], off, off offset:272
	v_cmp_ne_u32_e32 vcc_lo, 1, v70
	v_lshlrev_b64 v[2:3], 3, v[4:5]
	s_cbranch_vccnz .LBB203_278
; %bb.277:
	s_delay_alu instid0(VALU_DEP_1) | instskip(NEXT) | instid1(VALU_DEP_2)
	v_add_co_u32 v4, vcc_lo, v71, v2
	v_add_co_ci_u32_e32 v5, vcc_lo, v72, v3, vcc_lo
	flat_load_b64 v[4:5], v[4:5]
	s_waitcnt vmcnt(0) lgkmcnt(0)
	v_mul_f64 v[4:5], v[4:5], s[38:39]
	s_branch .LBB203_279
.LBB203_278:
	v_mov_b32_e32 v4, 0
	v_mov_b32_e32 v5, 0
.LBB203_279:
	s_waitcnt vmcnt(0)
	s_delay_alu instid0(VALU_DEP_1)
	v_add_f64 v[0:1], v[0:1], v[4:5]
	v_add_co_u32 v2, vcc_lo, v68, v2
	v_add_co_ci_u32_e32 v3, vcc_lo, v69, v3, vcc_lo
	global_store_b64 v[2:3], v[0:1], off
	s_or_b32 exec_lo, exec_lo, s0
	s_and_b32 s1, s8, s3
	s_delay_alu instid0(SALU_CYCLE_1)
	s_and_saveexec_b32 s0, s1
	s_cbranch_execz .LBB203_239
.LBB203_280:
	scratch_load_b64 v[0:1], off, off offset:280
	v_cmp_ne_u32_e32 vcc_lo, 1, v70
	v_lshlrev_b64 v[2:3], 3, v[6:7]
	s_cbranch_vccnz .LBB203_282
; %bb.281:
	s_delay_alu instid0(VALU_DEP_1) | instskip(NEXT) | instid1(VALU_DEP_2)
	v_add_co_u32 v4, vcc_lo, v71, v2
	v_add_co_ci_u32_e32 v5, vcc_lo, v72, v3, vcc_lo
	flat_load_b64 v[4:5], v[4:5]
	s_waitcnt vmcnt(0) lgkmcnt(0)
	v_mul_f64 v[4:5], v[4:5], s[38:39]
	s_branch .LBB203_283
.LBB203_282:
	v_mov_b32_e32 v4, 0
	v_mov_b32_e32 v5, 0
.LBB203_283:
	s_waitcnt vmcnt(0)
	s_delay_alu instid0(VALU_DEP_1)
	v_add_f64 v[0:1], v[0:1], v[4:5]
	v_add_co_u32 v2, vcc_lo, v68, v2
	v_add_co_ci_u32_e32 v3, vcc_lo, v69, v3, vcc_lo
	global_store_b64 v[2:3], v[0:1], off
	s_or_b32 exec_lo, exec_lo, s0
	s_and_b32 s1, s8, s4
	s_delay_alu instid0(SALU_CYCLE_1)
	s_and_saveexec_b32 s0, s1
	s_cbranch_execz .LBB203_240
.LBB203_284:
	scratch_load_b64 v[0:1], off, off offset:288
	v_cmp_ne_u32_e32 vcc_lo, 1, v70
	v_lshlrev_b64 v[2:3], 3, v[8:9]
	s_cbranch_vccnz .LBB203_286
; %bb.285:
	s_delay_alu instid0(VALU_DEP_1) | instskip(NEXT) | instid1(VALU_DEP_2)
	v_add_co_u32 v4, vcc_lo, v71, v2
	v_add_co_ci_u32_e32 v5, vcc_lo, v72, v3, vcc_lo
	flat_load_b64 v[4:5], v[4:5]
	s_waitcnt vmcnt(0) lgkmcnt(0)
	v_mul_f64 v[4:5], v[4:5], s[38:39]
	s_branch .LBB203_287
.LBB203_286:
	v_mov_b32_e32 v4, 0
	v_mov_b32_e32 v5, 0
.LBB203_287:
	s_waitcnt vmcnt(0)
	s_delay_alu instid0(VALU_DEP_1)
	v_add_f64 v[0:1], v[0:1], v[4:5]
	v_add_co_u32 v2, vcc_lo, v68, v2
	v_add_co_ci_u32_e32 v3, vcc_lo, v69, v3, vcc_lo
	global_store_b64 v[2:3], v[0:1], off
	s_or_b32 exec_lo, exec_lo, s0
	s_and_b32 s1, s8, s5
	s_delay_alu instid0(SALU_CYCLE_1)
	s_and_saveexec_b32 s0, s1
	s_cbranch_execz .LBB203_241
.LBB203_288:
	scratch_load_b64 v[0:1], off, off offset:296
	v_cmp_ne_u32_e32 vcc_lo, 1, v70
	v_lshlrev_b64 v[2:3], 3, v[10:11]
	s_cbranch_vccnz .LBB203_290
; %bb.289:
	s_delay_alu instid0(VALU_DEP_1) | instskip(NEXT) | instid1(VALU_DEP_2)
	v_add_co_u32 v4, vcc_lo, v71, v2
	v_add_co_ci_u32_e32 v5, vcc_lo, v72, v3, vcc_lo
	flat_load_b64 v[4:5], v[4:5]
	s_waitcnt vmcnt(0) lgkmcnt(0)
	v_mul_f64 v[4:5], v[4:5], s[38:39]
	s_branch .LBB203_291
.LBB203_290:
	v_mov_b32_e32 v4, 0
	v_mov_b32_e32 v5, 0
.LBB203_291:
	s_waitcnt vmcnt(0)
	s_delay_alu instid0(VALU_DEP_1)
	v_add_f64 v[0:1], v[0:1], v[4:5]
	v_add_co_u32 v2, vcc_lo, v68, v2
	v_add_co_ci_u32_e32 v3, vcc_lo, v69, v3, vcc_lo
	global_store_b64 v[2:3], v[0:1], off
	s_or_b32 exec_lo, exec_lo, s0
	s_and_b32 s1, s8, s6
	s_delay_alu instid0(SALU_CYCLE_1)
	s_and_saveexec_b32 s0, s1
	s_cbranch_execz .LBB203_242
.LBB203_292:
	scratch_load_b64 v[0:1], off, off offset:304
	v_cmp_ne_u32_e32 vcc_lo, 1, v70
	v_lshlrev_b64 v[2:3], 3, v[12:13]
	s_cbranch_vccnz .LBB203_294
; %bb.293:
	s_delay_alu instid0(VALU_DEP_1) | instskip(NEXT) | instid1(VALU_DEP_2)
	v_add_co_u32 v4, vcc_lo, v71, v2
	v_add_co_ci_u32_e32 v5, vcc_lo, v72, v3, vcc_lo
	flat_load_b64 v[4:5], v[4:5]
	s_waitcnt vmcnt(0) lgkmcnt(0)
	v_mul_f64 v[4:5], v[4:5], s[38:39]
	s_branch .LBB203_295
.LBB203_294:
	v_mov_b32_e32 v4, 0
	v_mov_b32_e32 v5, 0
.LBB203_295:
	s_waitcnt vmcnt(0)
	s_delay_alu instid0(VALU_DEP_1)
	v_add_f64 v[0:1], v[0:1], v[4:5]
	v_add_co_u32 v2, vcc_lo, v68, v2
	v_add_co_ci_u32_e32 v3, vcc_lo, v69, v3, vcc_lo
	global_store_b64 v[2:3], v[0:1], off
	s_or_b32 exec_lo, exec_lo, s0
	s_and_b32 s1, s8, s7
	s_delay_alu instid0(SALU_CYCLE_1)
	s_and_saveexec_b32 s0, s1
	s_cbranch_execz .LBB203_243
.LBB203_296:
	scratch_load_b64 v[0:1], off, off offset:312
	v_cmp_ne_u32_e32 vcc_lo, 1, v70
	v_lshlrev_b64 v[2:3], 3, v[14:15]
	s_cbranch_vccnz .LBB203_298
; %bb.297:
	s_delay_alu instid0(VALU_DEP_1) | instskip(NEXT) | instid1(VALU_DEP_2)
	v_add_co_u32 v4, vcc_lo, v71, v2
	v_add_co_ci_u32_e32 v5, vcc_lo, v72, v3, vcc_lo
	flat_load_b64 v[4:5], v[4:5]
	s_waitcnt vmcnt(0) lgkmcnt(0)
	v_mul_f64 v[4:5], v[4:5], s[38:39]
	s_branch .LBB203_299
.LBB203_298:
	v_mov_b32_e32 v4, 0
	v_mov_b32_e32 v5, 0
.LBB203_299:
	s_waitcnt vmcnt(0)
	s_delay_alu instid0(VALU_DEP_1)
	v_add_f64 v[0:1], v[0:1], v[4:5]
	v_add_co_u32 v2, vcc_lo, v68, v2
	v_add_co_ci_u32_e32 v3, vcc_lo, v69, v3, vcc_lo
	global_store_b64 v[2:3], v[0:1], off
	s_or_b32 exec_lo, exec_lo, s0
	s_and_b32 s1, s8, s9
	s_delay_alu instid0(SALU_CYCLE_1)
	s_and_saveexec_b32 s0, s1
	s_cbranch_execz .LBB203_244
.LBB203_300:
	scratch_load_b64 v[0:1], off, off offset:320
	v_cmp_ne_u32_e32 vcc_lo, 1, v70
	v_lshlrev_b64 v[2:3], 3, v[16:17]
	s_cbranch_vccnz .LBB203_302
; %bb.301:
	s_delay_alu instid0(VALU_DEP_1) | instskip(NEXT) | instid1(VALU_DEP_2)
	v_add_co_u32 v4, vcc_lo, v71, v2
	v_add_co_ci_u32_e32 v5, vcc_lo, v72, v3, vcc_lo
	flat_load_b64 v[4:5], v[4:5]
	s_waitcnt vmcnt(0) lgkmcnt(0)
	v_mul_f64 v[4:5], v[4:5], s[38:39]
	s_branch .LBB203_303
.LBB203_302:
	v_mov_b32_e32 v4, 0
	v_mov_b32_e32 v5, 0
.LBB203_303:
	s_waitcnt vmcnt(0)
	s_delay_alu instid0(VALU_DEP_1)
	v_add_f64 v[0:1], v[0:1], v[4:5]
	v_add_co_u32 v2, vcc_lo, v68, v2
	v_add_co_ci_u32_e32 v3, vcc_lo, v69, v3, vcc_lo
	global_store_b64 v[2:3], v[0:1], off
	s_or_b32 exec_lo, exec_lo, s0
	s_and_b32 s1, s8, s10
	s_delay_alu instid0(SALU_CYCLE_1)
	s_and_saveexec_b32 s0, s1
	s_cbranch_execz .LBB203_245
.LBB203_304:
	scratch_load_b64 v[0:1], off, off offset:328
	v_cmp_ne_u32_e32 vcc_lo, 1, v70
	v_lshlrev_b64 v[2:3], 3, v[18:19]
	s_cbranch_vccnz .LBB203_306
; %bb.305:
	s_delay_alu instid0(VALU_DEP_1) | instskip(NEXT) | instid1(VALU_DEP_2)
	v_add_co_u32 v4, vcc_lo, v71, v2
	v_add_co_ci_u32_e32 v5, vcc_lo, v72, v3, vcc_lo
	flat_load_b64 v[4:5], v[4:5]
	s_waitcnt vmcnt(0) lgkmcnt(0)
	v_mul_f64 v[4:5], v[4:5], s[38:39]
	s_branch .LBB203_307
.LBB203_306:
	v_mov_b32_e32 v4, 0
	v_mov_b32_e32 v5, 0
.LBB203_307:
	s_waitcnt vmcnt(0)
	s_delay_alu instid0(VALU_DEP_1)
	v_add_f64 v[0:1], v[0:1], v[4:5]
	v_add_co_u32 v2, vcc_lo, v68, v2
	v_add_co_ci_u32_e32 v3, vcc_lo, v69, v3, vcc_lo
	global_store_b64 v[2:3], v[0:1], off
	s_or_b32 exec_lo, exec_lo, s0
	s_and_b32 s1, s8, s11
	s_delay_alu instid0(SALU_CYCLE_1)
	s_and_saveexec_b32 s0, s1
	s_cbranch_execz .LBB203_246
.LBB203_308:
	scratch_load_b64 v[0:1], off, off offset:336
	v_cmp_ne_u32_e32 vcc_lo, 1, v70
	v_lshlrev_b64 v[2:3], 3, v[20:21]
	s_cbranch_vccnz .LBB203_310
; %bb.309:
	s_delay_alu instid0(VALU_DEP_1) | instskip(NEXT) | instid1(VALU_DEP_2)
	v_add_co_u32 v4, vcc_lo, v71, v2
	v_add_co_ci_u32_e32 v5, vcc_lo, v72, v3, vcc_lo
	flat_load_b64 v[4:5], v[4:5]
	s_waitcnt vmcnt(0) lgkmcnt(0)
	v_mul_f64 v[4:5], v[4:5], s[38:39]
	s_branch .LBB203_311
.LBB203_310:
	v_mov_b32_e32 v4, 0
	v_mov_b32_e32 v5, 0
.LBB203_311:
	s_waitcnt vmcnt(0)
	s_delay_alu instid0(VALU_DEP_1)
	v_add_f64 v[0:1], v[0:1], v[4:5]
	v_add_co_u32 v2, vcc_lo, v68, v2
	v_add_co_ci_u32_e32 v3, vcc_lo, v69, v3, vcc_lo
	global_store_b64 v[2:3], v[0:1], off
	s_or_b32 exec_lo, exec_lo, s0
	s_and_b32 s1, s8, s12
	s_delay_alu instid0(SALU_CYCLE_1)
	s_and_saveexec_b32 s0, s1
	s_cbranch_execz .LBB203_247
.LBB203_312:
	scratch_load_b64 v[0:1], off, off offset:344
	v_cmp_ne_u32_e32 vcc_lo, 1, v70
	v_lshlrev_b64 v[2:3], 3, v[22:23]
	s_cbranch_vccnz .LBB203_314
; %bb.313:
	s_delay_alu instid0(VALU_DEP_1) | instskip(NEXT) | instid1(VALU_DEP_2)
	v_add_co_u32 v4, vcc_lo, v71, v2
	v_add_co_ci_u32_e32 v5, vcc_lo, v72, v3, vcc_lo
	flat_load_b64 v[4:5], v[4:5]
	s_waitcnt vmcnt(0) lgkmcnt(0)
	v_mul_f64 v[4:5], v[4:5], s[38:39]
	s_branch .LBB203_315
.LBB203_314:
	v_mov_b32_e32 v4, 0
	v_mov_b32_e32 v5, 0
.LBB203_315:
	s_waitcnt vmcnt(0)
	s_delay_alu instid0(VALU_DEP_1)
	v_add_f64 v[0:1], v[0:1], v[4:5]
	v_add_co_u32 v2, vcc_lo, v68, v2
	v_add_co_ci_u32_e32 v3, vcc_lo, v69, v3, vcc_lo
	global_store_b64 v[2:3], v[0:1], off
	s_or_b32 exec_lo, exec_lo, s0
	s_and_b32 s1, s8, s13
	s_delay_alu instid0(SALU_CYCLE_1)
	s_and_saveexec_b32 s0, s1
	s_cbranch_execz .LBB203_248
.LBB203_316:
	scratch_load_b64 v[0:1], off, off offset:352
	v_cmp_ne_u32_e32 vcc_lo, 1, v70
	v_lshlrev_b64 v[2:3], 3, v[24:25]
	s_cbranch_vccnz .LBB203_318
; %bb.317:
	s_delay_alu instid0(VALU_DEP_1) | instskip(NEXT) | instid1(VALU_DEP_2)
	v_add_co_u32 v4, vcc_lo, v71, v2
	v_add_co_ci_u32_e32 v5, vcc_lo, v72, v3, vcc_lo
	flat_load_b64 v[4:5], v[4:5]
	s_waitcnt vmcnt(0) lgkmcnt(0)
	v_mul_f64 v[4:5], v[4:5], s[38:39]
	s_branch .LBB203_319
.LBB203_318:
	v_mov_b32_e32 v4, 0
	v_mov_b32_e32 v5, 0
.LBB203_319:
	s_waitcnt vmcnt(0)
	s_delay_alu instid0(VALU_DEP_1)
	v_add_f64 v[0:1], v[0:1], v[4:5]
	v_add_co_u32 v2, vcc_lo, v68, v2
	v_add_co_ci_u32_e32 v3, vcc_lo, v69, v3, vcc_lo
	global_store_b64 v[2:3], v[0:1], off
	s_or_b32 exec_lo, exec_lo, s0
	s_and_b32 s1, s8, s14
	s_delay_alu instid0(SALU_CYCLE_1)
	s_and_saveexec_b32 s0, s1
	s_cbranch_execz .LBB203_249
.LBB203_320:
	scratch_load_b64 v[0:1], off, off offset:360
	v_cmp_ne_u32_e32 vcc_lo, 1, v70
	v_lshlrev_b64 v[2:3], 3, v[26:27]
	s_cbranch_vccnz .LBB203_322
; %bb.321:
	s_delay_alu instid0(VALU_DEP_1) | instskip(NEXT) | instid1(VALU_DEP_2)
	v_add_co_u32 v4, vcc_lo, v71, v2
	v_add_co_ci_u32_e32 v5, vcc_lo, v72, v3, vcc_lo
	flat_load_b64 v[4:5], v[4:5]
	s_waitcnt vmcnt(0) lgkmcnt(0)
	v_mul_f64 v[4:5], v[4:5], s[38:39]
	s_branch .LBB203_323
.LBB203_322:
	v_mov_b32_e32 v4, 0
	v_mov_b32_e32 v5, 0
.LBB203_323:
	s_waitcnt vmcnt(0)
	s_delay_alu instid0(VALU_DEP_1)
	v_add_f64 v[0:1], v[0:1], v[4:5]
	v_add_co_u32 v2, vcc_lo, v68, v2
	v_add_co_ci_u32_e32 v3, vcc_lo, v69, v3, vcc_lo
	global_store_b64 v[2:3], v[0:1], off
	s_or_b32 exec_lo, exec_lo, s0
	s_and_b32 s1, s8, s15
	s_delay_alu instid0(SALU_CYCLE_1)
	s_and_saveexec_b32 s0, s1
	s_cbranch_execz .LBB203_250
.LBB203_324:
	scratch_load_b64 v[0:1], off, off offset:368
	v_cmp_ne_u32_e32 vcc_lo, 1, v70
	v_lshlrev_b64 v[2:3], 3, v[28:29]
	s_cbranch_vccnz .LBB203_326
; %bb.325:
	s_delay_alu instid0(VALU_DEP_1) | instskip(NEXT) | instid1(VALU_DEP_2)
	v_add_co_u32 v4, vcc_lo, v71, v2
	v_add_co_ci_u32_e32 v5, vcc_lo, v72, v3, vcc_lo
	flat_load_b64 v[4:5], v[4:5]
	s_waitcnt vmcnt(0) lgkmcnt(0)
	v_mul_f64 v[4:5], v[4:5], s[38:39]
	s_branch .LBB203_327
.LBB203_326:
	v_mov_b32_e32 v4, 0
	v_mov_b32_e32 v5, 0
.LBB203_327:
	s_waitcnt vmcnt(0)
	s_delay_alu instid0(VALU_DEP_1)
	v_add_f64 v[0:1], v[0:1], v[4:5]
	v_add_co_u32 v2, vcc_lo, v68, v2
	v_add_co_ci_u32_e32 v3, vcc_lo, v69, v3, vcc_lo
	global_store_b64 v[2:3], v[0:1], off
	s_or_b32 exec_lo, exec_lo, s0
	s_and_b32 s1, s8, s16
	s_delay_alu instid0(SALU_CYCLE_1)
	s_and_saveexec_b32 s0, s1
	s_cbranch_execz .LBB203_251
.LBB203_328:
	scratch_load_b64 v[0:1], off, off offset:376
	v_cmp_ne_u32_e32 vcc_lo, 1, v70
	v_lshlrev_b64 v[2:3], 3, v[30:31]
	s_cbranch_vccnz .LBB203_330
; %bb.329:
	s_delay_alu instid0(VALU_DEP_1) | instskip(NEXT) | instid1(VALU_DEP_2)
	v_add_co_u32 v4, vcc_lo, v71, v2
	v_add_co_ci_u32_e32 v5, vcc_lo, v72, v3, vcc_lo
	flat_load_b64 v[4:5], v[4:5]
	s_waitcnt vmcnt(0) lgkmcnt(0)
	v_mul_f64 v[4:5], v[4:5], s[38:39]
	s_branch .LBB203_331
.LBB203_330:
	v_mov_b32_e32 v4, 0
	v_mov_b32_e32 v5, 0
.LBB203_331:
	s_waitcnt vmcnt(0)
	s_delay_alu instid0(VALU_DEP_1)
	v_add_f64 v[0:1], v[0:1], v[4:5]
	v_add_co_u32 v2, vcc_lo, v68, v2
	v_add_co_ci_u32_e32 v3, vcc_lo, v69, v3, vcc_lo
	global_store_b64 v[2:3], v[0:1], off
	s_or_b32 exec_lo, exec_lo, s0
	s_and_b32 s1, s8, s17
	s_delay_alu instid0(SALU_CYCLE_1)
	s_and_saveexec_b32 s0, s1
	s_cbranch_execz .LBB203_252
.LBB203_332:
	scratch_load_b64 v[0:1], off, off offset:384
	v_cmp_ne_u32_e32 vcc_lo, 1, v70
	v_lshlrev_b64 v[2:3], 3, v[32:33]
	s_cbranch_vccnz .LBB203_334
; %bb.333:
	s_delay_alu instid0(VALU_DEP_1) | instskip(NEXT) | instid1(VALU_DEP_2)
	v_add_co_u32 v4, vcc_lo, v71, v2
	v_add_co_ci_u32_e32 v5, vcc_lo, v72, v3, vcc_lo
	flat_load_b64 v[4:5], v[4:5]
	s_waitcnt vmcnt(0) lgkmcnt(0)
	v_mul_f64 v[4:5], v[4:5], s[38:39]
	s_branch .LBB203_335
.LBB203_334:
	v_mov_b32_e32 v4, 0
	v_mov_b32_e32 v5, 0
.LBB203_335:
	s_waitcnt vmcnt(0)
	s_delay_alu instid0(VALU_DEP_1)
	v_add_f64 v[0:1], v[0:1], v[4:5]
	v_add_co_u32 v2, vcc_lo, v68, v2
	v_add_co_ci_u32_e32 v3, vcc_lo, v69, v3, vcc_lo
	global_store_b64 v[2:3], v[0:1], off
	s_or_b32 exec_lo, exec_lo, s0
	s_and_b32 s1, s8, s18
	s_delay_alu instid0(SALU_CYCLE_1)
	s_and_saveexec_b32 s0, s1
	s_cbranch_execz .LBB203_253
.LBB203_336:
	scratch_load_b64 v[0:1], off, off offset:392
	v_cmp_ne_u32_e32 vcc_lo, 1, v70
	v_lshlrev_b64 v[2:3], 3, v[34:35]
	s_cbranch_vccnz .LBB203_338
; %bb.337:
	s_delay_alu instid0(VALU_DEP_1) | instskip(NEXT) | instid1(VALU_DEP_2)
	v_add_co_u32 v4, vcc_lo, v71, v2
	v_add_co_ci_u32_e32 v5, vcc_lo, v72, v3, vcc_lo
	flat_load_b64 v[4:5], v[4:5]
	s_waitcnt vmcnt(0) lgkmcnt(0)
	v_mul_f64 v[4:5], v[4:5], s[38:39]
	s_branch .LBB203_339
.LBB203_338:
	v_mov_b32_e32 v4, 0
	v_mov_b32_e32 v5, 0
.LBB203_339:
	s_waitcnt vmcnt(0)
	s_delay_alu instid0(VALU_DEP_1)
	v_add_f64 v[0:1], v[0:1], v[4:5]
	v_add_co_u32 v2, vcc_lo, v68, v2
	v_add_co_ci_u32_e32 v3, vcc_lo, v69, v3, vcc_lo
	global_store_b64 v[2:3], v[0:1], off
	s_or_b32 exec_lo, exec_lo, s0
	s_and_b32 s1, s8, s19
	s_delay_alu instid0(SALU_CYCLE_1)
	s_and_saveexec_b32 s0, s1
	s_cbranch_execz .LBB203_254
.LBB203_340:
	scratch_load_b64 v[0:1], off, off offset:400
	v_cmp_ne_u32_e32 vcc_lo, 1, v70
	v_lshlrev_b64 v[2:3], 3, v[36:37]
	s_cbranch_vccnz .LBB203_342
; %bb.341:
	s_delay_alu instid0(VALU_DEP_1) | instskip(NEXT) | instid1(VALU_DEP_2)
	v_add_co_u32 v4, vcc_lo, v71, v2
	v_add_co_ci_u32_e32 v5, vcc_lo, v72, v3, vcc_lo
	flat_load_b64 v[4:5], v[4:5]
	s_waitcnt vmcnt(0) lgkmcnt(0)
	v_mul_f64 v[4:5], v[4:5], s[38:39]
	s_branch .LBB203_343
.LBB203_342:
	v_mov_b32_e32 v4, 0
	v_mov_b32_e32 v5, 0
.LBB203_343:
	s_waitcnt vmcnt(0)
	s_delay_alu instid0(VALU_DEP_1)
	v_add_f64 v[0:1], v[0:1], v[4:5]
	v_add_co_u32 v2, vcc_lo, v68, v2
	v_add_co_ci_u32_e32 v3, vcc_lo, v69, v3, vcc_lo
	global_store_b64 v[2:3], v[0:1], off
	s_or_b32 exec_lo, exec_lo, s0
	s_and_b32 s1, s8, s20
	s_delay_alu instid0(SALU_CYCLE_1)
	s_and_saveexec_b32 s0, s1
	s_cbranch_execz .LBB203_255
.LBB203_344:
	scratch_load_b64 v[0:1], off, off offset:408
	v_cmp_ne_u32_e32 vcc_lo, 1, v70
	v_lshlrev_b64 v[2:3], 3, v[38:39]
	s_cbranch_vccnz .LBB203_346
; %bb.345:
	s_delay_alu instid0(VALU_DEP_1) | instskip(NEXT) | instid1(VALU_DEP_2)
	v_add_co_u32 v4, vcc_lo, v71, v2
	v_add_co_ci_u32_e32 v5, vcc_lo, v72, v3, vcc_lo
	flat_load_b64 v[4:5], v[4:5]
	s_waitcnt vmcnt(0) lgkmcnt(0)
	v_mul_f64 v[4:5], v[4:5], s[38:39]
	s_branch .LBB203_347
.LBB203_346:
	v_mov_b32_e32 v4, 0
	v_mov_b32_e32 v5, 0
.LBB203_347:
	s_waitcnt vmcnt(0)
	s_delay_alu instid0(VALU_DEP_1)
	v_add_f64 v[0:1], v[0:1], v[4:5]
	v_add_co_u32 v2, vcc_lo, v68, v2
	v_add_co_ci_u32_e32 v3, vcc_lo, v69, v3, vcc_lo
	global_store_b64 v[2:3], v[0:1], off
	s_or_b32 exec_lo, exec_lo, s0
	s_and_b32 s1, s8, s21
	s_delay_alu instid0(SALU_CYCLE_1)
	s_and_saveexec_b32 s0, s1
	s_cbranch_execz .LBB203_256
.LBB203_348:
	scratch_load_b64 v[0:1], off, off offset:416
	v_cmp_ne_u32_e32 vcc_lo, 1, v70
	v_lshlrev_b64 v[2:3], 3, v[40:41]
	s_cbranch_vccnz .LBB203_350
; %bb.349:
	s_delay_alu instid0(VALU_DEP_1) | instskip(NEXT) | instid1(VALU_DEP_2)
	v_add_co_u32 v4, vcc_lo, v71, v2
	v_add_co_ci_u32_e32 v5, vcc_lo, v72, v3, vcc_lo
	flat_load_b64 v[4:5], v[4:5]
	s_waitcnt vmcnt(0) lgkmcnt(0)
	v_mul_f64 v[4:5], v[4:5], s[38:39]
	s_branch .LBB203_351
.LBB203_350:
	v_mov_b32_e32 v4, 0
	v_mov_b32_e32 v5, 0
.LBB203_351:
	s_waitcnt vmcnt(0)
	s_delay_alu instid0(VALU_DEP_1)
	v_add_f64 v[0:1], v[0:1], v[4:5]
	v_add_co_u32 v2, vcc_lo, v68, v2
	v_add_co_ci_u32_e32 v3, vcc_lo, v69, v3, vcc_lo
	global_store_b64 v[2:3], v[0:1], off
	s_or_b32 exec_lo, exec_lo, s0
	s_and_b32 s1, s8, s22
	s_delay_alu instid0(SALU_CYCLE_1)
	s_and_saveexec_b32 s0, s1
	s_cbranch_execz .LBB203_257
.LBB203_352:
	scratch_load_b64 v[0:1], off, off offset:424
	v_cmp_ne_u32_e32 vcc_lo, 1, v70
	v_lshlrev_b64 v[2:3], 3, v[42:43]
	s_cbranch_vccnz .LBB203_354
; %bb.353:
	s_delay_alu instid0(VALU_DEP_1) | instskip(NEXT) | instid1(VALU_DEP_2)
	v_add_co_u32 v4, vcc_lo, v71, v2
	v_add_co_ci_u32_e32 v5, vcc_lo, v72, v3, vcc_lo
	flat_load_b64 v[4:5], v[4:5]
	s_waitcnt vmcnt(0) lgkmcnt(0)
	v_mul_f64 v[4:5], v[4:5], s[38:39]
	s_branch .LBB203_355
.LBB203_354:
	v_mov_b32_e32 v4, 0
	v_mov_b32_e32 v5, 0
.LBB203_355:
	s_waitcnt vmcnt(0)
	s_delay_alu instid0(VALU_DEP_1)
	v_add_f64 v[0:1], v[0:1], v[4:5]
	v_add_co_u32 v2, vcc_lo, v68, v2
	v_add_co_ci_u32_e32 v3, vcc_lo, v69, v3, vcc_lo
	global_store_b64 v[2:3], v[0:1], off
	s_or_b32 exec_lo, exec_lo, s0
	s_and_b32 s1, s8, s23
	s_delay_alu instid0(SALU_CYCLE_1)
	s_and_saveexec_b32 s0, s1
	s_cbranch_execz .LBB203_258
.LBB203_356:
	scratch_load_b64 v[0:1], off, off offset:432
	v_cmp_ne_u32_e32 vcc_lo, 1, v70
	v_lshlrev_b64 v[2:3], 3, v[44:45]
	s_cbranch_vccnz .LBB203_358
; %bb.357:
	s_delay_alu instid0(VALU_DEP_1) | instskip(NEXT) | instid1(VALU_DEP_2)
	v_add_co_u32 v4, vcc_lo, v71, v2
	v_add_co_ci_u32_e32 v5, vcc_lo, v72, v3, vcc_lo
	flat_load_b64 v[4:5], v[4:5]
	s_waitcnt vmcnt(0) lgkmcnt(0)
	v_mul_f64 v[4:5], v[4:5], s[38:39]
	s_branch .LBB203_359
.LBB203_358:
	v_mov_b32_e32 v4, 0
	v_mov_b32_e32 v5, 0
.LBB203_359:
	s_waitcnt vmcnt(0)
	s_delay_alu instid0(VALU_DEP_1)
	v_add_f64 v[0:1], v[0:1], v[4:5]
	v_add_co_u32 v2, vcc_lo, v68, v2
	v_add_co_ci_u32_e32 v3, vcc_lo, v69, v3, vcc_lo
	global_store_b64 v[2:3], v[0:1], off
	s_or_b32 exec_lo, exec_lo, s0
	s_and_b32 s1, s8, s24
	s_delay_alu instid0(SALU_CYCLE_1)
	s_and_saveexec_b32 s0, s1
	s_cbranch_execz .LBB203_259
.LBB203_360:
	scratch_load_b64 v[0:1], off, off offset:440
	v_cmp_ne_u32_e32 vcc_lo, 1, v70
	v_lshlrev_b64 v[2:3], 3, v[46:47]
	s_cbranch_vccnz .LBB203_362
; %bb.361:
	s_delay_alu instid0(VALU_DEP_1) | instskip(NEXT) | instid1(VALU_DEP_2)
	v_add_co_u32 v4, vcc_lo, v71, v2
	v_add_co_ci_u32_e32 v5, vcc_lo, v72, v3, vcc_lo
	flat_load_b64 v[4:5], v[4:5]
	s_waitcnt vmcnt(0) lgkmcnt(0)
	v_mul_f64 v[4:5], v[4:5], s[38:39]
	s_branch .LBB203_363
.LBB203_362:
	v_mov_b32_e32 v4, 0
	v_mov_b32_e32 v5, 0
.LBB203_363:
	s_waitcnt vmcnt(0)
	s_delay_alu instid0(VALU_DEP_1)
	v_add_f64 v[0:1], v[0:1], v[4:5]
	v_add_co_u32 v2, vcc_lo, v68, v2
	v_add_co_ci_u32_e32 v3, vcc_lo, v69, v3, vcc_lo
	global_store_b64 v[2:3], v[0:1], off
	s_or_b32 exec_lo, exec_lo, s0
	s_and_b32 s1, s8, s25
	s_delay_alu instid0(SALU_CYCLE_1)
	s_and_saveexec_b32 s0, s1
	s_cbranch_execz .LBB203_260
.LBB203_364:
	scratch_load_b64 v[0:1], off, off offset:448
	v_cmp_ne_u32_e32 vcc_lo, 1, v70
	v_lshlrev_b64 v[2:3], 3, v[48:49]
	s_cbranch_vccnz .LBB203_366
; %bb.365:
	s_delay_alu instid0(VALU_DEP_1) | instskip(NEXT) | instid1(VALU_DEP_2)
	v_add_co_u32 v4, vcc_lo, v71, v2
	v_add_co_ci_u32_e32 v5, vcc_lo, v72, v3, vcc_lo
	flat_load_b64 v[4:5], v[4:5]
	s_waitcnt vmcnt(0) lgkmcnt(0)
	v_mul_f64 v[4:5], v[4:5], s[38:39]
	s_branch .LBB203_367
.LBB203_366:
	v_mov_b32_e32 v4, 0
	v_mov_b32_e32 v5, 0
.LBB203_367:
	s_waitcnt vmcnt(0)
	s_delay_alu instid0(VALU_DEP_1)
	v_add_f64 v[0:1], v[0:1], v[4:5]
	v_add_co_u32 v2, vcc_lo, v68, v2
	v_add_co_ci_u32_e32 v3, vcc_lo, v69, v3, vcc_lo
	global_store_b64 v[2:3], v[0:1], off
	s_or_b32 exec_lo, exec_lo, s0
	s_and_b32 s1, s8, s26
	s_delay_alu instid0(SALU_CYCLE_1)
	s_and_saveexec_b32 s0, s1
	s_cbranch_execz .LBB203_261
.LBB203_368:
	scratch_load_b64 v[0:1], off, off offset:456
	v_cmp_ne_u32_e32 vcc_lo, 1, v70
	v_lshlrev_b64 v[2:3], 3, v[50:51]
	s_cbranch_vccnz .LBB203_370
; %bb.369:
	s_delay_alu instid0(VALU_DEP_1) | instskip(NEXT) | instid1(VALU_DEP_2)
	v_add_co_u32 v4, vcc_lo, v71, v2
	v_add_co_ci_u32_e32 v5, vcc_lo, v72, v3, vcc_lo
	flat_load_b64 v[4:5], v[4:5]
	s_waitcnt vmcnt(0) lgkmcnt(0)
	v_mul_f64 v[4:5], v[4:5], s[38:39]
	s_branch .LBB203_371
.LBB203_370:
	v_mov_b32_e32 v4, 0
	v_mov_b32_e32 v5, 0
.LBB203_371:
	s_waitcnt vmcnt(0)
	s_delay_alu instid0(VALU_DEP_1)
	v_add_f64 v[0:1], v[0:1], v[4:5]
	v_add_co_u32 v2, vcc_lo, v68, v2
	v_add_co_ci_u32_e32 v3, vcc_lo, v69, v3, vcc_lo
	global_store_b64 v[2:3], v[0:1], off
	s_or_b32 exec_lo, exec_lo, s0
	s_and_b32 s1, s8, s27
	s_delay_alu instid0(SALU_CYCLE_1)
	s_and_saveexec_b32 s0, s1
	s_cbranch_execz .LBB203_262
.LBB203_372:
	scratch_load_b64 v[0:1], off, off offset:464
	v_cmp_ne_u32_e32 vcc_lo, 1, v70
	v_lshlrev_b64 v[2:3], 3, v[52:53]
	s_cbranch_vccnz .LBB203_374
; %bb.373:
	s_delay_alu instid0(VALU_DEP_1) | instskip(NEXT) | instid1(VALU_DEP_2)
	v_add_co_u32 v4, vcc_lo, v71, v2
	v_add_co_ci_u32_e32 v5, vcc_lo, v72, v3, vcc_lo
	flat_load_b64 v[4:5], v[4:5]
	s_waitcnt vmcnt(0) lgkmcnt(0)
	v_mul_f64 v[4:5], v[4:5], s[38:39]
	s_branch .LBB203_375
.LBB203_374:
	v_mov_b32_e32 v4, 0
	v_mov_b32_e32 v5, 0
.LBB203_375:
	s_waitcnt vmcnt(0)
	s_delay_alu instid0(VALU_DEP_1)
	v_add_f64 v[0:1], v[0:1], v[4:5]
	v_add_co_u32 v2, vcc_lo, v68, v2
	v_add_co_ci_u32_e32 v3, vcc_lo, v69, v3, vcc_lo
	global_store_b64 v[2:3], v[0:1], off
	s_or_b32 exec_lo, exec_lo, s0
	s_and_b32 s1, s8, s28
	s_delay_alu instid0(SALU_CYCLE_1)
	s_and_saveexec_b32 s0, s1
	s_cbranch_execz .LBB203_263
.LBB203_376:
	scratch_load_b64 v[0:1], off, off offset:472
	v_cmp_ne_u32_e32 vcc_lo, 1, v70
	v_lshlrev_b64 v[2:3], 3, v[54:55]
	s_cbranch_vccnz .LBB203_378
; %bb.377:
	s_delay_alu instid0(VALU_DEP_1) | instskip(NEXT) | instid1(VALU_DEP_2)
	v_add_co_u32 v4, vcc_lo, v71, v2
	v_add_co_ci_u32_e32 v5, vcc_lo, v72, v3, vcc_lo
	flat_load_b64 v[4:5], v[4:5]
	s_waitcnt vmcnt(0) lgkmcnt(0)
	v_mul_f64 v[4:5], v[4:5], s[38:39]
	s_branch .LBB203_379
.LBB203_378:
	v_mov_b32_e32 v4, 0
	v_mov_b32_e32 v5, 0
.LBB203_379:
	s_waitcnt vmcnt(0)
	s_delay_alu instid0(VALU_DEP_1)
	v_add_f64 v[0:1], v[0:1], v[4:5]
	v_add_co_u32 v2, vcc_lo, v68, v2
	v_add_co_ci_u32_e32 v3, vcc_lo, v69, v3, vcc_lo
	global_store_b64 v[2:3], v[0:1], off
	s_or_b32 exec_lo, exec_lo, s0
	s_and_b32 s1, s8, s29
	s_delay_alu instid0(SALU_CYCLE_1)
	s_and_saveexec_b32 s0, s1
	s_cbranch_execz .LBB203_264
.LBB203_380:
	scratch_load_b64 v[0:1], off, off offset:480
	v_cmp_ne_u32_e32 vcc_lo, 1, v70
	v_lshlrev_b64 v[2:3], 3, v[56:57]
	s_cbranch_vccnz .LBB203_382
; %bb.381:
	s_delay_alu instid0(VALU_DEP_1) | instskip(NEXT) | instid1(VALU_DEP_2)
	v_add_co_u32 v4, vcc_lo, v71, v2
	v_add_co_ci_u32_e32 v5, vcc_lo, v72, v3, vcc_lo
	flat_load_b64 v[4:5], v[4:5]
	s_waitcnt vmcnt(0) lgkmcnt(0)
	v_mul_f64 v[4:5], v[4:5], s[38:39]
	s_branch .LBB203_383
.LBB203_382:
	v_mov_b32_e32 v4, 0
	v_mov_b32_e32 v5, 0
.LBB203_383:
	s_waitcnt vmcnt(0)
	s_delay_alu instid0(VALU_DEP_1)
	v_add_f64 v[0:1], v[0:1], v[4:5]
	v_add_co_u32 v2, vcc_lo, v68, v2
	v_add_co_ci_u32_e32 v3, vcc_lo, v69, v3, vcc_lo
	global_store_b64 v[2:3], v[0:1], off
	s_or_b32 exec_lo, exec_lo, s0
	s_and_b32 s1, s8, s30
	s_delay_alu instid0(SALU_CYCLE_1)
	s_and_saveexec_b32 s0, s1
	s_cbranch_execz .LBB203_265
.LBB203_384:
	scratch_load_b64 v[0:1], off, off offset:488
	v_cmp_ne_u32_e32 vcc_lo, 1, v70
	v_lshlrev_b64 v[2:3], 3, v[58:59]
	s_cbranch_vccnz .LBB203_386
; %bb.385:
	s_delay_alu instid0(VALU_DEP_1) | instskip(NEXT) | instid1(VALU_DEP_2)
	v_add_co_u32 v4, vcc_lo, v71, v2
	v_add_co_ci_u32_e32 v5, vcc_lo, v72, v3, vcc_lo
	flat_load_b64 v[4:5], v[4:5]
	s_waitcnt vmcnt(0) lgkmcnt(0)
	v_mul_f64 v[4:5], v[4:5], s[38:39]
	s_branch .LBB203_387
.LBB203_386:
	v_mov_b32_e32 v4, 0
	v_mov_b32_e32 v5, 0
.LBB203_387:
	s_waitcnt vmcnt(0)
	s_delay_alu instid0(VALU_DEP_1)
	v_add_f64 v[0:1], v[0:1], v[4:5]
	v_add_co_u32 v2, vcc_lo, v68, v2
	v_add_co_ci_u32_e32 v3, vcc_lo, v69, v3, vcc_lo
	global_store_b64 v[2:3], v[0:1], off
	s_or_b32 exec_lo, exec_lo, s0
	s_and_b32 s1, s8, s31
	s_delay_alu instid0(SALU_CYCLE_1)
	s_and_saveexec_b32 s0, s1
	s_cbranch_execz .LBB203_266
.LBB203_388:
	scratch_load_b64 v[0:1], off, off offset:496
	v_cmp_ne_u32_e32 vcc_lo, 1, v70
	v_lshlrev_b64 v[2:3], 3, v[60:61]
	s_cbranch_vccnz .LBB203_390
; %bb.389:
	s_delay_alu instid0(VALU_DEP_1) | instskip(NEXT) | instid1(VALU_DEP_2)
	v_add_co_u32 v4, vcc_lo, v71, v2
	v_add_co_ci_u32_e32 v5, vcc_lo, v72, v3, vcc_lo
	flat_load_b64 v[4:5], v[4:5]
	s_waitcnt vmcnt(0) lgkmcnt(0)
	v_mul_f64 v[4:5], v[4:5], s[38:39]
	s_branch .LBB203_391
.LBB203_390:
	v_mov_b32_e32 v4, 0
	v_mov_b32_e32 v5, 0
.LBB203_391:
	s_waitcnt vmcnt(0)
	s_delay_alu instid0(VALU_DEP_1)
	v_add_f64 v[0:1], v[0:1], v[4:5]
	v_add_co_u32 v2, vcc_lo, v68, v2
	v_add_co_ci_u32_e32 v3, vcc_lo, v69, v3, vcc_lo
	global_store_b64 v[2:3], v[0:1], off
	s_or_b32 exec_lo, exec_lo, s0
	s_and_b32 s0, s8, s33
	s_delay_alu instid0(SALU_CYCLE_1)
	s_and_saveexec_b32 s1, s0
	s_cbranch_execz .LBB203_267
.LBB203_392:
	scratch_load_b64 v[0:1], off, off offset:504
	v_cmp_ne_u32_e32 vcc_lo, 1, v70
	v_lshlrev_b64 v[2:3], 3, v[62:63]
	s_cbranch_vccnz .LBB203_394
; %bb.393:
	s_delay_alu instid0(VALU_DEP_1) | instskip(NEXT) | instid1(VALU_DEP_2)
	v_add_co_u32 v4, vcc_lo, v71, v2
	v_add_co_ci_u32_e32 v5, vcc_lo, v72, v3, vcc_lo
	flat_load_b64 v[4:5], v[4:5]
	s_waitcnt vmcnt(0) lgkmcnt(0)
	v_mul_f64 v[4:5], v[4:5], s[38:39]
	s_branch .LBB203_395
.LBB203_394:
	v_mov_b32_e32 v4, 0
	v_mov_b32_e32 v5, 0
.LBB203_395:
	s_waitcnt vmcnt(0)
	s_delay_alu instid0(VALU_DEP_1)
	v_add_f64 v[0:1], v[0:1], v[4:5]
	v_add_co_u32 v2, vcc_lo, v68, v2
	v_add_co_ci_u32_e32 v3, vcc_lo, v69, v3, vcc_lo
	global_store_b64 v[2:3], v[0:1], off
	s_endpgm
	.section	.rodata,"a",@progbits
	.p2align	6, 0x0
	.amdhsa_kernel _ZN12_GLOBAL__N_120geam_min_plus_kernelIdddLi4ELi64ELi128ELi128ELi4ELi4ELi64ELi64ELi4ELc84ELc84ELb0ELb1ELb0EdKddEEviiiT16_PT17_ilS4_ilS2_S4_ilPT18_ili26rocblas_geam_ex_operation_
		.amdhsa_group_segment_fixed_size 16384
		.amdhsa_private_segment_fixed_size 528
		.amdhsa_kernarg_size 136
		.amdhsa_user_sgpr_count 14
		.amdhsa_user_sgpr_dispatch_ptr 0
		.amdhsa_user_sgpr_queue_ptr 0
		.amdhsa_user_sgpr_kernarg_segment_ptr 1
		.amdhsa_user_sgpr_dispatch_id 0
		.amdhsa_user_sgpr_private_segment_size 0
		.amdhsa_wavefront_size32 1
		.amdhsa_uses_dynamic_stack 0
		.amdhsa_enable_private_segment 1
		.amdhsa_system_sgpr_workgroup_id_x 1
		.amdhsa_system_sgpr_workgroup_id_y 0
		.amdhsa_system_sgpr_workgroup_id_z 1
		.amdhsa_system_sgpr_workgroup_info 0
		.amdhsa_system_vgpr_workitem_id 1
		.amdhsa_next_free_vgpr 252
		.amdhsa_next_free_sgpr 46
		.amdhsa_reserve_vcc 1
		.amdhsa_float_round_mode_32 0
		.amdhsa_float_round_mode_16_64 0
		.amdhsa_float_denorm_mode_32 3
		.amdhsa_float_denorm_mode_16_64 3
		.amdhsa_dx10_clamp 1
		.amdhsa_ieee_mode 1
		.amdhsa_fp16_overflow 0
		.amdhsa_workgroup_processor_mode 1
		.amdhsa_memory_ordered 1
		.amdhsa_forward_progress 0
		.amdhsa_shared_vgpr_count 0
		.amdhsa_exception_fp_ieee_invalid_op 0
		.amdhsa_exception_fp_denorm_src 0
		.amdhsa_exception_fp_ieee_div_zero 0
		.amdhsa_exception_fp_ieee_overflow 0
		.amdhsa_exception_fp_ieee_underflow 0
		.amdhsa_exception_fp_ieee_inexact 0
		.amdhsa_exception_int_div_zero 0
	.end_amdhsa_kernel
	.section	.text._ZN12_GLOBAL__N_120geam_min_plus_kernelIdddLi4ELi64ELi128ELi128ELi4ELi4ELi64ELi64ELi4ELc84ELc84ELb0ELb1ELb0EdKddEEviiiT16_PT17_ilS4_ilS2_S4_ilPT18_ili26rocblas_geam_ex_operation_,"axG",@progbits,_ZN12_GLOBAL__N_120geam_min_plus_kernelIdddLi4ELi64ELi128ELi128ELi4ELi4ELi64ELi64ELi4ELc84ELc84ELb0ELb1ELb0EdKddEEviiiT16_PT17_ilS4_ilS2_S4_ilPT18_ili26rocblas_geam_ex_operation_,comdat
.Lfunc_end203:
	.size	_ZN12_GLOBAL__N_120geam_min_plus_kernelIdddLi4ELi64ELi128ELi128ELi4ELi4ELi64ELi64ELi4ELc84ELc84ELb0ELb1ELb0EdKddEEviiiT16_PT17_ilS4_ilS2_S4_ilPT18_ili26rocblas_geam_ex_operation_, .Lfunc_end203-_ZN12_GLOBAL__N_120geam_min_plus_kernelIdddLi4ELi64ELi128ELi128ELi4ELi4ELi64ELi64ELi4ELc84ELc84ELb0ELb1ELb0EdKddEEviiiT16_PT17_ilS4_ilS2_S4_ilPT18_ili26rocblas_geam_ex_operation_
                                        ; -- End function
	.section	.AMDGPU.csdata,"",@progbits
; Kernel info:
; codeLenInByte = 47360
; NumSgprs: 48
; NumVgprs: 252
; ScratchSize: 528
; MemoryBound: 1
; FloatMode: 240
; IeeeMode: 1
; LDSByteSize: 16384 bytes/workgroup (compile time only)
; SGPRBlocks: 5
; VGPRBlocks: 31
; NumSGPRsForWavesPerEU: 48
; NumVGPRsForWavesPerEU: 252
; Occupancy: 5
; WaveLimiterHint : 1
; COMPUTE_PGM_RSRC2:SCRATCH_EN: 1
; COMPUTE_PGM_RSRC2:USER_SGPR: 14
; COMPUTE_PGM_RSRC2:TRAP_HANDLER: 0
; COMPUTE_PGM_RSRC2:TGID_X_EN: 1
; COMPUTE_PGM_RSRC2:TGID_Y_EN: 0
; COMPUTE_PGM_RSRC2:TGID_Z_EN: 1
; COMPUTE_PGM_RSRC2:TIDIG_COMP_CNT: 1
	.section	.text._ZN12_GLOBAL__N_120geam_ex_scale_kernelILi32ELi32EDF16_DF16_PKPKDF16_PKPDF16_EEviiT2_T3_lilT4_lil,"axG",@progbits,_ZN12_GLOBAL__N_120geam_ex_scale_kernelILi32ELi32EDF16_DF16_PKPKDF16_PKPDF16_EEviiT2_T3_lilT4_lil,comdat
	.globl	_ZN12_GLOBAL__N_120geam_ex_scale_kernelILi32ELi32EDF16_DF16_PKPKDF16_PKPDF16_EEviiT2_T3_lilT4_lil ; -- Begin function _ZN12_GLOBAL__N_120geam_ex_scale_kernelILi32ELi32EDF16_DF16_PKPKDF16_PKPDF16_EEviiT2_T3_lilT4_lil
	.p2align	8
	.type	_ZN12_GLOBAL__N_120geam_ex_scale_kernelILi32ELi32EDF16_DF16_PKPKDF16_PKPDF16_EEviiT2_T3_lilT4_lil,@function
_ZN12_GLOBAL__N_120geam_ex_scale_kernelILi32ELi32EDF16_DF16_PKPKDF16_PKPDF16_EEviiT2_T3_lilT4_lil: ; @_ZN12_GLOBAL__N_120geam_ex_scale_kernelILi32ELi32EDF16_DF16_PKPKDF16_PKPDF16_EEviiT2_T3_lilT4_lil
; %bb.0:
	s_load_b128 s[4:7], s[0:1], 0x0
	s_mov_b32 s16, s15
	s_mov_b32 s17, 0
	s_waitcnt lgkmcnt(0)
	v_cmp_eq_f16_e64 s7, s6, 0
	s_delay_alu instid0(VALU_DEP_1)
	s_and_b32 vcc_lo, exec_lo, s7
	s_cbranch_vccnz .LBB204_2
; %bb.1:
	s_load_b128 s[8:11], s[0:1], 0x10
	s_lshl_b64 s[2:3], s[16:17], 3
	s_waitcnt lgkmcnt(0)
	s_add_u32 s2, s8, s2
	s_addc_u32 s3, s9, s3
	s_lshl_b64 s[8:9], s[10:11], 1
	s_load_b64 s[2:3], s[2:3], 0x0
	s_waitcnt lgkmcnt(0)
	s_add_u32 s12, s2, s8
	s_addc_u32 s13, s3, s9
	s_branch .LBB204_3
.LBB204_2:
	s_mov_b64 s[12:13], 0
.LBB204_3:
	s_add_i32 s2, s4, -1
	v_bfe_u32 v2, v0, 10, 10
	s_ashr_i32 s3, s2, 31
	s_delay_alu instid0(SALU_CYCLE_1) | instskip(NEXT) | instid1(SALU_CYCLE_1)
	s_lshr_b32 s3, s3, 27
	s_add_i32 s2, s2, s3
	s_delay_alu instid0(SALU_CYCLE_1) | instskip(NEXT) | instid1(SALU_CYCLE_1)
	s_ashr_i32 s2, s2, 5
	s_add_i32 s3, s2, 1
	s_not_b32 s2, s2
	v_cvt_f32_u32_e32 v1, s3
	s_delay_alu instid0(VALU_DEP_1) | instskip(SKIP_2) | instid1(VALU_DEP_1)
	v_rcp_iflag_f32_e32 v1, v1
	s_waitcnt_depctr 0xfff
	v_mul_f32_e32 v1, 0x4f7ffffe, v1
	v_cvt_u32_f32_e32 v1, v1
	s_delay_alu instid0(VALU_DEP_1) | instskip(SKIP_1) | instid1(VALU_DEP_2)
	v_readfirstlane_b32 s8, v1
	v_and_b32_e32 v1, 0x3ff, v0
	s_mul_i32 s2, s2, s8
	s_delay_alu instid0(SALU_CYCLE_1) | instskip(NEXT) | instid1(SALU_CYCLE_1)
	s_mul_hi_u32 s2, s8, s2
	s_add_i32 s8, s8, s2
	s_delay_alu instid0(SALU_CYCLE_1) | instskip(NEXT) | instid1(SALU_CYCLE_1)
	s_mul_hi_u32 s2, s14, s8
	s_mul_i32 s8, s2, s3
	s_add_i32 s9, s2, 1
	s_sub_i32 s8, s14, s8
	s_delay_alu instid0(SALU_CYCLE_1)
	s_sub_i32 s10, s8, s3
	s_cmp_ge_u32 s8, s3
	s_cselect_b32 s2, s9, s2
	s_cselect_b32 s8, s10, s8
	s_add_i32 s9, s2, 1
	s_cmp_ge_u32 s8, s3
	s_cselect_b32 s2, s9, s2
	s_delay_alu instid0(SALU_CYCLE_1) | instskip(SKIP_2) | instid1(SALU_CYCLE_1)
	s_mul_i32 s3, s2, s3
	v_lshl_add_u32 v2, s2, 5, v2
	s_sub_i32 s3, s14, s3
	v_lshl_add_u32 v0, s3, 5, v1
	s_delay_alu instid0(VALU_DEP_2) | instskip(NEXT) | instid1(VALU_DEP_2)
	v_cmp_gt_u32_e64 s2, s5, v2
	v_cmp_gt_u32_e32 vcc_lo, s4, v0
	s_mov_b32 s4, -1
	s_delay_alu instid0(VALU_DEP_2) | instskip(NEXT) | instid1(SALU_CYCLE_1)
	s_and_b32 s2, vcc_lo, s2
	s_and_saveexec_b32 s3, s2
	s_cbranch_execz .LBB204_9
; %bb.4:
	s_load_b128 s[8:11], s[0:1], 0x30
	s_lshl_b64 s[2:3], s[16:17], 3
	s_waitcnt lgkmcnt(0)
	s_add_u32 s2, s8, s2
	s_addc_u32 s3, s9, s3
	s_and_not1_b32 vcc_lo, exec_lo, s7
	s_load_b64 s[2:3], s[2:3], 0x0
	s_cbranch_vccnz .LBB204_6
; %bb.5:
	v_mov_b32_e32 v1, 0
	s_mov_b32 s4, 0
.LBB204_6:
	s_delay_alu instid0(SALU_CYCLE_1) | instskip(NEXT) | instid1(VALU_DEP_1)
	v_cndmask_b32_e64 v3, 0, 1, s4
	v_cmp_ne_u32_e32 vcc_lo, 1, v3
	v_mov_b32_e32 v3, s4
	s_cbranch_vccnz .LBB204_8
; %bb.7:
	s_load_b32 s4, s[0:1], 0x20
	v_mov_b32_e32 v1, 0
	s_waitcnt lgkmcnt(0)
	s_delay_alu instid0(VALU_DEP_1)
	v_mad_u64_u32 v[3:4], null, v2, s4, v[0:1]
	s_ashr_i32 s4, s4, 31
	s_delay_alu instid0(VALU_DEP_1) | instid1(SALU_CYCLE_1)
	v_mad_u64_u32 v[5:6], null, v2, s4, v[4:5]
	s_delay_alu instid0(VALU_DEP_1) | instskip(NEXT) | instid1(VALU_DEP_1)
	v_mov_b32_e32 v4, v5
	v_lshlrev_b64 v[3:4], 1, v[3:4]
	s_delay_alu instid0(VALU_DEP_1) | instskip(NEXT) | instid1(VALU_DEP_2)
	v_add_co_u32 v3, vcc_lo, s12, v3
	v_add_co_ci_u32_e32 v4, vcc_lo, s13, v4, vcc_lo
	flat_load_u16 v3, v[3:4]
	s_waitcnt vmcnt(0) lgkmcnt(0)
	v_mul_f16_e32 v3, s6, v3
.LBB204_8:
	s_load_b32 s4, s[0:1], 0x40
	s_lshl_b64 s[0:1], s[10:11], 1
	v_lshlrev_b64 v[0:1], 1, v[0:1]
	s_waitcnt lgkmcnt(0)
	s_add_u32 s0, s2, s0
	s_addc_u32 s1, s3, s1
	v_mad_u64_u32 v[4:5], null, v2, s4, 0
	s_ashr_i32 s2, s4, 31
	s_delay_alu instid0(VALU_DEP_1) | instid1(SALU_CYCLE_1)
	v_mad_u64_u32 v[6:7], null, v2, s2, v[5:6]
	s_delay_alu instid0(VALU_DEP_1) | instskip(NEXT) | instid1(VALU_DEP_1)
	v_mov_b32_e32 v5, v6
	v_lshlrev_b64 v[4:5], 1, v[4:5]
	s_delay_alu instid0(VALU_DEP_1) | instskip(NEXT) | instid1(VALU_DEP_2)
	v_add_co_u32 v2, vcc_lo, s0, v4
	v_add_co_ci_u32_e32 v4, vcc_lo, s1, v5, vcc_lo
	s_delay_alu instid0(VALU_DEP_2) | instskip(NEXT) | instid1(VALU_DEP_2)
	v_add_co_u32 v0, vcc_lo, v2, v0
	v_add_co_ci_u32_e32 v1, vcc_lo, v4, v1, vcc_lo
	global_store_b16 v[0:1], v3, off
.LBB204_9:
	s_nop 0
	s_sendmsg sendmsg(MSG_DEALLOC_VGPRS)
	s_endpgm
	.section	.rodata,"a",@progbits
	.p2align	6, 0x0
	.amdhsa_kernel _ZN12_GLOBAL__N_120geam_ex_scale_kernelILi32ELi32EDF16_DF16_PKPKDF16_PKPDF16_EEviiT2_T3_lilT4_lil
		.amdhsa_group_segment_fixed_size 0
		.amdhsa_private_segment_fixed_size 0
		.amdhsa_kernarg_size 80
		.amdhsa_user_sgpr_count 14
		.amdhsa_user_sgpr_dispatch_ptr 0
		.amdhsa_user_sgpr_queue_ptr 0
		.amdhsa_user_sgpr_kernarg_segment_ptr 1
		.amdhsa_user_sgpr_dispatch_id 0
		.amdhsa_user_sgpr_private_segment_size 0
		.amdhsa_wavefront_size32 1
		.amdhsa_uses_dynamic_stack 0
		.amdhsa_enable_private_segment 0
		.amdhsa_system_sgpr_workgroup_id_x 1
		.amdhsa_system_sgpr_workgroup_id_y 0
		.amdhsa_system_sgpr_workgroup_id_z 1
		.amdhsa_system_sgpr_workgroup_info 0
		.amdhsa_system_vgpr_workitem_id 1
		.amdhsa_next_free_vgpr 8
		.amdhsa_next_free_sgpr 18
		.amdhsa_reserve_vcc 1
		.amdhsa_float_round_mode_32 0
		.amdhsa_float_round_mode_16_64 0
		.amdhsa_float_denorm_mode_32 3
		.amdhsa_float_denorm_mode_16_64 3
		.amdhsa_dx10_clamp 1
		.amdhsa_ieee_mode 1
		.amdhsa_fp16_overflow 0
		.amdhsa_workgroup_processor_mode 1
		.amdhsa_memory_ordered 1
		.amdhsa_forward_progress 0
		.amdhsa_shared_vgpr_count 0
		.amdhsa_exception_fp_ieee_invalid_op 0
		.amdhsa_exception_fp_denorm_src 0
		.amdhsa_exception_fp_ieee_div_zero 0
		.amdhsa_exception_fp_ieee_overflow 0
		.amdhsa_exception_fp_ieee_underflow 0
		.amdhsa_exception_fp_ieee_inexact 0
		.amdhsa_exception_int_div_zero 0
	.end_amdhsa_kernel
	.section	.text._ZN12_GLOBAL__N_120geam_ex_scale_kernelILi32ELi32EDF16_DF16_PKPKDF16_PKPDF16_EEviiT2_T3_lilT4_lil,"axG",@progbits,_ZN12_GLOBAL__N_120geam_ex_scale_kernelILi32ELi32EDF16_DF16_PKPKDF16_PKPDF16_EEviiT2_T3_lilT4_lil,comdat
.Lfunc_end204:
	.size	_ZN12_GLOBAL__N_120geam_ex_scale_kernelILi32ELi32EDF16_DF16_PKPKDF16_PKPDF16_EEviiT2_T3_lilT4_lil, .Lfunc_end204-_ZN12_GLOBAL__N_120geam_ex_scale_kernelILi32ELi32EDF16_DF16_PKPKDF16_PKPDF16_EEviiT2_T3_lilT4_lil
                                        ; -- End function
	.section	.AMDGPU.csdata,"",@progbits
; Kernel info:
; codeLenInByte = 604
; NumSgprs: 20
; NumVgprs: 8
; ScratchSize: 0
; MemoryBound: 0
; FloatMode: 240
; IeeeMode: 1
; LDSByteSize: 0 bytes/workgroup (compile time only)
; SGPRBlocks: 2
; VGPRBlocks: 0
; NumSGPRsForWavesPerEU: 20
; NumVGPRsForWavesPerEU: 8
; Occupancy: 16
; WaveLimiterHint : 1
; COMPUTE_PGM_RSRC2:SCRATCH_EN: 0
; COMPUTE_PGM_RSRC2:USER_SGPR: 14
; COMPUTE_PGM_RSRC2:TRAP_HANDLER: 0
; COMPUTE_PGM_RSRC2:TGID_X_EN: 1
; COMPUTE_PGM_RSRC2:TGID_Y_EN: 0
; COMPUTE_PGM_RSRC2:TGID_Z_EN: 1
; COMPUTE_PGM_RSRC2:TIDIG_COMP_CNT: 1
	.section	.text._ZN12_GLOBAL__N_120geam_ex_scale_kernelILi32ELi32EDF16_PKDF16_PKS2_PKPDF16_EEviiT2_T3_lilT4_lil,"axG",@progbits,_ZN12_GLOBAL__N_120geam_ex_scale_kernelILi32ELi32EDF16_PKDF16_PKS2_PKPDF16_EEviiT2_T3_lilT4_lil,comdat
	.globl	_ZN12_GLOBAL__N_120geam_ex_scale_kernelILi32ELi32EDF16_PKDF16_PKS2_PKPDF16_EEviiT2_T3_lilT4_lil ; -- Begin function _ZN12_GLOBAL__N_120geam_ex_scale_kernelILi32ELi32EDF16_PKDF16_PKS2_PKPDF16_EEviiT2_T3_lilT4_lil
	.p2align	8
	.type	_ZN12_GLOBAL__N_120geam_ex_scale_kernelILi32ELi32EDF16_PKDF16_PKS2_PKPDF16_EEviiT2_T3_lilT4_lil,@function
_ZN12_GLOBAL__N_120geam_ex_scale_kernelILi32ELi32EDF16_PKDF16_PKS2_PKPDF16_EEviiT2_T3_lilT4_lil: ; @_ZN12_GLOBAL__N_120geam_ex_scale_kernelILi32ELi32EDF16_PKDF16_PKS2_PKPDF16_EEviiT2_T3_lilT4_lil
; %bb.0:
	s_load_b128 s[4:7], s[0:1], 0x8
	v_mov_b32_e32 v1, 0
	s_mov_b32 s10, s15
	s_mov_b32 s11, 0
	s_waitcnt lgkmcnt(0)
	global_load_u16 v2, v1, s[4:5]
	s_waitcnt vmcnt(0)
	v_cmp_eq_f16_e64 s2, 0, v2
	s_delay_alu instid0(VALU_DEP_1)
	s_and_b32 vcc_lo, exec_lo, s2
	s_cbranch_vccnz .LBB205_2
; %bb.1:
	s_lshl_b64 s[4:5], s[10:11], 3
	s_load_b64 s[8:9], s[0:1], 0x18
	s_add_u32 s4, s6, s4
	s_addc_u32 s5, s7, s5
	s_load_b64 s[4:5], s[4:5], 0x0
	s_waitcnt lgkmcnt(0)
	s_lshl_b64 s[6:7], s[8:9], 1
	s_delay_alu instid0(SALU_CYCLE_1)
	s_add_u32 s8, s4, s6
	s_addc_u32 s9, s5, s7
	s_branch .LBB205_3
.LBB205_2:
	s_mov_b64 s[8:9], 0
.LBB205_3:
	s_load_b64 s[4:5], s[0:1], 0x0
	v_bfe_u32 v3, v0, 10, 10
	s_waitcnt lgkmcnt(0)
	s_add_i32 s3, s4, -1
	s_delay_alu instid0(SALU_CYCLE_1) | instskip(NEXT) | instid1(SALU_CYCLE_1)
	s_ashr_i32 s6, s3, 31
	s_lshr_b32 s6, s6, 27
	s_delay_alu instid0(SALU_CYCLE_1) | instskip(NEXT) | instid1(SALU_CYCLE_1)
	s_add_i32 s3, s3, s6
	s_ashr_i32 s3, s3, 5
	s_delay_alu instid0(SALU_CYCLE_1) | instskip(SKIP_2) | instid1(VALU_DEP_1)
	s_add_i32 s6, s3, 1
	s_not_b32 s3, s3
	v_cvt_f32_u32_e32 v1, s6
	v_rcp_iflag_f32_e32 v1, v1
	s_waitcnt_depctr 0xfff
	v_mul_f32_e32 v1, 0x4f7ffffe, v1
	s_delay_alu instid0(VALU_DEP_1) | instskip(NEXT) | instid1(VALU_DEP_1)
	v_cvt_u32_f32_e32 v1, v1
	v_readfirstlane_b32 s7, v1
	v_and_b32_e32 v1, 0x3ff, v0
	s_delay_alu instid0(VALU_DEP_2) | instskip(NEXT) | instid1(SALU_CYCLE_1)
	s_mul_i32 s3, s3, s7
	s_mul_hi_u32 s3, s7, s3
	s_delay_alu instid0(SALU_CYCLE_1) | instskip(NEXT) | instid1(SALU_CYCLE_1)
	s_add_i32 s7, s7, s3
	s_mul_hi_u32 s3, s14, s7
	s_delay_alu instid0(SALU_CYCLE_1) | instskip(SKIP_2) | instid1(SALU_CYCLE_1)
	s_mul_i32 s7, s3, s6
	s_add_i32 s12, s3, 1
	s_sub_i32 s7, s14, s7
	s_sub_i32 s13, s7, s6
	s_cmp_ge_u32 s7, s6
	s_cselect_b32 s3, s12, s3
	s_cselect_b32 s7, s13, s7
	s_add_i32 s12, s3, 1
	s_cmp_ge_u32 s7, s6
	s_cselect_b32 s3, s12, s3
	s_mov_b32 s12, -1
	s_mul_i32 s6, s3, s6
	v_lshl_add_u32 v3, s3, 5, v3
	s_sub_i32 s6, s14, s6
	s_delay_alu instid0(SALU_CYCLE_1) | instskip(NEXT) | instid1(VALU_DEP_2)
	v_lshl_add_u32 v0, s6, 5, v1
	v_cmp_gt_u32_e64 s3, s5, v3
	s_delay_alu instid0(VALU_DEP_2) | instskip(NEXT) | instid1(VALU_DEP_2)
	v_cmp_gt_u32_e32 vcc_lo, s4, v0
	s_and_b32 s3, vcc_lo, s3
	s_delay_alu instid0(SALU_CYCLE_1)
	s_and_saveexec_b32 s4, s3
	s_cbranch_execz .LBB205_9
; %bb.4:
	s_load_b128 s[4:7], s[0:1], 0x30
	s_lshl_b64 s[10:11], s[10:11], 3
	s_waitcnt lgkmcnt(0)
	s_add_u32 s4, s4, s10
	s_addc_u32 s5, s5, s11
	s_and_not1_b32 vcc_lo, exec_lo, s2
	s_load_b64 s[4:5], s[4:5], 0x0
	s_cbranch_vccnz .LBB205_6
; %bb.5:
	v_mov_b32_e32 v1, 0
	s_mov_b32 s12, 0
.LBB205_6:
	s_delay_alu instid0(SALU_CYCLE_1) | instskip(NEXT) | instid1(VALU_DEP_1)
	v_cndmask_b32_e64 v4, 0, 1, s12
	v_cmp_ne_u32_e32 vcc_lo, 1, v4
	v_mov_b32_e32 v4, s12
	s_cbranch_vccnz .LBB205_8
; %bb.7:
	s_load_b32 s2, s[0:1], 0x20
	v_mov_b32_e32 v1, 0
	s_waitcnt lgkmcnt(0)
	s_delay_alu instid0(VALU_DEP_1)
	v_mad_u64_u32 v[4:5], null, v3, s2, v[0:1]
	s_ashr_i32 s2, s2, 31
	s_delay_alu instid0(VALU_DEP_1) | instid1(SALU_CYCLE_1)
	v_mad_u64_u32 v[6:7], null, v3, s2, v[5:6]
	s_delay_alu instid0(VALU_DEP_1) | instskip(NEXT) | instid1(VALU_DEP_1)
	v_mov_b32_e32 v5, v6
	v_lshlrev_b64 v[4:5], 1, v[4:5]
	s_delay_alu instid0(VALU_DEP_1) | instskip(NEXT) | instid1(VALU_DEP_2)
	v_add_co_u32 v4, vcc_lo, s8, v4
	v_add_co_ci_u32_e32 v5, vcc_lo, s9, v5, vcc_lo
	flat_load_u16 v4, v[4:5]
	s_waitcnt vmcnt(0) lgkmcnt(0)
	v_mul_f16_e32 v4, v2, v4
.LBB205_8:
	s_load_b32 s2, s[0:1], 0x40
	s_lshl_b64 s[0:1], s[6:7], 1
	v_lshlrev_b64 v[0:1], 1, v[0:1]
	s_waitcnt lgkmcnt(0)
	s_add_u32 s0, s4, s0
	s_addc_u32 s1, s5, s1
	v_mad_u64_u32 v[5:6], null, v3, s2, 0
	s_ashr_i32 s2, s2, 31
	s_delay_alu instid0(VALU_DEP_1) | instskip(NEXT) | instid1(VALU_DEP_1)
	v_mov_b32_e32 v2, v6
	v_mad_u64_u32 v[6:7], null, v3, s2, v[2:3]
	s_delay_alu instid0(VALU_DEP_1) | instskip(NEXT) | instid1(VALU_DEP_1)
	v_lshlrev_b64 v[2:3], 1, v[5:6]
	v_add_co_u32 v2, vcc_lo, s0, v2
	s_delay_alu instid0(VALU_DEP_2) | instskip(NEXT) | instid1(VALU_DEP_2)
	v_add_co_ci_u32_e32 v3, vcc_lo, s1, v3, vcc_lo
	v_add_co_u32 v0, vcc_lo, v2, v0
	s_delay_alu instid0(VALU_DEP_2)
	v_add_co_ci_u32_e32 v1, vcc_lo, v3, v1, vcc_lo
	global_store_b16 v[0:1], v4, off
.LBB205_9:
	s_nop 0
	s_sendmsg sendmsg(MSG_DEALLOC_VGPRS)
	s_endpgm
	.section	.rodata,"a",@progbits
	.p2align	6, 0x0
	.amdhsa_kernel _ZN12_GLOBAL__N_120geam_ex_scale_kernelILi32ELi32EDF16_PKDF16_PKS2_PKPDF16_EEviiT2_T3_lilT4_lil
		.amdhsa_group_segment_fixed_size 0
		.amdhsa_private_segment_fixed_size 0
		.amdhsa_kernarg_size 80
		.amdhsa_user_sgpr_count 14
		.amdhsa_user_sgpr_dispatch_ptr 0
		.amdhsa_user_sgpr_queue_ptr 0
		.amdhsa_user_sgpr_kernarg_segment_ptr 1
		.amdhsa_user_sgpr_dispatch_id 0
		.amdhsa_user_sgpr_private_segment_size 0
		.amdhsa_wavefront_size32 1
		.amdhsa_uses_dynamic_stack 0
		.amdhsa_enable_private_segment 0
		.amdhsa_system_sgpr_workgroup_id_x 1
		.amdhsa_system_sgpr_workgroup_id_y 0
		.amdhsa_system_sgpr_workgroup_id_z 1
		.amdhsa_system_sgpr_workgroup_info 0
		.amdhsa_system_vgpr_workitem_id 1
		.amdhsa_next_free_vgpr 8
		.amdhsa_next_free_sgpr 16
		.amdhsa_reserve_vcc 1
		.amdhsa_float_round_mode_32 0
		.amdhsa_float_round_mode_16_64 0
		.amdhsa_float_denorm_mode_32 3
		.amdhsa_float_denorm_mode_16_64 3
		.amdhsa_dx10_clamp 1
		.amdhsa_ieee_mode 1
		.amdhsa_fp16_overflow 0
		.amdhsa_workgroup_processor_mode 1
		.amdhsa_memory_ordered 1
		.amdhsa_forward_progress 0
		.amdhsa_shared_vgpr_count 0
		.amdhsa_exception_fp_ieee_invalid_op 0
		.amdhsa_exception_fp_denorm_src 0
		.amdhsa_exception_fp_ieee_div_zero 0
		.amdhsa_exception_fp_ieee_overflow 0
		.amdhsa_exception_fp_ieee_underflow 0
		.amdhsa_exception_fp_ieee_inexact 0
		.amdhsa_exception_int_div_zero 0
	.end_amdhsa_kernel
	.section	.text._ZN12_GLOBAL__N_120geam_ex_scale_kernelILi32ELi32EDF16_PKDF16_PKS2_PKPDF16_EEviiT2_T3_lilT4_lil,"axG",@progbits,_ZN12_GLOBAL__N_120geam_ex_scale_kernelILi32ELi32EDF16_PKDF16_PKS2_PKPDF16_EEviiT2_T3_lilT4_lil,comdat
.Lfunc_end205:
	.size	_ZN12_GLOBAL__N_120geam_ex_scale_kernelILi32ELi32EDF16_PKDF16_PKS2_PKPDF16_EEviiT2_T3_lilT4_lil, .Lfunc_end205-_ZN12_GLOBAL__N_120geam_ex_scale_kernelILi32ELi32EDF16_PKDF16_PKS2_PKPDF16_EEviiT2_T3_lilT4_lil
                                        ; -- End function
	.section	.AMDGPU.csdata,"",@progbits
; Kernel info:
; codeLenInByte = 632
; NumSgprs: 18
; NumVgprs: 8
; ScratchSize: 0
; MemoryBound: 0
; FloatMode: 240
; IeeeMode: 1
; LDSByteSize: 0 bytes/workgroup (compile time only)
; SGPRBlocks: 2
; VGPRBlocks: 0
; NumSGPRsForWavesPerEU: 18
; NumVGPRsForWavesPerEU: 8
; Occupancy: 16
; WaveLimiterHint : 1
; COMPUTE_PGM_RSRC2:SCRATCH_EN: 0
; COMPUTE_PGM_RSRC2:USER_SGPR: 14
; COMPUTE_PGM_RSRC2:TRAP_HANDLER: 0
; COMPUTE_PGM_RSRC2:TGID_X_EN: 1
; COMPUTE_PGM_RSRC2:TGID_Y_EN: 0
; COMPUTE_PGM_RSRC2:TGID_Z_EN: 1
; COMPUTE_PGM_RSRC2:TIDIG_COMP_CNT: 1
	.section	.text._ZN12_GLOBAL__N_120geam_ex_round_kernelILi32ELi32EDF16_DF16_PKPKDF16_PKPDF16_EEviiT2_T3_lilT4_lil,"axG",@progbits,_ZN12_GLOBAL__N_120geam_ex_round_kernelILi32ELi32EDF16_DF16_PKPKDF16_PKPDF16_EEviiT2_T3_lilT4_lil,comdat
	.globl	_ZN12_GLOBAL__N_120geam_ex_round_kernelILi32ELi32EDF16_DF16_PKPKDF16_PKPDF16_EEviiT2_T3_lilT4_lil ; -- Begin function _ZN12_GLOBAL__N_120geam_ex_round_kernelILi32ELi32EDF16_DF16_PKPKDF16_PKPDF16_EEviiT2_T3_lilT4_lil
	.p2align	8
	.type	_ZN12_GLOBAL__N_120geam_ex_round_kernelILi32ELi32EDF16_DF16_PKPKDF16_PKPDF16_EEviiT2_T3_lilT4_lil,@function
_ZN12_GLOBAL__N_120geam_ex_round_kernelILi32ELi32EDF16_DF16_PKPKDF16_PKPDF16_EEviiT2_T3_lilT4_lil: ; @_ZN12_GLOBAL__N_120geam_ex_round_kernelILi32ELi32EDF16_DF16_PKPKDF16_PKPDF16_EEviiT2_T3_lilT4_lil
; %bb.0:
	s_load_b128 s[4:7], s[0:1], 0x0
	s_mov_b32 s16, s15
	s_mov_b32 s17, 0
	s_waitcnt lgkmcnt(0)
	v_cmp_eq_f16_e64 s7, s6, 0
	s_delay_alu instid0(VALU_DEP_1)
	s_and_b32 vcc_lo, exec_lo, s7
	s_cbranch_vccnz .LBB206_2
; %bb.1:
	s_load_b128 s[8:11], s[0:1], 0x10
	s_lshl_b64 s[2:3], s[16:17], 3
	s_waitcnt lgkmcnt(0)
	s_add_u32 s2, s8, s2
	s_addc_u32 s3, s9, s3
	s_lshl_b64 s[8:9], s[10:11], 1
	s_load_b64 s[2:3], s[2:3], 0x0
	s_waitcnt lgkmcnt(0)
	s_add_u32 s12, s2, s8
	s_addc_u32 s13, s3, s9
	s_branch .LBB206_3
.LBB206_2:
	s_mov_b64 s[12:13], 0
.LBB206_3:
	s_add_i32 s2, s4, -1
	v_bfe_u32 v2, v0, 10, 10
	s_ashr_i32 s3, s2, 31
	s_delay_alu instid0(SALU_CYCLE_1) | instskip(NEXT) | instid1(SALU_CYCLE_1)
	s_lshr_b32 s3, s3, 27
	s_add_i32 s2, s2, s3
	s_delay_alu instid0(SALU_CYCLE_1) | instskip(NEXT) | instid1(SALU_CYCLE_1)
	s_ashr_i32 s2, s2, 5
	s_add_i32 s3, s2, 1
	s_not_b32 s2, s2
	v_cvt_f32_u32_e32 v1, s3
	s_delay_alu instid0(VALU_DEP_1) | instskip(SKIP_2) | instid1(VALU_DEP_1)
	v_rcp_iflag_f32_e32 v1, v1
	s_waitcnt_depctr 0xfff
	v_mul_f32_e32 v1, 0x4f7ffffe, v1
	v_cvt_u32_f32_e32 v1, v1
	s_delay_alu instid0(VALU_DEP_1) | instskip(SKIP_1) | instid1(VALU_DEP_2)
	v_readfirstlane_b32 s8, v1
	v_and_b32_e32 v1, 0x3ff, v0
	s_mul_i32 s2, s2, s8
	s_delay_alu instid0(SALU_CYCLE_1) | instskip(NEXT) | instid1(SALU_CYCLE_1)
	s_mul_hi_u32 s2, s8, s2
	s_add_i32 s8, s8, s2
	s_delay_alu instid0(SALU_CYCLE_1) | instskip(NEXT) | instid1(SALU_CYCLE_1)
	s_mul_hi_u32 s2, s14, s8
	s_mul_i32 s8, s2, s3
	s_add_i32 s9, s2, 1
	s_sub_i32 s8, s14, s8
	s_delay_alu instid0(SALU_CYCLE_1)
	s_sub_i32 s10, s8, s3
	s_cmp_ge_u32 s8, s3
	s_cselect_b32 s2, s9, s2
	s_cselect_b32 s8, s10, s8
	s_add_i32 s9, s2, 1
	s_cmp_ge_u32 s8, s3
	s_cselect_b32 s2, s9, s2
	s_delay_alu instid0(SALU_CYCLE_1) | instskip(SKIP_2) | instid1(SALU_CYCLE_1)
	s_mul_i32 s3, s2, s3
	v_lshl_add_u32 v3, s2, 5, v2
	s_sub_i32 s3, s14, s3
	v_lshl_add_u32 v0, s3, 5, v1
	s_delay_alu instid0(VALU_DEP_2) | instskip(NEXT) | instid1(VALU_DEP_2)
	v_cmp_gt_u32_e64 s2, s5, v3
	v_cmp_gt_u32_e32 vcc_lo, s4, v0
	s_mov_b32 s4, -1
	s_delay_alu instid0(VALU_DEP_2) | instskip(NEXT) | instid1(SALU_CYCLE_1)
	s_and_b32 s2, vcc_lo, s2
	s_and_saveexec_b32 s3, s2
	s_cbranch_execz .LBB206_10
; %bb.4:
	s_load_b128 s[8:11], s[0:1], 0x30
	s_lshl_b64 s[2:3], s[16:17], 3
	s_waitcnt lgkmcnt(0)
	s_add_u32 s2, s8, s2
	s_addc_u32 s3, s9, s3
	s_and_not1_b32 vcc_lo, exec_lo, s7
	s_load_b64 s[2:3], s[2:3], 0x0
	s_cbranch_vccnz .LBB206_6
; %bb.5:
	v_mov_b32_e32 v2, 0
	s_mov_b32 s4, 0
	s_delay_alu instid0(VALU_DEP_1)
	v_mov_b32_e32 v1, v2
	s_branch .LBB206_7
.LBB206_6:
                                        ; implicit-def: $vgpr1_vgpr2
.LBB206_7:
	v_cndmask_b32_e64 v4, 0, 1, s4
	s_delay_alu instid0(VALU_DEP_1)
	v_cmp_ne_u32_e32 vcc_lo, 1, v4
	v_mov_b32_e32 v4, s4
	s_cbranch_vccnz .LBB206_9
; %bb.8:
	s_load_b32 s4, s[0:1], 0x20
	v_mov_b32_e32 v2, 0
	s_delay_alu instid0(VALU_DEP_1) | instskip(SKIP_1) | instid1(VALU_DEP_1)
	v_mov_b32_e32 v1, v2
	s_waitcnt lgkmcnt(0)
	v_mad_u64_u32 v[4:5], null, v3, s4, v[0:1]
	s_ashr_i32 s4, s4, 31
	s_delay_alu instid0(VALU_DEP_1) | instid1(SALU_CYCLE_1)
	v_mad_u64_u32 v[6:7], null, v3, s4, v[5:6]
	s_delay_alu instid0(VALU_DEP_1) | instskip(NEXT) | instid1(VALU_DEP_1)
	v_mov_b32_e32 v5, v6
	v_lshlrev_b64 v[4:5], 1, v[4:5]
	s_delay_alu instid0(VALU_DEP_1) | instskip(NEXT) | instid1(VALU_DEP_2)
	v_add_co_u32 v4, vcc_lo, s12, v4
	v_add_co_ci_u32_e32 v5, vcc_lo, s13, v5, vcc_lo
	flat_load_u16 v4, v[4:5]
	s_waitcnt vmcnt(0) lgkmcnt(0)
	v_mul_f16_e32 v4, s6, v4
.LBB206_9:
	s_load_b32 s4, s[0:1], 0x40
	s_lshl_b64 s[0:1], s[10:11], 1
	v_lshlrev_b64 v[0:1], 1, v[0:1]
	s_waitcnt lgkmcnt(0)
	s_add_u32 s0, s2, s0
	s_addc_u32 s1, s3, s1
	s_ashr_i32 s2, s4, 31
	v_mul_lo_u32 v2, v2, s4
	v_mad_u64_u32 v[5:6], null, v3, s4, 0
	v_mul_lo_u32 v3, v3, s2
	s_delay_alu instid0(VALU_DEP_1) | instskip(NEXT) | instid1(VALU_DEP_1)
	v_add3_u32 v6, v6, v3, v2
	v_lshlrev_b64 v[2:3], 1, v[5:6]
	s_delay_alu instid0(VALU_DEP_1) | instskip(NEXT) | instid1(VALU_DEP_2)
	v_add_co_u32 v2, vcc_lo, s0, v2
	v_add_co_ci_u32_e32 v3, vcc_lo, s1, v3, vcc_lo
	s_delay_alu instid0(VALU_DEP_2) | instskip(NEXT) | instid1(VALU_DEP_2)
	v_add_co_u32 v0, vcc_lo, v2, v0
	v_add_co_ci_u32_e32 v1, vcc_lo, v3, v1, vcc_lo
	v_cmp_nlt_f16_e32 vcc_lo, 0, v4
	v_cndmask_b32_e32 v2, 0, v4, vcc_lo
	global_store_b16 v[0:1], v2, off
.LBB206_10:
	s_nop 0
	s_sendmsg sendmsg(MSG_DEALLOC_VGPRS)
	s_endpgm
	.section	.rodata,"a",@progbits
	.p2align	6, 0x0
	.amdhsa_kernel _ZN12_GLOBAL__N_120geam_ex_round_kernelILi32ELi32EDF16_DF16_PKPKDF16_PKPDF16_EEviiT2_T3_lilT4_lil
		.amdhsa_group_segment_fixed_size 0
		.amdhsa_private_segment_fixed_size 0
		.amdhsa_kernarg_size 80
		.amdhsa_user_sgpr_count 14
		.amdhsa_user_sgpr_dispatch_ptr 0
		.amdhsa_user_sgpr_queue_ptr 0
		.amdhsa_user_sgpr_kernarg_segment_ptr 1
		.amdhsa_user_sgpr_dispatch_id 0
		.amdhsa_user_sgpr_private_segment_size 0
		.amdhsa_wavefront_size32 1
		.amdhsa_uses_dynamic_stack 0
		.amdhsa_enable_private_segment 0
		.amdhsa_system_sgpr_workgroup_id_x 1
		.amdhsa_system_sgpr_workgroup_id_y 0
		.amdhsa_system_sgpr_workgroup_id_z 1
		.amdhsa_system_sgpr_workgroup_info 0
		.amdhsa_system_vgpr_workitem_id 1
		.amdhsa_next_free_vgpr 8
		.amdhsa_next_free_sgpr 18
		.amdhsa_reserve_vcc 1
		.amdhsa_float_round_mode_32 0
		.amdhsa_float_round_mode_16_64 0
		.amdhsa_float_denorm_mode_32 3
		.amdhsa_float_denorm_mode_16_64 3
		.amdhsa_dx10_clamp 1
		.amdhsa_ieee_mode 1
		.amdhsa_fp16_overflow 0
		.amdhsa_workgroup_processor_mode 1
		.amdhsa_memory_ordered 1
		.amdhsa_forward_progress 0
		.amdhsa_shared_vgpr_count 0
		.amdhsa_exception_fp_ieee_invalid_op 0
		.amdhsa_exception_fp_denorm_src 0
		.amdhsa_exception_fp_ieee_div_zero 0
		.amdhsa_exception_fp_ieee_overflow 0
		.amdhsa_exception_fp_ieee_underflow 0
		.amdhsa_exception_fp_ieee_inexact 0
		.amdhsa_exception_int_div_zero 0
	.end_amdhsa_kernel
	.section	.text._ZN12_GLOBAL__N_120geam_ex_round_kernelILi32ELi32EDF16_DF16_PKPKDF16_PKPDF16_EEviiT2_T3_lilT4_lil,"axG",@progbits,_ZN12_GLOBAL__N_120geam_ex_round_kernelILi32ELi32EDF16_DF16_PKPKDF16_PKPDF16_EEviiT2_T3_lilT4_lil,comdat
.Lfunc_end206:
	.size	_ZN12_GLOBAL__N_120geam_ex_round_kernelILi32ELi32EDF16_DF16_PKPKDF16_PKPDF16_EEviiT2_T3_lilT4_lil, .Lfunc_end206-_ZN12_GLOBAL__N_120geam_ex_round_kernelILi32ELi32EDF16_DF16_PKPKDF16_PKPDF16_EEviiT2_T3_lilT4_lil
                                        ; -- End function
	.section	.AMDGPU.csdata,"",@progbits
; Kernel info:
; codeLenInByte = 636
; NumSgprs: 20
; NumVgprs: 8
; ScratchSize: 0
; MemoryBound: 0
; FloatMode: 240
; IeeeMode: 1
; LDSByteSize: 0 bytes/workgroup (compile time only)
; SGPRBlocks: 2
; VGPRBlocks: 0
; NumSGPRsForWavesPerEU: 20
; NumVGPRsForWavesPerEU: 8
; Occupancy: 16
; WaveLimiterHint : 1
; COMPUTE_PGM_RSRC2:SCRATCH_EN: 0
; COMPUTE_PGM_RSRC2:USER_SGPR: 14
; COMPUTE_PGM_RSRC2:TRAP_HANDLER: 0
; COMPUTE_PGM_RSRC2:TGID_X_EN: 1
; COMPUTE_PGM_RSRC2:TGID_Y_EN: 0
; COMPUTE_PGM_RSRC2:TGID_Z_EN: 1
; COMPUTE_PGM_RSRC2:TIDIG_COMP_CNT: 1
	.section	.text._ZN12_GLOBAL__N_120geam_min_plus_kernelIDF16_Dv2_DF16_S1_Li32ELi8ELi256ELi64ELi4ELi64ELi4ELi4ELi64ELc78ELc78ELb0ELb0ELb1EPKDF16_KS3_KPDF16_EEviiiT16_PT17_ilS9_ilS7_S9_ilPT18_ili26rocblas_geam_ex_operation_,"axG",@progbits,_ZN12_GLOBAL__N_120geam_min_plus_kernelIDF16_Dv2_DF16_S1_Li32ELi8ELi256ELi64ELi4ELi64ELi4ELi4ELi64ELc78ELc78ELb0ELb0ELb1EPKDF16_KS3_KPDF16_EEviiiT16_PT17_ilS9_ilS7_S9_ilPT18_ili26rocblas_geam_ex_operation_,comdat
	.globl	_ZN12_GLOBAL__N_120geam_min_plus_kernelIDF16_Dv2_DF16_S1_Li32ELi8ELi256ELi64ELi4ELi64ELi4ELi4ELi64ELc78ELc78ELb0ELb0ELb1EPKDF16_KS3_KPDF16_EEviiiT16_PT17_ilS9_ilS7_S9_ilPT18_ili26rocblas_geam_ex_operation_ ; -- Begin function _ZN12_GLOBAL__N_120geam_min_plus_kernelIDF16_Dv2_DF16_S1_Li32ELi8ELi256ELi64ELi4ELi64ELi4ELi4ELi64ELc78ELc78ELb0ELb0ELb1EPKDF16_KS3_KPDF16_EEviiiT16_PT17_ilS9_ilS7_S9_ilPT18_ili26rocblas_geam_ex_operation_
	.p2align	8
	.type	_ZN12_GLOBAL__N_120geam_min_plus_kernelIDF16_Dv2_DF16_S1_Li32ELi8ELi256ELi64ELi4ELi64ELi4ELi4ELi64ELc78ELc78ELb0ELb0ELb1EPKDF16_KS3_KPDF16_EEviiiT16_PT17_ilS9_ilS7_S9_ilPT18_ili26rocblas_geam_ex_operation_,@function
_ZN12_GLOBAL__N_120geam_min_plus_kernelIDF16_Dv2_DF16_S1_Li32ELi8ELi256ELi64ELi4ELi64ELi4ELi4ELi64ELc78ELc78ELb0ELb0ELb1EPKDF16_KS3_KPDF16_EEviiiT16_PT17_ilS9_ilS7_S9_ilPT18_ili26rocblas_geam_ex_operation_: ; @_ZN12_GLOBAL__N_120geam_min_plus_kernelIDF16_Dv2_DF16_S1_Li32ELi8ELi256ELi64ELi4ELi64ELi4ELi4ELi64ELc78ELc78ELb0ELb0ELb1EPKDF16_KS3_KPDF16_EEviiiT16_PT17_ilS9_ilS7_S9_ilPT18_ili26rocblas_geam_ex_operation_
; %bb.0:
	s_clause 0x1
	s_load_b128 s[4:7], s[0:1], 0x10
	s_load_b128 s[8:11], s[0:1], 0x28
	s_mov_b32 s20, s15
	s_mov_b32 s21, 0
	v_mov_b32_e32 v1, 0
	s_lshl_b64 s[2:3], s[20:21], 1
	s_mov_b64 s[12:13], 0
	s_waitcnt lgkmcnt(0)
	s_add_u32 s4, s4, s2
	s_addc_u32 s5, s5, s3
	global_load_u16 v40, v1, s[4:5]
	s_clause 0x1
	s_load_b128 s[16:19], s[0:1], 0x40
	s_load_b64 s[22:23], s[0:1], 0x50
	s_waitcnt lgkmcnt(0)
	s_add_u32 s2, s18, s2
	s_addc_u32 s3, s19, s3
	s_mov_b64 s[18:19], 0
	s_waitcnt vmcnt(0)
	v_cmp_eq_f16_e32 vcc_lo, 0, v40
	v_cmp_neq_f16_e64 s4, 0, v40
	s_cbranch_vccnz .LBB207_2
; %bb.1:
	s_lshl_b64 s[12:13], s[20:21], 3
	s_delay_alu instid0(SALU_CYCLE_1)
	s_add_u32 s6, s6, s12
	s_addc_u32 s7, s7, s13
	s_lshl_b64 s[8:9], s[8:9], 1
	s_load_b64 s[6:7], s[6:7], 0x0
	s_waitcnt lgkmcnt(0)
	s_add_u32 s12, s6, s8
	s_addc_u32 s13, s7, s9
.LBB207_2:
	global_load_u16 v48, v1, s[2:3]
	v_cndmask_b32_e64 v1, 0, 1, s4
	s_and_not1_b32 vcc_lo, exec_lo, s4
	s_delay_alu instid0(VALU_DEP_1)
	v_cmp_ne_u32_e64 s3, 1, v1
	s_cbranch_vccnz .LBB207_4
; %bb.3:
	s_lshl_b64 s[6:7], s[20:21], 3
	s_delay_alu instid0(SALU_CYCLE_1)
	s_add_u32 s6, s10, s6
	s_addc_u32 s7, s11, s7
	s_lshl_b64 s[8:9], s[16:17], 1
	s_load_b64 s[6:7], s[6:7], 0x0
	s_waitcnt lgkmcnt(0)
	s_add_u32 s18, s6, s8
	s_addc_u32 s19, s7, s9
.LBB207_4:
	s_load_b128 s[8:11], s[0:1], 0x60
	s_waitcnt vmcnt(0)
	v_cmp_eq_f16_e32 vcc_lo, 0, v48
	s_and_b32 s2, exec_lo, vcc_lo
	s_delay_alu instid0(SALU_CYCLE_1)
	s_mov_b32 vcc_lo, s2
	s_cbranch_vccnz .LBB207_6
; %bb.5:
	s_lshl_b64 s[6:7], s[20:21], 3
	s_delay_alu instid0(SALU_CYCLE_1)
	s_add_u32 s6, s22, s6
	s_addc_u32 s7, s23, s7
	s_waitcnt lgkmcnt(0)
	s_lshl_b64 s[8:9], s[8:9], 1
	s_load_b64 s[6:7], s[6:7], 0x0
	s_waitcnt lgkmcnt(0)
	s_add_u32 s6, s6, s8
	s_addc_u32 s7, s7, s9
	s_branch .LBB207_7
.LBB207_6:
	s_mov_b64 s[6:7], 0
.LBB207_7:
	s_clause 0x1
	s_load_b32 s16, s[0:1], 0x20
	s_load_b32 s5, s[0:1], 0x0
	s_waitcnt lgkmcnt(0)
	s_lshl_b64 s[8:9], s[20:21], 3
	v_and_b32_e32 v38, 0x3ff, v0
	v_bfe_u32 v39, v0, 10, 10
	s_delay_alu instid0(VALU_DEP_1) | instskip(NEXT) | instid1(VALU_DEP_1)
	v_lshl_add_u32 v4, v39, 5, v38
	v_lshrrev_b32_e32 v2, 6, v4
	v_and_b32_e32 v3, 63, v4
	s_ashr_i32 s17, s16, 31
	s_add_u32 s8, s10, s8
	s_addc_u32 s9, s11, s9
	s_add_i32 s5, s5, -1
	s_delay_alu instid0(SALU_CYCLE_1) | instskip(NEXT) | instid1(SALU_CYCLE_1)
	s_ashr_i32 s10, s5, 31
	s_lshr_b32 s10, s10, 24
	s_delay_alu instid0(SALU_CYCLE_1) | instskip(NEXT) | instid1(SALU_CYCLE_1)
	s_add_i32 s5, s5, s10
	s_ashr_i32 s5, s5, 8
	s_delay_alu instid0(SALU_CYCLE_1) | instskip(SKIP_2) | instid1(VALU_DEP_1)
	s_add_i32 s10, s5, 1
	s_not_b32 s5, s5
	v_cvt_f32_u32_e32 v1, s10
	v_rcp_iflag_f32_e32 v1, v1
	s_waitcnt_depctr 0xfff
	v_mul_f32_e32 v1, 0x4f7ffffe, v1
	s_delay_alu instid0(VALU_DEP_1) | instskip(NEXT) | instid1(VALU_DEP_1)
	v_cvt_u32_f32_e32 v1, v1
	v_readfirstlane_b32 s11, v1
	v_mad_i64_i32 v[0:1], null, s16, v2, 0
	s_delay_alu instid0(VALU_DEP_2) | instskip(NEXT) | instid1(SALU_CYCLE_1)
	s_mul_i32 s5, s5, s11
	s_mul_hi_u32 s5, s11, s5
	s_delay_alu instid0(SALU_CYCLE_1) | instskip(NEXT) | instid1(VALU_DEP_1)
	s_add_i32 s11, s11, s5
	v_lshlrev_b64 v[5:6], 1, v[0:1]
	s_mul_hi_u32 s5, s14, s11
	s_delay_alu instid0(SALU_CYCLE_1) | instskip(SKIP_2) | instid1(VALU_DEP_1)
	s_mul_i32 s11, s5, s10
	s_add_i32 s15, s5, 1
	s_sub_i32 s11, s14, s11
	v_add_co_u32 v5, vcc_lo, s12, v5
	s_sub_i32 s20, s11, s10
	s_cmp_ge_u32 s11, s10
	v_add_co_ci_u32_e32 v6, vcc_lo, s13, v6, vcc_lo
	s_cselect_b32 s5, s15, s5
	s_cselect_b32 s11, s20, s11
	s_add_i32 s15, s5, 1
	s_cmp_ge_u32 s11, s10
	s_cselect_b32 s15, s15, s5
	s_and_b32 vcc_lo, exec_lo, s3
	s_mul_i32 s10, s15, s10
	s_delay_alu instid0(SALU_CYCLE_1) | instskip(NEXT) | instid1(SALU_CYCLE_1)
	s_sub_i32 s5, s14, s10
	s_lshl_b32 s5, s5, 8
	s_delay_alu instid0(SALU_CYCLE_1) | instskip(NEXT) | instid1(VALU_DEP_1)
	v_or_b32_e32 v0, s5, v3
	v_ashrrev_i32_e32 v1, 31, v0
	s_cbranch_vccnz .LBB207_10
; %bb.8:
	s_delay_alu instid0(VALU_DEP_1) | instskip(NEXT) | instid1(VALU_DEP_1)
	v_lshlrev_b64 v[7:8], 1, v[0:1]
	v_add_co_u32 v7, vcc_lo, v5, v7
	s_delay_alu instid0(VALU_DEP_2)
	v_add_co_ci_u32_e32 v8, vcc_lo, v6, v8, vcc_lo
	s_clause 0x1
	flat_load_u16 v9, v[7:8]
	flat_load_u16 v7, v[7:8] offset:128
	s_waitcnt vmcnt(1) lgkmcnt(1)
	v_mul_f16_e32 v10, v40, v9
	s_waitcnt vmcnt(0) lgkmcnt(0)
	v_mul_f16_e32 v11, v40, v7
	s_and_b32 vcc_lo, exec_lo, s3
	s_cbranch_vccnz .LBB207_11
.LBB207_9:
	v_lshlrev_b64 v[7:8], 1, v[0:1]
	s_delay_alu instid0(VALU_DEP_1) | instskip(NEXT) | instid1(VALU_DEP_2)
	v_add_co_u32 v5, vcc_lo, v5, v7
	v_add_co_ci_u32_e32 v6, vcc_lo, v6, v8, vcc_lo
	s_clause 0x1
	flat_load_u16 v7, v[5:6] offset:256
	flat_load_u16 v5, v[5:6] offset:384
	s_waitcnt vmcnt(1) lgkmcnt(1)
	v_mul_f16_e32 v12, v40, v7
	s_waitcnt vmcnt(0) lgkmcnt(0)
	v_mul_f16_e32 v13, v40, v5
	s_branch .LBB207_12
.LBB207_10:
	v_dual_mov_b32 v10, 0 :: v_dual_mov_b32 v11, 0
	s_and_b32 vcc_lo, exec_lo, s3
	s_cbranch_vccz .LBB207_9
.LBB207_11:
	v_dual_mov_b32 v12, 0 :: v_dual_mov_b32 v13, 0
.LBB207_12:
	s_load_b32 s11, s[0:1], 0x38
	v_lshrrev_b32_e32 v8, 2, v4
	v_and_b32_e32 v4, 3, v38
	s_lshl_b32 s15, s15, 6
	s_and_b32 vcc_lo, exec_lo, s3
	s_delay_alu instid0(VALU_DEP_2) | instskip(NEXT) | instid1(VALU_DEP_2)
	v_add_nc_u32_e32 v5, s15, v8
	v_lshlrev_b32_e32 v4, 1, v4
	s_cbranch_vccnz .LBB207_14
; %bb.13:
	s_waitcnt lgkmcnt(0)
	s_delay_alu instid0(VALU_DEP_2) | instskip(NEXT) | instid1(VALU_DEP_1)
	v_mad_i64_i32 v[6:7], null, v5, s11, 0
	v_lshlrev_b64 v[6:7], 1, v[6:7]
	s_delay_alu instid0(VALU_DEP_1) | instskip(NEXT) | instid1(VALU_DEP_2)
	v_add_co_u32 v6, vcc_lo, s18, v6
	v_add_co_ci_u32_e32 v7, vcc_lo, s19, v7, vcc_lo
	s_delay_alu instid0(VALU_DEP_2) | instskip(NEXT) | instid1(VALU_DEP_2)
	v_add_co_u32 v6, vcc_lo, v6, v4
	v_add_co_ci_u32_e32 v7, vcc_lo, 0, v7, vcc_lo
	flat_load_u16 v6, v[6:7]
	s_waitcnt vmcnt(0) lgkmcnt(0)
	v_mul_f16_e32 v14, v40, v6
	s_branch .LBB207_15
.LBB207_14:
	v_mov_b32_e32 v14, 0
.LBB207_15:
	v_add_nc_u32_e32 v9, 4, v2
	s_delay_alu instid0(VALU_DEP_1) | instskip(NEXT) | instid1(VALU_DEP_1)
	v_mad_i64_i32 v[6:7], null, s16, v9, 0
	v_lshlrev_b64 v[6:7], 1, v[6:7]
	s_delay_alu instid0(VALU_DEP_1) | instskip(NEXT) | instid1(VALU_DEP_2)
	v_add_co_u32 v9, vcc_lo, s12, v6
	v_add_co_ci_u32_e32 v15, vcc_lo, s13, v7, vcc_lo
	s_and_b32 vcc_lo, exec_lo, s3
	s_cbranch_vccnz .LBB207_19
; %bb.16:
	v_lshlrev_b64 v[6:7], 1, v[0:1]
	s_delay_alu instid0(VALU_DEP_1) | instskip(NEXT) | instid1(VALU_DEP_2)
	v_add_co_u32 v6, vcc_lo, v9, v6
	v_add_co_ci_u32_e32 v7, vcc_lo, v15, v7, vcc_lo
	s_clause 0x1
	flat_load_u16 v16, v[6:7]
	flat_load_u16 v7, v[6:7] offset:128
	s_waitcnt vmcnt(1) lgkmcnt(0)
	v_mul_f16_e32 v6, v40, v16
	s_waitcnt vmcnt(0)
	v_mul_f16_e32 v7, v40, v7
	s_and_b32 vcc_lo, exec_lo, s3
	s_cbranch_vccnz .LBB207_20
.LBB207_17:
	v_lshlrev_b64 v[0:1], 1, v[0:1]
	s_delay_alu instid0(VALU_DEP_1) | instskip(NEXT) | instid1(VALU_DEP_2)
	v_add_co_u32 v0, vcc_lo, v9, v0
	v_add_co_ci_u32_e32 v1, vcc_lo, v15, v1, vcc_lo
	s_clause 0x1
	flat_load_u16 v9, v[0:1] offset:256
	flat_load_u16 v1, v[0:1] offset:384
	s_waitcnt vmcnt(1) lgkmcnt(0)
	v_mul_f16_e32 v0, v40, v9
	s_waitcnt vmcnt(0)
	v_mul_f16_e32 v1, v40, v1
	s_and_b32 vcc_lo, exec_lo, s3
	s_cbranch_vccnz .LBB207_21
.LBB207_18:
	s_waitcnt lgkmcnt(0)
	v_mad_i64_i32 v[15:16], null, v5, s11, 0
	s_delay_alu instid0(VALU_DEP_1) | instskip(NEXT) | instid1(VALU_DEP_1)
	v_lshlrev_b64 v[15:16], 1, v[15:16]
	v_add_co_u32 v9, vcc_lo, s18, v15
	s_delay_alu instid0(VALU_DEP_2) | instskip(NEXT) | instid1(VALU_DEP_2)
	v_add_co_ci_u32_e32 v16, vcc_lo, s19, v16, vcc_lo
	v_add_co_u32 v15, vcc_lo, v9, v4
	s_delay_alu instid0(VALU_DEP_2)
	v_add_co_ci_u32_e32 v16, vcc_lo, 0, v16, vcc_lo
	flat_load_u16 v9, v[15:16] offset:8
	s_waitcnt vmcnt(0) lgkmcnt(0)
	v_mul_f16_e32 v9, v40, v9
	s_branch .LBB207_22
.LBB207_19:
	v_dual_mov_b32 v6, 0 :: v_dual_mov_b32 v7, 0
	s_and_b32 vcc_lo, exec_lo, s3
	s_cbranch_vccz .LBB207_17
.LBB207_20:
	v_dual_mov_b32 v0, 0 :: v_dual_mov_b32 v1, 0
	s_and_b32 vcc_lo, exec_lo, s3
	s_cbranch_vccz .LBB207_18
.LBB207_21:
	v_mov_b32_e32 v9, 0
.LBB207_22:
	v_lshlrev_b32_e32 v15, 1, v2
	v_lshlrev_b32_e32 v42, 3, v39
	;; [unrolled: 1-line block ×3, first 2 shown]
	v_lshl_or_b32 v8, v8, 3, v4
	s_load_b64 s[8:9], s[8:9], 0x0
	v_lshl_add_u32 v43, v3, 3, v15
	v_add_nc_u32_e32 v44, 0x1000, v42
	s_load_b32 s20, s[0:1], 0x8
	ds_store_b16 v43, v10
	ds_store_b16 v43, v11 offset:512
	ds_store_b16 v43, v12 offset:1024
	;; [unrolled: 1-line block ×4, first 2 shown]
	s_waitcnt lgkmcnt(0)
	s_barrier
	buffer_gl0_inv
	ds_load_2addr_b64 v[10:13], v41 offset1:32
	ds_load_2addr_b64 v[14:17], v44 offset1:8
	ds_load_2addr_b64 v[18:21], v41 offset0:64 offset1:96
	ds_load_2addr_b64 v[22:25], v41 offset0:128 offset1:160
	;; [unrolled: 1-line block ×5, first 2 shown]
	s_cmp_lt_i32 s20, 9
	s_waitcnt lgkmcnt(5)
	v_pk_add_f16 v45, v10, v14
	v_pk_add_f16 v46, v12, v14
	s_waitcnt lgkmcnt(4)
	v_pk_add_f16 v47, v18, v14
	v_pk_add_f16 v49, v20, v14
	;; [unrolled: 3-line block ×3, first 2 shown]
	v_pk_min_f16 v45, 0x7c00, v45 op_sel_hi:[0,1]
	v_pk_add_f16 v55, v12, v16
	v_pk_add_f16 v80, v23, v15
	;; [unrolled: 1-line block ×3, first 2 shown]
	s_waitcnt lgkmcnt(2)
	v_pk_add_f16 v60, v26, v16
	v_pk_min_f16 v116, v45, v76
	v_pk_min_f16 v45, 0x7c00, v46 op_sel_hi:[0,1]
	v_pk_min_f16 v46, 0x7c00, v47 op_sel_hi:[0,1]
	;; [unrolled: 1-line block ×4, first 2 shown]
	s_waitcnt lgkmcnt(1)
	v_pk_add_f16 v62, v10, v30
	v_pk_add_f16 v63, v12, v30
	;; [unrolled: 1-line block ×9, first 2 shown]
	v_pk_min_f16 v112, v49, v80
	v_pk_min_f16 v49, 0x7c00, v55 op_sel_hi:[0,1]
	v_pk_add_f16 v52, v26, v14
	v_pk_add_f16 v53, v28, v14
	v_pk_add_f16 v54, v10, v16
	v_pk_add_f16 v56, v18, v16
	v_pk_add_f16 v71, v18, v32
	v_pk_add_f16 v77, v13, v15
	v_pk_add_f16 v78, v19, v15
	v_pk_add_f16 v79, v21, v15
	v_pk_add_f16 v81, v25, v15
	v_pk_add_f16 v90, v27, v17
	v_pk_add_f16 v92, v11, v31
	v_pk_add_f16 v93, v13, v31
	v_pk_add_f16 v94, v19, v31
	v_pk_add_f16 v108, v21, v31
	v_pk_add_f16 v110, v23, v31
	v_pk_add_f16 v111, v25, v31
	v_pk_add_f16 v117, v27, v31
	v_pk_add_f16 v31, v29, v31
	v_pk_min_f16 v50, 0x7c00, v51 op_sel_hi:[0,1]
	v_pk_min_f16 v104, v49, v85
	v_pk_min_f16 v49, 0x7c00, v60 op_sel_hi:[0,1]
	v_pk_min_f16 v30, 0x7c00, v30 op_sel_hi:[0,1]
	v_pk_add_f16 v57, v20, v16
	v_pk_add_f16 v58, v22, v16
	;; [unrolled: 1-line block ×20, first 2 shown]
	ds_load_2addr_b64 v[14:17], v44 offset0:48 offset1:56
	v_pk_min_f16 v115, v45, v77
	v_pk_min_f16 v114, v46, v78
	;; [unrolled: 1-line block ×4, first 2 shown]
	v_pk_min_f16 v45, 0x7c00, v52 op_sel_hi:[0,1]
	v_pk_min_f16 v46, 0x7c00, v53 op_sel_hi:[0,1]
	;; [unrolled: 1-line block ×4, first 2 shown]
	v_pk_min_f16 v99, v49, v90
	v_pk_min_f16 v90, v30, v31
	v_pk_min_f16 v30, 0x7c00, v71 op_sel_hi:[0,1]
	v_pk_add_f16 v118, v11, v33
	v_pk_add_f16 v119, v13, v33
	;; [unrolled: 1-line block ×7, first 2 shown]
	s_waitcnt lgkmcnt(1)
	v_pk_add_f16 v125, v10, v34
	v_pk_add_f16 v126, v12, v34
	;; [unrolled: 1-line block ×3, first 2 shown]
	v_pk_min_f16 v107, v45, v82
	v_pk_min_f16 v106, v46, v83
	v_pk_min_f16 v105, v47, v84
	v_pk_min_f16 v103, v50, v86
	v_pk_min_f16 v45, 0x7c00, v57 op_sel_hi:[0,1]
	v_pk_min_f16 v46, 0x7c00, v58 op_sel_hi:[0,1]
	;; [unrolled: 1-line block ×4, first 2 shown]
	v_pk_min_f16 v86, v30, v120
	v_pk_min_f16 v30, 0x7c00, v32 op_sel_hi:[0,1]
	v_pk_add_f16 v127, v18, v34
	v_pk_add_f16 v128, v20, v34
	;; [unrolled: 1-line block ×9, first 2 shown]
	v_pk_min_f16 v102, v45, v87
	v_pk_min_f16 v101, v46, v88
	;; [unrolled: 1-line block ×3, first 2 shown]
	v_pk_min_f16 v45, 0x7c00, v62 op_sel_hi:[0,1]
	v_pk_min_f16 v46, 0x7c00, v63 op_sel_hi:[0,1]
	;; [unrolled: 1-line block ×3, first 2 shown]
	v_pk_min_f16 v85, v31, v121
	v_pk_min_f16 v31, 0x7c00, v125 op_sel_hi:[0,1]
	v_pk_min_f16 v32, 0x7c00, v126 op_sel_hi:[0,1]
	v_pk_min_f16 v81, v30, v33
	v_pk_min_f16 v30, 0x7c00, v129 op_sel_hi:[0,1]
	v_pk_add_f16 v132, v10, v36
	v_pk_add_f16 v134, v18, v36
	;; [unrolled: 1-line block ×11, first 2 shown]
	v_pk_min_f16 v50, 0x7c00, v61 op_sel_hi:[0,1]
	v_pk_min_f16 v97, v45, v92
	v_pk_min_f16 v96, v46, v93
	;; [unrolled: 1-line block ×3, first 2 shown]
	v_pk_min_f16 v45, 0x7c00, v67 op_sel_hi:[0,1]
	v_pk_min_f16 v46, 0x7c00, v68 op_sel_hi:[0,1]
	;; [unrolled: 1-line block ×3, first 2 shown]
	v_pk_min_f16 v80, v31, v138
	v_pk_min_f16 v79, v32, v139
	v_pk_min_f16 v31, 0x7c00, v130 op_sel_hi:[0,1]
	v_pk_min_f16 v32, 0x7c00, v131 op_sel_hi:[0,1]
	;; [unrolled: 1-line block ×3, first 2 shown]
	v_pk_min_f16 v76, v30, v142
	v_pk_min_f16 v30, 0x7c00, v133 op_sel_hi:[0,1]
	v_pk_add_f16 v44, v24, v36
	v_pk_add_f16 v36, v28, v36
	;; [unrolled: 1-line block ×7, first 2 shown]
	s_waitcnt lgkmcnt(0)
	v_pk_add_f16 v152, v10, v14
	v_pk_add_f16 v153, v12, v14
	v_pk_min_f16 v98, v50, v91
	v_pk_min_f16 v49, 0x7c00, v65 op_sel_hi:[0,1]
	v_pk_min_f16 v92, v45, v111
	v_pk_min_f16 v91, v46, v117
	;; [unrolled: 1-line block ×3, first 2 shown]
	v_pk_min_f16 v45, 0x7c00, v73 op_sel_hi:[0,1]
	v_pk_min_f16 v46, 0x7c00, v74 op_sel_hi:[0,1]
	;; [unrolled: 1-line block ×4, first 2 shown]
	v_pk_min_f16 v75, v31, v143
	v_pk_min_f16 v74, v32, v144
	;; [unrolled: 1-line block ×3, first 2 shown]
	v_pk_min_f16 v31, 0x7c00, v134 op_sel_hi:[0,1]
	v_pk_min_f16 v32, 0x7c00, v135 op_sel_hi:[0,1]
	;; [unrolled: 1-line block ×3, first 2 shown]
	v_pk_min_f16 v71, v30, v146
	v_pk_min_f16 v30, 0x7c00, v137 op_sel_hi:[0,1]
	v_pk_add_f16 v150, v25, v37
	v_pk_add_f16 v37, v29, v37
	v_pk_add_f16 v154, v11, v15
	v_pk_add_f16 v155, v13, v15
	v_pk_add_f16 v156, v18, v14
	v_pk_min_f16 v50, 0x7c00, v66 op_sel_hi:[0,1]
	v_pk_min_f16 v94, v49, v108
	v_pk_min_f16 v49, 0x7c00, v70 op_sel_hi:[0,1]
	v_pk_min_f16 v72, v34, v145
	;; [unrolled: 2-line block ×3, first 2 shown]
	v_pk_min_f16 v69, v32, v148
	v_pk_min_f16 v68, v33, v149
	v_pk_min_f16 v31, 0x7c00, v36 op_sel_hi:[0,1]
	v_pk_min_f16 v32, 0x7c00, v152 op_sel_hi:[0,1]
	;; [unrolled: 1-line block ×3, first 2 shown]
	v_pk_min_f16 v66, v30, v151
	v_pk_add_f16 v30, v22, v14
	v_pk_add_f16 v10, v10, v16
	;; [unrolled: 1-line block ×4, first 2 shown]
	v_pk_min_f16 v67, v34, v150
	v_pk_min_f16 v65, v31, v37
	v_pk_add_f16 v31, v24, v14
	v_pk_min_f16 v64, v32, v154
	v_pk_add_f16 v32, v26, v14
	v_pk_min_f16 v34, 0x7c00, v156 op_sel_hi:[0,1]
	v_pk_min_f16 v30, 0x7c00, v30 op_sel_hi:[0,1]
	v_pk_min_f16 v63, v33, v155
	v_pk_add_f16 v14, v28, v14
	v_pk_add_f16 v33, v23, v15
	;; [unrolled: 1-line block ×6, first 2 shown]
	v_pk_min_f16 v62, v34, v158
	v_pk_add_f16 v34, v25, v15
	v_pk_min_f16 v14, 0x7c00, v14 op_sel_hi:[0,1]
	v_pk_min_f16 v10, 0x7c00, v10 op_sel_hi:[0,1]
	v_pk_min_f16 v60, v30, v33
	v_pk_add_f16 v30, v27, v15
	v_pk_add_f16 v15, v29, v15
	;; [unrolled: 1-line block ×5, first 2 shown]
	v_pk_min_f16 v12, 0x7c00, v12 op_sel_hi:[0,1]
	v_pk_min_f16 v18, 0x7c00, v18 op_sel_hi:[0,1]
	v_pk_add_f16 v22, v22, v16
	v_pk_min_f16 v57, v14, v15
	v_pk_add_f16 v14, v24, v16
	v_pk_min_f16 v56, v10, v11
	v_pk_add_f16 v10, v26, v16
	v_pk_add_f16 v11, v28, v16
	;; [unrolled: 1-line block ×3, first 2 shown]
	v_pk_min_f16 v84, v45, v122
	v_pk_min_f16 v83, v46, v123
	v_pk_min_f16 v45, 0x7c00, v127 op_sel_hi:[0,1]
	v_pk_min_f16 v46, 0x7c00, v128 op_sel_hi:[0,1]
	;; [unrolled: 1-line block ×5, first 2 shown]
	v_pk_min_f16 v55, v12, v13
	v_pk_min_f16 v12, 0x7c00, v20 op_sel_hi:[0,1]
	v_pk_min_f16 v13, 0x7c00, v22 op_sel_hi:[0,1]
	;; [unrolled: 1-line block ×5, first 2 shown]
	v_pk_min_f16 v54, v18, v19
	v_pk_add_f16 v15, v23, v17
	v_pk_add_f16 v16, v25, v17
	v_pk_add_f16 v18, v27, v17
	v_pk_add_f16 v17, v29, v17
	v_pk_min_f16 v93, v50, v110
	v_pk_min_f16 v88, v49, v119
	v_pk_min_f16 v82, v47, v124
	v_pk_min_f16 v78, v45, v140
	v_pk_min_f16 v77, v46, v141
	v_pk_min_f16 v61, v35, v159
	v_pk_min_f16 v59, v31, v34
	v_pk_min_f16 v58, v32, v30
	v_pk_min_f16 v53, v12, v21
	v_pk_min_f16 v52, v13, v15
	v_pk_min_f16 v51, v14, v16
	v_pk_min_f16 v50, v10, v18
	v_pk_min_f16 v49, v11, v17
	ds_store_b16 v43, v6 offset:2048
	ds_store_b16 v43, v7 offset:2560
	;; [unrolled: 1-line block ×5, first 2 shown]
	s_waitcnt lgkmcnt(0)
	s_barrier
	buffer_gl0_inv
	s_cbranch_scc1 .LBB207_40
; %bb.23:
	v_mad_i64_i32 v[0:1], null, s11, v5, 0
	v_lshl_or_b32 v3, s14, 8, v3
	s_lshl_b32 s10, s10, 8
	v_add_nc_u32_e32 v5, 12, v2
	v_add_nc_u32_e32 v2, 8, v2
	;; [unrolled: 1-line block ×3, first 2 shown]
	v_subrev_nc_u32_e32 v3, s10, v3
	v_lshlrev_b64 v[0:1], 1, v[0:1]
	v_add_nc_u32_e32 v47, 0x1200, v8
	v_add_nc_u32_e32 v45, 0x1000, v42
	;; [unrolled: 1-line block ×3, first 2 shown]
	v_lshl_add_u32 v87, v38, 3, 0x800
	v_lshl_add_u32 v108, v39, 3, 0x1200
	v_add_co_u32 v7, vcc_lo, v0, v4
	v_add_co_ci_u32_e32 v8, vcc_lo, 0, v1, vcc_lo
	v_ashrrev_i32_e32 v4, 31, v3
	s_delay_alu instid0(VALU_DEP_3)
	v_add_co_u32 v7, vcc_lo, v7, s18
	v_mad_i64_i32 v[0:1], null, v5, s16, 0
	v_mad_i64_i32 v[5:6], null, v2, s16, 0
	v_add_co_ci_u32_e32 v8, vcc_lo, s19, v8, vcc_lo
	v_lshlrev_b64 v[2:3], 1, v[3:4]
	v_add_co_u32 v32, vcc_lo, v7, 16
	s_delay_alu instid0(VALU_DEP_3) | instskip(SKIP_1) | instid1(VALU_DEP_4)
	v_add_co_ci_u32_e32 v33, vcc_lo, 0, v8, vcc_lo
	v_lshlrev_b64 v[34:35], 1, v[0:1]
	v_add_co_u32 v110, vcc_lo, s12, v2
	v_lshlrev_b64 v[36:37], 1, v[5:6]
	v_add_co_ci_u32_e32 v111, vcc_lo, s13, v3, vcc_lo
	s_add_i32 s20, s20, -8
	s_lshl_b64 s[10:11], s[16:17], 4
	s_mov_b32 s12, 0
	s_and_b32 s4, exec_lo, s4
	s_branch .LBB207_26
.LBB207_24:                             ;   in Loop: Header=BB207_26 Depth=1
	flat_load_u16 v0, v[32:33] offset:8
	s_waitcnt vmcnt(0) lgkmcnt(0)
	v_mul_f16_e32 v0, v40, v0
.LBB207_25:                             ;   in Loop: Header=BB207_26 Depth=1
	ds_load_2addr_b64 v[121:124], v41 offset1:32
	ds_load_2addr_b64 v[88:91], v45 offset1:8
	ds_load_2addr_b64 v[125:128], v41 offset0:64 offset1:96
	ds_load_2addr_b64 v[129:132], v41 offset0:128 offset1:160
	;; [unrolled: 1-line block ×6, first 2 shown]
	v_pk_max_f16 v11, v84, v84
	v_pk_max_f16 v15, v82, v82
	;; [unrolled: 1-line block ×13, first 2 shown]
	s_waitcnt lgkmcnt(6)
	v_pk_add_f16 v82, v121, v88
	v_pk_add_f16 v83, v123, v88
	s_waitcnt lgkmcnt(5)
	v_pk_add_f16 v84, v125, v88
	v_pk_add_f16 v85, v127, v88
	s_waitcnt lgkmcnt(4)
	v_pk_add_f16 v86, v129, v88
	v_pk_min_f16 v11, v11, v82
	v_pk_min_f16 v15, v15, v83
	;; [unrolled: 1-line block ×5, first 2 shown]
	v_pk_add_f16 v82, v121, v90
	v_pk_add_f16 v83, v123, v90
	;; [unrolled: 1-line block ×5, first 2 shown]
	v_pk_min_f16 v71, v71, v82
	v_pk_min_f16 v78, v78, v83
	;; [unrolled: 1-line block ×5, first 2 shown]
	v_pk_add_f16 v82, v131, v90
	s_waitcnt lgkmcnt(3)
	v_pk_add_f16 v83, v133, v90
	v_pk_add_f16 v84, v135, v90
	v_pk_max_f16 v72, v72, v72
	s_waitcnt lgkmcnt(2)
	v_pk_add_f16 v85, v121, v137
	v_pk_max_f16 v70, v70, v70
	v_pk_add_f16 v86, v123, v137
	v_pk_max_f16 v68, v68, v68
	v_pk_min_f16 v66, v66, v82
	v_pk_min_f16 v74, v74, v83
	v_pk_min_f16 v72, v72, v84
	v_pk_min_f16 v70, v70, v85
	v_pk_min_f16 v68, v68, v86
	v_pk_add_f16 v82, v125, v137
	v_pk_max_f16 v61, v61, v61
	v_pk_add_f16 v83, v127, v137
	v_pk_max_f16 v69, v69, v69
	v_pk_add_f16 v84, v129, v137
	v_pk_max_f16 v67, v67, v67
	v_pk_add_f16 v85, v131, v137
	v_pk_max_f16 v65, v65, v65
	v_pk_add_f16 v86, v133, v137
	v_pk_max_f16 v63, v63, v63
	v_pk_min_f16 v61, v61, v82
	v_pk_min_f16 v69, v69, v83
	v_pk_min_f16 v67, v67, v84
	v_pk_min_f16 v65, v65, v85
	v_pk_min_f16 v63, v63, v86
	v_pk_add_f16 v82, v135, v137
	v_pk_max_f16 v56, v56, v56
	v_pk_add_f16 v83, v121, v139
	v_pk_max_f16 v64, v64, v64
	v_pk_add_f16 v84, v123, v139
	v_pk_max_f16 v62, v62, v62
	;; [unrolled: 15-line block ×3, first 2 shown]
	v_pk_add_f16 v85, v135, v139
	v_pk_max_f16 v55, v55, v55
	s_waitcnt lgkmcnt(1)
	v_pk_add_f16 v86, v121, v141
	v_pk_max_f16 v53, v53, v53
	v_pk_min_f16 v51, v51, v82
	v_pk_min_f16 v59, v59, v83
	v_pk_min_f16 v57, v57, v84
	v_pk_min_f16 v55, v55, v85
	v_pk_min_f16 v53, v53, v86
	v_pk_add_f16 v82, v123, v141
	v_pk_max_f16 v29, v29, v29
	v_pk_add_f16 v83, v125, v141
	v_pk_max_f16 v54, v54, v54
	v_pk_add_f16 v84, v127, v141
	v_pk_max_f16 v52, v52, v52
	v_pk_add_f16 v85, v129, v141
	v_pk_max_f16 v50, v50, v50
	v_pk_add_f16 v86, v131, v141
	v_pk_max_f16 v31, v31, v31
	v_pk_min_f16 v29, v29, v82
	v_pk_min_f16 v54, v54, v83
	v_pk_min_f16 v52, v52, v84
	v_pk_min_f16 v50, v50, v85
	v_pk_min_f16 v31, v31, v86
	v_pk_add_f16 v82, v133, v141
	v_pk_max_f16 v24, v24, v24
	v_pk_add_f16 v83, v135, v141
	v_pk_max_f16 v49, v49, v49
	v_pk_add_f16 v84, v121, v143
	v_pk_max_f16 v30, v30, v30
	v_pk_add_f16 v85, v123, v143
	v_pk_max_f16 v28, v28, v28
	;; [unrolled: 15-line block ×3, first 2 shown]
	v_pk_add_f16 v86, v135, v143
	v_pk_max_f16 v21, v21, v21
	v_pk_min_f16 v18, v18, v82
	v_pk_min_f16 v27, v27, v83
	v_pk_min_f16 v25, v25, v84
	v_pk_min_f16 v23, v23, v85
	v_pk_min_f16 v21, v21, v86
	s_waitcnt lgkmcnt(0)
	v_pk_add_f16 v82, v121, v145
	v_pk_max_f16 v10, v10, v10
	v_pk_add_f16 v83, v123, v145
	v_pk_max_f16 v22, v22, v22
	;; [unrolled: 2-line block ×5, first 2 shown]
	v_pk_min_f16 v10, v10, v82
	v_pk_min_f16 v22, v22, v83
	;; [unrolled: 1-line block ×5, first 2 shown]
	v_pk_add_f16 v82, v131, v145
	v_pk_max_f16 v6, v6, v6
	v_pk_add_f16 v83, v133, v145
	v_pk_max_f16 v13, v13, v13
	;; [unrolled: 2-line block ×5, first 2 shown]
	v_pk_min_f16 v6, v6, v82
	v_pk_min_f16 v13, v13, v83
	v_pk_min_f16 v12, v12, v84
	v_pk_min_f16 v9, v9, v85
	v_pk_min_f16 v8, v8, v86
	v_pk_add_f16 v82, v125, v147
	v_pk_max_f16 v2, v2, v2
	v_pk_add_f16 v83, v127, v147
	v_pk_max_f16 v7, v7, v7
	v_pk_add_f16 v84, v129, v147
	v_pk_max_f16 v5, v5, v5
	v_pk_add_f16 v85, v131, v147
	v_pk_max_f16 v4, v4, v4
	v_pk_add_f16 v86, v133, v147
	v_pk_max_f16 v3, v3, v3
	v_pk_max_f16 v81, v81, v81
	v_pk_add_f16 v92, v131, v88
	v_pk_add_f16 v93, v133, v88
	;; [unrolled: 1-line block ×3, first 2 shown]
	v_pk_max_f16 v77, v77, v77
	v_pk_min_f16 v2, v2, v82
	v_pk_min_f16 v7, v7, v83
	;; [unrolled: 1-line block ×5, first 2 shown]
	v_pk_add_f16 v82, v135, v147
	v_pk_max_f16 v1, v1, v1
	v_pk_add_f16 v83, v122, v89
	v_pk_add_f16 v84, v124, v89
	;; [unrolled: 1-line block ×4, first 2 shown]
	v_pk_min_f16 v80, v80, v92
	v_pk_min_f16 v81, v81, v93
	;; [unrolled: 1-line block ×8, first 2 shown]
	v_pk_add_f16 v11, v130, v89
	v_pk_add_f16 v15, v132, v89
	v_pk_add_f16 v17, v134, v89
	v_pk_add_f16 v19, v136, v89
	v_pk_add_f16 v82, v122, v91
	v_pk_min_f16 v112, v79, v11
	v_pk_min_f16 v109, v80, v15
	v_pk_min_f16 v107, v81, v17
	v_pk_min_f16 v106, v77, v19
	v_pk_min_f16 v105, v71, v82
	v_pk_add_f16 v11, v124, v91
	v_pk_add_f16 v15, v126, v91
	v_pk_add_f16 v17, v128, v91
	v_pk_add_f16 v19, v130, v91
	v_pk_add_f16 v71, v132, v91
	v_pk_min_f16 v104, v78, v11
	v_pk_min_f16 v103, v76, v15
	v_pk_min_f16 v102, v75, v17
	v_pk_min_f16 v101, v73, v19
	v_pk_min_f16 v100, v66, v71
	;; [unrolled: 10-line block ×11, first 2 shown]
	v_pk_add_f16 v2, v128, v148
	v_pk_add_f16 v6, v130, v148
	;; [unrolled: 1-line block ×5, first 2 shown]
	v_add_co_u32 v32, vcc_lo, v32, 16
	v_add_co_ci_u32_e32 v33, vcc_lo, 0, v33, vcc_lo
	v_add_co_u32 v110, vcc_lo, v110, s10
	v_pk_min_f16 v53, v7, v2
	v_pk_min_f16 v52, v5, v6
	;; [unrolled: 1-line block ×5, first 2 shown]
	v_add_co_ci_u32_e32 v111, vcc_lo, s11, v111, vcc_lo
	s_add_i32 s12, s12, 8
	ds_store_b16 v46, v117
	ds_store_b16 v46, v118 offset:512
	ds_store_b16 v46, v119 offset:1024
	;; [unrolled: 1-line block ×3, first 2 shown]
	ds_store_b16 v47, v0
	s_cmp_ge_i32 s12, s20
	s_waitcnt lgkmcnt(0)
	s_barrier
	buffer_gl0_inv
	s_cbranch_scc1 .LBB207_40
.LBB207_26:                             ; =>This Inner Loop Header: Depth=1
	s_and_b32 vcc_lo, exec_lo, s3
	s_cbranch_vccnz .LBB207_30
; %bb.27:                               ;   in Loop: Header=BB207_26 Depth=1
	v_add_co_u32 v0, vcc_lo, v110, v36
	v_add_co_ci_u32_e32 v1, vcc_lo, v111, v37, vcc_lo
	s_clause 0x1
	flat_load_u16 v2, v[0:1]
	flat_load_u16 v0, v[0:1] offset:128
	s_waitcnt vmcnt(1) lgkmcnt(1)
	v_mul_f16_e32 v117, v40, v2
	s_waitcnt vmcnt(0) lgkmcnt(0)
	v_mul_f16_e32 v118, v40, v0
	s_and_b32 vcc_lo, exec_lo, s3
	s_cbranch_vccnz .LBB207_31
.LBB207_28:                             ;   in Loop: Header=BB207_26 Depth=1
	v_add_co_u32 v0, vcc_lo, v110, v36
	v_add_co_ci_u32_e32 v1, vcc_lo, v111, v37, vcc_lo
	s_clause 0x1
	flat_load_u16 v2, v[0:1] offset:256
	flat_load_u16 v0, v[0:1] offset:384
	s_waitcnt vmcnt(1) lgkmcnt(1)
	v_mul_f16_e32 v119, v40, v2
	s_waitcnt vmcnt(0) lgkmcnt(0)
	v_mul_f16_e32 v120, v40, v0
	s_and_b32 vcc_lo, exec_lo, s3
	s_cbranch_vccnz .LBB207_32
.LBB207_29:                             ;   in Loop: Header=BB207_26 Depth=1
	flat_load_u16 v0, v[32:33]
	s_waitcnt vmcnt(0) lgkmcnt(0)
	v_mul_f16_e32 v121, v40, v0
	s_branch .LBB207_33
.LBB207_30:                             ;   in Loop: Header=BB207_26 Depth=1
	v_dual_mov_b32 v117, 0 :: v_dual_mov_b32 v118, 0
	s_and_b32 vcc_lo, exec_lo, s3
	s_cbranch_vccz .LBB207_28
.LBB207_31:                             ;   in Loop: Header=BB207_26 Depth=1
	v_dual_mov_b32 v119, 0 :: v_dual_mov_b32 v120, 0
	s_and_b32 vcc_lo, exec_lo, s3
	s_cbranch_vccz .LBB207_29
.LBB207_32:                             ;   in Loop: Header=BB207_26 Depth=1
	v_mov_b32_e32 v121, 0
.LBB207_33:                             ;   in Loop: Header=BB207_26 Depth=1
	ds_load_2addr_b64 v[12:15], v87 offset1:32
	ds_load_2addr_b64 v[8:11], v87 offset0:64 offset1:96
	ds_load_2addr_b64 v[4:7], v87 offset0:128 offset1:160
	;; [unrolled: 1-line block ×3, first 2 shown]
	ds_load_2addr_b64 v[28:31], v108 offset1:8
	ds_load_2addr_b64 v[24:27], v108 offset0:16 offset1:24
	ds_load_2addr_b64 v[20:23], v108 offset0:32 offset1:40
	;; [unrolled: 1-line block ×3, first 2 shown]
	s_mov_b32 vcc_lo, s4
	ds_store_b16 v43, v117
	ds_store_b16 v43, v118 offset:512
	ds_store_b16 v43, v119 offset:1024
	;; [unrolled: 1-line block ×3, first 2 shown]
	ds_store_b16 v44, v121
	s_waitcnt lgkmcnt(0)
	s_barrier
	buffer_gl0_inv
	s_cbranch_vccz .LBB207_36
; %bb.34:                               ;   in Loop: Header=BB207_26 Depth=1
	v_add_co_u32 v117, vcc_lo, v110, v34
	v_add_co_ci_u32_e32 v118, vcc_lo, v111, v35, vcc_lo
	s_clause 0x1
	flat_load_u16 v119, v[117:118]
	flat_load_u16 v118, v[117:118] offset:128
	s_waitcnt vmcnt(1) lgkmcnt(1)
	v_mul_f16_e32 v117, v40, v119
	s_waitcnt vmcnt(0) lgkmcnt(0)
	v_mul_f16_e32 v118, v40, v118
	s_and_b32 vcc_lo, exec_lo, s3
	s_cbranch_vccnz .LBB207_37
.LBB207_35:                             ;   in Loop: Header=BB207_26 Depth=1
	v_add_co_u32 v119, vcc_lo, v110, v34
	v_add_co_ci_u32_e32 v120, vcc_lo, v111, v35, vcc_lo
	s_clause 0x1
	flat_load_u16 v121, v[119:120] offset:256
	flat_load_u16 v120, v[119:120] offset:384
	s_waitcnt vmcnt(1) lgkmcnt(1)
	v_mul_f16_e32 v119, v40, v121
	s_waitcnt vmcnt(0) lgkmcnt(0)
	v_mul_f16_e32 v120, v40, v120
	s_branch .LBB207_38
.LBB207_36:                             ;   in Loop: Header=BB207_26 Depth=1
	v_dual_mov_b32 v117, 0 :: v_dual_mov_b32 v118, 0
	s_and_b32 vcc_lo, exec_lo, s3
	s_cbranch_vccz .LBB207_35
.LBB207_37:                             ;   in Loop: Header=BB207_26 Depth=1
	v_dual_mov_b32 v119, 0 :: v_dual_mov_b32 v120, 0
.LBB207_38:                             ;   in Loop: Header=BB207_26 Depth=1
	v_pk_add_f16 v121, v12, v28
	v_pk_max_f16 v116, v116, v116
	v_pk_add_f16 v122, v14, v28
	v_pk_max_f16 v115, v115, v115
	;; [unrolled: 2-line block ×3, first 2 shown]
	v_pk_min_f16 v116, v116, v121
	v_pk_add_f16 v121, v10, v28
	v_pk_min_f16 v115, v115, v122
	v_pk_max_f16 v113, v113, v113
	v_pk_min_f16 v114, v114, v123
	v_pk_add_f16 v122, v4, v28
	v_pk_max_f16 v112, v112, v112
	v_pk_add_f16 v123, v6, v28
	v_pk_add_f16 v124, v0, v28
	;; [unrolled: 1-line block ×3, first 2 shown]
	v_pk_max_f16 v106, v106, v106
	v_pk_max_f16 v109, v109, v109
	;; [unrolled: 1-line block ×3, first 2 shown]
	v_pk_min_f16 v113, v113, v121
	v_pk_min_f16 v112, v112, v122
	;; [unrolled: 1-line block ×3, first 2 shown]
	v_pk_add_f16 v106, v12, v30
	v_pk_max_f16 v105, v105, v105
	v_pk_add_f16 v121, v14, v30
	v_pk_max_f16 v104, v104, v104
	;; [unrolled: 2-line block ×3, first 2 shown]
	v_pk_min_f16 v109, v109, v123
	v_pk_min_f16 v107, v107, v124
	v_pk_add_f16 v123, v10, v30
	v_pk_max_f16 v102, v102, v102
	v_pk_add_f16 v124, v4, v30
	v_pk_min_f16 v105, v105, v106
	v_pk_min_f16 v104, v104, v121
	v_pk_min_f16 v103, v103, v122
	v_pk_add_f16 v106, v6, v30
	v_pk_max_f16 v100, v100, v100
	v_pk_add_f16 v121, v0, v30
	v_pk_add_f16 v30, v2, v30
	v_pk_max_f16 v98, v98, v98
	v_pk_add_f16 v122, v12, v24
	v_pk_max_f16 v97, v97, v97
	v_pk_min_f16 v102, v102, v123
	v_pk_max_f16 v99, v99, v99
	v_pk_add_f16 v123, v14, v24
	v_pk_max_f16 v96, v96, v96
	v_pk_min_f16 v100, v100, v106
	v_pk_min_f16 v30, v98, v30
	;; [unrolled: 1-line block ×3, first 2 shown]
	v_pk_add_f16 v98, v8, v24
	v_pk_max_f16 v95, v95, v95
	v_pk_add_f16 v106, v10, v24
	v_pk_max_f16 v94, v94, v94
	;; [unrolled: 2-line block ×3, first 2 shown]
	v_pk_min_f16 v99, v99, v121
	v_pk_min_f16 v96, v96, v123
	v_pk_add_f16 v121, v4, v24
	v_pk_max_f16 v93, v93, v93
	v_pk_add_f16 v123, v0, v24
	v_pk_min_f16 v95, v95, v98
	v_pk_min_f16 v94, v94, v106
	;; [unrolled: 1-line block ×3, first 2 shown]
	v_pk_add_f16 v24, v2, v24
	v_pk_max_f16 v90, v90, v90
	v_pk_add_f16 v98, v12, v26
	v_pk_max_f16 v89, v89, v89
	;; [unrolled: 2-line block ×4, first 2 shown]
	v_pk_min_f16 v93, v93, v121
	v_pk_add_f16 v121, v8, v26
	v_pk_max_f16 v86, v86, v86
	v_pk_min_f16 v24, v90, v24
	v_pk_min_f16 v89, v89, v98
	;; [unrolled: 1-line block ×4, first 2 shown]
	v_pk_add_f16 v85, v4, v26
	v_pk_max_f16 v84, v84, v84
	v_pk_add_f16 v98, v6, v26
	v_pk_max_f16 v83, v83, v83
	;; [unrolled: 2-line block ×4, first 2 shown]
	v_pk_max_f16 v101, v101, v101
	v_pk_min_f16 v86, v86, v121
	v_pk_add_f16 v121, v12, v20
	v_pk_max_f16 v80, v80, v80
	v_pk_min_f16 v122, v84, v85
	v_pk_min_f16 v98, v83, v98
	;; [unrolled: 1-line block ×4, first 2 shown]
	v_pk_add_f16 v81, v8, v20
	v_pk_max_f16 v78, v78, v78
	v_pk_add_f16 v82, v10, v20
	v_pk_max_f16 v77, v77, v77
	v_pk_add_f16 v83, v4, v20
	v_pk_max_f16 v76, v76, v76
	v_pk_add_f16 v84, v6, v20
	v_pk_max_f16 v75, v75, v75
	v_pk_min_f16 v101, v101, v124
	v_pk_min_f16 v121, v80, v121
	v_pk_add_f16 v80, v14, v20
	v_pk_min_f16 v124, v78, v81
	v_pk_min_f16 v125, v77, v82
	;; [unrolled: 1-line block ×4, first 2 shown]
	v_pk_add_f16 v75, v0, v20
	v_pk_add_f16 v20, v2, v20
	v_pk_max_f16 v73, v73, v73
	v_pk_add_f16 v76, v12, v22
	v_pk_max_f16 v72, v72, v72
	;; [unrolled: 2-line block ×4, first 2 shown]
	v_pk_min_f16 v20, v73, v20
	v_pk_min_f16 v129, v72, v76
	;; [unrolled: 1-line block ×3, first 2 shown]
	v_pk_max_f16 v69, v69, v69
	v_pk_min_f16 v131, v70, v78
	v_pk_add_f16 v70, v10, v22
	v_pk_add_f16 v71, v4, v22
	;; [unrolled: 1-line block ×5, first 2 shown]
	v_pk_max_f16 v65, v65, v65
	v_pk_max_f16 v68, v68, v68
	;; [unrolled: 1-line block ×4, first 2 shown]
	v_pk_min_f16 v132, v69, v70
	v_pk_min_f16 v22, v65, v22
	v_pk_add_f16 v65, v12, v16
	v_pk_add_f16 v69, v4, v16
	v_pk_max_f16 v60, v60, v60
	v_pk_add_f16 v12, v12, v18
	v_pk_max_f16 v56, v56, v56
	v_pk_min_f16 v133, v68, v71
	v_pk_min_f16 v134, v67, v72
	;; [unrolled: 1-line block ×3, first 2 shown]
	v_pk_add_f16 v66, v14, v16
	v_pk_add_f16 v67, v8, v16
	;; [unrolled: 1-line block ×3, first 2 shown]
	v_pk_max_f16 v61, v61, v61
	v_pk_min_f16 v140, v60, v69
	v_pk_add_f16 v60, v6, v16
	v_pk_add_f16 v14, v14, v18
	v_pk_max_f16 v55, v55, v55
	v_pk_min_f16 v144, v56, v12
	v_pk_add_f16 v8, v8, v18
	v_pk_max_f16 v12, v54, v54
	v_pk_add_f16 v6, v6, v18
	v_pk_max_f16 v51, v51, v51
	v_pk_min_f16 v139, v61, v68
	v_pk_add_f16 v61, v0, v16
	v_pk_add_f16 v16, v2, v16
	v_pk_min_f16 v145, v55, v14
	v_pk_add_f16 v10, v10, v18
	v_pk_max_f16 v14, v53, v53
	v_pk_min_f16 v146, v12, v8
	v_pk_min_f16 v148, v51, v6
	v_pk_add_f16 v2, v2, v18
	v_pk_max_f16 v6, v49, v49
	v_pk_add_f16 v8, v13, v29
	v_pk_max_f16 v91, v91, v91
	v_pk_max_f16 v79, v79, v79
	v_pk_min_f16 v147, v14, v10
	v_pk_add_f16 v10, v15, v29
	v_pk_add_f16 v12, v9, v29
	v_pk_min_f16 v149, v6, v2
	v_pk_min_f16 v84, v116, v8
	v_pk_add_f16 v2, v5, v29
	v_pk_add_f16 v8, v1, v29
	v_pk_min_f16 v91, v91, v123
	v_pk_min_f16 v123, v79, v80
	v_pk_max_f16 v74, v74, v74
	v_pk_min_f16 v82, v115, v10
	v_pk_min_f16 v80, v114, v12
	v_pk_add_f16 v6, v7, v29
	v_pk_add_f16 v10, v3, v29
	;; [unrolled: 1-line block ×3, first 2 shown]
	v_pk_min_f16 v85, v112, v2
	v_pk_min_f16 v81, v107, v8
	v_pk_add_f16 v2, v15, v31
	v_pk_add_f16 v8, v11, v31
	v_pk_min_f16 v128, v74, v75
	v_pk_max_f16 v63, v63, v63
	v_pk_min_f16 v83, v109, v6
	v_pk_min_f16 v77, v28, v10
	;; [unrolled: 1-line block ×3, first 2 shown]
	v_pk_add_f16 v6, v9, v31
	v_pk_add_f16 v10, v5, v31
	;; [unrolled: 1-line block ×3, first 2 shown]
	v_pk_min_f16 v78, v104, v2
	v_pk_min_f16 v75, v102, v8
	v_pk_add_f16 v2, v1, v31
	v_pk_add_f16 v8, v13, v25
	v_pk_max_f16 v64, v64, v64
	v_pk_min_f16 v137, v63, v66
	v_pk_max_f16 v58, v58, v58
	v_pk_min_f16 v76, v103, v6
	v_pk_min_f16 v73, v101, v10
	;; [unrolled: 1-line block ×3, first 2 shown]
	v_pk_add_f16 v6, v3, v31
	v_pk_add_f16 v10, v15, v25
	;; [unrolled: 1-line block ×3, first 2 shown]
	v_pk_min_f16 v74, v99, v2
	v_pk_min_f16 v70, v97, v8
	v_pk_add_f16 v2, v11, v25
	v_pk_add_f16 v8, v7, v25
	v_pk_max_f16 v62, v62, v62
	v_pk_min_f16 v136, v64, v65
	v_pk_max_f16 v59, v59, v59
	v_pk_min_f16 v142, v58, v61
	v_pk_min_f16 v72, v30, v6
	;; [unrolled: 1-line block ×4, first 2 shown]
	v_pk_add_f16 v6, v5, v25
	v_pk_add_f16 v10, v1, v25
	;; [unrolled: 1-line block ×3, first 2 shown]
	v_pk_min_f16 v69, v94, v2
	v_pk_min_f16 v65, v92, v8
	v_pk_add_f16 v2, v13, v27
	v_pk_add_f16 v8, v9, v27
	v_pk_min_f16 v138, v62, v67
	v_pk_min_f16 v141, v59, v60
	;; [unrolled: 1-line block ×5, first 2 shown]
	v_pk_add_f16 v6, v15, v27
	v_pk_add_f16 v10, v11, v27
	v_pk_add_f16 v12, v5, v27
	v_pk_min_f16 v64, v89, v2
	v_pk_min_f16 v60, v86, v8
	v_pk_add_f16 v2, v7, v27
	v_pk_add_f16 v8, v3, v27
	v_pk_max_f16 v57, v57, v57
	v_pk_add_f16 v0, v0, v18
	v_pk_max_f16 v50, v50, v50
	v_pk_min_f16 v62, v88, v6
	v_pk_min_f16 v58, v90, v10
	;; [unrolled: 1-line block ×3, first 2 shown]
	v_pk_add_f16 v6, v1, v27
	v_pk_add_f16 v10, v13, v21
	;; [unrolled: 1-line block ×3, first 2 shown]
	v_pk_min_f16 v59, v98, v2
	v_pk_min_f16 v55, v26, v8
	v_pk_add_f16 v2, v9, v21
	v_pk_add_f16 v8, v5, v21
	v_pk_min_f16 v143, v57, v16
	v_pk_min_f16 v0, v50, v0
	v_pk_add_f16 v14, v11, v29
	v_pk_min_f16 v57, v106, v6
	v_pk_min_f16 v53, v121, v10
	;; [unrolled: 1-line block ×3, first 2 shown]
	v_pk_add_f16 v6, v11, v21
	v_pk_add_f16 v10, v7, v21
	;; [unrolled: 1-line block ×3, first 2 shown]
	v_pk_min_f16 v54, v124, v2
	v_pk_min_f16 v50, v126, v8
	v_pk_add_f16 v2, v3, v21
	v_pk_add_f16 v8, v15, v23
	v_pk_max_f16 v16, v52, v52
	v_pk_min_f16 v52, v125, v6
	v_pk_min_f16 v31, v127, v10
	;; [unrolled: 1-line block ×3, first 2 shown]
	v_pk_add_f16 v6, v13, v23
	v_pk_add_f16 v10, v9, v23
	;; [unrolled: 1-line block ×3, first 2 shown]
	v_pk_min_f16 v49, v20, v2
	v_pk_min_f16 v28, v130, v8
	v_pk_add_f16 v2, v5, v23
	v_pk_add_f16 v8, v1, v23
	;; [unrolled: 1-line block ×3, first 2 shown]
	v_pk_min_f16 v30, v129, v6
	v_pk_min_f16 v26, v131, v10
	;; [unrolled: 1-line block ×3, first 2 shown]
	v_pk_add_f16 v6, v7, v23
	v_pk_add_f16 v10, v3, v23
	v_pk_add_f16 v12, v13, v17
	v_pk_min_f16 v27, v133, v2
	v_pk_min_f16 v23, v135, v8
	v_pk_add_f16 v2, v15, v17
	v_pk_add_f16 v8, v11, v17
	v_pk_min_f16 v4, v16, v4
	v_pk_min_f16 v25, v134, v6
	;; [unrolled: 1-line block ×4, first 2 shown]
	v_pk_add_f16 v6, v9, v17
	v_pk_add_f16 v12, v5, v17
	;; [unrolled: 1-line block ×3, first 2 shown]
	v_pk_min_f16 v22, v137, v2
	v_pk_min_f16 v16, v139, v8
	v_pk_add_f16 v2, v1, v17
	v_pk_add_f16 v8, v3, v17
	v_pk_add_f16 v17, v13, v19
	v_pk_add_f16 v15, v15, v19
	v_pk_min_f16 v79, v113, v14
	v_pk_min_f16 v20, v138, v6
	;; [unrolled: 1-line block ×4, first 2 shown]
	v_pk_add_f16 v86, v9, v19
	v_pk_min_f16 v12, v143, v8
	v_pk_min_f16 v9, v144, v17
	;; [unrolled: 1-line block ×3, first 2 shown]
	v_pk_add_f16 v11, v11, v19
	v_pk_add_f16 v5, v5, v19
	;; [unrolled: 1-line block ×5, first 2 shown]
	v_pk_min_f16 v13, v142, v2
	v_pk_min_f16 v2, v146, v86
	;; [unrolled: 1-line block ×7, first 2 shown]
	s_and_b32 vcc_lo, exec_lo, s3
	s_cbranch_vccz .LBB207_24
; %bb.39:                               ;   in Loop: Header=BB207_26 Depth=1
	v_mov_b32_e32 v0, 0
	s_branch .LBB207_25
.LBB207_40:
	s_load_b32 s10, s[0:1], 0x58
	v_dual_mov_b32 v34, 0 :: v_dual_add_nc_u32 v87, s15, v39
	ds_load_b64 v[28:29], v41 offset:2048
	ds_load_b64 v[46:47], v42 offset:4608
	v_add_nc_u32_e32 v44, s5, v38
	v_cmp_neq_f16_e64 s3, 0, v48
	v_mov_b32_e32 v32, 0
	s_delay_alu instid0(VALU_DEP_3) | instskip(NEXT) | instid1(VALU_DEP_3)
	v_ashrrev_i32_e32 v45, 31, v44
	s_and_b32 vcc_lo, exec_lo, s3
	s_delay_alu instid0(VALU_DEP_1) | instskip(SKIP_2) | instid1(VALU_DEP_1)
	v_lshlrev_b64 v[30:31], 1, v[44:45]
	s_waitcnt lgkmcnt(0)
	v_mad_i64_i32 v[0:1], null, v87, s10, 0
	v_lshlrev_b64 v[0:1], 1, v[0:1]
	s_delay_alu instid0(VALU_DEP_1) | instskip(NEXT) | instid1(VALU_DEP_1)
	v_add_co_u32 v108, s4, s6, v0
	v_add_co_ci_u32_e64 v110, s4, s7, v1, s4
	s_cbranch_vccz .LBB207_42
; %bb.41:
	s_delay_alu instid0(VALU_DEP_2) | instskip(NEXT) | instid1(VALU_DEP_2)
	v_add_co_u32 v0, vcc_lo, v108, v30
	v_add_co_ci_u32_e32 v1, vcc_lo, v110, v31, vcc_lo
	flat_load_u16 v0, v[0:1]
	s_waitcnt vmcnt(0) lgkmcnt(0)
	v_mul_f16_e32 v32, v48, v0
.LBB207_42:
	s_clause 0x1
	s_load_b32 s4, s[0:1], 0x70
	s_load_b64 s[12:13], s[0:1], 0x78
	v_add_nc_u32_e32 v0, 0x800, v41
	v_pk_add_f16 v1, v28, v46
	v_pk_max_f16 v2, v116, v116
	v_add_nc_u32_e32 v12, 0x1000, v42
	ds_load_b64 v[24:25], v41 offset:3840
	ds_load_b64 v[26:27], v42 offset:5056
	ds_load_2addr_b64 v[8:11], v0 offset0:32 offset1:64
	ds_load_2addr_b64 v[4:7], v0 offset0:96 offset1:128
	v_pk_min_f16 v36, v2, v1
	ds_load_2addr_b64 v[0:3], v0 offset0:160 offset1:192
	ds_load_2addr_b64 v[20:23], v12 offset0:72 offset1:80
	;; [unrolled: 1-line block ×4, first 2 shown]
	v_pk_add_f16 v33, v29, v47
	v_add_nc_u32_e32 v35, 32, v44
	v_cndmask_b32_e64 v39, 0, 1, s3
	s_delay_alu instid0(VALU_DEP_3) | instskip(NEXT) | instid1(VALU_DEP_3)
	v_pk_min_f16 v33, v36, v33
	v_ashrrev_i32_e32 v36, 31, v35
	s_delay_alu instid0(VALU_DEP_3)
	v_cmp_ne_u32_e64 s0, 1, v39
	s_waitcnt lgkmcnt(0)
	v_mad_i64_i32 v[37:38], null, v87, s4, 0
	s_lshl_b64 s[12:13], s[12:13], 1
	v_lshrrev_b32_e32 v39, 16, v33
	s_add_u32 s1, s8, s12
	s_addc_u32 s5, s9, s13
	s_delay_alu instid0(VALU_DEP_1) | instskip(NEXT) | instid1(VALU_DEP_3)
	v_min3_f16 v39, v32, v33, v39
	v_lshlrev_b64 v[37:38], 1, v[37:38]
	v_lshlrev_b64 v[32:33], 1, v[35:36]
	s_delay_alu instid0(VALU_DEP_2) | instskip(NEXT) | instid1(VALU_DEP_3)
	v_add_co_u32 v111, vcc_lo, s1, v37
	v_add_co_ci_u32_e32 v116, vcc_lo, s5, v38, vcc_lo
	s_delay_alu instid0(VALU_DEP_2) | instskip(NEXT) | instid1(VALU_DEP_2)
	v_add_co_u32 v37, vcc_lo, v111, v30
	v_add_co_ci_u32_e32 v38, vcc_lo, v116, v31, vcc_lo
	s_and_not1_b32 vcc_lo, exec_lo, s3
	global_store_b16 v[37:38], v39, off
	s_cbranch_vccnz .LBB207_44
; %bb.43:
	v_add_co_u32 v34, vcc_lo, v108, v32
	v_add_co_ci_u32_e32 v35, vcc_lo, v110, v33, vcc_lo
	flat_load_u16 v34, v[34:35]
	s_waitcnt vmcnt(0) lgkmcnt(0)
	v_mul_f16_e32 v34, v48, v34
.LBB207_44:
	v_pk_add_f16 v35, v8, v46
	v_pk_max_f16 v36, v115, v115
	v_pk_add_f16 v37, v9, v47
	v_add_co_u32 v38, vcc_lo, v111, v32
	v_add_co_ci_u32_e32 v39, vcc_lo, v116, v33, vcc_lo
	s_delay_alu instid0(VALU_DEP_4) | instskip(SKIP_2) | instid1(VALU_DEP_2)
	v_pk_min_f16 v36, v36, v35
	v_add_nc_u32_e32 v35, 64, v44
	s_and_b32 vcc_lo, exec_lo, s0
	v_pk_min_f16 v40, v36, v37
	s_delay_alu instid0(VALU_DEP_2) | instskip(SKIP_1) | instid1(VALU_DEP_3)
	v_ashrrev_i32_e32 v36, 31, v35
	v_mov_b32_e32 v37, 0
	v_lshrrev_b32_e32 v41, 16, v40
	s_delay_alu instid0(VALU_DEP_1) | instskip(NEXT) | instid1(VALU_DEP_4)
	v_min3_f16 v40, v34, v40, v41
	v_lshlrev_b64 v[34:35], 1, v[35:36]
	v_mov_b32_e32 v36, 0
	global_store_b16 v[38:39], v40, off
	s_cbranch_vccnz .LBB207_46
; %bb.45:
	v_add_co_u32 v38, vcc_lo, v108, v34
	v_add_co_ci_u32_e32 v39, vcc_lo, v110, v35, vcc_lo
	flat_load_u16 v36, v[38:39]
	s_waitcnt vmcnt(0) lgkmcnt(0)
	v_mul_f16_e32 v36, v48, v36
.LBB207_46:
	v_pk_add_f16 v38, v10, v46
	v_pk_max_f16 v39, v114, v114
	v_pk_add_f16 v40, v11, v47
	v_add_co_u32 v42, vcc_lo, v111, v34
	v_add_co_ci_u32_e32 v43, vcc_lo, v116, v35, vcc_lo
	s_delay_alu instid0(VALU_DEP_4) | instskip(SKIP_2) | instid1(VALU_DEP_2)
	v_pk_min_f16 v39, v39, v38
	v_add_nc_u32_e32 v38, 0x60, v44
	s_and_b32 vcc_lo, exec_lo, s0
	v_pk_min_f16 v40, v39, v40
	s_delay_alu instid0(VALU_DEP_2) | instskip(NEXT) | instid1(VALU_DEP_2)
	v_ashrrev_i32_e32 v39, 31, v38
	v_lshrrev_b32_e32 v41, 16, v40
	s_delay_alu instid0(VALU_DEP_1) | instskip(NEXT) | instid1(VALU_DEP_3)
	v_min3_f16 v36, v36, v40, v41
	v_lshlrev_b64 v[40:41], 1, v[38:39]
	global_store_b16 v[42:43], v36, off
	s_cbranch_vccnz .LBB207_48
; %bb.47:
	v_add_co_u32 v36, vcc_lo, v108, v40
	v_add_co_ci_u32_e32 v37, vcc_lo, v110, v41, vcc_lo
	flat_load_u16 v36, v[36:37]
	s_waitcnt vmcnt(0) lgkmcnt(0)
	v_mul_f16_e32 v37, v48, v36
.LBB207_48:
	v_pk_add_f16 v36, v4, v46
	v_pk_max_f16 v38, v113, v113
	v_pk_add_f16 v39, v5, v47
	v_add_co_u32 v113, vcc_lo, v111, v40
	v_add_co_ci_u32_e32 v114, vcc_lo, v116, v41, vcc_lo
	s_delay_alu instid0(VALU_DEP_4) | instskip(SKIP_2) | instid1(VALU_DEP_2)
	v_pk_min_f16 v36, v38, v36
	v_add_nc_u32_e32 v38, 0x80, v44
	s_and_b32 vcc_lo, exec_lo, s0
	v_pk_min_f16 v42, v36, v39
	v_mov_b32_e32 v36, 0
	s_delay_alu instid0(VALU_DEP_2) | instskip(NEXT) | instid1(VALU_DEP_1)
	v_lshrrev_b32_e32 v43, 16, v42
	v_min3_f16 v45, v37, v42, v43
	v_mov_b32_e32 v37, 0
	v_ashrrev_i32_e32 v39, 31, v38
	global_store_b16 v[113:114], v45, off
	v_lshlrev_b64 v[42:43], 1, v[38:39]
	s_cbranch_vccnz .LBB207_50
; %bb.49:
	s_delay_alu instid0(VALU_DEP_1) | instskip(NEXT) | instid1(VALU_DEP_2)
	v_add_co_u32 v37, vcc_lo, v108, v42
	v_add_co_ci_u32_e32 v38, vcc_lo, v110, v43, vcc_lo
	flat_load_u16 v37, v[37:38]
	s_waitcnt vmcnt(0) lgkmcnt(0)
	v_mul_f16_e32 v37, v48, v37
.LBB207_50:
	v_pk_add_f16 v38, v6, v46
	v_pk_max_f16 v39, v112, v112
	v_pk_add_f16 v45, v7, v47
	s_delay_alu instid0(VALU_DEP_4) | instskip(SKIP_1) | instid1(VALU_DEP_4)
	v_add_co_u32 v112, vcc_lo, v111, v42
	v_add_co_ci_u32_e32 v113, vcc_lo, v116, v43, vcc_lo
	v_pk_min_f16 v39, v39, v38
	v_add_nc_u32_e32 v38, 0xa0, v44
	s_and_b32 vcc_lo, exec_lo, s0
	s_delay_alu instid0(VALU_DEP_2) | instskip(NEXT) | instid1(VALU_DEP_2)
	v_pk_min_f16 v45, v39, v45
	v_ashrrev_i32_e32 v39, 31, v38
	s_delay_alu instid0(VALU_DEP_2) | instskip(NEXT) | instid1(VALU_DEP_2)
	v_lshrrev_b32_e32 v114, 16, v45
	v_lshlrev_b64 v[38:39], 1, v[38:39]
	s_delay_alu instid0(VALU_DEP_2)
	v_min3_f16 v37, v37, v45, v114
	global_store_b16 v[112:113], v37, off
	s_cbranch_vccnz .LBB207_52
; %bb.51:
	v_add_co_u32 v36, vcc_lo, v108, v38
	v_add_co_ci_u32_e32 v37, vcc_lo, v110, v39, vcc_lo
	flat_load_u16 v36, v[36:37]
	s_waitcnt vmcnt(0) lgkmcnt(0)
	v_mul_f16_e32 v36, v48, v36
.LBB207_52:
	v_pk_add_f16 v37, v0, v46
	v_pk_max_f16 v45, v109, v109
	v_pk_add_f16 v109, v1, v47
	v_add_nc_u32_e32 v112, 0xc0, v44
	v_add_co_u32 v114, vcc_lo, v111, v38
	s_delay_alu instid0(VALU_DEP_4) | instskip(SKIP_2) | instid1(VALU_DEP_2)
	v_pk_min_f16 v37, v45, v37
	v_add_co_ci_u32_e32 v115, vcc_lo, v116, v39, vcc_lo
	s_and_b32 vcc_lo, exec_lo, s0
	v_pk_min_f16 v37, v37, v109
	v_mov_b32_e32 v109, 0
	v_ashrrev_i32_e32 v113, 31, v112
	s_delay_alu instid0(VALU_DEP_3) | instskip(NEXT) | instid1(VALU_DEP_1)
	v_lshrrev_b32_e32 v45, 16, v37
	v_min3_f16 v117, v36, v37, v45
	s_delay_alu instid0(VALU_DEP_3)
	v_lshlrev_b64 v[36:37], 1, v[112:113]
	v_mov_b32_e32 v45, 0
	global_store_b16 v[114:115], v117, off
	s_cbranch_vccnz .LBB207_54
; %bb.53:
	v_add_co_u32 v112, vcc_lo, v108, v36
	v_add_co_ci_u32_e32 v113, vcc_lo, v110, v37, vcc_lo
	flat_load_u16 v45, v[112:113]
	s_waitcnt vmcnt(0) lgkmcnt(0)
	v_mul_f16_e32 v45, v48, v45
.LBB207_54:
	v_pk_add_f16 v112, v2, v46
	v_pk_max_f16 v107, v107, v107
	v_pk_add_f16 v113, v3, v47
	v_add_co_u32 v114, vcc_lo, v111, v36
	v_add_co_ci_u32_e32 v115, vcc_lo, v116, v37, vcc_lo
	s_delay_alu instid0(VALU_DEP_4) | instskip(SKIP_2) | instid1(VALU_DEP_2)
	v_pk_min_f16 v107, v107, v112
	v_add_nc_u32_e32 v112, 0xe0, v44
	s_and_b32 vcc_lo, exec_lo, s0
	v_pk_min_f16 v44, v107, v113
	s_delay_alu instid0(VALU_DEP_2) | instskip(NEXT) | instid1(VALU_DEP_2)
	v_ashrrev_i32_e32 v113, 31, v112
	v_lshrrev_b32_e32 v107, 16, v44
	s_delay_alu instid0(VALU_DEP_1) | instskip(NEXT) | instid1(VALU_DEP_3)
	v_min3_f16 v107, v45, v44, v107
	v_lshlrev_b64 v[44:45], 1, v[112:113]
	global_store_b16 v[114:115], v107, off
	s_cbranch_vccnz .LBB207_56
; %bb.55:
	v_add_co_u32 v107, vcc_lo, v108, v44
	v_add_co_ci_u32_e32 v108, vcc_lo, v110, v45, vcc_lo
	flat_load_u16 v107, v[107:108]
	s_waitcnt vmcnt(0) lgkmcnt(0)
	v_mul_f16_e32 v109, v48, v107
.LBB207_56:
	v_add_nc_u32_e32 v108, 8, v87
	v_pk_add_f16 v46, v24, v46
	v_pk_max_f16 v110, v106, v106
	v_pk_add_f16 v47, v25, v47
	s_delay_alu instid0(VALU_DEP_4) | instskip(NEXT) | instid1(VALU_DEP_3)
	v_mad_i64_i32 v[106:107], null, v108, s10, 0
	v_pk_min_f16 v46, v110, v46
	v_add_co_u32 v110, vcc_lo, v111, v44
	v_add_co_ci_u32_e32 v111, vcc_lo, v116, v45, vcc_lo
	s_delay_alu instid0(VALU_DEP_3) | instskip(SKIP_2) | instid1(VALU_DEP_3)
	v_pk_min_f16 v112, v46, v47
	v_lshlrev_b64 v[46:47], 1, v[106:107]
	v_mov_b32_e32 v107, 0
	v_lshrrev_b32_e32 v106, 16, v112
	s_delay_alu instid0(VALU_DEP_3) | instskip(NEXT) | instid1(VALU_DEP_4)
	v_add_co_u32 v46, vcc_lo, s6, v46
	v_add_co_ci_u32_e32 v47, vcc_lo, s7, v47, vcc_lo
	s_delay_alu instid0(VALU_DEP_3)
	v_min3_f16 v106, v109, v112, v106
	v_mov_b32_e32 v109, 0
	s_and_b32 vcc_lo, exec_lo, s0
	global_store_b16 v[110:111], v106, off
	s_cbranch_vccnz .LBB207_58
; %bb.57:
	v_add_co_u32 v109, vcc_lo, v46, v30
	v_add_co_ci_u32_e32 v110, vcc_lo, v47, v31, vcc_lo
	flat_load_u16 v106, v[109:110]
	s_waitcnt vmcnt(0) lgkmcnt(0)
	v_mul_f16_e32 v109, v48, v106
.LBB207_58:
	v_pk_add_f16 v110, v28, v20
	v_pk_max_f16 v111, v105, v105
	v_mad_i64_i32 v[105:106], null, v108, s4, 0
	v_pk_add_f16 v108, v29, v21
	s_delay_alu instid0(VALU_DEP_3) | instskip(NEXT) | instid1(VALU_DEP_3)
	v_pk_min_f16 v110, v111, v110
	v_lshlrev_b64 v[105:106], 1, v[105:106]
	s_delay_alu instid0(VALU_DEP_2) | instskip(NEXT) | instid1(VALU_DEP_2)
	v_pk_min_f16 v108, v110, v108
	v_add_co_u32 v105, vcc_lo, s1, v105
	s_delay_alu instid0(VALU_DEP_2) | instskip(NEXT) | instid1(VALU_DEP_4)
	v_lshrrev_b32_e32 v110, 16, v108
	v_add_co_ci_u32_e32 v106, vcc_lo, s5, v106, vcc_lo
	s_delay_alu instid0(VALU_DEP_2) | instskip(NEXT) | instid1(VALU_DEP_4)
	v_min3_f16 v110, v109, v108, v110
	v_add_co_u32 v108, vcc_lo, v105, v30
	s_delay_alu instid0(VALU_DEP_3)
	v_add_co_ci_u32_e32 v109, vcc_lo, v106, v31, vcc_lo
	s_and_b32 vcc_lo, exec_lo, s0
	global_store_b16 v[108:109], v110, off
	s_cbranch_vccnz .LBB207_60
; %bb.59:
	v_add_co_u32 v107, vcc_lo, v46, v32
	v_add_co_ci_u32_e32 v108, vcc_lo, v47, v33, vcc_lo
	flat_load_u16 v107, v[107:108]
	s_waitcnt vmcnt(0) lgkmcnt(0)
	v_mul_f16_e32 v107, v48, v107
.LBB207_60:
	v_pk_add_f16 v108, v8, v20
	v_pk_max_f16 v104, v104, v104
	v_pk_add_f16 v109, v9, v21
	s_delay_alu instid0(VALU_DEP_2) | instskip(SKIP_1) | instid1(VALU_DEP_2)
	v_pk_min_f16 v104, v104, v108
	v_add_co_u32 v108, vcc_lo, v105, v32
	v_pk_min_f16 v104, v104, v109
	v_add_co_ci_u32_e32 v109, vcc_lo, v106, v33, vcc_lo
	s_and_b32 vcc_lo, exec_lo, s0
	s_delay_alu instid0(VALU_DEP_2) | instskip(NEXT) | instid1(VALU_DEP_1)
	v_lshrrev_b32_e32 v110, 16, v104
	v_min3_f16 v110, v107, v104, v110
	v_dual_mov_b32 v104, 0 :: v_dual_mov_b32 v107, 0
	global_store_b16 v[108:109], v110, off
	s_cbranch_vccnz .LBB207_62
; %bb.61:
	v_add_co_u32 v107, vcc_lo, v46, v34
	v_add_co_ci_u32_e32 v108, vcc_lo, v47, v35, vcc_lo
	flat_load_u16 v107, v[107:108]
	s_waitcnt vmcnt(0) lgkmcnt(0)
	v_mul_f16_e32 v107, v48, v107
.LBB207_62:
	v_pk_add_f16 v108, v10, v20
	v_pk_max_f16 v103, v103, v103
	v_pk_add_f16 v109, v11, v21
	s_delay_alu instid0(VALU_DEP_2) | instskip(NEXT) | instid1(VALU_DEP_1)
	v_pk_min_f16 v103, v103, v108
	v_pk_min_f16 v103, v103, v109
	s_delay_alu instid0(VALU_DEP_1) | instskip(NEXT) | instid1(VALU_DEP_1)
	v_lshrrev_b32_e32 v108, 16, v103
	v_min3_f16 v103, v107, v103, v108
	v_add_co_u32 v107, vcc_lo, v105, v34
	v_add_co_ci_u32_e32 v108, vcc_lo, v106, v35, vcc_lo
	s_and_b32 vcc_lo, exec_lo, s0
	global_store_b16 v[107:108], v103, off
	s_cbranch_vccnz .LBB207_64
; %bb.63:
	v_add_co_u32 v103, vcc_lo, v46, v40
	v_add_co_ci_u32_e32 v104, vcc_lo, v47, v41, vcc_lo
	flat_load_u16 v103, v[103:104]
	s_waitcnt vmcnt(0) lgkmcnt(0)
	v_mul_f16_e32 v104, v48, v103
.LBB207_64:
	v_pk_add_f16 v103, v4, v20
	v_pk_max_f16 v102, v102, v102
	v_pk_add_f16 v107, v5, v21
	s_delay_alu instid0(VALU_DEP_2) | instskip(NEXT) | instid1(VALU_DEP_1)
	v_pk_min_f16 v102, v102, v103
	v_pk_min_f16 v102, v102, v107
	v_add_co_u32 v107, vcc_lo, v105, v40
	v_add_co_ci_u32_e32 v108, vcc_lo, v106, v41, vcc_lo
	s_delay_alu instid0(VALU_DEP_3) | instskip(SKIP_1) | instid1(VALU_DEP_1)
	v_lshrrev_b32_e32 v103, 16, v102
	s_and_b32 vcc_lo, exec_lo, s0
	v_min3_f16 v104, v104, v102, v103
	v_dual_mov_b32 v102, 0 :: v_dual_mov_b32 v103, 0
	global_store_b16 v[107:108], v104, off
	s_cbranch_vccnz .LBB207_66
; %bb.65:
	v_add_co_u32 v103, vcc_lo, v46, v42
	v_add_co_ci_u32_e32 v104, vcc_lo, v47, v43, vcc_lo
	flat_load_u16 v103, v[103:104]
	s_waitcnt vmcnt(0) lgkmcnt(0)
	v_mul_f16_e32 v103, v48, v103
.LBB207_66:
	v_pk_add_f16 v104, v6, v20
	v_pk_max_f16 v101, v101, v101
	v_pk_add_f16 v107, v7, v21
	s_delay_alu instid0(VALU_DEP_2) | instskip(NEXT) | instid1(VALU_DEP_1)
	v_pk_min_f16 v101, v101, v104
	v_pk_min_f16 v101, v101, v107
	s_delay_alu instid0(VALU_DEP_1) | instskip(NEXT) | instid1(VALU_DEP_1)
	v_lshrrev_b32_e32 v104, 16, v101
	v_min3_f16 v101, v103, v101, v104
	v_add_co_u32 v103, vcc_lo, v105, v42
	v_add_co_ci_u32_e32 v104, vcc_lo, v106, v43, vcc_lo
	s_and_b32 vcc_lo, exec_lo, s0
	global_store_b16 v[103:104], v101, off
	s_cbranch_vccnz .LBB207_68
; %bb.67:
	v_add_co_u32 v101, vcc_lo, v46, v38
	v_add_co_ci_u32_e32 v102, vcc_lo, v47, v39, vcc_lo
	flat_load_u16 v101, v[101:102]
	s_waitcnt vmcnt(0) lgkmcnt(0)
	v_mul_f16_e32 v102, v48, v101
.LBB207_68:
	v_pk_add_f16 v101, v0, v20
	v_pk_max_f16 v100, v100, v100
	v_pk_add_f16 v103, v1, v21
	s_delay_alu instid0(VALU_DEP_2) | instskip(NEXT) | instid1(VALU_DEP_1)
	v_pk_min_f16 v100, v100, v101
	v_pk_min_f16 v100, v100, v103
	v_add_co_u32 v103, vcc_lo, v105, v38
	v_add_co_ci_u32_e32 v104, vcc_lo, v106, v39, vcc_lo
	s_delay_alu instid0(VALU_DEP_3) | instskip(SKIP_1) | instid1(VALU_DEP_1)
	v_lshrrev_b32_e32 v101, 16, v100
	s_and_b32 vcc_lo, exec_lo, s0
	v_min3_f16 v102, v102, v100, v101
	v_dual_mov_b32 v100, 0 :: v_dual_mov_b32 v101, 0
	global_store_b16 v[103:104], v102, off
	s_cbranch_vccnz .LBB207_70
; %bb.69:
	v_add_co_u32 v101, vcc_lo, v46, v36
	v_add_co_ci_u32_e32 v102, vcc_lo, v47, v37, vcc_lo
	flat_load_u16 v101, v[101:102]
	s_waitcnt vmcnt(0) lgkmcnt(0)
	v_mul_f16_e32 v101, v48, v101
.LBB207_70:
	v_pk_add_f16 v102, v2, v20
	v_pk_max_f16 v99, v99, v99
	v_pk_add_f16 v103, v3, v21
	s_delay_alu instid0(VALU_DEP_2) | instskip(NEXT) | instid1(VALU_DEP_1)
	v_pk_min_f16 v99, v99, v102
	v_pk_min_f16 v99, v99, v103
	s_delay_alu instid0(VALU_DEP_1) | instskip(NEXT) | instid1(VALU_DEP_1)
	v_lshrrev_b32_e32 v102, 16, v99
	v_min3_f16 v99, v101, v99, v102
	v_add_co_u32 v101, vcc_lo, v105, v36
	v_add_co_ci_u32_e32 v102, vcc_lo, v106, v37, vcc_lo
	s_and_b32 vcc_lo, exec_lo, s0
	global_store_b16 v[101:102], v99, off
	s_cbranch_vccnz .LBB207_72
; %bb.71:
	v_add_co_u32 v46, vcc_lo, v46, v44
	v_add_co_ci_u32_e32 v47, vcc_lo, v47, v45, vcc_lo
	flat_load_u16 v46, v[46:47]
	s_waitcnt vmcnt(0) lgkmcnt(0)
	v_mul_f16_e32 v100, v48, v46
.LBB207_72:
	v_add_nc_u32_e32 v46, 16, v87
	v_pk_add_f16 v20, v24, v20
	v_pk_max_f16 v47, v98, v98
	v_pk_add_f16 v21, v25, v21
	v_add_co_u32 v101, vcc_lo, v105, v44
	v_mad_i64_i32 v[98:99], null, v46, s10, 0
	s_delay_alu instid0(VALU_DEP_4) | instskip(SKIP_1) | instid1(VALU_DEP_2)
	v_pk_min_f16 v20, v47, v20
	v_add_co_ci_u32_e32 v102, vcc_lo, v106, v45, vcc_lo
	v_pk_min_f16 v47, v20, v21
	s_delay_alu instid0(VALU_DEP_4) | instskip(SKIP_1) | instid1(VALU_DEP_3)
	v_lshlrev_b64 v[20:21], 1, v[98:99]
	v_mov_b32_e32 v99, 0
	v_lshrrev_b32_e32 v98, 16, v47
	s_delay_alu instid0(VALU_DEP_3) | instskip(NEXT) | instid1(VALU_DEP_4)
	v_add_co_u32 v20, vcc_lo, s6, v20
	v_add_co_ci_u32_e32 v21, vcc_lo, s7, v21, vcc_lo
	s_delay_alu instid0(VALU_DEP_3)
	v_min3_f16 v47, v100, v47, v98
	v_mov_b32_e32 v98, 0
	s_and_b32 vcc_lo, exec_lo, s0
	global_store_b16 v[101:102], v47, off
	s_cbranch_vccnz .LBB207_74
; %bb.73:
	v_add_co_u32 v99, vcc_lo, v20, v30
	v_add_co_ci_u32_e32 v100, vcc_lo, v21, v31, vcc_lo
	flat_load_u16 v47, v[99:100]
	s_waitcnt vmcnt(0) lgkmcnt(0)
	v_mul_f16_e32 v99, v48, v47
.LBB207_74:
	v_pk_add_f16 v47, v28, v22
	v_pk_max_f16 v97, v97, v97
	v_mad_i64_i32 v[100:101], null, v46, s4, 0
	v_pk_add_f16 v46, v29, v23
	s_delay_alu instid0(VALU_DEP_3) | instskip(NEXT) | instid1(VALU_DEP_1)
	v_pk_min_f16 v47, v97, v47
	v_pk_min_f16 v97, v47, v46
	s_delay_alu instid0(VALU_DEP_4) | instskip(NEXT) | instid1(VALU_DEP_2)
	v_lshlrev_b64 v[46:47], 1, v[100:101]
	v_lshrrev_b32_e32 v100, 16, v97
	s_delay_alu instid0(VALU_DEP_2) | instskip(NEXT) | instid1(VALU_DEP_3)
	v_add_co_u32 v46, vcc_lo, s1, v46
	v_add_co_ci_u32_e32 v47, vcc_lo, s5, v47, vcc_lo
	s_delay_alu instid0(VALU_DEP_3) | instskip(NEXT) | instid1(VALU_DEP_3)
	v_min3_f16 v97, v99, v97, v100
	v_add_co_u32 v99, vcc_lo, v46, v30
	s_delay_alu instid0(VALU_DEP_3)
	v_add_co_ci_u32_e32 v100, vcc_lo, v47, v31, vcc_lo
	s_and_b32 vcc_lo, exec_lo, s0
	global_store_b16 v[99:100], v97, off
	s_cbranch_vccnz .LBB207_76
; %bb.75:
	v_add_co_u32 v97, vcc_lo, v20, v32
	v_add_co_ci_u32_e32 v98, vcc_lo, v21, v33, vcc_lo
	flat_load_u16 v97, v[97:98]
	s_waitcnt vmcnt(0) lgkmcnt(0)
	v_mul_f16_e32 v98, v48, v97
.LBB207_76:
	v_pk_add_f16 v97, v8, v22
	v_pk_max_f16 v96, v96, v96
	v_pk_add_f16 v99, v9, v23
	s_delay_alu instid0(VALU_DEP_2) | instskip(NEXT) | instid1(VALU_DEP_1)
	v_pk_min_f16 v96, v96, v97
	v_pk_min_f16 v96, v96, v99
	v_add_co_u32 v99, vcc_lo, v46, v32
	v_add_co_ci_u32_e32 v100, vcc_lo, v47, v33, vcc_lo
	s_delay_alu instid0(VALU_DEP_3) | instskip(SKIP_1) | instid1(VALU_DEP_1)
	v_lshrrev_b32_e32 v97, 16, v96
	s_and_b32 vcc_lo, exec_lo, s0
	v_min3_f16 v98, v98, v96, v97
	v_dual_mov_b32 v96, 0 :: v_dual_mov_b32 v97, 0
	global_store_b16 v[99:100], v98, off
	s_cbranch_vccnz .LBB207_78
; %bb.77:
	v_add_co_u32 v97, vcc_lo, v20, v34
	v_add_co_ci_u32_e32 v98, vcc_lo, v21, v35, vcc_lo
	flat_load_u16 v97, v[97:98]
	s_waitcnt vmcnt(0) lgkmcnt(0)
	v_mul_f16_e32 v97, v48, v97
.LBB207_78:
	v_pk_add_f16 v98, v10, v22
	v_pk_max_f16 v95, v95, v95
	v_pk_add_f16 v99, v11, v23
	s_delay_alu instid0(VALU_DEP_2) | instskip(NEXT) | instid1(VALU_DEP_1)
	v_pk_min_f16 v95, v95, v98
	v_pk_min_f16 v95, v95, v99
	s_delay_alu instid0(VALU_DEP_1) | instskip(NEXT) | instid1(VALU_DEP_1)
	v_lshrrev_b32_e32 v98, 16, v95
	v_min3_f16 v95, v97, v95, v98
	v_add_co_u32 v97, vcc_lo, v46, v34
	v_add_co_ci_u32_e32 v98, vcc_lo, v47, v35, vcc_lo
	s_and_b32 vcc_lo, exec_lo, s0
	global_store_b16 v[97:98], v95, off
	s_cbranch_vccnz .LBB207_80
; %bb.79:
	v_add_co_u32 v95, vcc_lo, v20, v40
	v_add_co_ci_u32_e32 v96, vcc_lo, v21, v41, vcc_lo
	flat_load_u16 v95, v[95:96]
	s_waitcnt vmcnt(0) lgkmcnt(0)
	v_mul_f16_e32 v96, v48, v95
.LBB207_80:
	v_pk_add_f16 v95, v4, v22
	v_pk_max_f16 v94, v94, v94
	v_pk_add_f16 v97, v5, v23
	s_delay_alu instid0(VALU_DEP_2) | instskip(NEXT) | instid1(VALU_DEP_1)
	v_pk_min_f16 v94, v94, v95
	v_pk_min_f16 v94, v94, v97
	v_add_co_u32 v97, vcc_lo, v46, v40
	v_add_co_ci_u32_e32 v98, vcc_lo, v47, v41, vcc_lo
	s_delay_alu instid0(VALU_DEP_3) | instskip(SKIP_1) | instid1(VALU_DEP_1)
	v_lshrrev_b32_e32 v95, 16, v94
	s_and_b32 vcc_lo, exec_lo, s0
	v_min3_f16 v96, v96, v94, v95
	v_dual_mov_b32 v94, 0 :: v_dual_mov_b32 v95, 0
	global_store_b16 v[97:98], v96, off
	s_cbranch_vccnz .LBB207_82
; %bb.81:
	v_add_co_u32 v95, vcc_lo, v20, v42
	v_add_co_ci_u32_e32 v96, vcc_lo, v21, v43, vcc_lo
	flat_load_u16 v95, v[95:96]
	s_waitcnt vmcnt(0) lgkmcnt(0)
	v_mul_f16_e32 v95, v48, v95
.LBB207_82:
	v_pk_add_f16 v96, v6, v22
	v_pk_max_f16 v93, v93, v93
	v_pk_add_f16 v97, v7, v23
	s_delay_alu instid0(VALU_DEP_2) | instskip(NEXT) | instid1(VALU_DEP_1)
	v_pk_min_f16 v93, v93, v96
	v_pk_min_f16 v93, v93, v97
	s_delay_alu instid0(VALU_DEP_1) | instskip(NEXT) | instid1(VALU_DEP_1)
	v_lshrrev_b32_e32 v96, 16, v93
	v_min3_f16 v93, v95, v93, v96
	v_add_co_u32 v95, vcc_lo, v46, v42
	;; [unrolled: 43-line block ×3, first 2 shown]
	v_add_co_ci_u32_e32 v94, vcc_lo, v47, v37, vcc_lo
	s_and_b32 vcc_lo, exec_lo, s0
	global_store_b16 v[93:94], v91, off
	s_cbranch_vccnz .LBB207_88
; %bb.87:
	v_add_co_u32 v20, vcc_lo, v20, v44
	v_add_co_ci_u32_e32 v21, vcc_lo, v21, v45, vcc_lo
	flat_load_u16 v20, v[20:21]
	s_waitcnt vmcnt(0) lgkmcnt(0)
	v_mul_f16_e32 v92, v48, v20
.LBB207_88:
	v_pk_add_f16 v22, v24, v22
	v_pk_max_f16 v90, v90, v90
	v_pk_add_f16 v23, v25, v23
	v_add_nc_u32_e32 v91, 24, v87
	s_delay_alu instid0(VALU_DEP_3) | instskip(NEXT) | instid1(VALU_DEP_1)
	v_pk_min_f16 v22, v90, v22
	v_pk_min_f16 v90, v22, v23
	v_add_co_u32 v22, vcc_lo, v46, v44
	v_add_co_ci_u32_e32 v23, vcc_lo, v47, v45, vcc_lo
	s_delay_alu instid0(VALU_DEP_3) | instskip(SKIP_1) | instid1(VALU_DEP_2)
	v_lshrrev_b32_e32 v46, 16, v90
	v_mov_b32_e32 v47, 0
	v_min3_f16 v90, v92, v90, v46
	v_mov_b32_e32 v46, 0
	v_mad_i64_i32 v[20:21], null, v91, s10, 0
	global_store_b16 v[22:23], v90, off
	v_lshlrev_b64 v[20:21], 1, v[20:21]
	s_delay_alu instid0(VALU_DEP_1) | instskip(NEXT) | instid1(VALU_DEP_2)
	v_add_co_u32 v20, vcc_lo, s6, v20
	v_add_co_ci_u32_e32 v21, vcc_lo, s7, v21, vcc_lo
	s_and_b32 vcc_lo, exec_lo, s0
	s_cbranch_vccnz .LBB207_90
; %bb.89:
	s_delay_alu instid0(VALU_DEP_2) | instskip(NEXT) | instid1(VALU_DEP_2)
	v_add_co_u32 v22, vcc_lo, v20, v30
	v_add_co_ci_u32_e32 v23, vcc_lo, v21, v31, vcc_lo
	flat_load_u16 v22, v[22:23]
	s_waitcnt vmcnt(0) lgkmcnt(0)
	v_mul_f16_e32 v47, v48, v22
.LBB207_90:
	v_pk_add_f16 v90, v28, v16
	v_pk_max_f16 v89, v89, v89
	v_mad_i64_i32 v[22:23], null, v91, s4, 0
	v_pk_add_f16 v91, v29, v17
	s_delay_alu instid0(VALU_DEP_3) | instskip(NEXT) | instid1(VALU_DEP_3)
	v_pk_min_f16 v89, v89, v90
	v_lshlrev_b64 v[22:23], 1, v[22:23]
	s_delay_alu instid0(VALU_DEP_2) | instskip(NEXT) | instid1(VALU_DEP_2)
	v_pk_min_f16 v89, v89, v91
	v_add_co_u32 v22, vcc_lo, s1, v22
	s_delay_alu instid0(VALU_DEP_2) | instskip(NEXT) | instid1(VALU_DEP_4)
	v_lshrrev_b32_e32 v90, 16, v89
	v_add_co_ci_u32_e32 v23, vcc_lo, s5, v23, vcc_lo
	s_delay_alu instid0(VALU_DEP_2) | instskip(NEXT) | instid1(VALU_DEP_4)
	v_min3_f16 v47, v47, v89, v90
	v_add_co_u32 v89, vcc_lo, v22, v30
	s_delay_alu instid0(VALU_DEP_3)
	v_add_co_ci_u32_e32 v90, vcc_lo, v23, v31, vcc_lo
	s_and_b32 vcc_lo, exec_lo, s0
	global_store_b16 v[89:90], v47, off
	s_cbranch_vccnz .LBB207_92
; %bb.91:
	v_add_co_u32 v46, vcc_lo, v20, v32
	v_add_co_ci_u32_e32 v47, vcc_lo, v21, v33, vcc_lo
	flat_load_u16 v46, v[46:47]
	s_waitcnt vmcnt(0) lgkmcnt(0)
	v_mul_f16_e32 v46, v48, v46
.LBB207_92:
	v_pk_add_f16 v47, v8, v16
	v_pk_max_f16 v88, v88, v88
	v_pk_add_f16 v89, v9, v17
	s_delay_alu instid0(VALU_DEP_2) | instskip(SKIP_1) | instid1(VALU_DEP_2)
	v_pk_min_f16 v47, v88, v47
	v_add_co_u32 v88, vcc_lo, v22, v32
	v_pk_min_f16 v47, v47, v89
	v_add_co_ci_u32_e32 v89, vcc_lo, v23, v33, vcc_lo
	s_and_b32 vcc_lo, exec_lo, s0
	s_delay_alu instid0(VALU_DEP_2) | instskip(NEXT) | instid1(VALU_DEP_1)
	v_lshrrev_b32_e32 v90, 16, v47
	v_min3_f16 v90, v46, v47, v90
	v_dual_mov_b32 v46, 0 :: v_dual_mov_b32 v47, 0
	global_store_b16 v[88:89], v90, off
	s_cbranch_vccnz .LBB207_94
; %bb.93:
	v_add_co_u32 v88, vcc_lo, v20, v34
	v_add_co_ci_u32_e32 v89, vcc_lo, v21, v35, vcc_lo
	flat_load_u16 v47, v[88:89]
	s_waitcnt vmcnt(0) lgkmcnt(0)
	v_mul_f16_e32 v47, v48, v47
.LBB207_94:
	v_pk_add_f16 v88, v10, v16
	v_pk_max_f16 v86, v86, v86
	v_pk_add_f16 v89, v11, v17
	s_delay_alu instid0(VALU_DEP_2) | instskip(NEXT) | instid1(VALU_DEP_1)
	v_pk_min_f16 v86, v86, v88
	v_pk_min_f16 v86, v86, v89
	s_delay_alu instid0(VALU_DEP_1) | instskip(NEXT) | instid1(VALU_DEP_1)
	v_lshrrev_b32_e32 v88, 16, v86
	v_min3_f16 v47, v47, v86, v88
	v_add_co_u32 v88, vcc_lo, v22, v34
	v_add_co_ci_u32_e32 v89, vcc_lo, v23, v35, vcc_lo
	s_and_b32 vcc_lo, exec_lo, s0
	global_store_b16 v[88:89], v47, off
	s_cbranch_vccnz .LBB207_96
; %bb.95:
	v_add_co_u32 v46, vcc_lo, v20, v40
	v_add_co_ci_u32_e32 v47, vcc_lo, v21, v41, vcc_lo
	flat_load_u16 v46, v[46:47]
	s_waitcnt vmcnt(0) lgkmcnt(0)
	v_mul_f16_e32 v46, v48, v46
.LBB207_96:
	v_pk_add_f16 v47, v4, v16
	v_pk_max_f16 v85, v85, v85
	v_pk_add_f16 v86, v5, v17
	s_delay_alu instid0(VALU_DEP_2) | instskip(SKIP_1) | instid1(VALU_DEP_2)
	v_pk_min_f16 v47, v85, v47
	v_add_co_u32 v85, vcc_lo, v22, v40
	v_pk_min_f16 v47, v47, v86
	v_add_co_ci_u32_e32 v86, vcc_lo, v23, v41, vcc_lo
	s_and_b32 vcc_lo, exec_lo, s0
	s_delay_alu instid0(VALU_DEP_2) | instskip(NEXT) | instid1(VALU_DEP_1)
	v_lshrrev_b32_e32 v88, 16, v47
	v_min3_f16 v88, v46, v47, v88
	v_dual_mov_b32 v46, 0 :: v_dual_mov_b32 v47, 0
	global_store_b16 v[85:86], v88, off
	s_cbranch_vccnz .LBB207_98
; %bb.97:
	v_add_co_u32 v85, vcc_lo, v20, v42
	v_add_co_ci_u32_e32 v86, vcc_lo, v21, v43, vcc_lo
	flat_load_u16 v47, v[85:86]
	s_waitcnt vmcnt(0) lgkmcnt(0)
	v_mul_f16_e32 v47, v48, v47
.LBB207_98:
	v_pk_add_f16 v85, v6, v16
	v_pk_max_f16 v84, v84, v84
	v_pk_add_f16 v86, v7, v17
	s_delay_alu instid0(VALU_DEP_2) | instskip(NEXT) | instid1(VALU_DEP_1)
	v_pk_min_f16 v84, v84, v85
	v_pk_min_f16 v84, v84, v86
	s_delay_alu instid0(VALU_DEP_1) | instskip(NEXT) | instid1(VALU_DEP_1)
	v_lshrrev_b32_e32 v85, 16, v84
	v_min3_f16 v47, v47, v84, v85
	v_add_co_u32 v84, vcc_lo, v22, v42
	;; [unrolled: 43-line block ×3, first 2 shown]
	v_add_co_ci_u32_e32 v83, vcc_lo, v23, v37, vcc_lo
	s_and_b32 vcc_lo, exec_lo, s0
	global_store_b16 v[82:83], v47, off
	s_cbranch_vccnz .LBB207_104
; %bb.103:
	v_add_co_u32 v20, vcc_lo, v20, v44
	v_add_co_ci_u32_e32 v21, vcc_lo, v21, v45, vcc_lo
	flat_load_u16 v20, v[20:21]
	s_waitcnt vmcnt(0) lgkmcnt(0)
	v_mul_f16_e32 v46, v48, v20
.LBB207_104:
	v_add_nc_u32_e32 v20, 32, v87
	v_pk_add_f16 v16, v24, v16
	v_pk_max_f16 v21, v81, v81
	v_pk_add_f16 v17, v25, v17
	s_delay_alu instid0(VALU_DEP_4) | instskip(NEXT) | instid1(VALU_DEP_3)
	v_mad_i64_i32 v[81:82], null, v20, s10, 0
	v_pk_min_f16 v16, v21, v16
	s_delay_alu instid0(VALU_DEP_1) | instskip(NEXT) | instid1(VALU_DEP_3)
	v_pk_min_f16 v21, v16, v17
	v_lshlrev_b64 v[16:17], 1, v[81:82]
	v_add_co_u32 v81, vcc_lo, v22, v44
	v_add_co_ci_u32_e32 v82, vcc_lo, v23, v45, vcc_lo
	v_mov_b32_e32 v23, 0
	v_lshrrev_b32_e32 v22, 16, v21
	v_add_co_u32 v16, vcc_lo, s6, v16
	v_add_co_ci_u32_e32 v17, vcc_lo, s7, v17, vcc_lo
	s_delay_alu instid0(VALU_DEP_3)
	v_min3_f16 v21, v46, v21, v22
	v_mov_b32_e32 v22, 0
	s_and_b32 vcc_lo, exec_lo, s0
	global_store_b16 v[81:82], v21, off
	s_cbranch_vccnz .LBB207_106
; %bb.105:
	v_add_co_u32 v46, vcc_lo, v16, v30
	v_add_co_ci_u32_e32 v47, vcc_lo, v17, v31, vcc_lo
	flat_load_u16 v21, v[46:47]
	s_waitcnt vmcnt(0) lgkmcnt(0)
	v_mul_f16_e32 v23, v48, v21
.LBB207_106:
	v_pk_add_f16 v21, v28, v18
	v_pk_max_f16 v80, v80, v80
	v_mad_i64_i32 v[46:47], null, v20, s4, 0
	v_pk_add_f16 v20, v29, v19
	s_delay_alu instid0(VALU_DEP_3) | instskip(NEXT) | instid1(VALU_DEP_1)
	v_pk_min_f16 v21, v80, v21
	v_pk_min_f16 v80, v21, v20
	s_delay_alu instid0(VALU_DEP_4) | instskip(NEXT) | instid1(VALU_DEP_2)
	v_lshlrev_b64 v[20:21], 1, v[46:47]
	v_lshrrev_b32_e32 v46, 16, v80
	s_delay_alu instid0(VALU_DEP_2) | instskip(NEXT) | instid1(VALU_DEP_3)
	v_add_co_u32 v20, vcc_lo, s1, v20
	v_add_co_ci_u32_e32 v21, vcc_lo, s5, v21, vcc_lo
	s_delay_alu instid0(VALU_DEP_3) | instskip(NEXT) | instid1(VALU_DEP_3)
	v_min3_f16 v23, v23, v80, v46
	v_add_co_u32 v46, vcc_lo, v20, v30
	s_delay_alu instid0(VALU_DEP_3)
	v_add_co_ci_u32_e32 v47, vcc_lo, v21, v31, vcc_lo
	s_and_b32 vcc_lo, exec_lo, s0
	global_store_b16 v[46:47], v23, off
	s_cbranch_vccnz .LBB207_108
; %bb.107:
	v_add_co_u32 v22, vcc_lo, v16, v32
	v_add_co_ci_u32_e32 v23, vcc_lo, v17, v33, vcc_lo
	flat_load_u16 v22, v[22:23]
	s_waitcnt vmcnt(0) lgkmcnt(0)
	v_mul_f16_e32 v22, v48, v22
.LBB207_108:
	v_pk_add_f16 v23, v8, v18
	v_pk_max_f16 v46, v79, v79
	v_pk_add_f16 v47, v9, v19
	s_delay_alu instid0(VALU_DEP_2) | instskip(SKIP_1) | instid1(VALU_DEP_2)
	v_pk_min_f16 v23, v46, v23
	v_add_co_u32 v46, vcc_lo, v20, v32
	v_pk_min_f16 v23, v23, v47
	v_add_co_ci_u32_e32 v47, vcc_lo, v21, v33, vcc_lo
	s_and_b32 vcc_lo, exec_lo, s0
	s_delay_alu instid0(VALU_DEP_2) | instskip(NEXT) | instid1(VALU_DEP_1)
	v_lshrrev_b32_e32 v79, 16, v23
	v_min3_f16 v79, v22, v23, v79
	v_dual_mov_b32 v22, 0 :: v_dual_mov_b32 v23, 0
	global_store_b16 v[46:47], v79, off
	s_cbranch_vccnz .LBB207_110
; %bb.109:
	v_add_co_u32 v46, vcc_lo, v16, v34
	v_add_co_ci_u32_e32 v47, vcc_lo, v17, v35, vcc_lo
	flat_load_u16 v23, v[46:47]
	s_waitcnt vmcnt(0) lgkmcnt(0)
	v_mul_f16_e32 v23, v48, v23
.LBB207_110:
	v_pk_add_f16 v46, v10, v18
	v_pk_max_f16 v47, v78, v78
	v_pk_add_f16 v78, v11, v19
	s_delay_alu instid0(VALU_DEP_2) | instskip(NEXT) | instid1(VALU_DEP_1)
	v_pk_min_f16 v46, v47, v46
	v_pk_min_f16 v46, v46, v78
	s_delay_alu instid0(VALU_DEP_1) | instskip(NEXT) | instid1(VALU_DEP_1)
	v_lshrrev_b32_e32 v47, 16, v46
	v_min3_f16 v23, v23, v46, v47
	v_add_co_u32 v46, vcc_lo, v20, v34
	v_add_co_ci_u32_e32 v47, vcc_lo, v21, v35, vcc_lo
	s_and_b32 vcc_lo, exec_lo, s0
	global_store_b16 v[46:47], v23, off
	s_cbranch_vccnz .LBB207_112
; %bb.111:
	v_add_co_u32 v22, vcc_lo, v16, v40
	v_add_co_ci_u32_e32 v23, vcc_lo, v17, v41, vcc_lo
	flat_load_u16 v22, v[22:23]
	s_waitcnt vmcnt(0) lgkmcnt(0)
	v_mul_f16_e32 v22, v48, v22
.LBB207_112:
	v_pk_add_f16 v23, v4, v18
	v_pk_max_f16 v46, v77, v77
	v_pk_add_f16 v47, v5, v19
	s_delay_alu instid0(VALU_DEP_2) | instskip(SKIP_1) | instid1(VALU_DEP_2)
	v_pk_min_f16 v23, v46, v23
	v_add_co_u32 v46, vcc_lo, v20, v40
	v_pk_min_f16 v23, v23, v47
	v_add_co_ci_u32_e32 v47, vcc_lo, v21, v41, vcc_lo
	s_and_b32 vcc_lo, exec_lo, s0
	s_delay_alu instid0(VALU_DEP_2) | instskip(NEXT) | instid1(VALU_DEP_1)
	v_lshrrev_b32_e32 v77, 16, v23
	v_min3_f16 v77, v22, v23, v77
	v_dual_mov_b32 v22, 0 :: v_dual_mov_b32 v23, 0
	global_store_b16 v[46:47], v77, off
	s_cbranch_vccnz .LBB207_114
; %bb.113:
	v_add_co_u32 v46, vcc_lo, v16, v42
	v_add_co_ci_u32_e32 v47, vcc_lo, v17, v43, vcc_lo
	flat_load_u16 v23, v[46:47]
	s_waitcnt vmcnt(0) lgkmcnt(0)
	v_mul_f16_e32 v23, v48, v23
.LBB207_114:
	v_pk_add_f16 v46, v6, v18
	v_pk_max_f16 v47, v76, v76
	v_pk_add_f16 v76, v7, v19
	s_delay_alu instid0(VALU_DEP_2) | instskip(NEXT) | instid1(VALU_DEP_1)
	v_pk_min_f16 v46, v47, v46
	v_pk_min_f16 v46, v46, v76
	s_delay_alu instid0(VALU_DEP_1) | instskip(NEXT) | instid1(VALU_DEP_1)
	v_lshrrev_b32_e32 v47, 16, v46
	v_min3_f16 v23, v23, v46, v47
	v_add_co_u32 v46, vcc_lo, v20, v42
	;; [unrolled: 43-line block ×3, first 2 shown]
	v_add_co_ci_u32_e32 v47, vcc_lo, v21, v37, vcc_lo
	s_and_b32 vcc_lo, exec_lo, s0
	global_store_b16 v[46:47], v23, off
	s_cbranch_vccnz .LBB207_120
; %bb.119:
	v_add_co_u32 v16, vcc_lo, v16, v44
	v_add_co_ci_u32_e32 v17, vcc_lo, v17, v45, vcc_lo
	flat_load_u16 v16, v[16:17]
	s_waitcnt vmcnt(0) lgkmcnt(0)
	v_mul_f16_e32 v22, v48, v16
.LBB207_120:
	v_pk_add_f16 v18, v24, v18
	v_pk_max_f16 v46, v73, v73
	v_pk_add_f16 v19, v25, v19
	v_add_nc_u32_e32 v23, 40, v87
	s_delay_alu instid0(VALU_DEP_3) | instskip(NEXT) | instid1(VALU_DEP_1)
	v_pk_min_f16 v18, v46, v18
	v_pk_min_f16 v46, v18, v19
	v_add_co_u32 v18, vcc_lo, v20, v44
	v_add_co_ci_u32_e32 v19, vcc_lo, v21, v45, vcc_lo
	s_delay_alu instid0(VALU_DEP_3) | instskip(SKIP_1) | instid1(VALU_DEP_2)
	v_lshrrev_b32_e32 v20, 16, v46
	v_mov_b32_e32 v21, 0
	v_min3_f16 v22, v22, v46, v20
	v_mov_b32_e32 v20, 0
	v_mad_i64_i32 v[16:17], null, v23, s10, 0
	global_store_b16 v[18:19], v22, off
	v_lshlrev_b64 v[16:17], 1, v[16:17]
	s_delay_alu instid0(VALU_DEP_1) | instskip(NEXT) | instid1(VALU_DEP_2)
	v_add_co_u32 v16, vcc_lo, s6, v16
	v_add_co_ci_u32_e32 v17, vcc_lo, s7, v17, vcc_lo
	s_and_b32 vcc_lo, exec_lo, s0
	s_cbranch_vccnz .LBB207_122
; %bb.121:
	s_delay_alu instid0(VALU_DEP_2) | instskip(NEXT) | instid1(VALU_DEP_2)
	v_add_co_u32 v18, vcc_lo, v16, v30
	v_add_co_ci_u32_e32 v19, vcc_lo, v17, v31, vcc_lo
	flat_load_u16 v18, v[18:19]
	s_waitcnt vmcnt(0) lgkmcnt(0)
	v_mul_f16_e32 v21, v48, v18
.LBB207_122:
	v_pk_add_f16 v22, v28, v12
	v_pk_max_f16 v46, v72, v72
	v_mad_i64_i32 v[18:19], null, v23, s4, 0
	v_pk_add_f16 v23, v29, v13
	s_delay_alu instid0(VALU_DEP_3) | instskip(NEXT) | instid1(VALU_DEP_3)
	v_pk_min_f16 v22, v46, v22
	v_lshlrev_b64 v[18:19], 1, v[18:19]
	s_delay_alu instid0(VALU_DEP_2) | instskip(NEXT) | instid1(VALU_DEP_2)
	v_pk_min_f16 v22, v22, v23
	v_add_co_u32 v18, vcc_lo, s1, v18
	s_delay_alu instid0(VALU_DEP_2) | instskip(NEXT) | instid1(VALU_DEP_4)
	v_lshrrev_b32_e32 v23, 16, v22
	v_add_co_ci_u32_e32 v19, vcc_lo, s5, v19, vcc_lo
	s_delay_alu instid0(VALU_DEP_2) | instskip(NEXT) | instid1(VALU_DEP_4)
	v_min3_f16 v23, v21, v22, v23
	v_add_co_u32 v21, vcc_lo, v18, v30
	s_delay_alu instid0(VALU_DEP_3)
	v_add_co_ci_u32_e32 v22, vcc_lo, v19, v31, vcc_lo
	s_and_b32 vcc_lo, exec_lo, s0
	global_store_b16 v[21:22], v23, off
	s_cbranch_vccnz .LBB207_124
; %bb.123:
	v_add_co_u32 v20, vcc_lo, v16, v32
	v_add_co_ci_u32_e32 v21, vcc_lo, v17, v33, vcc_lo
	flat_load_u16 v20, v[20:21]
	s_waitcnt vmcnt(0) lgkmcnt(0)
	v_mul_f16_e32 v20, v48, v20
.LBB207_124:
	v_pk_add_f16 v21, v8, v12
	v_pk_max_f16 v22, v71, v71
	v_pk_add_f16 v23, v9, v13
	s_delay_alu instid0(VALU_DEP_2) | instskip(SKIP_1) | instid1(VALU_DEP_2)
	v_pk_min_f16 v21, v22, v21
	v_add_co_u32 v22, vcc_lo, v18, v32
	v_pk_min_f16 v21, v21, v23
	v_add_co_ci_u32_e32 v23, vcc_lo, v19, v33, vcc_lo
	s_and_b32 vcc_lo, exec_lo, s0
	s_delay_alu instid0(VALU_DEP_2) | instskip(NEXT) | instid1(VALU_DEP_1)
	v_lshrrev_b32_e32 v46, 16, v21
	v_min3_f16 v46, v20, v21, v46
	v_dual_mov_b32 v20, 0 :: v_dual_mov_b32 v21, 0
	global_store_b16 v[22:23], v46, off
	s_cbranch_vccnz .LBB207_126
; %bb.125:
	v_add_co_u32 v21, vcc_lo, v16, v34
	v_add_co_ci_u32_e32 v22, vcc_lo, v17, v35, vcc_lo
	flat_load_u16 v21, v[21:22]
	s_waitcnt vmcnt(0) lgkmcnt(0)
	v_mul_f16_e32 v21, v48, v21
.LBB207_126:
	v_pk_add_f16 v22, v10, v12
	v_pk_max_f16 v23, v70, v70
	v_pk_add_f16 v46, v11, v13
	s_delay_alu instid0(VALU_DEP_2) | instskip(NEXT) | instid1(VALU_DEP_1)
	v_pk_min_f16 v22, v23, v22
	v_pk_min_f16 v22, v22, v46
	s_delay_alu instid0(VALU_DEP_1) | instskip(NEXT) | instid1(VALU_DEP_1)
	v_lshrrev_b32_e32 v23, 16, v22
	v_min3_f16 v23, v21, v22, v23
	v_add_co_u32 v21, vcc_lo, v18, v34
	v_add_co_ci_u32_e32 v22, vcc_lo, v19, v35, vcc_lo
	s_and_b32 vcc_lo, exec_lo, s0
	global_store_b16 v[21:22], v23, off
	s_cbranch_vccnz .LBB207_128
; %bb.127:
	v_add_co_u32 v20, vcc_lo, v16, v40
	v_add_co_ci_u32_e32 v21, vcc_lo, v17, v41, vcc_lo
	flat_load_u16 v20, v[20:21]
	s_waitcnt vmcnt(0) lgkmcnt(0)
	v_mul_f16_e32 v20, v48, v20
.LBB207_128:
	v_pk_add_f16 v21, v4, v12
	v_pk_max_f16 v22, v69, v69
	v_pk_add_f16 v23, v5, v13
	s_delay_alu instid0(VALU_DEP_2) | instskip(SKIP_1) | instid1(VALU_DEP_2)
	v_pk_min_f16 v21, v22, v21
	v_add_co_u32 v22, vcc_lo, v18, v40
	v_pk_min_f16 v21, v21, v23
	v_add_co_ci_u32_e32 v23, vcc_lo, v19, v41, vcc_lo
	s_and_b32 vcc_lo, exec_lo, s0
	s_delay_alu instid0(VALU_DEP_2) | instskip(NEXT) | instid1(VALU_DEP_1)
	v_lshrrev_b32_e32 v46, 16, v21
	v_min3_f16 v46, v20, v21, v46
	v_dual_mov_b32 v20, 0 :: v_dual_mov_b32 v21, 0
	global_store_b16 v[22:23], v46, off
	s_cbranch_vccnz .LBB207_130
; %bb.129:
	v_add_co_u32 v21, vcc_lo, v16, v42
	v_add_co_ci_u32_e32 v22, vcc_lo, v17, v43, vcc_lo
	flat_load_u16 v21, v[21:22]
	s_waitcnt vmcnt(0) lgkmcnt(0)
	v_mul_f16_e32 v21, v48, v21
.LBB207_130:
	v_pk_add_f16 v22, v6, v12
	v_pk_max_f16 v23, v68, v68
	v_pk_add_f16 v46, v7, v13
	s_delay_alu instid0(VALU_DEP_2) | instskip(NEXT) | instid1(VALU_DEP_1)
	v_pk_min_f16 v22, v23, v22
	v_pk_min_f16 v22, v22, v46
	s_delay_alu instid0(VALU_DEP_1) | instskip(NEXT) | instid1(VALU_DEP_1)
	v_lshrrev_b32_e32 v23, 16, v22
	v_min3_f16 v23, v21, v22, v23
	v_add_co_u32 v21, vcc_lo, v18, v42
	;; [unrolled: 43-line block ×3, first 2 shown]
	v_add_co_ci_u32_e32 v22, vcc_lo, v19, v37, vcc_lo
	s_and_b32 vcc_lo, exec_lo, s0
	global_store_b16 v[21:22], v23, off
	s_cbranch_vccnz .LBB207_136
; %bb.135:
	v_add_co_u32 v16, vcc_lo, v16, v44
	v_add_co_ci_u32_e32 v17, vcc_lo, v17, v45, vcc_lo
	flat_load_u16 v16, v[16:17]
	s_waitcnt vmcnt(0) lgkmcnt(0)
	v_mul_f16_e32 v20, v48, v16
.LBB207_136:
	v_add_nc_u32_e32 v16, 48, v87
	v_pk_add_f16 v12, v24, v12
	v_pk_max_f16 v17, v65, v65
	v_pk_add_f16 v13, v25, v13
	s_delay_alu instid0(VALU_DEP_4) | instskip(NEXT) | instid1(VALU_DEP_3)
	v_mad_i64_i32 v[21:22], null, v16, s10, 0
	v_pk_min_f16 v12, v17, v12
	s_delay_alu instid0(VALU_DEP_1) | instskip(NEXT) | instid1(VALU_DEP_3)
	v_pk_min_f16 v17, v12, v13
	v_lshlrev_b64 v[12:13], 1, v[21:22]
	v_add_co_u32 v21, vcc_lo, v18, v44
	v_add_co_ci_u32_e32 v22, vcc_lo, v19, v45, vcc_lo
	v_mov_b32_e32 v19, 0
	v_lshrrev_b32_e32 v18, 16, v17
	v_add_co_u32 v12, vcc_lo, s6, v12
	v_add_co_ci_u32_e32 v13, vcc_lo, s7, v13, vcc_lo
	s_delay_alu instid0(VALU_DEP_3)
	v_min3_f16 v17, v20, v17, v18
	v_mov_b32_e32 v18, 0
	s_and_b32 vcc_lo, exec_lo, s0
	global_store_b16 v[21:22], v17, off
	s_cbranch_vccnz .LBB207_138
; %bb.137:
	v_add_co_u32 v19, vcc_lo, v12, v30
	v_add_co_ci_u32_e32 v20, vcc_lo, v13, v31, vcc_lo
	flat_load_u16 v17, v[19:20]
	s_waitcnt vmcnt(0) lgkmcnt(0)
	v_mul_f16_e32 v19, v48, v17
.LBB207_138:
	v_pk_add_f16 v17, v28, v14
	v_pk_max_f16 v22, v64, v64
	v_mad_i64_i32 v[20:21], null, v16, s4, 0
	v_pk_add_f16 v16, v29, v15
	s_delay_alu instid0(VALU_DEP_3) | instskip(NEXT) | instid1(VALU_DEP_1)
	v_pk_min_f16 v17, v22, v17
	v_pk_min_f16 v22, v17, v16
	s_delay_alu instid0(VALU_DEP_4) | instskip(NEXT) | instid1(VALU_DEP_2)
	v_lshlrev_b64 v[16:17], 1, v[20:21]
	v_lshrrev_b32_e32 v20, 16, v22
	s_delay_alu instid0(VALU_DEP_2) | instskip(NEXT) | instid1(VALU_DEP_3)
	v_add_co_u32 v16, vcc_lo, s1, v16
	v_add_co_ci_u32_e32 v17, vcc_lo, s5, v17, vcc_lo
	s_delay_alu instid0(VALU_DEP_3) | instskip(NEXT) | instid1(VALU_DEP_3)
	v_min3_f16 v21, v19, v22, v20
	v_add_co_u32 v19, vcc_lo, v16, v30
	s_delay_alu instid0(VALU_DEP_3)
	v_add_co_ci_u32_e32 v20, vcc_lo, v17, v31, vcc_lo
	s_and_b32 vcc_lo, exec_lo, s0
	global_store_b16 v[19:20], v21, off
	s_cbranch_vccnz .LBB207_140
; %bb.139:
	v_add_co_u32 v18, vcc_lo, v12, v32
	v_add_co_ci_u32_e32 v19, vcc_lo, v13, v33, vcc_lo
	flat_load_u16 v18, v[18:19]
	s_waitcnt vmcnt(0) lgkmcnt(0)
	v_mul_f16_e32 v18, v48, v18
.LBB207_140:
	v_pk_add_f16 v19, v8, v14
	v_pk_max_f16 v20, v63, v63
	v_pk_add_f16 v21, v9, v15
	s_delay_alu instid0(VALU_DEP_2) | instskip(SKIP_1) | instid1(VALU_DEP_2)
	v_pk_min_f16 v19, v20, v19
	v_add_co_u32 v20, vcc_lo, v16, v32
	v_pk_min_f16 v19, v19, v21
	v_add_co_ci_u32_e32 v21, vcc_lo, v17, v33, vcc_lo
	s_and_b32 vcc_lo, exec_lo, s0
	s_delay_alu instid0(VALU_DEP_2) | instskip(NEXT) | instid1(VALU_DEP_1)
	v_lshrrev_b32_e32 v22, 16, v19
	v_min3_f16 v22, v18, v19, v22
	v_dual_mov_b32 v18, 0 :: v_dual_mov_b32 v19, 0
	global_store_b16 v[20:21], v22, off
	s_cbranch_vccnz .LBB207_142
; %bb.141:
	v_add_co_u32 v19, vcc_lo, v12, v34
	v_add_co_ci_u32_e32 v20, vcc_lo, v13, v35, vcc_lo
	flat_load_u16 v19, v[19:20]
	s_waitcnt vmcnt(0) lgkmcnt(0)
	v_mul_f16_e32 v19, v48, v19
.LBB207_142:
	v_pk_add_f16 v20, v10, v14
	v_pk_max_f16 v21, v62, v62
	v_pk_add_f16 v22, v11, v15
	s_delay_alu instid0(VALU_DEP_2) | instskip(NEXT) | instid1(VALU_DEP_1)
	v_pk_min_f16 v20, v21, v20
	v_pk_min_f16 v20, v20, v22
	s_delay_alu instid0(VALU_DEP_1) | instskip(NEXT) | instid1(VALU_DEP_1)
	v_lshrrev_b32_e32 v21, 16, v20
	v_min3_f16 v21, v19, v20, v21
	v_add_co_u32 v19, vcc_lo, v16, v34
	v_add_co_ci_u32_e32 v20, vcc_lo, v17, v35, vcc_lo
	s_and_b32 vcc_lo, exec_lo, s0
	global_store_b16 v[19:20], v21, off
	s_cbranch_vccnz .LBB207_144
; %bb.143:
	v_add_co_u32 v18, vcc_lo, v12, v40
	v_add_co_ci_u32_e32 v19, vcc_lo, v13, v41, vcc_lo
	flat_load_u16 v18, v[18:19]
	s_waitcnt vmcnt(0) lgkmcnt(0)
	v_mul_f16_e32 v18, v48, v18
.LBB207_144:
	v_pk_add_f16 v19, v4, v14
	v_pk_max_f16 v20, v61, v61
	v_pk_add_f16 v21, v5, v15
	s_delay_alu instid0(VALU_DEP_2) | instskip(SKIP_1) | instid1(VALU_DEP_2)
	v_pk_min_f16 v19, v20, v19
	v_add_co_u32 v20, vcc_lo, v16, v40
	v_pk_min_f16 v19, v19, v21
	v_add_co_ci_u32_e32 v21, vcc_lo, v17, v41, vcc_lo
	s_and_b32 vcc_lo, exec_lo, s0
	s_delay_alu instid0(VALU_DEP_2) | instskip(NEXT) | instid1(VALU_DEP_1)
	v_lshrrev_b32_e32 v22, 16, v19
	v_min3_f16 v22, v18, v19, v22
	v_dual_mov_b32 v18, 0 :: v_dual_mov_b32 v19, 0
	global_store_b16 v[20:21], v22, off
	s_cbranch_vccnz .LBB207_146
; %bb.145:
	v_add_co_u32 v19, vcc_lo, v12, v42
	v_add_co_ci_u32_e32 v20, vcc_lo, v13, v43, vcc_lo
	flat_load_u16 v19, v[19:20]
	s_waitcnt vmcnt(0) lgkmcnt(0)
	v_mul_f16_e32 v19, v48, v19
.LBB207_146:
	v_pk_add_f16 v20, v6, v14
	v_pk_max_f16 v21, v60, v60
	v_pk_add_f16 v22, v7, v15
	s_delay_alu instid0(VALU_DEP_2) | instskip(NEXT) | instid1(VALU_DEP_1)
	v_pk_min_f16 v20, v21, v20
	v_pk_min_f16 v20, v20, v22
	s_delay_alu instid0(VALU_DEP_1) | instskip(NEXT) | instid1(VALU_DEP_1)
	v_lshrrev_b32_e32 v21, 16, v20
	v_min3_f16 v21, v19, v20, v21
	v_add_co_u32 v19, vcc_lo, v16, v42
	;; [unrolled: 43-line block ×3, first 2 shown]
	v_add_co_ci_u32_e32 v20, vcc_lo, v17, v37, vcc_lo
	s_and_b32 vcc_lo, exec_lo, s0
	global_store_b16 v[19:20], v21, off
	s_cbranch_vccnz .LBB207_152
; %bb.151:
	v_add_co_u32 v12, vcc_lo, v12, v44
	v_add_co_ci_u32_e32 v13, vcc_lo, v13, v45, vcc_lo
	flat_load_u16 v12, v[12:13]
	s_waitcnt vmcnt(0) lgkmcnt(0)
	v_mul_f16_e32 v18, v48, v12
.LBB207_152:
	v_pk_add_f16 v14, v24, v14
	v_pk_max_f16 v20, v57, v57
	v_pk_add_f16 v15, v25, v15
	v_add_nc_u32_e32 v19, 56, v87
	s_delay_alu instid0(VALU_DEP_3) | instskip(NEXT) | instid1(VALU_DEP_1)
	v_pk_min_f16 v14, v20, v14
	v_pk_min_f16 v20, v14, v15
	v_add_co_u32 v14, vcc_lo, v16, v44
	v_add_co_ci_u32_e32 v15, vcc_lo, v17, v45, vcc_lo
	s_delay_alu instid0(VALU_DEP_3) | instskip(SKIP_1) | instid1(VALU_DEP_2)
	v_lshrrev_b32_e32 v16, 16, v20
	v_mov_b32_e32 v17, 0
	v_min3_f16 v18, v18, v20, v16
	v_mov_b32_e32 v16, 0
	v_mad_i64_i32 v[12:13], null, v19, s10, 0
	global_store_b16 v[14:15], v18, off
	v_lshlrev_b64 v[12:13], 1, v[12:13]
	s_delay_alu instid0(VALU_DEP_1) | instskip(NEXT) | instid1(VALU_DEP_2)
	v_add_co_u32 v12, vcc_lo, s6, v12
	v_add_co_ci_u32_e32 v13, vcc_lo, s7, v13, vcc_lo
	s_and_b32 vcc_lo, exec_lo, s0
	s_cbranch_vccnz .LBB207_154
; %bb.153:
	s_delay_alu instid0(VALU_DEP_2) | instskip(NEXT) | instid1(VALU_DEP_2)
	v_add_co_u32 v14, vcc_lo, v12, v30
	v_add_co_ci_u32_e32 v15, vcc_lo, v13, v31, vcc_lo
	flat_load_u16 v14, v[14:15]
	s_waitcnt vmcnt(0) lgkmcnt(0)
	v_mul_f16_e32 v17, v48, v14
.LBB207_154:
	v_pk_add_f16 v18, v28, v26
	v_pk_max_f16 v20, v56, v56
	v_mad_i64_i32 v[14:15], null, v19, s4, 0
	v_pk_add_f16 v19, v29, v27
	s_delay_alu instid0(VALU_DEP_3) | instskip(NEXT) | instid1(VALU_DEP_3)
	v_pk_min_f16 v18, v20, v18
	v_lshlrev_b64 v[14:15], 1, v[14:15]
	s_delay_alu instid0(VALU_DEP_2) | instskip(NEXT) | instid1(VALU_DEP_2)
	v_pk_min_f16 v18, v18, v19
	v_add_co_u32 v14, vcc_lo, s1, v14
	s_delay_alu instid0(VALU_DEP_2) | instskip(NEXT) | instid1(VALU_DEP_4)
	v_lshrrev_b32_e32 v19, 16, v18
	v_add_co_ci_u32_e32 v15, vcc_lo, s5, v15, vcc_lo
	s_delay_alu instid0(VALU_DEP_2) | instskip(NEXT) | instid1(VALU_DEP_4)
	v_min3_f16 v19, v17, v18, v19
	v_add_co_u32 v17, vcc_lo, v14, v30
	s_delay_alu instid0(VALU_DEP_3)
	v_add_co_ci_u32_e32 v18, vcc_lo, v15, v31, vcc_lo
	s_and_b32 vcc_lo, exec_lo, s0
	global_store_b16 v[17:18], v19, off
	s_cbranch_vccnz .LBB207_156
; %bb.155:
	v_add_co_u32 v16, vcc_lo, v12, v32
	v_add_co_ci_u32_e32 v17, vcc_lo, v13, v33, vcc_lo
	flat_load_u16 v16, v[16:17]
	s_waitcnt vmcnt(0) lgkmcnt(0)
	v_mul_f16_e32 v16, v48, v16
.LBB207_156:
	v_pk_add_f16 v8, v8, v26
	v_pk_max_f16 v17, v55, v55
	v_pk_add_f16 v9, v9, v27
	s_delay_alu instid0(VALU_DEP_2) | instskip(SKIP_2) | instid1(VALU_DEP_3)
	v_pk_min_f16 v8, v17, v8
	v_add_co_u32 v17, vcc_lo, v14, v32
	v_add_co_ci_u32_e32 v18, vcc_lo, v15, v33, vcc_lo
	v_pk_min_f16 v8, v8, v9
	s_and_b32 vcc_lo, exec_lo, s0
	s_delay_alu instid0(VALU_DEP_1) | instskip(NEXT) | instid1(VALU_DEP_1)
	v_lshrrev_b32_e32 v9, 16, v8
	v_min3_f16 v16, v16, v8, v9
	v_dual_mov_b32 v8, 0 :: v_dual_mov_b32 v9, 0
	global_store_b16 v[17:18], v16, off
	s_cbranch_vccnz .LBB207_158
; %bb.157:
	v_add_co_u32 v16, vcc_lo, v12, v34
	v_add_co_ci_u32_e32 v17, vcc_lo, v13, v35, vcc_lo
	flat_load_u16 v9, v[16:17]
	s_waitcnt vmcnt(0) lgkmcnt(0)
	v_mul_f16_e32 v9, v48, v9
.LBB207_158:
	v_pk_add_f16 v10, v10, v26
	v_pk_max_f16 v16, v54, v54
	v_pk_add_f16 v11, v11, v27
	s_delay_alu instid0(VALU_DEP_2) | instskip(NEXT) | instid1(VALU_DEP_1)
	v_pk_min_f16 v10, v16, v10
	v_pk_min_f16 v10, v10, v11
	s_delay_alu instid0(VALU_DEP_1) | instskip(NEXT) | instid1(VALU_DEP_1)
	v_lshrrev_b32_e32 v11, 16, v10
	v_min3_f16 v11, v9, v10, v11
	v_add_co_u32 v9, vcc_lo, v14, v34
	v_add_co_ci_u32_e32 v10, vcc_lo, v15, v35, vcc_lo
	s_and_b32 vcc_lo, exec_lo, s0
	global_store_b16 v[9:10], v11, off
	s_cbranch_vccnz .LBB207_160
; %bb.159:
	v_add_co_u32 v8, vcc_lo, v12, v40
	v_add_co_ci_u32_e32 v9, vcc_lo, v13, v41, vcc_lo
	flat_load_u16 v8, v[8:9]
	s_waitcnt vmcnt(0) lgkmcnt(0)
	v_mul_f16_e32 v8, v48, v8
.LBB207_160:
	v_pk_add_f16 v4, v4, v26
	v_pk_max_f16 v9, v53, v53
	v_pk_add_f16 v5, v5, v27
	s_delay_alu instid0(VALU_DEP_2) | instskip(SKIP_2) | instid1(VALU_DEP_3)
	v_pk_min_f16 v4, v9, v4
	v_add_co_u32 v9, vcc_lo, v14, v40
	v_add_co_ci_u32_e32 v10, vcc_lo, v15, v41, vcc_lo
	v_pk_min_f16 v4, v4, v5
	s_and_b32 vcc_lo, exec_lo, s0
	s_delay_alu instid0(VALU_DEP_1) | instskip(NEXT) | instid1(VALU_DEP_1)
	v_lshrrev_b32_e32 v5, 16, v4
	v_min3_f16 v8, v8, v4, v5
	v_dual_mov_b32 v4, 0 :: v_dual_mov_b32 v5, 0
	global_store_b16 v[9:10], v8, off
	s_cbranch_vccnz .LBB207_162
; %bb.161:
	v_add_co_u32 v8, vcc_lo, v12, v42
	v_add_co_ci_u32_e32 v9, vcc_lo, v13, v43, vcc_lo
	flat_load_u16 v5, v[8:9]
	s_waitcnt vmcnt(0) lgkmcnt(0)
	v_mul_f16_e32 v5, v48, v5
.LBB207_162:
	v_pk_add_f16 v6, v6, v26
	v_pk_max_f16 v8, v52, v52
	v_pk_add_f16 v7, v7, v27
	s_delay_alu instid0(VALU_DEP_2) | instskip(NEXT) | instid1(VALU_DEP_1)
	v_pk_min_f16 v6, v8, v6
	v_pk_min_f16 v6, v6, v7
	s_delay_alu instid0(VALU_DEP_1) | instskip(NEXT) | instid1(VALU_DEP_1)
	v_lshrrev_b32_e32 v7, 16, v6
	v_min3_f16 v7, v5, v6, v7
	v_add_co_u32 v5, vcc_lo, v14, v42
	v_add_co_ci_u32_e32 v6, vcc_lo, v15, v43, vcc_lo
	s_and_b32 vcc_lo, exec_lo, s0
	global_store_b16 v[5:6], v7, off
	s_cbranch_vccnz .LBB207_164
; %bb.163:
	v_add_co_u32 v4, vcc_lo, v12, v38
	v_add_co_ci_u32_e32 v5, vcc_lo, v13, v39, vcc_lo
	flat_load_u16 v4, v[4:5]
	s_waitcnt vmcnt(0) lgkmcnt(0)
	v_mul_f16_e32 v4, v48, v4
.LBB207_164:
	v_pk_add_f16 v0, v0, v26
	v_pk_max_f16 v5, v51, v51
	v_pk_add_f16 v2, v2, v26
	v_pk_max_f16 v6, v50, v50
	v_pk_add_f16 v1, v1, v27
	v_pk_add_f16 v3, v3, v27
	v_pk_min_f16 v0, v5, v0
	s_delay_alu instid0(VALU_DEP_4) | instskip(NEXT) | instid1(VALU_DEP_2)
	v_pk_min_f16 v2, v6, v2
	v_pk_min_f16 v0, v0, v1
	s_delay_alu instid0(VALU_DEP_2) | instskip(NEXT) | instid1(VALU_DEP_2)
	v_pk_min_f16 v1, v2, v3
	v_lshrrev_b32_e32 v2, 16, v0
	s_delay_alu instid0(VALU_DEP_2) | instskip(NEXT) | instid1(VALU_DEP_2)
	v_lshrrev_b32_e32 v3, 16, v1
	v_min3_f16 v4, v4, v0, v2
	s_delay_alu instid0(VALU_DEP_2) | instskip(SKIP_2) | instid1(VALU_DEP_3)
	v_min_f16_e32 v0, v1, v3
	v_add_co_u32 v1, vcc_lo, v14, v38
	v_add_co_ci_u32_e32 v2, vcc_lo, v15, v39, vcc_lo
	v_max_f16_e32 v0, v0, v0
	s_mov_b32 vcc_lo, s2
	global_store_b16 v[1:2], v4, off
	s_cbranch_vccz .LBB207_167
; %bb.165:
	v_add_co_u32 v1, vcc_lo, v14, v36
	v_min_f16_e32 v3, 0, v0
	v_add_co_ci_u32_e32 v2, vcc_lo, v15, v37, vcc_lo
	s_mov_b32 s0, 0
	global_store_b16 v[1:2], v3, off
	s_cbranch_execz .LBB207_168
; %bb.166:
	v_mov_b32_e32 v0, s0
	s_branch .LBB207_169
.LBB207_167:
	s_mov_b32 s0, -1
.LBB207_168:
	v_add_co_u32 v1, vcc_lo, v12, v36
	v_add_co_ci_u32_e32 v2, vcc_lo, v13, v37, vcc_lo
	flat_load_u16 v1, v[1:2]
	s_waitcnt vmcnt(0) lgkmcnt(0)
	v_mul_f16_e32 v3, v48, v1
	v_add_co_u32 v1, vcc_lo, v14, v36
	v_add_co_ci_u32_e32 v2, vcc_lo, v15, v37, vcc_lo
	s_delay_alu instid0(VALU_DEP_3)
	v_min_f16_e32 v0, v3, v0
	v_add_co_u32 v3, vcc_lo, v12, v44
	v_add_co_ci_u32_e32 v4, vcc_lo, v13, v45, vcc_lo
	global_store_b16 v[1:2], v0, off
	flat_load_u16 v0, v[3:4]
	s_waitcnt vmcnt(0) lgkmcnt(0)
	v_mul_f16_e32 v0, v48, v0
.LBB207_169:
	v_pk_add_f16 v1, v24, v26
	v_pk_max_f16 v2, v49, v49
	v_pk_add_f16 v3, v25, v27
	s_delay_alu instid0(VALU_DEP_2) | instskip(NEXT) | instid1(VALU_DEP_1)
	v_pk_min_f16 v1, v2, v1
	v_pk_min_f16 v1, v1, v3
	s_delay_alu instid0(VALU_DEP_1) | instskip(NEXT) | instid1(VALU_DEP_1)
	v_lshrrev_b32_e32 v2, 16, v1
	v_min3_f16 v2, v0, v1, v2
	v_add_co_u32 v0, vcc_lo, v14, v44
	v_add_co_ci_u32_e32 v1, vcc_lo, v15, v45, vcc_lo
	global_store_b16 v[0:1], v2, off
	s_nop 0
	s_sendmsg sendmsg(MSG_DEALLOC_VGPRS)
	s_endpgm
	.section	.rodata,"a",@progbits
	.p2align	6, 0x0
	.amdhsa_kernel _ZN12_GLOBAL__N_120geam_min_plus_kernelIDF16_Dv2_DF16_S1_Li32ELi8ELi256ELi64ELi4ELi64ELi4ELi4ELi64ELc78ELc78ELb0ELb0ELb1EPKDF16_KS3_KPDF16_EEviiiT16_PT17_ilS9_ilS7_S9_ilPT18_ili26rocblas_geam_ex_operation_
		.amdhsa_group_segment_fixed_size 5120
		.amdhsa_private_segment_fixed_size 0
		.amdhsa_kernarg_size 136
		.amdhsa_user_sgpr_count 14
		.amdhsa_user_sgpr_dispatch_ptr 0
		.amdhsa_user_sgpr_queue_ptr 0
		.amdhsa_user_sgpr_kernarg_segment_ptr 1
		.amdhsa_user_sgpr_dispatch_id 0
		.amdhsa_user_sgpr_private_segment_size 0
		.amdhsa_wavefront_size32 1
		.amdhsa_uses_dynamic_stack 0
		.amdhsa_enable_private_segment 0
		.amdhsa_system_sgpr_workgroup_id_x 1
		.amdhsa_system_sgpr_workgroup_id_y 0
		.amdhsa_system_sgpr_workgroup_id_z 1
		.amdhsa_system_sgpr_workgroup_info 0
		.amdhsa_system_vgpr_workitem_id 1
		.amdhsa_next_free_vgpr 160
		.amdhsa_next_free_sgpr 24
		.amdhsa_reserve_vcc 1
		.amdhsa_float_round_mode_32 0
		.amdhsa_float_round_mode_16_64 0
		.amdhsa_float_denorm_mode_32 3
		.amdhsa_float_denorm_mode_16_64 3
		.amdhsa_dx10_clamp 1
		.amdhsa_ieee_mode 1
		.amdhsa_fp16_overflow 0
		.amdhsa_workgroup_processor_mode 1
		.amdhsa_memory_ordered 1
		.amdhsa_forward_progress 0
		.amdhsa_shared_vgpr_count 0
		.amdhsa_exception_fp_ieee_invalid_op 0
		.amdhsa_exception_fp_denorm_src 0
		.amdhsa_exception_fp_ieee_div_zero 0
		.amdhsa_exception_fp_ieee_overflow 0
		.amdhsa_exception_fp_ieee_underflow 0
		.amdhsa_exception_fp_ieee_inexact 0
		.amdhsa_exception_int_div_zero 0
	.end_amdhsa_kernel
	.section	.text._ZN12_GLOBAL__N_120geam_min_plus_kernelIDF16_Dv2_DF16_S1_Li32ELi8ELi256ELi64ELi4ELi64ELi4ELi4ELi64ELc78ELc78ELb0ELb0ELb1EPKDF16_KS3_KPDF16_EEviiiT16_PT17_ilS9_ilS7_S9_ilPT18_ili26rocblas_geam_ex_operation_,"axG",@progbits,_ZN12_GLOBAL__N_120geam_min_plus_kernelIDF16_Dv2_DF16_S1_Li32ELi8ELi256ELi64ELi4ELi64ELi4ELi4ELi64ELc78ELc78ELb0ELb0ELb1EPKDF16_KS3_KPDF16_EEviiiT16_PT17_ilS9_ilS7_S9_ilPT18_ili26rocblas_geam_ex_operation_,comdat
.Lfunc_end207:
	.size	_ZN12_GLOBAL__N_120geam_min_plus_kernelIDF16_Dv2_DF16_S1_Li32ELi8ELi256ELi64ELi4ELi64ELi4ELi4ELi64ELc78ELc78ELb0ELb0ELb1EPKDF16_KS3_KPDF16_EEviiiT16_PT17_ilS9_ilS7_S9_ilPT18_ili26rocblas_geam_ex_operation_, .Lfunc_end207-_ZN12_GLOBAL__N_120geam_min_plus_kernelIDF16_Dv2_DF16_S1_Li32ELi8ELi256ELi64ELi4ELi64ELi4ELi4ELi64ELc78ELc78ELb0ELb0ELb1EPKDF16_KS3_KPDF16_EEviiiT16_PT17_ilS9_ilS7_S9_ilPT18_ili26rocblas_geam_ex_operation_
                                        ; -- End function
	.section	.AMDGPU.csdata,"",@progbits
; Kernel info:
; codeLenInByte = 18444
; NumSgprs: 26
; NumVgprs: 160
; ScratchSize: 0
; MemoryBound: 0
; FloatMode: 240
; IeeeMode: 1
; LDSByteSize: 5120 bytes/workgroup (compile time only)
; SGPRBlocks: 3
; VGPRBlocks: 19
; NumSGPRsForWavesPerEU: 26
; NumVGPRsForWavesPerEU: 160
; Occupancy: 9
; WaveLimiterHint : 1
; COMPUTE_PGM_RSRC2:SCRATCH_EN: 0
; COMPUTE_PGM_RSRC2:USER_SGPR: 14
; COMPUTE_PGM_RSRC2:TRAP_HANDLER: 0
; COMPUTE_PGM_RSRC2:TGID_X_EN: 1
; COMPUTE_PGM_RSRC2:TGID_Y_EN: 0
; COMPUTE_PGM_RSRC2:TGID_Z_EN: 1
; COMPUTE_PGM_RSRC2:TIDIG_COMP_CNT: 1
	.section	.text._ZN12_GLOBAL__N_120geam_min_plus_kernelIDF16_Dv2_DF16_S1_Li32ELi8ELi256ELi64ELi4ELi64ELi4ELi4ELi64ELc78ELc78ELb1ELb0ELb1EDF16_KPKDF16_KPDF16_EEviiiT16_PT17_ilS9_ilS7_S9_ilPT18_ili26rocblas_geam_ex_operation_,"axG",@progbits,_ZN12_GLOBAL__N_120geam_min_plus_kernelIDF16_Dv2_DF16_S1_Li32ELi8ELi256ELi64ELi4ELi64ELi4ELi4ELi64ELc78ELc78ELb1ELb0ELb1EDF16_KPKDF16_KPDF16_EEviiiT16_PT17_ilS9_ilS7_S9_ilPT18_ili26rocblas_geam_ex_operation_,comdat
	.globl	_ZN12_GLOBAL__N_120geam_min_plus_kernelIDF16_Dv2_DF16_S1_Li32ELi8ELi256ELi64ELi4ELi64ELi4ELi4ELi64ELc78ELc78ELb1ELb0ELb1EDF16_KPKDF16_KPDF16_EEviiiT16_PT17_ilS9_ilS7_S9_ilPT18_ili26rocblas_geam_ex_operation_ ; -- Begin function _ZN12_GLOBAL__N_120geam_min_plus_kernelIDF16_Dv2_DF16_S1_Li32ELi8ELi256ELi64ELi4ELi64ELi4ELi4ELi64ELc78ELc78ELb1ELb0ELb1EDF16_KPKDF16_KPDF16_EEviiiT16_PT17_ilS9_ilS7_S9_ilPT18_ili26rocblas_geam_ex_operation_
	.p2align	8
	.type	_ZN12_GLOBAL__N_120geam_min_plus_kernelIDF16_Dv2_DF16_S1_Li32ELi8ELi256ELi64ELi4ELi64ELi4ELi4ELi64ELc78ELc78ELb1ELb0ELb1EDF16_KPKDF16_KPDF16_EEviiiT16_PT17_ilS9_ilS7_S9_ilPT18_ili26rocblas_geam_ex_operation_,@function
_ZN12_GLOBAL__N_120geam_min_plus_kernelIDF16_Dv2_DF16_S1_Li32ELi8ELi256ELi64ELi4ELi64ELi4ELi4ELi64ELc78ELc78ELb1ELb0ELb1EDF16_KPKDF16_KPDF16_EEviiiT16_PT17_ilS9_ilS7_S9_ilPT18_ili26rocblas_geam_ex_operation_: ; @_ZN12_GLOBAL__N_120geam_min_plus_kernelIDF16_Dv2_DF16_S1_Li32ELi8ELi256ELi64ELi4ELi64ELi4ELi4ELi64ELc78ELc78ELb1ELb0ELb1EDF16_KPKDF16_KPDF16_EEviiiT16_PT17_ilS9_ilS7_S9_ilPT18_ili26rocblas_geam_ex_operation_
; %bb.0:
	s_clause 0x1
	s_load_b64 s[8:9], s[0:1], 0x8
	s_load_b128 s[4:7], s[0:1], 0x20
	s_mov_b32 s16, s15
	s_mov_b32 s17, 0
	s_waitcnt lgkmcnt(0)
	v_cmp_eq_f16_e64 s2, s9, 0
	s_delay_alu instid0(VALU_DEP_1)
	s_and_b32 vcc_lo, exec_lo, s2
	s_cbranch_vccnz .LBB208_3
; %bb.1:
	s_load_b64 s[10:11], s[0:1], 0x10
	s_lshl_b64 s[12:13], s[16:17], 3
	s_waitcnt lgkmcnt(0)
	s_add_u32 s10, s10, s12
	s_addc_u32 s11, s11, s13
	s_lshl_b64 s[4:5], s[4:5], 1
	s_load_b64 s[10:11], s[10:11], 0x0
	s_waitcnt lgkmcnt(0)
	s_add_u32 s10, s10, s4
	s_addc_u32 s11, s11, s5
	s_and_not1_b32 vcc_lo, exec_lo, s2
	s_cbranch_vccnz .LBB208_4
.LBB208_2:
	s_mov_b64 s[12:13], 0
	s_and_not1_b32 vcc_lo, exec_lo, s17
	s_cbranch_vccz .LBB208_5
	s_branch .LBB208_6
.LBB208_3:
	s_mov_b64 s[10:11], 0
	s_and_not1_b32 vcc_lo, exec_lo, s2
	s_cbranch_vccz .LBB208_2
.LBB208_4:
	s_mov_b32 s17, -1
                                        ; implicit-def: $sgpr12_sgpr13
.LBB208_5:
	s_mov_b32 s17, 0
	s_load_b64 s[4:5], s[0:1], 0x38
	s_lshl_b64 s[2:3], s[16:17], 3
	s_delay_alu instid0(SALU_CYCLE_1) | instskip(SKIP_4) | instid1(SALU_CYCLE_1)
	s_add_u32 s2, s6, s2
	s_addc_u32 s3, s7, s3
	s_load_b64 s[2:3], s[2:3], 0x0
	s_waitcnt lgkmcnt(0)
	s_lshl_b64 s[4:5], s[4:5], 1
	s_add_u32 s12, s2, s4
	s_addc_u32 s13, s3, s5
.LBB208_6:
	s_clause 0x1
	s_load_b32 s15, s[0:1], 0x40
	s_load_b128 s[4:7], s[0:1], 0x58
	s_waitcnt lgkmcnt(0)
	v_cmp_eq_f16_e64 s2, s15, 0
	s_delay_alu instid0(VALU_DEP_1) | instskip(NEXT) | instid1(SALU_CYCLE_1)
	s_and_b32 s2, exec_lo, s2
	s_mov_b32 vcc_lo, s2
	s_cbranch_vccnz .LBB208_8
; %bb.7:
	s_load_b64 s[18:19], s[0:1], 0x48
	s_lshl_b64 s[20:21], s[16:17], 3
	s_waitcnt lgkmcnt(0)
	s_add_u32 s18, s18, s20
	s_addc_u32 s19, s19, s21
	s_lshl_b64 s[4:5], s[4:5], 1
	s_load_b64 s[18:19], s[18:19], 0x0
	s_waitcnt lgkmcnt(0)
	s_add_u32 s4, s18, s4
	s_addc_u32 s5, s19, s5
	s_branch .LBB208_9
.LBB208_8:
	s_mov_b64 s[4:5], 0
.LBB208_9:
	s_load_b32 s3, s[0:1], 0x0
	s_lshl_b64 s[18:19], s[16:17], 3
	v_and_b32_e32 v161, 0x3ff, v0
	s_add_u32 s6, s6, s18
	s_addc_u32 s7, s7, s19
	v_bfe_u32 v162, v0, 10, 10
	s_clause 0x1
	s_load_b32 s16, s[0:1], 0x18
	s_load_b32 s9, s[0:1], 0x30
	v_lshlrev_b32_e32 v218, 3, v161
	v_lshl_add_u32 v2, v162, 5, v161
	v_lshlrev_b32_e32 v163, 3, v162
	s_delay_alu instid0(VALU_DEP_2) | instskip(SKIP_4) | instid1(SALU_CYCLE_1)
	v_lshrrev_b32_e32 v4, 6, v2
	v_lshrrev_b32_e32 v15, 2, v2
	v_and_b32_e32 v18, 63, v2
	s_waitcnt lgkmcnt(0)
	s_add_i32 s3, s3, -1
	s_ashr_i32 s17, s3, 31
	s_delay_alu instid0(SALU_CYCLE_1) | instskip(NEXT) | instid1(SALU_CYCLE_1)
	s_lshr_b32 s17, s17, 24
	s_add_i32 s3, s3, s17
	s_delay_alu instid0(SALU_CYCLE_1) | instskip(NEXT) | instid1(SALU_CYCLE_1)
	s_ashr_i32 s3, s3, 8
	s_add_i32 s17, s3, 1
	s_not_b32 s3, s3
	v_cvt_f32_u32_e32 v1, s17
	s_delay_alu instid0(VALU_DEP_1) | instskip(SKIP_2) | instid1(VALU_DEP_1)
	v_rcp_iflag_f32_e32 v1, v1
	s_waitcnt_depctr 0xfff
	v_mul_f32_e32 v1, 0x4f7ffffe, v1
	v_cvt_u32_f32_e32 v1, v1
	s_delay_alu instid0(VALU_DEP_1) | instskip(SKIP_1) | instid1(VALU_DEP_2)
	v_readfirstlane_b32 s18, v1
	v_mad_i64_i32 v[0:1], null, s16, v4, 0
	s_mul_i32 s3, s3, s18
	s_delay_alu instid0(SALU_CYCLE_1) | instskip(NEXT) | instid1(VALU_DEP_1)
	s_mul_hi_u32 s3, s18, s3
	v_lshlrev_b64 v[0:1], 1, v[0:1]
	s_add_i32 s18, s18, s3
	s_delay_alu instid0(SALU_CYCLE_1) | instskip(NEXT) | instid1(SALU_CYCLE_1)
	s_mul_hi_u32 s3, s14, s18
	s_mul_i32 s18, s3, s17
	s_add_i32 s19, s3, 1
	s_sub_i32 s18, s14, s18
	v_add_co_u32 v10, vcc_lo, s10, v0
	s_sub_i32 s20, s18, s17
	s_cmp_ge_u32 s18, s17
	v_add_co_ci_u32_e32 v11, vcc_lo, s11, v1, vcc_lo
	s_cselect_b32 s3, s19, s3
	s_cselect_b32 s18, s20, s18
	s_add_i32 s19, s3, 1
	s_cmp_ge_u32 s18, s17
	s_cselect_b32 s18, s19, s3
	s_delay_alu instid0(SALU_CYCLE_1) | instskip(SKIP_3) | instid1(SALU_CYCLE_1)
	s_lshl_b32 s3, s18, 6
	s_mul_i32 s18, s18, s17
	v_add_nc_u32_e32 v5, s3, v15
	s_sub_i32 s14, s14, s18
	s_lshl_b32 s14, s14, 8
	s_cmp_lt_i32 s8, 9
	s_delay_alu instid0(VALU_DEP_1) | instskip(SKIP_2) | instid1(VALU_DEP_2)
	v_mad_i64_i32 v[2:3], null, v5, s9, 0
	v_or_b32_e32 v8, s14, v18
	v_and_b32_e32 v5, 3, v161
	v_ashrrev_i32_e32 v9, 31, v8
	s_delay_alu instid0(VALU_DEP_4) | instskip(NEXT) | instid1(VALU_DEP_3)
	v_lshlrev_b64 v[2:3], 1, v[2:3]
	v_lshlrev_b32_e32 v5, 1, v5
	s_delay_alu instid0(VALU_DEP_3) | instskip(NEXT) | instid1(VALU_DEP_3)
	v_lshlrev_b64 v[0:1], 1, v[8:9]
	v_add_co_u32 v12, vcc_lo, s12, v2
	s_delay_alu instid0(VALU_DEP_4) | instskip(NEXT) | instid1(VALU_DEP_3)
	v_add_co_ci_u32_e32 v13, vcc_lo, s13, v3, vcc_lo
	v_add_co_u32 v8, vcc_lo, v10, v0
	s_delay_alu instid0(VALU_DEP_4) | instskip(NEXT) | instid1(VALU_DEP_4)
	v_add_co_ci_u32_e32 v9, vcc_lo, v11, v1, vcc_lo
	v_add_co_u32 v10, vcc_lo, v12, v5
	s_delay_alu instid0(VALU_DEP_4)
	v_add_co_ci_u32_e32 v11, vcc_lo, 0, v13, vcc_lo
	s_clause 0x3
	flat_load_u16 v19, v[8:9]
	flat_load_u16 v20, v[8:9] offset:128
	flat_load_u16 v21, v[8:9] offset:256
	;; [unrolled: 1-line block ×3, first 2 shown]
	flat_load_u16 v23, v[10:11]
	v_add_nc_u32_e32 v12, 4, v4
	v_lshl_or_b32 v15, v15, 3, v5
	s_delay_alu instid0(VALU_DEP_2) | instskip(NEXT) | instid1(VALU_DEP_1)
	v_mad_i64_i32 v[8:9], null, s16, v12, 0
	v_lshlrev_b64 v[8:9], 1, v[8:9]
	s_delay_alu instid0(VALU_DEP_1) | instskip(NEXT) | instid1(VALU_DEP_2)
	v_add_co_u32 v8, vcc_lo, s10, v8
	v_add_co_ci_u32_e32 v9, vcc_lo, s11, v9, vcc_lo
	s_delay_alu instid0(VALU_DEP_2) | instskip(NEXT) | instid1(VALU_DEP_2)
	v_add_co_u32 v8, vcc_lo, v8, v0
	v_add_co_ci_u32_e32 v9, vcc_lo, v9, v1, vcc_lo
	s_clause 0x3
	flat_load_u16 v12, v[8:9]
	flat_load_u16 v13, v[8:9] offset:128
	flat_load_u16 v14, v[8:9] offset:256
	;; [unrolled: 1-line block ×4, first 2 shown]
	v_lshlrev_b32_e32 v9, 1, v4
	v_add_nc_u32_e32 v11, 0x1000, v163
	s_load_b64 s[6:7], s[6:7], 0x0
	s_delay_alu instid0(VALU_DEP_2)
	v_lshl_add_u32 v164, v18, 3, v9
	s_waitcnt vmcnt(9) lgkmcnt(0)
	ds_store_b16 v164, v19
	s_waitcnt vmcnt(8)
	ds_store_b16 v164, v20 offset:512
	s_waitcnt vmcnt(7)
	ds_store_b16 v164, v21 offset:1024
	;; [unrolled: 2-line block ×4, first 2 shown]
	s_waitcnt vmcnt(0) lgkmcnt(0)
	s_barrier
	buffer_gl0_inv
	ds_load_2addr_b64 v[18:21], v218 offset1:32
	ds_load_2addr_b64 v[22:25], v11 offset1:8
	ds_load_2addr_b64 v[26:29], v218 offset0:64 offset1:96
	ds_load_2addr_b64 v[30:33], v218 offset0:128 offset1:160
	;; [unrolled: 1-line block ×6, first 2 shown]
	ds_store_b16 v164, v12 offset:2048
	ds_store_b16 v164, v13 offset:2560
	;; [unrolled: 1-line block ×3, first 2 shown]
	s_waitcnt lgkmcnt(9)
	v_pk_add_f16 v11, v18, v22
	v_pk_add_f16 v50, v20, v22
	s_waitcnt lgkmcnt(8)
	v_pk_add_f16 v51, v26, v22
	v_pk_add_f16 v52, v28, v22
	;; [unrolled: 3-line block ×4, first 2 shown]
	v_pk_add_f16 v56, v18, v24
	v_pk_add_f16 v57, v20, v24
	;; [unrolled: 1-line block ×8, first 2 shown]
	s_waitcnt lgkmcnt(5)
	v_pk_add_f16 v63, v18, v38
	v_pk_add_f16 v64, v20, v38
	;; [unrolled: 1-line block ×24, first 2 shown]
	s_waitcnt lgkmcnt(4)
	v_pk_add_f16 v39, v18, v42
	v_pk_add_f16 v94, v20, v42
	;; [unrolled: 1-line block ×16, first 2 shown]
	s_waitcnt lgkmcnt(3)
	v_pk_add_f16 v133, v18, v46
	v_pk_add_f16 v134, v20, v46
	;; [unrolled: 1-line block ×72, first 2 shown]
	v_pk_min_f16 v11, 0x7c00, v11 op_sel_hi:[0,1]
	v_pk_min_f16 v37, 0x7c00, v50 op_sel_hi:[0,1]
	v_pk_min_f16 v49, 0x7c00, v51 op_sel_hi:[0,1]
	v_pk_min_f16 v50, 0x7c00, v52 op_sel_hi:[0,1]
	v_pk_min_f16 v51, 0x7c00, v53 op_sel_hi:[0,1]
	v_pk_min_f16 v52, 0x7c00, v54 op_sel_hi:[0,1]
	v_pk_min_f16 v53, 0x7c00, v55 op_sel_hi:[0,1]
	v_pk_min_f16 v22, 0x7c00, v22 op_sel_hi:[0,1]
	v_pk_min_f16 v54, 0x7c00, v56 op_sel_hi:[0,1]
	v_pk_min_f16 v55, 0x7c00, v57 op_sel_hi:[0,1]
	v_pk_min_f16 v56, 0x7c00, v58 op_sel_hi:[0,1]
	v_pk_min_f16 v57, 0x7c00, v59 op_sel_hi:[0,1]
	v_pk_min_f16 v58, 0x7c00, v60 op_sel_hi:[0,1]
	v_pk_min_f16 v59, 0x7c00, v61 op_sel_hi:[0,1]
	v_pk_min_f16 v60, 0x7c00, v62 op_sel_hi:[0,1]
	v_pk_min_f16 v24, 0x7c00, v24 op_sel_hi:[0,1]
	v_pk_min_f16 v61, 0x7c00, v63 op_sel_hi:[0,1]
	v_pk_min_f16 v62, 0x7c00, v64 op_sel_hi:[0,1]
	v_pk_min_f16 v63, 0x7c00, v65 op_sel_hi:[0,1]
	v_pk_min_f16 v64, 0x7c00, v66 op_sel_hi:[0,1]
	v_pk_min_f16 v65, 0x7c00, v67 op_sel_hi:[0,1]
	v_pk_min_f16 v66, 0x7c00, v68 op_sel_hi:[0,1]
	v_pk_min_f16 v67, 0x7c00, v69 op_sel_hi:[0,1]
	v_pk_min_f16 v68, 0x7c00, v38 op_sel_hi:[0,1]
	v_pk_min_f16 v69, 0x7c00, v70 op_sel_hi:[0,1]
	v_pk_min_f16 v70, 0x7c00, v71 op_sel_hi:[0,1]
	v_pk_min_f16 v71, 0x7c00, v72 op_sel_hi:[0,1]
	v_pk_min_f16 v72, 0x7c00, v73 op_sel_hi:[0,1]
	v_pk_min_f16 v73, 0x7c00, v74 op_sel_hi:[0,1]
	v_pk_min_f16 v74, 0x7c00, v75 op_sel_hi:[0,1]
	v_pk_min_f16 v75, 0x7c00, v76 op_sel_hi:[0,1]
	v_pk_min_f16 v40, 0x7c00, v40 op_sel_hi:[0,1]
	v_pk_min_f16 v76, 0x7c00, v39 op_sel_hi:[0,1]
	v_pk_min_f16 v146, 0x7c00, v94 op_sel_hi:[0,1]
	v_pk_min_f16 v147, 0x7c00, v95 op_sel_hi:[0,1]
	v_pk_min_f16 v148, 0x7c00, v96 op_sel_hi:[0,1]
	v_pk_min_f16 v149, 0x7c00, v97 op_sel_hi:[0,1]
	v_pk_min_f16 v150, 0x7c00, v99 op_sel_hi:[0,1]
	v_pk_min_f16 v151, 0x7c00, v100 op_sel_hi:[0,1]
	v_pk_min_f16 v42, 0x7c00, v42 op_sel_hi:[0,1]
	v_pk_min_f16 v152, 0x7c00, v101 op_sel_hi:[0,1]
	v_pk_min_f16 v153, 0x7c00, v102 op_sel_hi:[0,1]
	v_pk_min_f16 v154, 0x7c00, v103 op_sel_hi:[0,1]
	v_pk_min_f16 v156, 0x7c00, v104 op_sel_hi:[0,1]
	v_pk_min_f16 v157, 0x7c00, v105 op_sel_hi:[0,1]
	v_pk_min_f16 v158, 0x7c00, v106 op_sel_hi:[0,1]
	v_pk_min_f16 v118, 0x7c00, v118 op_sel_hi:[0,1]
	v_pk_min_f16 v44, 0x7c00, v44 op_sel_hi:[0,1]
	v_pk_min_f16 v31, 0x7c00, v133 op_sel_hi:[0,1]
	v_pk_min_f16 v33, 0x7c00, v134 op_sel_hi:[0,1]
	v_pk_min_f16 v35, 0x7c00, v137 op_sel_hi:[0,1]
	v_pk_min_f16 v133, 0x7c00, v138 op_sel_hi:[0,1]
	v_pk_min_f16 v134, 0x7c00, v141 op_sel_hi:[0,1]
	v_pk_min_f16 v137, 0x7c00, v142 op_sel_hi:[0,1]
	v_pk_min_f16 v145, 0x7c00, v145 op_sel_hi:[0,1]
	v_pk_min_f16 v46, 0x7c00, v46 op_sel_hi:[0,1]
	v_pk_min_f16 v18, 0x7c00, v18 op_sel_hi:[0,1]
	v_pk_min_f16 v20, 0x7c00, v20 op_sel_hi:[0,1]
	v_pk_min_f16 v26, 0x7c00, v26 op_sel_hi:[0,1]
	v_pk_min_f16 v28, 0x7c00, v28 op_sel_hi:[0,1]
	v_pk_min_f16 v6, 0x7c00, v30 op_sel_hi:[0,1]
	v_pk_min_f16 v32, 0x7c00, v32 op_sel_hi:[0,1]
	v_pk_min_f16 v159, 0x7c00, v34 op_sel_hi:[0,1]
	v_pk_min_f16 v160, 0x7c00, v36 op_sel_hi:[0,1]
	v_pk_min_f16 v155, v11, v77
	v_pk_min_f16 v34, v37, v78
	;; [unrolled: 1-line block ×64, first 2 shown]
	scratch_store_b32 off, v164, off offset:304 ; 4-byte Folded Spill
	ds_store_b16 v164, v16 offset:3584
	ds_store_b16 v15, v17 offset:4608
	s_waitcnt lgkmcnt(0)
	s_waitcnt_vscnt null, 0x0
	s_barrier
	buffer_gl0_inv
	s_cbranch_scc1 .LBB208_13
; %bb.10:
	v_dual_mov_b32 v17, v22 :: v_dual_add_nc_u32 v6, 0x1000, v15
	v_add_nc_u32_e32 v18, 12, v4
	v_add_co_u32 v20, vcc_lo, v2, v5
	s_clause 0x1
	scratch_store_b32 off, v6, off offset:308
	scratch_store_b32 off, v163, off offset:356
	v_add_nc_u32_e32 v6, 0x1000, v163
	v_add_co_ci_u32_e32 v21, vcc_lo, 0, v3, vcc_lo
	v_mad_i64_i32 v[2:3], null, v18, s16, 0
	scratch_store_b32 off, v6, off offset:312 ; 4-byte Folded Spill
	scratch_load_b32 v6, off, off offset:304 ; 4-byte Folded Reload
	v_dual_mov_b32 v16, v23 :: v_dual_add_nc_u32 v19, 8, v4
	v_add_co_u32 v18, vcc_lo, s10, v0
	s_ashr_i32 s17, s16, 31
	s_delay_alu instid0(VALU_DEP_2)
	v_mad_i64_i32 v[4:5], null, v19, s16, 0
	v_add_co_ci_u32_e32 v19, vcc_lo, s11, v1, vcc_lo
	v_lshlrev_b64 v[0:1], 1, v[2:3]
	v_add_co_u32 v20, vcc_lo, v20, s12
	v_add_co_ci_u32_e32 v21, vcc_lo, s13, v21, vcc_lo
	s_add_i32 s10, s8, -8
	s_lshl_b64 s[8:9], s[16:17], 4
	s_mov_b32 s11, 0
	s_waitcnt vmcnt(0)
	v_add_nc_u32_e32 v6, 0x800, v6
	scratch_store_b32 off, v6, off offset:316 ; 4-byte Folded Spill
	v_add_nc_u32_e32 v6, 0x1200, v15
	s_clause 0x1
	scratch_store_b32 off, v6, off offset:320
	scratch_store_b32 off, v161, off offset:348
	v_lshl_add_u32 v6, v161, 3, 0x800
	s_clause 0x1
	scratch_store_b32 off, v6, off offset:324
	scratch_store_b32 off, v162, off offset:352
	v_lshl_add_u32 v6, v162, 3, 0x1200
	scratch_store_b64 off, v[0:1], off offset:332 ; 8-byte Folded Spill
	v_lshlrev_b64 v[0:1], 1, v[4:5]
	v_add_co_u32 v4, vcc_lo, v20, 24
	scratch_store_b32 off, v6, off offset:328 ; 4-byte Folded Spill
	v_add_co_ci_u32_e32 v5, vcc_lo, 0, v21, vcc_lo
	scratch_store_b64 off, v[0:1], off offset:340 ; 8-byte Folded Spill
.LBB208_11:                             ; =>This Inner Loop Header: Depth=1
	s_clause 0x1
	scratch_load_b32 v0, off, off offset:324
	scratch_load_b32 v1, off, off offset:328
	v_pk_max_f16 v23, v149, v149
	v_pk_max_f16 v149, v53, v53
	;; [unrolled: 1-line block ×7, first 2 shown]
	v_mov_b32_e32 v6, v218
	v_pk_max_f16 v154, v154, v154
	v_pk_max_f16 v153, v153, v153
	;; [unrolled: 1-line block ×54, first 2 shown]
	s_add_i32 s11, s11, 8
	s_delay_alu instid0(SALU_CYCLE_1)
	s_cmp_ge_i32 s11, s10
	s_waitcnt vmcnt(1)
	ds_load_2addr_b64 v[187:190], v0 offset0:192 offset1:224
	s_waitcnt vmcnt(0)
	ds_load_2addr_b64 v[128:131], v1 offset0:48 offset1:56
	ds_load_2addr_b64 v[205:208], v0 offset1:32
	ds_load_2addr_b64 v[193:196], v0 offset0:128 offset1:160
	ds_load_2addr_b64 v[201:204], v0 offset0:64 offset1:96
	;; [unrolled: 1-line block ×4, first 2 shown]
	ds_load_2addr_b64 v[209:212], v1 offset1:8
	s_waitcnt lgkmcnt(6)
	v_pk_add_f16 v2, v189, v130
	s_waitcnt lgkmcnt(5)
	v_pk_add_f16 v0, v207, v130
	;; [unrolled: 2-line block ×3, first 2 shown]
	s_clause 0x1
	scratch_store_b32 off, v2, off offset:60
	scratch_store_b32 off, v0, off offset:108
	v_pk_add_f16 v2, v190, v131
	v_pk_add_f16 v0, v208, v131
	s_waitcnt lgkmcnt(1)
	v_pk_add_f16 v170, v201, v182
	s_waitcnt lgkmcnt(0)
	v_pk_add_f16 v225, v201, v211
	v_pk_add_f16 v227, v201, v209
	s_clause 0x1
	scratch_store_b32 off, v2, off
	scratch_store_b32 off, v0, off offset:24
	v_pk_add_f16 v2, v187, v130
	v_pk_add_f16 v0, v205, v130
	;; [unrolled: 1-line block ×5, first 2 shown]
	scratch_store_b32 off, v2, off offset:68 ; 4-byte Folded Spill
	v_pk_add_f16 v2, v188, v131
	scratch_store_b32 off, v0, off offset:116 ; 4-byte Folded Spill
	v_pk_add_f16 v0, v206, v131
	v_pk_add_f16 v197, v189, v209
	v_pk_add_f16 v175, v190, v210
	scratch_store_b32 off, v2, off offset:4 ; 4-byte Folded Spill
	v_pk_add_f16 v2, v195, v130
	scratch_store_b32 off, v0, off offset:28 ; 4-byte Folded Spill
	v_pk_add_f16 v0, v189, v128
	v_pk_add_f16 v21, v187, v182
	v_pk_add_f16 v166, v195, v182
	;; [unrolled: 6-line block ×10, first 2 shown]
	v_pk_add_f16 v199, v195, v209
	v_pk_add_f16 v224, v203, v211
	scratch_store_b32 off, v0, off offset:156 ; 4-byte Folded Spill
	v_pk_add_f16 v0, v204, v129
	v_pk_add_f16 v226, v203, v209
	v_pk_add_f16 v229, v205, v211
	v_pk_add_f16 v231, v205, v209
	v_pk_add_f16 v168, v193, v182
	scratch_store_b32 off, v0, off offset:48 ; 4-byte Folded Spill
	v_pk_add_f16 v0, v201, v128
	v_pk_add_f16 v171, v207, v182
	v_pk_add_f16 v222, v193, v211
	;; [unrolled: 6-line block ×3, first 2 shown]
	v_pk_add_f16 v230, v207, v209
	v_pk_min_f16 v20, v76, v20
	scratch_store_b32 off, v0, off offset:52 ; 4-byte Folded Spill
	v_pk_add_f16 v0, v207, v128
	v_pk_min_f16 v36, v36, v199
	v_pk_min_f16 v37, v37, v223
	;; [unrolled: 1-line block ×4, first 2 shown]
	scratch_store_b32 off, v0, off offset:172 ; 4-byte Folded Spill
	v_pk_add_f16 v0, v208, v129
	v_pk_min_f16 v34, v34, v230
	v_pk_min_f16 v37, v37, v184
	scratch_store_b32 off, v0, off offset:56 ; 4-byte Folded Spill
	v_pk_add_f16 v0, v205, v128
	scratch_store_b32 off, v0, off offset:180 ; 4-byte Folded Spill
	v_pk_add_f16 v0, v206, v129
	;; [unrolled: 2-line block ×19, first 2 shown]
	v_pk_add_f16 v189, v202, v212
	scratch_store_b32 off, v0, off offset:252 ; 4-byte Folded Spill
	v_pk_add_f16 v0, v190, v161
	scratch_store_b32 off, v0, off offset:136 ; 4-byte Folded Spill
	v_pk_add_f16 v0, v187, v160
	v_pk_add_f16 v187, v204, v210
	scratch_store_b32 off, v0, off offset:260 ; 4-byte Folded Spill
	v_pk_add_f16 v0, v188, v161
	v_pk_min_f16 v38, v38, v187
	scratch_store_b32 off, v0, off offset:144 ; 4-byte Folded Spill
	v_pk_add_f16 v0, v195, v160
	v_pk_add_f16 v195, v206, v212
	scratch_store_b32 off, v0, off offset:268 ; 4-byte Folded Spill
	v_pk_add_f16 v0, v196, v161
	scratch_store_b32 off, v0, off offset:152 ; 4-byte Folded Spill
	v_pk_add_f16 v0, v193, v160
	v_pk_add_f16 v193, v208, v210
	scratch_store_b32 off, v0, off offset:276 ; 4-byte Folded Spill
	v_pk_add_f16 v0, v194, v161
	v_pk_min_f16 v34, v34, v193
	scratch_store_b32 off, v0, off offset:160 ; 4-byte Folded Spill
	v_pk_add_f16 v0, v204, v161
	scratch_store_b32 off, v0, off offset:168 ; 4-byte Folded Spill
	v_pk_add_f16 v0, v201, v160
	;; [unrolled: 2-line block ×14, first 2 shown]
	v_pk_add_f16 v183, v201, v180
	v_pk_add_f16 v180, v196, v210
	scratch_store_b32 off, v0, off offset:256 ; 4-byte Folded Spill
	v_pk_add_f16 v0, v190, v181
	v_pk_add_f16 v190, v202, v210
	v_pk_min_f16 v36, v36, v180
	scratch_store_b32 off, v0, off offset:264 ; 4-byte Folded Spill
	v_pk_add_f16 v0, v188, v181
	v_pk_add_f16 v188, v204, v212
	v_pk_min_f16 v39, v39, v190
	scratch_store_b32 off, v0, off offset:272 ; 4-byte Folded Spill
	v_pk_add_f16 v0, v196, v181
	scratch_store_b32 off, v0, off offset:280 ; 4-byte Folded Spill
	v_pk_add_f16 v0, v194, v181
	v_pk_add_f16 v194, v208, v212
	scratch_store_b32 off, v0, off offset:284 ; 4-byte Folded Spill
	v_pk_add_f16 v0, v204, v181
	scratch_store_b32 off, v0, off offset:292 ; 4-byte Folded Spill
	v_pk_add_f16 v0, v202, v181
	v_pk_add_f16 v181, v196, v212
	;; [unrolled: 1-line block ×3, first 2 shown]
	scratch_store_b32 off, v0, off offset:300 ; 4-byte Folded Spill
	scratch_load_b64 v[0:1], off, off offset:340 ; 8-byte Folded Reload
	s_waitcnt vmcnt(0)
	v_add_co_u32 v201, vcc_lo, v18, v0
	v_add_co_ci_u32_e32 v202, vcc_lo, v19, v1, vcc_lo
	s_clause 0x3
	flat_load_u16 v203, v[201:202] offset:384
	flat_load_u16 v204, v[201:202] offset:256
	;; [unrolled: 1-line block ×3, first 2 shown]
	flat_load_u16 v206, v[201:202]
	v_add_co_u32 v201, vcc_lo, -8, v4
	v_add_co_ci_u32_e32 v202, vcc_lo, -1, v5, vcc_lo
	flat_load_u16 v201, v[201:202]
	scratch_load_b32 v0, off, off offset:304 ; 4-byte Folded Reload
	v_mov_b32_e32 v1, v52
	s_waitcnt vmcnt(0) lgkmcnt(1)
	ds_store_b16 v0, v206
	ds_store_b16 v0, v205 offset:512
	ds_store_b16 v0, v204 offset:1024
	;; [unrolled: 1-line block ×3, first 2 shown]
	scratch_load_b32 v0, off, off offset:308 ; 4-byte Folded Reload
	s_waitcnt vmcnt(0) lgkmcnt(4)
	ds_store_b16 v0, v201
	s_waitcnt lgkmcnt(0)
	s_waitcnt_vscnt null, 0x0
	s_barrier
	buffer_gl0_inv
	s_clause 0x1
	scratch_load_b32 v14, off, off offset:312
	scratch_load_b32 v53, off, off offset:60
	ds_load_2addr_b64 v[202:205], v218 offset1:32
	ds_load_2addr_b64 v[210:213], v218 offset0:64 offset1:96
	ds_load_2addr_b64 v[214:217], v218 offset0:128 offset1:160
	;; [unrolled: 1-line block ×3, first 2 shown]
	v_mov_b32_e32 v0, v58
	s_delay_alu instid0(VALU_DEP_1)
	v_pk_max_f16 v0, v0, v0
	s_waitcnt vmcnt(1)
	ds_load_2addr_b64 v[206:209], v14 offset1:8
	s_waitcnt vmcnt(0)
	v_pk_min_f16 v41, v41, v53
	scratch_load_b32 v53, off, off offset:68 ; 4-byte Folded Reload
	s_waitcnt lgkmcnt(0)
	v_pk_add_f16 v201, v202, v206
	v_pk_add_f16 v232, v204, v206
	;; [unrolled: 1-line block ×32, first 2 shown]
	ds_load_2addr_b64 v[206:209], v14 offset0:16 offset1:24
	v_pk_min_f16 v34, v34, v232
	v_pk_min_f16 v39, v39, v233
	;; [unrolled: 1-line block ×10, first 2 shown]
	s_waitcnt lgkmcnt(0)
	v_pk_add_f16 v2, v202, v206
	v_pk_add_f16 v3, v204, v206
	;; [unrolled: 1-line block ×32, first 2 shown]
	ds_load_2addr_b64 v[206:209], v14 offset0:32 offset1:40
	s_waitcnt lgkmcnt(0)
	v_pk_add_f16 v117, v202, v206
	v_pk_add_f16 v63, v204, v206
	v_pk_add_f16 v118, v210, v206
	v_pk_add_f16 v119, v212, v206
	v_pk_add_f16 v120, v214, v206
	v_pk_add_f16 v121, v216, v206
	v_pk_add_f16 v64, v218, v206
	v_pk_add_f16 v122, v220, v206
	v_pk_add_f16 v123, v202, v208
	v_pk_add_f16 v124, v204, v208
	v_pk_add_f16 v125, v210, v208
	v_pk_add_f16 v65, v212, v208
	v_pk_add_f16 v126, v214, v208
	v_pk_add_f16 v127, v216, v208
	v_pk_add_f16 v66, v218, v208
	v_pk_add_f16 v132, v220, v208
	v_pk_add_f16 v133, v203, v207
	v_pk_add_f16 v67, v205, v207
	v_pk_add_f16 v134, v211, v207
	v_pk_add_f16 v135, v213, v207
	v_pk_add_f16 v136, v215, v207
	v_pk_add_f16 v137, v217, v207
	v_pk_add_f16 v68, v219, v207
	v_pk_add_f16 v138, v221, v207
	v_pk_add_f16 v139, v203, v209
	v_pk_add_f16 v69, v205, v209
	v_pk_add_f16 v140, v211, v209
	v_pk_add_f16 v141, v213, v209
	v_pk_add_f16 v142, v215, v209
	v_pk_add_f16 v143, v217, v209
	v_pk_add_f16 v13, v219, v209
	v_pk_add_f16 v115, v221, v209
	ds_load_2addr_b64 v[206:209], v14 offset0:48 offset1:56
	v_pk_max_f16 v14, v150, v150
	v_pk_max_f16 v150, v1, v1
	s_waitcnt lgkmcnt(0)
	v_pk_add_f16 v1, v218, v206
	v_pk_add_f16 v113, v202, v206
	;; [unrolled: 1-line block ×32, first 2 shown]
	s_waitcnt vmcnt(0)
	v_pk_min_f16 v42, v42, v53
	scratch_load_b32 v53, off, off offset:76 ; 4-byte Folded Reload
	s_waitcnt vmcnt(0)
	v_pk_min_f16 v32, v32, v53
	scratch_load_b32 v53, off, off offset:84 ; 4-byte Folded Reload
	;; [unrolled: 3-line block ×28, first 2 shown]
	s_waitcnt vmcnt(0)
	v_pk_min_f16 v77, v78, v53
	v_pk_min_f16 v78, v79, v131
	;; [unrolled: 1-line block ×4, first 2 shown]
	scratch_load_b32 v21, off, off          ; 4-byte Folded Reload
	v_pk_min_f16 v81, v82, v166
	v_pk_min_f16 v82, v83, v168
	;; [unrolled: 1-line block ×50, first 2 shown]
	s_delay_alu instid0(VALU_DEP_1)
	v_pk_min_f16 v94, v3, v128
	s_waitcnt vmcnt(0)
	v_pk_min_f16 v41, v41, v21
	scratch_load_b32 v21, off, off offset:4 ; 4-byte Folded Reload
	v_pk_min_f16 v41, v41, v208
	s_waitcnt vmcnt(0)
	v_pk_min_f16 v42, v42, v21
	scratch_load_b32 v21, off, off offset:8 ; 4-byte Folded Reload
	v_pk_min_f16 v42, v42, v218
	v_mov_b32_e32 v218, v6
	s_waitcnt vmcnt(0)
	v_pk_min_f16 v32, v32, v21
	scratch_load_b32 v21, off, off offset:12 ; 4-byte Folded Reload
	v_pk_min_f16 v32, v32, v216
	s_waitcnt vmcnt(0)
	v_pk_min_f16 v40, v40, v21
	scratch_load_b32 v21, off, off offset:16 ; 4-byte Folded Reload
	v_pk_min_f16 v40, v40, v214
	;; [unrolled: 4-line block ×5, first 2 shown]
	s_waitcnt vmcnt(0)
	v_pk_min_f16 v131, v154, v21
	scratch_load_b32 v21, off, off offset:32 ; 4-byte Folded Reload
	s_waitcnt vmcnt(0)
	v_pk_min_f16 v153, v153, v21
	scratch_load_b32 v21, off, off offset:36 ; 4-byte Folded Reload
	s_waitcnt vmcnt(0)
	v_pk_min_f16 v152, v152, v21
	scratch_load_b32 v21, off, off offset:40 ; 4-byte Folded Reload
	v_pk_min_f16 v1, v152, v1
	s_delay_alu instid0(VALU_DEP_1) | instskip(SKIP_4) | instid1(VALU_DEP_1)
	v_pk_min_f16 v152, v1, v220
	s_waitcnt vmcnt(0)
	v_pk_min_f16 v151, v151, v21
	scratch_load_b32 v21, off, off offset:44 ; 4-byte Folded Reload
	v_pk_min_f16 v47, v151, v47
	v_pk_min_f16 v151, v47, v45
	s_waitcnt vmcnt(0)
	v_pk_min_f16 v150, v150, v21
	scratch_load_b32 v21, off, off offset:48 ; 4-byte Folded Reload
	v_pk_min_f16 v46, v150, v46
	;; [unrolled: 5-line block ×4, first 2 shown]
	v_pk_min_f16 v148, v22, v213
	s_delay_alu instid0(VALU_DEP_2)
	v_pk_min_f16 v54, v109, v107
	s_waitcnt vmcnt(0)
	v_pk_min_f16 v147, v147, v21
	scratch_load_b32 v21, off, off offset:64 ; 4-byte Folded Reload
	s_waitcnt vmcnt(0)
	v_pk_min_f16 v146, v146, v21
	scratch_load_b32 v21, off, off offset:72 ; 4-byte Folded Reload
	;; [unrolled: 3-line block ×3, first 2 shown]
	v_pk_min_f16 v11, v11, v132
	s_delay_alu instid0(VALU_DEP_1)
	v_pk_min_f16 v11, v11, v115
	s_waitcnt vmcnt(0)
	v_pk_min_f16 v0, v0, v21
	scratch_load_b32 v21, off, off offset:88 ; 4-byte Folded Reload
	v_pk_min_f16 v0, v0, v66
	v_pk_min_f16 v66, v146, v113
	;; [unrolled: 1-line block ×9, first 2 shown]
	s_waitcnt vmcnt(0)
	v_pk_min_f16 v17, v17, v21
	scratch_load_b32 v21, off, off offset:96 ; 4-byte Folded Reload
	v_pk_min_f16 v17, v17, v127
	s_delay_alu instid0(VALU_DEP_1)
	v_pk_min_f16 v17, v17, v143
	s_waitcnt vmcnt(0)
	v_pk_min_f16 v145, v145, v21
	scratch_load_b32 v21, off, off offset:104 ; 4-byte Folded Reload
	s_waitcnt vmcnt(0)
	v_pk_min_f16 v144, v144, v21
	scratch_load_b32 v21, off, off offset:112 ; 4-byte Folded Reload
	v_pk_min_f16 v65, v144, v65
	v_pk_min_f16 v144, v41, v209
	s_delay_alu instid0(VALU_DEP_2) | instskip(SKIP_4) | instid1(VALU_DEP_1)
	v_pk_min_f16 v61, v65, v141
	s_waitcnt vmcnt(0)
	v_pk_min_f16 v16, v16, v21
	scratch_load_b32 v21, off, off offset:120 ; 4-byte Folded Reload
	v_pk_min_f16 v16, v16, v125
	v_pk_min_f16 v16, v16, v140
	s_waitcnt vmcnt(0)
	v_pk_min_f16 v70, v70, v21
	scratch_load_b32 v21, off, off offset:128 ; 4-byte Folded Reload
	v_pk_min_f16 v70, v70, v124
	s_delay_alu instid0(VALU_DEP_1) | instskip(SKIP_4) | instid1(VALU_DEP_1)
	v_pk_min_f16 v70, v70, v69
	s_waitcnt vmcnt(0)
	v_pk_min_f16 v71, v71, v21
	scratch_load_b32 v21, off, off offset:136 ; 4-byte Folded Reload
	v_pk_min_f16 v71, v71, v123
	v_pk_min_f16 v71, v71, v139
	s_waitcnt vmcnt(0)
	v_pk_min_f16 v72, v72, v21
	scratch_load_b32 v21, off, off offset:144 ; 4-byte Folded Reload
	v_pk_min_f16 v72, v72, v122
	s_delay_alu instid0(VALU_DEP_1) | instskip(SKIP_4) | instid1(VALU_DEP_1)
	;; [unrolled: 11-line block ×3, first 2 shown]
	v_pk_min_f16 v74, v74, v137
	s_waitcnt vmcnt(0)
	v_pk_min_f16 v75, v75, v21
	scratch_load_b32 v21, off, off offset:168 ; 4-byte Folded Reload
	v_pk_min_f16 v75, v75, v120
	v_pk_min_f16 v75, v75, v136
	s_waitcnt vmcnt(0)
	v_pk_min_f16 v154, v20, v21
	scratch_load_b32 v20, off, off offset:176 ; 4-byte Folded Reload
	s_waitcnt vmcnt(0)
	v_pk_min_f16 v76, v76, v20
	scratch_load_b32 v20, off, off offset:184 ; 4-byte Folded Reload
	v_pk_min_f16 v76, v76, v118
	v_pk_min_f16 v118, v145, v126
	;; [unrolled: 1-line block ×3, first 2 shown]
	s_delay_alu instid0(VALU_DEP_2)
	v_pk_min_f16 v60, v118, v142
	s_waitcnt vmcnt(0)
	v_pk_min_f16 v77, v77, v20
	scratch_load_b32 v20, off, off offset:188 ; 4-byte Folded Reload
	v_pk_min_f16 v63, v77, v63
	v_pk_min_f16 v77, v76, v134
	s_waitcnt vmcnt(0)
	v_pk_min_f16 v78, v78, v20
	scratch_load_b32 v20, off, off offset:200 ; 4-byte Folded Reload
	v_pk_min_f16 v78, v78, v117
	v_pk_min_f16 v117, v154, v119
	;; [unrolled: 1-line block ×3, first 2 shown]
	s_delay_alu instid0(VALU_DEP_2) | instskip(NEXT) | instid1(VALU_DEP_2)
	v_pk_min_f16 v76, v117, v135
	v_pk_min_f16 v154, v119, v203
	s_waitcnt vmcnt(0)
	v_pk_min_f16 v79, v79, v20
	scratch_load_b32 v20, off, off offset:208 ; 4-byte Folded Reload
	v_pk_min_f16 v53, v79, v7
	v_pk_min_f16 v79, v78, v133
	v_pk_min_f16 v78, v63, v67
	s_waitcnt vmcnt(0)
	v_pk_min_f16 v80, v80, v20
	scratch_load_b32 v20, off, off offset:216 ; 4-byte Folded Reload
	v_pk_min_f16 v29, v80, v29
	;; [unrolled: 6-line block ×3, first 2 shown]
	v_pk_min_f16 v81, v29, v62
	s_waitcnt vmcnt(0)
	v_pk_min_f16 v82, v82, v20
	scratch_load_b32 v20, off, off offset:232 ; 4-byte Folded Reload
	v_pk_min_f16 v52, v82, v52
	v_pk_min_f16 v82, v28, v8
	s_waitcnt vmcnt(0)
	v_pk_min_f16 v83, v83, v20
	scratch_load_b32 v20, off, off offset:240 ; 4-byte Folded Reload
	v_pk_min_f16 v27, v83, v27
	v_pk_min_f16 v83, v52, v12
	;; [unrolled: 1-line block ×3, first 2 shown]
	s_waitcnt vmcnt(0)
	v_pk_min_f16 v84, v84, v20
	scratch_load_b32 v20, off, off offset:248 ; 4-byte Folded Reload
	v_pk_min_f16 v51, v84, v51
	v_pk_min_f16 v84, v27, v98
	s_waitcnt vmcnt(0)
	v_pk_min_f16 v85, v85, v20
	scratch_load_b32 v20, off, off offset:256 ; 4-byte Folded Reload
	v_pk_min_f16 v50, v85, v50
	v_pk_min_f16 v85, v51, v59
	;; [unrolled: 5-line block ×4, first 2 shown]
	v_pk_min_f16 v58, v0, v13
	s_waitcnt vmcnt(0)
	v_pk_min_f16 v88, v88, v20
	scratch_load_b32 v20, off, off offset:280 ; 4-byte Folded Reload
	v_pk_min_f16 v24, v88, v24
	v_pk_min_f16 v88, v25, v35
	s_waitcnt vmcnt(0)
	v_pk_min_f16 v89, v89, v20
	scratch_load_b32 v20, off, off offset:284 ; 4-byte Folded Reload
	v_pk_min_f16 v49, v89, v49
	;; [unrolled: 5-line block ×4, first 2 shown]
	v_pk_min_f16 v91, v48, v15
	s_waitcnt vmcnt(0)
	v_pk_min_f16 v92, v92, v20
	scratch_load_b64 v[20:21], off, off offset:332 ; 8-byte Folded Reload
	v_pk_min_f16 v9, v92, v9
	v_pk_min_f16 v92, v10, v30
	s_delay_alu instid0(VALU_DEP_2)
	v_pk_min_f16 v93, v9, v31
	s_waitcnt vmcnt(0)
	v_add_co_u32 v20, vcc_lo, v18, v20
	v_add_co_ci_u32_e32 v21, vcc_lo, v19, v21, vcc_lo
	s_clause 0x3
	flat_load_u16 v130, v[20:21] offset:384
	flat_load_u16 v156, v[20:21] offset:256
	;; [unrolled: 1-line block ×3, first 2 shown]
	flat_load_u16 v20, v[20:21]
	flat_load_u16 v0, v[4:5]
	scratch_load_b32 v1, off, off offset:316 ; 4-byte Folded Reload
	v_pk_min_f16 v21, v106, v201
	v_add_co_u32 v18, vcc_lo, v18, s8
	v_add_co_ci_u32_e32 v19, vcc_lo, s9, v19, vcc_lo
	v_add_co_u32 v4, vcc_lo, v4, 16
	s_delay_alu instid0(VALU_DEP_4)
	v_pk_min_f16 v155, v21, v247
	v_pk_min_f16 v106, v105, v253
	;; [unrolled: 1-line block ×12, first 2 shown]
	v_add_co_ci_u32_e32 v5, vcc_lo, 0, v5, vcc_lo
	s_waitcnt vmcnt(0) lgkmcnt(1)
	ds_store_b16 v1, v20
	ds_store_b16 v1, v157 offset:512
	ds_store_b16 v1, v156 offset:1024
	;; [unrolled: 1-line block ×3, first 2 shown]
	scratch_load_b32 v1, off, off offset:320 ; 4-byte Folded Reload
	s_waitcnt vmcnt(0) lgkmcnt(4)
	ds_store_b16 v1, v0
	s_waitcnt lgkmcnt(0)
	s_barrier
	buffer_gl0_inv
	s_cbranch_scc0 .LBB208_11
; %bb.12:
	s_clause 0x2
	scratch_load_b32 v161, off, off offset:348
	scratch_load_b32 v162, off, off offset:352
	scratch_load_b32 v163, off, off offset:356
	s_branch .LBB208_14
.LBB208_13:
	v_dual_mov_b32 v17, v22 :: v_dual_mov_b32 v16, v23
.LBB208_14:
	s_load_b32 s8, s[0:1], 0x50
	s_waitcnt vmcnt(1)
	v_dual_mov_b32 v57, v11 :: v_dual_add_nc_u32 v44, s3, v162
	ds_load_b64 v[26:27], v218 offset:2048
	s_waitcnt vmcnt(0)
	ds_load_b64 v[46:47], v163 offset:4608
	v_dual_mov_b32 v33, 0 :: v_dual_add_nc_u32 v50, s14, v161
	v_cmp_neq_f16_e64 s9, s15, 0
	v_dual_mov_b32 v62, v16 :: v_dual_mov_b32 v59, v17
	s_delay_alu instid0(VALU_DEP_3) | instskip(SKIP_1) | instid1(VALU_DEP_4)
	v_ashrrev_i32_e32 v51, 31, v50
	v_mov_b32_e32 v32, 0
	s_and_b32 vcc_lo, exec_lo, s9
	s_delay_alu instid0(VALU_DEP_2) | instskip(SKIP_2) | instid1(VALU_DEP_1)
	v_lshlrev_b64 v[28:29], 1, v[50:51]
	s_waitcnt lgkmcnt(0)
	v_mad_i64_i32 v[0:1], null, v44, s8, 0
	v_lshlrev_b64 v[0:1], 1, v[0:1]
	s_delay_alu instid0(VALU_DEP_1) | instskip(NEXT) | instid1(VALU_DEP_1)
	v_add_co_u32 v107, s3, s4, v0
	v_add_co_ci_u32_e64 v108, s3, s5, v1, s3
	s_cbranch_vccz .LBB208_16
; %bb.15:
	s_delay_alu instid0(VALU_DEP_2) | instskip(NEXT) | instid1(VALU_DEP_2)
	v_add_co_u32 v0, vcc_lo, v107, v28
	v_add_co_ci_u32_e32 v1, vcc_lo, v108, v29, vcc_lo
	flat_load_u16 v0, v[0:1]
	s_waitcnt vmcnt(0) lgkmcnt(0)
	v_mul_f16_e32 v32, s15, v0
.LBB208_16:
	s_clause 0x1
	s_load_b32 s3, s[0:1], 0x68
	s_load_b64 s[10:11], s[0:1], 0x70
	v_add_nc_u32_e32 v0, 0x800, v218
	v_pk_add_f16 v1, v26, v46
	v_pk_max_f16 v2, v155, v155
	v_add_nc_u32_e32 v12, 0x1000, v163
	ds_load_b64 v[48:49], v218 offset:3840
	ds_load_b64 v[24:25], v163 offset:5056
	ds_load_2addr_b64 v[8:11], v0 offset0:32 offset1:64
	ds_load_2addr_b64 v[4:7], v0 offset0:96 offset1:128
	v_pk_min_f16 v35, v2, v1
	ds_load_2addr_b64 v[0:3], v0 offset0:160 offset1:192
	ds_load_2addr_b64 v[20:23], v12 offset0:72 offset1:80
	;; [unrolled: 1-line block ×4, first 2 shown]
	v_pk_add_f16 v30, v27, v47
	v_add_nc_u32_e32 v40, 32, v50
	v_cndmask_b32_e64 v31, 0, 1, s9
	s_delay_alu instid0(VALU_DEP_3) | instskip(NEXT) | instid1(VALU_DEP_3)
	v_pk_min_f16 v30, v35, v30
	v_ashrrev_i32_e32 v41, 31, v40
	s_delay_alu instid0(VALU_DEP_3)
	v_cmp_ne_u32_e64 s0, 1, v31
	s_waitcnt lgkmcnt(0)
	v_mad_i64_i32 v[42:43], null, v44, s3, 0
	s_lshl_b64 s[10:11], s[10:11], 1
	v_lshrrev_b32_e32 v31, 16, v30
	s_add_u32 s1, s6, s10
	s_addc_u32 s6, s7, s11
	s_delay_alu instid0(VALU_DEP_1) | instskip(NEXT) | instid1(VALU_DEP_3)
	v_min3_f16 v32, v32, v30, v31
	v_lshlrev_b64 v[42:43], 1, v[42:43]
	v_lshlrev_b64 v[30:31], 1, v[40:41]
	s_delay_alu instid0(VALU_DEP_2) | instskip(NEXT) | instid1(VALU_DEP_3)
	v_add_co_u32 v109, vcc_lo, s1, v42
	v_add_co_ci_u32_e32 v110, vcc_lo, s6, v43, vcc_lo
	s_delay_alu instid0(VALU_DEP_2) | instskip(NEXT) | instid1(VALU_DEP_2)
	v_add_co_u32 v42, vcc_lo, v109, v28
	v_add_co_ci_u32_e32 v43, vcc_lo, v110, v29, vcc_lo
	s_and_not1_b32 vcc_lo, exec_lo, s9
	global_store_b16 v[42:43], v32, off
	s_cbranch_vccnz .LBB208_18
; %bb.17:
	v_add_co_u32 v40, vcc_lo, v107, v30
	v_add_co_ci_u32_e32 v41, vcc_lo, v108, v31, vcc_lo
	flat_load_u16 v32, v[40:41]
	s_waitcnt vmcnt(0) lgkmcnt(0)
	v_mul_f16_e32 v33, s15, v32
.LBB208_18:
	v_pk_add_f16 v32, v8, v46
	v_pk_max_f16 v34, v34, v34
	v_pk_add_f16 v35, v9, v47
	v_add_nc_u32_e32 v40, 64, v50
	v_add_co_u32 v111, vcc_lo, v109, v30
	s_delay_alu instid0(VALU_DEP_4) | instskip(SKIP_1) | instid1(VALU_DEP_4)
	v_pk_min_f16 v32, v34, v32
	v_add_co_ci_u32_e32 v112, vcc_lo, v110, v31, vcc_lo
	v_ashrrev_i32_e32 v41, 31, v40
	v_mov_b32_e32 v42, 0
	s_delay_alu instid0(VALU_DEP_4) | instskip(SKIP_1) | instid1(VALU_DEP_1)
	v_pk_min_f16 v32, v32, v35
	s_and_b32 vcc_lo, exec_lo, s0
	v_lshrrev_b32_e32 v34, 16, v32
	s_delay_alu instid0(VALU_DEP_1)
	v_min3_f16 v34, v33, v32, v34
	v_lshlrev_b64 v[32:33], 1, v[40:41]
	v_mov_b32_e32 v40, 0
	global_store_b16 v[111:112], v34, off
	s_cbranch_vccnz .LBB208_20
; %bb.19:
	v_add_co_u32 v40, vcc_lo, v107, v32
	v_add_co_ci_u32_e32 v41, vcc_lo, v108, v33, vcc_lo
	flat_load_u16 v34, v[40:41]
	s_waitcnt vmcnt(0) lgkmcnt(0)
	v_mul_f16_e32 v40, s15, v34
.LBB208_20:
	v_pk_add_f16 v34, v10, v46
	v_pk_max_f16 v35, v39, v39
	v_pk_add_f16 v39, v11, v47
	v_add_nc_u32_e32 v111, 0x60, v50
	v_add_co_u32 v113, vcc_lo, v109, v32
	s_delay_alu instid0(VALU_DEP_4) | instskip(SKIP_1) | instid1(VALU_DEP_4)
	v_pk_min_f16 v34, v35, v34
	v_add_co_ci_u32_e32 v114, vcc_lo, v110, v33, vcc_lo
	v_ashrrev_i32_e32 v112, 31, v111
	s_and_b32 vcc_lo, exec_lo, s0
	s_delay_alu instid0(VALU_DEP_3) | instskip(NEXT) | instid1(VALU_DEP_1)
	v_pk_min_f16 v34, v34, v39
	v_lshrrev_b32_e32 v35, 16, v34
	s_delay_alu instid0(VALU_DEP_1)
	v_min3_f16 v34, v40, v34, v35
	v_lshlrev_b64 v[40:41], 1, v[111:112]
	global_store_b16 v[113:114], v34, off
	s_cbranch_vccnz .LBB208_22
; %bb.21:
	v_add_co_u32 v42, vcc_lo, v107, v40
	v_add_co_ci_u32_e32 v43, vcc_lo, v108, v41, vcc_lo
	flat_load_u16 v34, v[42:43]
	s_waitcnt vmcnt(0) lgkmcnt(0)
	v_mul_f16_e32 v42, s15, v34
.LBB208_22:
	v_pk_add_f16 v34, v4, v46
	v_pk_max_f16 v35, v38, v38
	v_pk_add_f16 v39, v5, v47
	v_dual_mov_b32 v45, 0 :: v_dual_add_nc_u32 v38, 0x80, v50
	v_add_co_u32 v111, vcc_lo, v109, v40
	s_delay_alu instid0(VALU_DEP_4) | instskip(SKIP_2) | instid1(VALU_DEP_2)
	v_pk_min_f16 v34, v35, v34
	v_add_co_ci_u32_e32 v112, vcc_lo, v110, v41, vcc_lo
	s_and_b32 vcc_lo, exec_lo, s0
	v_pk_min_f16 v34, v34, v39
	v_ashrrev_i32_e32 v39, 31, v38
	s_delay_alu instid0(VALU_DEP_2) | instskip(NEXT) | instid1(VALU_DEP_1)
	v_lshrrev_b32_e32 v35, 16, v34
	v_min3_f16 v34, v42, v34, v35
	s_delay_alu instid0(VALU_DEP_3)
	v_lshlrev_b64 v[42:43], 1, v[38:39]
	v_mov_b32_e32 v38, 0
	global_store_b16 v[111:112], v34, off
	s_cbranch_vccnz .LBB208_24
; %bb.23:
	v_add_co_u32 v38, vcc_lo, v107, v42
	v_add_co_ci_u32_e32 v39, vcc_lo, v108, v43, vcc_lo
	flat_load_u16 v34, v[38:39]
	s_waitcnt vmcnt(0) lgkmcnt(0)
	v_mul_f16_e32 v38, s15, v34
.LBB208_24:
	v_pk_add_f16 v34, v6, v46
	v_pk_max_f16 v35, v37, v37
	v_pk_add_f16 v37, v7, v47
	v_add_nc_u32_e32 v111, 0xa0, v50
	v_add_co_u32 v113, vcc_lo, v109, v42
	s_delay_alu instid0(VALU_DEP_4) | instskip(SKIP_1) | instid1(VALU_DEP_4)
	v_pk_min_f16 v34, v35, v34
	v_add_co_ci_u32_e32 v114, vcc_lo, v110, v43, vcc_lo
	v_ashrrev_i32_e32 v112, 31, v111
	s_and_b32 vcc_lo, exec_lo, s0
	s_delay_alu instid0(VALU_DEP_3) | instskip(NEXT) | instid1(VALU_DEP_1)
	v_pk_min_f16 v34, v34, v37
	v_lshrrev_b32_e32 v35, 16, v34
	s_delay_alu instid0(VALU_DEP_1)
	v_min3_f16 v34, v38, v34, v35
	v_lshlrev_b64 v[38:39], 1, v[111:112]
	global_store_b16 v[113:114], v34, off
	s_cbranch_vccnz .LBB208_26
; %bb.25:
	v_add_co_u32 v111, vcc_lo, v107, v38
	v_add_co_ci_u32_e32 v112, vcc_lo, v108, v39, vcc_lo
	flat_load_u16 v34, v[111:112]
	s_waitcnt vmcnt(0) lgkmcnt(0)
	v_mul_f16_e32 v45, s15, v34
.LBB208_26:
	v_pk_add_f16 v34, v0, v46
	v_pk_max_f16 v35, v36, v36
	v_pk_add_f16 v37, v1, v47
	v_dual_mov_b32 v111, 0 :: v_dual_add_nc_u32 v36, 0xc0, v50
	v_add_co_u32 v112, vcc_lo, v109, v38
	s_delay_alu instid0(VALU_DEP_4) | instskip(SKIP_2) | instid1(VALU_DEP_2)
	v_pk_min_f16 v34, v35, v34
	v_add_co_ci_u32_e32 v113, vcc_lo, v110, v39, vcc_lo
	s_and_b32 vcc_lo, exec_lo, s0
	v_pk_min_f16 v34, v34, v37
	v_ashrrev_i32_e32 v37, 31, v36
	s_delay_alu instid0(VALU_DEP_2) | instskip(NEXT) | instid1(VALU_DEP_2)
	v_lshrrev_b32_e32 v35, 16, v34
	v_lshlrev_b64 v[36:37], 1, v[36:37]
	s_delay_alu instid0(VALU_DEP_2)
	v_min3_f16 v34, v45, v34, v35
	v_mov_b32_e32 v45, 0
	global_store_b16 v[112:113], v34, off
	s_cbranch_vccnz .LBB208_28
; %bb.27:
	v_add_co_u32 v112, vcc_lo, v107, v36
	v_add_co_ci_u32_e32 v113, vcc_lo, v108, v37, vcc_lo
	flat_load_u16 v34, v[112:113]
	s_waitcnt vmcnt(0) lgkmcnt(0)
	v_mul_f16_e32 v45, s15, v34
.LBB208_28:
	v_pk_add_f16 v34, v2, v46
	v_pk_max_f16 v35, v106, v106
	v_pk_add_f16 v51, v3, v47
	v_add_nc_u32_e32 v112, 0xe0, v50
	v_add_co_u32 v114, vcc_lo, v109, v36
	s_delay_alu instid0(VALU_DEP_4) | instskip(SKIP_1) | instid1(VALU_DEP_4)
	v_pk_min_f16 v34, v35, v34
	v_add_co_ci_u32_e32 v115, vcc_lo, v110, v37, vcc_lo
	v_ashrrev_i32_e32 v113, 31, v112
	s_and_b32 vcc_lo, exec_lo, s0
	s_delay_alu instid0(VALU_DEP_3) | instskip(NEXT) | instid1(VALU_DEP_1)
	v_pk_min_f16 v34, v34, v51
	v_lshrrev_b32_e32 v35, 16, v34
	s_delay_alu instid0(VALU_DEP_1)
	v_min3_f16 v45, v45, v34, v35
	v_lshlrev_b64 v[34:35], 1, v[112:113]
	global_store_b16 v[114:115], v45, off
	s_cbranch_vccnz .LBB208_30
; %bb.29:
	v_add_co_u32 v106, vcc_lo, v107, v34
	v_add_co_ci_u32_e32 v107, vcc_lo, v108, v35, vcc_lo
	flat_load_u16 v45, v[106:107]
	s_waitcnt vmcnt(0) lgkmcnt(0)
	v_mul_f16_e32 v111, s15, v45
.LBB208_30:
	v_add_nc_u32_e32 v107, 8, v44
	v_pk_add_f16 v45, v48, v46
	v_pk_max_f16 v46, v105, v105
	v_pk_add_f16 v47, v49, v47
	v_add_co_u32 v109, vcc_lo, v109, v34
	v_mad_i64_i32 v[105:106], null, v107, s8, 0
	s_delay_alu instid0(VALU_DEP_4) | instskip(SKIP_2) | instid1(VALU_DEP_3)
	v_pk_min_f16 v45, v46, v45
	v_add_co_ci_u32_e32 v110, vcc_lo, v110, v35, vcc_lo
	v_mov_b32_e32 v108, 0
	v_pk_min_f16 v45, v45, v47
	v_lshlrev_b64 v[46:47], 1, v[105:106]
	v_mov_b32_e32 v106, 0
	s_delay_alu instid0(VALU_DEP_3) | instskip(NEXT) | instid1(VALU_DEP_3)
	v_lshrrev_b32_e32 v50, 16, v45
	v_add_co_u32 v46, vcc_lo, s4, v46
	s_delay_alu instid0(VALU_DEP_4) | instskip(NEXT) | instid1(VALU_DEP_3)
	v_add_co_ci_u32_e32 v47, vcc_lo, s5, v47, vcc_lo
	v_min3_f16 v45, v111, v45, v50
	s_and_b32 vcc_lo, exec_lo, s0
	global_store_b16 v[109:110], v45, off
	s_cbranch_vccnz .LBB208_32
; %bb.31:
	v_add_co_u32 v108, vcc_lo, v46, v28
	v_add_co_ci_u32_e32 v109, vcc_lo, v47, v29, vcc_lo
	flat_load_u16 v45, v[108:109]
	s_waitcnt vmcnt(0) lgkmcnt(0)
	v_mul_f16_e32 v108, s15, v45
.LBB208_32:
	v_pk_max_f16 v50, v104, v104
	v_mad_i64_i32 v[104:105], null, v107, s3, 0
	v_pk_add_f16 v45, v26, v20
	v_pk_add_f16 v51, v27, v21
	s_delay_alu instid0(VALU_DEP_2) | instskip(NEXT) | instid1(VALU_DEP_4)
	v_pk_min_f16 v45, v50, v45
	v_lshlrev_b64 v[104:105], 1, v[104:105]
	s_delay_alu instid0(VALU_DEP_2) | instskip(NEXT) | instid1(VALU_DEP_2)
	v_pk_min_f16 v45, v45, v51
	v_add_co_u32 v104, vcc_lo, s1, v104
	s_delay_alu instid0(VALU_DEP_3) | instskip(NEXT) | instid1(VALU_DEP_3)
	v_add_co_ci_u32_e32 v105, vcc_lo, s6, v105, vcc_lo
	v_lshrrev_b32_e32 v50, 16, v45
	s_delay_alu instid0(VALU_DEP_3) | instskip(NEXT) | instid1(VALU_DEP_2)
	v_add_co_u32 v107, vcc_lo, v104, v28
	v_min3_f16 v45, v108, v45, v50
	s_delay_alu instid0(VALU_DEP_4)
	v_add_co_ci_u32_e32 v108, vcc_lo, v105, v29, vcc_lo
	s_and_b32 vcc_lo, exec_lo, s0
	global_store_b16 v[107:108], v45, off
	s_cbranch_vccnz .LBB208_34
; %bb.33:
	v_add_co_u32 v106, vcc_lo, v46, v30
	v_add_co_ci_u32_e32 v107, vcc_lo, v47, v31, vcc_lo
	flat_load_u16 v45, v[106:107]
	s_waitcnt vmcnt(0) lgkmcnt(0)
	v_mul_f16_e32 v106, s15, v45
.LBB208_34:
	v_pk_add_f16 v45, v8, v20
	v_pk_max_f16 v50, v103, v103
	v_pk_add_f16 v51, v9, v21
	v_add_co_u32 v107, vcc_lo, v104, v30
	v_add_co_ci_u32_e32 v108, vcc_lo, v105, v31, vcc_lo
	s_delay_alu instid0(VALU_DEP_4) | instskip(SKIP_2) | instid1(VALU_DEP_2)
	v_pk_min_f16 v45, v50, v45
	v_mov_b32_e32 v103, 0
	s_and_b32 vcc_lo, exec_lo, s0
	v_pk_min_f16 v45, v45, v51
	s_delay_alu instid0(VALU_DEP_1) | instskip(NEXT) | instid1(VALU_DEP_1)
	v_lshrrev_b32_e32 v50, 16, v45
	v_min3_f16 v45, v106, v45, v50
	v_mov_b32_e32 v106, 0
	global_store_b16 v[107:108], v45, off
	s_cbranch_vccnz .LBB208_36
; %bb.35:
	v_add_co_u32 v106, vcc_lo, v46, v32
	v_add_co_ci_u32_e32 v107, vcc_lo, v47, v33, vcc_lo
	flat_load_u16 v45, v[106:107]
	s_waitcnt vmcnt(0) lgkmcnt(0)
	v_mul_f16_e32 v106, s15, v45
.LBB208_36:
	v_pk_add_f16 v45, v10, v20
	v_pk_max_f16 v50, v102, v102
	v_pk_add_f16 v51, v11, v21
	s_delay_alu instid0(VALU_DEP_2) | instskip(NEXT) | instid1(VALU_DEP_1)
	v_pk_min_f16 v45, v50, v45
	v_pk_min_f16 v45, v45, v51
	s_delay_alu instid0(VALU_DEP_1) | instskip(NEXT) | instid1(VALU_DEP_1)
	v_lshrrev_b32_e32 v50, 16, v45
	v_min3_f16 v45, v106, v45, v50
	v_add_co_u32 v106, vcc_lo, v104, v32
	v_add_co_ci_u32_e32 v107, vcc_lo, v105, v33, vcc_lo
	s_and_b32 vcc_lo, exec_lo, s0
	global_store_b16 v[106:107], v45, off
	s_cbranch_vccnz .LBB208_38
; %bb.37:
	v_add_co_u32 v102, vcc_lo, v46, v40
	v_add_co_ci_u32_e32 v103, vcc_lo, v47, v41, vcc_lo
	flat_load_u16 v45, v[102:103]
	s_waitcnt vmcnt(0) lgkmcnt(0)
	v_mul_f16_e32 v103, s15, v45
.LBB208_38:
	v_pk_add_f16 v45, v4, v20
	v_pk_max_f16 v50, v101, v101
	v_pk_add_f16 v51, v5, v21
	v_add_co_u32 v106, vcc_lo, v104, v40
	v_add_co_ci_u32_e32 v107, vcc_lo, v105, v41, vcc_lo
	s_delay_alu instid0(VALU_DEP_4) | instskip(SKIP_2) | instid1(VALU_DEP_2)
	v_pk_min_f16 v45, v50, v45
	v_dual_mov_b32 v101, 0 :: v_dual_mov_b32 v102, 0
	s_and_b32 vcc_lo, exec_lo, s0
	v_pk_min_f16 v45, v45, v51
	s_delay_alu instid0(VALU_DEP_1) | instskip(NEXT) | instid1(VALU_DEP_1)
	v_lshrrev_b32_e32 v50, 16, v45
	v_min3_f16 v45, v103, v45, v50
	global_store_b16 v[106:107], v45, off
	s_cbranch_vccnz .LBB208_40
; %bb.39:
	v_add_co_u32 v102, vcc_lo, v46, v42
	v_add_co_ci_u32_e32 v103, vcc_lo, v47, v43, vcc_lo
	flat_load_u16 v45, v[102:103]
	s_waitcnt vmcnt(0) lgkmcnt(0)
	v_mul_f16_e32 v102, s15, v45
.LBB208_40:
	v_pk_add_f16 v45, v6, v20
	v_pk_max_f16 v50, v100, v100
	v_pk_add_f16 v51, v7, v21
	s_delay_alu instid0(VALU_DEP_2) | instskip(NEXT) | instid1(VALU_DEP_1)
	v_pk_min_f16 v45, v50, v45
	v_pk_min_f16 v45, v45, v51
	s_delay_alu instid0(VALU_DEP_1) | instskip(NEXT) | instid1(VALU_DEP_1)
	v_lshrrev_b32_e32 v50, 16, v45
	v_min3_f16 v45, v102, v45, v50
	v_add_co_u32 v102, vcc_lo, v104, v42
	v_add_co_ci_u32_e32 v103, vcc_lo, v105, v43, vcc_lo
	s_and_b32 vcc_lo, exec_lo, s0
	global_store_b16 v[102:103], v45, off
	s_cbranch_vccnz .LBB208_42
; %bb.41:
	v_add_co_u32 v100, vcc_lo, v46, v38
	v_add_co_ci_u32_e32 v101, vcc_lo, v47, v39, vcc_lo
	flat_load_u16 v45, v[100:101]
	s_waitcnt vmcnt(0) lgkmcnt(0)
	v_mul_f16_e32 v101, s15, v45
.LBB208_42:
	v_pk_add_f16 v45, v0, v20
	v_pk_max_f16 v50, v99, v99
	v_pk_add_f16 v51, v1, v21
	v_add_co_u32 v102, vcc_lo, v104, v38
	v_add_co_ci_u32_e32 v103, vcc_lo, v105, v39, vcc_lo
	s_delay_alu instid0(VALU_DEP_4) | instskip(SKIP_2) | instid1(VALU_DEP_2)
	v_pk_min_f16 v45, v50, v45
	v_dual_mov_b32 v99, 0 :: v_dual_mov_b32 v100, 0
	s_and_b32 vcc_lo, exec_lo, s0
	v_pk_min_f16 v45, v45, v51
	s_delay_alu instid0(VALU_DEP_1) | instskip(NEXT) | instid1(VALU_DEP_1)
	v_lshrrev_b32_e32 v50, 16, v45
	v_min3_f16 v45, v101, v45, v50
	global_store_b16 v[102:103], v45, off
	s_cbranch_vccnz .LBB208_44
; %bb.43:
	v_add_co_u32 v100, vcc_lo, v46, v36
	v_add_co_ci_u32_e32 v101, vcc_lo, v47, v37, vcc_lo
	flat_load_u16 v45, v[100:101]
	s_waitcnt vmcnt(0) lgkmcnt(0)
	v_mul_f16_e32 v100, s15, v45
.LBB208_44:
	v_pk_add_f16 v45, v2, v20
	v_pk_max_f16 v50, v97, v97
	v_pk_add_f16 v51, v3, v21
	s_delay_alu instid0(VALU_DEP_2) | instskip(NEXT) | instid1(VALU_DEP_1)
	v_pk_min_f16 v45, v50, v45
	v_pk_min_f16 v45, v45, v51
	s_delay_alu instid0(VALU_DEP_1) | instskip(NEXT) | instid1(VALU_DEP_1)
	v_lshrrev_b32_e32 v50, 16, v45
	v_min3_f16 v45, v100, v45, v50
	v_add_co_u32 v100, vcc_lo, v104, v36
	v_add_co_ci_u32_e32 v101, vcc_lo, v105, v37, vcc_lo
	s_and_b32 vcc_lo, exec_lo, s0
	global_store_b16 v[100:101], v45, off
	s_cbranch_vccnz .LBB208_46
; %bb.45:
	v_add_co_u32 v46, vcc_lo, v46, v34
	v_add_co_ci_u32_e32 v47, vcc_lo, v47, v35, vcc_lo
	flat_load_u16 v45, v[46:47]
	s_waitcnt vmcnt(0) lgkmcnt(0)
	v_mul_f16_e32 v99, s15, v45
.LBB208_46:
	v_add_nc_u32_e32 v46, 16, v44
	v_pk_add_f16 v20, v48, v20
	v_pk_max_f16 v45, v96, v96
	v_pk_add_f16 v21, v49, v21
	v_add_co_u32 v100, vcc_lo, v104, v34
	v_mad_i64_i32 v[96:97], null, v46, s8, 0
	s_delay_alu instid0(VALU_DEP_4) | instskip(SKIP_1) | instid1(VALU_DEP_2)
	v_pk_min_f16 v20, v45, v20
	v_add_co_ci_u32_e32 v101, vcc_lo, v105, v35, vcc_lo
	v_pk_min_f16 v45, v20, v21
	s_delay_alu instid0(VALU_DEP_4) | instskip(SKIP_1) | instid1(VALU_DEP_3)
	v_lshlrev_b64 v[20:21], 1, v[96:97]
	v_dual_mov_b32 v97, 0 :: v_dual_mov_b32 v96, 0
	v_lshrrev_b32_e32 v47, 16, v45
	s_delay_alu instid0(VALU_DEP_3) | instskip(NEXT) | instid1(VALU_DEP_4)
	v_add_co_u32 v20, vcc_lo, s4, v20
	v_add_co_ci_u32_e32 v21, vcc_lo, s5, v21, vcc_lo
	s_delay_alu instid0(VALU_DEP_3)
	v_min3_f16 v45, v99, v45, v47
	s_and_b32 vcc_lo, exec_lo, s0
	global_store_b16 v[100:101], v45, off
	s_cbranch_vccnz .LBB208_48
; %bb.47:
	v_add_co_u32 v99, vcc_lo, v20, v28
	v_add_co_ci_u32_e32 v100, vcc_lo, v21, v29, vcc_lo
	flat_load_u16 v45, v[99:100]
	s_waitcnt vmcnt(0) lgkmcnt(0)
	v_mul_f16_e32 v97, s15, v45
.LBB208_48:
	v_pk_add_f16 v45, v26, v22
	v_pk_max_f16 v47, v95, v95
	v_mad_i64_i32 v[99:100], null, v46, s3, 0
	v_pk_add_f16 v46, v27, v23
	s_delay_alu instid0(VALU_DEP_3) | instskip(NEXT) | instid1(VALU_DEP_1)
	v_pk_min_f16 v45, v47, v45
	v_pk_min_f16 v45, v45, v46
	s_delay_alu instid0(VALU_DEP_4) | instskip(NEXT) | instid1(VALU_DEP_2)
	v_lshlrev_b64 v[46:47], 1, v[99:100]
	v_lshrrev_b32_e32 v50, 16, v45
	s_delay_alu instid0(VALU_DEP_2) | instskip(NEXT) | instid1(VALU_DEP_3)
	v_add_co_u32 v46, vcc_lo, s1, v46
	v_add_co_ci_u32_e32 v47, vcc_lo, s6, v47, vcc_lo
	s_delay_alu instid0(VALU_DEP_3) | instskip(NEXT) | instid1(VALU_DEP_3)
	v_min3_f16 v45, v97, v45, v50
	v_add_co_u32 v99, vcc_lo, v46, v28
	s_delay_alu instid0(VALU_DEP_3)
	v_add_co_ci_u32_e32 v100, vcc_lo, v47, v29, vcc_lo
	s_and_b32 vcc_lo, exec_lo, s0
	global_store_b16 v[99:100], v45, off
	s_cbranch_vccnz .LBB208_50
; %bb.49:
	v_add_co_u32 v95, vcc_lo, v20, v30
	v_add_co_ci_u32_e32 v96, vcc_lo, v21, v31, vcc_lo
	flat_load_u16 v45, v[95:96]
	s_waitcnt vmcnt(0) lgkmcnt(0)
	v_mul_f16_e32 v96, s15, v45
.LBB208_50:
	v_pk_add_f16 v45, v8, v22
	v_pk_max_f16 v50, v94, v94
	v_pk_add_f16 v51, v9, v23
	v_add_co_u32 v99, vcc_lo, v46, v30
	v_add_co_ci_u32_e32 v100, vcc_lo, v47, v31, vcc_lo
	s_delay_alu instid0(VALU_DEP_4) | instskip(SKIP_2) | instid1(VALU_DEP_2)
	v_pk_min_f16 v45, v50, v45
	v_dual_mov_b32 v94, 0 :: v_dual_mov_b32 v95, 0
	s_and_b32 vcc_lo, exec_lo, s0
	v_pk_min_f16 v45, v45, v51
	s_delay_alu instid0(VALU_DEP_1) | instskip(NEXT) | instid1(VALU_DEP_1)
	v_lshrrev_b32_e32 v50, 16, v45
	v_min3_f16 v45, v96, v45, v50
	global_store_b16 v[99:100], v45, off
	s_cbranch_vccnz .LBB208_52
; %bb.51:
	v_add_co_u32 v95, vcc_lo, v20, v32
	v_add_co_ci_u32_e32 v96, vcc_lo, v21, v33, vcc_lo
	flat_load_u16 v45, v[95:96]
	s_waitcnt vmcnt(0) lgkmcnt(0)
	v_mul_f16_e32 v95, s15, v45
.LBB208_52:
	v_pk_add_f16 v45, v10, v22
	v_pk_max_f16 v50, v93, v93
	v_pk_add_f16 v51, v11, v23
	s_delay_alu instid0(VALU_DEP_2) | instskip(NEXT) | instid1(VALU_DEP_1)
	v_pk_min_f16 v45, v50, v45
	v_pk_min_f16 v45, v45, v51
	s_delay_alu instid0(VALU_DEP_1) | instskip(NEXT) | instid1(VALU_DEP_1)
	v_lshrrev_b32_e32 v50, 16, v45
	v_min3_f16 v45, v95, v45, v50
	v_add_co_u32 v95, vcc_lo, v46, v32
	v_add_co_ci_u32_e32 v96, vcc_lo, v47, v33, vcc_lo
	s_and_b32 vcc_lo, exec_lo, s0
	global_store_b16 v[95:96], v45, off
	s_cbranch_vccnz .LBB208_54
; %bb.53:
	v_add_co_u32 v93, vcc_lo, v20, v40
	v_add_co_ci_u32_e32 v94, vcc_lo, v21, v41, vcc_lo
	flat_load_u16 v45, v[93:94]
	s_waitcnt vmcnt(0) lgkmcnt(0)
	v_mul_f16_e32 v94, s15, v45
.LBB208_54:
	v_pk_add_f16 v45, v4, v22
	v_pk_max_f16 v50, v92, v92
	v_pk_add_f16 v51, v5, v23
	v_add_co_u32 v95, vcc_lo, v46, v40
	v_add_co_ci_u32_e32 v96, vcc_lo, v47, v41, vcc_lo
	s_delay_alu instid0(VALU_DEP_4) | instskip(SKIP_2) | instid1(VALU_DEP_2)
	v_pk_min_f16 v45, v50, v45
	v_dual_mov_b32 v92, 0 :: v_dual_mov_b32 v93, 0
	s_and_b32 vcc_lo, exec_lo, s0
	v_pk_min_f16 v45, v45, v51
	s_delay_alu instid0(VALU_DEP_1) | instskip(NEXT) | instid1(VALU_DEP_1)
	v_lshrrev_b32_e32 v50, 16, v45
	v_min3_f16 v45, v94, v45, v50
	global_store_b16 v[95:96], v45, off
	s_cbranch_vccnz .LBB208_56
; %bb.55:
	v_add_co_u32 v93, vcc_lo, v20, v42
	v_add_co_ci_u32_e32 v94, vcc_lo, v21, v43, vcc_lo
	flat_load_u16 v45, v[93:94]
	s_waitcnt vmcnt(0) lgkmcnt(0)
	v_mul_f16_e32 v93, s15, v45
.LBB208_56:
	v_pk_add_f16 v45, v6, v22
	v_pk_max_f16 v50, v91, v91
	v_pk_add_f16 v51, v7, v23
	s_delay_alu instid0(VALU_DEP_2) | instskip(NEXT) | instid1(VALU_DEP_1)
	v_pk_min_f16 v45, v50, v45
	v_pk_min_f16 v45, v45, v51
	s_delay_alu instid0(VALU_DEP_1) | instskip(NEXT) | instid1(VALU_DEP_1)
	v_lshrrev_b32_e32 v50, 16, v45
	v_min3_f16 v45, v93, v45, v50
	v_add_co_u32 v93, vcc_lo, v46, v42
	;; [unrolled: 43-line block ×3, first 2 shown]
	v_add_co_ci_u32_e32 v92, vcc_lo, v47, v37, vcc_lo
	s_and_b32 vcc_lo, exec_lo, s0
	global_store_b16 v[91:92], v45, off
	s_cbranch_vccnz .LBB208_62
; %bb.61:
	v_add_co_u32 v20, vcc_lo, v20, v34
	v_add_co_ci_u32_e32 v21, vcc_lo, v21, v35, vcc_lo
	flat_load_u16 v20, v[20:21]
	s_waitcnt vmcnt(0) lgkmcnt(0)
	v_mul_f16_e32 v90, s15, v20
.LBB208_62:
	v_pk_add_f16 v22, v48, v22
	v_pk_max_f16 v45, v88, v88
	v_pk_add_f16 v23, v49, v23
	v_add_nc_u32_e32 v89, 24, v44
	s_delay_alu instid0(VALU_DEP_3) | instskip(NEXT) | instid1(VALU_DEP_1)
	v_pk_min_f16 v22, v45, v22
	v_pk_min_f16 v45, v22, v23
	v_add_co_u32 v22, vcc_lo, v46, v34
	v_add_co_ci_u32_e32 v23, vcc_lo, v47, v35, vcc_lo
	s_delay_alu instid0(VALU_DEP_3) | instskip(SKIP_1) | instid1(VALU_DEP_2)
	v_lshrrev_b32_e32 v46, 16, v45
	v_mov_b32_e32 v47, 0
	v_min3_f16 v45, v90, v45, v46
	v_mov_b32_e32 v46, 0
	v_mad_i64_i32 v[20:21], null, v89, s8, 0
	global_store_b16 v[22:23], v45, off
	v_lshlrev_b64 v[20:21], 1, v[20:21]
	s_delay_alu instid0(VALU_DEP_1) | instskip(NEXT) | instid1(VALU_DEP_2)
	v_add_co_u32 v20, vcc_lo, s4, v20
	v_add_co_ci_u32_e32 v21, vcc_lo, s5, v21, vcc_lo
	s_and_b32 vcc_lo, exec_lo, s0
	s_cbranch_vccnz .LBB208_64
; %bb.63:
	s_delay_alu instid0(VALU_DEP_2) | instskip(NEXT) | instid1(VALU_DEP_2)
	v_add_co_u32 v22, vcc_lo, v20, v28
	v_add_co_ci_u32_e32 v23, vcc_lo, v21, v29, vcc_lo
	flat_load_u16 v22, v[22:23]
	s_waitcnt vmcnt(0) lgkmcnt(0)
	v_mul_f16_e32 v47, s15, v22
.LBB208_64:
	v_mad_i64_i32 v[22:23], null, v89, s3, 0
	v_pk_add_f16 v45, v26, v16
	v_pk_max_f16 v50, v87, v87
	v_pk_add_f16 v51, v27, v17
	s_delay_alu instid0(VALU_DEP_2) | instskip(SKIP_1) | instid1(VALU_DEP_2)
	v_pk_min_f16 v45, v50, v45
	v_lshlrev_b64 v[22:23], 1, v[22:23]
	v_pk_min_f16 v45, v45, v51
	s_delay_alu instid0(VALU_DEP_2) | instskip(NEXT) | instid1(VALU_DEP_3)
	v_add_co_u32 v22, vcc_lo, s1, v22
	v_add_co_ci_u32_e32 v23, vcc_lo, s6, v23, vcc_lo
	s_delay_alu instid0(VALU_DEP_3) | instskip(NEXT) | instid1(VALU_DEP_3)
	v_lshrrev_b32_e32 v50, 16, v45
	v_add_co_u32 v87, vcc_lo, v22, v28
	s_delay_alu instid0(VALU_DEP_3) | instskip(NEXT) | instid1(VALU_DEP_3)
	v_add_co_ci_u32_e32 v88, vcc_lo, v23, v29, vcc_lo
	v_min3_f16 v45, v47, v45, v50
	s_and_b32 vcc_lo, exec_lo, s0
	global_store_b16 v[87:88], v45, off
	s_cbranch_vccnz .LBB208_66
; %bb.65:
	v_add_co_u32 v46, vcc_lo, v20, v30
	v_add_co_ci_u32_e32 v47, vcc_lo, v21, v31, vcc_lo
	flat_load_u16 v45, v[46:47]
	s_waitcnt vmcnt(0) lgkmcnt(0)
	v_mul_f16_e32 v46, s15, v45
.LBB208_66:
	v_pk_add_f16 v45, v8, v16
	v_pk_max_f16 v47, v86, v86
	v_pk_add_f16 v50, v9, v17
	v_add_co_u32 v86, vcc_lo, v22, v30
	v_add_co_ci_u32_e32 v87, vcc_lo, v23, v31, vcc_lo
	s_delay_alu instid0(VALU_DEP_4) | instskip(SKIP_1) | instid1(VALU_DEP_1)
	v_pk_min_f16 v45, v47, v45
	s_and_b32 vcc_lo, exec_lo, s0
	v_pk_min_f16 v45, v45, v50
	s_delay_alu instid0(VALU_DEP_1) | instskip(NEXT) | instid1(VALU_DEP_1)
	v_lshrrev_b32_e32 v47, 16, v45
	v_min3_f16 v45, v46, v45, v47
	v_dual_mov_b32 v46, 0 :: v_dual_mov_b32 v47, 0
	global_store_b16 v[86:87], v45, off
	s_cbranch_vccnz .LBB208_68
; %bb.67:
	v_add_co_u32 v86, vcc_lo, v20, v32
	v_add_co_ci_u32_e32 v87, vcc_lo, v21, v33, vcc_lo
	flat_load_u16 v45, v[86:87]
	s_waitcnt vmcnt(0) lgkmcnt(0)
	v_mul_f16_e32 v47, s15, v45
.LBB208_68:
	v_pk_add_f16 v45, v10, v16
	v_pk_max_f16 v50, v85, v85
	v_pk_add_f16 v51, v11, v17
	v_add_co_u32 v85, vcc_lo, v22, v32
	v_add_co_ci_u32_e32 v86, vcc_lo, v23, v33, vcc_lo
	s_delay_alu instid0(VALU_DEP_4) | instskip(SKIP_1) | instid1(VALU_DEP_1)
	v_pk_min_f16 v45, v50, v45
	s_and_b32 vcc_lo, exec_lo, s0
	v_pk_min_f16 v45, v45, v51
	s_delay_alu instid0(VALU_DEP_1) | instskip(NEXT) | instid1(VALU_DEP_1)
	v_lshrrev_b32_e32 v50, 16, v45
	v_min3_f16 v45, v47, v45, v50
	global_store_b16 v[85:86], v45, off
	s_cbranch_vccnz .LBB208_70
; %bb.69:
	v_add_co_u32 v46, vcc_lo, v20, v40
	v_add_co_ci_u32_e32 v47, vcc_lo, v21, v41, vcc_lo
	flat_load_u16 v45, v[46:47]
	s_waitcnt vmcnt(0) lgkmcnt(0)
	v_mul_f16_e32 v46, s15, v45
.LBB208_70:
	v_pk_add_f16 v45, v4, v16
	v_pk_max_f16 v47, v84, v84
	v_pk_add_f16 v50, v5, v17
	v_add_co_u32 v84, vcc_lo, v22, v40
	v_add_co_ci_u32_e32 v85, vcc_lo, v23, v41, vcc_lo
	s_delay_alu instid0(VALU_DEP_4) | instskip(SKIP_1) | instid1(VALU_DEP_1)
	v_pk_min_f16 v45, v47, v45
	s_and_b32 vcc_lo, exec_lo, s0
	v_pk_min_f16 v45, v45, v50
	s_delay_alu instid0(VALU_DEP_1) | instskip(NEXT) | instid1(VALU_DEP_1)
	v_lshrrev_b32_e32 v47, 16, v45
	v_min3_f16 v45, v46, v45, v47
	v_dual_mov_b32 v46, 0 :: v_dual_mov_b32 v47, 0
	global_store_b16 v[84:85], v45, off
	s_cbranch_vccnz .LBB208_72
; %bb.71:
	v_add_co_u32 v84, vcc_lo, v20, v42
	v_add_co_ci_u32_e32 v85, vcc_lo, v21, v43, vcc_lo
	flat_load_u16 v45, v[84:85]
	s_waitcnt vmcnt(0) lgkmcnt(0)
	v_mul_f16_e32 v47, s15, v45
.LBB208_72:
	v_pk_add_f16 v45, v6, v16
	v_pk_max_f16 v50, v83, v83
	v_pk_add_f16 v51, v7, v17
	v_add_co_u32 v83, vcc_lo, v22, v42
	v_add_co_ci_u32_e32 v84, vcc_lo, v23, v43, vcc_lo
	s_delay_alu instid0(VALU_DEP_4) | instskip(SKIP_1) | instid1(VALU_DEP_1)
	v_pk_min_f16 v45, v50, v45
	s_and_b32 vcc_lo, exec_lo, s0
	v_pk_min_f16 v45, v45, v51
	s_delay_alu instid0(VALU_DEP_1) | instskip(NEXT) | instid1(VALU_DEP_1)
	v_lshrrev_b32_e32 v50, 16, v45
	v_min3_f16 v45, v47, v45, v50
	;; [unrolled: 43-line block ×3, first 2 shown]
	global_store_b16 v[81:82], v45, off
	s_cbranch_vccnz .LBB208_78
; %bb.77:
	v_add_co_u32 v20, vcc_lo, v20, v34
	v_add_co_ci_u32_e32 v21, vcc_lo, v21, v35, vcc_lo
	flat_load_u16 v20, v[20:21]
	s_waitcnt vmcnt(0) lgkmcnt(0)
	v_mul_f16_e32 v46, s15, v20
.LBB208_78:
	v_add_nc_u32_e32 v20, 32, v44
	v_pk_add_f16 v16, v48, v16
	v_pk_max_f16 v21, v80, v80
	v_pk_add_f16 v17, v49, v17
	s_delay_alu instid0(VALU_DEP_4) | instskip(NEXT) | instid1(VALU_DEP_3)
	v_mad_i64_i32 v[80:81], null, v20, s8, 0
	v_pk_min_f16 v16, v21, v16
	s_delay_alu instid0(VALU_DEP_1) | instskip(NEXT) | instid1(VALU_DEP_3)
	v_pk_min_f16 v21, v16, v17
	v_lshlrev_b64 v[16:17], 1, v[80:81]
	v_add_co_u32 v80, vcc_lo, v22, v34
	v_add_co_ci_u32_e32 v81, vcc_lo, v23, v35, vcc_lo
	v_mov_b32_e32 v23, 0
	v_lshrrev_b32_e32 v22, 16, v21
	v_add_co_u32 v16, vcc_lo, s4, v16
	v_add_co_ci_u32_e32 v17, vcc_lo, s5, v17, vcc_lo
	s_delay_alu instid0(VALU_DEP_3)
	v_min3_f16 v21, v46, v21, v22
	v_mov_b32_e32 v22, 0
	s_and_b32 vcc_lo, exec_lo, s0
	global_store_b16 v[80:81], v21, off
	s_cbranch_vccnz .LBB208_80
; %bb.79:
	v_add_co_u32 v46, vcc_lo, v16, v28
	v_add_co_ci_u32_e32 v47, vcc_lo, v17, v29, vcc_lo
	flat_load_u16 v21, v[46:47]
	s_waitcnt vmcnt(0) lgkmcnt(0)
	v_mul_f16_e32 v23, s15, v21
.LBB208_80:
	v_pk_add_f16 v21, v26, v18
	v_pk_max_f16 v45, v79, v79
	v_mad_i64_i32 v[46:47], null, v20, s3, 0
	v_pk_add_f16 v20, v27, v19
	s_delay_alu instid0(VALU_DEP_3) | instskip(NEXT) | instid1(VALU_DEP_1)
	v_pk_min_f16 v21, v45, v21
	v_pk_min_f16 v45, v21, v20
	s_delay_alu instid0(VALU_DEP_4) | instskip(NEXT) | instid1(VALU_DEP_2)
	v_lshlrev_b64 v[20:21], 1, v[46:47]
	v_lshrrev_b32_e32 v46, 16, v45
	s_delay_alu instid0(VALU_DEP_2) | instskip(NEXT) | instid1(VALU_DEP_3)
	v_add_co_u32 v20, vcc_lo, s1, v20
	v_add_co_ci_u32_e32 v21, vcc_lo, s6, v21, vcc_lo
	s_delay_alu instid0(VALU_DEP_3) | instskip(NEXT) | instid1(VALU_DEP_3)
	v_min3_f16 v23, v23, v45, v46
	v_add_co_u32 v46, vcc_lo, v20, v28
	s_delay_alu instid0(VALU_DEP_3)
	v_add_co_ci_u32_e32 v47, vcc_lo, v21, v29, vcc_lo
	s_and_b32 vcc_lo, exec_lo, s0
	global_store_b16 v[46:47], v23, off
	s_cbranch_vccnz .LBB208_82
; %bb.81:
	v_add_co_u32 v22, vcc_lo, v16, v30
	v_add_co_ci_u32_e32 v23, vcc_lo, v17, v31, vcc_lo
	flat_load_u16 v22, v[22:23]
	s_waitcnt vmcnt(0) lgkmcnt(0)
	v_mul_f16_e32 v22, s15, v22
.LBB208_82:
	v_pk_add_f16 v23, v8, v18
	v_pk_max_f16 v45, v78, v78
	v_pk_add_f16 v46, v9, v19
	s_delay_alu instid0(VALU_DEP_2) | instskip(NEXT) | instid1(VALU_DEP_1)
	v_pk_min_f16 v23, v45, v23
	v_pk_min_f16 v23, v23, v46
	v_add_co_u32 v46, vcc_lo, v20, v30
	v_add_co_ci_u32_e32 v47, vcc_lo, v21, v31, vcc_lo
	s_delay_alu instid0(VALU_DEP_3) | instskip(SKIP_1) | instid1(VALU_DEP_1)
	v_lshrrev_b32_e32 v45, 16, v23
	s_and_b32 vcc_lo, exec_lo, s0
	v_min3_f16 v45, v22, v23, v45
	v_dual_mov_b32 v22, 0 :: v_dual_mov_b32 v23, 0
	global_store_b16 v[46:47], v45, off
	s_cbranch_vccnz .LBB208_84
; %bb.83:
	v_add_co_u32 v46, vcc_lo, v16, v32
	v_add_co_ci_u32_e32 v47, vcc_lo, v17, v33, vcc_lo
	flat_load_u16 v23, v[46:47]
	s_waitcnt vmcnt(0) lgkmcnt(0)
	v_mul_f16_e32 v23, s15, v23
.LBB208_84:
	v_pk_add_f16 v45, v10, v18
	v_pk_max_f16 v46, v77, v77
	v_pk_add_f16 v47, v11, v19
	s_delay_alu instid0(VALU_DEP_2) | instskip(NEXT) | instid1(VALU_DEP_1)
	v_pk_min_f16 v45, v46, v45
	v_pk_min_f16 v45, v45, v47
	s_delay_alu instid0(VALU_DEP_1) | instskip(NEXT) | instid1(VALU_DEP_1)
	v_lshrrev_b32_e32 v46, 16, v45
	v_min3_f16 v23, v23, v45, v46
	v_add_co_u32 v46, vcc_lo, v20, v32
	v_add_co_ci_u32_e32 v47, vcc_lo, v21, v33, vcc_lo
	s_and_b32 vcc_lo, exec_lo, s0
	global_store_b16 v[46:47], v23, off
	s_cbranch_vccnz .LBB208_86
; %bb.85:
	v_add_co_u32 v22, vcc_lo, v16, v40
	v_add_co_ci_u32_e32 v23, vcc_lo, v17, v41, vcc_lo
	flat_load_u16 v22, v[22:23]
	s_waitcnt vmcnt(0) lgkmcnt(0)
	v_mul_f16_e32 v22, s15, v22
.LBB208_86:
	v_pk_add_f16 v23, v4, v18
	v_pk_max_f16 v45, v76, v76
	v_pk_add_f16 v46, v5, v19
	s_delay_alu instid0(VALU_DEP_2) | instskip(NEXT) | instid1(VALU_DEP_1)
	v_pk_min_f16 v23, v45, v23
	v_pk_min_f16 v23, v23, v46
	v_add_co_u32 v46, vcc_lo, v20, v40
	v_add_co_ci_u32_e32 v47, vcc_lo, v21, v41, vcc_lo
	s_delay_alu instid0(VALU_DEP_3) | instskip(SKIP_1) | instid1(VALU_DEP_1)
	v_lshrrev_b32_e32 v45, 16, v23
	s_and_b32 vcc_lo, exec_lo, s0
	v_min3_f16 v45, v22, v23, v45
	v_dual_mov_b32 v22, 0 :: v_dual_mov_b32 v23, 0
	global_store_b16 v[46:47], v45, off
	s_cbranch_vccnz .LBB208_88
; %bb.87:
	v_add_co_u32 v46, vcc_lo, v16, v42
	v_add_co_ci_u32_e32 v47, vcc_lo, v17, v43, vcc_lo
	flat_load_u16 v23, v[46:47]
	s_waitcnt vmcnt(0) lgkmcnt(0)
	v_mul_f16_e32 v23, s15, v23
.LBB208_88:
	v_pk_add_f16 v45, v6, v18
	v_pk_max_f16 v46, v75, v75
	v_pk_add_f16 v47, v7, v19
	s_delay_alu instid0(VALU_DEP_2) | instskip(NEXT) | instid1(VALU_DEP_1)
	v_pk_min_f16 v45, v46, v45
	v_pk_min_f16 v45, v45, v47
	s_delay_alu instid0(VALU_DEP_1) | instskip(NEXT) | instid1(VALU_DEP_1)
	v_lshrrev_b32_e32 v46, 16, v45
	v_min3_f16 v23, v23, v45, v46
	v_add_co_u32 v46, vcc_lo, v20, v42
	;; [unrolled: 43-line block ×3, first 2 shown]
	v_add_co_ci_u32_e32 v47, vcc_lo, v21, v37, vcc_lo
	s_and_b32 vcc_lo, exec_lo, s0
	global_store_b16 v[46:47], v23, off
	s_cbranch_vccnz .LBB208_94
; %bb.93:
	v_add_co_u32 v16, vcc_lo, v16, v34
	v_add_co_ci_u32_e32 v17, vcc_lo, v17, v35, vcc_lo
	flat_load_u16 v16, v[16:17]
	s_waitcnt vmcnt(0) lgkmcnt(0)
	v_mul_f16_e32 v22, s15, v16
.LBB208_94:
	v_pk_add_f16 v18, v48, v18
	v_pk_max_f16 v45, v72, v72
	v_pk_add_f16 v19, v49, v19
	v_add_nc_u32_e32 v23, 40, v44
	s_delay_alu instid0(VALU_DEP_3) | instskip(NEXT) | instid1(VALU_DEP_1)
	v_pk_min_f16 v18, v45, v18
	v_pk_min_f16 v45, v18, v19
	v_add_co_u32 v18, vcc_lo, v20, v34
	v_add_co_ci_u32_e32 v19, vcc_lo, v21, v35, vcc_lo
	s_delay_alu instid0(VALU_DEP_3) | instskip(SKIP_1) | instid1(VALU_DEP_2)
	v_lshrrev_b32_e32 v20, 16, v45
	v_mov_b32_e32 v21, 0
	v_min3_f16 v22, v22, v45, v20
	v_mov_b32_e32 v20, 0
	v_mad_i64_i32 v[16:17], null, v23, s8, 0
	global_store_b16 v[18:19], v22, off
	v_lshlrev_b64 v[16:17], 1, v[16:17]
	s_delay_alu instid0(VALU_DEP_1) | instskip(NEXT) | instid1(VALU_DEP_2)
	v_add_co_u32 v16, vcc_lo, s4, v16
	v_add_co_ci_u32_e32 v17, vcc_lo, s5, v17, vcc_lo
	s_and_b32 vcc_lo, exec_lo, s0
	s_cbranch_vccnz .LBB208_96
; %bb.95:
	s_delay_alu instid0(VALU_DEP_2) | instskip(NEXT) | instid1(VALU_DEP_2)
	v_add_co_u32 v18, vcc_lo, v16, v28
	v_add_co_ci_u32_e32 v19, vcc_lo, v17, v29, vcc_lo
	flat_load_u16 v18, v[18:19]
	s_waitcnt vmcnt(0) lgkmcnt(0)
	v_mul_f16_e32 v21, s15, v18
.LBB208_96:
	v_pk_add_f16 v22, v26, v12
	v_pk_max_f16 v45, v71, v71
	v_mad_i64_i32 v[18:19], null, v23, s3, 0
	v_pk_add_f16 v23, v27, v13
	s_delay_alu instid0(VALU_DEP_3) | instskip(NEXT) | instid1(VALU_DEP_3)
	v_pk_min_f16 v22, v45, v22
	v_lshlrev_b64 v[18:19], 1, v[18:19]
	s_delay_alu instid0(VALU_DEP_2) | instskip(NEXT) | instid1(VALU_DEP_2)
	v_pk_min_f16 v22, v22, v23
	v_add_co_u32 v18, vcc_lo, s1, v18
	s_delay_alu instid0(VALU_DEP_2) | instskip(NEXT) | instid1(VALU_DEP_4)
	v_lshrrev_b32_e32 v23, 16, v22
	v_add_co_ci_u32_e32 v19, vcc_lo, s6, v19, vcc_lo
	s_delay_alu instid0(VALU_DEP_2) | instskip(NEXT) | instid1(VALU_DEP_4)
	v_min3_f16 v23, v21, v22, v23
	v_add_co_u32 v21, vcc_lo, v18, v28
	s_delay_alu instid0(VALU_DEP_3)
	v_add_co_ci_u32_e32 v22, vcc_lo, v19, v29, vcc_lo
	s_and_b32 vcc_lo, exec_lo, s0
	global_store_b16 v[21:22], v23, off
	s_cbranch_vccnz .LBB208_98
; %bb.97:
	v_add_co_u32 v20, vcc_lo, v16, v30
	v_add_co_ci_u32_e32 v21, vcc_lo, v17, v31, vcc_lo
	flat_load_u16 v20, v[20:21]
	s_waitcnt vmcnt(0) lgkmcnt(0)
	v_mul_f16_e32 v20, s15, v20
.LBB208_98:
	v_pk_add_f16 v21, v8, v12
	v_pk_max_f16 v22, v70, v70
	v_pk_add_f16 v23, v9, v13
	s_delay_alu instid0(VALU_DEP_2) | instskip(SKIP_1) | instid1(VALU_DEP_2)
	v_pk_min_f16 v21, v22, v21
	v_add_co_u32 v22, vcc_lo, v18, v30
	v_pk_min_f16 v21, v21, v23
	v_add_co_ci_u32_e32 v23, vcc_lo, v19, v31, vcc_lo
	s_and_b32 vcc_lo, exec_lo, s0
	s_delay_alu instid0(VALU_DEP_2) | instskip(NEXT) | instid1(VALU_DEP_1)
	v_lshrrev_b32_e32 v45, 16, v21
	v_min3_f16 v45, v20, v21, v45
	v_dual_mov_b32 v20, 0 :: v_dual_mov_b32 v21, 0
	global_store_b16 v[22:23], v45, off
	s_cbranch_vccnz .LBB208_100
; %bb.99:
	v_add_co_u32 v21, vcc_lo, v16, v32
	v_add_co_ci_u32_e32 v22, vcc_lo, v17, v33, vcc_lo
	flat_load_u16 v21, v[21:22]
	s_waitcnt vmcnt(0) lgkmcnt(0)
	v_mul_f16_e32 v21, s15, v21
.LBB208_100:
	v_pk_add_f16 v22, v10, v12
	v_pk_max_f16 v23, v62, v62
	v_pk_add_f16 v45, v11, v13
	s_delay_alu instid0(VALU_DEP_2) | instskip(NEXT) | instid1(VALU_DEP_1)
	v_pk_min_f16 v22, v23, v22
	v_pk_min_f16 v22, v22, v45
	s_delay_alu instid0(VALU_DEP_1) | instskip(NEXT) | instid1(VALU_DEP_1)
	v_lshrrev_b32_e32 v23, 16, v22
	v_min3_f16 v23, v21, v22, v23
	v_add_co_u32 v21, vcc_lo, v18, v32
	v_add_co_ci_u32_e32 v22, vcc_lo, v19, v33, vcc_lo
	s_and_b32 vcc_lo, exec_lo, s0
	global_store_b16 v[21:22], v23, off
	s_cbranch_vccnz .LBB208_102
; %bb.101:
	v_add_co_u32 v20, vcc_lo, v16, v40
	v_add_co_ci_u32_e32 v21, vcc_lo, v17, v41, vcc_lo
	flat_load_u16 v20, v[20:21]
	s_waitcnt vmcnt(0) lgkmcnt(0)
	v_mul_f16_e32 v20, s15, v20
.LBB208_102:
	v_pk_add_f16 v21, v4, v12
	v_pk_max_f16 v22, v61, v61
	v_pk_add_f16 v23, v5, v13
	s_delay_alu instid0(VALU_DEP_2) | instskip(SKIP_1) | instid1(VALU_DEP_2)
	v_pk_min_f16 v21, v22, v21
	v_add_co_u32 v22, vcc_lo, v18, v40
	v_pk_min_f16 v21, v21, v23
	v_add_co_ci_u32_e32 v23, vcc_lo, v19, v41, vcc_lo
	s_and_b32 vcc_lo, exec_lo, s0
	s_delay_alu instid0(VALU_DEP_2) | instskip(NEXT) | instid1(VALU_DEP_1)
	v_lshrrev_b32_e32 v45, 16, v21
	v_min3_f16 v45, v20, v21, v45
	v_dual_mov_b32 v20, 0 :: v_dual_mov_b32 v21, 0
	global_store_b16 v[22:23], v45, off
	s_cbranch_vccnz .LBB208_104
; %bb.103:
	v_add_co_u32 v21, vcc_lo, v16, v42
	v_add_co_ci_u32_e32 v22, vcc_lo, v17, v43, vcc_lo
	flat_load_u16 v21, v[21:22]
	s_waitcnt vmcnt(0) lgkmcnt(0)
	v_mul_f16_e32 v21, s15, v21
.LBB208_104:
	v_pk_add_f16 v22, v6, v12
	v_pk_max_f16 v23, v60, v60
	v_pk_add_f16 v45, v7, v13
	s_delay_alu instid0(VALU_DEP_2) | instskip(NEXT) | instid1(VALU_DEP_1)
	v_pk_min_f16 v22, v23, v22
	v_pk_min_f16 v22, v22, v45
	s_delay_alu instid0(VALU_DEP_1) | instskip(NEXT) | instid1(VALU_DEP_1)
	v_lshrrev_b32_e32 v23, 16, v22
	v_min3_f16 v23, v21, v22, v23
	v_add_co_u32 v21, vcc_lo, v18, v42
	;; [unrolled: 43-line block ×3, first 2 shown]
	v_add_co_ci_u32_e32 v22, vcc_lo, v19, v37, vcc_lo
	s_and_b32 vcc_lo, exec_lo, s0
	global_store_b16 v[21:22], v23, off
	s_cbranch_vccnz .LBB208_110
; %bb.109:
	v_add_co_u32 v16, vcc_lo, v16, v34
	v_add_co_ci_u32_e32 v17, vcc_lo, v17, v35, vcc_lo
	flat_load_u16 v16, v[16:17]
	s_waitcnt vmcnt(0) lgkmcnt(0)
	v_mul_f16_e32 v20, s15, v16
.LBB208_110:
	v_add_nc_u32_e32 v16, 48, v44
	v_pk_add_f16 v12, v48, v12
	v_pk_max_f16 v17, v57, v57
	v_pk_add_f16 v13, v49, v13
	s_delay_alu instid0(VALU_DEP_4) | instskip(NEXT) | instid1(VALU_DEP_3)
	v_mad_i64_i32 v[21:22], null, v16, s8, 0
	v_pk_min_f16 v12, v17, v12
	s_delay_alu instid0(VALU_DEP_1) | instskip(NEXT) | instid1(VALU_DEP_3)
	v_pk_min_f16 v17, v12, v13
	v_lshlrev_b64 v[12:13], 1, v[21:22]
	v_add_co_u32 v21, vcc_lo, v18, v34
	v_add_co_ci_u32_e32 v22, vcc_lo, v19, v35, vcc_lo
	v_mov_b32_e32 v19, 0
	v_lshrrev_b32_e32 v18, 16, v17
	v_add_co_u32 v12, vcc_lo, s4, v12
	v_add_co_ci_u32_e32 v13, vcc_lo, s5, v13, vcc_lo
	s_delay_alu instid0(VALU_DEP_3)
	v_min3_f16 v17, v20, v17, v18
	v_mov_b32_e32 v18, 0
	s_and_b32 vcc_lo, exec_lo, s0
	global_store_b16 v[21:22], v17, off
	s_cbranch_vccnz .LBB208_112
; %bb.111:
	v_add_co_u32 v19, vcc_lo, v12, v28
	v_add_co_ci_u32_e32 v20, vcc_lo, v13, v29, vcc_lo
	flat_load_u16 v17, v[19:20]
	s_waitcnt vmcnt(0) lgkmcnt(0)
	v_mul_f16_e32 v19, s15, v17
.LBB208_112:
	v_pk_add_f16 v17, v26, v14
	v_pk_max_f16 v22, v56, v56
	v_mad_i64_i32 v[20:21], null, v16, s3, 0
	v_pk_add_f16 v16, v27, v15
	s_delay_alu instid0(VALU_DEP_3) | instskip(NEXT) | instid1(VALU_DEP_1)
	v_pk_min_f16 v17, v22, v17
	v_pk_min_f16 v22, v17, v16
	s_delay_alu instid0(VALU_DEP_4) | instskip(NEXT) | instid1(VALU_DEP_2)
	v_lshlrev_b64 v[16:17], 1, v[20:21]
	v_lshrrev_b32_e32 v20, 16, v22
	s_delay_alu instid0(VALU_DEP_2) | instskip(NEXT) | instid1(VALU_DEP_3)
	v_add_co_u32 v16, vcc_lo, s1, v16
	v_add_co_ci_u32_e32 v17, vcc_lo, s6, v17, vcc_lo
	s_delay_alu instid0(VALU_DEP_3) | instskip(NEXT) | instid1(VALU_DEP_3)
	v_min3_f16 v21, v19, v22, v20
	v_add_co_u32 v19, vcc_lo, v16, v28
	s_delay_alu instid0(VALU_DEP_3)
	v_add_co_ci_u32_e32 v20, vcc_lo, v17, v29, vcc_lo
	s_and_b32 vcc_lo, exec_lo, s0
	global_store_b16 v[19:20], v21, off
	s_cbranch_vccnz .LBB208_114
; %bb.113:
	v_add_co_u32 v18, vcc_lo, v12, v30
	v_add_co_ci_u32_e32 v19, vcc_lo, v13, v31, vcc_lo
	flat_load_u16 v18, v[18:19]
	s_waitcnt vmcnt(0) lgkmcnt(0)
	v_mul_f16_e32 v18, s15, v18
.LBB208_114:
	v_pk_add_f16 v19, v8, v14
	v_pk_max_f16 v20, v55, v55
	v_pk_add_f16 v21, v9, v15
	s_delay_alu instid0(VALU_DEP_2) | instskip(SKIP_1) | instid1(VALU_DEP_2)
	v_pk_min_f16 v19, v20, v19
	v_add_co_u32 v20, vcc_lo, v16, v30
	v_pk_min_f16 v19, v19, v21
	v_add_co_ci_u32_e32 v21, vcc_lo, v17, v31, vcc_lo
	s_and_b32 vcc_lo, exec_lo, s0
	s_delay_alu instid0(VALU_DEP_2) | instskip(NEXT) | instid1(VALU_DEP_1)
	v_lshrrev_b32_e32 v22, 16, v19
	v_min3_f16 v22, v18, v19, v22
	v_dual_mov_b32 v18, 0 :: v_dual_mov_b32 v19, 0
	global_store_b16 v[20:21], v22, off
	s_cbranch_vccnz .LBB208_116
; %bb.115:
	v_add_co_u32 v19, vcc_lo, v12, v32
	v_add_co_ci_u32_e32 v20, vcc_lo, v13, v33, vcc_lo
	flat_load_u16 v19, v[19:20]
	s_waitcnt vmcnt(0) lgkmcnt(0)
	v_mul_f16_e32 v19, s15, v19
.LBB208_116:
	v_pk_add_f16 v20, v10, v14
	v_pk_max_f16 v21, v54, v54
	v_pk_add_f16 v22, v11, v15
	s_delay_alu instid0(VALU_DEP_2) | instskip(NEXT) | instid1(VALU_DEP_1)
	v_pk_min_f16 v20, v21, v20
	v_pk_min_f16 v20, v20, v22
	s_delay_alu instid0(VALU_DEP_1) | instskip(NEXT) | instid1(VALU_DEP_1)
	v_lshrrev_b32_e32 v21, 16, v20
	v_min3_f16 v21, v19, v20, v21
	v_add_co_u32 v19, vcc_lo, v16, v32
	v_add_co_ci_u32_e32 v20, vcc_lo, v17, v33, vcc_lo
	s_and_b32 vcc_lo, exec_lo, s0
	global_store_b16 v[19:20], v21, off
	s_cbranch_vccnz .LBB208_118
; %bb.117:
	v_add_co_u32 v18, vcc_lo, v12, v40
	v_add_co_ci_u32_e32 v19, vcc_lo, v13, v41, vcc_lo
	flat_load_u16 v18, v[18:19]
	s_waitcnt vmcnt(0) lgkmcnt(0)
	v_mul_f16_e32 v18, s15, v18
.LBB208_118:
	v_pk_add_f16 v19, v4, v14
	v_pk_max_f16 v20, v53, v53
	v_pk_add_f16 v21, v5, v15
	s_delay_alu instid0(VALU_DEP_2) | instskip(SKIP_1) | instid1(VALU_DEP_2)
	v_pk_min_f16 v19, v20, v19
	v_add_co_u32 v20, vcc_lo, v16, v40
	v_pk_min_f16 v19, v19, v21
	v_add_co_ci_u32_e32 v21, vcc_lo, v17, v41, vcc_lo
	s_and_b32 vcc_lo, exec_lo, s0
	s_delay_alu instid0(VALU_DEP_2) | instskip(NEXT) | instid1(VALU_DEP_1)
	v_lshrrev_b32_e32 v22, 16, v19
	v_min3_f16 v22, v18, v19, v22
	v_dual_mov_b32 v18, 0 :: v_dual_mov_b32 v19, 0
	global_store_b16 v[20:21], v22, off
	s_cbranch_vccnz .LBB208_120
; %bb.119:
	v_add_co_u32 v19, vcc_lo, v12, v42
	v_add_co_ci_u32_e32 v20, vcc_lo, v13, v43, vcc_lo
	flat_load_u16 v19, v[19:20]
	s_waitcnt vmcnt(0) lgkmcnt(0)
	v_mul_f16_e32 v19, s15, v19
.LBB208_120:
	v_pk_add_f16 v20, v6, v14
	v_pk_max_f16 v21, v52, v52
	v_pk_add_f16 v22, v7, v15
	s_delay_alu instid0(VALU_DEP_2) | instskip(NEXT) | instid1(VALU_DEP_1)
	v_pk_min_f16 v20, v21, v20
	v_pk_min_f16 v20, v20, v22
	s_delay_alu instid0(VALU_DEP_1) | instskip(NEXT) | instid1(VALU_DEP_1)
	v_lshrrev_b32_e32 v21, 16, v20
	v_min3_f16 v21, v19, v20, v21
	v_add_co_u32 v19, vcc_lo, v16, v42
	;; [unrolled: 43-line block ×3, first 2 shown]
	v_add_co_ci_u32_e32 v20, vcc_lo, v17, v37, vcc_lo
	s_and_b32 vcc_lo, exec_lo, s0
	global_store_b16 v[19:20], v21, off
	s_cbranch_vccnz .LBB208_126
; %bb.125:
	v_add_co_u32 v12, vcc_lo, v12, v34
	v_add_co_ci_u32_e32 v13, vcc_lo, v13, v35, vcc_lo
	flat_load_u16 v12, v[12:13]
	s_waitcnt vmcnt(0) lgkmcnt(0)
	v_mul_f16_e32 v18, s15, v12
.LBB208_126:
	v_pk_add_f16 v14, v48, v14
	v_pk_max_f16 v20, v153, v153
	v_pk_add_f16 v15, v49, v15
	v_add_nc_u32_e32 v19, 56, v44
	s_delay_alu instid0(VALU_DEP_3) | instskip(NEXT) | instid1(VALU_DEP_1)
	v_pk_min_f16 v14, v20, v14
	v_pk_min_f16 v20, v14, v15
	v_add_co_u32 v14, vcc_lo, v16, v34
	v_add_co_ci_u32_e32 v15, vcc_lo, v17, v35, vcc_lo
	s_delay_alu instid0(VALU_DEP_3) | instskip(SKIP_1) | instid1(VALU_DEP_2)
	v_lshrrev_b32_e32 v16, 16, v20
	v_mov_b32_e32 v17, 0
	v_min3_f16 v18, v18, v20, v16
	v_mov_b32_e32 v16, 0
	v_mad_i64_i32 v[12:13], null, v19, s8, 0
	global_store_b16 v[14:15], v18, off
	v_lshlrev_b64 v[12:13], 1, v[12:13]
	s_delay_alu instid0(VALU_DEP_1) | instskip(NEXT) | instid1(VALU_DEP_2)
	v_add_co_u32 v12, vcc_lo, s4, v12
	v_add_co_ci_u32_e32 v13, vcc_lo, s5, v13, vcc_lo
	s_and_b32 vcc_lo, exec_lo, s0
	s_cbranch_vccnz .LBB208_128
; %bb.127:
	s_delay_alu instid0(VALU_DEP_2) | instskip(NEXT) | instid1(VALU_DEP_2)
	v_add_co_u32 v14, vcc_lo, v12, v28
	v_add_co_ci_u32_e32 v15, vcc_lo, v13, v29, vcc_lo
	flat_load_u16 v14, v[14:15]
	s_waitcnt vmcnt(0) lgkmcnt(0)
	v_mul_f16_e32 v17, s15, v14
.LBB208_128:
	v_pk_add_f16 v18, v26, v24
	v_pk_max_f16 v20, v154, v154
	v_mad_i64_i32 v[14:15], null, v19, s3, 0
	v_pk_add_f16 v19, v27, v25
	s_delay_alu instid0(VALU_DEP_3) | instskip(NEXT) | instid1(VALU_DEP_3)
	v_pk_min_f16 v18, v20, v18
	v_lshlrev_b64 v[14:15], 1, v[14:15]
	s_delay_alu instid0(VALU_DEP_2) | instskip(NEXT) | instid1(VALU_DEP_2)
	v_pk_min_f16 v18, v18, v19
	v_add_co_u32 v14, vcc_lo, s1, v14
	s_delay_alu instid0(VALU_DEP_2) | instskip(NEXT) | instid1(VALU_DEP_4)
	v_lshrrev_b32_e32 v19, 16, v18
	v_add_co_ci_u32_e32 v15, vcc_lo, s6, v15, vcc_lo
	s_delay_alu instid0(VALU_DEP_2) | instskip(NEXT) | instid1(VALU_DEP_4)
	v_min3_f16 v19, v17, v18, v19
	v_add_co_u32 v17, vcc_lo, v14, v28
	s_delay_alu instid0(VALU_DEP_3)
	v_add_co_ci_u32_e32 v18, vcc_lo, v15, v29, vcc_lo
	s_and_b32 vcc_lo, exec_lo, s0
	global_store_b16 v[17:18], v19, off
	s_cbranch_vccnz .LBB208_130
; %bb.129:
	v_add_co_u32 v16, vcc_lo, v12, v30
	v_add_co_ci_u32_e32 v17, vcc_lo, v13, v31, vcc_lo
	flat_load_u16 v16, v[16:17]
	s_waitcnt vmcnt(0) lgkmcnt(0)
	v_mul_f16_e32 v16, s15, v16
.LBB208_130:
	v_pk_add_f16 v8, v8, v24
	v_pk_max_f16 v17, v150, v150
	v_pk_add_f16 v9, v9, v25
	s_delay_alu instid0(VALU_DEP_2) | instskip(SKIP_2) | instid1(VALU_DEP_3)
	v_pk_min_f16 v8, v17, v8
	v_add_co_u32 v17, vcc_lo, v14, v30
	v_add_co_ci_u32_e32 v18, vcc_lo, v15, v31, vcc_lo
	v_pk_min_f16 v8, v8, v9
	s_and_b32 vcc_lo, exec_lo, s0
	s_delay_alu instid0(VALU_DEP_1) | instskip(NEXT) | instid1(VALU_DEP_1)
	v_lshrrev_b32_e32 v9, 16, v8
	v_min3_f16 v16, v16, v8, v9
	v_dual_mov_b32 v8, 0 :: v_dual_mov_b32 v9, 0
	global_store_b16 v[17:18], v16, off
	s_cbranch_vccnz .LBB208_132
; %bb.131:
	v_add_co_u32 v16, vcc_lo, v12, v32
	v_add_co_ci_u32_e32 v17, vcc_lo, v13, v33, vcc_lo
	flat_load_u16 v9, v[16:17]
	s_waitcnt vmcnt(0) lgkmcnt(0)
	v_mul_f16_e32 v9, s15, v9
.LBB208_132:
	v_pk_add_f16 v10, v10, v24
	v_pk_max_f16 v16, v149, v149
	v_pk_add_f16 v11, v11, v25
	s_delay_alu instid0(VALU_DEP_2) | instskip(NEXT) | instid1(VALU_DEP_1)
	v_pk_min_f16 v10, v16, v10
	v_pk_min_f16 v10, v10, v11
	s_delay_alu instid0(VALU_DEP_1) | instskip(NEXT) | instid1(VALU_DEP_1)
	v_lshrrev_b32_e32 v11, 16, v10
	v_min3_f16 v11, v9, v10, v11
	v_add_co_u32 v9, vcc_lo, v14, v32
	v_add_co_ci_u32_e32 v10, vcc_lo, v15, v33, vcc_lo
	s_and_b32 vcc_lo, exec_lo, s0
	global_store_b16 v[9:10], v11, off
	s_cbranch_vccnz .LBB208_134
; %bb.133:
	v_add_co_u32 v8, vcc_lo, v12, v40
	v_add_co_ci_u32_e32 v9, vcc_lo, v13, v41, vcc_lo
	flat_load_u16 v8, v[8:9]
	s_waitcnt vmcnt(0) lgkmcnt(0)
	v_mul_f16_e32 v8, s15, v8
.LBB208_134:
	v_pk_add_f16 v4, v4, v24
	v_pk_max_f16 v9, v148, v148
	v_pk_add_f16 v5, v5, v25
	s_delay_alu instid0(VALU_DEP_2) | instskip(SKIP_2) | instid1(VALU_DEP_3)
	v_pk_min_f16 v4, v9, v4
	v_add_co_u32 v9, vcc_lo, v14, v40
	v_add_co_ci_u32_e32 v10, vcc_lo, v15, v41, vcc_lo
	v_pk_min_f16 v4, v4, v5
	s_and_b32 vcc_lo, exec_lo, s0
	s_delay_alu instid0(VALU_DEP_1) | instskip(NEXT) | instid1(VALU_DEP_1)
	v_lshrrev_b32_e32 v5, 16, v4
	v_min3_f16 v8, v8, v4, v5
	v_dual_mov_b32 v4, 0 :: v_dual_mov_b32 v5, 0
	global_store_b16 v[9:10], v8, off
	s_cbranch_vccnz .LBB208_136
; %bb.135:
	v_add_co_u32 v8, vcc_lo, v12, v42
	v_add_co_ci_u32_e32 v9, vcc_lo, v13, v43, vcc_lo
	flat_load_u16 v5, v[8:9]
	s_waitcnt vmcnt(0) lgkmcnt(0)
	v_mul_f16_e32 v5, s15, v5
.LBB208_136:
	v_pk_add_f16 v6, v6, v24
	v_pk_max_f16 v8, v147, v147
	v_pk_add_f16 v7, v7, v25
	s_delay_alu instid0(VALU_DEP_2) | instskip(NEXT) | instid1(VALU_DEP_1)
	v_pk_min_f16 v6, v8, v6
	v_pk_min_f16 v6, v6, v7
	s_delay_alu instid0(VALU_DEP_1) | instskip(NEXT) | instid1(VALU_DEP_1)
	v_lshrrev_b32_e32 v7, 16, v6
	v_min3_f16 v7, v5, v6, v7
	v_add_co_u32 v5, vcc_lo, v14, v42
	v_add_co_ci_u32_e32 v6, vcc_lo, v15, v43, vcc_lo
	s_and_b32 vcc_lo, exec_lo, s0
	global_store_b16 v[5:6], v7, off
	s_cbranch_vccnz .LBB208_138
; %bb.137:
	v_add_co_u32 v4, vcc_lo, v12, v38
	v_add_co_ci_u32_e32 v5, vcc_lo, v13, v39, vcc_lo
	flat_load_u16 v4, v[4:5]
	s_waitcnt vmcnt(0) lgkmcnt(0)
	v_mul_f16_e32 v4, s15, v4
.LBB208_138:
	v_pk_add_f16 v0, v0, v24
	v_pk_max_f16 v5, v145, v145
	v_pk_add_f16 v2, v2, v24
	v_pk_max_f16 v6, v146, v146
	v_pk_add_f16 v1, v1, v25
	v_pk_add_f16 v3, v3, v25
	v_pk_min_f16 v0, v5, v0
	s_delay_alu instid0(VALU_DEP_4) | instskip(NEXT) | instid1(VALU_DEP_2)
	v_pk_min_f16 v2, v6, v2
	v_pk_min_f16 v0, v0, v1
	s_delay_alu instid0(VALU_DEP_2) | instskip(NEXT) | instid1(VALU_DEP_2)
	v_pk_min_f16 v1, v2, v3
	v_lshrrev_b32_e32 v2, 16, v0
	s_delay_alu instid0(VALU_DEP_2) | instskip(NEXT) | instid1(VALU_DEP_2)
	v_lshrrev_b32_e32 v3, 16, v1
	v_min3_f16 v4, v4, v0, v2
	s_delay_alu instid0(VALU_DEP_2) | instskip(SKIP_2) | instid1(VALU_DEP_3)
	v_min_f16_e32 v0, v1, v3
	v_add_co_u32 v1, vcc_lo, v14, v38
	v_add_co_ci_u32_e32 v2, vcc_lo, v15, v39, vcc_lo
	v_max_f16_e32 v0, v0, v0
	s_mov_b32 vcc_lo, s2
	global_store_b16 v[1:2], v4, off
	s_cbranch_vccz .LBB208_141
; %bb.139:
	v_add_co_u32 v1, vcc_lo, v14, v36
	v_min_f16_e32 v3, 0, v0
	v_add_co_ci_u32_e32 v2, vcc_lo, v15, v37, vcc_lo
	s_mov_b32 s0, 0
	global_store_b16 v[1:2], v3, off
	s_cbranch_execz .LBB208_142
; %bb.140:
	v_mov_b32_e32 v0, s0
	s_branch .LBB208_143
.LBB208_141:
	s_mov_b32 s0, -1
.LBB208_142:
	v_add_co_u32 v1, vcc_lo, v12, v36
	v_add_co_ci_u32_e32 v2, vcc_lo, v13, v37, vcc_lo
	flat_load_u16 v1, v[1:2]
	s_waitcnt vmcnt(0) lgkmcnt(0)
	v_mul_f16_e32 v3, s15, v1
	v_add_co_u32 v1, vcc_lo, v14, v36
	v_add_co_ci_u32_e32 v2, vcc_lo, v15, v37, vcc_lo
	s_delay_alu instid0(VALU_DEP_3)
	v_min_f16_e32 v0, v3, v0
	v_add_co_u32 v3, vcc_lo, v12, v34
	v_add_co_ci_u32_e32 v4, vcc_lo, v13, v35, vcc_lo
	global_store_b16 v[1:2], v0, off
	flat_load_u16 v0, v[3:4]
	s_waitcnt vmcnt(0) lgkmcnt(0)
	v_mul_f16_e32 v0, s15, v0
.LBB208_143:
	v_pk_add_f16 v1, v48, v24
	v_pk_max_f16 v2, v144, v144
	v_pk_add_f16 v3, v49, v25
	s_delay_alu instid0(VALU_DEP_2) | instskip(NEXT) | instid1(VALU_DEP_1)
	v_pk_min_f16 v1, v2, v1
	v_pk_min_f16 v1, v1, v3
	s_delay_alu instid0(VALU_DEP_1) | instskip(NEXT) | instid1(VALU_DEP_1)
	v_lshrrev_b32_e32 v2, 16, v1
	v_min3_f16 v2, v0, v1, v2
	v_add_co_u32 v0, vcc_lo, v14, v34
	v_add_co_ci_u32_e32 v1, vcc_lo, v15, v35, vcc_lo
	global_store_b16 v[0:1], v2, off
	s_nop 0
	s_sendmsg sendmsg(MSG_DEALLOC_VGPRS)
	s_endpgm
	.section	.rodata,"a",@progbits
	.p2align	6, 0x0
	.amdhsa_kernel _ZN12_GLOBAL__N_120geam_min_plus_kernelIDF16_Dv2_DF16_S1_Li32ELi8ELi256ELi64ELi4ELi64ELi4ELi4ELi64ELc78ELc78ELb1ELb0ELb1EDF16_KPKDF16_KPDF16_EEviiiT16_PT17_ilS9_ilS7_S9_ilPT18_ili26rocblas_geam_ex_operation_
		.amdhsa_group_segment_fixed_size 5120
		.amdhsa_private_segment_fixed_size 364
		.amdhsa_kernarg_size 128
		.amdhsa_user_sgpr_count 14
		.amdhsa_user_sgpr_dispatch_ptr 0
		.amdhsa_user_sgpr_queue_ptr 0
		.amdhsa_user_sgpr_kernarg_segment_ptr 1
		.amdhsa_user_sgpr_dispatch_id 0
		.amdhsa_user_sgpr_private_segment_size 0
		.amdhsa_wavefront_size32 1
		.amdhsa_uses_dynamic_stack 0
		.amdhsa_enable_private_segment 1
		.amdhsa_system_sgpr_workgroup_id_x 1
		.amdhsa_system_sgpr_workgroup_id_y 0
		.amdhsa_system_sgpr_workgroup_id_z 1
		.amdhsa_system_sgpr_workgroup_info 0
		.amdhsa_system_vgpr_workitem_id 1
		.amdhsa_next_free_vgpr 256
		.amdhsa_next_free_sgpr 22
		.amdhsa_reserve_vcc 1
		.amdhsa_float_round_mode_32 0
		.amdhsa_float_round_mode_16_64 0
		.amdhsa_float_denorm_mode_32 3
		.amdhsa_float_denorm_mode_16_64 3
		.amdhsa_dx10_clamp 1
		.amdhsa_ieee_mode 1
		.amdhsa_fp16_overflow 0
		.amdhsa_workgroup_processor_mode 1
		.amdhsa_memory_ordered 1
		.amdhsa_forward_progress 0
		.amdhsa_shared_vgpr_count 0
		.amdhsa_exception_fp_ieee_invalid_op 0
		.amdhsa_exception_fp_denorm_src 0
		.amdhsa_exception_fp_ieee_div_zero 0
		.amdhsa_exception_fp_ieee_overflow 0
		.amdhsa_exception_fp_ieee_underflow 0
		.amdhsa_exception_fp_ieee_inexact 0
		.amdhsa_exception_int_div_zero 0
	.end_amdhsa_kernel
	.section	.text._ZN12_GLOBAL__N_120geam_min_plus_kernelIDF16_Dv2_DF16_S1_Li32ELi8ELi256ELi64ELi4ELi64ELi4ELi4ELi64ELc78ELc78ELb1ELb0ELb1EDF16_KPKDF16_KPDF16_EEviiiT16_PT17_ilS9_ilS7_S9_ilPT18_ili26rocblas_geam_ex_operation_,"axG",@progbits,_ZN12_GLOBAL__N_120geam_min_plus_kernelIDF16_Dv2_DF16_S1_Li32ELi8ELi256ELi64ELi4ELi64ELi4ELi4ELi64ELc78ELc78ELb1ELb0ELb1EDF16_KPKDF16_KPDF16_EEviiiT16_PT17_ilS9_ilS7_S9_ilPT18_ili26rocblas_geam_ex_operation_,comdat
.Lfunc_end208:
	.size	_ZN12_GLOBAL__N_120geam_min_plus_kernelIDF16_Dv2_DF16_S1_Li32ELi8ELi256ELi64ELi4ELi64ELi4ELi4ELi64ELc78ELc78ELb1ELb0ELb1EDF16_KPKDF16_KPDF16_EEviiiT16_PT17_ilS9_ilS7_S9_ilPT18_ili26rocblas_geam_ex_operation_, .Lfunc_end208-_ZN12_GLOBAL__N_120geam_min_plus_kernelIDF16_Dv2_DF16_S1_Li32ELi8ELi256ELi64ELi4ELi64ELi4ELi4ELi64ELc78ELc78ELb1ELb0ELb1EDF16_KPKDF16_KPDF16_EEviiiT16_PT17_ilS9_ilS7_S9_ilPT18_ili26rocblas_geam_ex_operation_
                                        ; -- End function
	.section	.AMDGPU.csdata,"",@progbits
; Kernel info:
; codeLenInByte = 19224
; NumSgprs: 24
; NumVgprs: 256
; ScratchSize: 364
; MemoryBound: 0
; FloatMode: 240
; IeeeMode: 1
; LDSByteSize: 5120 bytes/workgroup (compile time only)
; SGPRBlocks: 2
; VGPRBlocks: 31
; NumSGPRsForWavesPerEU: 24
; NumVGPRsForWavesPerEU: 256
; Occupancy: 5
; WaveLimiterHint : 1
; COMPUTE_PGM_RSRC2:SCRATCH_EN: 1
; COMPUTE_PGM_RSRC2:USER_SGPR: 14
; COMPUTE_PGM_RSRC2:TRAP_HANDLER: 0
; COMPUTE_PGM_RSRC2:TGID_X_EN: 1
; COMPUTE_PGM_RSRC2:TGID_Y_EN: 0
; COMPUTE_PGM_RSRC2:TGID_Z_EN: 1
; COMPUTE_PGM_RSRC2:TIDIG_COMP_CNT: 1
	.section	.text._ZN12_GLOBAL__N_120geam_min_plus_kernelIDF16_Dv2_DF16_S1_Li32ELi8ELi256ELi64ELi4ELi64ELi4ELi4ELi64ELc78ELc78ELb0ELb0ELb1EDF16_KPKDF16_KPDF16_EEviiiT16_PT17_ilS9_ilS7_S9_ilPT18_ili26rocblas_geam_ex_operation_,"axG",@progbits,_ZN12_GLOBAL__N_120geam_min_plus_kernelIDF16_Dv2_DF16_S1_Li32ELi8ELi256ELi64ELi4ELi64ELi4ELi4ELi64ELc78ELc78ELb0ELb0ELb1EDF16_KPKDF16_KPDF16_EEviiiT16_PT17_ilS9_ilS7_S9_ilPT18_ili26rocblas_geam_ex_operation_,comdat
	.globl	_ZN12_GLOBAL__N_120geam_min_plus_kernelIDF16_Dv2_DF16_S1_Li32ELi8ELi256ELi64ELi4ELi64ELi4ELi4ELi64ELc78ELc78ELb0ELb0ELb1EDF16_KPKDF16_KPDF16_EEviiiT16_PT17_ilS9_ilS7_S9_ilPT18_ili26rocblas_geam_ex_operation_ ; -- Begin function _ZN12_GLOBAL__N_120geam_min_plus_kernelIDF16_Dv2_DF16_S1_Li32ELi8ELi256ELi64ELi4ELi64ELi4ELi4ELi64ELc78ELc78ELb0ELb0ELb1EDF16_KPKDF16_KPDF16_EEviiiT16_PT17_ilS9_ilS7_S9_ilPT18_ili26rocblas_geam_ex_operation_
	.p2align	8
	.type	_ZN12_GLOBAL__N_120geam_min_plus_kernelIDF16_Dv2_DF16_S1_Li32ELi8ELi256ELi64ELi4ELi64ELi4ELi4ELi64ELc78ELc78ELb0ELb0ELb1EDF16_KPKDF16_KPDF16_EEviiiT16_PT17_ilS9_ilS7_S9_ilPT18_ili26rocblas_geam_ex_operation_,@function
_ZN12_GLOBAL__N_120geam_min_plus_kernelIDF16_Dv2_DF16_S1_Li32ELi8ELi256ELi64ELi4ELi64ELi4ELi4ELi64ELc78ELc78ELb0ELb0ELb1EDF16_KPKDF16_KPDF16_EEviiiT16_PT17_ilS9_ilS7_S9_ilPT18_ili26rocblas_geam_ex_operation_: ; @_ZN12_GLOBAL__N_120geam_min_plus_kernelIDF16_Dv2_DF16_S1_Li32ELi8ELi256ELi64ELi4ELi64ELi4ELi4ELi64ELc78ELc78ELb0ELb0ELb1EDF16_KPKDF16_KPDF16_EEviiiT16_PT17_ilS9_ilS7_S9_ilPT18_ili26rocblas_geam_ex_operation_
; %bb.0:
	s_clause 0x1
	s_load_b64 s[10:11], s[0:1], 0x8
	s_load_b128 s[4:7], s[0:1], 0x20
	s_mov_b32 s18, s15
	s_mov_b32 s19, 0
	s_waitcnt lgkmcnt(0)
	v_cmp_eq_f16_e64 s2, s11, 0
	s_delay_alu instid0(VALU_DEP_1)
	s_and_b32 vcc_lo, exec_lo, s2
	s_cbranch_vccnz .LBB209_3
; %bb.1:
	s_load_b64 s[8:9], s[0:1], 0x10
	s_lshl_b64 s[12:13], s[18:19], 3
	s_waitcnt lgkmcnt(0)
	s_add_u32 s8, s8, s12
	s_addc_u32 s9, s9, s13
	s_lshl_b64 s[4:5], s[4:5], 1
	s_load_b64 s[8:9], s[8:9], 0x0
	s_waitcnt lgkmcnt(0)
	s_add_u32 s12, s8, s4
	s_addc_u32 s13, s9, s5
	s_and_not1_b32 vcc_lo, exec_lo, s2
	s_cbranch_vccnz .LBB209_4
.LBB209_2:
	s_mov_b64 s[16:17], 0
	s_and_not1_b32 vcc_lo, exec_lo, s19
	s_cbranch_vccz .LBB209_5
	s_branch .LBB209_6
.LBB209_3:
	s_mov_b64 s[12:13], 0
	s_and_not1_b32 vcc_lo, exec_lo, s2
	s_cbranch_vccz .LBB209_2
.LBB209_4:
	s_mov_b32 s19, -1
                                        ; implicit-def: $sgpr16_sgpr17
.LBB209_5:
	s_mov_b32 s19, 0
	s_load_b64 s[4:5], s[0:1], 0x38
	s_lshl_b64 s[2:3], s[18:19], 3
	s_delay_alu instid0(SALU_CYCLE_1) | instskip(SKIP_4) | instid1(SALU_CYCLE_1)
	s_add_u32 s2, s6, s2
	s_addc_u32 s3, s7, s3
	s_load_b64 s[2:3], s[2:3], 0x0
	s_waitcnt lgkmcnt(0)
	s_lshl_b64 s[4:5], s[4:5], 1
	s_add_u32 s16, s2, s4
	s_addc_u32 s17, s3, s5
.LBB209_6:
	s_clause 0x1
	s_load_b32 s15, s[0:1], 0x40
	s_load_b128 s[4:7], s[0:1], 0x58
	v_cmp_neq_f16_e64 s20, s11, 0
	s_waitcnt lgkmcnt(0)
	v_cmp_eq_f16_e64 s2, s15, 0
	s_delay_alu instid0(VALU_DEP_1) | instskip(NEXT) | instid1(SALU_CYCLE_1)
	s_and_b32 s2, exec_lo, s2
	s_mov_b32 vcc_lo, s2
	s_cbranch_vccnz .LBB209_8
; %bb.7:
	s_load_b64 s[8:9], s[0:1], 0x48
	s_lshl_b64 s[22:23], s[18:19], 3
	s_waitcnt lgkmcnt(0)
	s_add_u32 s8, s8, s22
	s_addc_u32 s9, s9, s23
	s_lshl_b64 s[4:5], s[4:5], 1
	s_load_b64 s[8:9], s[8:9], 0x0
	s_waitcnt lgkmcnt(0)
	s_add_u32 s8, s8, s4
	s_addc_u32 s9, s9, s5
	s_branch .LBB209_9
.LBB209_8:
	s_mov_b64 s[8:9], 0
.LBB209_9:
	s_clause 0x1
	s_load_b32 s4, s[0:1], 0x18
	s_load_b32 s3, s[0:1], 0x0
	s_lshl_b64 s[18:19], s[18:19], 3
	v_and_b32_e32 v38, 0x3ff, v0
	v_bfe_u32 v39, v0, 10, 10
	v_cndmask_b32_e64 v3, 0, 1, s20
	s_delay_alu instid0(VALU_DEP_2) | instskip(NEXT) | instid1(VALU_DEP_1)
	v_lshl_add_u32 v6, v39, 5, v38
	v_lshrrev_b32_e32 v8, 6, v6
	v_and_b32_e32 v9, 63, v6
	s_waitcnt lgkmcnt(0)
	s_ashr_i32 s5, s4, 31
	s_add_u32 s6, s6, s18
	s_addc_u32 s7, s7, s19
	s_add_i32 s3, s3, -1
	s_delay_alu instid0(SALU_CYCLE_1) | instskip(NEXT) | instid1(SALU_CYCLE_1)
	s_ashr_i32 s18, s3, 31
	s_lshr_b32 s18, s18, 24
	s_delay_alu instid0(SALU_CYCLE_1) | instskip(NEXT) | instid1(SALU_CYCLE_1)
	s_add_i32 s3, s3, s18
	s_ashr_i32 s3, s3, 8
	s_delay_alu instid0(SALU_CYCLE_1) | instskip(SKIP_2) | instid1(VALU_DEP_1)
	s_add_i32 s18, s3, 1
	s_not_b32 s3, s3
	v_cvt_f32_u32_e32 v1, s18
	v_rcp_iflag_f32_e32 v1, v1
	s_waitcnt_depctr 0xfff
	v_mul_f32_e32 v1, 0x4f7ffffe, v1
	s_delay_alu instid0(VALU_DEP_1) | instskip(NEXT) | instid1(VALU_DEP_1)
	v_cvt_u32_f32_e32 v1, v1
	v_readfirstlane_b32 s19, v1
	v_mad_i64_i32 v[0:1], null, s4, v8, 0
	s_delay_alu instid0(VALU_DEP_2) | instskip(NEXT) | instid1(SALU_CYCLE_1)
	s_mul_i32 s3, s3, s19
	s_mul_hi_u32 s3, s19, s3
	s_delay_alu instid0(SALU_CYCLE_1) | instskip(NEXT) | instid1(VALU_DEP_1)
	s_add_i32 s19, s19, s3
	v_lshlrev_b64 v[1:2], 1, v[0:1]
	s_mul_hi_u32 s3, s14, s19
	s_delay_alu instid0(SALU_CYCLE_1) | instskip(SKIP_2) | instid1(VALU_DEP_1)
	s_mul_i32 s19, s3, s18
	s_add_i32 s21, s3, 1
	s_sub_i32 s19, s14, s19
	v_add_co_u32 v4, vcc_lo, s12, v1
	s_sub_i32 s22, s19, s18
	s_cmp_ge_u32 s19, s18
	v_add_co_ci_u32_e32 v5, vcc_lo, s13, v2, vcc_lo
	s_cselect_b32 s3, s21, s3
	s_cselect_b32 s19, s22, s19
	s_add_i32 s21, s3, 1
	s_cmp_ge_u32 s19, s18
	s_cselect_b32 s19, s21, s3
	s_and_not1_b32 vcc_lo, exec_lo, s20
	s_mul_i32 s21, s19, s18
	s_delay_alu instid0(SALU_CYCLE_1) | instskip(NEXT) | instid1(SALU_CYCLE_1)
	s_sub_i32 s3, s14, s21
	s_lshl_b32 s18, s3, 8
	v_cmp_ne_u32_e64 s3, 1, v3
	v_or_b32_e32 v0, s18, v9
	s_delay_alu instid0(VALU_DEP_1)
	v_ashrrev_i32_e32 v1, 31, v0
	s_cbranch_vccnz .LBB209_12
; %bb.10:
	s_delay_alu instid0(VALU_DEP_1) | instskip(NEXT) | instid1(VALU_DEP_1)
	v_lshlrev_b64 v[2:3], 1, v[0:1]
	v_add_co_u32 v2, vcc_lo, v4, v2
	s_delay_alu instid0(VALU_DEP_2)
	v_add_co_ci_u32_e32 v3, vcc_lo, v5, v3, vcc_lo
	s_clause 0x1
	flat_load_u16 v7, v[2:3]
	flat_load_u16 v3, v[2:3] offset:128
	s_waitcnt vmcnt(1) lgkmcnt(1)
	v_mul_f16_e32 v2, s11, v7
	s_waitcnt vmcnt(0) lgkmcnt(0)
	v_mul_f16_e32 v3, s11, v3
	s_and_b32 vcc_lo, exec_lo, s3
	s_cbranch_vccnz .LBB209_13
.LBB209_11:
	v_lshlrev_b64 v[10:11], 1, v[0:1]
	s_delay_alu instid0(VALU_DEP_1) | instskip(NEXT) | instid1(VALU_DEP_2)
	v_add_co_u32 v4, vcc_lo, v4, v10
	v_add_co_ci_u32_e32 v5, vcc_lo, v5, v11, vcc_lo
	s_clause 0x1
	flat_load_u16 v7, v[4:5] offset:256
	flat_load_u16 v5, v[4:5] offset:384
	s_waitcnt vmcnt(1) lgkmcnt(1)
	v_mul_f16_e32 v4, s11, v7
	s_waitcnt vmcnt(0) lgkmcnt(0)
	v_mul_f16_e32 v5, s11, v5
	s_branch .LBB209_14
.LBB209_12:
	v_dual_mov_b32 v2, 0 :: v_dual_mov_b32 v3, 0
	s_and_b32 vcc_lo, exec_lo, s3
	s_cbranch_vccz .LBB209_11
.LBB209_13:
	v_dual_mov_b32 v4, 0 :: v_dual_mov_b32 v5, 0
.LBB209_14:
	s_load_b32 s22, s[0:1], 0x30
	v_lshrrev_b32_e32 v7, 2, v6
	v_and_b32_e32 v6, 3, v38
	s_lshl_b32 s19, s19, 6
	s_and_b32 vcc_lo, exec_lo, s3
	s_delay_alu instid0(VALU_DEP_2) | instskip(NEXT) | instid1(VALU_DEP_2)
	v_add_nc_u32_e32 v11, s19, v7
	v_lshlrev_b32_e32 v10, 1, v6
	s_cbranch_vccnz .LBB209_16
; %bb.15:
	s_waitcnt lgkmcnt(0)
	s_delay_alu instid0(VALU_DEP_2) | instskip(NEXT) | instid1(VALU_DEP_1)
	v_mad_i64_i32 v[12:13], null, v11, s22, 0
	v_lshlrev_b64 v[12:13], 1, v[12:13]
	s_delay_alu instid0(VALU_DEP_1) | instskip(NEXT) | instid1(VALU_DEP_2)
	v_add_co_u32 v6, vcc_lo, s16, v12
	v_add_co_ci_u32_e32 v13, vcc_lo, s17, v13, vcc_lo
	s_delay_alu instid0(VALU_DEP_2) | instskip(NEXT) | instid1(VALU_DEP_2)
	v_add_co_u32 v12, vcc_lo, v6, v10
	v_add_co_ci_u32_e32 v13, vcc_lo, 0, v13, vcc_lo
	flat_load_u16 v6, v[12:13]
	s_waitcnt vmcnt(0) lgkmcnt(0)
	v_mul_f16_e32 v6, s11, v6
	s_branch .LBB209_17
.LBB209_16:
	v_mov_b32_e32 v6, 0
.LBB209_17:
	v_add_nc_u32_e32 v14, 4, v8
	s_delay_alu instid0(VALU_DEP_1) | instskip(NEXT) | instid1(VALU_DEP_1)
	v_mad_i64_i32 v[12:13], null, s4, v14, 0
	v_lshlrev_b64 v[12:13], 1, v[12:13]
	s_delay_alu instid0(VALU_DEP_1) | instskip(NEXT) | instid1(VALU_DEP_2)
	v_add_co_u32 v14, vcc_lo, s12, v12
	v_add_co_ci_u32_e32 v15, vcc_lo, s13, v13, vcc_lo
	s_and_b32 vcc_lo, exec_lo, s3
	s_cbranch_vccnz .LBB209_21
; %bb.18:
	v_lshlrev_b64 v[12:13], 1, v[0:1]
	s_delay_alu instid0(VALU_DEP_1) | instskip(NEXT) | instid1(VALU_DEP_2)
	v_add_co_u32 v12, vcc_lo, v14, v12
	v_add_co_ci_u32_e32 v13, vcc_lo, v15, v13, vcc_lo
	s_clause 0x1
	flat_load_u16 v16, v[12:13]
	flat_load_u16 v13, v[12:13] offset:128
	s_waitcnt vmcnt(1) lgkmcnt(0)
	v_mul_f16_e32 v12, s11, v16
	s_waitcnt vmcnt(0)
	v_mul_f16_e32 v13, s11, v13
	s_and_b32 vcc_lo, exec_lo, s3
	s_cbranch_vccnz .LBB209_22
.LBB209_19:
	v_lshlrev_b64 v[0:1], 1, v[0:1]
	s_delay_alu instid0(VALU_DEP_1) | instskip(NEXT) | instid1(VALU_DEP_2)
	v_add_co_u32 v0, vcc_lo, v14, v0
	v_add_co_ci_u32_e32 v1, vcc_lo, v15, v1, vcc_lo
	s_clause 0x1
	flat_load_u16 v14, v[0:1] offset:256
	flat_load_u16 v0, v[0:1] offset:384
	s_waitcnt vmcnt(1) lgkmcnt(0)
	v_mul_f16_e32 v14, s11, v14
	s_waitcnt vmcnt(0)
	v_mul_f16_e32 v15, s11, v0
	s_and_b32 vcc_lo, exec_lo, s3
	s_cbranch_vccnz .LBB209_23
.LBB209_20:
	s_waitcnt lgkmcnt(0)
	v_mad_i64_i32 v[0:1], null, v11, s22, 0
	s_delay_alu instid0(VALU_DEP_1) | instskip(NEXT) | instid1(VALU_DEP_1)
	v_lshlrev_b64 v[0:1], 1, v[0:1]
	v_add_co_u32 v0, vcc_lo, s16, v0
	s_delay_alu instid0(VALU_DEP_2) | instskip(NEXT) | instid1(VALU_DEP_2)
	v_add_co_ci_u32_e32 v1, vcc_lo, s17, v1, vcc_lo
	v_add_co_u32 v0, vcc_lo, v0, v10
	s_delay_alu instid0(VALU_DEP_2)
	v_add_co_ci_u32_e32 v1, vcc_lo, 0, v1, vcc_lo
	flat_load_u16 v0, v[0:1] offset:8
	s_waitcnt vmcnt(0) lgkmcnt(0)
	v_mul_f16_e32 v17, s11, v0
	s_branch .LBB209_24
.LBB209_21:
	v_dual_mov_b32 v12, 0 :: v_dual_mov_b32 v13, 0
	s_and_b32 vcc_lo, exec_lo, s3
	s_cbranch_vccz .LBB209_19
.LBB209_22:
	v_dual_mov_b32 v14, 0 :: v_dual_mov_b32 v15, 0
	s_and_b32 vcc_lo, exec_lo, s3
	s_cbranch_vccz .LBB209_20
.LBB209_23:
	v_mov_b32_e32 v17, 0
.LBB209_24:
	v_lshlrev_b32_e32 v0, 1, v8
	v_lshlrev_b32_e32 v41, 3, v39
	;; [unrolled: 1-line block ×3, first 2 shown]
	v_lshl_or_b32 v16, v7, 3, v10
	s_load_b64 s[6:7], s[6:7], 0x0
	v_lshl_add_u32 v42, v9, 3, v0
	v_add_nc_u32_e32 v43, 0x1000, v41
	s_cmp_lt_i32 s10, 9
	ds_store_b16 v42, v2
	ds_store_b16 v42, v3 offset:512
	ds_store_b16 v42, v4 offset:1024
	;; [unrolled: 1-line block ×4, first 2 shown]
	s_waitcnt lgkmcnt(0)
	s_barrier
	buffer_gl0_inv
	ds_load_2addr_b64 v[18:21], v40 offset1:32
	ds_load_2addr_b64 v[22:25], v43 offset1:8
	ds_load_2addr_b64 v[26:29], v40 offset0:64 offset1:96
	ds_load_2addr_b64 v[4:7], v40 offset0:128 offset1:160
	;; [unrolled: 1-line block ×5, first 2 shown]
	s_waitcnt lgkmcnt(5)
	v_pk_add_f16 v45, v20, v22
	v_pk_add_f16 v75, v21, v23
	s_waitcnt lgkmcnt(3)
	v_pk_add_f16 v49, v6, v22
	v_pk_add_f16 v44, v18, v22
	s_waitcnt lgkmcnt(2)
	v_pk_add_f16 v51, v2, v22
	v_pk_min_f16 v45, 0x7c00, v45 op_sel_hi:[0,1]
	v_pk_add_f16 v79, v7, v23
	v_pk_add_f16 v46, v26, v22
	;; [unrolled: 1-line block ×4, first 2 shown]
	v_pk_min_f16 v113, v45, v75
	v_pk_min_f16 v45, 0x7c00, v49 op_sel_hi:[0,1]
	v_pk_add_f16 v81, v3, v23
	v_pk_min_f16 v44, 0x7c00, v44 op_sel_hi:[0,1]
	v_pk_add_f16 v50, v0, v22
	v_pk_add_f16 v59, v2, v24
	v_pk_min_f16 v107, v45, v79
	v_pk_min_f16 v45, 0x7c00, v51 op_sel_hi:[0,1]
	s_waitcnt lgkmcnt(1)
	v_pk_add_f16 v60, v18, v30
	v_pk_add_f16 v61, v20, v30
	;; [unrolled: 1-line block ×10, first 2 shown]
	v_pk_min_f16 v114, v44, v74
	v_pk_min_f16 v44, 0x7c00, v46 op_sel_hi:[0,1]
	v_pk_min_f16 v105, v45, v81
	v_pk_min_f16 v45, 0x7c00, v55 op_sel_hi:[0,1]
	v_pk_add_f16 v47, v28, v22
	v_pk_add_f16 v54, v26, v24
	;; [unrolled: 1-line block ×13, first 2 shown]
	v_pk_min_f16 v112, v44, v76
	v_pk_min_f16 v44, 0x7c00, v50 op_sel_hi:[0,1]
	v_pk_min_f16 v101, v45, v85
	v_pk_min_f16 v45, 0x7c00, v59 op_sel_hi:[0,1]
	v_pk_min_f16 v30, 0x7c00, v30 op_sel_hi:[0,1]
	v_pk_add_f16 v52, v18, v24
	v_pk_add_f16 v56, v4, v24
	;; [unrolled: 1-line block ×7, first 2 shown]
	v_pk_min_f16 v46, 0x7c00, v47 op_sel_hi:[0,1]
	v_pk_min_f16 v106, v44, v80
	v_pk_min_f16 v44, 0x7c00, v54 op_sel_hi:[0,1]
	v_pk_min_f16 v97, v45, v89
	v_pk_min_f16 v89, v30, v31
	v_pk_min_f16 v30, 0x7c00, v69 op_sel_hi:[0,1]
	v_pk_add_f16 v57, v6, v24
	v_pk_add_f16 v67, v18, v32
	v_pk_add_f16 v68, v20, v32
	v_pk_add_f16 v71, v4, v32
	v_pk_add_f16 v72, v6, v32
	v_pk_add_f16 v32, v2, v32
	v_pk_add_f16 v82, v19, v25
	v_pk_add_f16 v86, v5, v25
	v_pk_add_f16 v119, v29, v33
	v_pk_add_f16 v122, v1, v33
	s_waitcnt lgkmcnt(0)
	v_pk_add_f16 v123, v18, v34
	v_pk_min_f16 v111, v46, v77
	v_pk_min_f16 v46, 0x7c00, v52 op_sel_hi:[0,1]
	v_pk_min_f16 v102, v44, v84
	v_pk_min_f16 v44, 0x7c00, v56 op_sel_hi:[0,1]
	v_pk_min_f16 v31, 0x7c00, v70 op_sel_hi:[0,1]
	v_pk_min_f16 v85, v30, v118
	v_pk_min_f16 v30, 0x7c00, v73 op_sel_hi:[0,1]
	v_pk_add_f16 v48, v4, v22
	v_pk_add_f16 v53, v20, v24
	;; [unrolled: 1-line block ×14, first 2 shown]
	ds_load_2addr_b64 v[22:25], v43 offset0:48 offset1:56
	v_pk_add_f16 v136, v19, v35
	v_pk_min_f16 v104, v46, v82
	v_pk_min_f16 v46, 0x7c00, v57 op_sel_hi:[0,1]
	v_pk_min_f16 v100, v44, v86
	v_pk_min_f16 v44, 0x7c00, v60 op_sel_hi:[0,1]
	;; [unrolled: 2-line block ×4, first 2 shown]
	v_pk_add_f16 v124, v20, v34
	v_pk_add_f16 v128, v6, v34
	;; [unrolled: 1-line block ×5, first 2 shown]
	v_pk_min_f16 v99, v46, v87
	v_pk_min_f16 v45, 0x7c00, v61 op_sel_hi:[0,1]
	v_pk_min_f16 v46, 0x7c00, v62 op_sel_hi:[0,1]
	v_pk_min_f16 v96, v44, v90
	v_pk_min_f16 v44, 0x7c00, v64 op_sel_hi:[0,1]
	v_pk_min_f16 v80, v31, v33
	;; [unrolled: 2-line block ×3, first 2 shown]
	v_pk_min_f16 v30, 0x7c00, v127 op_sel_hi:[0,1]
	v_pk_add_f16 v125, v26, v34
	v_pk_add_f16 v129, v0, v34
	;; [unrolled: 1-line block ×8, first 2 shown]
	v_pk_min_f16 v47, 0x7c00, v48 op_sel_hi:[0,1]
	v_pk_min_f16 v95, v45, v91
	v_pk_min_f16 v94, v46, v92
	v_pk_min_f16 v45, 0x7c00, v65 op_sel_hi:[0,1]
	v_pk_min_f16 v92, v44, v108
	v_pk_min_f16 v44, 0x7c00, v66 op_sel_hi:[0,1]
	v_pk_min_f16 v32, 0x7c00, v124 op_sel_hi:[0,1]
	v_pk_min_f16 v76, v31, v139
	v_pk_min_f16 v31, 0x7c00, v128 op_sel_hi:[0,1]
	v_pk_min_f16 v75, v30, v140
	v_pk_min_f16 v30, 0x7c00, v130 op_sel_hi:[0,1]
	v_pk_add_f16 v133, v28, v36
	v_pk_add_f16 v134, v4, v36
	v_pk_add_f16 v43, v6, v36
	v_pk_add_f16 v135, v0, v36
	v_pk_add_f16 v138, v27, v35
	v_pk_add_f16 v142, v1, v35
	v_pk_add_f16 v35, v3, v35
	v_pk_add_f16 v144, v21, v37
	v_pk_add_f16 v145, v27, v37
	v_pk_min_f16 v110, v47, v78
	v_pk_min_f16 v91, v45, v109
	v_pk_min_f16 v45, 0x7c00, v68 op_sel_hi:[0,1]
	v_pk_min_f16 v90, v44, v115
	v_pk_min_f16 v44, 0x7c00, v71 op_sel_hi:[0,1]
	;; [unrolled: 2-line block ×3, first 2 shown]
	v_pk_min_f16 v33, 0x7c00, v34 op_sel_hi:[0,1]
	v_pk_min_f16 v74, v31, v141
	v_pk_min_f16 v31, 0x7c00, v131 op_sel_hi:[0,1]
	v_pk_min_f16 v71, v30, v143
	v_pk_min_f16 v30, 0x7c00, v132 op_sel_hi:[0,1]
	v_pk_add_f16 v36, v2, v36
	v_pk_add_f16 v146, v29, v37
	;; [unrolled: 1-line block ×5, first 2 shown]
	s_waitcnt lgkmcnt(0)
	v_pk_add_f16 v150, v18, v22
	v_pk_add_f16 v151, v20, v22
	v_pk_min_f16 v47, 0x7c00, v53 op_sel_hi:[0,1]
	v_pk_min_f16 v87, v45, v117
	v_pk_min_f16 v45, 0x7c00, v72 op_sel_hi:[0,1]
	v_pk_min_f16 v73, v32, v142
	v_pk_min_f16 v72, v33, v35
	v_pk_min_f16 v32, 0x7c00, v133 op_sel_hi:[0,1]
	v_pk_min_f16 v33, 0x7c00, v134 op_sel_hi:[0,1]
	v_pk_min_f16 v70, v31, v144
	v_pk_min_f16 v31, 0x7c00, v43 op_sel_hi:[0,1]
	v_pk_min_f16 v69, v30, v145
	v_pk_min_f16 v30, 0x7c00, v135 op_sel_hi:[0,1]
	v_pk_add_f16 v37, v3, v37
	v_pk_add_f16 v18, v18, v24
	;; [unrolled: 1-line block ×5, first 2 shown]
	v_pk_min_f16 v103, v47, v83
	v_pk_min_f16 v47, 0x7c00, v58 op_sel_hi:[0,1]
	v_pk_min_f16 v46, 0x7c00, v67 op_sel_hi:[0,1]
	v_pk_min_f16 v68, v32, v146
	v_pk_min_f16 v67, v33, v147
	;; [unrolled: 1-line block ×3, first 2 shown]
	v_pk_min_f16 v31, 0x7c00, v36 op_sel_hi:[0,1]
	v_pk_min_f16 v32, 0x7c00, v150 op_sel_hi:[0,1]
	;; [unrolled: 1-line block ×3, first 2 shown]
	v_pk_min_f16 v65, v30, v149
	v_pk_add_f16 v30, v4, v22
	v_pk_add_f16 v20, v20, v24
	;; [unrolled: 1-line block ×7, first 2 shown]
	v_pk_min_f16 v98, v47, v88
	v_pk_min_f16 v47, 0x7c00, v63 op_sel_hi:[0,1]
	v_pk_min_f16 v64, v31, v37
	v_pk_add_f16 v31, v6, v22
	v_pk_min_f16 v63, v32, v152
	v_pk_add_f16 v32, v0, v22
	v_pk_min_f16 v34, 0x7c00, v154 op_sel_hi:[0,1]
	v_pk_min_f16 v30, 0x7c00, v30 op_sel_hi:[0,1]
	v_pk_min_f16 v62, v33, v153
	v_pk_add_f16 v22, v2, v22
	v_pk_add_f16 v33, v5, v23
	v_pk_min_f16 v18, 0x7c00, v18 op_sel_hi:[0,1]
	v_pk_add_f16 v4, v4, v24
	v_pk_add_f16 v6, v6, v24
	;; [unrolled: 1-line block ×8, first 2 shown]
	v_pk_min_f16 v83, v44, v120
	v_pk_min_f16 v44, 0x7c00, v125 op_sel_hi:[0,1]
	v_pk_min_f16 v35, 0x7c00, v155 op_sel_hi:[0,1]
	;; [unrolled: 1-line block ×4, first 2 shown]
	v_pk_min_f16 v61, v34, v156
	v_pk_add_f16 v34, v7, v23
	v_pk_min_f16 v22, 0x7c00, v22 op_sel_hi:[0,1]
	v_pk_min_f16 v59, v30, v33
	v_pk_add_f16 v30, v1, v23
	v_pk_add_f16 v23, v3, v23
	v_pk_min_f16 v20, 0x7c00, v20 op_sel_hi:[0,1]
	v_pk_min_f16 v26, 0x7c00, v26 op_sel_hi:[0,1]
	v_pk_min_f16 v55, v18, v19
	v_pk_min_f16 v18, 0x7c00, v28 op_sel_hi:[0,1]
	v_pk_min_f16 v4, 0x7c00, v4 op_sel_hi:[0,1]
	;; [unrolled: 1-line block ×5, first 2 shown]
	v_pk_add_f16 v5, v5, v25
	v_pk_add_f16 v7, v7, v25
	;; [unrolled: 1-line block ×4, first 2 shown]
	v_pk_min_f16 v93, v47, v93
	v_pk_min_f16 v88, v46, v116
	;; [unrolled: 1-line block ×15, first 2 shown]
	ds_store_b16 v42, v12 offset:2048
	ds_store_b16 v42, v13 offset:2560
	;; [unrolled: 1-line block ×5, first 2 shown]
	s_waitcnt lgkmcnt(0)
	s_barrier
	buffer_gl0_inv
	s_cbranch_scc1 .LBB209_42
; %bb.25:
	v_mad_i64_i32 v[0:1], null, s22, v11, 0
	v_lshl_or_b32 v2, s14, 8, v9
	s_lshl_b32 s14, s21, 8
	v_add_nc_u32_e32 v3, 12, v8
	v_add_nc_u32_e32 v8, 8, v8
	;; [unrolled: 1-line block ×3, first 2 shown]
	v_subrev_nc_u32_e32 v2, s14, v2
	v_lshlrev_b64 v[0:1], 1, v[0:1]
	v_add_nc_u32_e32 v44, 0x1000, v41
	v_mad_i64_i32 v[4:5], null, v8, s4, 0
	v_add_nc_u32_e32 v45, 0x800, v42
	v_add_nc_u32_e32 v46, 0x1200, v16
	v_add_co_u32 v6, vcc_lo, v0, v10
	v_add_co_ci_u32_e32 v7, vcc_lo, 0, v1, vcc_lo
	v_mad_i64_i32 v[0:1], null, v3, s4, 0
	v_ashrrev_i32_e32 v3, 31, v2
	s_delay_alu instid0(VALU_DEP_4) | instskip(NEXT) | instid1(VALU_DEP_4)
	v_add_co_u32 v6, vcc_lo, v6, s16
	v_add_co_ci_u32_e32 v7, vcc_lo, s17, v7, vcc_lo
	s_delay_alu instid0(VALU_DEP_3) | instskip(NEXT) | instid1(VALU_DEP_3)
	v_lshlrev_b64 v[2:3], 1, v[2:3]
	v_add_co_u32 v32, vcc_lo, v6, 16
	s_delay_alu instid0(VALU_DEP_3) | instskip(SKIP_1) | instid1(VALU_DEP_4)
	v_add_co_ci_u32_e32 v33, vcc_lo, 0, v7, vcc_lo
	v_lshlrev_b64 v[34:35], 1, v[0:1]
	v_add_co_u32 v108, vcc_lo, s12, v2
	v_lshlrev_b64 v[36:37], 1, v[4:5]
	v_lshl_add_u32 v47, v38, 3, 0x800
	v_lshl_add_u32 v86, v39, 3, 0x1200
	v_add_co_ci_u32_e32 v109, vcc_lo, s13, v3, vcc_lo
	s_add_i32 s10, s10, -8
	s_lshl_b64 s[12:13], s[4:5], 4
	s_mov_b32 s5, 0
	s_and_b32 s4, exec_lo, s20
	s_branch .LBB209_28
.LBB209_26:                             ;   in Loop: Header=BB209_28 Depth=1
	flat_load_u16 v0, v[32:33] offset:8
	s_waitcnt vmcnt(0) lgkmcnt(0)
	v_mul_f16_e32 v0, s11, v0
.LBB209_27:                             ;   in Loop: Header=BB209_28 Depth=1
	ds_load_2addr_b64 v[119:122], v40 offset1:32
	ds_load_2addr_b64 v[87:90], v44 offset1:8
	ds_load_2addr_b64 v[123:126], v40 offset0:64 offset1:96
	ds_load_2addr_b64 v[127:130], v40 offset0:128 offset1:160
	;; [unrolled: 1-line block ×6, first 2 shown]
	v_pk_max_f16 v11, v83, v83
	v_pk_max_f16 v15, v81, v81
	;; [unrolled: 1-line block ×13, first 2 shown]
	s_waitcnt lgkmcnt(6)
	v_pk_add_f16 v81, v119, v87
	v_pk_add_f16 v82, v121, v87
	s_waitcnt lgkmcnt(5)
	v_pk_add_f16 v83, v123, v87
	v_pk_add_f16 v84, v125, v87
	s_waitcnt lgkmcnt(4)
	v_pk_add_f16 v85, v127, v87
	v_pk_min_f16 v11, v11, v81
	v_pk_min_f16 v15, v15, v82
	;; [unrolled: 1-line block ×5, first 2 shown]
	v_pk_add_f16 v81, v119, v89
	v_pk_add_f16 v82, v121, v89
	;; [unrolled: 1-line block ×5, first 2 shown]
	v_pk_min_f16 v70, v70, v81
	v_pk_min_f16 v77, v77, v82
	;; [unrolled: 1-line block ×5, first 2 shown]
	v_pk_add_f16 v81, v129, v89
	s_waitcnt lgkmcnt(3)
	v_pk_add_f16 v82, v131, v89
	v_pk_add_f16 v83, v133, v89
	v_pk_max_f16 v71, v71, v71
	s_waitcnt lgkmcnt(2)
	v_pk_add_f16 v84, v119, v135
	v_pk_max_f16 v69, v69, v69
	v_pk_add_f16 v85, v121, v135
	v_pk_max_f16 v67, v67, v67
	v_pk_min_f16 v65, v65, v81
	v_pk_min_f16 v73, v73, v82
	v_pk_min_f16 v71, v71, v83
	v_pk_min_f16 v69, v69, v84
	v_pk_min_f16 v67, v67, v85
	v_pk_add_f16 v81, v123, v135
	v_pk_max_f16 v60, v60, v60
	v_pk_add_f16 v82, v125, v135
	v_pk_max_f16 v68, v68, v68
	v_pk_add_f16 v83, v127, v135
	v_pk_max_f16 v66, v66, v66
	v_pk_add_f16 v84, v129, v135
	v_pk_max_f16 v64, v64, v64
	v_pk_add_f16 v85, v131, v135
	v_pk_max_f16 v62, v62, v62
	v_pk_min_f16 v60, v60, v81
	v_pk_min_f16 v68, v68, v82
	v_pk_min_f16 v66, v66, v83
	v_pk_min_f16 v64, v64, v84
	v_pk_min_f16 v62, v62, v85
	v_pk_add_f16 v81, v133, v135
	v_pk_max_f16 v55, v55, v55
	v_pk_add_f16 v82, v119, v137
	v_pk_max_f16 v63, v63, v63
	v_pk_add_f16 v83, v121, v137
	v_pk_max_f16 v61, v61, v61
	;; [unrolled: 15-line block ×3, first 2 shown]
	v_pk_add_f16 v84, v133, v137
	v_pk_max_f16 v54, v54, v54
	s_waitcnt lgkmcnt(1)
	v_pk_add_f16 v85, v119, v139
	v_pk_max_f16 v52, v52, v52
	v_pk_min_f16 v50, v50, v81
	v_pk_min_f16 v58, v58, v82
	v_pk_min_f16 v56, v56, v83
	v_pk_min_f16 v54, v54, v84
	v_pk_min_f16 v52, v52, v85
	v_pk_add_f16 v81, v121, v139
	v_pk_max_f16 v29, v29, v29
	v_pk_add_f16 v82, v123, v139
	v_pk_max_f16 v53, v53, v53
	v_pk_add_f16 v83, v125, v139
	v_pk_max_f16 v51, v51, v51
	v_pk_add_f16 v84, v127, v139
	v_pk_max_f16 v49, v49, v49
	v_pk_add_f16 v85, v129, v139
	v_pk_max_f16 v31, v31, v31
	v_pk_min_f16 v29, v29, v81
	v_pk_min_f16 v53, v53, v82
	v_pk_min_f16 v51, v51, v83
	v_pk_min_f16 v49, v49, v84
	v_pk_min_f16 v31, v31, v85
	v_pk_add_f16 v81, v131, v139
	v_pk_max_f16 v24, v24, v24
	v_pk_add_f16 v82, v133, v139
	v_pk_max_f16 v48, v48, v48
	v_pk_add_f16 v83, v119, v141
	v_pk_max_f16 v30, v30, v30
	v_pk_add_f16 v84, v121, v141
	v_pk_max_f16 v28, v28, v28
	;; [unrolled: 15-line block ×3, first 2 shown]
	v_pk_add_f16 v85, v133, v141
	v_pk_max_f16 v21, v21, v21
	v_pk_min_f16 v18, v18, v81
	v_pk_min_f16 v27, v27, v82
	;; [unrolled: 1-line block ×5, first 2 shown]
	s_waitcnt lgkmcnt(0)
	v_pk_add_f16 v81, v119, v143
	v_pk_max_f16 v10, v10, v10
	v_pk_add_f16 v82, v121, v143
	v_pk_max_f16 v22, v22, v22
	;; [unrolled: 2-line block ×5, first 2 shown]
	v_pk_min_f16 v10, v10, v81
	v_pk_min_f16 v22, v22, v82
	;; [unrolled: 1-line block ×5, first 2 shown]
	v_pk_add_f16 v81, v129, v143
	v_pk_max_f16 v6, v6, v6
	v_pk_add_f16 v82, v131, v143
	v_pk_max_f16 v13, v13, v13
	;; [unrolled: 2-line block ×5, first 2 shown]
	v_pk_min_f16 v6, v6, v81
	v_pk_min_f16 v13, v13, v82
	;; [unrolled: 1-line block ×5, first 2 shown]
	v_pk_add_f16 v81, v123, v145
	v_pk_max_f16 v2, v2, v2
	v_pk_add_f16 v82, v125, v145
	v_pk_max_f16 v7, v7, v7
	;; [unrolled: 2-line block ×5, first 2 shown]
	v_pk_max_f16 v80, v80, v80
	v_pk_add_f16 v91, v129, v87
	v_pk_add_f16 v92, v131, v87
	;; [unrolled: 1-line block ×3, first 2 shown]
	v_pk_max_f16 v76, v76, v76
	v_pk_min_f16 v2, v2, v81
	v_pk_min_f16 v7, v7, v82
	;; [unrolled: 1-line block ×5, first 2 shown]
	v_pk_add_f16 v81, v133, v145
	v_pk_max_f16 v1, v1, v1
	v_pk_add_f16 v82, v120, v88
	v_pk_add_f16 v83, v122, v88
	;; [unrolled: 1-line block ×4, first 2 shown]
	v_pk_min_f16 v79, v79, v91
	v_pk_min_f16 v80, v80, v92
	v_pk_min_f16 v76, v76, v87
	v_pk_min_f16 v1, v1, v81
	v_pk_min_f16 v114, v11, v82
	v_pk_min_f16 v113, v15, v83
	v_pk_min_f16 v112, v17, v84
	v_pk_min_f16 v111, v19, v85
	v_pk_add_f16 v11, v128, v88
	v_pk_add_f16 v15, v130, v88
	v_pk_add_f16 v17, v132, v88
	v_pk_add_f16 v19, v134, v88
	v_pk_add_f16 v81, v120, v90
	v_pk_min_f16 v110, v78, v11
	v_pk_min_f16 v107, v79, v15
	v_pk_min_f16 v106, v80, v17
	v_pk_min_f16 v105, v76, v19
	v_pk_min_f16 v104, v70, v81
	v_pk_add_f16 v11, v122, v90
	v_pk_add_f16 v15, v124, v90
	v_pk_add_f16 v17, v126, v90
	v_pk_add_f16 v19, v128, v90
	v_pk_add_f16 v70, v130, v90
	v_pk_min_f16 v103, v77, v11
	v_pk_min_f16 v102, v75, v15
	v_pk_min_f16 v101, v74, v17
	v_pk_min_f16 v100, v72, v19
	v_pk_min_f16 v99, v65, v70
	;; [unrolled: 10-line block ×11, first 2 shown]
	v_pk_add_f16 v2, v126, v146
	v_pk_add_f16 v6, v128, v146
	;; [unrolled: 1-line block ×5, first 2 shown]
	v_add_co_u32 v32, vcc_lo, v32, 16
	v_add_co_ci_u32_e32 v33, vcc_lo, 0, v33, vcc_lo
	v_add_co_u32 v108, vcc_lo, v108, s12
	v_pk_min_f16 v52, v7, v2
	v_pk_min_f16 v51, v5, v6
	;; [unrolled: 1-line block ×5, first 2 shown]
	v_add_co_ci_u32_e32 v109, vcc_lo, s13, v109, vcc_lo
	s_add_i32 s5, s5, 8
	ds_store_b16 v45, v115
	ds_store_b16 v45, v116 offset:512
	ds_store_b16 v45, v117 offset:1024
	;; [unrolled: 1-line block ×3, first 2 shown]
	ds_store_b16 v46, v0
	s_cmp_ge_i32 s5, s10
	s_waitcnt lgkmcnt(0)
	s_barrier
	buffer_gl0_inv
	s_cbranch_scc1 .LBB209_42
.LBB209_28:                             ; =>This Inner Loop Header: Depth=1
	s_and_b32 vcc_lo, exec_lo, s3
	s_cbranch_vccnz .LBB209_32
; %bb.29:                               ;   in Loop: Header=BB209_28 Depth=1
	v_add_co_u32 v0, vcc_lo, v108, v36
	v_add_co_ci_u32_e32 v1, vcc_lo, v109, v37, vcc_lo
	s_clause 0x1
	flat_load_u16 v2, v[0:1]
	flat_load_u16 v0, v[0:1] offset:128
	s_waitcnt vmcnt(1) lgkmcnt(1)
	v_mul_f16_e32 v115, s11, v2
	s_waitcnt vmcnt(0) lgkmcnt(0)
	v_mul_f16_e32 v116, s11, v0
	s_and_b32 vcc_lo, exec_lo, s3
	s_cbranch_vccnz .LBB209_33
.LBB209_30:                             ;   in Loop: Header=BB209_28 Depth=1
	v_add_co_u32 v0, vcc_lo, v108, v36
	v_add_co_ci_u32_e32 v1, vcc_lo, v109, v37, vcc_lo
	s_clause 0x1
	flat_load_u16 v2, v[0:1] offset:256
	flat_load_u16 v0, v[0:1] offset:384
	s_waitcnt vmcnt(1) lgkmcnt(1)
	v_mul_f16_e32 v117, s11, v2
	s_waitcnt vmcnt(0) lgkmcnt(0)
	v_mul_f16_e32 v118, s11, v0
	s_and_b32 vcc_lo, exec_lo, s3
	s_cbranch_vccnz .LBB209_34
.LBB209_31:                             ;   in Loop: Header=BB209_28 Depth=1
	flat_load_u16 v0, v[32:33]
	s_waitcnt vmcnt(0) lgkmcnt(0)
	v_mul_f16_e32 v119, s11, v0
	s_branch .LBB209_35
.LBB209_32:                             ;   in Loop: Header=BB209_28 Depth=1
	v_dual_mov_b32 v115, 0 :: v_dual_mov_b32 v116, 0
	s_and_b32 vcc_lo, exec_lo, s3
	s_cbranch_vccz .LBB209_30
.LBB209_33:                             ;   in Loop: Header=BB209_28 Depth=1
	v_dual_mov_b32 v117, 0 :: v_dual_mov_b32 v118, 0
	s_and_b32 vcc_lo, exec_lo, s3
	s_cbranch_vccz .LBB209_31
.LBB209_34:                             ;   in Loop: Header=BB209_28 Depth=1
	v_mov_b32_e32 v119, 0
.LBB209_35:                             ;   in Loop: Header=BB209_28 Depth=1
	ds_load_2addr_b64 v[12:15], v47 offset1:32
	ds_load_2addr_b64 v[8:11], v47 offset0:64 offset1:96
	ds_load_2addr_b64 v[4:7], v47 offset0:128 offset1:160
	;; [unrolled: 1-line block ×3, first 2 shown]
	ds_load_2addr_b64 v[28:31], v86 offset1:8
	ds_load_2addr_b64 v[24:27], v86 offset0:16 offset1:24
	ds_load_2addr_b64 v[20:23], v86 offset0:32 offset1:40
	ds_load_2addr_b64 v[16:19], v86 offset0:48 offset1:56
	s_mov_b32 vcc_lo, s4
	ds_store_b16 v42, v115
	ds_store_b16 v42, v116 offset:512
	ds_store_b16 v42, v117 offset:1024
	ds_store_b16 v42, v118 offset:1536
	ds_store_b16 v43, v119
	s_waitcnt lgkmcnt(0)
	s_barrier
	buffer_gl0_inv
	s_cbranch_vccz .LBB209_38
; %bb.36:                               ;   in Loop: Header=BB209_28 Depth=1
	v_add_co_u32 v115, vcc_lo, v108, v34
	v_add_co_ci_u32_e32 v116, vcc_lo, v109, v35, vcc_lo
	s_clause 0x1
	flat_load_u16 v117, v[115:116]
	flat_load_u16 v116, v[115:116] offset:128
	s_waitcnt vmcnt(1) lgkmcnt(1)
	v_mul_f16_e32 v115, s11, v117
	s_waitcnt vmcnt(0) lgkmcnt(0)
	v_mul_f16_e32 v116, s11, v116
	s_and_b32 vcc_lo, exec_lo, s3
	s_cbranch_vccnz .LBB209_39
.LBB209_37:                             ;   in Loop: Header=BB209_28 Depth=1
	v_add_co_u32 v117, vcc_lo, v108, v34
	v_add_co_ci_u32_e32 v118, vcc_lo, v109, v35, vcc_lo
	s_clause 0x1
	flat_load_u16 v119, v[117:118] offset:256
	flat_load_u16 v118, v[117:118] offset:384
	s_waitcnt vmcnt(1) lgkmcnt(1)
	v_mul_f16_e32 v117, s11, v119
	s_waitcnt vmcnt(0) lgkmcnt(0)
	v_mul_f16_e32 v118, s11, v118
	s_branch .LBB209_40
.LBB209_38:                             ;   in Loop: Header=BB209_28 Depth=1
	v_dual_mov_b32 v115, 0 :: v_dual_mov_b32 v116, 0
	s_and_b32 vcc_lo, exec_lo, s3
	s_cbranch_vccz .LBB209_37
.LBB209_39:                             ;   in Loop: Header=BB209_28 Depth=1
	v_dual_mov_b32 v117, 0 :: v_dual_mov_b32 v118, 0
.LBB209_40:                             ;   in Loop: Header=BB209_28 Depth=1
	v_pk_add_f16 v119, v12, v28
	v_pk_max_f16 v114, v114, v114
	v_pk_add_f16 v120, v14, v28
	v_pk_max_f16 v113, v113, v113
	v_pk_add_f16 v121, v8, v28
	v_pk_max_f16 v112, v112, v112
	v_pk_min_f16 v114, v114, v119
	v_pk_add_f16 v119, v10, v28
	v_pk_min_f16 v113, v113, v120
	v_pk_max_f16 v111, v111, v111
	v_pk_min_f16 v112, v112, v121
	v_pk_add_f16 v120, v4, v28
	v_pk_max_f16 v110, v110, v110
	v_pk_add_f16 v121, v6, v28
	v_pk_add_f16 v122, v0, v28
	;; [unrolled: 1-line block ×3, first 2 shown]
	v_pk_max_f16 v105, v105, v105
	v_pk_max_f16 v107, v107, v107
	;; [unrolled: 1-line block ×3, first 2 shown]
	v_pk_min_f16 v111, v111, v119
	v_pk_min_f16 v110, v110, v120
	;; [unrolled: 1-line block ×3, first 2 shown]
	v_pk_add_f16 v105, v12, v30
	v_pk_max_f16 v104, v104, v104
	v_pk_add_f16 v119, v14, v30
	v_pk_max_f16 v103, v103, v103
	;; [unrolled: 2-line block ×3, first 2 shown]
	v_pk_min_f16 v107, v107, v121
	v_pk_min_f16 v106, v106, v122
	v_pk_add_f16 v121, v10, v30
	v_pk_max_f16 v101, v101, v101
	v_pk_add_f16 v122, v4, v30
	v_pk_min_f16 v104, v104, v105
	v_pk_min_f16 v103, v103, v119
	;; [unrolled: 1-line block ×3, first 2 shown]
	v_pk_add_f16 v105, v6, v30
	v_pk_max_f16 v99, v99, v99
	v_pk_add_f16 v119, v0, v30
	v_pk_add_f16 v30, v2, v30
	v_pk_max_f16 v97, v97, v97
	v_pk_add_f16 v120, v12, v24
	v_pk_max_f16 v96, v96, v96
	v_pk_min_f16 v101, v101, v121
	v_pk_max_f16 v98, v98, v98
	v_pk_add_f16 v121, v14, v24
	v_pk_max_f16 v95, v95, v95
	v_pk_min_f16 v99, v99, v105
	v_pk_min_f16 v30, v97, v30
	v_pk_min_f16 v96, v96, v120
	v_pk_add_f16 v97, v8, v24
	v_pk_max_f16 v94, v94, v94
	v_pk_add_f16 v105, v10, v24
	v_pk_max_f16 v93, v93, v93
	;; [unrolled: 2-line block ×3, first 2 shown]
	v_pk_min_f16 v98, v98, v119
	v_pk_min_f16 v95, v95, v121
	v_pk_add_f16 v119, v4, v24
	v_pk_max_f16 v92, v92, v92
	v_pk_add_f16 v121, v0, v24
	v_pk_min_f16 v94, v94, v97
	v_pk_min_f16 v93, v93, v105
	;; [unrolled: 1-line block ×3, first 2 shown]
	v_pk_add_f16 v24, v2, v24
	v_pk_max_f16 v89, v89, v89
	v_pk_add_f16 v97, v12, v26
	v_pk_max_f16 v88, v88, v88
	;; [unrolled: 2-line block ×4, first 2 shown]
	v_pk_min_f16 v92, v92, v119
	v_pk_add_f16 v119, v8, v26
	v_pk_max_f16 v85, v85, v85
	v_pk_min_f16 v24, v89, v24
	v_pk_min_f16 v88, v88, v97
	;; [unrolled: 1-line block ×4, first 2 shown]
	v_pk_add_f16 v84, v4, v26
	v_pk_max_f16 v83, v83, v83
	v_pk_add_f16 v97, v6, v26
	v_pk_max_f16 v82, v82, v82
	;; [unrolled: 2-line block ×4, first 2 shown]
	v_pk_max_f16 v100, v100, v100
	v_pk_min_f16 v85, v85, v119
	v_pk_add_f16 v119, v12, v20
	v_pk_max_f16 v79, v79, v79
	v_pk_min_f16 v120, v83, v84
	v_pk_min_f16 v97, v82, v97
	;; [unrolled: 1-line block ×4, first 2 shown]
	v_pk_add_f16 v80, v8, v20
	v_pk_max_f16 v77, v77, v77
	v_pk_add_f16 v81, v10, v20
	v_pk_max_f16 v76, v76, v76
	;; [unrolled: 2-line block ×4, first 2 shown]
	v_pk_min_f16 v100, v100, v122
	v_pk_min_f16 v119, v79, v119
	v_pk_add_f16 v79, v14, v20
	v_pk_min_f16 v122, v77, v80
	v_pk_min_f16 v123, v76, v81
	;; [unrolled: 1-line block ×4, first 2 shown]
	v_pk_add_f16 v74, v0, v20
	v_pk_add_f16 v20, v2, v20
	v_pk_max_f16 v72, v72, v72
	v_pk_add_f16 v75, v12, v22
	v_pk_max_f16 v71, v71, v71
	;; [unrolled: 2-line block ×4, first 2 shown]
	v_pk_min_f16 v20, v72, v20
	v_pk_min_f16 v127, v71, v75
	;; [unrolled: 1-line block ×3, first 2 shown]
	v_pk_max_f16 v68, v68, v68
	v_pk_min_f16 v129, v69, v77
	v_pk_add_f16 v69, v10, v22
	v_pk_add_f16 v70, v4, v22
	;; [unrolled: 1-line block ×5, first 2 shown]
	v_pk_max_f16 v64, v64, v64
	v_pk_max_f16 v67, v67, v67
	;; [unrolled: 1-line block ×4, first 2 shown]
	v_pk_min_f16 v130, v68, v69
	v_pk_min_f16 v22, v64, v22
	v_pk_add_f16 v64, v12, v16
	v_pk_add_f16 v68, v4, v16
	v_pk_max_f16 v59, v59, v59
	v_pk_add_f16 v12, v12, v18
	v_pk_max_f16 v55, v55, v55
	v_pk_min_f16 v131, v67, v70
	v_pk_min_f16 v132, v66, v71
	v_pk_min_f16 v133, v65, v72
	v_pk_add_f16 v65, v14, v16
	v_pk_add_f16 v66, v8, v16
	;; [unrolled: 1-line block ×3, first 2 shown]
	v_pk_max_f16 v60, v60, v60
	v_pk_min_f16 v138, v59, v68
	v_pk_add_f16 v59, v6, v16
	v_pk_add_f16 v14, v14, v18
	v_pk_max_f16 v54, v54, v54
	v_pk_min_f16 v142, v55, v12
	v_pk_add_f16 v8, v8, v18
	v_pk_max_f16 v12, v53, v53
	v_pk_add_f16 v6, v6, v18
	v_pk_max_f16 v50, v50, v50
	v_pk_min_f16 v137, v60, v67
	v_pk_add_f16 v60, v0, v16
	v_pk_add_f16 v16, v2, v16
	v_pk_min_f16 v143, v54, v14
	v_pk_add_f16 v10, v10, v18
	v_pk_max_f16 v14, v52, v52
	v_pk_min_f16 v144, v12, v8
	v_pk_min_f16 v146, v50, v6
	v_pk_add_f16 v2, v2, v18
	v_pk_max_f16 v6, v48, v48
	v_pk_add_f16 v8, v13, v29
	v_pk_max_f16 v90, v90, v90
	v_pk_max_f16 v78, v78, v78
	v_pk_min_f16 v145, v14, v10
	v_pk_add_f16 v10, v15, v29
	v_pk_add_f16 v12, v9, v29
	v_pk_min_f16 v147, v6, v2
	v_pk_min_f16 v83, v114, v8
	v_pk_add_f16 v2, v5, v29
	v_pk_add_f16 v8, v1, v29
	v_pk_min_f16 v90, v90, v121
	v_pk_min_f16 v121, v78, v79
	v_pk_max_f16 v73, v73, v73
	v_pk_min_f16 v81, v113, v10
	v_pk_min_f16 v79, v112, v12
	v_pk_add_f16 v6, v7, v29
	v_pk_add_f16 v10, v3, v29
	;; [unrolled: 1-line block ×3, first 2 shown]
	v_pk_min_f16 v84, v110, v2
	v_pk_min_f16 v80, v106, v8
	v_pk_add_f16 v2, v15, v31
	v_pk_add_f16 v8, v11, v31
	v_pk_min_f16 v126, v73, v74
	v_pk_max_f16 v62, v62, v62
	v_pk_min_f16 v82, v107, v6
	v_pk_min_f16 v76, v28, v10
	;; [unrolled: 1-line block ×3, first 2 shown]
	v_pk_add_f16 v6, v9, v31
	v_pk_add_f16 v10, v5, v31
	;; [unrolled: 1-line block ×3, first 2 shown]
	v_pk_min_f16 v77, v103, v2
	v_pk_min_f16 v74, v101, v8
	v_pk_add_f16 v2, v1, v31
	v_pk_add_f16 v8, v13, v25
	v_pk_max_f16 v63, v63, v63
	v_pk_min_f16 v135, v62, v65
	v_pk_max_f16 v57, v57, v57
	v_pk_min_f16 v75, v102, v6
	v_pk_min_f16 v72, v100, v10
	;; [unrolled: 1-line block ×3, first 2 shown]
	v_pk_add_f16 v6, v3, v31
	v_pk_add_f16 v10, v15, v25
	;; [unrolled: 1-line block ×3, first 2 shown]
	v_pk_min_f16 v73, v98, v2
	v_pk_min_f16 v69, v96, v8
	v_pk_add_f16 v2, v11, v25
	v_pk_add_f16 v8, v7, v25
	v_pk_max_f16 v61, v61, v61
	v_pk_min_f16 v134, v63, v64
	v_pk_max_f16 v58, v58, v58
	v_pk_min_f16 v140, v57, v60
	v_pk_min_f16 v71, v30, v6
	;; [unrolled: 1-line block ×4, first 2 shown]
	v_pk_add_f16 v6, v5, v25
	v_pk_add_f16 v10, v1, v25
	v_pk_add_f16 v12, v3, v25
	v_pk_min_f16 v68, v93, v2
	v_pk_min_f16 v64, v91, v8
	v_pk_add_f16 v2, v13, v27
	v_pk_add_f16 v8, v9, v27
	v_pk_min_f16 v136, v61, v66
	v_pk_min_f16 v139, v58, v59
	v_pk_min_f16 v66, v92, v6
	v_pk_min_f16 v62, v90, v10
	v_pk_min_f16 v55, v24, v12
	v_pk_add_f16 v6, v15, v27
	v_pk_add_f16 v10, v11, v27
	;; [unrolled: 1-line block ×3, first 2 shown]
	v_pk_min_f16 v63, v88, v2
	v_pk_min_f16 v59, v85, v8
	v_pk_add_f16 v2, v7, v27
	v_pk_add_f16 v8, v3, v27
	v_pk_max_f16 v56, v56, v56
	v_pk_add_f16 v0, v0, v18
	v_pk_max_f16 v49, v49, v49
	v_pk_min_f16 v61, v87, v6
	v_pk_min_f16 v57, v89, v10
	;; [unrolled: 1-line block ×3, first 2 shown]
	v_pk_add_f16 v6, v1, v27
	v_pk_add_f16 v10, v13, v21
	;; [unrolled: 1-line block ×3, first 2 shown]
	v_pk_min_f16 v58, v97, v2
	v_pk_min_f16 v54, v26, v8
	v_pk_add_f16 v2, v9, v21
	v_pk_add_f16 v8, v5, v21
	v_pk_min_f16 v141, v56, v16
	v_pk_min_f16 v0, v49, v0
	v_pk_add_f16 v14, v11, v29
	v_pk_min_f16 v56, v105, v6
	v_pk_min_f16 v52, v119, v10
	;; [unrolled: 1-line block ×3, first 2 shown]
	v_pk_add_f16 v6, v11, v21
	v_pk_add_f16 v10, v7, v21
	;; [unrolled: 1-line block ×3, first 2 shown]
	v_pk_min_f16 v53, v122, v2
	v_pk_min_f16 v49, v124, v8
	v_pk_add_f16 v2, v3, v21
	v_pk_add_f16 v8, v15, v23
	v_pk_max_f16 v16, v51, v51
	v_pk_min_f16 v51, v123, v6
	v_pk_min_f16 v31, v125, v10
	;; [unrolled: 1-line block ×3, first 2 shown]
	v_pk_add_f16 v6, v13, v23
	v_pk_add_f16 v10, v9, v23
	;; [unrolled: 1-line block ×3, first 2 shown]
	v_pk_min_f16 v48, v20, v2
	v_pk_min_f16 v28, v128, v8
	v_pk_add_f16 v2, v5, v23
	v_pk_add_f16 v8, v1, v23
	v_pk_add_f16 v4, v4, v18
	v_pk_min_f16 v30, v127, v6
	v_pk_min_f16 v26, v129, v10
	;; [unrolled: 1-line block ×3, first 2 shown]
	v_pk_add_f16 v6, v7, v23
	v_pk_add_f16 v10, v3, v23
	v_pk_add_f16 v12, v13, v17
	v_pk_min_f16 v27, v131, v2
	v_pk_min_f16 v23, v133, v8
	v_pk_add_f16 v2, v15, v17
	v_pk_add_f16 v8, v11, v17
	v_pk_min_f16 v4, v16, v4
	v_pk_min_f16 v25, v132, v6
	;; [unrolled: 1-line block ×4, first 2 shown]
	v_pk_add_f16 v6, v9, v17
	v_pk_add_f16 v12, v5, v17
	;; [unrolled: 1-line block ×3, first 2 shown]
	v_pk_min_f16 v22, v135, v2
	v_pk_min_f16 v16, v137, v8
	v_pk_add_f16 v2, v1, v17
	v_pk_add_f16 v8, v3, v17
	v_pk_add_f16 v17, v13, v19
	v_pk_add_f16 v15, v15, v19
	v_pk_min_f16 v78, v111, v14
	v_pk_min_f16 v20, v136, v6
	;; [unrolled: 1-line block ×4, first 2 shown]
	v_pk_add_f16 v85, v9, v19
	v_pk_min_f16 v12, v141, v8
	v_pk_min_f16 v9, v142, v17
	;; [unrolled: 1-line block ×3, first 2 shown]
	v_pk_add_f16 v11, v11, v19
	v_pk_add_f16 v5, v5, v19
	;; [unrolled: 1-line block ×5, first 2 shown]
	v_pk_min_f16 v13, v140, v2
	v_pk_min_f16 v2, v144, v85
	;; [unrolled: 1-line block ×7, first 2 shown]
	s_and_b32 vcc_lo, exec_lo, s3
	s_cbranch_vccz .LBB209_26
; %bb.41:                               ;   in Loop: Header=BB209_28 Depth=1
	v_mov_b32_e32 v0, 0
	s_branch .LBB209_27
.LBB209_42:
	s_load_b32 s4, s[0:1], 0x50
	v_add_nc_u32_e32 v86, s19, v39
	ds_load_b64 v[28:29], v40 offset:2048
	ds_load_b64 v[46:47], v41 offset:4608
	v_add_nc_u32_e32 v44, s18, v38
	v_cmp_neq_f16_e64 s10, s15, 0
	v_mov_b32_e32 v34, 0
	v_mov_b32_e32 v32, 0
	s_delay_alu instid0(VALU_DEP_4) | instskip(NEXT) | instid1(VALU_DEP_4)
	v_ashrrev_i32_e32 v45, 31, v44
	s_and_b32 vcc_lo, exec_lo, s10
	s_delay_alu instid0(VALU_DEP_1) | instskip(SKIP_2) | instid1(VALU_DEP_1)
	v_lshlrev_b64 v[30:31], 1, v[44:45]
	s_waitcnt lgkmcnt(0)
	v_mad_i64_i32 v[0:1], null, v86, s4, 0
	v_lshlrev_b64 v[0:1], 1, v[0:1]
	s_delay_alu instid0(VALU_DEP_1) | instskip(NEXT) | instid1(VALU_DEP_1)
	v_add_co_u32 v108, s3, s8, v0
	v_add_co_ci_u32_e64 v109, s3, s9, v1, s3
	s_cbranch_vccz .LBB209_44
; %bb.43:
	s_delay_alu instid0(VALU_DEP_2) | instskip(NEXT) | instid1(VALU_DEP_2)
	v_add_co_u32 v0, vcc_lo, v108, v30
	v_add_co_ci_u32_e32 v1, vcc_lo, v109, v31, vcc_lo
	flat_load_u16 v0, v[0:1]
	s_waitcnt vmcnt(0) lgkmcnt(0)
	v_mul_f16_e32 v32, s15, v0
.LBB209_44:
	s_clause 0x1
	s_load_b32 s3, s[0:1], 0x68
	s_load_b64 s[12:13], s[0:1], 0x70
	v_add_nc_u32_e32 v0, 0x800, v40
	v_pk_add_f16 v1, v28, v46
	v_pk_max_f16 v2, v114, v114
	v_add_nc_u32_e32 v12, 0x1000, v41
	ds_load_b64 v[24:25], v40 offset:3840
	ds_load_b64 v[26:27], v41 offset:5056
	ds_load_2addr_b64 v[8:11], v0 offset0:32 offset1:64
	ds_load_2addr_b64 v[4:7], v0 offset0:96 offset1:128
	v_pk_min_f16 v36, v2, v1
	ds_load_2addr_b64 v[0:3], v0 offset0:160 offset1:192
	ds_load_2addr_b64 v[20:23], v12 offset0:72 offset1:80
	;; [unrolled: 1-line block ×4, first 2 shown]
	v_pk_add_f16 v33, v29, v47
	v_add_nc_u32_e32 v35, 32, v44
	v_cndmask_b32_e64 v39, 0, 1, s10
	s_delay_alu instid0(VALU_DEP_3) | instskip(NEXT) | instid1(VALU_DEP_3)
	v_pk_min_f16 v33, v36, v33
	v_ashrrev_i32_e32 v36, 31, v35
	s_delay_alu instid0(VALU_DEP_3)
	v_cmp_ne_u32_e64 s0, 1, v39
	s_waitcnt lgkmcnt(0)
	v_mad_i64_i32 v[37:38], null, v86, s3, 0
	s_lshl_b64 s[12:13], s[12:13], 1
	v_lshrrev_b32_e32 v39, 16, v33
	s_add_u32 s1, s6, s12
	s_addc_u32 s5, s7, s13
	s_delay_alu instid0(VALU_DEP_1) | instskip(NEXT) | instid1(VALU_DEP_3)
	v_min3_f16 v39, v32, v33, v39
	v_lshlrev_b64 v[37:38], 1, v[37:38]
	v_lshlrev_b64 v[32:33], 1, v[35:36]
	s_delay_alu instid0(VALU_DEP_2) | instskip(NEXT) | instid1(VALU_DEP_3)
	v_add_co_u32 v114, vcc_lo, s1, v37
	v_add_co_ci_u32_e32 v115, vcc_lo, s5, v38, vcc_lo
	s_delay_alu instid0(VALU_DEP_2) | instskip(NEXT) | instid1(VALU_DEP_2)
	v_add_co_u32 v37, vcc_lo, v114, v30
	v_add_co_ci_u32_e32 v38, vcc_lo, v115, v31, vcc_lo
	s_and_not1_b32 vcc_lo, exec_lo, s10
	global_store_b16 v[37:38], v39, off
	s_cbranch_vccnz .LBB209_46
; %bb.45:
	v_add_co_u32 v34, vcc_lo, v108, v32
	v_add_co_ci_u32_e32 v35, vcc_lo, v109, v33, vcc_lo
	flat_load_u16 v34, v[34:35]
	s_waitcnt vmcnt(0) lgkmcnt(0)
	v_mul_f16_e32 v34, s15, v34
.LBB209_46:
	v_pk_add_f16 v35, v8, v46
	v_pk_max_f16 v36, v113, v113
	v_pk_add_f16 v37, v9, v47
	v_add_co_u32 v38, vcc_lo, v114, v32
	v_add_co_ci_u32_e32 v39, vcc_lo, v115, v33, vcc_lo
	s_delay_alu instid0(VALU_DEP_4) | instskip(SKIP_2) | instid1(VALU_DEP_2)
	v_pk_min_f16 v36, v36, v35
	v_add_nc_u32_e32 v35, 64, v44
	s_and_b32 vcc_lo, exec_lo, s0
	v_pk_min_f16 v40, v36, v37
	s_delay_alu instid0(VALU_DEP_2) | instskip(SKIP_1) | instid1(VALU_DEP_3)
	v_ashrrev_i32_e32 v36, 31, v35
	v_mov_b32_e32 v37, 0
	v_lshrrev_b32_e32 v41, 16, v40
	s_delay_alu instid0(VALU_DEP_1) | instskip(NEXT) | instid1(VALU_DEP_4)
	v_min3_f16 v40, v34, v40, v41
	v_lshlrev_b64 v[34:35], 1, v[35:36]
	v_mov_b32_e32 v36, 0
	global_store_b16 v[38:39], v40, off
	s_cbranch_vccnz .LBB209_48
; %bb.47:
	v_add_co_u32 v38, vcc_lo, v108, v34
	v_add_co_ci_u32_e32 v39, vcc_lo, v109, v35, vcc_lo
	flat_load_u16 v36, v[38:39]
	s_waitcnt vmcnt(0) lgkmcnt(0)
	v_mul_f16_e32 v36, s15, v36
.LBB209_48:
	v_pk_add_f16 v38, v10, v46
	v_pk_max_f16 v39, v112, v112
	v_pk_add_f16 v40, v11, v47
	v_add_co_u32 v42, vcc_lo, v114, v34
	v_add_co_ci_u32_e32 v43, vcc_lo, v115, v35, vcc_lo
	s_delay_alu instid0(VALU_DEP_4) | instskip(SKIP_2) | instid1(VALU_DEP_2)
	v_pk_min_f16 v39, v39, v38
	v_add_nc_u32_e32 v38, 0x60, v44
	s_and_b32 vcc_lo, exec_lo, s0
	v_pk_min_f16 v40, v39, v40
	s_delay_alu instid0(VALU_DEP_2) | instskip(NEXT) | instid1(VALU_DEP_2)
	v_ashrrev_i32_e32 v39, 31, v38
	v_lshrrev_b32_e32 v41, 16, v40
	s_delay_alu instid0(VALU_DEP_1) | instskip(NEXT) | instid1(VALU_DEP_3)
	v_min3_f16 v36, v36, v40, v41
	v_lshlrev_b64 v[40:41], 1, v[38:39]
	global_store_b16 v[42:43], v36, off
	s_cbranch_vccnz .LBB209_50
; %bb.49:
	v_add_co_u32 v36, vcc_lo, v108, v40
	v_add_co_ci_u32_e32 v37, vcc_lo, v109, v41, vcc_lo
	flat_load_u16 v36, v[36:37]
	s_waitcnt vmcnt(0) lgkmcnt(0)
	v_mul_f16_e32 v37, s15, v36
.LBB209_50:
	v_pk_add_f16 v36, v4, v46
	v_pk_max_f16 v38, v111, v111
	v_pk_add_f16 v39, v5, v47
	v_add_co_u32 v111, vcc_lo, v114, v40
	v_add_co_ci_u32_e32 v112, vcc_lo, v115, v41, vcc_lo
	s_delay_alu instid0(VALU_DEP_4) | instskip(SKIP_2) | instid1(VALU_DEP_2)
	v_pk_min_f16 v36, v38, v36
	v_add_nc_u32_e32 v38, 0x80, v44
	s_and_b32 vcc_lo, exec_lo, s0
	v_pk_min_f16 v42, v36, v39
	v_mov_b32_e32 v36, 0
	s_delay_alu instid0(VALU_DEP_2) | instskip(NEXT) | instid1(VALU_DEP_1)
	v_lshrrev_b32_e32 v43, 16, v42
	v_min3_f16 v45, v37, v42, v43
	v_mov_b32_e32 v37, 0
	v_ashrrev_i32_e32 v39, 31, v38
	global_store_b16 v[111:112], v45, off
	v_lshlrev_b64 v[42:43], 1, v[38:39]
	s_cbranch_vccnz .LBB209_52
; %bb.51:
	s_delay_alu instid0(VALU_DEP_1) | instskip(NEXT) | instid1(VALU_DEP_2)
	v_add_co_u32 v37, vcc_lo, v108, v42
	v_add_co_ci_u32_e32 v38, vcc_lo, v109, v43, vcc_lo
	flat_load_u16 v37, v[37:38]
	s_waitcnt vmcnt(0) lgkmcnt(0)
	v_mul_f16_e32 v37, s15, v37
.LBB209_52:
	v_pk_add_f16 v38, v6, v46
	v_pk_max_f16 v39, v110, v110
	v_pk_add_f16 v45, v7, v47
	s_delay_alu instid0(VALU_DEP_4) | instskip(SKIP_1) | instid1(VALU_DEP_4)
	v_add_co_u32 v110, vcc_lo, v114, v42
	v_add_co_ci_u32_e32 v111, vcc_lo, v115, v43, vcc_lo
	v_pk_min_f16 v39, v39, v38
	v_add_nc_u32_e32 v38, 0xa0, v44
	s_and_b32 vcc_lo, exec_lo, s0
	s_delay_alu instid0(VALU_DEP_2) | instskip(NEXT) | instid1(VALU_DEP_2)
	v_pk_min_f16 v45, v39, v45
	v_ashrrev_i32_e32 v39, 31, v38
	s_delay_alu instid0(VALU_DEP_2) | instskip(NEXT) | instid1(VALU_DEP_2)
	v_lshrrev_b32_e32 v112, 16, v45
	v_lshlrev_b64 v[38:39], 1, v[38:39]
	s_delay_alu instid0(VALU_DEP_2)
	v_min3_f16 v37, v37, v45, v112
	global_store_b16 v[110:111], v37, off
	s_cbranch_vccnz .LBB209_54
; %bb.53:
	v_add_co_u32 v36, vcc_lo, v108, v38
	v_add_co_ci_u32_e32 v37, vcc_lo, v109, v39, vcc_lo
	flat_load_u16 v36, v[36:37]
	s_waitcnt vmcnt(0) lgkmcnt(0)
	v_mul_f16_e32 v36, s15, v36
.LBB209_54:
	v_pk_add_f16 v37, v0, v46
	v_pk_max_f16 v45, v107, v107
	v_pk_add_f16 v107, v1, v47
	v_add_nc_u32_e32 v110, 0xc0, v44
	v_add_co_u32 v112, vcc_lo, v114, v38
	s_delay_alu instid0(VALU_DEP_4) | instskip(SKIP_2) | instid1(VALU_DEP_2)
	v_pk_min_f16 v37, v45, v37
	v_add_co_ci_u32_e32 v113, vcc_lo, v115, v39, vcc_lo
	s_and_b32 vcc_lo, exec_lo, s0
	v_pk_min_f16 v37, v37, v107
	v_mov_b32_e32 v107, 0
	v_ashrrev_i32_e32 v111, 31, v110
	s_delay_alu instid0(VALU_DEP_3) | instskip(NEXT) | instid1(VALU_DEP_1)
	v_lshrrev_b32_e32 v45, 16, v37
	v_min3_f16 v116, v36, v37, v45
	s_delay_alu instid0(VALU_DEP_3)
	v_lshlrev_b64 v[36:37], 1, v[110:111]
	v_mov_b32_e32 v45, 0
	global_store_b16 v[112:113], v116, off
	s_cbranch_vccnz .LBB209_56
; %bb.55:
	v_add_co_u32 v110, vcc_lo, v108, v36
	v_add_co_ci_u32_e32 v111, vcc_lo, v109, v37, vcc_lo
	flat_load_u16 v45, v[110:111]
	s_waitcnt vmcnt(0) lgkmcnt(0)
	v_mul_f16_e32 v45, s15, v45
.LBB209_56:
	v_pk_add_f16 v110, v2, v46
	v_pk_max_f16 v106, v106, v106
	v_pk_add_f16 v111, v3, v47
	v_add_co_u32 v112, vcc_lo, v114, v36
	v_add_co_ci_u32_e32 v113, vcc_lo, v115, v37, vcc_lo
	s_delay_alu instid0(VALU_DEP_4) | instskip(SKIP_2) | instid1(VALU_DEP_2)
	v_pk_min_f16 v106, v106, v110
	v_add_nc_u32_e32 v110, 0xe0, v44
	s_and_b32 vcc_lo, exec_lo, s0
	v_pk_min_f16 v44, v106, v111
	s_delay_alu instid0(VALU_DEP_2) | instskip(NEXT) | instid1(VALU_DEP_2)
	v_ashrrev_i32_e32 v111, 31, v110
	v_lshrrev_b32_e32 v106, 16, v44
	s_delay_alu instid0(VALU_DEP_1) | instskip(NEXT) | instid1(VALU_DEP_3)
	v_min3_f16 v106, v45, v44, v106
	v_lshlrev_b64 v[44:45], 1, v[110:111]
	global_store_b16 v[112:113], v106, off
	s_cbranch_vccnz .LBB209_58
; %bb.57:
	v_add_co_u32 v106, vcc_lo, v108, v44
	v_add_co_ci_u32_e32 v107, vcc_lo, v109, v45, vcc_lo
	flat_load_u16 v106, v[106:107]
	s_waitcnt vmcnt(0) lgkmcnt(0)
	v_mul_f16_e32 v107, s15, v106
.LBB209_58:
	v_add_nc_u32_e32 v108, 8, v86
	v_pk_add_f16 v46, v24, v46
	v_pk_max_f16 v109, v105, v105
	v_pk_add_f16 v47, v25, v47
	s_delay_alu instid0(VALU_DEP_4) | instskip(NEXT) | instid1(VALU_DEP_3)
	v_mad_i64_i32 v[105:106], null, v108, s4, 0
	v_pk_min_f16 v46, v109, v46
	v_add_co_u32 v109, vcc_lo, v114, v44
	v_add_co_ci_u32_e32 v110, vcc_lo, v115, v45, vcc_lo
	s_delay_alu instid0(VALU_DEP_3) | instskip(SKIP_2) | instid1(VALU_DEP_3)
	v_pk_min_f16 v111, v46, v47
	v_lshlrev_b64 v[46:47], 1, v[105:106]
	v_mov_b32_e32 v106, 0
	v_lshrrev_b32_e32 v105, 16, v111
	s_delay_alu instid0(VALU_DEP_3) | instskip(NEXT) | instid1(VALU_DEP_4)
	v_add_co_u32 v46, vcc_lo, s8, v46
	v_add_co_ci_u32_e32 v47, vcc_lo, s9, v47, vcc_lo
	s_delay_alu instid0(VALU_DEP_3)
	v_min3_f16 v105, v107, v111, v105
	v_mov_b32_e32 v107, 0
	s_and_b32 vcc_lo, exec_lo, s0
	global_store_b16 v[109:110], v105, off
	s_cbranch_vccnz .LBB209_60
; %bb.59:
	v_add_co_u32 v109, vcc_lo, v46, v30
	v_add_co_ci_u32_e32 v110, vcc_lo, v47, v31, vcc_lo
	flat_load_u16 v105, v[109:110]
	s_waitcnt vmcnt(0) lgkmcnt(0)
	v_mul_f16_e32 v107, s15, v105
.LBB209_60:
	v_pk_add_f16 v109, v28, v20
	v_pk_max_f16 v110, v104, v104
	v_mad_i64_i32 v[104:105], null, v108, s3, 0
	v_pk_add_f16 v108, v29, v21
	s_delay_alu instid0(VALU_DEP_3) | instskip(NEXT) | instid1(VALU_DEP_3)
	v_pk_min_f16 v109, v110, v109
	v_lshlrev_b64 v[104:105], 1, v[104:105]
	s_delay_alu instid0(VALU_DEP_2) | instskip(NEXT) | instid1(VALU_DEP_2)
	v_pk_min_f16 v108, v109, v108
	v_add_co_u32 v104, vcc_lo, s1, v104
	s_delay_alu instid0(VALU_DEP_2) | instskip(NEXT) | instid1(VALU_DEP_4)
	v_lshrrev_b32_e32 v109, 16, v108
	v_add_co_ci_u32_e32 v105, vcc_lo, s5, v105, vcc_lo
	s_delay_alu instid0(VALU_DEP_2) | instskip(NEXT) | instid1(VALU_DEP_4)
	v_min3_f16 v109, v107, v108, v109
	v_add_co_u32 v107, vcc_lo, v104, v30
	s_delay_alu instid0(VALU_DEP_3)
	v_add_co_ci_u32_e32 v108, vcc_lo, v105, v31, vcc_lo
	s_and_b32 vcc_lo, exec_lo, s0
	global_store_b16 v[107:108], v109, off
	s_cbranch_vccnz .LBB209_62
; %bb.61:
	v_add_co_u32 v106, vcc_lo, v46, v32
	v_add_co_ci_u32_e32 v107, vcc_lo, v47, v33, vcc_lo
	flat_load_u16 v106, v[106:107]
	s_waitcnt vmcnt(0) lgkmcnt(0)
	v_mul_f16_e32 v106, s15, v106
.LBB209_62:
	v_pk_add_f16 v107, v8, v20
	v_pk_max_f16 v103, v103, v103
	v_pk_add_f16 v108, v9, v21
	s_delay_alu instid0(VALU_DEP_2) | instskip(SKIP_1) | instid1(VALU_DEP_2)
	v_pk_min_f16 v103, v103, v107
	v_add_co_u32 v107, vcc_lo, v104, v32
	v_pk_min_f16 v103, v103, v108
	v_add_co_ci_u32_e32 v108, vcc_lo, v105, v33, vcc_lo
	s_and_b32 vcc_lo, exec_lo, s0
	s_delay_alu instid0(VALU_DEP_2) | instskip(NEXT) | instid1(VALU_DEP_1)
	v_lshrrev_b32_e32 v109, 16, v103
	v_min3_f16 v109, v106, v103, v109
	v_dual_mov_b32 v103, 0 :: v_dual_mov_b32 v106, 0
	global_store_b16 v[107:108], v109, off
	s_cbranch_vccnz .LBB209_64
; %bb.63:
	v_add_co_u32 v106, vcc_lo, v46, v34
	v_add_co_ci_u32_e32 v107, vcc_lo, v47, v35, vcc_lo
	flat_load_u16 v106, v[106:107]
	s_waitcnt vmcnt(0) lgkmcnt(0)
	v_mul_f16_e32 v106, s15, v106
.LBB209_64:
	v_pk_add_f16 v107, v10, v20
	v_pk_max_f16 v102, v102, v102
	v_pk_add_f16 v108, v11, v21
	s_delay_alu instid0(VALU_DEP_2) | instskip(NEXT) | instid1(VALU_DEP_1)
	v_pk_min_f16 v102, v102, v107
	v_pk_min_f16 v102, v102, v108
	s_delay_alu instid0(VALU_DEP_1) | instskip(NEXT) | instid1(VALU_DEP_1)
	v_lshrrev_b32_e32 v107, 16, v102
	v_min3_f16 v102, v106, v102, v107
	v_add_co_u32 v106, vcc_lo, v104, v34
	v_add_co_ci_u32_e32 v107, vcc_lo, v105, v35, vcc_lo
	s_and_b32 vcc_lo, exec_lo, s0
	global_store_b16 v[106:107], v102, off
	s_cbranch_vccnz .LBB209_66
; %bb.65:
	v_add_co_u32 v102, vcc_lo, v46, v40
	v_add_co_ci_u32_e32 v103, vcc_lo, v47, v41, vcc_lo
	flat_load_u16 v102, v[102:103]
	s_waitcnt vmcnt(0) lgkmcnt(0)
	v_mul_f16_e32 v103, s15, v102
.LBB209_66:
	v_pk_add_f16 v102, v4, v20
	v_pk_max_f16 v101, v101, v101
	v_pk_add_f16 v106, v5, v21
	s_delay_alu instid0(VALU_DEP_2) | instskip(NEXT) | instid1(VALU_DEP_1)
	v_pk_min_f16 v101, v101, v102
	v_pk_min_f16 v101, v101, v106
	v_add_co_u32 v106, vcc_lo, v104, v40
	v_add_co_ci_u32_e32 v107, vcc_lo, v105, v41, vcc_lo
	s_delay_alu instid0(VALU_DEP_3) | instskip(SKIP_1) | instid1(VALU_DEP_1)
	v_lshrrev_b32_e32 v102, 16, v101
	s_and_b32 vcc_lo, exec_lo, s0
	v_min3_f16 v103, v103, v101, v102
	v_dual_mov_b32 v101, 0 :: v_dual_mov_b32 v102, 0
	global_store_b16 v[106:107], v103, off
	s_cbranch_vccnz .LBB209_68
; %bb.67:
	v_add_co_u32 v102, vcc_lo, v46, v42
	v_add_co_ci_u32_e32 v103, vcc_lo, v47, v43, vcc_lo
	flat_load_u16 v102, v[102:103]
	s_waitcnt vmcnt(0) lgkmcnt(0)
	v_mul_f16_e32 v102, s15, v102
.LBB209_68:
	v_pk_add_f16 v103, v6, v20
	v_pk_max_f16 v100, v100, v100
	v_pk_add_f16 v106, v7, v21
	s_delay_alu instid0(VALU_DEP_2) | instskip(NEXT) | instid1(VALU_DEP_1)
	v_pk_min_f16 v100, v100, v103
	v_pk_min_f16 v100, v100, v106
	s_delay_alu instid0(VALU_DEP_1) | instskip(NEXT) | instid1(VALU_DEP_1)
	v_lshrrev_b32_e32 v103, 16, v100
	v_min3_f16 v100, v102, v100, v103
	v_add_co_u32 v102, vcc_lo, v104, v42
	v_add_co_ci_u32_e32 v103, vcc_lo, v105, v43, vcc_lo
	s_and_b32 vcc_lo, exec_lo, s0
	global_store_b16 v[102:103], v100, off
	s_cbranch_vccnz .LBB209_70
; %bb.69:
	v_add_co_u32 v100, vcc_lo, v46, v38
	v_add_co_ci_u32_e32 v101, vcc_lo, v47, v39, vcc_lo
	flat_load_u16 v100, v[100:101]
	s_waitcnt vmcnt(0) lgkmcnt(0)
	v_mul_f16_e32 v101, s15, v100
.LBB209_70:
	v_pk_add_f16 v100, v0, v20
	v_pk_max_f16 v99, v99, v99
	v_pk_add_f16 v102, v1, v21
	s_delay_alu instid0(VALU_DEP_2) | instskip(NEXT) | instid1(VALU_DEP_1)
	v_pk_min_f16 v99, v99, v100
	v_pk_min_f16 v99, v99, v102
	v_add_co_u32 v102, vcc_lo, v104, v38
	v_add_co_ci_u32_e32 v103, vcc_lo, v105, v39, vcc_lo
	s_delay_alu instid0(VALU_DEP_3) | instskip(SKIP_1) | instid1(VALU_DEP_1)
	v_lshrrev_b32_e32 v100, 16, v99
	s_and_b32 vcc_lo, exec_lo, s0
	v_min3_f16 v101, v101, v99, v100
	v_dual_mov_b32 v99, 0 :: v_dual_mov_b32 v100, 0
	global_store_b16 v[102:103], v101, off
	s_cbranch_vccnz .LBB209_72
; %bb.71:
	v_add_co_u32 v100, vcc_lo, v46, v36
	v_add_co_ci_u32_e32 v101, vcc_lo, v47, v37, vcc_lo
	flat_load_u16 v100, v[100:101]
	s_waitcnt vmcnt(0) lgkmcnt(0)
	v_mul_f16_e32 v100, s15, v100
.LBB209_72:
	v_pk_add_f16 v101, v2, v20
	v_pk_max_f16 v98, v98, v98
	v_pk_add_f16 v102, v3, v21
	s_delay_alu instid0(VALU_DEP_2) | instskip(NEXT) | instid1(VALU_DEP_1)
	v_pk_min_f16 v98, v98, v101
	v_pk_min_f16 v98, v98, v102
	s_delay_alu instid0(VALU_DEP_1) | instskip(NEXT) | instid1(VALU_DEP_1)
	v_lshrrev_b32_e32 v101, 16, v98
	v_min3_f16 v98, v100, v98, v101
	v_add_co_u32 v100, vcc_lo, v104, v36
	v_add_co_ci_u32_e32 v101, vcc_lo, v105, v37, vcc_lo
	s_and_b32 vcc_lo, exec_lo, s0
	global_store_b16 v[100:101], v98, off
	s_cbranch_vccnz .LBB209_74
; %bb.73:
	v_add_co_u32 v46, vcc_lo, v46, v44
	v_add_co_ci_u32_e32 v47, vcc_lo, v47, v45, vcc_lo
	flat_load_u16 v46, v[46:47]
	s_waitcnt vmcnt(0) lgkmcnt(0)
	v_mul_f16_e32 v99, s15, v46
.LBB209_74:
	v_add_nc_u32_e32 v46, 16, v86
	v_pk_add_f16 v20, v24, v20
	v_pk_max_f16 v47, v97, v97
	v_pk_add_f16 v21, v25, v21
	v_add_co_u32 v100, vcc_lo, v104, v44
	v_mad_i64_i32 v[97:98], null, v46, s4, 0
	s_delay_alu instid0(VALU_DEP_4) | instskip(SKIP_1) | instid1(VALU_DEP_2)
	v_pk_min_f16 v20, v47, v20
	v_add_co_ci_u32_e32 v101, vcc_lo, v105, v45, vcc_lo
	v_pk_min_f16 v47, v20, v21
	s_delay_alu instid0(VALU_DEP_4) | instskip(SKIP_1) | instid1(VALU_DEP_3)
	v_lshlrev_b64 v[20:21], 1, v[97:98]
	v_mov_b32_e32 v98, 0
	v_lshrrev_b32_e32 v97, 16, v47
	s_delay_alu instid0(VALU_DEP_3) | instskip(NEXT) | instid1(VALU_DEP_4)
	v_add_co_u32 v20, vcc_lo, s8, v20
	v_add_co_ci_u32_e32 v21, vcc_lo, s9, v21, vcc_lo
	s_delay_alu instid0(VALU_DEP_3)
	v_min3_f16 v47, v99, v47, v97
	v_mov_b32_e32 v97, 0
	s_and_b32 vcc_lo, exec_lo, s0
	global_store_b16 v[100:101], v47, off
	s_cbranch_vccnz .LBB209_76
; %bb.75:
	v_add_co_u32 v98, vcc_lo, v20, v30
	v_add_co_ci_u32_e32 v99, vcc_lo, v21, v31, vcc_lo
	flat_load_u16 v47, v[98:99]
	s_waitcnt vmcnt(0) lgkmcnt(0)
	v_mul_f16_e32 v98, s15, v47
.LBB209_76:
	v_pk_add_f16 v47, v28, v22
	v_pk_max_f16 v96, v96, v96
	v_mad_i64_i32 v[99:100], null, v46, s3, 0
	v_pk_add_f16 v46, v29, v23
	s_delay_alu instid0(VALU_DEP_3) | instskip(NEXT) | instid1(VALU_DEP_1)
	v_pk_min_f16 v47, v96, v47
	v_pk_min_f16 v96, v47, v46
	s_delay_alu instid0(VALU_DEP_4) | instskip(NEXT) | instid1(VALU_DEP_2)
	v_lshlrev_b64 v[46:47], 1, v[99:100]
	v_lshrrev_b32_e32 v99, 16, v96
	s_delay_alu instid0(VALU_DEP_2) | instskip(NEXT) | instid1(VALU_DEP_3)
	v_add_co_u32 v46, vcc_lo, s1, v46
	v_add_co_ci_u32_e32 v47, vcc_lo, s5, v47, vcc_lo
	s_delay_alu instid0(VALU_DEP_3) | instskip(NEXT) | instid1(VALU_DEP_3)
	v_min3_f16 v96, v98, v96, v99
	v_add_co_u32 v98, vcc_lo, v46, v30
	s_delay_alu instid0(VALU_DEP_3)
	v_add_co_ci_u32_e32 v99, vcc_lo, v47, v31, vcc_lo
	s_and_b32 vcc_lo, exec_lo, s0
	global_store_b16 v[98:99], v96, off
	s_cbranch_vccnz .LBB209_78
; %bb.77:
	v_add_co_u32 v96, vcc_lo, v20, v32
	v_add_co_ci_u32_e32 v97, vcc_lo, v21, v33, vcc_lo
	flat_load_u16 v96, v[96:97]
	s_waitcnt vmcnt(0) lgkmcnt(0)
	v_mul_f16_e32 v97, s15, v96
.LBB209_78:
	v_pk_add_f16 v96, v8, v22
	v_pk_max_f16 v95, v95, v95
	v_pk_add_f16 v98, v9, v23
	s_delay_alu instid0(VALU_DEP_2) | instskip(NEXT) | instid1(VALU_DEP_1)
	v_pk_min_f16 v95, v95, v96
	v_pk_min_f16 v95, v95, v98
	v_add_co_u32 v98, vcc_lo, v46, v32
	v_add_co_ci_u32_e32 v99, vcc_lo, v47, v33, vcc_lo
	s_delay_alu instid0(VALU_DEP_3) | instskip(SKIP_1) | instid1(VALU_DEP_1)
	v_lshrrev_b32_e32 v96, 16, v95
	s_and_b32 vcc_lo, exec_lo, s0
	v_min3_f16 v97, v97, v95, v96
	v_dual_mov_b32 v95, 0 :: v_dual_mov_b32 v96, 0
	global_store_b16 v[98:99], v97, off
	s_cbranch_vccnz .LBB209_80
; %bb.79:
	v_add_co_u32 v96, vcc_lo, v20, v34
	v_add_co_ci_u32_e32 v97, vcc_lo, v21, v35, vcc_lo
	flat_load_u16 v96, v[96:97]
	s_waitcnt vmcnt(0) lgkmcnt(0)
	v_mul_f16_e32 v96, s15, v96
.LBB209_80:
	v_pk_add_f16 v97, v10, v22
	v_pk_max_f16 v94, v94, v94
	v_pk_add_f16 v98, v11, v23
	s_delay_alu instid0(VALU_DEP_2) | instskip(NEXT) | instid1(VALU_DEP_1)
	v_pk_min_f16 v94, v94, v97
	v_pk_min_f16 v94, v94, v98
	s_delay_alu instid0(VALU_DEP_1) | instskip(NEXT) | instid1(VALU_DEP_1)
	v_lshrrev_b32_e32 v97, 16, v94
	v_min3_f16 v94, v96, v94, v97
	v_add_co_u32 v96, vcc_lo, v46, v34
	v_add_co_ci_u32_e32 v97, vcc_lo, v47, v35, vcc_lo
	s_and_b32 vcc_lo, exec_lo, s0
	global_store_b16 v[96:97], v94, off
	s_cbranch_vccnz .LBB209_82
; %bb.81:
	v_add_co_u32 v94, vcc_lo, v20, v40
	v_add_co_ci_u32_e32 v95, vcc_lo, v21, v41, vcc_lo
	flat_load_u16 v94, v[94:95]
	s_waitcnt vmcnt(0) lgkmcnt(0)
	v_mul_f16_e32 v95, s15, v94
.LBB209_82:
	v_pk_add_f16 v94, v4, v22
	v_pk_max_f16 v93, v93, v93
	v_pk_add_f16 v96, v5, v23
	s_delay_alu instid0(VALU_DEP_2) | instskip(NEXT) | instid1(VALU_DEP_1)
	v_pk_min_f16 v93, v93, v94
	v_pk_min_f16 v93, v93, v96
	v_add_co_u32 v96, vcc_lo, v46, v40
	v_add_co_ci_u32_e32 v97, vcc_lo, v47, v41, vcc_lo
	s_delay_alu instid0(VALU_DEP_3) | instskip(SKIP_1) | instid1(VALU_DEP_1)
	v_lshrrev_b32_e32 v94, 16, v93
	s_and_b32 vcc_lo, exec_lo, s0
	v_min3_f16 v95, v95, v93, v94
	v_dual_mov_b32 v93, 0 :: v_dual_mov_b32 v94, 0
	global_store_b16 v[96:97], v95, off
	s_cbranch_vccnz .LBB209_84
; %bb.83:
	v_add_co_u32 v94, vcc_lo, v20, v42
	v_add_co_ci_u32_e32 v95, vcc_lo, v21, v43, vcc_lo
	flat_load_u16 v94, v[94:95]
	s_waitcnt vmcnt(0) lgkmcnt(0)
	v_mul_f16_e32 v94, s15, v94
.LBB209_84:
	v_pk_add_f16 v95, v6, v22
	v_pk_max_f16 v92, v92, v92
	v_pk_add_f16 v96, v7, v23
	s_delay_alu instid0(VALU_DEP_2) | instskip(NEXT) | instid1(VALU_DEP_1)
	v_pk_min_f16 v92, v92, v95
	v_pk_min_f16 v92, v92, v96
	s_delay_alu instid0(VALU_DEP_1) | instskip(NEXT) | instid1(VALU_DEP_1)
	v_lshrrev_b32_e32 v95, 16, v92
	v_min3_f16 v92, v94, v92, v95
	v_add_co_u32 v94, vcc_lo, v46, v42
	;; [unrolled: 43-line block ×3, first 2 shown]
	v_add_co_ci_u32_e32 v93, vcc_lo, v47, v37, vcc_lo
	s_and_b32 vcc_lo, exec_lo, s0
	global_store_b16 v[92:93], v90, off
	s_cbranch_vccnz .LBB209_90
; %bb.89:
	v_add_co_u32 v20, vcc_lo, v20, v44
	v_add_co_ci_u32_e32 v21, vcc_lo, v21, v45, vcc_lo
	flat_load_u16 v20, v[20:21]
	s_waitcnt vmcnt(0) lgkmcnt(0)
	v_mul_f16_e32 v91, s15, v20
.LBB209_90:
	v_pk_add_f16 v22, v24, v22
	v_pk_max_f16 v89, v89, v89
	v_pk_add_f16 v23, v25, v23
	v_add_nc_u32_e32 v90, 24, v86
	s_delay_alu instid0(VALU_DEP_3) | instskip(NEXT) | instid1(VALU_DEP_1)
	v_pk_min_f16 v22, v89, v22
	v_pk_min_f16 v89, v22, v23
	v_add_co_u32 v22, vcc_lo, v46, v44
	v_add_co_ci_u32_e32 v23, vcc_lo, v47, v45, vcc_lo
	v_mov_b32_e32 v47, 0
	v_mad_i64_i32 v[20:21], null, v90, s4, 0
	v_lshrrev_b32_e32 v46, 16, v89
	s_delay_alu instid0(VALU_DEP_1) | instskip(NEXT) | instid1(VALU_DEP_3)
	v_min3_f16 v89, v91, v89, v46
	v_lshlrev_b64 v[20:21], 1, v[20:21]
	v_mov_b32_e32 v46, 0
	global_store_b16 v[22:23], v89, off
	v_add_co_u32 v20, vcc_lo, s8, v20
	v_add_co_ci_u32_e32 v21, vcc_lo, s9, v21, vcc_lo
	s_and_b32 vcc_lo, exec_lo, s0
	s_cbranch_vccnz .LBB209_92
; %bb.91:
	s_delay_alu instid0(VALU_DEP_2) | instskip(NEXT) | instid1(VALU_DEP_2)
	v_add_co_u32 v22, vcc_lo, v20, v30
	v_add_co_ci_u32_e32 v23, vcc_lo, v21, v31, vcc_lo
	flat_load_u16 v22, v[22:23]
	s_waitcnt vmcnt(0) lgkmcnt(0)
	v_mul_f16_e32 v47, s15, v22
.LBB209_92:
	v_pk_add_f16 v89, v28, v16
	v_pk_max_f16 v88, v88, v88
	v_mad_i64_i32 v[22:23], null, v90, s3, 0
	v_pk_add_f16 v90, v29, v17
	s_delay_alu instid0(VALU_DEP_3) | instskip(NEXT) | instid1(VALU_DEP_3)
	v_pk_min_f16 v88, v88, v89
	v_lshlrev_b64 v[22:23], 1, v[22:23]
	s_delay_alu instid0(VALU_DEP_2) | instskip(NEXT) | instid1(VALU_DEP_2)
	v_pk_min_f16 v88, v88, v90
	v_add_co_u32 v22, vcc_lo, s1, v22
	s_delay_alu instid0(VALU_DEP_2) | instskip(NEXT) | instid1(VALU_DEP_4)
	v_lshrrev_b32_e32 v89, 16, v88
	v_add_co_ci_u32_e32 v23, vcc_lo, s5, v23, vcc_lo
	s_delay_alu instid0(VALU_DEP_2) | instskip(NEXT) | instid1(VALU_DEP_4)
	v_min3_f16 v47, v47, v88, v89
	v_add_co_u32 v88, vcc_lo, v22, v30
	s_delay_alu instid0(VALU_DEP_3)
	v_add_co_ci_u32_e32 v89, vcc_lo, v23, v31, vcc_lo
	s_and_b32 vcc_lo, exec_lo, s0
	global_store_b16 v[88:89], v47, off
	s_cbranch_vccnz .LBB209_94
; %bb.93:
	v_add_co_u32 v46, vcc_lo, v20, v32
	v_add_co_ci_u32_e32 v47, vcc_lo, v21, v33, vcc_lo
	flat_load_u16 v46, v[46:47]
	s_waitcnt vmcnt(0) lgkmcnt(0)
	v_mul_f16_e32 v46, s15, v46
.LBB209_94:
	v_pk_add_f16 v47, v8, v16
	v_pk_max_f16 v87, v87, v87
	v_pk_add_f16 v88, v9, v17
	s_delay_alu instid0(VALU_DEP_2) | instskip(SKIP_1) | instid1(VALU_DEP_2)
	v_pk_min_f16 v47, v87, v47
	v_add_co_u32 v87, vcc_lo, v22, v32
	v_pk_min_f16 v47, v47, v88
	v_add_co_ci_u32_e32 v88, vcc_lo, v23, v33, vcc_lo
	s_and_b32 vcc_lo, exec_lo, s0
	s_delay_alu instid0(VALU_DEP_2) | instskip(NEXT) | instid1(VALU_DEP_1)
	v_lshrrev_b32_e32 v89, 16, v47
	v_min3_f16 v89, v46, v47, v89
	v_dual_mov_b32 v46, 0 :: v_dual_mov_b32 v47, 0
	global_store_b16 v[87:88], v89, off
	s_cbranch_vccnz .LBB209_96
; %bb.95:
	v_add_co_u32 v87, vcc_lo, v20, v34
	v_add_co_ci_u32_e32 v88, vcc_lo, v21, v35, vcc_lo
	flat_load_u16 v47, v[87:88]
	s_waitcnt vmcnt(0) lgkmcnt(0)
	v_mul_f16_e32 v47, s15, v47
.LBB209_96:
	v_pk_add_f16 v87, v10, v16
	v_pk_max_f16 v85, v85, v85
	v_pk_add_f16 v88, v11, v17
	s_delay_alu instid0(VALU_DEP_2) | instskip(NEXT) | instid1(VALU_DEP_1)
	v_pk_min_f16 v85, v85, v87
	v_pk_min_f16 v85, v85, v88
	s_delay_alu instid0(VALU_DEP_1) | instskip(NEXT) | instid1(VALU_DEP_1)
	v_lshrrev_b32_e32 v87, 16, v85
	v_min3_f16 v47, v47, v85, v87
	v_add_co_u32 v87, vcc_lo, v22, v34
	v_add_co_ci_u32_e32 v88, vcc_lo, v23, v35, vcc_lo
	s_and_b32 vcc_lo, exec_lo, s0
	global_store_b16 v[87:88], v47, off
	s_cbranch_vccnz .LBB209_98
; %bb.97:
	v_add_co_u32 v46, vcc_lo, v20, v40
	v_add_co_ci_u32_e32 v47, vcc_lo, v21, v41, vcc_lo
	flat_load_u16 v46, v[46:47]
	s_waitcnt vmcnt(0) lgkmcnt(0)
	v_mul_f16_e32 v46, s15, v46
.LBB209_98:
	v_pk_add_f16 v47, v4, v16
	v_pk_max_f16 v84, v84, v84
	v_pk_add_f16 v85, v5, v17
	s_delay_alu instid0(VALU_DEP_2) | instskip(SKIP_1) | instid1(VALU_DEP_2)
	v_pk_min_f16 v47, v84, v47
	v_add_co_u32 v84, vcc_lo, v22, v40
	v_pk_min_f16 v47, v47, v85
	v_add_co_ci_u32_e32 v85, vcc_lo, v23, v41, vcc_lo
	s_and_b32 vcc_lo, exec_lo, s0
	s_delay_alu instid0(VALU_DEP_2) | instskip(NEXT) | instid1(VALU_DEP_1)
	v_lshrrev_b32_e32 v87, 16, v47
	v_min3_f16 v87, v46, v47, v87
	v_dual_mov_b32 v46, 0 :: v_dual_mov_b32 v47, 0
	global_store_b16 v[84:85], v87, off
	s_cbranch_vccnz .LBB209_100
; %bb.99:
	v_add_co_u32 v84, vcc_lo, v20, v42
	v_add_co_ci_u32_e32 v85, vcc_lo, v21, v43, vcc_lo
	flat_load_u16 v47, v[84:85]
	s_waitcnt vmcnt(0) lgkmcnt(0)
	v_mul_f16_e32 v47, s15, v47
.LBB209_100:
	v_pk_add_f16 v84, v6, v16
	v_pk_max_f16 v83, v83, v83
	v_pk_add_f16 v85, v7, v17
	s_delay_alu instid0(VALU_DEP_2) | instskip(NEXT) | instid1(VALU_DEP_1)
	v_pk_min_f16 v83, v83, v84
	v_pk_min_f16 v83, v83, v85
	s_delay_alu instid0(VALU_DEP_1) | instskip(NEXT) | instid1(VALU_DEP_1)
	v_lshrrev_b32_e32 v84, 16, v83
	v_min3_f16 v47, v47, v83, v84
	v_add_co_u32 v83, vcc_lo, v22, v42
	v_add_co_ci_u32_e32 v84, vcc_lo, v23, v43, vcc_lo
	s_and_b32 vcc_lo, exec_lo, s0
	global_store_b16 v[83:84], v47, off
	s_cbranch_vccnz .LBB209_102
; %bb.101:
	v_add_co_u32 v46, vcc_lo, v20, v38
	v_add_co_ci_u32_e32 v47, vcc_lo, v21, v39, vcc_lo
	flat_load_u16 v46, v[46:47]
	s_waitcnt vmcnt(0) lgkmcnt(0)
	v_mul_f16_e32 v46, s15, v46
.LBB209_102:
	v_pk_add_f16 v47, v0, v16
	v_pk_max_f16 v82, v82, v82
	v_pk_add_f16 v83, v1, v17
	s_delay_alu instid0(VALU_DEP_2) | instskip(SKIP_1) | instid1(VALU_DEP_2)
	v_pk_min_f16 v47, v82, v47
	v_add_co_u32 v82, vcc_lo, v22, v38
	v_pk_min_f16 v47, v47, v83
	v_add_co_ci_u32_e32 v83, vcc_lo, v23, v39, vcc_lo
	s_and_b32 vcc_lo, exec_lo, s0
	s_delay_alu instid0(VALU_DEP_2) | instskip(NEXT) | instid1(VALU_DEP_1)
	v_lshrrev_b32_e32 v84, 16, v47
	v_min3_f16 v84, v46, v47, v84
	v_dual_mov_b32 v46, 0 :: v_dual_mov_b32 v47, 0
	global_store_b16 v[82:83], v84, off
	s_cbranch_vccnz .LBB209_104
; %bb.103:
	v_add_co_u32 v82, vcc_lo, v20, v36
	v_add_co_ci_u32_e32 v83, vcc_lo, v21, v37, vcc_lo
	flat_load_u16 v47, v[82:83]
	s_waitcnt vmcnt(0) lgkmcnt(0)
	v_mul_f16_e32 v47, s15, v47
.LBB209_104:
	v_pk_add_f16 v82, v2, v16
	v_pk_max_f16 v81, v81, v81
	v_pk_add_f16 v83, v3, v17
	s_delay_alu instid0(VALU_DEP_2) | instskip(NEXT) | instid1(VALU_DEP_1)
	v_pk_min_f16 v81, v81, v82
	v_pk_min_f16 v81, v81, v83
	s_delay_alu instid0(VALU_DEP_1) | instskip(NEXT) | instid1(VALU_DEP_1)
	v_lshrrev_b32_e32 v82, 16, v81
	v_min3_f16 v47, v47, v81, v82
	v_add_co_u32 v81, vcc_lo, v22, v36
	v_add_co_ci_u32_e32 v82, vcc_lo, v23, v37, vcc_lo
	s_and_b32 vcc_lo, exec_lo, s0
	global_store_b16 v[81:82], v47, off
	s_cbranch_vccnz .LBB209_106
; %bb.105:
	v_add_co_u32 v20, vcc_lo, v20, v44
	v_add_co_ci_u32_e32 v21, vcc_lo, v21, v45, vcc_lo
	flat_load_u16 v20, v[20:21]
	s_waitcnt vmcnt(0) lgkmcnt(0)
	v_mul_f16_e32 v46, s15, v20
.LBB209_106:
	v_add_nc_u32_e32 v20, 32, v86
	v_pk_add_f16 v16, v24, v16
	v_pk_max_f16 v21, v80, v80
	v_pk_add_f16 v17, v25, v17
	s_delay_alu instid0(VALU_DEP_4) | instskip(NEXT) | instid1(VALU_DEP_3)
	v_mad_i64_i32 v[80:81], null, v20, s4, 0
	v_pk_min_f16 v16, v21, v16
	s_delay_alu instid0(VALU_DEP_1) | instskip(NEXT) | instid1(VALU_DEP_3)
	v_pk_min_f16 v21, v16, v17
	v_lshlrev_b64 v[16:17], 1, v[80:81]
	v_add_co_u32 v80, vcc_lo, v22, v44
	v_add_co_ci_u32_e32 v81, vcc_lo, v23, v45, vcc_lo
	v_mov_b32_e32 v23, 0
	v_lshrrev_b32_e32 v22, 16, v21
	v_add_co_u32 v16, vcc_lo, s8, v16
	v_add_co_ci_u32_e32 v17, vcc_lo, s9, v17, vcc_lo
	s_delay_alu instid0(VALU_DEP_3)
	v_min3_f16 v21, v46, v21, v22
	v_mov_b32_e32 v22, 0
	s_and_b32 vcc_lo, exec_lo, s0
	global_store_b16 v[80:81], v21, off
	s_cbranch_vccnz .LBB209_108
; %bb.107:
	v_add_co_u32 v46, vcc_lo, v16, v30
	v_add_co_ci_u32_e32 v47, vcc_lo, v17, v31, vcc_lo
	flat_load_u16 v21, v[46:47]
	s_waitcnt vmcnt(0) lgkmcnt(0)
	v_mul_f16_e32 v23, s15, v21
.LBB209_108:
	v_pk_add_f16 v21, v28, v18
	v_pk_max_f16 v79, v79, v79
	v_mad_i64_i32 v[46:47], null, v20, s3, 0
	v_pk_add_f16 v20, v29, v19
	s_delay_alu instid0(VALU_DEP_3) | instskip(NEXT) | instid1(VALU_DEP_1)
	v_pk_min_f16 v21, v79, v21
	v_pk_min_f16 v79, v21, v20
	s_delay_alu instid0(VALU_DEP_4) | instskip(NEXT) | instid1(VALU_DEP_2)
	v_lshlrev_b64 v[20:21], 1, v[46:47]
	v_lshrrev_b32_e32 v46, 16, v79
	s_delay_alu instid0(VALU_DEP_2) | instskip(NEXT) | instid1(VALU_DEP_3)
	v_add_co_u32 v20, vcc_lo, s1, v20
	v_add_co_ci_u32_e32 v21, vcc_lo, s5, v21, vcc_lo
	s_delay_alu instid0(VALU_DEP_3) | instskip(NEXT) | instid1(VALU_DEP_3)
	v_min3_f16 v23, v23, v79, v46
	v_add_co_u32 v46, vcc_lo, v20, v30
	s_delay_alu instid0(VALU_DEP_3)
	v_add_co_ci_u32_e32 v47, vcc_lo, v21, v31, vcc_lo
	s_and_b32 vcc_lo, exec_lo, s0
	global_store_b16 v[46:47], v23, off
	s_cbranch_vccnz .LBB209_110
; %bb.109:
	v_add_co_u32 v22, vcc_lo, v16, v32
	v_add_co_ci_u32_e32 v23, vcc_lo, v17, v33, vcc_lo
	flat_load_u16 v22, v[22:23]
	s_waitcnt vmcnt(0) lgkmcnt(0)
	v_mul_f16_e32 v22, s15, v22
.LBB209_110:
	v_pk_add_f16 v23, v8, v18
	v_pk_max_f16 v46, v78, v78
	v_pk_add_f16 v47, v9, v19
	s_delay_alu instid0(VALU_DEP_2) | instskip(SKIP_1) | instid1(VALU_DEP_2)
	v_pk_min_f16 v23, v46, v23
	v_add_co_u32 v46, vcc_lo, v20, v32
	v_pk_min_f16 v23, v23, v47
	v_add_co_ci_u32_e32 v47, vcc_lo, v21, v33, vcc_lo
	s_and_b32 vcc_lo, exec_lo, s0
	s_delay_alu instid0(VALU_DEP_2) | instskip(NEXT) | instid1(VALU_DEP_1)
	v_lshrrev_b32_e32 v78, 16, v23
	v_min3_f16 v78, v22, v23, v78
	v_dual_mov_b32 v22, 0 :: v_dual_mov_b32 v23, 0
	global_store_b16 v[46:47], v78, off
	s_cbranch_vccnz .LBB209_112
; %bb.111:
	v_add_co_u32 v46, vcc_lo, v16, v34
	v_add_co_ci_u32_e32 v47, vcc_lo, v17, v35, vcc_lo
	flat_load_u16 v23, v[46:47]
	s_waitcnt vmcnt(0) lgkmcnt(0)
	v_mul_f16_e32 v23, s15, v23
.LBB209_112:
	v_pk_add_f16 v46, v10, v18
	v_pk_max_f16 v47, v77, v77
	v_pk_add_f16 v77, v11, v19
	s_delay_alu instid0(VALU_DEP_2) | instskip(NEXT) | instid1(VALU_DEP_1)
	v_pk_min_f16 v46, v47, v46
	v_pk_min_f16 v46, v46, v77
	s_delay_alu instid0(VALU_DEP_1) | instskip(NEXT) | instid1(VALU_DEP_1)
	v_lshrrev_b32_e32 v47, 16, v46
	v_min3_f16 v23, v23, v46, v47
	v_add_co_u32 v46, vcc_lo, v20, v34
	v_add_co_ci_u32_e32 v47, vcc_lo, v21, v35, vcc_lo
	s_and_b32 vcc_lo, exec_lo, s0
	global_store_b16 v[46:47], v23, off
	s_cbranch_vccnz .LBB209_114
; %bb.113:
	v_add_co_u32 v22, vcc_lo, v16, v40
	v_add_co_ci_u32_e32 v23, vcc_lo, v17, v41, vcc_lo
	flat_load_u16 v22, v[22:23]
	s_waitcnt vmcnt(0) lgkmcnt(0)
	v_mul_f16_e32 v22, s15, v22
.LBB209_114:
	v_pk_add_f16 v23, v4, v18
	v_pk_max_f16 v46, v76, v76
	v_pk_add_f16 v47, v5, v19
	s_delay_alu instid0(VALU_DEP_2) | instskip(SKIP_1) | instid1(VALU_DEP_2)
	v_pk_min_f16 v23, v46, v23
	v_add_co_u32 v46, vcc_lo, v20, v40
	v_pk_min_f16 v23, v23, v47
	v_add_co_ci_u32_e32 v47, vcc_lo, v21, v41, vcc_lo
	s_and_b32 vcc_lo, exec_lo, s0
	s_delay_alu instid0(VALU_DEP_2) | instskip(NEXT) | instid1(VALU_DEP_1)
	v_lshrrev_b32_e32 v76, 16, v23
	v_min3_f16 v76, v22, v23, v76
	v_dual_mov_b32 v22, 0 :: v_dual_mov_b32 v23, 0
	global_store_b16 v[46:47], v76, off
	s_cbranch_vccnz .LBB209_116
; %bb.115:
	v_add_co_u32 v46, vcc_lo, v16, v42
	v_add_co_ci_u32_e32 v47, vcc_lo, v17, v43, vcc_lo
	flat_load_u16 v23, v[46:47]
	s_waitcnt vmcnt(0) lgkmcnt(0)
	v_mul_f16_e32 v23, s15, v23
.LBB209_116:
	v_pk_add_f16 v46, v6, v18
	v_pk_max_f16 v47, v75, v75
	v_pk_add_f16 v75, v7, v19
	s_delay_alu instid0(VALU_DEP_2) | instskip(NEXT) | instid1(VALU_DEP_1)
	v_pk_min_f16 v46, v47, v46
	v_pk_min_f16 v46, v46, v75
	s_delay_alu instid0(VALU_DEP_1) | instskip(NEXT) | instid1(VALU_DEP_1)
	v_lshrrev_b32_e32 v47, 16, v46
	v_min3_f16 v23, v23, v46, v47
	v_add_co_u32 v46, vcc_lo, v20, v42
	;; [unrolled: 43-line block ×3, first 2 shown]
	v_add_co_ci_u32_e32 v47, vcc_lo, v21, v37, vcc_lo
	s_and_b32 vcc_lo, exec_lo, s0
	global_store_b16 v[46:47], v23, off
	s_cbranch_vccnz .LBB209_122
; %bb.121:
	v_add_co_u32 v16, vcc_lo, v16, v44
	v_add_co_ci_u32_e32 v17, vcc_lo, v17, v45, vcc_lo
	flat_load_u16 v16, v[16:17]
	s_waitcnt vmcnt(0) lgkmcnt(0)
	v_mul_f16_e32 v22, s15, v16
.LBB209_122:
	v_pk_add_f16 v18, v24, v18
	v_pk_max_f16 v46, v72, v72
	v_pk_add_f16 v19, v25, v19
	v_add_nc_u32_e32 v23, 40, v86
	s_delay_alu instid0(VALU_DEP_3) | instskip(NEXT) | instid1(VALU_DEP_1)
	v_pk_min_f16 v18, v46, v18
	v_pk_min_f16 v46, v18, v19
	v_add_co_u32 v18, vcc_lo, v20, v44
	v_add_co_ci_u32_e32 v19, vcc_lo, v21, v45, vcc_lo
	s_delay_alu instid0(VALU_DEP_3) | instskip(SKIP_1) | instid1(VALU_DEP_2)
	v_lshrrev_b32_e32 v20, 16, v46
	v_mov_b32_e32 v21, 0
	v_min3_f16 v22, v22, v46, v20
	v_mov_b32_e32 v20, 0
	v_mad_i64_i32 v[16:17], null, v23, s4, 0
	global_store_b16 v[18:19], v22, off
	v_lshlrev_b64 v[16:17], 1, v[16:17]
	s_delay_alu instid0(VALU_DEP_1) | instskip(NEXT) | instid1(VALU_DEP_2)
	v_add_co_u32 v16, vcc_lo, s8, v16
	v_add_co_ci_u32_e32 v17, vcc_lo, s9, v17, vcc_lo
	s_and_b32 vcc_lo, exec_lo, s0
	s_cbranch_vccnz .LBB209_124
; %bb.123:
	s_delay_alu instid0(VALU_DEP_2) | instskip(NEXT) | instid1(VALU_DEP_2)
	v_add_co_u32 v18, vcc_lo, v16, v30
	v_add_co_ci_u32_e32 v19, vcc_lo, v17, v31, vcc_lo
	flat_load_u16 v18, v[18:19]
	s_waitcnt vmcnt(0) lgkmcnt(0)
	v_mul_f16_e32 v21, s15, v18
.LBB209_124:
	v_pk_add_f16 v22, v28, v12
	v_pk_max_f16 v46, v71, v71
	v_mad_i64_i32 v[18:19], null, v23, s3, 0
	v_pk_add_f16 v23, v29, v13
	s_delay_alu instid0(VALU_DEP_3) | instskip(NEXT) | instid1(VALU_DEP_3)
	v_pk_min_f16 v22, v46, v22
	v_lshlrev_b64 v[18:19], 1, v[18:19]
	s_delay_alu instid0(VALU_DEP_2) | instskip(NEXT) | instid1(VALU_DEP_2)
	v_pk_min_f16 v22, v22, v23
	v_add_co_u32 v18, vcc_lo, s1, v18
	s_delay_alu instid0(VALU_DEP_2) | instskip(NEXT) | instid1(VALU_DEP_4)
	v_lshrrev_b32_e32 v23, 16, v22
	v_add_co_ci_u32_e32 v19, vcc_lo, s5, v19, vcc_lo
	s_delay_alu instid0(VALU_DEP_2) | instskip(NEXT) | instid1(VALU_DEP_4)
	v_min3_f16 v23, v21, v22, v23
	v_add_co_u32 v21, vcc_lo, v18, v30
	s_delay_alu instid0(VALU_DEP_3)
	v_add_co_ci_u32_e32 v22, vcc_lo, v19, v31, vcc_lo
	s_and_b32 vcc_lo, exec_lo, s0
	global_store_b16 v[21:22], v23, off
	s_cbranch_vccnz .LBB209_126
; %bb.125:
	v_add_co_u32 v20, vcc_lo, v16, v32
	v_add_co_ci_u32_e32 v21, vcc_lo, v17, v33, vcc_lo
	flat_load_u16 v20, v[20:21]
	s_waitcnt vmcnt(0) lgkmcnt(0)
	v_mul_f16_e32 v20, s15, v20
.LBB209_126:
	v_pk_add_f16 v21, v8, v12
	v_pk_max_f16 v22, v70, v70
	v_pk_add_f16 v23, v9, v13
	s_delay_alu instid0(VALU_DEP_2) | instskip(SKIP_1) | instid1(VALU_DEP_2)
	v_pk_min_f16 v21, v22, v21
	v_add_co_u32 v22, vcc_lo, v18, v32
	v_pk_min_f16 v21, v21, v23
	v_add_co_ci_u32_e32 v23, vcc_lo, v19, v33, vcc_lo
	s_and_b32 vcc_lo, exec_lo, s0
	s_delay_alu instid0(VALU_DEP_2) | instskip(NEXT) | instid1(VALU_DEP_1)
	v_lshrrev_b32_e32 v46, 16, v21
	v_min3_f16 v46, v20, v21, v46
	v_dual_mov_b32 v20, 0 :: v_dual_mov_b32 v21, 0
	global_store_b16 v[22:23], v46, off
	s_cbranch_vccnz .LBB209_128
; %bb.127:
	v_add_co_u32 v21, vcc_lo, v16, v34
	v_add_co_ci_u32_e32 v22, vcc_lo, v17, v35, vcc_lo
	flat_load_u16 v21, v[21:22]
	s_waitcnt vmcnt(0) lgkmcnt(0)
	v_mul_f16_e32 v21, s15, v21
.LBB209_128:
	v_pk_add_f16 v22, v10, v12
	v_pk_max_f16 v23, v69, v69
	v_pk_add_f16 v46, v11, v13
	s_delay_alu instid0(VALU_DEP_2) | instskip(NEXT) | instid1(VALU_DEP_1)
	v_pk_min_f16 v22, v23, v22
	v_pk_min_f16 v22, v22, v46
	s_delay_alu instid0(VALU_DEP_1) | instskip(NEXT) | instid1(VALU_DEP_1)
	v_lshrrev_b32_e32 v23, 16, v22
	v_min3_f16 v23, v21, v22, v23
	v_add_co_u32 v21, vcc_lo, v18, v34
	v_add_co_ci_u32_e32 v22, vcc_lo, v19, v35, vcc_lo
	s_and_b32 vcc_lo, exec_lo, s0
	global_store_b16 v[21:22], v23, off
	s_cbranch_vccnz .LBB209_130
; %bb.129:
	v_add_co_u32 v20, vcc_lo, v16, v40
	v_add_co_ci_u32_e32 v21, vcc_lo, v17, v41, vcc_lo
	flat_load_u16 v20, v[20:21]
	s_waitcnt vmcnt(0) lgkmcnt(0)
	v_mul_f16_e32 v20, s15, v20
.LBB209_130:
	v_pk_add_f16 v21, v4, v12
	v_pk_max_f16 v22, v68, v68
	v_pk_add_f16 v23, v5, v13
	s_delay_alu instid0(VALU_DEP_2) | instskip(SKIP_1) | instid1(VALU_DEP_2)
	v_pk_min_f16 v21, v22, v21
	v_add_co_u32 v22, vcc_lo, v18, v40
	v_pk_min_f16 v21, v21, v23
	v_add_co_ci_u32_e32 v23, vcc_lo, v19, v41, vcc_lo
	s_and_b32 vcc_lo, exec_lo, s0
	s_delay_alu instid0(VALU_DEP_2) | instskip(NEXT) | instid1(VALU_DEP_1)
	v_lshrrev_b32_e32 v46, 16, v21
	v_min3_f16 v46, v20, v21, v46
	v_dual_mov_b32 v20, 0 :: v_dual_mov_b32 v21, 0
	global_store_b16 v[22:23], v46, off
	s_cbranch_vccnz .LBB209_132
; %bb.131:
	v_add_co_u32 v21, vcc_lo, v16, v42
	v_add_co_ci_u32_e32 v22, vcc_lo, v17, v43, vcc_lo
	flat_load_u16 v21, v[21:22]
	s_waitcnt vmcnt(0) lgkmcnt(0)
	v_mul_f16_e32 v21, s15, v21
.LBB209_132:
	v_pk_add_f16 v22, v6, v12
	v_pk_max_f16 v23, v67, v67
	v_pk_add_f16 v46, v7, v13
	s_delay_alu instid0(VALU_DEP_2) | instskip(NEXT) | instid1(VALU_DEP_1)
	v_pk_min_f16 v22, v23, v22
	v_pk_min_f16 v22, v22, v46
	s_delay_alu instid0(VALU_DEP_1) | instskip(NEXT) | instid1(VALU_DEP_1)
	v_lshrrev_b32_e32 v23, 16, v22
	v_min3_f16 v23, v21, v22, v23
	v_add_co_u32 v21, vcc_lo, v18, v42
	;; [unrolled: 43-line block ×3, first 2 shown]
	v_add_co_ci_u32_e32 v22, vcc_lo, v19, v37, vcc_lo
	s_and_b32 vcc_lo, exec_lo, s0
	global_store_b16 v[21:22], v23, off
	s_cbranch_vccnz .LBB209_138
; %bb.137:
	v_add_co_u32 v16, vcc_lo, v16, v44
	v_add_co_ci_u32_e32 v17, vcc_lo, v17, v45, vcc_lo
	flat_load_u16 v16, v[16:17]
	s_waitcnt vmcnt(0) lgkmcnt(0)
	v_mul_f16_e32 v20, s15, v16
.LBB209_138:
	v_add_nc_u32_e32 v16, 48, v86
	v_pk_add_f16 v12, v24, v12
	v_pk_max_f16 v17, v64, v64
	v_pk_add_f16 v13, v25, v13
	s_delay_alu instid0(VALU_DEP_4) | instskip(NEXT) | instid1(VALU_DEP_3)
	v_mad_i64_i32 v[21:22], null, v16, s4, 0
	v_pk_min_f16 v12, v17, v12
	s_delay_alu instid0(VALU_DEP_1) | instskip(NEXT) | instid1(VALU_DEP_3)
	v_pk_min_f16 v17, v12, v13
	v_lshlrev_b64 v[12:13], 1, v[21:22]
	v_add_co_u32 v21, vcc_lo, v18, v44
	v_add_co_ci_u32_e32 v22, vcc_lo, v19, v45, vcc_lo
	v_mov_b32_e32 v19, 0
	v_lshrrev_b32_e32 v18, 16, v17
	v_add_co_u32 v12, vcc_lo, s8, v12
	v_add_co_ci_u32_e32 v13, vcc_lo, s9, v13, vcc_lo
	s_delay_alu instid0(VALU_DEP_3)
	v_min3_f16 v17, v20, v17, v18
	v_mov_b32_e32 v18, 0
	s_and_b32 vcc_lo, exec_lo, s0
	global_store_b16 v[21:22], v17, off
	s_cbranch_vccnz .LBB209_140
; %bb.139:
	v_add_co_u32 v19, vcc_lo, v12, v30
	v_add_co_ci_u32_e32 v20, vcc_lo, v13, v31, vcc_lo
	flat_load_u16 v17, v[19:20]
	s_waitcnt vmcnt(0) lgkmcnt(0)
	v_mul_f16_e32 v19, s15, v17
.LBB209_140:
	v_pk_add_f16 v17, v28, v14
	v_pk_max_f16 v22, v63, v63
	v_mad_i64_i32 v[20:21], null, v16, s3, 0
	v_pk_add_f16 v16, v29, v15
	s_delay_alu instid0(VALU_DEP_3) | instskip(NEXT) | instid1(VALU_DEP_1)
	v_pk_min_f16 v17, v22, v17
	v_pk_min_f16 v22, v17, v16
	s_delay_alu instid0(VALU_DEP_4) | instskip(NEXT) | instid1(VALU_DEP_2)
	v_lshlrev_b64 v[16:17], 1, v[20:21]
	v_lshrrev_b32_e32 v20, 16, v22
	s_delay_alu instid0(VALU_DEP_2) | instskip(NEXT) | instid1(VALU_DEP_3)
	v_add_co_u32 v16, vcc_lo, s1, v16
	v_add_co_ci_u32_e32 v17, vcc_lo, s5, v17, vcc_lo
	s_delay_alu instid0(VALU_DEP_3) | instskip(NEXT) | instid1(VALU_DEP_3)
	v_min3_f16 v21, v19, v22, v20
	v_add_co_u32 v19, vcc_lo, v16, v30
	s_delay_alu instid0(VALU_DEP_3)
	v_add_co_ci_u32_e32 v20, vcc_lo, v17, v31, vcc_lo
	s_and_b32 vcc_lo, exec_lo, s0
	global_store_b16 v[19:20], v21, off
	s_cbranch_vccnz .LBB209_142
; %bb.141:
	v_add_co_u32 v18, vcc_lo, v12, v32
	v_add_co_ci_u32_e32 v19, vcc_lo, v13, v33, vcc_lo
	flat_load_u16 v18, v[18:19]
	s_waitcnt vmcnt(0) lgkmcnt(0)
	v_mul_f16_e32 v18, s15, v18
.LBB209_142:
	v_pk_add_f16 v19, v8, v14
	v_pk_max_f16 v20, v62, v62
	v_pk_add_f16 v21, v9, v15
	s_delay_alu instid0(VALU_DEP_2) | instskip(SKIP_1) | instid1(VALU_DEP_2)
	v_pk_min_f16 v19, v20, v19
	v_add_co_u32 v20, vcc_lo, v16, v32
	v_pk_min_f16 v19, v19, v21
	v_add_co_ci_u32_e32 v21, vcc_lo, v17, v33, vcc_lo
	s_and_b32 vcc_lo, exec_lo, s0
	s_delay_alu instid0(VALU_DEP_2) | instskip(NEXT) | instid1(VALU_DEP_1)
	v_lshrrev_b32_e32 v22, 16, v19
	v_min3_f16 v22, v18, v19, v22
	v_dual_mov_b32 v18, 0 :: v_dual_mov_b32 v19, 0
	global_store_b16 v[20:21], v22, off
	s_cbranch_vccnz .LBB209_144
; %bb.143:
	v_add_co_u32 v19, vcc_lo, v12, v34
	v_add_co_ci_u32_e32 v20, vcc_lo, v13, v35, vcc_lo
	flat_load_u16 v19, v[19:20]
	s_waitcnt vmcnt(0) lgkmcnt(0)
	v_mul_f16_e32 v19, s15, v19
.LBB209_144:
	v_pk_add_f16 v20, v10, v14
	v_pk_max_f16 v21, v61, v61
	v_pk_add_f16 v22, v11, v15
	s_delay_alu instid0(VALU_DEP_2) | instskip(NEXT) | instid1(VALU_DEP_1)
	v_pk_min_f16 v20, v21, v20
	v_pk_min_f16 v20, v20, v22
	s_delay_alu instid0(VALU_DEP_1) | instskip(NEXT) | instid1(VALU_DEP_1)
	v_lshrrev_b32_e32 v21, 16, v20
	v_min3_f16 v21, v19, v20, v21
	v_add_co_u32 v19, vcc_lo, v16, v34
	v_add_co_ci_u32_e32 v20, vcc_lo, v17, v35, vcc_lo
	s_and_b32 vcc_lo, exec_lo, s0
	global_store_b16 v[19:20], v21, off
	s_cbranch_vccnz .LBB209_146
; %bb.145:
	v_add_co_u32 v18, vcc_lo, v12, v40
	v_add_co_ci_u32_e32 v19, vcc_lo, v13, v41, vcc_lo
	flat_load_u16 v18, v[18:19]
	s_waitcnt vmcnt(0) lgkmcnt(0)
	v_mul_f16_e32 v18, s15, v18
.LBB209_146:
	v_pk_add_f16 v19, v4, v14
	v_pk_max_f16 v20, v60, v60
	v_pk_add_f16 v21, v5, v15
	s_delay_alu instid0(VALU_DEP_2) | instskip(SKIP_1) | instid1(VALU_DEP_2)
	v_pk_min_f16 v19, v20, v19
	v_add_co_u32 v20, vcc_lo, v16, v40
	v_pk_min_f16 v19, v19, v21
	v_add_co_ci_u32_e32 v21, vcc_lo, v17, v41, vcc_lo
	s_and_b32 vcc_lo, exec_lo, s0
	s_delay_alu instid0(VALU_DEP_2) | instskip(NEXT) | instid1(VALU_DEP_1)
	v_lshrrev_b32_e32 v22, 16, v19
	v_min3_f16 v22, v18, v19, v22
	v_dual_mov_b32 v18, 0 :: v_dual_mov_b32 v19, 0
	global_store_b16 v[20:21], v22, off
	s_cbranch_vccnz .LBB209_148
; %bb.147:
	v_add_co_u32 v19, vcc_lo, v12, v42
	v_add_co_ci_u32_e32 v20, vcc_lo, v13, v43, vcc_lo
	flat_load_u16 v19, v[19:20]
	s_waitcnt vmcnt(0) lgkmcnt(0)
	v_mul_f16_e32 v19, s15, v19
.LBB209_148:
	v_pk_add_f16 v20, v6, v14
	v_pk_max_f16 v21, v59, v59
	v_pk_add_f16 v22, v7, v15
	s_delay_alu instid0(VALU_DEP_2) | instskip(NEXT) | instid1(VALU_DEP_1)
	v_pk_min_f16 v20, v21, v20
	v_pk_min_f16 v20, v20, v22
	s_delay_alu instid0(VALU_DEP_1) | instskip(NEXT) | instid1(VALU_DEP_1)
	v_lshrrev_b32_e32 v21, 16, v20
	v_min3_f16 v21, v19, v20, v21
	v_add_co_u32 v19, vcc_lo, v16, v42
	;; [unrolled: 43-line block ×3, first 2 shown]
	v_add_co_ci_u32_e32 v20, vcc_lo, v17, v37, vcc_lo
	s_and_b32 vcc_lo, exec_lo, s0
	global_store_b16 v[19:20], v21, off
	s_cbranch_vccnz .LBB209_154
; %bb.153:
	v_add_co_u32 v12, vcc_lo, v12, v44
	v_add_co_ci_u32_e32 v13, vcc_lo, v13, v45, vcc_lo
	flat_load_u16 v12, v[12:13]
	s_waitcnt vmcnt(0) lgkmcnt(0)
	v_mul_f16_e32 v18, s15, v12
.LBB209_154:
	v_pk_add_f16 v14, v24, v14
	v_pk_max_f16 v20, v56, v56
	v_pk_add_f16 v15, v25, v15
	v_add_nc_u32_e32 v19, 56, v86
	s_delay_alu instid0(VALU_DEP_3) | instskip(NEXT) | instid1(VALU_DEP_1)
	v_pk_min_f16 v14, v20, v14
	v_pk_min_f16 v20, v14, v15
	v_add_co_u32 v14, vcc_lo, v16, v44
	v_add_co_ci_u32_e32 v15, vcc_lo, v17, v45, vcc_lo
	s_delay_alu instid0(VALU_DEP_3) | instskip(SKIP_1) | instid1(VALU_DEP_2)
	v_lshrrev_b32_e32 v16, 16, v20
	v_mov_b32_e32 v17, 0
	v_min3_f16 v18, v18, v20, v16
	v_mov_b32_e32 v16, 0
	v_mad_i64_i32 v[12:13], null, v19, s4, 0
	global_store_b16 v[14:15], v18, off
	v_lshlrev_b64 v[12:13], 1, v[12:13]
	s_delay_alu instid0(VALU_DEP_1) | instskip(NEXT) | instid1(VALU_DEP_2)
	v_add_co_u32 v12, vcc_lo, s8, v12
	v_add_co_ci_u32_e32 v13, vcc_lo, s9, v13, vcc_lo
	s_and_b32 vcc_lo, exec_lo, s0
	s_cbranch_vccnz .LBB209_156
; %bb.155:
	s_delay_alu instid0(VALU_DEP_2) | instskip(NEXT) | instid1(VALU_DEP_2)
	v_add_co_u32 v14, vcc_lo, v12, v30
	v_add_co_ci_u32_e32 v15, vcc_lo, v13, v31, vcc_lo
	flat_load_u16 v14, v[14:15]
	s_waitcnt vmcnt(0) lgkmcnt(0)
	v_mul_f16_e32 v17, s15, v14
.LBB209_156:
	v_pk_add_f16 v18, v28, v26
	v_pk_max_f16 v20, v55, v55
	v_mad_i64_i32 v[14:15], null, v19, s3, 0
	v_pk_add_f16 v19, v29, v27
	s_delay_alu instid0(VALU_DEP_3) | instskip(NEXT) | instid1(VALU_DEP_3)
	v_pk_min_f16 v18, v20, v18
	v_lshlrev_b64 v[14:15], 1, v[14:15]
	s_delay_alu instid0(VALU_DEP_2) | instskip(NEXT) | instid1(VALU_DEP_2)
	v_pk_min_f16 v18, v18, v19
	v_add_co_u32 v14, vcc_lo, s1, v14
	s_delay_alu instid0(VALU_DEP_2) | instskip(NEXT) | instid1(VALU_DEP_4)
	v_lshrrev_b32_e32 v19, 16, v18
	v_add_co_ci_u32_e32 v15, vcc_lo, s5, v15, vcc_lo
	s_delay_alu instid0(VALU_DEP_2) | instskip(NEXT) | instid1(VALU_DEP_4)
	v_min3_f16 v19, v17, v18, v19
	v_add_co_u32 v17, vcc_lo, v14, v30
	s_delay_alu instid0(VALU_DEP_3)
	v_add_co_ci_u32_e32 v18, vcc_lo, v15, v31, vcc_lo
	s_and_b32 vcc_lo, exec_lo, s0
	global_store_b16 v[17:18], v19, off
	s_cbranch_vccnz .LBB209_158
; %bb.157:
	v_add_co_u32 v16, vcc_lo, v12, v32
	v_add_co_ci_u32_e32 v17, vcc_lo, v13, v33, vcc_lo
	flat_load_u16 v16, v[16:17]
	s_waitcnt vmcnt(0) lgkmcnt(0)
	v_mul_f16_e32 v16, s15, v16
.LBB209_158:
	v_pk_add_f16 v8, v8, v26
	v_pk_max_f16 v17, v54, v54
	v_pk_add_f16 v9, v9, v27
	s_delay_alu instid0(VALU_DEP_2) | instskip(SKIP_2) | instid1(VALU_DEP_3)
	v_pk_min_f16 v8, v17, v8
	v_add_co_u32 v17, vcc_lo, v14, v32
	v_add_co_ci_u32_e32 v18, vcc_lo, v15, v33, vcc_lo
	v_pk_min_f16 v8, v8, v9
	s_and_b32 vcc_lo, exec_lo, s0
	s_delay_alu instid0(VALU_DEP_1) | instskip(NEXT) | instid1(VALU_DEP_1)
	v_lshrrev_b32_e32 v9, 16, v8
	v_min3_f16 v16, v16, v8, v9
	v_dual_mov_b32 v8, 0 :: v_dual_mov_b32 v9, 0
	global_store_b16 v[17:18], v16, off
	s_cbranch_vccnz .LBB209_160
; %bb.159:
	v_add_co_u32 v16, vcc_lo, v12, v34
	v_add_co_ci_u32_e32 v17, vcc_lo, v13, v35, vcc_lo
	flat_load_u16 v9, v[16:17]
	s_waitcnt vmcnt(0) lgkmcnt(0)
	v_mul_f16_e32 v9, s15, v9
.LBB209_160:
	v_pk_add_f16 v10, v10, v26
	v_pk_max_f16 v16, v53, v53
	v_pk_add_f16 v11, v11, v27
	s_delay_alu instid0(VALU_DEP_2) | instskip(NEXT) | instid1(VALU_DEP_1)
	v_pk_min_f16 v10, v16, v10
	v_pk_min_f16 v10, v10, v11
	s_delay_alu instid0(VALU_DEP_1) | instskip(NEXT) | instid1(VALU_DEP_1)
	v_lshrrev_b32_e32 v11, 16, v10
	v_min3_f16 v11, v9, v10, v11
	v_add_co_u32 v9, vcc_lo, v14, v34
	v_add_co_ci_u32_e32 v10, vcc_lo, v15, v35, vcc_lo
	s_and_b32 vcc_lo, exec_lo, s0
	global_store_b16 v[9:10], v11, off
	s_cbranch_vccnz .LBB209_162
; %bb.161:
	v_add_co_u32 v8, vcc_lo, v12, v40
	v_add_co_ci_u32_e32 v9, vcc_lo, v13, v41, vcc_lo
	flat_load_u16 v8, v[8:9]
	s_waitcnt vmcnt(0) lgkmcnt(0)
	v_mul_f16_e32 v8, s15, v8
.LBB209_162:
	v_pk_add_f16 v4, v4, v26
	v_pk_max_f16 v9, v52, v52
	v_pk_add_f16 v5, v5, v27
	s_delay_alu instid0(VALU_DEP_2) | instskip(SKIP_2) | instid1(VALU_DEP_3)
	v_pk_min_f16 v4, v9, v4
	v_add_co_u32 v9, vcc_lo, v14, v40
	v_add_co_ci_u32_e32 v10, vcc_lo, v15, v41, vcc_lo
	v_pk_min_f16 v4, v4, v5
	s_and_b32 vcc_lo, exec_lo, s0
	s_delay_alu instid0(VALU_DEP_1) | instskip(NEXT) | instid1(VALU_DEP_1)
	v_lshrrev_b32_e32 v5, 16, v4
	v_min3_f16 v8, v8, v4, v5
	v_dual_mov_b32 v4, 0 :: v_dual_mov_b32 v5, 0
	global_store_b16 v[9:10], v8, off
	s_cbranch_vccnz .LBB209_164
; %bb.163:
	v_add_co_u32 v8, vcc_lo, v12, v42
	v_add_co_ci_u32_e32 v9, vcc_lo, v13, v43, vcc_lo
	flat_load_u16 v5, v[8:9]
	s_waitcnt vmcnt(0) lgkmcnt(0)
	v_mul_f16_e32 v5, s15, v5
.LBB209_164:
	v_pk_add_f16 v6, v6, v26
	v_pk_max_f16 v8, v51, v51
	v_pk_add_f16 v7, v7, v27
	s_delay_alu instid0(VALU_DEP_2) | instskip(NEXT) | instid1(VALU_DEP_1)
	v_pk_min_f16 v6, v8, v6
	v_pk_min_f16 v6, v6, v7
	s_delay_alu instid0(VALU_DEP_1) | instskip(NEXT) | instid1(VALU_DEP_1)
	v_lshrrev_b32_e32 v7, 16, v6
	v_min3_f16 v7, v5, v6, v7
	v_add_co_u32 v5, vcc_lo, v14, v42
	v_add_co_ci_u32_e32 v6, vcc_lo, v15, v43, vcc_lo
	s_and_b32 vcc_lo, exec_lo, s0
	global_store_b16 v[5:6], v7, off
	s_cbranch_vccnz .LBB209_166
; %bb.165:
	v_add_co_u32 v4, vcc_lo, v12, v38
	v_add_co_ci_u32_e32 v5, vcc_lo, v13, v39, vcc_lo
	flat_load_u16 v4, v[4:5]
	s_waitcnt vmcnt(0) lgkmcnt(0)
	v_mul_f16_e32 v4, s15, v4
.LBB209_166:
	v_pk_add_f16 v0, v0, v26
	v_pk_max_f16 v5, v50, v50
	v_pk_add_f16 v2, v2, v26
	v_pk_max_f16 v6, v49, v49
	v_pk_add_f16 v1, v1, v27
	v_pk_add_f16 v3, v3, v27
	v_pk_min_f16 v0, v5, v0
	s_delay_alu instid0(VALU_DEP_4) | instskip(NEXT) | instid1(VALU_DEP_2)
	v_pk_min_f16 v2, v6, v2
	v_pk_min_f16 v0, v0, v1
	s_delay_alu instid0(VALU_DEP_2) | instskip(NEXT) | instid1(VALU_DEP_2)
	v_pk_min_f16 v1, v2, v3
	v_lshrrev_b32_e32 v2, 16, v0
	s_delay_alu instid0(VALU_DEP_2) | instskip(NEXT) | instid1(VALU_DEP_2)
	v_lshrrev_b32_e32 v3, 16, v1
	v_min3_f16 v4, v4, v0, v2
	s_delay_alu instid0(VALU_DEP_2) | instskip(SKIP_2) | instid1(VALU_DEP_3)
	v_min_f16_e32 v0, v1, v3
	v_add_co_u32 v1, vcc_lo, v14, v38
	v_add_co_ci_u32_e32 v2, vcc_lo, v15, v39, vcc_lo
	v_max_f16_e32 v0, v0, v0
	s_mov_b32 vcc_lo, s2
	global_store_b16 v[1:2], v4, off
	s_cbranch_vccz .LBB209_169
; %bb.167:
	v_add_co_u32 v1, vcc_lo, v14, v36
	v_min_f16_e32 v3, 0, v0
	v_add_co_ci_u32_e32 v2, vcc_lo, v15, v37, vcc_lo
	s_mov_b32 s0, 0
	global_store_b16 v[1:2], v3, off
	s_cbranch_execz .LBB209_170
; %bb.168:
	v_mov_b32_e32 v0, s0
	s_branch .LBB209_171
.LBB209_169:
	s_mov_b32 s0, -1
.LBB209_170:
	v_add_co_u32 v1, vcc_lo, v12, v36
	v_add_co_ci_u32_e32 v2, vcc_lo, v13, v37, vcc_lo
	flat_load_u16 v1, v[1:2]
	s_waitcnt vmcnt(0) lgkmcnt(0)
	v_mul_f16_e32 v3, s15, v1
	v_add_co_u32 v1, vcc_lo, v14, v36
	v_add_co_ci_u32_e32 v2, vcc_lo, v15, v37, vcc_lo
	s_delay_alu instid0(VALU_DEP_3)
	v_min_f16_e32 v0, v3, v0
	v_add_co_u32 v3, vcc_lo, v12, v44
	v_add_co_ci_u32_e32 v4, vcc_lo, v13, v45, vcc_lo
	global_store_b16 v[1:2], v0, off
	flat_load_u16 v0, v[3:4]
	s_waitcnt vmcnt(0) lgkmcnt(0)
	v_mul_f16_e32 v0, s15, v0
.LBB209_171:
	v_pk_add_f16 v1, v24, v26
	v_pk_max_f16 v2, v48, v48
	v_pk_add_f16 v3, v25, v27
	s_delay_alu instid0(VALU_DEP_2) | instskip(NEXT) | instid1(VALU_DEP_1)
	v_pk_min_f16 v1, v2, v1
	v_pk_min_f16 v1, v1, v3
	s_delay_alu instid0(VALU_DEP_1) | instskip(NEXT) | instid1(VALU_DEP_1)
	v_lshrrev_b32_e32 v2, 16, v1
	v_min3_f16 v2, v0, v1, v2
	v_add_co_u32 v0, vcc_lo, v14, v44
	v_add_co_ci_u32_e32 v1, vcc_lo, v15, v45, vcc_lo
	global_store_b16 v[0:1], v2, off
	s_nop 0
	s_sendmsg sendmsg(MSG_DEALLOC_VGPRS)
	s_endpgm
	.section	.rodata,"a",@progbits
	.p2align	6, 0x0
	.amdhsa_kernel _ZN12_GLOBAL__N_120geam_min_plus_kernelIDF16_Dv2_DF16_S1_Li32ELi8ELi256ELi64ELi4ELi64ELi4ELi4ELi64ELc78ELc78ELb0ELb0ELb1EDF16_KPKDF16_KPDF16_EEviiiT16_PT17_ilS9_ilS7_S9_ilPT18_ili26rocblas_geam_ex_operation_
		.amdhsa_group_segment_fixed_size 5120
		.amdhsa_private_segment_fixed_size 0
		.amdhsa_kernarg_size 128
		.amdhsa_user_sgpr_count 14
		.amdhsa_user_sgpr_dispatch_ptr 0
		.amdhsa_user_sgpr_queue_ptr 0
		.amdhsa_user_sgpr_kernarg_segment_ptr 1
		.amdhsa_user_sgpr_dispatch_id 0
		.amdhsa_user_sgpr_private_segment_size 0
		.amdhsa_wavefront_size32 1
		.amdhsa_uses_dynamic_stack 0
		.amdhsa_enable_private_segment 0
		.amdhsa_system_sgpr_workgroup_id_x 1
		.amdhsa_system_sgpr_workgroup_id_y 0
		.amdhsa_system_sgpr_workgroup_id_z 1
		.amdhsa_system_sgpr_workgroup_info 0
		.amdhsa_system_vgpr_workitem_id 1
		.amdhsa_next_free_vgpr 158
		.amdhsa_next_free_sgpr 24
		.amdhsa_reserve_vcc 1
		.amdhsa_float_round_mode_32 0
		.amdhsa_float_round_mode_16_64 0
		.amdhsa_float_denorm_mode_32 3
		.amdhsa_float_denorm_mode_16_64 3
		.amdhsa_dx10_clamp 1
		.amdhsa_ieee_mode 1
		.amdhsa_fp16_overflow 0
		.amdhsa_workgroup_processor_mode 1
		.amdhsa_memory_ordered 1
		.amdhsa_forward_progress 0
		.amdhsa_shared_vgpr_count 0
		.amdhsa_exception_fp_ieee_invalid_op 0
		.amdhsa_exception_fp_denorm_src 0
		.amdhsa_exception_fp_ieee_div_zero 0
		.amdhsa_exception_fp_ieee_overflow 0
		.amdhsa_exception_fp_ieee_underflow 0
		.amdhsa_exception_fp_ieee_inexact 0
		.amdhsa_exception_int_div_zero 0
	.end_amdhsa_kernel
	.section	.text._ZN12_GLOBAL__N_120geam_min_plus_kernelIDF16_Dv2_DF16_S1_Li32ELi8ELi256ELi64ELi4ELi64ELi4ELi4ELi64ELc78ELc78ELb0ELb0ELb1EDF16_KPKDF16_KPDF16_EEviiiT16_PT17_ilS9_ilS7_S9_ilPT18_ili26rocblas_geam_ex_operation_,"axG",@progbits,_ZN12_GLOBAL__N_120geam_min_plus_kernelIDF16_Dv2_DF16_S1_Li32ELi8ELi256ELi64ELi4ELi64ELi4ELi4ELi64ELc78ELc78ELb0ELb0ELb1EDF16_KPKDF16_KPDF16_EEviiiT16_PT17_ilS9_ilS7_S9_ilPT18_ili26rocblas_geam_ex_operation_,comdat
.Lfunc_end209:
	.size	_ZN12_GLOBAL__N_120geam_min_plus_kernelIDF16_Dv2_DF16_S1_Li32ELi8ELi256ELi64ELi4ELi64ELi4ELi4ELi64ELc78ELc78ELb0ELb0ELb1EDF16_KPKDF16_KPDF16_EEviiiT16_PT17_ilS9_ilS7_S9_ilPT18_ili26rocblas_geam_ex_operation_, .Lfunc_end209-_ZN12_GLOBAL__N_120geam_min_plus_kernelIDF16_Dv2_DF16_S1_Li32ELi8ELi256ELi64ELi4ELi64ELi4ELi4ELi64ELc78ELc78ELb0ELb0ELb1EDF16_KPKDF16_KPDF16_EEviiiT16_PT17_ilS9_ilS7_S9_ilPT18_ili26rocblas_geam_ex_operation_
                                        ; -- End function
	.section	.AMDGPU.csdata,"",@progbits
; Kernel info:
; codeLenInByte = 18436
; NumSgprs: 26
; NumVgprs: 158
; ScratchSize: 0
; MemoryBound: 0
; FloatMode: 240
; IeeeMode: 1
; LDSByteSize: 5120 bytes/workgroup (compile time only)
; SGPRBlocks: 3
; VGPRBlocks: 19
; NumSGPRsForWavesPerEU: 26
; NumVGPRsForWavesPerEU: 158
; Occupancy: 9
; WaveLimiterHint : 1
; COMPUTE_PGM_RSRC2:SCRATCH_EN: 0
; COMPUTE_PGM_RSRC2:USER_SGPR: 14
; COMPUTE_PGM_RSRC2:TRAP_HANDLER: 0
; COMPUTE_PGM_RSRC2:TGID_X_EN: 1
; COMPUTE_PGM_RSRC2:TGID_Y_EN: 0
; COMPUTE_PGM_RSRC2:TGID_Z_EN: 1
; COMPUTE_PGM_RSRC2:TIDIG_COMP_CNT: 1
	.section	.text._ZN12_GLOBAL__N_120geam_min_plus_kernelIDF16_Dv2_DF16_S1_Li32ELi8ELi256ELi64ELi4ELi64ELi4ELi4ELi64ELc78ELc78ELb0ELb1ELb1EPKDF16_KS3_KPDF16_EEviiiT16_PT17_ilS9_ilS7_S9_ilPT18_ili26rocblas_geam_ex_operation_,"axG",@progbits,_ZN12_GLOBAL__N_120geam_min_plus_kernelIDF16_Dv2_DF16_S1_Li32ELi8ELi256ELi64ELi4ELi64ELi4ELi4ELi64ELc78ELc78ELb0ELb1ELb1EPKDF16_KS3_KPDF16_EEviiiT16_PT17_ilS9_ilS7_S9_ilPT18_ili26rocblas_geam_ex_operation_,comdat
	.globl	_ZN12_GLOBAL__N_120geam_min_plus_kernelIDF16_Dv2_DF16_S1_Li32ELi8ELi256ELi64ELi4ELi64ELi4ELi4ELi64ELc78ELc78ELb0ELb1ELb1EPKDF16_KS3_KPDF16_EEviiiT16_PT17_ilS9_ilS7_S9_ilPT18_ili26rocblas_geam_ex_operation_ ; -- Begin function _ZN12_GLOBAL__N_120geam_min_plus_kernelIDF16_Dv2_DF16_S1_Li32ELi8ELi256ELi64ELi4ELi64ELi4ELi4ELi64ELc78ELc78ELb0ELb1ELb1EPKDF16_KS3_KPDF16_EEviiiT16_PT17_ilS9_ilS7_S9_ilPT18_ili26rocblas_geam_ex_operation_
	.p2align	8
	.type	_ZN12_GLOBAL__N_120geam_min_plus_kernelIDF16_Dv2_DF16_S1_Li32ELi8ELi256ELi64ELi4ELi64ELi4ELi4ELi64ELc78ELc78ELb0ELb1ELb1EPKDF16_KS3_KPDF16_EEviiiT16_PT17_ilS9_ilS7_S9_ilPT18_ili26rocblas_geam_ex_operation_,@function
_ZN12_GLOBAL__N_120geam_min_plus_kernelIDF16_Dv2_DF16_S1_Li32ELi8ELi256ELi64ELi4ELi64ELi4ELi4ELi64ELc78ELc78ELb0ELb1ELb1EPKDF16_KS3_KPDF16_EEviiiT16_PT17_ilS9_ilS7_S9_ilPT18_ili26rocblas_geam_ex_operation_: ; @_ZN12_GLOBAL__N_120geam_min_plus_kernelIDF16_Dv2_DF16_S1_Li32ELi8ELi256ELi64ELi4ELi64ELi4ELi4ELi64ELc78ELc78ELb0ELb1ELb1EPKDF16_KS3_KPDF16_EEviiiT16_PT17_ilS9_ilS7_S9_ilPT18_ili26rocblas_geam_ex_operation_
; %bb.0:
	s_clause 0x1
	s_load_b128 s[16:19], s[0:1], 0x10
	s_load_b128 s[4:7], s[0:1], 0x40
	s_mov_b32 s12, s15
	s_mov_b32 s13, 0
	v_mov_b32_e32 v1, 0
	s_lshl_b64 s[2:3], s[12:13], 1
	s_load_b128 s[8:11], s[0:1], 0x28
	s_mov_b64 s[22:23], 0
	s_mov_b64 s[20:21], 0
	s_waitcnt lgkmcnt(0)
	s_add_u32 s16, s16, s2
	s_addc_u32 s17, s17, s3
	s_add_u32 s2, s6, s2
	global_load_u16 v44, v1, s[16:17]
	s_addc_u32 s3, s7, s3
	global_load_u16 v48, v1, s[2:3]
	s_load_b64 s[16:17], s[0:1], 0x50
	s_waitcnt vmcnt(1)
	v_cmp_eq_f16_e32 vcc_lo, 0, v44
	v_cmp_neq_f16_e64 s2, 0, v44
	s_cbranch_vccnz .LBB210_2
; %bb.1:
	s_lshl_b64 s[6:7], s[12:13], 3
	s_delay_alu instid0(SALU_CYCLE_1)
	s_add_u32 s6, s18, s6
	s_addc_u32 s7, s19, s7
	s_lshl_b64 s[8:9], s[8:9], 1
	s_load_b64 s[6:7], s[6:7], 0x0
	s_waitcnt lgkmcnt(0)
	s_add_u32 s20, s6, s8
	s_addc_u32 s21, s7, s9
.LBB210_2:
	s_delay_alu instid0(VALU_DEP_1)
	s_and_not1_b32 vcc_lo, exec_lo, s2
	s_cbranch_vccnz .LBB210_4
; %bb.3:
	s_lshl_b64 s[2:3], s[12:13], 3
	s_delay_alu instid0(SALU_CYCLE_1)
	s_add_u32 s2, s10, s2
	s_addc_u32 s3, s11, s3
	s_lshl_b64 s[4:5], s[4:5], 1
	s_load_b64 s[2:3], s[2:3], 0x0
	s_waitcnt lgkmcnt(0)
	s_add_u32 s22, s2, s4
	s_addc_u32 s23, s3, s5
.LBB210_4:
	s_load_b128 s[4:7], s[0:1], 0x60
	s_waitcnt vmcnt(0)
	v_cmp_eq_f16_e32 vcc_lo, 0, v48
	v_cmp_neq_f16_e64 s2, 0, v48
	s_cbranch_vccnz .LBB210_6
; %bb.5:
	s_lshl_b64 s[8:9], s[12:13], 3
	s_waitcnt lgkmcnt(0)
	s_add_u32 s8, s16, s8
	s_addc_u32 s9, s17, s9
	s_lshl_b64 s[4:5], s[4:5], 1
	s_load_b64 s[8:9], s[8:9], 0x0
	s_waitcnt lgkmcnt(0)
	s_add_u32 s10, s8, s4
	s_addc_u32 s11, s9, s5
	s_branch .LBB210_7
.LBB210_6:
	s_mov_b64 s[10:11], 0
.LBB210_7:
	s_waitcnt lgkmcnt(0)
	s_clause 0x1
	s_load_b128 s[16:19], s[0:1], 0x0
	s_load_b32 s24, s[0:1], 0x20
	s_lshl_b64 s[4:5], s[12:13], 3
	v_and_b32_e32 v42, 0x3ff, v0
	s_add_u32 s4, s6, s4
	s_addc_u32 s5, s7, s5
	v_bfe_u32 v43, v0, 10, 10
	s_delay_alu instid0(VALU_DEP_1) | instskip(NEXT) | instid1(VALU_DEP_1)
	v_lshl_add_u32 v5, v43, 5, v42
	v_lshrrev_b32_e32 v45, 6, v5
	v_and_b32_e32 v0, 63, v5
	s_waitcnt lgkmcnt(0)
	s_add_i32 s8, s16, -1
	s_delay_alu instid0(SALU_CYCLE_1) | instskip(NEXT) | instid1(SALU_CYCLE_1)
	s_ashr_i32 s3, s8, 31
	s_lshr_b32 s3, s3, 24
	s_delay_alu instid0(SALU_CYCLE_1) | instskip(NEXT) | instid1(SALU_CYCLE_1)
	s_add_i32 s3, s8, s3
	s_ashr_i32 s3, s3, 8
	s_delay_alu instid0(SALU_CYCLE_1) | instskip(SKIP_2) | instid1(VALU_DEP_1)
	s_add_i32 s6, s3, 1
	s_not_b32 s3, s3
	v_cvt_f32_u32_e32 v1, s6
	v_rcp_iflag_f32_e32 v1, v1
	s_waitcnt_depctr 0xfff
	v_mul_f32_e32 v1, 0x4f7ffffe, v1
	s_delay_alu instid0(VALU_DEP_1) | instskip(NEXT) | instid1(VALU_DEP_1)
	v_cvt_u32_f32_e32 v1, v1
	v_readfirstlane_b32 s7, v1
	s_delay_alu instid0(VALU_DEP_1) | instskip(NEXT) | instid1(SALU_CYCLE_1)
	s_mul_i32 s3, s3, s7
	s_mul_hi_u32 s3, s7, s3
	s_delay_alu instid0(SALU_CYCLE_1) | instskip(NEXT) | instid1(SALU_CYCLE_1)
	s_add_i32 s7, s7, s3
	s_mul_hi_u32 s3, s14, s7
	s_delay_alu instid0(SALU_CYCLE_1) | instskip(SKIP_2) | instid1(SALU_CYCLE_1)
	s_mul_i32 s7, s3, s6
	s_add_i32 s9, s3, 1
	s_sub_i32 s7, s14, s7
	s_sub_i32 s12, s7, s6
	s_cmp_ge_u32 s7, s6
	s_cselect_b32 s3, s9, s3
	s_cselect_b32 s7, s12, s7
	s_add_i32 s9, s3, 1
	s_cmp_ge_u32 s7, s6
	s_load_b64 s[12:13], s[4:5], 0x0
	s_cselect_b32 s9, s9, s3
	s_add_i32 s25, s18, -1
	s_mul_i32 s3, s9, s6
	v_min_i32_e32 v3, s25, v45
	s_sub_i32 s3, s14, s3
	v_cmp_le_i32_e64 s7, s18, v45
	s_lshl_b32 s15, s3, 8
	v_cmp_eq_f16_e64 s3, 0, v44
	v_mad_i64_i32 v[1:2], null, s24, v3, 0
	v_or_b32_e32 v8, s15, v0
	s_delay_alu instid0(VALU_DEP_1) | instskip(NEXT) | instid1(VALU_DEP_3)
	v_cmp_le_i32_e32 vcc_lo, s16, v8
	v_lshlrev_b64 v[2:3], 1, v[1:2]
	v_ashrrev_i32_e32 v9, 31, v8
	s_or_b32 s5, vcc_lo, s7
	s_delay_alu instid0(VALU_DEP_2) | instskip(SKIP_1) | instid1(VALU_DEP_4)
	v_add_co_u32 v6, s4, s20, v2
	v_cndmask_b32_e64 v1, 0, 0x7c00, s5
	v_add_co_ci_u32_e64 v7, s4, s21, v3, s4
	s_or_b32 s4, s3, s5
	s_delay_alu instid0(SALU_CYCLE_1) | instskip(NEXT) | instid1(SALU_CYCLE_1)
	s_xor_b32 s4, s4, -1
	s_and_saveexec_b32 s5, s4
	s_cbranch_execz .LBB210_9
; %bb.8:
	v_lshlrev_b64 v[1:2], 1, v[8:9]
	s_delay_alu instid0(VALU_DEP_1) | instskip(NEXT) | instid1(VALU_DEP_1)
	v_add_co_u32 v1, s4, v6, v1
	v_add_co_ci_u32_e64 v2, s4, v7, v2, s4
	flat_load_u16 v1, v[1:2]
	s_waitcnt vmcnt(0) lgkmcnt(0)
	v_mul_f16_e32 v1, v44, v1
.LBB210_9:
	s_or_b32 exec_lo, exec_lo, s5
	v_or_b32_e32 v2, 64, v8
	s_delay_alu instid0(VALU_DEP_1) | instskip(SKIP_1) | instid1(VALU_DEP_2)
	v_cmp_le_i32_e64 s4, s16, v2
	v_min_i32_e32 v10, s8, v2
	s_or_b32 s5, s4, s7
	s_delay_alu instid0(VALU_DEP_1) | instskip(SKIP_2) | instid1(SALU_CYCLE_1)
	v_ashrrev_i32_e32 v11, 31, v10
	v_cndmask_b32_e64 v2, 0, 0x7c00, s5
	s_or_b32 s5, s3, s5
	s_xor_b32 s5, s5, -1
	s_delay_alu instid0(SALU_CYCLE_1)
	s_and_saveexec_b32 s6, s5
	s_cbranch_execz .LBB210_11
; %bb.10:
	v_lshlrev_b64 v[2:3], 1, v[10:11]
	s_delay_alu instid0(VALU_DEP_1) | instskip(NEXT) | instid1(VALU_DEP_1)
	v_add_co_u32 v2, s5, v6, v2
	v_add_co_ci_u32_e64 v3, s5, v7, v3, s5
	flat_load_u16 v2, v[2:3]
	s_waitcnt vmcnt(0) lgkmcnt(0)
	v_mul_f16_e32 v2, v44, v2
.LBB210_11:
	s_or_b32 exec_lo, exec_lo, s6
	v_or_b32_e32 v3, 0x80, v8
	s_delay_alu instid0(VALU_DEP_1) | instskip(SKIP_1) | instid1(VALU_DEP_2)
	v_cmp_le_i32_e64 s5, s16, v3
	v_min_i32_e32 v12, s8, v3
	s_or_b32 s6, s5, s7
	s_delay_alu instid0(VALU_DEP_1) | instskip(SKIP_2) | instid1(SALU_CYCLE_1)
	v_ashrrev_i32_e32 v13, 31, v12
	v_cndmask_b32_e64 v3, 0, 0x7c00, s6
	s_or_b32 s6, s3, s6
	s_xor_b32 s6, s6, -1
	s_delay_alu instid0(SALU_CYCLE_1)
	;; [unrolled: 23-line block ×3, first 2 shown]
	s_and_saveexec_b32 s8, s7
	s_cbranch_execz .LBB210_15
; %bb.14:
	v_lshlrev_b64 v[16:17], 1, v[14:15]
	s_delay_alu instid0(VALU_DEP_1) | instskip(NEXT) | instid1(VALU_DEP_1)
	v_add_co_u32 v6, s7, v6, v16
	v_add_co_ci_u32_e64 v7, s7, v7, v17, s7
	flat_load_u16 v4, v[6:7]
	s_waitcnt vmcnt(0) lgkmcnt(0)
	v_mul_f16_e32 v4, v44, v4
.LBB210_15:
	s_or_b32 exec_lo, exec_lo, s8
	v_lshrrev_b32_e32 v5, 2, v5
	s_load_b32 s14, s[0:1], 0x38
	s_lshl_b32 s19, s9, 6
	v_and_b32_e32 v73, 3, v42
	s_delay_alu instid0(VALU_DEP_2) | instskip(NEXT) | instid1(VALU_DEP_2)
	v_add_nc_u32_e32 v16, s19, v5
	v_cmp_le_i32_e64 s8, s18, v73
	s_delay_alu instid0(VALU_DEP_2) | instskip(NEXT) | instid1(VALU_DEP_1)
	v_cmp_le_i32_e64 s7, s17, v16
	s_or_b32 s8, s8, s7
	s_delay_alu instid0(SALU_CYCLE_1) | instskip(SKIP_1) | instid1(SALU_CYCLE_1)
	v_cndmask_b32_e64 v6, 0, 0x7c00, s8
	s_or_b32 s8, s3, s8
	s_xor_b32 s8, s8, -1
	s_delay_alu instid0(SALU_CYCLE_1)
	s_and_saveexec_b32 s9, s8
	s_cbranch_execz .LBB210_17
; %bb.16:
	s_waitcnt lgkmcnt(0)
	v_mad_i64_i32 v[6:7], null, v16, s14, 0
	v_min_u32_e32 v17, s25, v73
	s_delay_alu instid0(VALU_DEP_1) | instskip(NEXT) | instid1(VALU_DEP_3)
	v_lshlrev_b32_e32 v17, 1, v17
	v_lshlrev_b64 v[6:7], 1, v[6:7]
	s_delay_alu instid0(VALU_DEP_1) | instskip(NEXT) | instid1(VALU_DEP_1)
	v_add_co_u32 v6, s8, s22, v6
	v_add_co_ci_u32_e64 v7, s8, s23, v7, s8
	s_delay_alu instid0(VALU_DEP_2) | instskip(NEXT) | instid1(VALU_DEP_1)
	v_add_co_u32 v6, s8, v6, v17
	v_add_co_ci_u32_e64 v7, s8, 0, v7, s8
	flat_load_u16 v6, v[6:7]
	s_waitcnt vmcnt(0) lgkmcnt(0)
	v_mul_f16_e32 v6, v44, v6
.LBB210_17:
	s_or_b32 exec_lo, exec_lo, s9
	v_add_nc_u32_e32 v7, 4, v45
	s_delay_alu instid0(VALU_DEP_1) | instskip(SKIP_1) | instid1(VALU_DEP_2)
	v_min_i32_e32 v19, s25, v7
	v_cmp_le_i32_e64 s8, s18, v7
	v_mad_i64_i32 v[17:18], null, s24, v19, 0
	s_delay_alu instid0(VALU_DEP_1) | instskip(NEXT) | instid1(VALU_DEP_1)
	v_lshlrev_b64 v[17:18], 1, v[17:18]
	v_add_co_u32 v7, s9, s20, v17
	s_delay_alu instid0(VALU_DEP_1) | instskip(SKIP_1) | instid1(SALU_CYCLE_1)
	v_add_co_ci_u32_e64 v21, s9, s21, v18, s9
	s_or_b32 s9, vcc_lo, s8
	v_cndmask_b32_e64 v17, 0, 0x7c00, s9
	s_or_b32 s9, s3, s9
	s_delay_alu instid0(SALU_CYCLE_1) | instskip(NEXT) | instid1(SALU_CYCLE_1)
	s_xor_b32 s9, s9, -1
	s_and_saveexec_b32 s26, s9
	s_cbranch_execz .LBB210_19
; %bb.18:
	v_lshlrev_b64 v[17:18], 1, v[8:9]
	s_delay_alu instid0(VALU_DEP_1) | instskip(NEXT) | instid1(VALU_DEP_1)
	v_add_co_u32 v17, s9, v7, v17
	v_add_co_ci_u32_e64 v18, s9, v21, v18, s9
	flat_load_u16 v17, v[17:18]
	s_waitcnt vmcnt(0) lgkmcnt(0)
	v_mul_f16_e32 v17, v44, v17
.LBB210_19:
	s_or_b32 exec_lo, exec_lo, s26
	s_or_b32 s9, s4, s8
	s_delay_alu instid0(SALU_CYCLE_1) | instskip(SKIP_1) | instid1(SALU_CYCLE_1)
	v_cndmask_b32_e64 v18, 0, 0x7c00, s9
	s_or_b32 s9, s3, s9
	s_xor_b32 s9, s9, -1
	s_delay_alu instid0(SALU_CYCLE_1)
	s_and_saveexec_b32 s26, s9
	s_cbranch_execz .LBB210_21
; %bb.20:
	v_lshlrev_b64 v[18:19], 1, v[10:11]
	s_delay_alu instid0(VALU_DEP_1) | instskip(NEXT) | instid1(VALU_DEP_1)
	v_add_co_u32 v18, s9, v7, v18
	v_add_co_ci_u32_e64 v19, s9, v21, v19, s9
	flat_load_u16 v18, v[18:19]
	s_waitcnt vmcnt(0) lgkmcnt(0)
	v_mul_f16_e32 v18, v44, v18
.LBB210_21:
	s_or_b32 exec_lo, exec_lo, s26
	s_or_b32 s9, s5, s8
	s_delay_alu instid0(SALU_CYCLE_1) | instskip(SKIP_1) | instid1(SALU_CYCLE_1)
	v_cndmask_b32_e64 v19, 0, 0x7c00, s9
	s_or_b32 s9, s3, s9
	s_xor_b32 s9, s9, -1
	s_delay_alu instid0(SALU_CYCLE_1)
	;; [unrolled: 18-line block ×3, first 2 shown]
	s_and_saveexec_b32 s9, s8
	s_cbranch_execz .LBB210_25
; %bb.24:
	v_lshlrev_b64 v[22:23], 1, v[14:15]
	s_delay_alu instid0(VALU_DEP_1) | instskip(NEXT) | instid1(VALU_DEP_1)
	v_add_co_u32 v20, s8, v7, v22
	v_add_co_ci_u32_e64 v21, s8, v21, v23, s8
	flat_load_u16 v7, v[20:21]
	s_waitcnt vmcnt(0) lgkmcnt(0)
	v_mul_f16_e32 v20, v44, v7
.LBB210_25:
	s_or_b32 exec_lo, exec_lo, s9
	v_or_b32_e32 v7, 4, v73
	s_delay_alu instid0(VALU_DEP_1) | instskip(NEXT) | instid1(VALU_DEP_1)
	v_cmp_le_i32_e64 s8, s18, v7
	s_or_b32 s8, s8, s7
	s_delay_alu instid0(SALU_CYCLE_1) | instskip(SKIP_1) | instid1(SALU_CYCLE_1)
	v_cndmask_b32_e64 v22, 0, 0x7c00, s8
	s_or_b32 s8, s3, s8
	s_xor_b32 s8, s8, -1
	s_delay_alu instid0(SALU_CYCLE_1)
	s_and_saveexec_b32 s9, s8
	s_cbranch_execz .LBB210_27
; %bb.26:
	s_waitcnt lgkmcnt(0)
	v_mad_i64_i32 v[21:22], null, v16, s14, 0
	v_min_u32_e32 v7, s25, v7
	s_delay_alu instid0(VALU_DEP_1) | instskip(NEXT) | instid1(VALU_DEP_3)
	v_lshlrev_b32_e32 v7, 1, v7
	v_lshlrev_b64 v[21:22], 1, v[21:22]
	s_delay_alu instid0(VALU_DEP_1) | instskip(NEXT) | instid1(VALU_DEP_1)
	v_add_co_u32 v21, s8, s22, v21
	v_add_co_ci_u32_e64 v22, s8, s23, v22, s8
	s_delay_alu instid0(VALU_DEP_2) | instskip(NEXT) | instid1(VALU_DEP_1)
	v_add_co_u32 v21, s8, v21, v7
	v_add_co_ci_u32_e64 v22, s8, 0, v22, s8
	flat_load_u16 v7, v[21:22]
	s_waitcnt vmcnt(0) lgkmcnt(0)
	v_mul_f16_e32 v22, v44, v7
.LBB210_27:
	s_or_b32 exec_lo, exec_lo, s9
	v_lshlrev_b32_e32 v7, 1, v45
	v_lshlrev_b32_e32 v47, 3, v43
	;; [unrolled: 1-line block ×4, first 2 shown]
	s_cmp_lt_i32 s18, 9
	v_lshl_add_u32 v81, v0, 3, v7
	v_add_nc_u32_e32 v40, 0x1000, v47
	v_lshl_or_b32 v23, v5, 3, v21
	ds_store_b16 v81, v1
	ds_store_b16 v81, v2 offset:512
	ds_store_b16 v81, v3 offset:1024
	;; [unrolled: 1-line block ×4, first 2 shown]
	s_waitcnt lgkmcnt(0)
	s_barrier
	buffer_gl0_inv
	ds_load_2addr_b64 v[24:27], v46 offset1:32
	ds_load_2addr_b64 v[28:31], v40 offset1:8
	ds_load_2addr_b64 v[32:35], v46 offset0:64 offset1:96
	ds_load_2addr_b64 v[4:7], v46 offset0:128 offset1:160
	ds_load_2addr_b64 v[0:3], v46 offset0:192 offset1:224
	ds_load_2addr_b64 v[36:39], v40 offset0:16 offset1:24
	ds_load_2addr_b64 v[49:52], v40 offset0:32 offset1:40
	s_waitcnt lgkmcnt(5)
	v_pk_add_f16 v53, v26, v28
	v_pk_add_f16 v85, v27, v29
	s_waitcnt lgkmcnt(3)
	v_pk_add_f16 v57, v6, v28
	v_pk_add_f16 v41, v24, v28
	s_waitcnt lgkmcnt(2)
	v_pk_add_f16 v59, v2, v28
	v_pk_min_f16 v53, 0x7c00, v53 op_sel_hi:[0,1]
	v_pk_add_f16 v89, v7, v29
	v_pk_add_f16 v54, v32, v28
	;; [unrolled: 1-line block ×4, first 2 shown]
	v_pk_min_f16 v119, v53, v85
	v_pk_min_f16 v53, 0x7c00, v57 op_sel_hi:[0,1]
	v_pk_add_f16 v84, v25, v29
	v_pk_add_f16 v91, v3, v29
	v_pk_min_f16 v41, 0x7c00, v41 op_sel_hi:[0,1]
	v_pk_add_f16 v58, v0, v28
	v_pk_min_f16 v109, v53, v89
	v_pk_min_f16 v53, 0x7c00, v59 op_sel_hi:[0,1]
	v_pk_add_f16 v60, v24, v30
	v_pk_add_f16 v67, v2, v30
	s_waitcnt lgkmcnt(1)
	v_pk_add_f16 v68, v24, v36
	v_pk_add_f16 v69, v26, v36
	;; [unrolled: 1-line block ×11, first 2 shown]
	v_pk_min_f16 v120, v41, v84
	v_pk_min_f16 v41, 0x7c00, v54 op_sel_hi:[0,1]
	v_pk_min_f16 v54, 0x7c00, v55 op_sel_hi:[0,1]
	v_pk_min_f16 v107, v53, v91
	v_pk_min_f16 v53, 0x7c00, v63 op_sel_hi:[0,1]
	v_pk_add_f16 v56, v4, v28
	v_pk_add_f16 v62, v32, v30
	;; [unrolled: 1-line block ×15, first 2 shown]
	v_pk_min_f16 v118, v41, v86
	v_pk_min_f16 v117, v54, v87
	v_pk_min_f16 v41, 0x7c00, v58 op_sel_hi:[0,1]
	v_pk_min_f16 v54, 0x7c00, v60 op_sel_hi:[0,1]
	v_pk_min_f16 v103, v53, v95
	v_pk_min_f16 v53, 0x7c00, v67 op_sel_hi:[0,1]
	v_pk_min_f16 v36, 0x7c00, v36 op_sel_hi:[0,1]
	v_pk_add_f16 v61, v26, v30
	v_pk_add_f16 v64, v4, v30
	;; [unrolled: 1-line block ×8, first 2 shown]
	v_pk_min_f16 v55, 0x7c00, v56 op_sel_hi:[0,1]
	v_pk_min_f16 v108, v41, v90
	v_pk_min_f16 v41, 0x7c00, v62 op_sel_hi:[0,1]
	v_pk_min_f16 v106, v54, v92
	;; [unrolled: 2-line block ×4, first 2 shown]
	v_pk_min_f16 v36, 0x7c00, v78 op_sel_hi:[0,1]
	v_pk_add_f16 v66, v0, v30
	v_pk_add_f16 v76, v24, v38
	v_pk_add_f16 v77, v26, v38
	v_pk_add_f16 v80, v4, v38
	v_pk_add_f16 v82, v6, v38
	v_pk_add_f16 v38, v2, v38
	v_pk_add_f16 v93, v27, v31
	v_pk_add_f16 v96, v5, v31
	v_pk_add_f16 v125, v35, v39
	v_pk_add_f16 v128, v1, v39
	s_waitcnt lgkmcnt(0)
	v_pk_add_f16 v129, v24, v49
	v_pk_min_f16 v116, v55, v88
	v_pk_min_f16 v55, 0x7c00, v61 op_sel_hi:[0,1]
	v_pk_min_f16 v104, v41, v94
	v_pk_min_f16 v41, 0x7c00, v64 op_sel_hi:[0,1]
	v_pk_min_f16 v101, v54, v97
	v_pk_min_f16 v97, v53, v111
	v_pk_min_f16 v53, 0x7c00, v74 op_sel_hi:[0,1]
	v_pk_min_f16 v37, 0x7c00, v79 op_sel_hi:[0,1]
	v_pk_min_f16 v88, v36, v124
	v_pk_min_f16 v36, 0x7c00, v83 op_sel_hi:[0,1]
	v_pk_add_f16 v98, v1, v31
	v_pk_add_f16 v122, v25, v39
	;; [unrolled: 1-line block ×8, first 2 shown]
	ds_load_2addr_b64 v[28:31], v40 offset0:48 offset1:56
	v_pk_add_f16 v142, v25, v50
	v_pk_min_f16 v105, v55, v93
	v_pk_min_f16 v55, 0x7c00, v66 op_sel_hi:[0,1]
	v_pk_min_f16 v102, v41, v96
	v_pk_min_f16 v41, 0x7c00, v68 op_sel_hi:[0,1]
	;; [unrolled: 2-line block ×5, first 2 shown]
	v_pk_add_f16 v130, v26, v49
	v_pk_add_f16 v134, v6, v49
	;; [unrolled: 1-line block ×5, first 2 shown]
	v_pk_min_f16 v100, v55, v98
	v_pk_min_f16 v98, v41, v110
	v_pk_min_f16 v41, 0x7c00, v72 op_sel_hi:[0,1]
	v_pk_min_f16 v89, v53, v123
	v_pk_min_f16 v53, 0x7c00, v82 op_sel_hi:[0,1]
	;; [unrolled: 2-line block ×4, first 2 shown]
	v_pk_add_f16 v131, v32, v49
	v_pk_add_f16 v135, v0, v49
	;; [unrolled: 1-line block ×8, first 2 shown]
	v_pk_min_f16 v54, 0x7c00, v70 op_sel_hi:[0,1]
	v_pk_min_f16 v94, v41, v114
	v_pk_min_f16 v41, 0x7c00, v75 op_sel_hi:[0,1]
	v_pk_min_f16 v38, 0x7c00, v130 op_sel_hi:[0,1]
	v_pk_min_f16 v78, v37, v145
	v_pk_min_f16 v37, 0x7c00, v134 op_sel_hi:[0,1]
	v_pk_min_f16 v77, v36, v146
	v_pk_min_f16 v36, 0x7c00, v136 op_sel_hi:[0,1]
	v_pk_add_f16 v139, v34, v51
	v_pk_add_f16 v140, v4, v51
	;; [unrolled: 1-line block ×9, first 2 shown]
	v_pk_min_f16 v96, v54, v112
	v_pk_min_f16 v54, 0x7c00, v76 op_sel_hi:[0,1]
	v_pk_min_f16 v92, v41, v121
	v_pk_min_f16 v41, 0x7c00, v80 op_sel_hi:[0,1]
	;; [unrolled: 2-line block ×3, first 2 shown]
	v_pk_min_f16 v39, 0x7c00, v49 op_sel_hi:[0,1]
	v_pk_min_f16 v76, v37, v147
	v_pk_min_f16 v37, 0x7c00, v137 op_sel_hi:[0,1]
	v_pk_min_f16 v72, v36, v149
	v_pk_min_f16 v36, 0x7c00, v138 op_sel_hi:[0,1]
	v_pk_add_f16 v51, v2, v51
	v_pk_add_f16 v152, v35, v52
	;; [unrolled: 1-line block ×5, first 2 shown]
	s_waitcnt lgkmcnt(0)
	v_pk_add_f16 v156, v24, v28
	v_pk_add_f16 v157, v26, v28
	v_pk_min_f16 v55, 0x7c00, v71 op_sel_hi:[0,1]
	v_pk_min_f16 v75, v38, v148
	v_pk_min_f16 v74, v39, v50
	v_pk_min_f16 v38, 0x7c00, v139 op_sel_hi:[0,1]
	v_pk_min_f16 v39, 0x7c00, v140 op_sel_hi:[0,1]
	v_pk_min_f16 v71, v37, v150
	v_pk_min_f16 v37, 0x7c00, v40 op_sel_hi:[0,1]
	v_pk_min_f16 v70, v36, v151
	v_pk_min_f16 v36, 0x7c00, v141 op_sel_hi:[0,1]
	v_pk_add_f16 v52, v3, v52
	v_pk_add_f16 v24, v24, v30
	;; [unrolled: 1-line block ×5, first 2 shown]
	v_pk_min_f16 v69, v38, v152
	v_pk_min_f16 v68, v39, v153
	;; [unrolled: 1-line block ×3, first 2 shown]
	v_pk_min_f16 v37, 0x7c00, v51 op_sel_hi:[0,1]
	v_pk_min_f16 v38, 0x7c00, v156 op_sel_hi:[0,1]
	;; [unrolled: 1-line block ×3, first 2 shown]
	v_pk_min_f16 v66, v36, v155
	v_pk_add_f16 v36, v4, v28
	v_pk_add_f16 v26, v26, v30
	;; [unrolled: 1-line block ×7, first 2 shown]
	v_pk_min_f16 v86, v41, v126
	v_pk_min_f16 v41, 0x7c00, v131 op_sel_hi:[0,1]
	v_pk_min_f16 v65, v37, v52
	v_pk_add_f16 v37, v6, v28
	v_pk_min_f16 v64, v38, v158
	v_pk_add_f16 v38, v0, v28
	v_pk_min_f16 v40, 0x7c00, v160 op_sel_hi:[0,1]
	v_pk_min_f16 v36, 0x7c00, v36 op_sel_hi:[0,1]
	v_pk_min_f16 v63, v39, v159
	v_pk_add_f16 v28, v2, v28
	v_pk_add_f16 v39, v5, v29
	v_pk_min_f16 v24, 0x7c00, v24 op_sel_hi:[0,1]
	v_pk_add_f16 v4, v4, v30
	v_pk_add_f16 v6, v6, v30
	;; [unrolled: 1-line block ×8, first 2 shown]
	v_pk_min_f16 v79, v41, v144
	v_pk_min_f16 v41, 0x7c00, v161 op_sel_hi:[0,1]
	v_pk_min_f16 v37, 0x7c00, v37 op_sel_hi:[0,1]
	;; [unrolled: 1-line block ×3, first 2 shown]
	v_pk_min_f16 v62, v40, v162
	v_pk_add_f16 v40, v7, v29
	v_pk_min_f16 v28, 0x7c00, v28 op_sel_hi:[0,1]
	v_pk_min_f16 v60, v36, v39
	v_pk_add_f16 v36, v1, v29
	v_pk_add_f16 v29, v3, v29
	v_pk_min_f16 v26, 0x7c00, v26 op_sel_hi:[0,1]
	v_pk_min_f16 v32, 0x7c00, v32 op_sel_hi:[0,1]
	v_pk_min_f16 v56, v24, v25
	v_pk_min_f16 v24, 0x7c00, v34 op_sel_hi:[0,1]
	v_pk_min_f16 v4, 0x7c00, v4 op_sel_hi:[0,1]
	;; [unrolled: 1-line block ×5, first 2 shown]
	v_pk_add_f16 v5, v5, v31
	v_pk_add_f16 v7, v7, v31
	;; [unrolled: 1-line block ×4, first 2 shown]
	v_pk_min_f16 v95, v55, v113
	v_pk_min_f16 v90, v54, v122
	;; [unrolled: 1-line block ×14, first 2 shown]
	ds_store_b16 v81, v17 offset:2048
	ds_store_b16 v81, v18 offset:2560
	;; [unrolled: 1-line block ×5, first 2 shown]
	s_waitcnt lgkmcnt(0)
	s_barrier
	buffer_gl0_inv
	s_cbranch_scc1 .LBB210_50
; %bb.28:
	v_mad_i64_i32 v[0:1], null, s14, v16, 0
	v_lshlrev_b64 v[32:33], 1, v[8:9]
	v_lshlrev_b64 v[34:35], 1, v[10:11]
	v_lshlrev_b64 v[36:37], 1, v[12:13]
	v_lshlrev_b64 v[38:39], 1, v[14:15]
	v_add_nc_u32_e32 v110, 0x1000, v23
	v_add_nc_u32_e32 v111, 0x1000, v47
	v_lshlrev_b64 v[0:1], 1, v[0:1]
	v_add_nc_u32_e32 v112, 0x800, v81
	v_add_nc_u32_e32 v113, 0x1200, v23
	v_lshl_add_u32 v114, v42, 3, 0x800
	v_lshl_add_u32 v115, v43, 3, 0x1200
	s_add_i32 s14, s18, -8
	v_add_co_u32 v0, s8, v0, v21
	s_delay_alu instid0(VALU_DEP_1) | instskip(NEXT) | instid1(VALU_DEP_2)
	v_add_co_ci_u32_e64 v1, s8, 0, v1, s8
	v_add_co_u32 v0, s8, v0, s22
	s_delay_alu instid0(VALU_DEP_1) | instskip(SKIP_1) | instid1(VALU_DEP_2)
	v_add_co_ci_u32_e64 v1, s8, s23, v1, s8
	s_mov_b32 s22, 0
	v_add_co_u32 v40, s8, v0, 24
	s_delay_alu instid0(VALU_DEP_1)
	v_add_co_ci_u32_e64 v41, s8, 0, v1, s8
	s_branch .LBB210_30
.LBB210_29:                             ;   in Loop: Header=BB210_30 Depth=1
	s_or_b32 exec_lo, exec_lo, s8
	ds_load_2addr_b64 v[125:128], v46 offset1:32
	ds_load_2addr_b64 v[88:91], v111 offset1:8
	ds_load_2addr_b64 v[129:132], v46 offset0:64 offset1:96
	ds_load_2addr_b64 v[133:136], v46 offset0:128 offset1:160
	;; [unrolled: 1-line block ×6, first 2 shown]
	v_pk_max_f16 v11, v87, v87
	v_pk_max_f16 v15, v85, v85
	v_pk_max_f16 v17, v83, v83
	v_pk_max_f16 v19, v82, v82
	v_pk_max_f16 v82, v86, v86
	v_pk_max_f16 v83, v84, v84
	v_pk_max_f16 v74, v74, v74
	v_pk_max_f16 v71, v71, v71
	v_pk_max_f16 v78, v78, v78
	v_pk_max_f16 v68, v68, v68
	v_pk_max_f16 v66, v66, v66
	v_pk_max_f16 v75, v75, v75
	v_pk_max_f16 v79, v79, v79
	s_waitcnt lgkmcnt(6)
	v_pk_add_f16 v84, v125, v88
	v_pk_add_f16 v85, v127, v88
	s_waitcnt lgkmcnt(5)
	v_pk_add_f16 v86, v129, v88
	v_pk_add_f16 v87, v131, v88
	s_waitcnt lgkmcnt(4)
	v_pk_add_f16 v92, v133, v88
	v_pk_min_f16 v11, v11, v84
	v_pk_min_f16 v15, v15, v85
	;; [unrolled: 1-line block ×3, first 2 shown]
	v_pk_add_f16 v84, v125, v90
	v_pk_add_f16 v85, v127, v90
	;; [unrolled: 1-line block ×4, first 2 shown]
	s_waitcnt lgkmcnt(3)
	v_pk_add_f16 v94, v137, v88
	v_pk_min_f16 v74, v74, v84
	v_pk_min_f16 v71, v71, v85
	;; [unrolled: 1-line block ×3, first 2 shown]
	v_pk_add_f16 v84, v135, v90
	v_pk_add_f16 v85, v137, v90
	v_pk_add_f16 v86, v139, v90
	v_pk_add_f16 v88, v139, v88
	v_pk_min_f16 v19, v19, v87
	v_pk_add_f16 v87, v131, v90
	v_pk_max_f16 v77, v77, v77
	v_pk_min_f16 v68, v68, v84
	v_pk_min_f16 v66, v66, v85
	;; [unrolled: 1-line block ×3, first 2 shown]
	s_waitcnt lgkmcnt(2)
	v_pk_add_f16 v84, v129, v141
	v_pk_max_f16 v63, v63, v63
	v_pk_add_f16 v85, v131, v141
	v_pk_max_f16 v61, v61, v61
	v_pk_add_f16 v86, v133, v141
	v_pk_max_f16 v69, v69, v69
	v_pk_min_f16 v79, v79, v88
	v_pk_add_f16 v88, v133, v90
	v_pk_max_f16 v76, v76, v76
	v_pk_min_f16 v77, v77, v87
	v_pk_add_f16 v87, v125, v141
	v_pk_max_f16 v72, v72, v72
	v_pk_min_f16 v63, v63, v84
	v_pk_min_f16 v61, v61, v85
	v_pk_min_f16 v69, v69, v86
	v_pk_add_f16 v84, v139, v141
	v_pk_max_f16 v58, v58, v58
	v_pk_add_f16 v85, v125, v143
	v_pk_max_f16 v56, v56, v56
	v_pk_add_f16 v86, v127, v143
	v_pk_max_f16 v64, v64, v64
	v_pk_min_f16 v76, v76, v88
	v_pk_add_f16 v88, v127, v141
	v_pk_max_f16 v70, v70, v70
	v_pk_min_f16 v72, v72, v87
	v_pk_add_f16 v87, v135, v141
	v_pk_max_f16 v67, v67, v67
	v_pk_min_f16 v58, v58, v84
	v_pk_min_f16 v56, v56, v85
	v_pk_min_f16 v64, v64, v86
	;; [unrolled: 15-line block ×3, first 2 shown]
	s_waitcnt lgkmcnt(1)
	v_pk_add_f16 v84, v127, v145
	v_pk_max_f16 v31, v31, v31
	v_pk_add_f16 v85, v129, v145
	v_pk_max_f16 v29, v29, v29
	v_pk_add_f16 v86, v131, v145
	v_pk_max_f16 v54, v54, v54
	v_pk_min_f16 v65, v65, v88
	v_pk_add_f16 v88, v131, v143
	v_pk_max_f16 v60, v60, v60
	v_pk_min_f16 v62, v62, v87
	v_pk_add_f16 v87, v139, v143
	v_pk_max_f16 v57, v57, v57
	v_pk_min_f16 v31, v31, v84
	v_pk_min_f16 v29, v29, v85
	v_pk_min_f16 v54, v54, v86
	v_pk_add_f16 v84, v137, v145
	v_pk_max_f16 v26, v26, v26
	v_pk_add_f16 v85, v139, v145
	v_pk_max_f16 v24, v24, v24
	v_pk_add_f16 v86, v125, v147
	v_pk_max_f16 v49, v49, v49
	v_pk_min_f16 v60, v60, v88
	v_pk_add_f16 v88, v125, v145
	v_pk_max_f16 v55, v55, v55
	v_pk_min_f16 v57, v57, v87
	v_pk_add_f16 v87, v133, v145
	v_pk_max_f16 v52, v52, v52
	v_pk_min_f16 v26, v26, v84
	v_pk_min_f16 v24, v24, v85
	v_pk_min_f16 v49, v49, v86
	;; [unrolled: 15-line block ×3, first 2 shown]
	s_waitcnt lgkmcnt(0)
	v_pk_add_f16 v84, v125, v149
	v_pk_max_f16 v14, v14, v14
	v_pk_add_f16 v85, v127, v149
	v_pk_max_f16 v10, v10, v10
	;; [unrolled: 2-line block ×3, first 2 shown]
	v_pk_min_f16 v50, v50, v88
	v_pk_add_f16 v88, v129, v147
	v_pk_max_f16 v28, v28, v28
	v_pk_min_f16 v30, v30, v87
	v_pk_add_f16 v87, v137, v147
	v_pk_max_f16 v25, v25, v25
	v_pk_min_f16 v14, v14, v84
	v_pk_min_f16 v10, v10, v85
	;; [unrolled: 1-line block ×3, first 2 shown]
	v_pk_add_f16 v84, v135, v149
	v_pk_max_f16 v8, v8, v8
	v_pk_add_f16 v85, v137, v149
	v_pk_max_f16 v6, v6, v6
	;; [unrolled: 2-line block ×3, first 2 shown]
	v_pk_min_f16 v28, v28, v88
	v_pk_add_f16 v88, v139, v147
	v_pk_max_f16 v23, v23, v23
	v_pk_min_f16 v25, v25, v87
	v_pk_add_f16 v87, v131, v149
	v_pk_max_f16 v20, v20, v20
	v_pk_min_f16 v8, v8, v84
	v_pk_min_f16 v6, v6, v85
	;; [unrolled: 1-line block ×3, first 2 shown]
	v_pk_add_f16 v84, v129, v151
	v_pk_max_f16 v4, v4, v4
	v_pk_add_f16 v85, v131, v151
	v_pk_max_f16 v2, v2, v2
	v_pk_add_f16 v86, v133, v151
	v_pk_max_f16 v7, v7, v7
	v_pk_max_f16 v80, v80, v80
	v_pk_min_f16 v23, v23, v88
	v_pk_add_f16 v88, v133, v149
	v_pk_max_f16 v16, v16, v16
	v_pk_min_f16 v20, v20, v87
	v_pk_add_f16 v87, v125, v151
	v_pk_max_f16 v12, v12, v12
	v_pk_min_f16 v4, v4, v84
	v_pk_min_f16 v2, v2, v85
	;; [unrolled: 1-line block ×3, first 2 shown]
	v_pk_add_f16 v84, v139, v151
	v_pk_max_f16 v1, v1, v1
	v_pk_add_f16 v85, v126, v89
	v_pk_add_f16 v86, v128, v89
	v_pk_min_f16 v80, v80, v92
	v_pk_min_f16 v82, v82, v93
	;; [unrolled: 1-line block ×3, first 2 shown]
	v_pk_add_f16 v88, v127, v151
	v_pk_max_f16 v9, v9, v9
	v_pk_min_f16 v12, v12, v87
	v_pk_add_f16 v87, v135, v151
	v_pk_max_f16 v5, v5, v5
	v_pk_min_f16 v1, v1, v84
	v_pk_min_f16 v120, v11, v85
	;; [unrolled: 1-line block ×3, first 2 shown]
	v_pk_add_f16 v11, v134, v89
	v_pk_add_f16 v15, v136, v89
	;; [unrolled: 1-line block ×3, first 2 shown]
	v_pk_min_f16 v9, v9, v88
	v_pk_add_f16 v88, v137, v151
	v_pk_max_f16 v3, v3, v3
	v_pk_min_f16 v5, v5, v87
	v_pk_add_f16 v87, v130, v89
	v_pk_min_f16 v116, v80, v11
	v_pk_min_f16 v109, v82, v15
	;; [unrolled: 1-line block ×3, first 2 shown]
	v_pk_add_f16 v11, v128, v91
	v_pk_add_f16 v15, v130, v91
	;; [unrolled: 1-line block ×3, first 2 shown]
	v_pk_min_f16 v83, v83, v94
	v_pk_min_f16 v3, v3, v88
	v_pk_add_f16 v88, v132, v89
	v_pk_min_f16 v118, v17, v87
	v_pk_add_f16 v17, v138, v89
	v_pk_min_f16 v105, v71, v11
	v_pk_min_f16 v104, v78, v15
	v_pk_min_f16 v101, v68, v74
	v_pk_add_f16 v11, v138, v91
	v_pk_add_f16 v15, v140, v91
	v_pk_add_f16 v68, v130, v142
	v_pk_min_f16 v117, v19, v88
	v_pk_add_f16 v19, v140, v89
	v_pk_min_f16 v108, v83, v17
	v_pk_add_f16 v17, v132, v91
	v_pk_min_f16 v100, v66, v11
	v_pk_min_f16 v99, v75, v15
	v_pk_min_f16 v96, v63, v68
	v_pk_add_f16 v11, v132, v142
	v_pk_add_f16 v15, v134, v142
	v_pk_add_f16 v63, v140, v142
	;; [unrolled: 10-line block ×8, first 2 shown]
	v_pk_add_f16 v18, v136, v150
	v_pk_min_f16 v76, v50, v19
	v_pk_add_f16 v19, v130, v148
	v_pk_min_f16 v71, v30, v17
	;; [unrolled: 2-line block ×3, first 2 shown]
	v_pk_min_f16 v62, v22, v14
	v_pk_min_f16 v61, v20, v15
	;; [unrolled: 1-line block ×3, first 2 shown]
	v_pk_add_f16 v8, v138, v150
	v_pk_add_f16 v10, v140, v150
	;; [unrolled: 1-line block ×4, first 2 shown]
	v_pk_min_f16 v70, v28, v19
	v_pk_add_f16 v19, v140, v148
	v_pk_min_f16 v66, v25, v17
	v_pk_add_f16 v17, v134, v150
	v_pk_add_f16 v11, v126, v152
	v_pk_min_f16 v58, v6, v8
	v_pk_min_f16 v57, v13, v10
	;; [unrolled: 1-line block ×4, first 2 shown]
	v_pk_add_f16 v4, v132, v152
	v_pk_add_f16 v6, v134, v152
	v_pk_add_f16 v8, v136, v152
	v_pk_add_f16 v9, v138, v152
	v_pk_add_f16 v10, v140, v152
	v_add_co_u32 v40, s8, v40, 16
	v_pk_min_f16 v65, v23, v19
	v_pk_min_f16 v60, v16, v17
	;; [unrolled: 1-line block ×8, first 2 shown]
	v_add_co_ci_u32_e64 v41, s8, 0, v41, s8
	s_add_i32 s22, s22, 8
	ds_store_b16 v112, v121
	ds_store_b16 v112, v122 offset:512
	ds_store_b16 v112, v123 offset:1024
	;; [unrolled: 1-line block ×3, first 2 shown]
	ds_store_b16 v113, v0
	s_cmp_ge_i32 s22, s14
	s_waitcnt lgkmcnt(0)
	s_barrier
	buffer_gl0_inv
	s_cbranch_scc1 .LBB210_50
.LBB210_30:                             ; =>This Inner Loop Header: Depth=1
	v_add_nc_u32_e32 v0, s22, v45
	s_delay_alu instid0(VALU_DEP_1) | instskip(NEXT) | instid1(VALU_DEP_1)
	v_add_nc_u32_e32 v3, 8, v0
	v_min_i32_e32 v4, s25, v3
	v_cmp_le_i32_e64 s8, s18, v3
	s_delay_alu instid0(VALU_DEP_2) | instskip(NEXT) | instid1(VALU_DEP_1)
	v_mad_i64_i32 v[1:2], null, v4, s24, 0
	v_lshlrev_b64 v[1:2], 1, v[1:2]
	s_delay_alu instid0(VALU_DEP_1) | instskip(NEXT) | instid1(VALU_DEP_1)
	v_add_co_u32 v1, s9, s20, v1
	v_add_co_ci_u32_e64 v2, s9, s21, v2, s9
	s_or_b32 s9, vcc_lo, s8
	s_delay_alu instid0(SALU_CYCLE_1) | instskip(SKIP_1) | instid1(SALU_CYCLE_1)
	v_cndmask_b32_e64 v121, 0, 0x7c00, s9
	s_or_b32 s9, s3, s9
	s_xor_b32 s9, s9, -1
	s_delay_alu instid0(SALU_CYCLE_1)
	s_and_saveexec_b32 s23, s9
	s_cbranch_execz .LBB210_32
; %bb.31:                               ;   in Loop: Header=BB210_30 Depth=1
	v_add_co_u32 v3, s9, v1, v32
	s_delay_alu instid0(VALU_DEP_1)
	v_add_co_ci_u32_e64 v4, s9, v2, v33, s9
	flat_load_u16 v3, v[3:4]
	s_waitcnt vmcnt(0) lgkmcnt(0)
	v_mul_f16_e32 v121, v44, v3
.LBB210_32:                             ;   in Loop: Header=BB210_30 Depth=1
	s_or_b32 exec_lo, exec_lo, s23
	s_or_b32 s9, s4, s8
	s_delay_alu instid0(SALU_CYCLE_1) | instskip(SKIP_1) | instid1(SALU_CYCLE_1)
	v_cndmask_b32_e64 v122, 0, 0x7c00, s9
	s_or_b32 s9, s3, s9
	s_xor_b32 s9, s9, -1
	s_delay_alu instid0(SALU_CYCLE_1)
	s_and_saveexec_b32 s23, s9
	s_cbranch_execz .LBB210_34
; %bb.33:                               ;   in Loop: Header=BB210_30 Depth=1
	v_add_co_u32 v3, s9, v1, v34
	s_delay_alu instid0(VALU_DEP_1)
	v_add_co_ci_u32_e64 v4, s9, v2, v35, s9
	flat_load_u16 v3, v[3:4]
	s_waitcnt vmcnt(0) lgkmcnt(0)
	v_mul_f16_e32 v122, v44, v3
.LBB210_34:                             ;   in Loop: Header=BB210_30 Depth=1
	s_or_b32 exec_lo, exec_lo, s23
	s_or_b32 s9, s5, s8
	;; [unrolled: 17-line block ×3, first 2 shown]
	s_delay_alu instid0(SALU_CYCLE_1) | instskip(SKIP_1) | instid1(SALU_CYCLE_1)
	v_cndmask_b32_e64 v124, 0, 0x7c00, s8
	s_or_b32 s8, s3, s8
	s_xor_b32 s8, s8, -1
	s_delay_alu instid0(SALU_CYCLE_1)
	s_and_saveexec_b32 s9, s8
	s_cbranch_execz .LBB210_38
; %bb.37:                               ;   in Loop: Header=BB210_30 Depth=1
	v_add_co_u32 v1, s8, v1, v38
	s_delay_alu instid0(VALU_DEP_1)
	v_add_co_ci_u32_e64 v2, s8, v2, v39, s8
	flat_load_u16 v1, v[1:2]
	s_waitcnt vmcnt(0) lgkmcnt(0)
	v_mul_f16_e32 v124, v44, v1
.LBB210_38:                             ;   in Loop: Header=BB210_30 Depth=1
	s_or_b32 exec_lo, exec_lo, s9
	v_add_nc_u32_e32 v125, s22, v73
	s_delay_alu instid0(VALU_DEP_1) | instskip(NEXT) | instid1(VALU_DEP_1)
	v_add_nc_u32_e32 v1, 8, v125
	v_cmp_le_i32_e64 s8, s18, v1
	s_delay_alu instid0(VALU_DEP_1) | instskip(NEXT) | instid1(SALU_CYCLE_1)
	s_or_b32 s8, s8, s7
	v_cndmask_b32_e64 v126, 0, 0x7c00, s8
	s_or_b32 s8, s3, s8
	s_delay_alu instid0(SALU_CYCLE_1) | instskip(NEXT) | instid1(SALU_CYCLE_1)
	s_xor_b32 s8, s8, -1
	s_and_saveexec_b32 s9, s8
	s_cbranch_execz .LBB210_40
; %bb.39:                               ;   in Loop: Header=BB210_30 Depth=1
	v_add_co_u32 v1, s8, -8, v40
	s_delay_alu instid0(VALU_DEP_1)
	v_add_co_ci_u32_e64 v2, s8, -1, v41, s8
	flat_load_u16 v1, v[1:2]
	s_waitcnt vmcnt(0) lgkmcnt(0)
	v_mul_f16_e32 v126, v44, v1
.LBB210_40:                             ;   in Loop: Header=BB210_30 Depth=1
	s_or_b32 exec_lo, exec_lo, s9
	v_add_nc_u32_e32 v129, 12, v0
	ds_load_2addr_b64 v[16:19], v114 offset1:32
	ds_load_2addr_b64 v[12:15], v114 offset0:64 offset1:96
	v_min_i32_e32 v0, s25, v129
	v_cmp_le_i32_e64 s8, s18, v129
	s_delay_alu instid0(VALU_DEP_2)
	v_mad_i64_i32 v[127:128], null, v0, s24, 0
	ds_load_2addr_b64 v[4:7], v114 offset0:128 offset1:160
	ds_load_2addr_b64 v[0:3], v114 offset0:192 offset1:224
	ds_load_2addr_b64 v[28:31], v115 offset1:8
	ds_load_2addr_b64 v[24:27], v115 offset0:16 offset1:24
	ds_load_2addr_b64 v[20:23], v115 offset0:32 offset1:40
	;; [unrolled: 1-line block ×3, first 2 shown]
	ds_store_b16 v81, v121
	ds_store_b16 v81, v122 offset:512
	ds_store_b16 v81, v123 offset:1024
	;; [unrolled: 1-line block ×3, first 2 shown]
	ds_store_b16 v110, v126
	s_waitcnt lgkmcnt(0)
	s_barrier
	buffer_gl0_inv
	v_lshlrev_b64 v[127:128], 1, v[127:128]
	s_delay_alu instid0(VALU_DEP_1) | instskip(NEXT) | instid1(VALU_DEP_1)
	v_add_co_u32 v126, s9, s20, v127
	v_add_co_ci_u32_e64 v127, s9, s21, v128, s9
	s_or_b32 s9, vcc_lo, s8
	s_delay_alu instid0(SALU_CYCLE_1) | instskip(SKIP_1) | instid1(SALU_CYCLE_1)
	v_cndmask_b32_e64 v121, 0, 0x7c00, s9
	s_or_b32 s9, s3, s9
	s_xor_b32 s9, s9, -1
	s_delay_alu instid0(SALU_CYCLE_1) | instskip(NEXT) | instid1(SALU_CYCLE_1)
	s_and_saveexec_b32 s23, s9
	s_xor_b32 s23, exec_lo, s23
	s_cbranch_execz .LBB210_42
; %bb.41:                               ;   in Loop: Header=BB210_30 Depth=1
	v_add_co_u32 v121, s9, v126, v32
	s_delay_alu instid0(VALU_DEP_1)
	v_add_co_ci_u32_e64 v122, s9, v127, v33, s9
	flat_load_u16 v121, v[121:122]
	s_waitcnt vmcnt(0) lgkmcnt(0)
	v_mul_f16_e32 v121, v44, v121
.LBB210_42:                             ;   in Loop: Header=BB210_30 Depth=1
	s_or_b32 exec_lo, exec_lo, s23
	s_or_b32 s9, s4, s8
	s_delay_alu instid0(SALU_CYCLE_1) | instskip(SKIP_1) | instid1(SALU_CYCLE_1)
	v_cndmask_b32_e64 v122, 0, 0x7c00, s9
	s_or_b32 s9, s3, s9
	s_xor_b32 s9, s9, -1
	s_delay_alu instid0(SALU_CYCLE_1)
	s_and_saveexec_b32 s23, s9
	s_cbranch_execz .LBB210_44
; %bb.43:                               ;   in Loop: Header=BB210_30 Depth=1
	v_add_co_u32 v122, s9, v126, v34
	s_delay_alu instid0(VALU_DEP_1)
	v_add_co_ci_u32_e64 v123, s9, v127, v35, s9
	flat_load_u16 v122, v[122:123]
	s_waitcnt vmcnt(0) lgkmcnt(0)
	v_mul_f16_e32 v122, v44, v122
.LBB210_44:                             ;   in Loop: Header=BB210_30 Depth=1
	s_or_b32 exec_lo, exec_lo, s23
	s_or_b32 s9, s5, s8
	s_delay_alu instid0(SALU_CYCLE_1) | instskip(SKIP_1) | instid1(SALU_CYCLE_1)
	v_cndmask_b32_e64 v123, 0, 0x7c00, s9
	s_or_b32 s9, s3, s9
	s_xor_b32 s9, s9, -1
	s_delay_alu instid0(SALU_CYCLE_1)
	s_and_saveexec_b32 s23, s9
	;; [unrolled: 17-line block ×3, first 2 shown]
	s_cbranch_execz .LBB210_48
; %bb.47:                               ;   in Loop: Header=BB210_30 Depth=1
	v_add_co_u32 v126, s8, v126, v38
	s_delay_alu instid0(VALU_DEP_1)
	v_add_co_ci_u32_e64 v127, s8, v127, v39, s8
	flat_load_u16 v124, v[126:127]
	s_waitcnt vmcnt(0) lgkmcnt(0)
	v_mul_f16_e32 v124, v44, v124
.LBB210_48:                             ;   in Loop: Header=BB210_30 Depth=1
	s_or_b32 exec_lo, exec_lo, s9
	v_pk_add_f16 v126, v16, v28
	v_pk_max_f16 v120, v120, v120
	v_pk_add_f16 v127, v18, v28
	v_pk_max_f16 v119, v119, v119
	;; [unrolled: 2-line block ×3, first 2 shown]
	v_pk_add_f16 v129, v14, v28
	v_pk_min_f16 v120, v120, v126
	v_pk_min_f16 v119, v119, v127
	v_pk_add_f16 v126, v4, v28
	v_pk_min_f16 v118, v118, v128
	v_pk_add_f16 v127, v6, v28
	v_pk_add_f16 v128, v0, v28
	;; [unrolled: 1-line block ×3, first 2 shown]
	v_pk_max_f16 v107, v107, v107
	v_pk_max_f16 v117, v117, v117
	;; [unrolled: 1-line block ×5, first 2 shown]
	v_pk_min_f16 v28, v107, v28
	v_pk_add_f16 v107, v18, v30
	v_pk_min_f16 v117, v117, v129
	v_pk_max_f16 v108, v108, v108
	v_pk_add_f16 v129, v16, v30
	v_pk_max_f16 v106, v106, v106
	v_pk_min_f16 v116, v116, v126
	v_pk_min_f16 v109, v109, v127
	v_pk_add_f16 v126, v12, v30
	v_pk_max_f16 v104, v104, v104
	v_pk_add_f16 v127, v14, v30
	v_pk_max_f16 v103, v103, v103
	v_pk_min_f16 v105, v105, v107
	v_pk_add_f16 v107, v0, v30
	v_pk_max_f16 v100, v100, v100
	v_pk_min_f16 v108, v108, v128
	v_pk_min_f16 v106, v106, v129
	v_pk_add_f16 v128, v4, v30
	v_pk_max_f16 v102, v102, v102
	v_pk_add_f16 v129, v6, v30
	v_pk_min_f16 v104, v104, v126
	v_pk_min_f16 v103, v103, v127
	v_pk_add_f16 v30, v2, v30
	v_pk_max_f16 v99, v99, v99
	v_pk_add_f16 v126, v16, v24
	v_pk_max_f16 v98, v98, v98
	;; [unrolled: 2-line block ×3, first 2 shown]
	v_pk_min_f16 v100, v100, v107
	v_pk_add_f16 v107, v4, v24
	v_pk_max_f16 v94, v94, v94
	v_pk_min_f16 v102, v102, v128
	v_pk_add_f16 v128, v12, v24
	v_pk_min_f16 v30, v99, v30
	v_pk_min_f16 v98, v98, v126
	;; [unrolled: 1-line block ×3, first 2 shown]
	v_pk_add_f16 v99, v14, v24
	v_pk_max_f16 v95, v95, v95
	v_pk_add_f16 v126, v6, v24
	v_pk_max_f16 v93, v93, v93
	;; [unrolled: 2-line block ×4, first 2 shown]
	v_pk_min_f16 v94, v94, v107
	v_pk_add_f16 v107, v12, v26
	v_pk_max_f16 v88, v88, v88
	v_pk_min_f16 v95, v95, v99
	v_pk_min_f16 v93, v93, v126
	;; [unrolled: 1-line block ×4, first 2 shown]
	v_pk_add_f16 v91, v16, v26
	v_pk_max_f16 v90, v90, v90
	v_pk_add_f16 v99, v18, v26
	v_pk_max_f16 v89, v89, v89
	;; [unrolled: 2-line block ×4, first 2 shown]
	v_pk_min_f16 v88, v88, v107
	v_pk_add_f16 v107, v16, v20
	v_pk_max_f16 v82, v82, v82
	v_pk_max_f16 v96, v96, v96
	v_pk_min_f16 v90, v90, v91
	v_pk_min_f16 v89, v89, v99
	v_pk_min_f16 v91, v87, v126
	v_pk_min_f16 v99, v86, v127
	v_pk_add_f16 v86, v6, v26
	v_pk_max_f16 v85, v85, v85
	v_pk_add_f16 v87, v0, v26
	v_pk_max_f16 v84, v84, v84
	;; [unrolled: 2-line block ×3, first 2 shown]
	v_pk_min_f16 v107, v82, v107
	v_pk_add_f16 v82, v14, v20
	v_pk_max_f16 v78, v78, v78
	v_pk_min_f16 v96, v96, v128
	v_pk_min_f16 v127, v85, v86
	;; [unrolled: 1-line block ×4, first 2 shown]
	v_pk_add_f16 v83, v4, v20
	v_pk_max_f16 v77, v77, v77
	v_pk_add_f16 v84, v6, v20
	v_pk_max_f16 v76, v76, v76
	;; [unrolled: 2-line block ×3, first 2 shown]
	v_pk_min_f16 v130, v78, v82
	v_pk_add_f16 v78, v14, v22
	v_pk_max_f16 v69, v69, v69
	v_pk_min_f16 v131, v77, v83
	v_pk_min_f16 v132, v76, v84
	;; [unrolled: 1-line block ×3, first 2 shown]
	v_pk_add_f16 v75, v16, v22
	v_pk_max_f16 v72, v72, v72
	v_pk_add_f16 v76, v18, v22
	v_pk_max_f16 v71, v71, v71
	;; [unrolled: 2-line block ×3, first 2 shown]
	v_pk_min_f16 v137, v69, v78
	v_pk_add_f16 v69, v4, v22
	v_pk_max_f16 v68, v68, v68
	v_pk_min_f16 v134, v72, v75
	v_pk_min_f16 v135, v71, v76
	;; [unrolled: 1-line block ×3, first 2 shown]
	v_pk_add_f16 v70, v6, v22
	v_pk_max_f16 v67, v67, v67
	v_pk_add_f16 v71, v0, v22
	v_pk_max_f16 v66, v66, v66
	;; [unrolled: 2-line block ×4, first 2 shown]
	v_pk_min_f16 v138, v68, v69
	v_pk_add_f16 v68, v6, v8
	v_pk_max_f16 v59, v59, v59
	v_pk_add_f16 v126, v18, v20
	v_pk_max_f16 v80, v80, v80
	v_pk_min_f16 v139, v67, v70
	v_pk_min_f16 v140, v66, v71
	;; [unrolled: 1-line block ×4, first 2 shown]
	v_pk_add_f16 v64, v18, v8
	v_pk_add_f16 v65, v12, v8
	;; [unrolled: 1-line block ×4, first 2 shown]
	v_pk_min_f16 v146, v59, v68
	v_pk_add_f16 v59, v0, v8
	v_pk_add_f16 v8, v2, v8
	v_pk_max_f16 v57, v57, v57
	v_pk_min_f16 v126, v80, v126
	v_pk_add_f16 v80, v12, v20
	v_pk_add_f16 v20, v2, v20
	;; [unrolled: 1-line block ×3, first 2 shown]
	v_pk_max_f16 v56, v56, v56
	v_pk_add_f16 v18, v18, v10
	v_pk_add_f16 v12, v12, v10
	v_pk_min_f16 v148, v57, v8
	v_pk_add_f16 v8, v14, v10
	v_pk_add_f16 v4, v4, v10
	;; [unrolled: 1-line block ×5, first 2 shown]
	v_pk_max_f16 v10, v49, v49
	v_pk_min_f16 v149, v56, v16
	v_pk_max_f16 v14, v52, v52
	v_pk_max_f16 v16, v51, v51
	;; [unrolled: 1-line block ×3, first 2 shown]
	v_pk_min_f16 v155, v10, v2
	v_pk_add_f16 v2, v17, v29
	v_pk_min_f16 v153, v14, v4
	v_pk_min_f16 v154, v16, v6
	v_pk_add_f16 v4, v19, v29
	v_pk_add_f16 v6, v13, v29
	v_pk_min_f16 v87, v120, v2
	v_pk_add_f16 v2, v7, v29
	v_pk_max_f16 v101, v101, v101
	v_pk_max_f16 v79, v79, v79
	v_pk_min_f16 v151, v54, v12
	v_pk_max_f16 v12, v53, v53
	v_pk_min_f16 v85, v119, v4
	v_pk_min_f16 v83, v118, v6
	v_pk_add_f16 v4, v1, v29
	v_pk_add_f16 v6, v3, v29
	v_pk_min_f16 v86, v109, v2
	v_pk_add_f16 v2, v13, v31
	v_pk_min_f16 v101, v101, v129
	v_pk_min_f16 v129, v79, v80
	;; [unrolled: 1-line block ×3, first 2 shown]
	v_pk_add_f16 v8, v15, v29
	v_pk_add_f16 v10, v5, v29
	v_pk_min_f16 v84, v108, v4
	v_pk_min_f16 v79, v28, v6
	v_pk_add_f16 v4, v15, v31
	v_pk_add_f16 v6, v5, v31
	v_pk_min_f16 v78, v104, v2
	v_pk_add_f16 v2, v3, v31
	v_pk_max_f16 v74, v74, v74
	v_pk_min_f16 v82, v117, v8
	v_pk_min_f16 v80, v116, v10
	v_pk_add_f16 v8, v17, v31
	v_pk_add_f16 v10, v19, v31
	v_pk_min_f16 v77, v103, v4
	v_pk_min_f16 v76, v102, v6
	v_pk_add_f16 v4, v17, v25
	v_pk_add_f16 v6, v19, v25
	v_pk_min_f16 v75, v30, v2
	v_pk_add_f16 v2, v5, v25
	v_pk_min_f16 v20, v74, v20
	v_pk_max_f16 v63, v63, v63
	v_pk_max_f16 v62, v62, v62
	;; [unrolled: 1-line block ×4, first 2 shown]
	v_pk_min_f16 v74, v106, v8
	v_pk_min_f16 v71, v105, v10
	v_pk_add_f16 v8, v7, v31
	v_pk_add_f16 v10, v1, v31
	v_pk_min_f16 v72, v98, v4
	v_pk_min_f16 v70, v97, v6
	v_pk_add_f16 v4, v7, v25
	v_pk_add_f16 v6, v1, v25
	v_pk_min_f16 v69, v94, v2
	v_pk_add_f16 v2, v19, v27
	v_pk_min_f16 v142, v63, v64
	v_pk_min_f16 v143, v62, v65
	;; [unrolled: 1-line block ×4, first 2 shown]
	v_pk_max_f16 v58, v58, v58
	v_pk_min_f16 v68, v101, v8
	v_pk_min_f16 v66, v100, v10
	v_pk_add_f16 v8, v13, v25
	v_pk_add_f16 v10, v15, v25
	v_pk_min_f16 v67, v93, v4
	v_pk_min_f16 v65, v92, v6
	v_pk_add_f16 v4, v13, v27
	v_pk_add_f16 v6, v15, v27
	v_pk_min_f16 v64, v89, v2
	v_pk_add_f16 v2, v1, v27
	v_pk_max_f16 v55, v55, v55
	v_pk_min_f16 v147, v58, v59
	v_pk_min_f16 v63, v96, v8
	v_pk_min_f16 v61, v95, v10
	v_pk_add_f16 v8, v3, v25
	v_pk_add_f16 v10, v17, v27
	v_pk_min_f16 v62, v88, v4
	v_pk_min_f16 v60, v91, v6
	v_pk_add_f16 v4, v3, v27
	v_pk_add_f16 v6, v17, v21
	v_pk_min_f16 v59, v128, v2
	v_pk_add_f16 v2, v15, v21
	v_pk_min_f16 v150, v55, v18
	v_pk_min_f16 v58, v24, v8
	;; [unrolled: 1-line block ×3, first 2 shown]
	v_pk_add_f16 v8, v5, v27
	v_pk_add_f16 v10, v7, v27
	v_pk_min_f16 v57, v26, v4
	v_pk_min_f16 v55, v107, v6
	v_pk_add_f16 v4, v5, v21
	v_pk_add_f16 v6, v7, v21
	v_pk_min_f16 v54, v130, v2
	v_pk_add_f16 v2, v17, v23
	v_pk_max_f16 v18, v50, v50
	v_pk_min_f16 v53, v99, v8
	v_pk_min_f16 v51, v127, v10
	v_pk_add_f16 v8, v19, v21
	v_pk_add_f16 v10, v13, v21
	v_pk_min_f16 v52, v131, v4
	v_pk_min_f16 v50, v132, v6
	v_pk_add_f16 v4, v19, v23
	v_pk_add_f16 v6, v13, v23
	v_pk_min_f16 v49, v134, v2
	v_pk_add_f16 v2, v7, v23
	v_pk_min_f16 v31, v126, v8
	v_pk_min_f16 v29, v129, v10
	v_pk_add_f16 v8, v1, v21
	v_pk_add_f16 v10, v3, v21
	v_pk_min_f16 v30, v135, v4
	v_pk_min_f16 v28, v136, v6
	v_pk_add_f16 v4, v1, v23
	v_pk_add_f16 v6, v3, v23
	v_pk_min_f16 v27, v139, v2
	v_pk_add_f16 v2, v13, v9
	v_pk_min_f16 v26, v133, v8
	v_pk_min_f16 v24, v20, v10
	v_pk_add_f16 v8, v15, v23
	v_pk_add_f16 v10, v5, v23
	v_pk_min_f16 v25, v140, v4
	v_pk_min_f16 v23, v22, v6
	v_pk_add_f16 v4, v15, v9
	v_pk_min_f16 v22, v143, v2
	v_pk_add_f16 v2, v3, v9
	v_pk_add_f16 v15, v15, v11
	v_pk_min_f16 v21, v137, v8
	v_pk_add_f16 v8, v17, v9
	v_pk_min_f16 v20, v144, v4
	v_pk_add_f16 v4, v17, v11
	v_pk_add_f16 v17, v13, v11
	v_pk_min_f16 v13, v148, v2
	v_pk_min_f16 v2, v152, v15
	v_add_nc_u32_e32 v15, 12, v125
	v_pk_add_f16 v6, v5, v9
	v_pk_add_f16 v12, v1, v9
	v_pk_min_f16 v0, v18, v0
	v_pk_min_f16 v18, v138, v10
	v_cmp_le_i32_e64 s8, s18, v15
	v_pk_add_f16 v10, v19, v9
	v_pk_min_f16 v14, v141, v8
	v_pk_add_f16 v8, v7, v9
	v_pk_min_f16 v16, v145, v6
	v_pk_min_f16 v6, v147, v12
	v_pk_add_f16 v9, v19, v11
	v_pk_min_f16 v12, v149, v4
	v_pk_min_f16 v4, v151, v17
	v_pk_add_f16 v5, v5, v11
	v_pk_add_f16 v17, v7, v11
	;; [unrolled: 1-line block ×4, first 2 shown]
	s_or_b32 s8, s8, s7
	v_pk_min_f16 v10, v142, v10
	v_pk_min_f16 v8, v146, v8
	;; [unrolled: 1-line block ×7, first 2 shown]
	v_cndmask_b32_e64 v0, 0, 0x7c00, s8
	s_or_b32 s8, s3, s8
	s_delay_alu instid0(SALU_CYCLE_1) | instskip(NEXT) | instid1(SALU_CYCLE_1)
	s_xor_b32 s9, s8, -1
	s_and_saveexec_b32 s8, s9
	s_cbranch_execz .LBB210_29
; %bb.49:                               ;   in Loop: Header=BB210_30 Depth=1
	flat_load_u16 v0, v[40:41]
	s_waitcnt vmcnt(0) lgkmcnt(0)
	v_mul_f16_e32 v0, v44, v0
	s_branch .LBB210_29
.LBB210_50:
	s_clause 0x2
	s_load_b32 s14, s[0:1], 0x58
	s_load_b32 s9, s[0:1], 0x70
	s_load_b64 s[4:5], s[0:1], 0x78
	v_add_nc_u32_e32 v0, 0x800, v46
	v_add_nc_u32_e32 v81, s19, v43
	;; [unrolled: 1-line block ×4, first 2 shown]
	ds_load_2addr_b64 v[16:19], v0 offset1:32
	ds_load_2addr_b64 v[12:15], v0 offset0:64 offset1:96
	ds_load_2addr_b64 v[8:11], v0 offset0:128 offset1:160
	ds_load_2addr_b64 v[0:3], v0 offset0:192 offset1:224
	ds_load_2addr_b64 v[28:31], v4 offset0:64 offset1:72
	ds_load_2addr_b64 v[24:27], v4 offset0:80 offset1:88
	ds_load_2addr_b64 v[20:23], v4 offset0:96 offset1:104
	ds_load_2addr_b64 v[4:7], v4 offset0:112 offset1:120
	v_cmp_gt_i32_e64 s0, s16, v32
	v_cmp_gt_i32_e64 s8, s17, v81
	v_ashrrev_i32_e32 v33, 31, v32
	v_cndmask_b32_e64 v73, 0, 1, s2
	s_waitcnt lgkmcnt(0)
	v_mad_i64_i32 v[34:35], null, v81, s14, 0
	v_mad_i64_i32 v[36:37], null, v81, s9, 0
	s_lshl_b64 s[4:5], s[4:5], 1
	s_delay_alu instid0(SALU_CYCLE_1) | instskip(SKIP_1) | instid1(VALU_DEP_2)
	s_add_u32 s12, s12, s4
	s_addc_u32 s13, s13, s5
	v_lshlrev_b64 v[34:35], 1, v[34:35]
	s_and_b32 s1, s0, s8
	s_delay_alu instid0(VALU_DEP_2) | instskip(NEXT) | instid1(VALU_DEP_2)
	v_lshlrev_b64 v[36:37], 1, v[36:37]
	v_add_co_u32 v112, vcc_lo, s10, v34
	s_delay_alu instid0(VALU_DEP_3) | instskip(NEXT) | instid1(VALU_DEP_3)
	v_add_co_ci_u32_e32 v113, vcc_lo, s11, v35, vcc_lo
	v_add_co_u32 v110, vcc_lo, s12, v36
	s_delay_alu instid0(VALU_DEP_4) | instskip(SKIP_1) | instid1(SALU_CYCLE_1)
	v_add_co_ci_u32_e32 v111, vcc_lo, s13, v37, vcc_lo
	s_and_saveexec_b32 s3, s1
	s_xor_b32 s1, exec_lo, s3
	s_cbranch_execz .LBB210_55
; %bb.51:
	s_and_not1_b32 vcc_lo, exec_lo, s2
	s_cbranch_vccnz .LBB210_53
; %bb.52:
	v_lshlrev_b64 v[34:35], 1, v[32:33]
	s_delay_alu instid0(VALU_DEP_1) | instskip(NEXT) | instid1(VALU_DEP_2)
	v_add_co_u32 v34, vcc_lo, v112, v34
	v_add_co_ci_u32_e32 v35, vcc_lo, v113, v35, vcc_lo
	flat_load_u16 v34, v[34:35]
	s_waitcnt vmcnt(0) lgkmcnt(0)
	v_mul_f16_e32 v34, v48, v34
	s_branch .LBB210_54
.LBB210_53:
	v_mov_b32_e32 v34, 0
.LBB210_54:
	v_pk_add_f16 v35, v16, v28
	v_pk_max_f16 v36, v120, v120
	v_pk_add_f16 v37, v17, v29
	s_delay_alu instid0(VALU_DEP_2) | instskip(NEXT) | instid1(VALU_DEP_1)
	v_pk_min_f16 v35, v36, v35
	v_pk_min_f16 v37, v35, v37
	v_lshlrev_b64 v[35:36], 1, v[32:33]
	s_delay_alu instid0(VALU_DEP_2) | instskip(NEXT) | instid1(VALU_DEP_1)
	v_lshrrev_b32_e32 v38, 16, v37
	v_min3_f16 v37, v34, v37, v38
	s_delay_alu instid0(VALU_DEP_3) | instskip(NEXT) | instid1(VALU_DEP_4)
	v_add_co_u32 v34, vcc_lo, v110, v35
	v_add_co_ci_u32_e32 v35, vcc_lo, v111, v36, vcc_lo
	global_store_b16 v[34:35], v37, off
.LBB210_55:
	s_or_b32 exec_lo, exec_lo, s1
	v_add_nc_u32_e32 v34, 32, v32
	s_delay_alu instid0(VALU_DEP_1) | instskip(SKIP_1) | instid1(VALU_DEP_2)
	v_cmp_gt_i32_e64 s1, s16, v34
	v_ashrrev_i32_e32 v35, 31, v34
	s_and_b32 s3, s1, s8
	s_delay_alu instid0(SALU_CYCLE_1)
	s_and_saveexec_b32 s2, s3
	s_cbranch_execz .LBB210_60
; %bb.56:
	v_cmp_ne_u32_e32 vcc_lo, 1, v73
	s_cbranch_vccnz .LBB210_58
; %bb.57:
	v_lshlrev_b64 v[36:37], 1, v[34:35]
	s_delay_alu instid0(VALU_DEP_1) | instskip(NEXT) | instid1(VALU_DEP_2)
	v_add_co_u32 v36, vcc_lo, v112, v36
	v_add_co_ci_u32_e32 v37, vcc_lo, v113, v37, vcc_lo
	flat_load_u16 v36, v[36:37]
	s_waitcnt vmcnt(0) lgkmcnt(0)
	v_mul_f16_e32 v36, v48, v36
	s_branch .LBB210_59
.LBB210_58:
	v_mov_b32_e32 v36, 0
.LBB210_59:
	v_pk_add_f16 v37, v18, v28
	v_pk_max_f16 v38, v119, v119
	v_pk_add_f16 v39, v19, v29
	s_delay_alu instid0(VALU_DEP_2) | instskip(NEXT) | instid1(VALU_DEP_1)
	v_pk_min_f16 v37, v38, v37
	v_pk_min_f16 v39, v37, v39
	v_lshlrev_b64 v[37:38], 1, v[34:35]
	s_delay_alu instid0(VALU_DEP_2) | instskip(NEXT) | instid1(VALU_DEP_1)
	v_lshrrev_b32_e32 v40, 16, v39
	v_min3_f16 v39, v36, v39, v40
	s_delay_alu instid0(VALU_DEP_3) | instskip(NEXT) | instid1(VALU_DEP_4)
	v_add_co_u32 v36, vcc_lo, v110, v37
	v_add_co_ci_u32_e32 v37, vcc_lo, v111, v38, vcc_lo
	global_store_b16 v[36:37], v39, off
.LBB210_60:
	s_or_b32 exec_lo, exec_lo, s2
	v_add_nc_u32_e32 v36, 64, v32
	s_delay_alu instid0(VALU_DEP_1) | instskip(SKIP_1) | instid1(VALU_DEP_2)
	v_cmp_gt_i32_e64 s2, s16, v36
	v_ashrrev_i32_e32 v37, 31, v36
	s_and_b32 s4, s2, s8
	s_delay_alu instid0(SALU_CYCLE_1)
	s_and_saveexec_b32 s3, s4
	s_cbranch_execz .LBB210_65
; %bb.61:
	v_cmp_ne_u32_e32 vcc_lo, 1, v73
	s_cbranch_vccnz .LBB210_63
; %bb.62:
	v_lshlrev_b64 v[38:39], 1, v[36:37]
	s_delay_alu instid0(VALU_DEP_1) | instskip(NEXT) | instid1(VALU_DEP_2)
	v_add_co_u32 v38, vcc_lo, v112, v38
	v_add_co_ci_u32_e32 v39, vcc_lo, v113, v39, vcc_lo
	flat_load_u16 v38, v[38:39]
	s_waitcnt vmcnt(0) lgkmcnt(0)
	v_mul_f16_e32 v38, v48, v38
	s_branch .LBB210_64
.LBB210_63:
	v_mov_b32_e32 v38, 0
.LBB210_64:
	v_pk_add_f16 v39, v12, v28
	v_pk_max_f16 v40, v118, v118
	v_pk_add_f16 v41, v13, v29
	s_delay_alu instid0(VALU_DEP_2) | instskip(NEXT) | instid1(VALU_DEP_1)
	v_pk_min_f16 v39, v40, v39
	v_pk_min_f16 v41, v39, v41
	v_lshlrev_b64 v[39:40], 1, v[36:37]
	s_delay_alu instid0(VALU_DEP_2) | instskip(NEXT) | instid1(VALU_DEP_1)
	v_lshrrev_b32_e32 v42, 16, v41
	v_min3_f16 v41, v38, v41, v42
	s_delay_alu instid0(VALU_DEP_3) | instskip(NEXT) | instid1(VALU_DEP_4)
	v_add_co_u32 v38, vcc_lo, v110, v39
	v_add_co_ci_u32_e32 v39, vcc_lo, v111, v40, vcc_lo
	global_store_b16 v[38:39], v41, off
.LBB210_65:
	;; [unrolled: 39-line block ×6, first 2 shown]
	s_or_b32 exec_lo, exec_lo, s7
	v_add_nc_u32_e32 v46, 0xe0, v32
	s_delay_alu instid0(VALU_DEP_1) | instskip(SKIP_1) | instid1(VALU_DEP_2)
	v_cmp_gt_i32_e64 s7, s16, v46
	v_ashrrev_i32_e32 v47, 31, v46
	s_and_b32 s15, s7, s8
	s_delay_alu instid0(SALU_CYCLE_1)
	s_and_saveexec_b32 s8, s15
	s_cbranch_execz .LBB210_90
; %bb.86:
	v_cmp_ne_u32_e32 vcc_lo, 1, v73
	s_cbranch_vccnz .LBB210_88
; %bb.87:
	v_lshlrev_b64 v[108:109], 1, v[46:47]
	s_delay_alu instid0(VALU_DEP_1) | instskip(NEXT) | instid1(VALU_DEP_2)
	v_add_co_u32 v108, vcc_lo, v112, v108
	v_add_co_ci_u32_e32 v109, vcc_lo, v113, v109, vcc_lo
	flat_load_u16 v108, v[108:109]
	s_waitcnt vmcnt(0) lgkmcnt(0)
	v_mul_f16_e32 v108, v48, v108
	s_branch .LBB210_89
.LBB210_88:
	v_mov_b32_e32 v108, 0
.LBB210_89:
	v_pk_add_f16 v28, v2, v28
	v_pk_max_f16 v107, v107, v107
	v_pk_add_f16 v29, v3, v29
	s_delay_alu instid0(VALU_DEP_2) | instskip(NEXT) | instid1(VALU_DEP_1)
	v_pk_min_f16 v28, v107, v28
	v_pk_min_f16 v107, v28, v29
	v_lshlrev_b64 v[28:29], 1, v[46:47]
	s_delay_alu instid0(VALU_DEP_2) | instskip(NEXT) | instid1(VALU_DEP_2)
	v_lshrrev_b32_e32 v109, 16, v107
	v_add_co_u32 v28, vcc_lo, v110, v28
	s_delay_alu instid0(VALU_DEP_3) | instskip(NEXT) | instid1(VALU_DEP_3)
	v_add_co_ci_u32_e32 v29, vcc_lo, v111, v29, vcc_lo
	v_min3_f16 v107, v108, v107, v109
	global_store_b16 v[28:29], v107, off
.LBB210_90:
	s_or_b32 exec_lo, exec_lo, s8
	v_add_nc_u32_e32 v109, 8, v81
	s_delay_alu instid0(VALU_DEP_1) | instskip(SKIP_2) | instid1(VALU_DEP_3)
	v_mad_i64_i32 v[28:29], null, v109, s14, 0
	v_mad_i64_i32 v[107:108], null, v109, s9, 0
	v_cmp_gt_i32_e64 s8, s17, v109
	v_lshlrev_b64 v[28:29], 1, v[28:29]
	s_delay_alu instid0(VALU_DEP_2) | instskip(NEXT) | instid1(VALU_DEP_3)
	s_and_b32 s16, s0, s8
	v_lshlrev_b64 v[109:110], 1, v[107:108]
	s_delay_alu instid0(VALU_DEP_2) | instskip(NEXT) | instid1(VALU_DEP_3)
	v_add_co_u32 v107, vcc_lo, s10, v28
	v_add_co_ci_u32_e32 v108, vcc_lo, s11, v29, vcc_lo
	s_delay_alu instid0(VALU_DEP_3) | instskip(NEXT) | instid1(VALU_DEP_4)
	v_add_co_u32 v28, vcc_lo, s12, v109
	v_add_co_ci_u32_e32 v29, vcc_lo, s13, v110, vcc_lo
	s_and_saveexec_b32 s15, s16
	s_cbranch_execnz .LBB210_98
; %bb.91:
	s_or_b32 exec_lo, exec_lo, s15
	s_and_b32 s16, s1, s8
	s_delay_alu instid0(SALU_CYCLE_1)
	s_and_saveexec_b32 s15, s16
	s_cbranch_execnz .LBB210_102
.LBB210_92:
	s_or_b32 exec_lo, exec_lo, s15
	s_and_b32 s16, s2, s8
	s_delay_alu instid0(SALU_CYCLE_1)
	s_and_saveexec_b32 s15, s16
	s_cbranch_execnz .LBB210_106
.LBB210_93:
	s_or_b32 exec_lo, exec_lo, s15
	s_and_b32 s16, s3, s8
	s_delay_alu instid0(SALU_CYCLE_1)
	s_and_saveexec_b32 s15, s16
	s_cbranch_execnz .LBB210_110
.LBB210_94:
	s_or_b32 exec_lo, exec_lo, s15
	s_and_b32 s16, s4, s8
	s_delay_alu instid0(SALU_CYCLE_1)
	s_and_saveexec_b32 s15, s16
	s_cbranch_execnz .LBB210_114
.LBB210_95:
	s_or_b32 exec_lo, exec_lo, s15
	s_and_b32 s16, s5, s8
	s_delay_alu instid0(SALU_CYCLE_1)
	s_and_saveexec_b32 s15, s16
	s_cbranch_execnz .LBB210_118
.LBB210_96:
	s_or_b32 exec_lo, exec_lo, s15
	s_and_b32 s16, s6, s8
	s_delay_alu instid0(SALU_CYCLE_1)
	s_and_saveexec_b32 s15, s16
	s_cbranch_execnz .LBB210_122
.LBB210_97:
	s_or_b32 exec_lo, exec_lo, s15
	s_and_b32 s15, s7, s8
	s_delay_alu instid0(SALU_CYCLE_1)
	s_and_saveexec_b32 s8, s15
	s_cbranch_execnz .LBB210_126
	s_branch .LBB210_130
.LBB210_98:
	v_cmp_ne_u32_e32 vcc_lo, 1, v73
	s_cbranch_vccnz .LBB210_100
; %bb.99:
	v_lshlrev_b64 v[109:110], 1, v[32:33]
	s_delay_alu instid0(VALU_DEP_1) | instskip(NEXT) | instid1(VALU_DEP_2)
	v_add_co_u32 v109, vcc_lo, v107, v109
	v_add_co_ci_u32_e32 v110, vcc_lo, v108, v110, vcc_lo
	flat_load_u16 v109, v[109:110]
	s_waitcnt vmcnt(0) lgkmcnt(0)
	v_mul_f16_e32 v109, v48, v109
	s_branch .LBB210_101
.LBB210_100:
	v_mov_b32_e32 v109, 0
.LBB210_101:
	v_pk_add_f16 v110, v16, v30
	v_pk_max_f16 v106, v106, v106
	v_pk_add_f16 v111, v17, v31
	s_delay_alu instid0(VALU_DEP_2) | instskip(NEXT) | instid1(VALU_DEP_1)
	v_pk_min_f16 v106, v106, v110
	v_pk_min_f16 v106, v106, v111
	v_lshlrev_b64 v[110:111], 1, v[32:33]
	s_delay_alu instid0(VALU_DEP_2) | instskip(NEXT) | instid1(VALU_DEP_1)
	v_lshrrev_b32_e32 v112, 16, v106
	v_min3_f16 v106, v109, v106, v112
	s_delay_alu instid0(VALU_DEP_3) | instskip(NEXT) | instid1(VALU_DEP_4)
	v_add_co_u32 v109, vcc_lo, v28, v110
	v_add_co_ci_u32_e32 v110, vcc_lo, v29, v111, vcc_lo
	global_store_b16 v[109:110], v106, off
	s_or_b32 exec_lo, exec_lo, s15
	s_and_b32 s16, s1, s8
	s_delay_alu instid0(SALU_CYCLE_1)
	s_and_saveexec_b32 s15, s16
	s_cbranch_execz .LBB210_92
.LBB210_102:
	v_cmp_ne_u32_e32 vcc_lo, 1, v73
	s_cbranch_vccnz .LBB210_104
; %bb.103:
	v_lshlrev_b64 v[109:110], 1, v[34:35]
	s_delay_alu instid0(VALU_DEP_1) | instskip(NEXT) | instid1(VALU_DEP_2)
	v_add_co_u32 v109, vcc_lo, v107, v109
	v_add_co_ci_u32_e32 v110, vcc_lo, v108, v110, vcc_lo
	flat_load_u16 v106, v[109:110]
	s_waitcnt vmcnt(0) lgkmcnt(0)
	v_mul_f16_e32 v106, v48, v106
	s_branch .LBB210_105
.LBB210_104:
	v_mov_b32_e32 v106, 0
.LBB210_105:
	v_pk_add_f16 v109, v18, v30
	v_pk_max_f16 v105, v105, v105
	v_pk_add_f16 v110, v19, v31
	s_delay_alu instid0(VALU_DEP_2) | instskip(NEXT) | instid1(VALU_DEP_1)
	v_pk_min_f16 v105, v105, v109
	v_pk_min_f16 v105, v105, v110
	v_lshlrev_b64 v[109:110], 1, v[34:35]
	s_delay_alu instid0(VALU_DEP_2) | instskip(NEXT) | instid1(VALU_DEP_1)
	v_lshrrev_b32_e32 v111, 16, v105
	v_min3_f16 v111, v106, v105, v111
	s_delay_alu instid0(VALU_DEP_3) | instskip(NEXT) | instid1(VALU_DEP_4)
	v_add_co_u32 v105, vcc_lo, v28, v109
	v_add_co_ci_u32_e32 v106, vcc_lo, v29, v110, vcc_lo
	global_store_b16 v[105:106], v111, off
	s_or_b32 exec_lo, exec_lo, s15
	s_and_b32 s16, s2, s8
	s_delay_alu instid0(SALU_CYCLE_1)
	s_and_saveexec_b32 s15, s16
	s_cbranch_execz .LBB210_93
.LBB210_106:
	v_cmp_ne_u32_e32 vcc_lo, 1, v73
	s_cbranch_vccnz .LBB210_108
; %bb.107:
	v_lshlrev_b64 v[105:106], 1, v[36:37]
	s_delay_alu instid0(VALU_DEP_1) | instskip(NEXT) | instid1(VALU_DEP_2)
	v_add_co_u32 v105, vcc_lo, v107, v105
	v_add_co_ci_u32_e32 v106, vcc_lo, v108, v106, vcc_lo
	flat_load_u16 v105, v[105:106]
	s_waitcnt vmcnt(0) lgkmcnt(0)
	v_mul_f16_e32 v105, v48, v105
	s_branch .LBB210_109
.LBB210_108:
	v_mov_b32_e32 v105, 0
.LBB210_109:
	v_pk_add_f16 v106, v12, v30
	v_pk_max_f16 v104, v104, v104
	v_pk_add_f16 v109, v13, v31
	s_delay_alu instid0(VALU_DEP_2) | instskip(NEXT) | instid1(VALU_DEP_1)
	v_pk_min_f16 v104, v104, v106
	v_pk_min_f16 v104, v104, v109
	v_lshlrev_b64 v[109:110], 1, v[36:37]
	s_delay_alu instid0(VALU_DEP_2) | instskip(NEXT) | instid1(VALU_DEP_1)
	v_lshrrev_b32_e32 v106, 16, v104
	v_min3_f16 v106, v105, v104, v106
	s_delay_alu instid0(VALU_DEP_3) | instskip(NEXT) | instid1(VALU_DEP_4)
	v_add_co_u32 v104, vcc_lo, v28, v109
	v_add_co_ci_u32_e32 v105, vcc_lo, v29, v110, vcc_lo
	global_store_b16 v[104:105], v106, off
	s_or_b32 exec_lo, exec_lo, s15
	s_and_b32 s16, s3, s8
	s_delay_alu instid0(SALU_CYCLE_1)
	s_and_saveexec_b32 s15, s16
	s_cbranch_execz .LBB210_94
.LBB210_110:
	v_cmp_ne_u32_e32 vcc_lo, 1, v73
	s_cbranch_vccnz .LBB210_112
; %bb.111:
	v_lshlrev_b64 v[104:105], 1, v[38:39]
	s_delay_alu instid0(VALU_DEP_1) | instskip(NEXT) | instid1(VALU_DEP_2)
	v_add_co_u32 v104, vcc_lo, v107, v104
	v_add_co_ci_u32_e32 v105, vcc_lo, v108, v105, vcc_lo
	flat_load_u16 v104, v[104:105]
	s_waitcnt vmcnt(0) lgkmcnt(0)
	v_mul_f16_e32 v104, v48, v104
	s_branch .LBB210_113
.LBB210_112:
	v_mov_b32_e32 v104, 0
.LBB210_113:
	v_pk_add_f16 v105, v14, v30
	v_pk_max_f16 v103, v103, v103
	v_pk_add_f16 v106, v15, v31
	s_delay_alu instid0(VALU_DEP_2) | instskip(NEXT) | instid1(VALU_DEP_1)
	v_pk_min_f16 v103, v103, v105
	v_pk_min_f16 v103, v103, v106
	v_lshlrev_b64 v[105:106], 1, v[38:39]
	s_delay_alu instid0(VALU_DEP_2) | instskip(NEXT) | instid1(VALU_DEP_1)
	v_lshrrev_b32_e32 v109, 16, v103
	v_min3_f16 v109, v104, v103, v109
	s_delay_alu instid0(VALU_DEP_3) | instskip(NEXT) | instid1(VALU_DEP_4)
	v_add_co_u32 v103, vcc_lo, v28, v105
	v_add_co_ci_u32_e32 v104, vcc_lo, v29, v106, vcc_lo
	global_store_b16 v[103:104], v109, off
	s_or_b32 exec_lo, exec_lo, s15
	s_and_b32 s16, s4, s8
	s_delay_alu instid0(SALU_CYCLE_1)
	s_and_saveexec_b32 s15, s16
	s_cbranch_execz .LBB210_95
.LBB210_114:
	v_cmp_ne_u32_e32 vcc_lo, 1, v73
	s_cbranch_vccnz .LBB210_116
; %bb.115:
	v_lshlrev_b64 v[103:104], 1, v[40:41]
	s_delay_alu instid0(VALU_DEP_1) | instskip(NEXT) | instid1(VALU_DEP_2)
	v_add_co_u32 v103, vcc_lo, v107, v103
	v_add_co_ci_u32_e32 v104, vcc_lo, v108, v104, vcc_lo
	flat_load_u16 v103, v[103:104]
	s_waitcnt vmcnt(0) lgkmcnt(0)
	v_mul_f16_e32 v103, v48, v103
	s_branch .LBB210_117
.LBB210_116:
	v_mov_b32_e32 v103, 0
.LBB210_117:
	v_pk_add_f16 v104, v8, v30
	v_pk_max_f16 v102, v102, v102
	v_pk_add_f16 v105, v9, v31
	s_delay_alu instid0(VALU_DEP_2) | instskip(NEXT) | instid1(VALU_DEP_1)
	v_pk_min_f16 v102, v102, v104
	v_pk_min_f16 v102, v102, v105
	v_lshlrev_b64 v[104:105], 1, v[40:41]
	s_delay_alu instid0(VALU_DEP_2) | instskip(NEXT) | instid1(VALU_DEP_1)
	v_lshrrev_b32_e32 v106, 16, v102
	v_min3_f16 v106, v103, v102, v106
	s_delay_alu instid0(VALU_DEP_3) | instskip(NEXT) | instid1(VALU_DEP_4)
	v_add_co_u32 v102, vcc_lo, v28, v104
	v_add_co_ci_u32_e32 v103, vcc_lo, v29, v105, vcc_lo
	global_store_b16 v[102:103], v106, off
	s_or_b32 exec_lo, exec_lo, s15
	s_and_b32 s16, s5, s8
	s_delay_alu instid0(SALU_CYCLE_1)
	s_and_saveexec_b32 s15, s16
	s_cbranch_execz .LBB210_96
.LBB210_118:
	v_cmp_ne_u32_e32 vcc_lo, 1, v73
	s_cbranch_vccnz .LBB210_120
; %bb.119:
	v_lshlrev_b64 v[102:103], 1, v[42:43]
	s_delay_alu instid0(VALU_DEP_1) | instskip(NEXT) | instid1(VALU_DEP_2)
	v_add_co_u32 v102, vcc_lo, v107, v102
	v_add_co_ci_u32_e32 v103, vcc_lo, v108, v103, vcc_lo
	flat_load_u16 v102, v[102:103]
	s_waitcnt vmcnt(0) lgkmcnt(0)
	v_mul_f16_e32 v102, v48, v102
	s_branch .LBB210_121
.LBB210_120:
	v_mov_b32_e32 v102, 0
.LBB210_121:
	v_pk_add_f16 v103, v10, v30
	v_pk_max_f16 v101, v101, v101
	v_pk_add_f16 v104, v11, v31
	s_delay_alu instid0(VALU_DEP_2) | instskip(NEXT) | instid1(VALU_DEP_1)
	v_pk_min_f16 v101, v101, v103
	v_pk_min_f16 v101, v101, v104
	v_lshlrev_b64 v[103:104], 1, v[42:43]
	s_delay_alu instid0(VALU_DEP_2) | instskip(NEXT) | instid1(VALU_DEP_1)
	v_lshrrev_b32_e32 v105, 16, v101
	v_min3_f16 v105, v102, v101, v105
	s_delay_alu instid0(VALU_DEP_3) | instskip(NEXT) | instid1(VALU_DEP_4)
	v_add_co_u32 v101, vcc_lo, v28, v103
	v_add_co_ci_u32_e32 v102, vcc_lo, v29, v104, vcc_lo
	global_store_b16 v[101:102], v105, off
	s_or_b32 exec_lo, exec_lo, s15
	s_and_b32 s16, s6, s8
	s_delay_alu instid0(SALU_CYCLE_1)
	s_and_saveexec_b32 s15, s16
	s_cbranch_execz .LBB210_97
.LBB210_122:
	v_cmp_ne_u32_e32 vcc_lo, 1, v73
	s_cbranch_vccnz .LBB210_124
; %bb.123:
	v_lshlrev_b64 v[101:102], 1, v[44:45]
	s_delay_alu instid0(VALU_DEP_1) | instskip(NEXT) | instid1(VALU_DEP_2)
	v_add_co_u32 v101, vcc_lo, v107, v101
	v_add_co_ci_u32_e32 v102, vcc_lo, v108, v102, vcc_lo
	flat_load_u16 v101, v[101:102]
	s_waitcnt vmcnt(0) lgkmcnt(0)
	v_mul_f16_e32 v101, v48, v101
	s_branch .LBB210_125
.LBB210_124:
	v_mov_b32_e32 v101, 0
.LBB210_125:
	v_pk_add_f16 v102, v0, v30
	v_pk_max_f16 v100, v100, v100
	v_pk_add_f16 v103, v1, v31
	s_delay_alu instid0(VALU_DEP_2) | instskip(NEXT) | instid1(VALU_DEP_1)
	v_pk_min_f16 v100, v100, v102
	v_pk_min_f16 v100, v100, v103
	v_lshlrev_b64 v[102:103], 1, v[44:45]
	s_delay_alu instid0(VALU_DEP_2) | instskip(NEXT) | instid1(VALU_DEP_1)
	v_lshrrev_b32_e32 v104, 16, v100
	v_min3_f16 v104, v101, v100, v104
	s_delay_alu instid0(VALU_DEP_3) | instskip(NEXT) | instid1(VALU_DEP_4)
	v_add_co_u32 v100, vcc_lo, v28, v102
	v_add_co_ci_u32_e32 v101, vcc_lo, v29, v103, vcc_lo
	global_store_b16 v[100:101], v104, off
	s_or_b32 exec_lo, exec_lo, s15
	s_and_b32 s15, s7, s8
	s_delay_alu instid0(SALU_CYCLE_1)
	s_and_saveexec_b32 s8, s15
	s_cbranch_execz .LBB210_130
.LBB210_126:
	v_cmp_ne_u32_e32 vcc_lo, 1, v73
	s_cbranch_vccnz .LBB210_128
; %bb.127:
	v_lshlrev_b64 v[100:101], 1, v[46:47]
	s_delay_alu instid0(VALU_DEP_1) | instskip(NEXT) | instid1(VALU_DEP_2)
	v_add_co_u32 v100, vcc_lo, v107, v100
	v_add_co_ci_u32_e32 v101, vcc_lo, v108, v101, vcc_lo
	flat_load_u16 v100, v[100:101]
	s_waitcnt vmcnt(0) lgkmcnt(0)
	v_mul_f16_e32 v100, v48, v100
	s_branch .LBB210_129
.LBB210_128:
	v_mov_b32_e32 v100, 0
.LBB210_129:
	v_pk_add_f16 v30, v2, v30
	v_pk_max_f16 v99, v99, v99
	v_pk_add_f16 v31, v3, v31
	s_delay_alu instid0(VALU_DEP_2) | instskip(NEXT) | instid1(VALU_DEP_1)
	v_pk_min_f16 v30, v99, v30
	v_pk_min_f16 v99, v30, v31
	v_lshlrev_b64 v[30:31], 1, v[46:47]
	s_delay_alu instid0(VALU_DEP_2) | instskip(NEXT) | instid1(VALU_DEP_2)
	v_lshrrev_b32_e32 v101, 16, v99
	v_add_co_u32 v28, vcc_lo, v28, v30
	s_delay_alu instid0(VALU_DEP_3) | instskip(NEXT) | instid1(VALU_DEP_3)
	v_add_co_ci_u32_e32 v29, vcc_lo, v29, v31, vcc_lo
	v_min3_f16 v99, v100, v99, v101
	global_store_b16 v[28:29], v99, off
.LBB210_130:
	s_or_b32 exec_lo, exec_lo, s8
	v_add_nc_u32_e32 v99, 16, v81
	s_delay_alu instid0(VALU_DEP_1) | instskip(SKIP_2) | instid1(VALU_DEP_3)
	v_mad_i64_i32 v[28:29], null, v99, s14, 0
	v_mad_i64_i32 v[30:31], null, v99, s9, 0
	v_cmp_gt_i32_e64 s8, s17, v99
	v_lshlrev_b64 v[28:29], 1, v[28:29]
	s_delay_alu instid0(VALU_DEP_2) | instskip(NEXT) | instid1(VALU_DEP_3)
	s_and_b32 s16, s0, s8
	v_lshlrev_b64 v[99:100], 1, v[30:31]
	s_delay_alu instid0(VALU_DEP_2) | instskip(NEXT) | instid1(VALU_DEP_3)
	v_add_co_u32 v30, vcc_lo, s10, v28
	v_add_co_ci_u32_e32 v31, vcc_lo, s11, v29, vcc_lo
	s_delay_alu instid0(VALU_DEP_3) | instskip(NEXT) | instid1(VALU_DEP_4)
	v_add_co_u32 v28, vcc_lo, s12, v99
	v_add_co_ci_u32_e32 v29, vcc_lo, s13, v100, vcc_lo
	s_and_saveexec_b32 s15, s16
	s_cbranch_execnz .LBB210_138
; %bb.131:
	s_or_b32 exec_lo, exec_lo, s15
	s_and_b32 s16, s1, s8
	s_delay_alu instid0(SALU_CYCLE_1)
	s_and_saveexec_b32 s15, s16
	s_cbranch_execnz .LBB210_142
.LBB210_132:
	s_or_b32 exec_lo, exec_lo, s15
	s_and_b32 s16, s2, s8
	s_delay_alu instid0(SALU_CYCLE_1)
	s_and_saveexec_b32 s15, s16
	s_cbranch_execnz .LBB210_146
.LBB210_133:
	s_or_b32 exec_lo, exec_lo, s15
	s_and_b32 s16, s3, s8
	s_delay_alu instid0(SALU_CYCLE_1)
	s_and_saveexec_b32 s15, s16
	s_cbranch_execnz .LBB210_150
.LBB210_134:
	s_or_b32 exec_lo, exec_lo, s15
	s_and_b32 s16, s4, s8
	s_delay_alu instid0(SALU_CYCLE_1)
	s_and_saveexec_b32 s15, s16
	s_cbranch_execnz .LBB210_154
.LBB210_135:
	s_or_b32 exec_lo, exec_lo, s15
	s_and_b32 s16, s5, s8
	s_delay_alu instid0(SALU_CYCLE_1)
	s_and_saveexec_b32 s15, s16
	s_cbranch_execnz .LBB210_158
.LBB210_136:
	s_or_b32 exec_lo, exec_lo, s15
	s_and_b32 s16, s6, s8
	s_delay_alu instid0(SALU_CYCLE_1)
	s_and_saveexec_b32 s15, s16
	s_cbranch_execnz .LBB210_162
.LBB210_137:
	s_or_b32 exec_lo, exec_lo, s15
	s_and_b32 s15, s7, s8
	s_delay_alu instid0(SALU_CYCLE_1)
	s_and_saveexec_b32 s8, s15
	s_cbranch_execnz .LBB210_166
	s_branch .LBB210_170
.LBB210_138:
	v_cmp_ne_u32_e32 vcc_lo, 1, v73
	s_cbranch_vccnz .LBB210_140
; %bb.139:
	v_lshlrev_b64 v[99:100], 1, v[32:33]
	s_delay_alu instid0(VALU_DEP_1) | instskip(NEXT) | instid1(VALU_DEP_2)
	v_add_co_u32 v99, vcc_lo, v30, v99
	v_add_co_ci_u32_e32 v100, vcc_lo, v31, v100, vcc_lo
	flat_load_u16 v99, v[99:100]
	s_waitcnt vmcnt(0) lgkmcnt(0)
	v_mul_f16_e32 v99, v48, v99
	s_branch .LBB210_141
.LBB210_140:
	v_mov_b32_e32 v99, 0
.LBB210_141:
	v_pk_add_f16 v100, v16, v24
	v_pk_max_f16 v98, v98, v98
	v_pk_add_f16 v101, v17, v25
	s_delay_alu instid0(VALU_DEP_2) | instskip(NEXT) | instid1(VALU_DEP_1)
	v_pk_min_f16 v98, v98, v100
	v_pk_min_f16 v98, v98, v101
	v_lshlrev_b64 v[100:101], 1, v[32:33]
	s_delay_alu instid0(VALU_DEP_2) | instskip(NEXT) | instid1(VALU_DEP_1)
	v_lshrrev_b32_e32 v102, 16, v98
	v_min3_f16 v102, v99, v98, v102
	s_delay_alu instid0(VALU_DEP_3) | instskip(NEXT) | instid1(VALU_DEP_4)
	v_add_co_u32 v98, vcc_lo, v28, v100
	v_add_co_ci_u32_e32 v99, vcc_lo, v29, v101, vcc_lo
	global_store_b16 v[98:99], v102, off
	s_or_b32 exec_lo, exec_lo, s15
	s_and_b32 s16, s1, s8
	s_delay_alu instid0(SALU_CYCLE_1)
	s_and_saveexec_b32 s15, s16
	s_cbranch_execz .LBB210_132
.LBB210_142:
	v_cmp_ne_u32_e32 vcc_lo, 1, v73
	s_cbranch_vccnz .LBB210_144
; %bb.143:
	v_lshlrev_b64 v[98:99], 1, v[34:35]
	s_delay_alu instid0(VALU_DEP_1) | instskip(NEXT) | instid1(VALU_DEP_2)
	v_add_co_u32 v98, vcc_lo, v30, v98
	v_add_co_ci_u32_e32 v99, vcc_lo, v31, v99, vcc_lo
	flat_load_u16 v98, v[98:99]
	s_waitcnt vmcnt(0) lgkmcnt(0)
	v_mul_f16_e32 v98, v48, v98
	s_branch .LBB210_145
.LBB210_144:
	v_mov_b32_e32 v98, 0
.LBB210_145:
	v_pk_add_f16 v99, v18, v24
	v_pk_max_f16 v97, v97, v97
	v_pk_add_f16 v100, v19, v25
	s_delay_alu instid0(VALU_DEP_2) | instskip(NEXT) | instid1(VALU_DEP_1)
	v_pk_min_f16 v97, v97, v99
	v_pk_min_f16 v97, v97, v100
	v_lshlrev_b64 v[99:100], 1, v[34:35]
	s_delay_alu instid0(VALU_DEP_2) | instskip(NEXT) | instid1(VALU_DEP_1)
	v_lshrrev_b32_e32 v101, 16, v97
	v_min3_f16 v101, v98, v97, v101
	s_delay_alu instid0(VALU_DEP_3) | instskip(NEXT) | instid1(VALU_DEP_4)
	v_add_co_u32 v97, vcc_lo, v28, v99
	v_add_co_ci_u32_e32 v98, vcc_lo, v29, v100, vcc_lo
	global_store_b16 v[97:98], v101, off
	s_or_b32 exec_lo, exec_lo, s15
	s_and_b32 s16, s2, s8
	s_delay_alu instid0(SALU_CYCLE_1)
	s_and_saveexec_b32 s15, s16
	s_cbranch_execz .LBB210_133
.LBB210_146:
	v_cmp_ne_u32_e32 vcc_lo, 1, v73
	s_cbranch_vccnz .LBB210_148
; %bb.147:
	v_lshlrev_b64 v[97:98], 1, v[36:37]
	s_delay_alu instid0(VALU_DEP_1) | instskip(NEXT) | instid1(VALU_DEP_2)
	v_add_co_u32 v97, vcc_lo, v30, v97
	v_add_co_ci_u32_e32 v98, vcc_lo, v31, v98, vcc_lo
	flat_load_u16 v97, v[97:98]
	s_waitcnt vmcnt(0) lgkmcnt(0)
	v_mul_f16_e32 v97, v48, v97
	s_branch .LBB210_149
.LBB210_148:
	v_mov_b32_e32 v97, 0
.LBB210_149:
	v_pk_add_f16 v98, v12, v24
	v_pk_max_f16 v96, v96, v96
	v_pk_add_f16 v99, v13, v25
	s_delay_alu instid0(VALU_DEP_2) | instskip(NEXT) | instid1(VALU_DEP_1)
	v_pk_min_f16 v96, v96, v98
	v_pk_min_f16 v96, v96, v99
	v_lshlrev_b64 v[98:99], 1, v[36:37]
	s_delay_alu instid0(VALU_DEP_2) | instskip(NEXT) | instid1(VALU_DEP_1)
	v_lshrrev_b32_e32 v100, 16, v96
	v_min3_f16 v100, v97, v96, v100
	s_delay_alu instid0(VALU_DEP_3) | instskip(NEXT) | instid1(VALU_DEP_4)
	v_add_co_u32 v96, vcc_lo, v28, v98
	v_add_co_ci_u32_e32 v97, vcc_lo, v29, v99, vcc_lo
	global_store_b16 v[96:97], v100, off
	s_or_b32 exec_lo, exec_lo, s15
	s_and_b32 s16, s3, s8
	s_delay_alu instid0(SALU_CYCLE_1)
	s_and_saveexec_b32 s15, s16
	s_cbranch_execz .LBB210_134
.LBB210_150:
	v_cmp_ne_u32_e32 vcc_lo, 1, v73
	s_cbranch_vccnz .LBB210_152
; %bb.151:
	v_lshlrev_b64 v[96:97], 1, v[38:39]
	s_delay_alu instid0(VALU_DEP_1) | instskip(NEXT) | instid1(VALU_DEP_2)
	v_add_co_u32 v96, vcc_lo, v30, v96
	v_add_co_ci_u32_e32 v97, vcc_lo, v31, v97, vcc_lo
	flat_load_u16 v96, v[96:97]
	s_waitcnt vmcnt(0) lgkmcnt(0)
	v_mul_f16_e32 v96, v48, v96
	s_branch .LBB210_153
.LBB210_152:
	v_mov_b32_e32 v96, 0
.LBB210_153:
	v_pk_add_f16 v97, v14, v24
	v_pk_max_f16 v95, v95, v95
	v_pk_add_f16 v98, v15, v25
	s_delay_alu instid0(VALU_DEP_2) | instskip(NEXT) | instid1(VALU_DEP_1)
	v_pk_min_f16 v95, v95, v97
	v_pk_min_f16 v95, v95, v98
	v_lshlrev_b64 v[97:98], 1, v[38:39]
	s_delay_alu instid0(VALU_DEP_2) | instskip(NEXT) | instid1(VALU_DEP_1)
	v_lshrrev_b32_e32 v99, 16, v95
	v_min3_f16 v99, v96, v95, v99
	s_delay_alu instid0(VALU_DEP_3) | instskip(NEXT) | instid1(VALU_DEP_4)
	v_add_co_u32 v95, vcc_lo, v28, v97
	v_add_co_ci_u32_e32 v96, vcc_lo, v29, v98, vcc_lo
	global_store_b16 v[95:96], v99, off
	s_or_b32 exec_lo, exec_lo, s15
	s_and_b32 s16, s4, s8
	s_delay_alu instid0(SALU_CYCLE_1)
	s_and_saveexec_b32 s15, s16
	s_cbranch_execz .LBB210_135
.LBB210_154:
	v_cmp_ne_u32_e32 vcc_lo, 1, v73
	s_cbranch_vccnz .LBB210_156
; %bb.155:
	v_lshlrev_b64 v[95:96], 1, v[40:41]
	s_delay_alu instid0(VALU_DEP_1) | instskip(NEXT) | instid1(VALU_DEP_2)
	v_add_co_u32 v95, vcc_lo, v30, v95
	v_add_co_ci_u32_e32 v96, vcc_lo, v31, v96, vcc_lo
	flat_load_u16 v95, v[95:96]
	s_waitcnt vmcnt(0) lgkmcnt(0)
	v_mul_f16_e32 v95, v48, v95
	s_branch .LBB210_157
.LBB210_156:
	v_mov_b32_e32 v95, 0
.LBB210_157:
	v_pk_add_f16 v96, v8, v24
	v_pk_max_f16 v94, v94, v94
	v_pk_add_f16 v97, v9, v25
	s_delay_alu instid0(VALU_DEP_2) | instskip(NEXT) | instid1(VALU_DEP_1)
	v_pk_min_f16 v94, v94, v96
	v_pk_min_f16 v94, v94, v97
	v_lshlrev_b64 v[96:97], 1, v[40:41]
	s_delay_alu instid0(VALU_DEP_2) | instskip(NEXT) | instid1(VALU_DEP_1)
	v_lshrrev_b32_e32 v98, 16, v94
	v_min3_f16 v98, v95, v94, v98
	s_delay_alu instid0(VALU_DEP_3) | instskip(NEXT) | instid1(VALU_DEP_4)
	v_add_co_u32 v94, vcc_lo, v28, v96
	v_add_co_ci_u32_e32 v95, vcc_lo, v29, v97, vcc_lo
	global_store_b16 v[94:95], v98, off
	s_or_b32 exec_lo, exec_lo, s15
	s_and_b32 s16, s5, s8
	s_delay_alu instid0(SALU_CYCLE_1)
	s_and_saveexec_b32 s15, s16
	s_cbranch_execz .LBB210_136
.LBB210_158:
	v_cmp_ne_u32_e32 vcc_lo, 1, v73
	s_cbranch_vccnz .LBB210_160
; %bb.159:
	v_lshlrev_b64 v[94:95], 1, v[42:43]
	s_delay_alu instid0(VALU_DEP_1) | instskip(NEXT) | instid1(VALU_DEP_2)
	v_add_co_u32 v94, vcc_lo, v30, v94
	v_add_co_ci_u32_e32 v95, vcc_lo, v31, v95, vcc_lo
	flat_load_u16 v94, v[94:95]
	s_waitcnt vmcnt(0) lgkmcnt(0)
	v_mul_f16_e32 v94, v48, v94
	s_branch .LBB210_161
.LBB210_160:
	v_mov_b32_e32 v94, 0
.LBB210_161:
	v_pk_add_f16 v95, v10, v24
	v_pk_max_f16 v93, v93, v93
	v_pk_add_f16 v96, v11, v25
	s_delay_alu instid0(VALU_DEP_2) | instskip(NEXT) | instid1(VALU_DEP_1)
	v_pk_min_f16 v93, v93, v95
	v_pk_min_f16 v93, v93, v96
	v_lshlrev_b64 v[95:96], 1, v[42:43]
	s_delay_alu instid0(VALU_DEP_2) | instskip(NEXT) | instid1(VALU_DEP_1)
	v_lshrrev_b32_e32 v97, 16, v93
	v_min3_f16 v97, v94, v93, v97
	s_delay_alu instid0(VALU_DEP_3) | instskip(NEXT) | instid1(VALU_DEP_4)
	v_add_co_u32 v93, vcc_lo, v28, v95
	v_add_co_ci_u32_e32 v94, vcc_lo, v29, v96, vcc_lo
	global_store_b16 v[93:94], v97, off
	s_or_b32 exec_lo, exec_lo, s15
	s_and_b32 s16, s6, s8
	s_delay_alu instid0(SALU_CYCLE_1)
	s_and_saveexec_b32 s15, s16
	s_cbranch_execz .LBB210_137
.LBB210_162:
	v_cmp_ne_u32_e32 vcc_lo, 1, v73
	s_cbranch_vccnz .LBB210_164
; %bb.163:
	v_lshlrev_b64 v[93:94], 1, v[44:45]
	s_delay_alu instid0(VALU_DEP_1) | instskip(NEXT) | instid1(VALU_DEP_2)
	v_add_co_u32 v93, vcc_lo, v30, v93
	v_add_co_ci_u32_e32 v94, vcc_lo, v31, v94, vcc_lo
	flat_load_u16 v93, v[93:94]
	s_waitcnt vmcnt(0) lgkmcnt(0)
	v_mul_f16_e32 v93, v48, v93
	s_branch .LBB210_165
.LBB210_164:
	v_mov_b32_e32 v93, 0
.LBB210_165:
	v_pk_add_f16 v94, v0, v24
	v_pk_max_f16 v92, v92, v92
	v_pk_add_f16 v95, v1, v25
	s_delay_alu instid0(VALU_DEP_2) | instskip(NEXT) | instid1(VALU_DEP_1)
	v_pk_min_f16 v92, v92, v94
	v_pk_min_f16 v92, v92, v95
	v_lshlrev_b64 v[94:95], 1, v[44:45]
	s_delay_alu instid0(VALU_DEP_2) | instskip(NEXT) | instid1(VALU_DEP_1)
	v_lshrrev_b32_e32 v96, 16, v92
	v_min3_f16 v96, v93, v92, v96
	s_delay_alu instid0(VALU_DEP_3) | instskip(NEXT) | instid1(VALU_DEP_4)
	v_add_co_u32 v92, vcc_lo, v28, v94
	v_add_co_ci_u32_e32 v93, vcc_lo, v29, v95, vcc_lo
	global_store_b16 v[92:93], v96, off
	s_or_b32 exec_lo, exec_lo, s15
	s_and_b32 s15, s7, s8
	s_delay_alu instid0(SALU_CYCLE_1)
	s_and_saveexec_b32 s8, s15
	s_cbranch_execz .LBB210_170
.LBB210_166:
	v_cmp_ne_u32_e32 vcc_lo, 1, v73
	s_cbranch_vccnz .LBB210_168
; %bb.167:
	v_lshlrev_b64 v[92:93], 1, v[46:47]
	s_delay_alu instid0(VALU_DEP_1) | instskip(NEXT) | instid1(VALU_DEP_2)
	v_add_co_u32 v30, vcc_lo, v30, v92
	v_add_co_ci_u32_e32 v31, vcc_lo, v31, v93, vcc_lo
	flat_load_u16 v30, v[30:31]
	s_waitcnt vmcnt(0) lgkmcnt(0)
	v_mul_f16_e32 v30, v48, v30
	s_branch .LBB210_169
.LBB210_168:
	v_mov_b32_e32 v30, 0
.LBB210_169:
	v_pk_add_f16 v24, v2, v24
	v_pk_max_f16 v31, v91, v91
	v_pk_add_f16 v25, v3, v25
	s_delay_alu instid0(VALU_DEP_2) | instskip(NEXT) | instid1(VALU_DEP_1)
	v_pk_min_f16 v24, v31, v24
	v_pk_min_f16 v31, v24, v25
	v_lshlrev_b64 v[24:25], 1, v[46:47]
	s_delay_alu instid0(VALU_DEP_2) | instskip(NEXT) | instid1(VALU_DEP_2)
	v_lshrrev_b32_e32 v91, 16, v31
	v_add_co_u32 v24, vcc_lo, v28, v24
	s_delay_alu instid0(VALU_DEP_3) | instskip(NEXT) | instid1(VALU_DEP_3)
	v_add_co_ci_u32_e32 v25, vcc_lo, v29, v25, vcc_lo
	v_min3_f16 v30, v30, v31, v91
	global_store_b16 v[24:25], v30, off
.LBB210_170:
	s_or_b32 exec_lo, exec_lo, s8
	v_add_nc_u32_e32 v30, 24, v81
	s_delay_alu instid0(VALU_DEP_1) | instskip(SKIP_2) | instid1(VALU_DEP_3)
	v_mad_i64_i32 v[24:25], null, v30, s14, 0
	v_mad_i64_i32 v[28:29], null, v30, s9, 0
	v_cmp_gt_i32_e64 s8, s17, v30
	v_lshlrev_b64 v[24:25], 1, v[24:25]
	s_delay_alu instid0(VALU_DEP_2) | instskip(NEXT) | instid1(VALU_DEP_3)
	s_and_b32 s16, s0, s8
	v_lshlrev_b64 v[30:31], 1, v[28:29]
	s_delay_alu instid0(VALU_DEP_2) | instskip(NEXT) | instid1(VALU_DEP_3)
	v_add_co_u32 v28, vcc_lo, s10, v24
	v_add_co_ci_u32_e32 v29, vcc_lo, s11, v25, vcc_lo
	s_delay_alu instid0(VALU_DEP_3) | instskip(NEXT) | instid1(VALU_DEP_4)
	v_add_co_u32 v24, vcc_lo, s12, v30
	v_add_co_ci_u32_e32 v25, vcc_lo, s13, v31, vcc_lo
	s_and_saveexec_b32 s15, s16
	s_cbranch_execnz .LBB210_178
; %bb.171:
	s_or_b32 exec_lo, exec_lo, s15
	s_and_b32 s16, s1, s8
	s_delay_alu instid0(SALU_CYCLE_1)
	s_and_saveexec_b32 s15, s16
	s_cbranch_execnz .LBB210_182
.LBB210_172:
	s_or_b32 exec_lo, exec_lo, s15
	s_and_b32 s16, s2, s8
	s_delay_alu instid0(SALU_CYCLE_1)
	s_and_saveexec_b32 s15, s16
	s_cbranch_execnz .LBB210_186
.LBB210_173:
	s_or_b32 exec_lo, exec_lo, s15
	s_and_b32 s16, s3, s8
	s_delay_alu instid0(SALU_CYCLE_1)
	s_and_saveexec_b32 s15, s16
	s_cbranch_execnz .LBB210_190
.LBB210_174:
	s_or_b32 exec_lo, exec_lo, s15
	s_and_b32 s16, s4, s8
	s_delay_alu instid0(SALU_CYCLE_1)
	s_and_saveexec_b32 s15, s16
	s_cbranch_execnz .LBB210_194
.LBB210_175:
	s_or_b32 exec_lo, exec_lo, s15
	s_and_b32 s16, s5, s8
	s_delay_alu instid0(SALU_CYCLE_1)
	s_and_saveexec_b32 s15, s16
	s_cbranch_execnz .LBB210_198
.LBB210_176:
	s_or_b32 exec_lo, exec_lo, s15
	s_and_b32 s16, s6, s8
	s_delay_alu instid0(SALU_CYCLE_1)
	s_and_saveexec_b32 s15, s16
	s_cbranch_execnz .LBB210_202
.LBB210_177:
	s_or_b32 exec_lo, exec_lo, s15
	s_and_b32 s15, s7, s8
	s_delay_alu instid0(SALU_CYCLE_1)
	s_and_saveexec_b32 s8, s15
	s_cbranch_execnz .LBB210_206
	s_branch .LBB210_210
.LBB210_178:
	v_cmp_ne_u32_e32 vcc_lo, 1, v73
	s_cbranch_vccnz .LBB210_180
; %bb.179:
	v_lshlrev_b64 v[30:31], 1, v[32:33]
	s_delay_alu instid0(VALU_DEP_1) | instskip(NEXT) | instid1(VALU_DEP_2)
	v_add_co_u32 v30, vcc_lo, v28, v30
	v_add_co_ci_u32_e32 v31, vcc_lo, v29, v31, vcc_lo
	flat_load_u16 v30, v[30:31]
	s_waitcnt vmcnt(0) lgkmcnt(0)
	v_mul_f16_e32 v30, v48, v30
	s_branch .LBB210_181
.LBB210_180:
	v_mov_b32_e32 v30, 0
.LBB210_181:
	v_pk_add_f16 v31, v16, v26
	v_pk_max_f16 v90, v90, v90
	v_pk_add_f16 v91, v17, v27
	s_delay_alu instid0(VALU_DEP_2) | instskip(NEXT) | instid1(VALU_DEP_1)
	v_pk_min_f16 v31, v90, v31
	v_pk_min_f16 v31, v31, v91
	v_lshlrev_b64 v[90:91], 1, v[32:33]
	s_delay_alu instid0(VALU_DEP_2) | instskip(NEXT) | instid1(VALU_DEP_1)
	v_lshrrev_b32_e32 v92, 16, v31
	v_min3_f16 v92, v30, v31, v92
	s_delay_alu instid0(VALU_DEP_3) | instskip(NEXT) | instid1(VALU_DEP_4)
	v_add_co_u32 v30, vcc_lo, v24, v90
	v_add_co_ci_u32_e32 v31, vcc_lo, v25, v91, vcc_lo
	global_store_b16 v[30:31], v92, off
	s_or_b32 exec_lo, exec_lo, s15
	s_and_b32 s16, s1, s8
	s_delay_alu instid0(SALU_CYCLE_1)
	s_and_saveexec_b32 s15, s16
	s_cbranch_execz .LBB210_172
.LBB210_182:
	v_cmp_ne_u32_e32 vcc_lo, 1, v73
	s_cbranch_vccnz .LBB210_184
; %bb.183:
	v_lshlrev_b64 v[30:31], 1, v[34:35]
	s_delay_alu instid0(VALU_DEP_1) | instskip(NEXT) | instid1(VALU_DEP_2)
	v_add_co_u32 v30, vcc_lo, v28, v30
	v_add_co_ci_u32_e32 v31, vcc_lo, v29, v31, vcc_lo
	flat_load_u16 v30, v[30:31]
	s_waitcnt vmcnt(0) lgkmcnt(0)
	v_mul_f16_e32 v30, v48, v30
	s_branch .LBB210_185
.LBB210_184:
	v_mov_b32_e32 v30, 0
.LBB210_185:
	v_pk_add_f16 v31, v18, v26
	v_pk_max_f16 v89, v89, v89
	v_pk_add_f16 v90, v19, v27
	s_delay_alu instid0(VALU_DEP_2) | instskip(NEXT) | instid1(VALU_DEP_1)
	v_pk_min_f16 v31, v89, v31
	v_pk_min_f16 v31, v31, v90
	v_lshlrev_b64 v[89:90], 1, v[34:35]
	s_delay_alu instid0(VALU_DEP_2) | instskip(NEXT) | instid1(VALU_DEP_1)
	v_lshrrev_b32_e32 v91, 16, v31
	v_min3_f16 v91, v30, v31, v91
	s_delay_alu instid0(VALU_DEP_3) | instskip(NEXT) | instid1(VALU_DEP_4)
	v_add_co_u32 v30, vcc_lo, v24, v89
	v_add_co_ci_u32_e32 v31, vcc_lo, v25, v90, vcc_lo
	global_store_b16 v[30:31], v91, off
	s_or_b32 exec_lo, exec_lo, s15
	s_and_b32 s16, s2, s8
	s_delay_alu instid0(SALU_CYCLE_1)
	s_and_saveexec_b32 s15, s16
	s_cbranch_execz .LBB210_173
.LBB210_186:
	v_cmp_ne_u32_e32 vcc_lo, 1, v73
	s_cbranch_vccnz .LBB210_188
; %bb.187:
	v_lshlrev_b64 v[30:31], 1, v[36:37]
	s_delay_alu instid0(VALU_DEP_1) | instskip(NEXT) | instid1(VALU_DEP_2)
	v_add_co_u32 v30, vcc_lo, v28, v30
	v_add_co_ci_u32_e32 v31, vcc_lo, v29, v31, vcc_lo
	flat_load_u16 v30, v[30:31]
	s_waitcnt vmcnt(0) lgkmcnt(0)
	v_mul_f16_e32 v30, v48, v30
	s_branch .LBB210_189
.LBB210_188:
	v_mov_b32_e32 v30, 0
.LBB210_189:
	v_pk_add_f16 v31, v12, v26
	v_pk_max_f16 v88, v88, v88
	v_pk_add_f16 v89, v13, v27
	s_delay_alu instid0(VALU_DEP_2) | instskip(NEXT) | instid1(VALU_DEP_1)
	v_pk_min_f16 v31, v88, v31
	v_pk_min_f16 v31, v31, v89
	v_lshlrev_b64 v[88:89], 1, v[36:37]
	s_delay_alu instid0(VALU_DEP_2) | instskip(NEXT) | instid1(VALU_DEP_1)
	v_lshrrev_b32_e32 v90, 16, v31
	v_min3_f16 v90, v30, v31, v90
	s_delay_alu instid0(VALU_DEP_3) | instskip(NEXT) | instid1(VALU_DEP_4)
	v_add_co_u32 v30, vcc_lo, v24, v88
	v_add_co_ci_u32_e32 v31, vcc_lo, v25, v89, vcc_lo
	global_store_b16 v[30:31], v90, off
	s_or_b32 exec_lo, exec_lo, s15
	s_and_b32 s16, s3, s8
	s_delay_alu instid0(SALU_CYCLE_1)
	s_and_saveexec_b32 s15, s16
	s_cbranch_execz .LBB210_174
.LBB210_190:
	v_cmp_ne_u32_e32 vcc_lo, 1, v73
	s_cbranch_vccnz .LBB210_192
; %bb.191:
	v_lshlrev_b64 v[30:31], 1, v[38:39]
	s_delay_alu instid0(VALU_DEP_1) | instskip(NEXT) | instid1(VALU_DEP_2)
	v_add_co_u32 v30, vcc_lo, v28, v30
	v_add_co_ci_u32_e32 v31, vcc_lo, v29, v31, vcc_lo
	flat_load_u16 v30, v[30:31]
	s_waitcnt vmcnt(0) lgkmcnt(0)
	v_mul_f16_e32 v30, v48, v30
	s_branch .LBB210_193
.LBB210_192:
	v_mov_b32_e32 v30, 0
.LBB210_193:
	v_pk_add_f16 v31, v14, v26
	v_pk_max_f16 v87, v87, v87
	v_pk_add_f16 v88, v15, v27
	s_delay_alu instid0(VALU_DEP_2) | instskip(NEXT) | instid1(VALU_DEP_1)
	v_pk_min_f16 v31, v87, v31
	v_pk_min_f16 v31, v31, v88
	v_lshlrev_b64 v[87:88], 1, v[38:39]
	s_delay_alu instid0(VALU_DEP_2) | instskip(NEXT) | instid1(VALU_DEP_1)
	v_lshrrev_b32_e32 v89, 16, v31
	v_min3_f16 v89, v30, v31, v89
	s_delay_alu instid0(VALU_DEP_3) | instskip(NEXT) | instid1(VALU_DEP_4)
	v_add_co_u32 v30, vcc_lo, v24, v87
	v_add_co_ci_u32_e32 v31, vcc_lo, v25, v88, vcc_lo
	global_store_b16 v[30:31], v89, off
	s_or_b32 exec_lo, exec_lo, s15
	s_and_b32 s16, s4, s8
	s_delay_alu instid0(SALU_CYCLE_1)
	s_and_saveexec_b32 s15, s16
	s_cbranch_execz .LBB210_175
.LBB210_194:
	v_cmp_ne_u32_e32 vcc_lo, 1, v73
	s_cbranch_vccnz .LBB210_196
; %bb.195:
	v_lshlrev_b64 v[30:31], 1, v[40:41]
	s_delay_alu instid0(VALU_DEP_1) | instskip(NEXT) | instid1(VALU_DEP_2)
	v_add_co_u32 v30, vcc_lo, v28, v30
	v_add_co_ci_u32_e32 v31, vcc_lo, v29, v31, vcc_lo
	flat_load_u16 v30, v[30:31]
	s_waitcnt vmcnt(0) lgkmcnt(0)
	v_mul_f16_e32 v30, v48, v30
	s_branch .LBB210_197
.LBB210_196:
	v_mov_b32_e32 v30, 0
.LBB210_197:
	v_pk_add_f16 v31, v8, v26
	v_pk_max_f16 v86, v86, v86
	v_pk_add_f16 v87, v9, v27
	s_delay_alu instid0(VALU_DEP_2) | instskip(NEXT) | instid1(VALU_DEP_1)
	v_pk_min_f16 v31, v86, v31
	v_pk_min_f16 v31, v31, v87
	v_lshlrev_b64 v[86:87], 1, v[40:41]
	s_delay_alu instid0(VALU_DEP_2) | instskip(NEXT) | instid1(VALU_DEP_1)
	v_lshrrev_b32_e32 v88, 16, v31
	v_min3_f16 v88, v30, v31, v88
	s_delay_alu instid0(VALU_DEP_3) | instskip(NEXT) | instid1(VALU_DEP_4)
	v_add_co_u32 v30, vcc_lo, v24, v86
	v_add_co_ci_u32_e32 v31, vcc_lo, v25, v87, vcc_lo
	global_store_b16 v[30:31], v88, off
	s_or_b32 exec_lo, exec_lo, s15
	s_and_b32 s16, s5, s8
	s_delay_alu instid0(SALU_CYCLE_1)
	s_and_saveexec_b32 s15, s16
	s_cbranch_execz .LBB210_176
.LBB210_198:
	v_cmp_ne_u32_e32 vcc_lo, 1, v73
	s_cbranch_vccnz .LBB210_200
; %bb.199:
	v_lshlrev_b64 v[30:31], 1, v[42:43]
	s_delay_alu instid0(VALU_DEP_1) | instskip(NEXT) | instid1(VALU_DEP_2)
	v_add_co_u32 v30, vcc_lo, v28, v30
	v_add_co_ci_u32_e32 v31, vcc_lo, v29, v31, vcc_lo
	flat_load_u16 v30, v[30:31]
	s_waitcnt vmcnt(0) lgkmcnt(0)
	v_mul_f16_e32 v30, v48, v30
	s_branch .LBB210_201
.LBB210_200:
	v_mov_b32_e32 v30, 0
.LBB210_201:
	v_pk_add_f16 v31, v10, v26
	v_pk_max_f16 v85, v85, v85
	v_pk_add_f16 v86, v11, v27
	s_delay_alu instid0(VALU_DEP_2) | instskip(NEXT) | instid1(VALU_DEP_1)
	v_pk_min_f16 v31, v85, v31
	v_pk_min_f16 v31, v31, v86
	v_lshlrev_b64 v[85:86], 1, v[42:43]
	s_delay_alu instid0(VALU_DEP_2) | instskip(NEXT) | instid1(VALU_DEP_1)
	v_lshrrev_b32_e32 v87, 16, v31
	v_min3_f16 v87, v30, v31, v87
	s_delay_alu instid0(VALU_DEP_3) | instskip(NEXT) | instid1(VALU_DEP_4)
	v_add_co_u32 v30, vcc_lo, v24, v85
	v_add_co_ci_u32_e32 v31, vcc_lo, v25, v86, vcc_lo
	global_store_b16 v[30:31], v87, off
	s_or_b32 exec_lo, exec_lo, s15
	s_and_b32 s16, s6, s8
	s_delay_alu instid0(SALU_CYCLE_1)
	s_and_saveexec_b32 s15, s16
	s_cbranch_execz .LBB210_177
.LBB210_202:
	v_cmp_ne_u32_e32 vcc_lo, 1, v73
	s_cbranch_vccnz .LBB210_204
; %bb.203:
	v_lshlrev_b64 v[30:31], 1, v[44:45]
	s_delay_alu instid0(VALU_DEP_1) | instskip(NEXT) | instid1(VALU_DEP_2)
	v_add_co_u32 v30, vcc_lo, v28, v30
	v_add_co_ci_u32_e32 v31, vcc_lo, v29, v31, vcc_lo
	flat_load_u16 v30, v[30:31]
	s_waitcnt vmcnt(0) lgkmcnt(0)
	v_mul_f16_e32 v30, v48, v30
	s_branch .LBB210_205
.LBB210_204:
	v_mov_b32_e32 v30, 0
.LBB210_205:
	v_pk_add_f16 v31, v0, v26
	v_pk_max_f16 v84, v84, v84
	v_pk_add_f16 v85, v1, v27
	s_delay_alu instid0(VALU_DEP_2) | instskip(NEXT) | instid1(VALU_DEP_1)
	v_pk_min_f16 v31, v84, v31
	v_pk_min_f16 v31, v31, v85
	v_lshlrev_b64 v[84:85], 1, v[44:45]
	s_delay_alu instid0(VALU_DEP_2) | instskip(NEXT) | instid1(VALU_DEP_1)
	v_lshrrev_b32_e32 v86, 16, v31
	v_min3_f16 v86, v30, v31, v86
	s_delay_alu instid0(VALU_DEP_3) | instskip(NEXT) | instid1(VALU_DEP_4)
	v_add_co_u32 v30, vcc_lo, v24, v84
	v_add_co_ci_u32_e32 v31, vcc_lo, v25, v85, vcc_lo
	global_store_b16 v[30:31], v86, off
	s_or_b32 exec_lo, exec_lo, s15
	s_and_b32 s15, s7, s8
	s_delay_alu instid0(SALU_CYCLE_1)
	s_and_saveexec_b32 s8, s15
	s_cbranch_execz .LBB210_210
.LBB210_206:
	v_cmp_ne_u32_e32 vcc_lo, 1, v73
	s_cbranch_vccnz .LBB210_208
; %bb.207:
	v_lshlrev_b64 v[30:31], 1, v[46:47]
	s_delay_alu instid0(VALU_DEP_1) | instskip(NEXT) | instid1(VALU_DEP_2)
	v_add_co_u32 v28, vcc_lo, v28, v30
	v_add_co_ci_u32_e32 v29, vcc_lo, v29, v31, vcc_lo
	flat_load_u16 v28, v[28:29]
	s_waitcnt vmcnt(0) lgkmcnt(0)
	v_mul_f16_e32 v28, v48, v28
	s_branch .LBB210_209
.LBB210_208:
	v_mov_b32_e32 v28, 0
.LBB210_209:
	v_pk_add_f16 v26, v2, v26
	v_pk_max_f16 v29, v83, v83
	v_pk_add_f16 v27, v3, v27
	s_delay_alu instid0(VALU_DEP_2) | instskip(NEXT) | instid1(VALU_DEP_1)
	v_pk_min_f16 v26, v29, v26
	v_pk_min_f16 v29, v26, v27
	v_lshlrev_b64 v[26:27], 1, v[46:47]
	s_delay_alu instid0(VALU_DEP_2) | instskip(NEXT) | instid1(VALU_DEP_2)
	v_lshrrev_b32_e32 v30, 16, v29
	v_add_co_u32 v24, vcc_lo, v24, v26
	s_delay_alu instid0(VALU_DEP_3) | instskip(NEXT) | instid1(VALU_DEP_3)
	v_add_co_ci_u32_e32 v25, vcc_lo, v25, v27, vcc_lo
	v_min3_f16 v28, v28, v29, v30
	global_store_b16 v[24:25], v28, off
.LBB210_210:
	s_or_b32 exec_lo, exec_lo, s8
	v_add_nc_u32_e32 v28, 32, v81
	s_delay_alu instid0(VALU_DEP_1) | instskip(SKIP_2) | instid1(VALU_DEP_3)
	v_mad_i64_i32 v[24:25], null, v28, s14, 0
	v_mad_i64_i32 v[26:27], null, v28, s9, 0
	v_cmp_gt_i32_e64 s8, s17, v28
	v_lshlrev_b64 v[24:25], 1, v[24:25]
	s_delay_alu instid0(VALU_DEP_2) | instskip(NEXT) | instid1(VALU_DEP_3)
	s_and_b32 s16, s0, s8
	v_lshlrev_b64 v[28:29], 1, v[26:27]
	s_delay_alu instid0(VALU_DEP_2) | instskip(NEXT) | instid1(VALU_DEP_3)
	v_add_co_u32 v26, vcc_lo, s10, v24
	v_add_co_ci_u32_e32 v27, vcc_lo, s11, v25, vcc_lo
	s_delay_alu instid0(VALU_DEP_3) | instskip(NEXT) | instid1(VALU_DEP_4)
	v_add_co_u32 v24, vcc_lo, s12, v28
	v_add_co_ci_u32_e32 v25, vcc_lo, s13, v29, vcc_lo
	s_and_saveexec_b32 s15, s16
	s_cbranch_execnz .LBB210_218
; %bb.211:
	s_or_b32 exec_lo, exec_lo, s15
	s_and_b32 s16, s1, s8
	s_delay_alu instid0(SALU_CYCLE_1)
	s_and_saveexec_b32 s15, s16
	s_cbranch_execnz .LBB210_222
.LBB210_212:
	s_or_b32 exec_lo, exec_lo, s15
	s_and_b32 s16, s2, s8
	s_delay_alu instid0(SALU_CYCLE_1)
	s_and_saveexec_b32 s15, s16
	s_cbranch_execnz .LBB210_226
.LBB210_213:
	s_or_b32 exec_lo, exec_lo, s15
	s_and_b32 s16, s3, s8
	s_delay_alu instid0(SALU_CYCLE_1)
	s_and_saveexec_b32 s15, s16
	s_cbranch_execnz .LBB210_230
.LBB210_214:
	s_or_b32 exec_lo, exec_lo, s15
	s_and_b32 s16, s4, s8
	s_delay_alu instid0(SALU_CYCLE_1)
	s_and_saveexec_b32 s15, s16
	s_cbranch_execnz .LBB210_234
.LBB210_215:
	s_or_b32 exec_lo, exec_lo, s15
	s_and_b32 s16, s5, s8
	s_delay_alu instid0(SALU_CYCLE_1)
	s_and_saveexec_b32 s15, s16
	s_cbranch_execnz .LBB210_238
.LBB210_216:
	s_or_b32 exec_lo, exec_lo, s15
	s_and_b32 s16, s6, s8
	s_delay_alu instid0(SALU_CYCLE_1)
	s_and_saveexec_b32 s15, s16
	s_cbranch_execnz .LBB210_242
.LBB210_217:
	s_or_b32 exec_lo, exec_lo, s15
	s_and_b32 s15, s7, s8
	s_delay_alu instid0(SALU_CYCLE_1)
	s_and_saveexec_b32 s8, s15
	s_cbranch_execnz .LBB210_246
	s_branch .LBB210_250
.LBB210_218:
	v_cmp_ne_u32_e32 vcc_lo, 1, v73
	s_cbranch_vccnz .LBB210_220
; %bb.219:
	v_lshlrev_b64 v[28:29], 1, v[32:33]
	s_delay_alu instid0(VALU_DEP_1) | instskip(NEXT) | instid1(VALU_DEP_2)
	v_add_co_u32 v28, vcc_lo, v26, v28
	v_add_co_ci_u32_e32 v29, vcc_lo, v27, v29, vcc_lo
	flat_load_u16 v28, v[28:29]
	s_waitcnt vmcnt(0) lgkmcnt(0)
	v_mul_f16_e32 v28, v48, v28
	s_branch .LBB210_221
.LBB210_220:
	v_mov_b32_e32 v28, 0
.LBB210_221:
	v_pk_add_f16 v29, v16, v20
	v_pk_max_f16 v30, v82, v82
	v_pk_add_f16 v31, v17, v21
	s_delay_alu instid0(VALU_DEP_2) | instskip(NEXT) | instid1(VALU_DEP_1)
	v_pk_min_f16 v29, v30, v29
	v_pk_min_f16 v31, v29, v31
	v_lshlrev_b64 v[29:30], 1, v[32:33]
	s_delay_alu instid0(VALU_DEP_2) | instskip(NEXT) | instid1(VALU_DEP_1)
	v_lshrrev_b32_e32 v82, 16, v31
	v_min3_f16 v31, v28, v31, v82
	s_delay_alu instid0(VALU_DEP_3) | instskip(NEXT) | instid1(VALU_DEP_4)
	v_add_co_u32 v28, vcc_lo, v24, v29
	v_add_co_ci_u32_e32 v29, vcc_lo, v25, v30, vcc_lo
	global_store_b16 v[28:29], v31, off
	s_or_b32 exec_lo, exec_lo, s15
	s_and_b32 s16, s1, s8
	s_delay_alu instid0(SALU_CYCLE_1)
	s_and_saveexec_b32 s15, s16
	s_cbranch_execz .LBB210_212
.LBB210_222:
	v_cmp_ne_u32_e32 vcc_lo, 1, v73
	s_cbranch_vccnz .LBB210_224
; %bb.223:
	v_lshlrev_b64 v[28:29], 1, v[34:35]
	s_delay_alu instid0(VALU_DEP_1) | instskip(NEXT) | instid1(VALU_DEP_2)
	v_add_co_u32 v28, vcc_lo, v26, v28
	v_add_co_ci_u32_e32 v29, vcc_lo, v27, v29, vcc_lo
	flat_load_u16 v28, v[28:29]
	s_waitcnt vmcnt(0) lgkmcnt(0)
	v_mul_f16_e32 v28, v48, v28
	s_branch .LBB210_225
.LBB210_224:
	v_mov_b32_e32 v28, 0
.LBB210_225:
	v_pk_add_f16 v29, v18, v20
	v_pk_max_f16 v30, v80, v80
	v_pk_add_f16 v31, v19, v21
	s_delay_alu instid0(VALU_DEP_2) | instskip(NEXT) | instid1(VALU_DEP_1)
	v_pk_min_f16 v29, v30, v29
	v_pk_min_f16 v31, v29, v31
	v_lshlrev_b64 v[29:30], 1, v[34:35]
	s_delay_alu instid0(VALU_DEP_2) | instskip(NEXT) | instid1(VALU_DEP_1)
	v_lshrrev_b32_e32 v80, 16, v31
	v_min3_f16 v31, v28, v31, v80
	s_delay_alu instid0(VALU_DEP_3) | instskip(NEXT) | instid1(VALU_DEP_4)
	v_add_co_u32 v28, vcc_lo, v24, v29
	v_add_co_ci_u32_e32 v29, vcc_lo, v25, v30, vcc_lo
	global_store_b16 v[28:29], v31, off
	s_or_b32 exec_lo, exec_lo, s15
	s_and_b32 s16, s2, s8
	s_delay_alu instid0(SALU_CYCLE_1)
	s_and_saveexec_b32 s15, s16
	s_cbranch_execz .LBB210_213
.LBB210_226:
	v_cmp_ne_u32_e32 vcc_lo, 1, v73
	s_cbranch_vccnz .LBB210_228
; %bb.227:
	v_lshlrev_b64 v[28:29], 1, v[36:37]
	s_delay_alu instid0(VALU_DEP_1) | instskip(NEXT) | instid1(VALU_DEP_2)
	v_add_co_u32 v28, vcc_lo, v26, v28
	v_add_co_ci_u32_e32 v29, vcc_lo, v27, v29, vcc_lo
	flat_load_u16 v28, v[28:29]
	s_waitcnt vmcnt(0) lgkmcnt(0)
	v_mul_f16_e32 v28, v48, v28
	s_branch .LBB210_229
.LBB210_228:
	v_mov_b32_e32 v28, 0
.LBB210_229:
	v_pk_add_f16 v29, v12, v20
	v_pk_max_f16 v30, v79, v79
	v_pk_add_f16 v31, v13, v21
	s_delay_alu instid0(VALU_DEP_2) | instskip(NEXT) | instid1(VALU_DEP_1)
	v_pk_min_f16 v29, v30, v29
	v_pk_min_f16 v31, v29, v31
	v_lshlrev_b64 v[29:30], 1, v[36:37]
	s_delay_alu instid0(VALU_DEP_2) | instskip(NEXT) | instid1(VALU_DEP_1)
	v_lshrrev_b32_e32 v79, 16, v31
	v_min3_f16 v31, v28, v31, v79
	s_delay_alu instid0(VALU_DEP_3) | instskip(NEXT) | instid1(VALU_DEP_4)
	v_add_co_u32 v28, vcc_lo, v24, v29
	v_add_co_ci_u32_e32 v29, vcc_lo, v25, v30, vcc_lo
	global_store_b16 v[28:29], v31, off
	s_or_b32 exec_lo, exec_lo, s15
	s_and_b32 s16, s3, s8
	s_delay_alu instid0(SALU_CYCLE_1)
	s_and_saveexec_b32 s15, s16
	s_cbranch_execz .LBB210_214
.LBB210_230:
	v_cmp_ne_u32_e32 vcc_lo, 1, v73
	s_cbranch_vccnz .LBB210_232
; %bb.231:
	v_lshlrev_b64 v[28:29], 1, v[38:39]
	s_delay_alu instid0(VALU_DEP_1) | instskip(NEXT) | instid1(VALU_DEP_2)
	v_add_co_u32 v28, vcc_lo, v26, v28
	v_add_co_ci_u32_e32 v29, vcc_lo, v27, v29, vcc_lo
	flat_load_u16 v28, v[28:29]
	s_waitcnt vmcnt(0) lgkmcnt(0)
	v_mul_f16_e32 v28, v48, v28
	s_branch .LBB210_233
.LBB210_232:
	v_mov_b32_e32 v28, 0
.LBB210_233:
	v_pk_add_f16 v29, v14, v20
	v_pk_max_f16 v30, v78, v78
	v_pk_add_f16 v31, v15, v21
	s_delay_alu instid0(VALU_DEP_2) | instskip(NEXT) | instid1(VALU_DEP_1)
	v_pk_min_f16 v29, v30, v29
	v_pk_min_f16 v31, v29, v31
	v_lshlrev_b64 v[29:30], 1, v[38:39]
	s_delay_alu instid0(VALU_DEP_2) | instskip(NEXT) | instid1(VALU_DEP_1)
	v_lshrrev_b32_e32 v78, 16, v31
	v_min3_f16 v31, v28, v31, v78
	s_delay_alu instid0(VALU_DEP_3) | instskip(NEXT) | instid1(VALU_DEP_4)
	v_add_co_u32 v28, vcc_lo, v24, v29
	v_add_co_ci_u32_e32 v29, vcc_lo, v25, v30, vcc_lo
	global_store_b16 v[28:29], v31, off
	s_or_b32 exec_lo, exec_lo, s15
	s_and_b32 s16, s4, s8
	s_delay_alu instid0(SALU_CYCLE_1)
	s_and_saveexec_b32 s15, s16
	s_cbranch_execz .LBB210_215
.LBB210_234:
	v_cmp_ne_u32_e32 vcc_lo, 1, v73
	s_cbranch_vccnz .LBB210_236
; %bb.235:
	v_lshlrev_b64 v[28:29], 1, v[40:41]
	s_delay_alu instid0(VALU_DEP_1) | instskip(NEXT) | instid1(VALU_DEP_2)
	v_add_co_u32 v28, vcc_lo, v26, v28
	v_add_co_ci_u32_e32 v29, vcc_lo, v27, v29, vcc_lo
	flat_load_u16 v28, v[28:29]
	s_waitcnt vmcnt(0) lgkmcnt(0)
	v_mul_f16_e32 v28, v48, v28
	s_branch .LBB210_237
.LBB210_236:
	v_mov_b32_e32 v28, 0
.LBB210_237:
	v_pk_add_f16 v29, v8, v20
	v_pk_max_f16 v30, v77, v77
	v_pk_add_f16 v31, v9, v21
	s_delay_alu instid0(VALU_DEP_2) | instskip(NEXT) | instid1(VALU_DEP_1)
	v_pk_min_f16 v29, v30, v29
	v_pk_min_f16 v31, v29, v31
	v_lshlrev_b64 v[29:30], 1, v[40:41]
	s_delay_alu instid0(VALU_DEP_2) | instskip(NEXT) | instid1(VALU_DEP_1)
	v_lshrrev_b32_e32 v77, 16, v31
	v_min3_f16 v31, v28, v31, v77
	s_delay_alu instid0(VALU_DEP_3) | instskip(NEXT) | instid1(VALU_DEP_4)
	v_add_co_u32 v28, vcc_lo, v24, v29
	v_add_co_ci_u32_e32 v29, vcc_lo, v25, v30, vcc_lo
	global_store_b16 v[28:29], v31, off
	s_or_b32 exec_lo, exec_lo, s15
	s_and_b32 s16, s5, s8
	s_delay_alu instid0(SALU_CYCLE_1)
	s_and_saveexec_b32 s15, s16
	s_cbranch_execz .LBB210_216
.LBB210_238:
	v_cmp_ne_u32_e32 vcc_lo, 1, v73
	s_cbranch_vccnz .LBB210_240
; %bb.239:
	v_lshlrev_b64 v[28:29], 1, v[42:43]
	s_delay_alu instid0(VALU_DEP_1) | instskip(NEXT) | instid1(VALU_DEP_2)
	v_add_co_u32 v28, vcc_lo, v26, v28
	v_add_co_ci_u32_e32 v29, vcc_lo, v27, v29, vcc_lo
	flat_load_u16 v28, v[28:29]
	s_waitcnt vmcnt(0) lgkmcnt(0)
	v_mul_f16_e32 v28, v48, v28
	s_branch .LBB210_241
.LBB210_240:
	v_mov_b32_e32 v28, 0
.LBB210_241:
	v_pk_add_f16 v29, v10, v20
	v_pk_max_f16 v30, v76, v76
	v_pk_add_f16 v31, v11, v21
	s_delay_alu instid0(VALU_DEP_2) | instskip(NEXT) | instid1(VALU_DEP_1)
	v_pk_min_f16 v29, v30, v29
	v_pk_min_f16 v31, v29, v31
	v_lshlrev_b64 v[29:30], 1, v[42:43]
	s_delay_alu instid0(VALU_DEP_2) | instskip(NEXT) | instid1(VALU_DEP_1)
	v_lshrrev_b32_e32 v76, 16, v31
	v_min3_f16 v31, v28, v31, v76
	s_delay_alu instid0(VALU_DEP_3) | instskip(NEXT) | instid1(VALU_DEP_4)
	v_add_co_u32 v28, vcc_lo, v24, v29
	v_add_co_ci_u32_e32 v29, vcc_lo, v25, v30, vcc_lo
	global_store_b16 v[28:29], v31, off
	s_or_b32 exec_lo, exec_lo, s15
	s_and_b32 s16, s6, s8
	s_delay_alu instid0(SALU_CYCLE_1)
	s_and_saveexec_b32 s15, s16
	s_cbranch_execz .LBB210_217
.LBB210_242:
	v_cmp_ne_u32_e32 vcc_lo, 1, v73
	s_cbranch_vccnz .LBB210_244
; %bb.243:
	v_lshlrev_b64 v[28:29], 1, v[44:45]
	s_delay_alu instid0(VALU_DEP_1) | instskip(NEXT) | instid1(VALU_DEP_2)
	v_add_co_u32 v28, vcc_lo, v26, v28
	v_add_co_ci_u32_e32 v29, vcc_lo, v27, v29, vcc_lo
	flat_load_u16 v28, v[28:29]
	s_waitcnt vmcnt(0) lgkmcnt(0)
	v_mul_f16_e32 v28, v48, v28
	s_branch .LBB210_245
.LBB210_244:
	v_mov_b32_e32 v28, 0
.LBB210_245:
	v_pk_add_f16 v29, v0, v20
	v_pk_max_f16 v30, v75, v75
	v_pk_add_f16 v31, v1, v21
	s_delay_alu instid0(VALU_DEP_2) | instskip(NEXT) | instid1(VALU_DEP_1)
	v_pk_min_f16 v29, v30, v29
	v_pk_min_f16 v31, v29, v31
	v_lshlrev_b64 v[29:30], 1, v[44:45]
	s_delay_alu instid0(VALU_DEP_2) | instskip(NEXT) | instid1(VALU_DEP_1)
	v_lshrrev_b32_e32 v75, 16, v31
	v_min3_f16 v31, v28, v31, v75
	s_delay_alu instid0(VALU_DEP_3) | instskip(NEXT) | instid1(VALU_DEP_4)
	v_add_co_u32 v28, vcc_lo, v24, v29
	v_add_co_ci_u32_e32 v29, vcc_lo, v25, v30, vcc_lo
	global_store_b16 v[28:29], v31, off
	s_or_b32 exec_lo, exec_lo, s15
	s_and_b32 s15, s7, s8
	s_delay_alu instid0(SALU_CYCLE_1)
	s_and_saveexec_b32 s8, s15
	s_cbranch_execz .LBB210_250
.LBB210_246:
	v_cmp_ne_u32_e32 vcc_lo, 1, v73
	s_cbranch_vccnz .LBB210_248
; %bb.247:
	v_lshlrev_b64 v[28:29], 1, v[46:47]
	s_delay_alu instid0(VALU_DEP_1) | instskip(NEXT) | instid1(VALU_DEP_2)
	v_add_co_u32 v26, vcc_lo, v26, v28
	v_add_co_ci_u32_e32 v27, vcc_lo, v27, v29, vcc_lo
	flat_load_u16 v26, v[26:27]
	s_waitcnt vmcnt(0) lgkmcnt(0)
	v_mul_f16_e32 v26, v48, v26
	s_branch .LBB210_249
.LBB210_248:
	v_mov_b32_e32 v26, 0
.LBB210_249:
	v_pk_add_f16 v20, v2, v20
	v_pk_max_f16 v27, v74, v74
	v_pk_add_f16 v21, v3, v21
	s_delay_alu instid0(VALU_DEP_2) | instskip(NEXT) | instid1(VALU_DEP_1)
	v_pk_min_f16 v20, v27, v20
	v_pk_min_f16 v27, v20, v21
	v_lshlrev_b64 v[20:21], 1, v[46:47]
	s_delay_alu instid0(VALU_DEP_2) | instskip(NEXT) | instid1(VALU_DEP_2)
	v_lshrrev_b32_e32 v28, 16, v27
	v_add_co_u32 v20, vcc_lo, v24, v20
	s_delay_alu instid0(VALU_DEP_3) | instskip(NEXT) | instid1(VALU_DEP_3)
	v_add_co_ci_u32_e32 v21, vcc_lo, v25, v21, vcc_lo
	v_min3_f16 v26, v26, v27, v28
	global_store_b16 v[20:21], v26, off
.LBB210_250:
	s_or_b32 exec_lo, exec_lo, s8
	v_add_nc_u32_e32 v26, 40, v81
	s_delay_alu instid0(VALU_DEP_1) | instskip(SKIP_2) | instid1(VALU_DEP_3)
	v_mad_i64_i32 v[20:21], null, v26, s14, 0
	v_mad_i64_i32 v[24:25], null, v26, s9, 0
	v_cmp_gt_i32_e64 s8, s17, v26
	v_lshlrev_b64 v[20:21], 1, v[20:21]
	s_delay_alu instid0(VALU_DEP_2) | instskip(NEXT) | instid1(VALU_DEP_3)
	s_and_b32 s16, s0, s8
	v_lshlrev_b64 v[26:27], 1, v[24:25]
	s_delay_alu instid0(VALU_DEP_2) | instskip(NEXT) | instid1(VALU_DEP_3)
	v_add_co_u32 v24, vcc_lo, s10, v20
	v_add_co_ci_u32_e32 v25, vcc_lo, s11, v21, vcc_lo
	s_delay_alu instid0(VALU_DEP_3) | instskip(NEXT) | instid1(VALU_DEP_4)
	v_add_co_u32 v20, vcc_lo, s12, v26
	v_add_co_ci_u32_e32 v21, vcc_lo, s13, v27, vcc_lo
	s_and_saveexec_b32 s15, s16
	s_cbranch_execnz .LBB210_258
; %bb.251:
	s_or_b32 exec_lo, exec_lo, s15
	s_and_b32 s16, s1, s8
	s_delay_alu instid0(SALU_CYCLE_1)
	s_and_saveexec_b32 s15, s16
	s_cbranch_execnz .LBB210_262
.LBB210_252:
	s_or_b32 exec_lo, exec_lo, s15
	s_and_b32 s16, s2, s8
	s_delay_alu instid0(SALU_CYCLE_1)
	s_and_saveexec_b32 s15, s16
	s_cbranch_execnz .LBB210_266
.LBB210_253:
	s_or_b32 exec_lo, exec_lo, s15
	s_and_b32 s16, s3, s8
	s_delay_alu instid0(SALU_CYCLE_1)
	s_and_saveexec_b32 s15, s16
	s_cbranch_execnz .LBB210_270
.LBB210_254:
	s_or_b32 exec_lo, exec_lo, s15
	s_and_b32 s16, s4, s8
	s_delay_alu instid0(SALU_CYCLE_1)
	s_and_saveexec_b32 s15, s16
	s_cbranch_execnz .LBB210_274
.LBB210_255:
	s_or_b32 exec_lo, exec_lo, s15
	s_and_b32 s16, s5, s8
	s_delay_alu instid0(SALU_CYCLE_1)
	s_and_saveexec_b32 s15, s16
	s_cbranch_execnz .LBB210_278
.LBB210_256:
	s_or_b32 exec_lo, exec_lo, s15
	s_and_b32 s16, s6, s8
	s_delay_alu instid0(SALU_CYCLE_1)
	s_and_saveexec_b32 s15, s16
	s_cbranch_execnz .LBB210_282
.LBB210_257:
	s_or_b32 exec_lo, exec_lo, s15
	s_and_b32 s15, s7, s8
	s_delay_alu instid0(SALU_CYCLE_1)
	s_and_saveexec_b32 s8, s15
	s_cbranch_execnz .LBB210_286
	s_branch .LBB210_290
.LBB210_258:
	v_cmp_ne_u32_e32 vcc_lo, 1, v73
	s_cbranch_vccnz .LBB210_260
; %bb.259:
	v_lshlrev_b64 v[26:27], 1, v[32:33]
	s_delay_alu instid0(VALU_DEP_1) | instskip(NEXT) | instid1(VALU_DEP_2)
	v_add_co_u32 v26, vcc_lo, v24, v26
	v_add_co_ci_u32_e32 v27, vcc_lo, v25, v27, vcc_lo
	flat_load_u16 v26, v[26:27]
	s_waitcnt vmcnt(0) lgkmcnt(0)
	v_mul_f16_e32 v26, v48, v26
	s_branch .LBB210_261
.LBB210_260:
	v_mov_b32_e32 v26, 0
.LBB210_261:
	v_pk_add_f16 v27, v16, v22
	v_pk_max_f16 v28, v72, v72
	v_pk_add_f16 v29, v17, v23
	s_delay_alu instid0(VALU_DEP_2) | instskip(NEXT) | instid1(VALU_DEP_1)
	v_pk_min_f16 v27, v28, v27
	v_pk_min_f16 v29, v27, v29
	v_lshlrev_b64 v[27:28], 1, v[32:33]
	s_delay_alu instid0(VALU_DEP_2) | instskip(NEXT) | instid1(VALU_DEP_1)
	v_lshrrev_b32_e32 v30, 16, v29
	v_min3_f16 v29, v26, v29, v30
	s_delay_alu instid0(VALU_DEP_3) | instskip(NEXT) | instid1(VALU_DEP_4)
	v_add_co_u32 v26, vcc_lo, v20, v27
	v_add_co_ci_u32_e32 v27, vcc_lo, v21, v28, vcc_lo
	global_store_b16 v[26:27], v29, off
	s_or_b32 exec_lo, exec_lo, s15
	s_and_b32 s16, s1, s8
	s_delay_alu instid0(SALU_CYCLE_1)
	s_and_saveexec_b32 s15, s16
	s_cbranch_execz .LBB210_252
.LBB210_262:
	v_cmp_ne_u32_e32 vcc_lo, 1, v73
	s_cbranch_vccnz .LBB210_264
; %bb.263:
	v_lshlrev_b64 v[26:27], 1, v[34:35]
	s_delay_alu instid0(VALU_DEP_1) | instskip(NEXT) | instid1(VALU_DEP_2)
	v_add_co_u32 v26, vcc_lo, v24, v26
	v_add_co_ci_u32_e32 v27, vcc_lo, v25, v27, vcc_lo
	flat_load_u16 v26, v[26:27]
	s_waitcnt vmcnt(0) lgkmcnt(0)
	v_mul_f16_e32 v26, v48, v26
	s_branch .LBB210_265
.LBB210_264:
	v_mov_b32_e32 v26, 0
.LBB210_265:
	v_pk_add_f16 v27, v18, v22
	v_pk_max_f16 v28, v71, v71
	v_pk_add_f16 v29, v19, v23
	s_delay_alu instid0(VALU_DEP_2) | instskip(NEXT) | instid1(VALU_DEP_1)
	v_pk_min_f16 v27, v28, v27
	v_pk_min_f16 v29, v27, v29
	v_lshlrev_b64 v[27:28], 1, v[34:35]
	s_delay_alu instid0(VALU_DEP_2) | instskip(NEXT) | instid1(VALU_DEP_1)
	v_lshrrev_b32_e32 v30, 16, v29
	v_min3_f16 v29, v26, v29, v30
	s_delay_alu instid0(VALU_DEP_3) | instskip(NEXT) | instid1(VALU_DEP_4)
	v_add_co_u32 v26, vcc_lo, v20, v27
	v_add_co_ci_u32_e32 v27, vcc_lo, v21, v28, vcc_lo
	global_store_b16 v[26:27], v29, off
	s_or_b32 exec_lo, exec_lo, s15
	s_and_b32 s16, s2, s8
	s_delay_alu instid0(SALU_CYCLE_1)
	s_and_saveexec_b32 s15, s16
	s_cbranch_execz .LBB210_253
.LBB210_266:
	v_cmp_ne_u32_e32 vcc_lo, 1, v73
	s_cbranch_vccnz .LBB210_268
; %bb.267:
	v_lshlrev_b64 v[26:27], 1, v[36:37]
	s_delay_alu instid0(VALU_DEP_1) | instskip(NEXT) | instid1(VALU_DEP_2)
	v_add_co_u32 v26, vcc_lo, v24, v26
	v_add_co_ci_u32_e32 v27, vcc_lo, v25, v27, vcc_lo
	flat_load_u16 v26, v[26:27]
	s_waitcnt vmcnt(0) lgkmcnt(0)
	v_mul_f16_e32 v26, v48, v26
	s_branch .LBB210_269
.LBB210_268:
	v_mov_b32_e32 v26, 0
.LBB210_269:
	v_pk_add_f16 v27, v12, v22
	v_pk_max_f16 v28, v70, v70
	v_pk_add_f16 v29, v13, v23
	s_delay_alu instid0(VALU_DEP_2) | instskip(NEXT) | instid1(VALU_DEP_1)
	v_pk_min_f16 v27, v28, v27
	v_pk_min_f16 v29, v27, v29
	v_lshlrev_b64 v[27:28], 1, v[36:37]
	s_delay_alu instid0(VALU_DEP_2) | instskip(NEXT) | instid1(VALU_DEP_1)
	v_lshrrev_b32_e32 v30, 16, v29
	v_min3_f16 v29, v26, v29, v30
	s_delay_alu instid0(VALU_DEP_3) | instskip(NEXT) | instid1(VALU_DEP_4)
	v_add_co_u32 v26, vcc_lo, v20, v27
	v_add_co_ci_u32_e32 v27, vcc_lo, v21, v28, vcc_lo
	global_store_b16 v[26:27], v29, off
	s_or_b32 exec_lo, exec_lo, s15
	s_and_b32 s16, s3, s8
	s_delay_alu instid0(SALU_CYCLE_1)
	s_and_saveexec_b32 s15, s16
	s_cbranch_execz .LBB210_254
.LBB210_270:
	v_cmp_ne_u32_e32 vcc_lo, 1, v73
	s_cbranch_vccnz .LBB210_272
; %bb.271:
	v_lshlrev_b64 v[26:27], 1, v[38:39]
	s_delay_alu instid0(VALU_DEP_1) | instskip(NEXT) | instid1(VALU_DEP_2)
	v_add_co_u32 v26, vcc_lo, v24, v26
	v_add_co_ci_u32_e32 v27, vcc_lo, v25, v27, vcc_lo
	flat_load_u16 v26, v[26:27]
	s_waitcnt vmcnt(0) lgkmcnt(0)
	v_mul_f16_e32 v26, v48, v26
	s_branch .LBB210_273
.LBB210_272:
	v_mov_b32_e32 v26, 0
.LBB210_273:
	v_pk_add_f16 v27, v14, v22
	v_pk_max_f16 v28, v69, v69
	v_pk_add_f16 v29, v15, v23
	s_delay_alu instid0(VALU_DEP_2) | instskip(NEXT) | instid1(VALU_DEP_1)
	v_pk_min_f16 v27, v28, v27
	v_pk_min_f16 v29, v27, v29
	v_lshlrev_b64 v[27:28], 1, v[38:39]
	s_delay_alu instid0(VALU_DEP_2) | instskip(NEXT) | instid1(VALU_DEP_1)
	v_lshrrev_b32_e32 v30, 16, v29
	v_min3_f16 v29, v26, v29, v30
	s_delay_alu instid0(VALU_DEP_3) | instskip(NEXT) | instid1(VALU_DEP_4)
	v_add_co_u32 v26, vcc_lo, v20, v27
	v_add_co_ci_u32_e32 v27, vcc_lo, v21, v28, vcc_lo
	global_store_b16 v[26:27], v29, off
	s_or_b32 exec_lo, exec_lo, s15
	s_and_b32 s16, s4, s8
	s_delay_alu instid0(SALU_CYCLE_1)
	s_and_saveexec_b32 s15, s16
	s_cbranch_execz .LBB210_255
.LBB210_274:
	v_cmp_ne_u32_e32 vcc_lo, 1, v73
	s_cbranch_vccnz .LBB210_276
; %bb.275:
	v_lshlrev_b64 v[26:27], 1, v[40:41]
	s_delay_alu instid0(VALU_DEP_1) | instskip(NEXT) | instid1(VALU_DEP_2)
	v_add_co_u32 v26, vcc_lo, v24, v26
	v_add_co_ci_u32_e32 v27, vcc_lo, v25, v27, vcc_lo
	flat_load_u16 v26, v[26:27]
	s_waitcnt vmcnt(0) lgkmcnt(0)
	v_mul_f16_e32 v26, v48, v26
	s_branch .LBB210_277
.LBB210_276:
	v_mov_b32_e32 v26, 0
.LBB210_277:
	v_pk_add_f16 v27, v8, v22
	v_pk_max_f16 v28, v68, v68
	v_pk_add_f16 v29, v9, v23
	s_delay_alu instid0(VALU_DEP_2) | instskip(NEXT) | instid1(VALU_DEP_1)
	v_pk_min_f16 v27, v28, v27
	v_pk_min_f16 v29, v27, v29
	v_lshlrev_b64 v[27:28], 1, v[40:41]
	s_delay_alu instid0(VALU_DEP_2) | instskip(NEXT) | instid1(VALU_DEP_1)
	v_lshrrev_b32_e32 v30, 16, v29
	v_min3_f16 v29, v26, v29, v30
	s_delay_alu instid0(VALU_DEP_3) | instskip(NEXT) | instid1(VALU_DEP_4)
	v_add_co_u32 v26, vcc_lo, v20, v27
	v_add_co_ci_u32_e32 v27, vcc_lo, v21, v28, vcc_lo
	global_store_b16 v[26:27], v29, off
	s_or_b32 exec_lo, exec_lo, s15
	s_and_b32 s16, s5, s8
	s_delay_alu instid0(SALU_CYCLE_1)
	s_and_saveexec_b32 s15, s16
	s_cbranch_execz .LBB210_256
.LBB210_278:
	v_cmp_ne_u32_e32 vcc_lo, 1, v73
	s_cbranch_vccnz .LBB210_280
; %bb.279:
	v_lshlrev_b64 v[26:27], 1, v[42:43]
	s_delay_alu instid0(VALU_DEP_1) | instskip(NEXT) | instid1(VALU_DEP_2)
	v_add_co_u32 v26, vcc_lo, v24, v26
	v_add_co_ci_u32_e32 v27, vcc_lo, v25, v27, vcc_lo
	flat_load_u16 v26, v[26:27]
	s_waitcnt vmcnt(0) lgkmcnt(0)
	v_mul_f16_e32 v26, v48, v26
	s_branch .LBB210_281
.LBB210_280:
	v_mov_b32_e32 v26, 0
.LBB210_281:
	v_pk_add_f16 v27, v10, v22
	v_pk_max_f16 v28, v67, v67
	v_pk_add_f16 v29, v11, v23
	s_delay_alu instid0(VALU_DEP_2) | instskip(NEXT) | instid1(VALU_DEP_1)
	v_pk_min_f16 v27, v28, v27
	v_pk_min_f16 v29, v27, v29
	v_lshlrev_b64 v[27:28], 1, v[42:43]
	s_delay_alu instid0(VALU_DEP_2) | instskip(NEXT) | instid1(VALU_DEP_1)
	v_lshrrev_b32_e32 v30, 16, v29
	v_min3_f16 v29, v26, v29, v30
	s_delay_alu instid0(VALU_DEP_3) | instskip(NEXT) | instid1(VALU_DEP_4)
	v_add_co_u32 v26, vcc_lo, v20, v27
	v_add_co_ci_u32_e32 v27, vcc_lo, v21, v28, vcc_lo
	global_store_b16 v[26:27], v29, off
	s_or_b32 exec_lo, exec_lo, s15
	s_and_b32 s16, s6, s8
	s_delay_alu instid0(SALU_CYCLE_1)
	s_and_saveexec_b32 s15, s16
	s_cbranch_execz .LBB210_257
.LBB210_282:
	v_cmp_ne_u32_e32 vcc_lo, 1, v73
	s_cbranch_vccnz .LBB210_284
; %bb.283:
	v_lshlrev_b64 v[26:27], 1, v[44:45]
	s_delay_alu instid0(VALU_DEP_1) | instskip(NEXT) | instid1(VALU_DEP_2)
	v_add_co_u32 v26, vcc_lo, v24, v26
	v_add_co_ci_u32_e32 v27, vcc_lo, v25, v27, vcc_lo
	flat_load_u16 v26, v[26:27]
	s_waitcnt vmcnt(0) lgkmcnt(0)
	v_mul_f16_e32 v26, v48, v26
	s_branch .LBB210_285
.LBB210_284:
	v_mov_b32_e32 v26, 0
.LBB210_285:
	v_pk_add_f16 v27, v0, v22
	v_pk_max_f16 v28, v66, v66
	v_pk_add_f16 v29, v1, v23
	s_delay_alu instid0(VALU_DEP_2) | instskip(NEXT) | instid1(VALU_DEP_1)
	v_pk_min_f16 v27, v28, v27
	v_pk_min_f16 v29, v27, v29
	v_lshlrev_b64 v[27:28], 1, v[44:45]
	s_delay_alu instid0(VALU_DEP_2) | instskip(NEXT) | instid1(VALU_DEP_1)
	v_lshrrev_b32_e32 v30, 16, v29
	v_min3_f16 v29, v26, v29, v30
	s_delay_alu instid0(VALU_DEP_3) | instskip(NEXT) | instid1(VALU_DEP_4)
	v_add_co_u32 v26, vcc_lo, v20, v27
	v_add_co_ci_u32_e32 v27, vcc_lo, v21, v28, vcc_lo
	global_store_b16 v[26:27], v29, off
	s_or_b32 exec_lo, exec_lo, s15
	s_and_b32 s15, s7, s8
	s_delay_alu instid0(SALU_CYCLE_1)
	s_and_saveexec_b32 s8, s15
	s_cbranch_execz .LBB210_290
.LBB210_286:
	v_cmp_ne_u32_e32 vcc_lo, 1, v73
	s_cbranch_vccnz .LBB210_288
; %bb.287:
	v_lshlrev_b64 v[26:27], 1, v[46:47]
	s_delay_alu instid0(VALU_DEP_1) | instskip(NEXT) | instid1(VALU_DEP_2)
	v_add_co_u32 v24, vcc_lo, v24, v26
	v_add_co_ci_u32_e32 v25, vcc_lo, v25, v27, vcc_lo
	flat_load_u16 v24, v[24:25]
	s_waitcnt vmcnt(0) lgkmcnt(0)
	v_mul_f16_e32 v24, v48, v24
	s_branch .LBB210_289
.LBB210_288:
	v_mov_b32_e32 v24, 0
.LBB210_289:
	v_pk_add_f16 v22, v2, v22
	v_pk_max_f16 v25, v65, v65
	v_pk_add_f16 v23, v3, v23
	s_delay_alu instid0(VALU_DEP_2) | instskip(NEXT) | instid1(VALU_DEP_1)
	v_pk_min_f16 v22, v25, v22
	v_pk_min_f16 v25, v22, v23
	v_lshlrev_b64 v[22:23], 1, v[46:47]
	s_delay_alu instid0(VALU_DEP_2) | instskip(NEXT) | instid1(VALU_DEP_2)
	v_lshrrev_b32_e32 v26, 16, v25
	v_add_co_u32 v20, vcc_lo, v20, v22
	s_delay_alu instid0(VALU_DEP_3) | instskip(NEXT) | instid1(VALU_DEP_3)
	v_add_co_ci_u32_e32 v21, vcc_lo, v21, v23, vcc_lo
	v_min3_f16 v24, v24, v25, v26
	global_store_b16 v[20:21], v24, off
.LBB210_290:
	s_or_b32 exec_lo, exec_lo, s8
	v_add_nc_u32_e32 v24, 48, v81
	s_delay_alu instid0(VALU_DEP_1) | instskip(SKIP_2) | instid1(VALU_DEP_3)
	v_mad_i64_i32 v[20:21], null, v24, s14, 0
	v_mad_i64_i32 v[22:23], null, v24, s9, 0
	v_cmp_gt_i32_e64 s8, s17, v24
	v_lshlrev_b64 v[20:21], 1, v[20:21]
	s_delay_alu instid0(VALU_DEP_2) | instskip(NEXT) | instid1(VALU_DEP_3)
	s_and_b32 s16, s0, s8
	v_lshlrev_b64 v[24:25], 1, v[22:23]
	s_delay_alu instid0(VALU_DEP_2) | instskip(NEXT) | instid1(VALU_DEP_3)
	v_add_co_u32 v22, vcc_lo, s10, v20
	v_add_co_ci_u32_e32 v23, vcc_lo, s11, v21, vcc_lo
	s_delay_alu instid0(VALU_DEP_3) | instskip(NEXT) | instid1(VALU_DEP_4)
	v_add_co_u32 v20, vcc_lo, s12, v24
	v_add_co_ci_u32_e32 v21, vcc_lo, s13, v25, vcc_lo
	s_and_saveexec_b32 s15, s16
	s_cbranch_execnz .LBB210_298
; %bb.291:
	s_or_b32 exec_lo, exec_lo, s15
	s_and_b32 s16, s1, s8
	s_delay_alu instid0(SALU_CYCLE_1)
	s_and_saveexec_b32 s15, s16
	s_cbranch_execnz .LBB210_302
.LBB210_292:
	s_or_b32 exec_lo, exec_lo, s15
	s_and_b32 s16, s2, s8
	s_delay_alu instid0(SALU_CYCLE_1)
	s_and_saveexec_b32 s15, s16
	s_cbranch_execnz .LBB210_306
.LBB210_293:
	s_or_b32 exec_lo, exec_lo, s15
	s_and_b32 s16, s3, s8
	s_delay_alu instid0(SALU_CYCLE_1)
	s_and_saveexec_b32 s15, s16
	s_cbranch_execnz .LBB210_310
.LBB210_294:
	s_or_b32 exec_lo, exec_lo, s15
	s_and_b32 s16, s4, s8
	s_delay_alu instid0(SALU_CYCLE_1)
	s_and_saveexec_b32 s15, s16
	s_cbranch_execnz .LBB210_314
.LBB210_295:
	s_or_b32 exec_lo, exec_lo, s15
	s_and_b32 s16, s5, s8
	s_delay_alu instid0(SALU_CYCLE_1)
	s_and_saveexec_b32 s15, s16
	s_cbranch_execnz .LBB210_318
.LBB210_296:
	s_or_b32 exec_lo, exec_lo, s15
	s_and_b32 s16, s6, s8
	s_delay_alu instid0(SALU_CYCLE_1)
	s_and_saveexec_b32 s15, s16
	s_cbranch_execnz .LBB210_322
.LBB210_297:
	s_or_b32 exec_lo, exec_lo, s15
	s_and_b32 s15, s7, s8
	s_delay_alu instid0(SALU_CYCLE_1)
	s_and_saveexec_b32 s8, s15
	s_cbranch_execnz .LBB210_326
	s_branch .LBB210_330
.LBB210_298:
	v_cmp_ne_u32_e32 vcc_lo, 1, v73
	s_cbranch_vccnz .LBB210_300
; %bb.299:
	v_lshlrev_b64 v[24:25], 1, v[32:33]
	s_delay_alu instid0(VALU_DEP_1) | instskip(NEXT) | instid1(VALU_DEP_2)
	v_add_co_u32 v24, vcc_lo, v22, v24
	v_add_co_ci_u32_e32 v25, vcc_lo, v23, v25, vcc_lo
	flat_load_u16 v24, v[24:25]
	s_waitcnt vmcnt(0) lgkmcnt(0)
	v_mul_f16_e32 v24, v48, v24
	s_branch .LBB210_301
.LBB210_300:
	v_mov_b32_e32 v24, 0
.LBB210_301:
	v_pk_add_f16 v25, v16, v4
	v_pk_max_f16 v26, v64, v64
	v_pk_add_f16 v27, v17, v5
	s_delay_alu instid0(VALU_DEP_2) | instskip(NEXT) | instid1(VALU_DEP_1)
	v_pk_min_f16 v25, v26, v25
	v_pk_min_f16 v27, v25, v27
	v_lshlrev_b64 v[25:26], 1, v[32:33]
	s_delay_alu instid0(VALU_DEP_2) | instskip(NEXT) | instid1(VALU_DEP_1)
	v_lshrrev_b32_e32 v28, 16, v27
	v_min3_f16 v27, v24, v27, v28
	s_delay_alu instid0(VALU_DEP_3) | instskip(NEXT) | instid1(VALU_DEP_4)
	v_add_co_u32 v24, vcc_lo, v20, v25
	v_add_co_ci_u32_e32 v25, vcc_lo, v21, v26, vcc_lo
	global_store_b16 v[24:25], v27, off
	s_or_b32 exec_lo, exec_lo, s15
	s_and_b32 s16, s1, s8
	s_delay_alu instid0(SALU_CYCLE_1)
	s_and_saveexec_b32 s15, s16
	s_cbranch_execz .LBB210_292
.LBB210_302:
	v_cmp_ne_u32_e32 vcc_lo, 1, v73
	s_cbranch_vccnz .LBB210_304
; %bb.303:
	v_lshlrev_b64 v[24:25], 1, v[34:35]
	s_delay_alu instid0(VALU_DEP_1) | instskip(NEXT) | instid1(VALU_DEP_2)
	v_add_co_u32 v24, vcc_lo, v22, v24
	v_add_co_ci_u32_e32 v25, vcc_lo, v23, v25, vcc_lo
	flat_load_u16 v24, v[24:25]
	s_waitcnt vmcnt(0) lgkmcnt(0)
	v_mul_f16_e32 v24, v48, v24
	s_branch .LBB210_305
.LBB210_304:
	v_mov_b32_e32 v24, 0
.LBB210_305:
	v_pk_add_f16 v25, v18, v4
	v_pk_max_f16 v26, v63, v63
	v_pk_add_f16 v27, v19, v5
	s_delay_alu instid0(VALU_DEP_2) | instskip(NEXT) | instid1(VALU_DEP_1)
	v_pk_min_f16 v25, v26, v25
	v_pk_min_f16 v27, v25, v27
	v_lshlrev_b64 v[25:26], 1, v[34:35]
	s_delay_alu instid0(VALU_DEP_2) | instskip(NEXT) | instid1(VALU_DEP_1)
	v_lshrrev_b32_e32 v28, 16, v27
	v_min3_f16 v27, v24, v27, v28
	s_delay_alu instid0(VALU_DEP_3) | instskip(NEXT) | instid1(VALU_DEP_4)
	v_add_co_u32 v24, vcc_lo, v20, v25
	v_add_co_ci_u32_e32 v25, vcc_lo, v21, v26, vcc_lo
	global_store_b16 v[24:25], v27, off
	s_or_b32 exec_lo, exec_lo, s15
	s_and_b32 s16, s2, s8
	s_delay_alu instid0(SALU_CYCLE_1)
	s_and_saveexec_b32 s15, s16
	s_cbranch_execz .LBB210_293
.LBB210_306:
	v_cmp_ne_u32_e32 vcc_lo, 1, v73
	s_cbranch_vccnz .LBB210_308
; %bb.307:
	v_lshlrev_b64 v[24:25], 1, v[36:37]
	s_delay_alu instid0(VALU_DEP_1) | instskip(NEXT) | instid1(VALU_DEP_2)
	v_add_co_u32 v24, vcc_lo, v22, v24
	v_add_co_ci_u32_e32 v25, vcc_lo, v23, v25, vcc_lo
	flat_load_u16 v24, v[24:25]
	s_waitcnt vmcnt(0) lgkmcnt(0)
	v_mul_f16_e32 v24, v48, v24
	s_branch .LBB210_309
.LBB210_308:
	v_mov_b32_e32 v24, 0
.LBB210_309:
	v_pk_add_f16 v25, v12, v4
	v_pk_max_f16 v26, v62, v62
	v_pk_add_f16 v27, v13, v5
	s_delay_alu instid0(VALU_DEP_2) | instskip(NEXT) | instid1(VALU_DEP_1)
	v_pk_min_f16 v25, v26, v25
	v_pk_min_f16 v27, v25, v27
	v_lshlrev_b64 v[25:26], 1, v[36:37]
	s_delay_alu instid0(VALU_DEP_2) | instskip(NEXT) | instid1(VALU_DEP_1)
	v_lshrrev_b32_e32 v28, 16, v27
	v_min3_f16 v27, v24, v27, v28
	s_delay_alu instid0(VALU_DEP_3) | instskip(NEXT) | instid1(VALU_DEP_4)
	v_add_co_u32 v24, vcc_lo, v20, v25
	v_add_co_ci_u32_e32 v25, vcc_lo, v21, v26, vcc_lo
	global_store_b16 v[24:25], v27, off
	s_or_b32 exec_lo, exec_lo, s15
	s_and_b32 s16, s3, s8
	s_delay_alu instid0(SALU_CYCLE_1)
	s_and_saveexec_b32 s15, s16
	s_cbranch_execz .LBB210_294
.LBB210_310:
	v_cmp_ne_u32_e32 vcc_lo, 1, v73
	s_cbranch_vccnz .LBB210_312
; %bb.311:
	v_lshlrev_b64 v[24:25], 1, v[38:39]
	s_delay_alu instid0(VALU_DEP_1) | instskip(NEXT) | instid1(VALU_DEP_2)
	v_add_co_u32 v24, vcc_lo, v22, v24
	v_add_co_ci_u32_e32 v25, vcc_lo, v23, v25, vcc_lo
	flat_load_u16 v24, v[24:25]
	s_waitcnt vmcnt(0) lgkmcnt(0)
	v_mul_f16_e32 v24, v48, v24
	s_branch .LBB210_313
.LBB210_312:
	v_mov_b32_e32 v24, 0
.LBB210_313:
	v_pk_add_f16 v25, v14, v4
	v_pk_max_f16 v26, v61, v61
	v_pk_add_f16 v27, v15, v5
	s_delay_alu instid0(VALU_DEP_2) | instskip(NEXT) | instid1(VALU_DEP_1)
	v_pk_min_f16 v25, v26, v25
	v_pk_min_f16 v27, v25, v27
	v_lshlrev_b64 v[25:26], 1, v[38:39]
	s_delay_alu instid0(VALU_DEP_2) | instskip(NEXT) | instid1(VALU_DEP_1)
	v_lshrrev_b32_e32 v28, 16, v27
	v_min3_f16 v27, v24, v27, v28
	s_delay_alu instid0(VALU_DEP_3) | instskip(NEXT) | instid1(VALU_DEP_4)
	v_add_co_u32 v24, vcc_lo, v20, v25
	v_add_co_ci_u32_e32 v25, vcc_lo, v21, v26, vcc_lo
	global_store_b16 v[24:25], v27, off
	s_or_b32 exec_lo, exec_lo, s15
	s_and_b32 s16, s4, s8
	s_delay_alu instid0(SALU_CYCLE_1)
	s_and_saveexec_b32 s15, s16
	s_cbranch_execz .LBB210_295
.LBB210_314:
	v_cmp_ne_u32_e32 vcc_lo, 1, v73
	s_cbranch_vccnz .LBB210_316
; %bb.315:
	v_lshlrev_b64 v[24:25], 1, v[40:41]
	s_delay_alu instid0(VALU_DEP_1) | instskip(NEXT) | instid1(VALU_DEP_2)
	v_add_co_u32 v24, vcc_lo, v22, v24
	v_add_co_ci_u32_e32 v25, vcc_lo, v23, v25, vcc_lo
	flat_load_u16 v24, v[24:25]
	s_waitcnt vmcnt(0) lgkmcnt(0)
	v_mul_f16_e32 v24, v48, v24
	s_branch .LBB210_317
.LBB210_316:
	v_mov_b32_e32 v24, 0
.LBB210_317:
	v_pk_add_f16 v25, v8, v4
	v_pk_max_f16 v26, v60, v60
	v_pk_add_f16 v27, v9, v5
	s_delay_alu instid0(VALU_DEP_2) | instskip(NEXT) | instid1(VALU_DEP_1)
	v_pk_min_f16 v25, v26, v25
	v_pk_min_f16 v27, v25, v27
	v_lshlrev_b64 v[25:26], 1, v[40:41]
	s_delay_alu instid0(VALU_DEP_2) | instskip(NEXT) | instid1(VALU_DEP_1)
	v_lshrrev_b32_e32 v28, 16, v27
	v_min3_f16 v27, v24, v27, v28
	s_delay_alu instid0(VALU_DEP_3) | instskip(NEXT) | instid1(VALU_DEP_4)
	v_add_co_u32 v24, vcc_lo, v20, v25
	v_add_co_ci_u32_e32 v25, vcc_lo, v21, v26, vcc_lo
	global_store_b16 v[24:25], v27, off
	s_or_b32 exec_lo, exec_lo, s15
	s_and_b32 s16, s5, s8
	s_delay_alu instid0(SALU_CYCLE_1)
	s_and_saveexec_b32 s15, s16
	s_cbranch_execz .LBB210_296
.LBB210_318:
	v_cmp_ne_u32_e32 vcc_lo, 1, v73
	s_cbranch_vccnz .LBB210_320
; %bb.319:
	v_lshlrev_b64 v[24:25], 1, v[42:43]
	s_delay_alu instid0(VALU_DEP_1) | instskip(NEXT) | instid1(VALU_DEP_2)
	v_add_co_u32 v24, vcc_lo, v22, v24
	v_add_co_ci_u32_e32 v25, vcc_lo, v23, v25, vcc_lo
	flat_load_u16 v24, v[24:25]
	s_waitcnt vmcnt(0) lgkmcnt(0)
	v_mul_f16_e32 v24, v48, v24
	s_branch .LBB210_321
.LBB210_320:
	v_mov_b32_e32 v24, 0
.LBB210_321:
	v_pk_add_f16 v25, v10, v4
	v_pk_max_f16 v26, v59, v59
	v_pk_add_f16 v27, v11, v5
	s_delay_alu instid0(VALU_DEP_2) | instskip(NEXT) | instid1(VALU_DEP_1)
	v_pk_min_f16 v25, v26, v25
	v_pk_min_f16 v27, v25, v27
	v_lshlrev_b64 v[25:26], 1, v[42:43]
	s_delay_alu instid0(VALU_DEP_2) | instskip(NEXT) | instid1(VALU_DEP_1)
	v_lshrrev_b32_e32 v28, 16, v27
	v_min3_f16 v27, v24, v27, v28
	s_delay_alu instid0(VALU_DEP_3) | instskip(NEXT) | instid1(VALU_DEP_4)
	v_add_co_u32 v24, vcc_lo, v20, v25
	v_add_co_ci_u32_e32 v25, vcc_lo, v21, v26, vcc_lo
	global_store_b16 v[24:25], v27, off
	s_or_b32 exec_lo, exec_lo, s15
	s_and_b32 s16, s6, s8
	s_delay_alu instid0(SALU_CYCLE_1)
	s_and_saveexec_b32 s15, s16
	s_cbranch_execz .LBB210_297
.LBB210_322:
	v_cmp_ne_u32_e32 vcc_lo, 1, v73
	s_cbranch_vccnz .LBB210_324
; %bb.323:
	v_lshlrev_b64 v[24:25], 1, v[44:45]
	s_delay_alu instid0(VALU_DEP_1) | instskip(NEXT) | instid1(VALU_DEP_2)
	v_add_co_u32 v24, vcc_lo, v22, v24
	v_add_co_ci_u32_e32 v25, vcc_lo, v23, v25, vcc_lo
	flat_load_u16 v24, v[24:25]
	s_waitcnt vmcnt(0) lgkmcnt(0)
	v_mul_f16_e32 v24, v48, v24
	s_branch .LBB210_325
.LBB210_324:
	v_mov_b32_e32 v24, 0
.LBB210_325:
	v_pk_add_f16 v25, v0, v4
	v_pk_max_f16 v26, v58, v58
	v_pk_add_f16 v27, v1, v5
	s_delay_alu instid0(VALU_DEP_2) | instskip(NEXT) | instid1(VALU_DEP_1)
	v_pk_min_f16 v25, v26, v25
	v_pk_min_f16 v27, v25, v27
	v_lshlrev_b64 v[25:26], 1, v[44:45]
	s_delay_alu instid0(VALU_DEP_2) | instskip(NEXT) | instid1(VALU_DEP_1)
	v_lshrrev_b32_e32 v28, 16, v27
	v_min3_f16 v27, v24, v27, v28
	s_delay_alu instid0(VALU_DEP_3) | instskip(NEXT) | instid1(VALU_DEP_4)
	v_add_co_u32 v24, vcc_lo, v20, v25
	v_add_co_ci_u32_e32 v25, vcc_lo, v21, v26, vcc_lo
	global_store_b16 v[24:25], v27, off
	s_or_b32 exec_lo, exec_lo, s15
	s_and_b32 s15, s7, s8
	s_delay_alu instid0(SALU_CYCLE_1)
	s_and_saveexec_b32 s8, s15
	s_cbranch_execz .LBB210_330
.LBB210_326:
	v_cmp_ne_u32_e32 vcc_lo, 1, v73
	s_cbranch_vccnz .LBB210_328
; %bb.327:
	v_lshlrev_b64 v[24:25], 1, v[46:47]
	s_delay_alu instid0(VALU_DEP_1) | instskip(NEXT) | instid1(VALU_DEP_2)
	v_add_co_u32 v22, vcc_lo, v22, v24
	v_add_co_ci_u32_e32 v23, vcc_lo, v23, v25, vcc_lo
	flat_load_u16 v22, v[22:23]
	s_waitcnt vmcnt(0) lgkmcnt(0)
	v_mul_f16_e32 v22, v48, v22
	s_branch .LBB210_329
.LBB210_328:
	v_mov_b32_e32 v22, 0
.LBB210_329:
	v_pk_add_f16 v4, v2, v4
	v_pk_max_f16 v23, v57, v57
	v_pk_add_f16 v5, v3, v5
	s_delay_alu instid0(VALU_DEP_2) | instskip(NEXT) | instid1(VALU_DEP_1)
	v_pk_min_f16 v4, v23, v4
	v_pk_min_f16 v23, v4, v5
	v_lshlrev_b64 v[4:5], 1, v[46:47]
	s_delay_alu instid0(VALU_DEP_2) | instskip(NEXT) | instid1(VALU_DEP_2)
	v_lshrrev_b32_e32 v24, 16, v23
	v_add_co_u32 v4, vcc_lo, v20, v4
	s_delay_alu instid0(VALU_DEP_3) | instskip(NEXT) | instid1(VALU_DEP_3)
	v_add_co_ci_u32_e32 v5, vcc_lo, v21, v5, vcc_lo
	v_min3_f16 v22, v22, v23, v24
	global_store_b16 v[4:5], v22, off
.LBB210_330:
	s_or_b32 exec_lo, exec_lo, s8
	v_add_nc_u32_e32 v22, 56, v81
	s_delay_alu instid0(VALU_DEP_1) | instskip(SKIP_2) | instid1(VALU_DEP_3)
	v_mad_i64_i32 v[4:5], null, v22, s14, 0
	v_mad_i64_i32 v[20:21], null, v22, s9, 0
	v_cmp_gt_i32_e64 s8, s17, v22
	v_lshlrev_b64 v[4:5], 1, v[4:5]
	s_delay_alu instid0(VALU_DEP_2) | instskip(NEXT) | instid1(VALU_DEP_3)
	s_and_b32 s9, s0, s8
	v_lshlrev_b64 v[20:21], 1, v[20:21]
	s_delay_alu instid0(VALU_DEP_2) | instskip(NEXT) | instid1(VALU_DEP_3)
	v_add_co_u32 v22, vcc_lo, s10, v4
	v_add_co_ci_u32_e32 v23, vcc_lo, s11, v5, vcc_lo
	s_delay_alu instid0(VALU_DEP_3) | instskip(NEXT) | instid1(VALU_DEP_4)
	v_add_co_u32 v20, vcc_lo, s12, v20
	v_add_co_ci_u32_e32 v21, vcc_lo, s13, v21, vcc_lo
	s_and_saveexec_b32 s0, s9
	s_cbranch_execnz .LBB210_339
; %bb.331:
	s_or_b32 exec_lo, exec_lo, s0
	s_and_b32 s1, s1, s8
	s_delay_alu instid0(SALU_CYCLE_1)
	s_and_saveexec_b32 s0, s1
	s_cbranch_execnz .LBB210_343
.LBB210_332:
	s_or_b32 exec_lo, exec_lo, s0
	s_and_b32 s1, s2, s8
	s_delay_alu instid0(SALU_CYCLE_1)
	s_and_saveexec_b32 s0, s1
	s_cbranch_execnz .LBB210_347
.LBB210_333:
	s_or_b32 exec_lo, exec_lo, s0
	s_and_b32 s1, s3, s8
	s_delay_alu instid0(SALU_CYCLE_1)
	s_and_saveexec_b32 s0, s1
	s_cbranch_execnz .LBB210_351
.LBB210_334:
	s_or_b32 exec_lo, exec_lo, s0
	s_and_b32 s1, s4, s8
	s_delay_alu instid0(SALU_CYCLE_1)
	s_and_saveexec_b32 s0, s1
	s_cbranch_execnz .LBB210_355
.LBB210_335:
	s_or_b32 exec_lo, exec_lo, s0
	s_and_b32 s1, s5, s8
	s_delay_alu instid0(SALU_CYCLE_1)
	s_and_saveexec_b32 s0, s1
	s_cbranch_execnz .LBB210_359
.LBB210_336:
	s_or_b32 exec_lo, exec_lo, s0
	s_and_b32 s1, s6, s8
	s_delay_alu instid0(SALU_CYCLE_1)
	s_and_saveexec_b32 s0, s1
	s_cbranch_execnz .LBB210_363
.LBB210_337:
	s_or_b32 exec_lo, exec_lo, s0
	s_and_b32 s0, s7, s8
	s_delay_alu instid0(SALU_CYCLE_1)
	s_and_saveexec_b32 s1, s0
	s_cbranch_execnz .LBB210_367
.LBB210_338:
	s_nop 0
	s_sendmsg sendmsg(MSG_DEALLOC_VGPRS)
	s_endpgm
.LBB210_339:
	v_cmp_ne_u32_e32 vcc_lo, 1, v73
	v_lshlrev_b64 v[4:5], 1, v[32:33]
	s_cbranch_vccnz .LBB210_341
; %bb.340:
	s_delay_alu instid0(VALU_DEP_1) | instskip(NEXT) | instid1(VALU_DEP_2)
	v_add_co_u32 v24, vcc_lo, v22, v4
	v_add_co_ci_u32_e32 v25, vcc_lo, v23, v5, vcc_lo
	flat_load_u16 v24, v[24:25]
	s_waitcnt vmcnt(0) lgkmcnt(0)
	v_mul_f16_e32 v24, v48, v24
	s_branch .LBB210_342
.LBB210_341:
	v_mov_b32_e32 v24, 0
.LBB210_342:
	v_pk_add_f16 v16, v16, v6
	v_pk_max_f16 v25, v56, v56
	v_pk_add_f16 v17, v17, v7
	v_add_co_u32 v4, vcc_lo, v20, v4
	v_add_co_ci_u32_e32 v5, vcc_lo, v21, v5, vcc_lo
	s_delay_alu instid0(VALU_DEP_4) | instskip(NEXT) | instid1(VALU_DEP_1)
	v_pk_min_f16 v16, v25, v16
	v_pk_min_f16 v16, v16, v17
	s_delay_alu instid0(VALU_DEP_1) | instskip(NEXT) | instid1(VALU_DEP_1)
	v_lshrrev_b32_e32 v17, 16, v16
	v_min3_f16 v16, v24, v16, v17
	global_store_b16 v[4:5], v16, off
	s_or_b32 exec_lo, exec_lo, s0
	s_and_b32 s1, s1, s8
	s_delay_alu instid0(SALU_CYCLE_1)
	s_and_saveexec_b32 s0, s1
	s_cbranch_execz .LBB210_332
.LBB210_343:
	v_cmp_ne_u32_e32 vcc_lo, 1, v73
	v_lshlrev_b64 v[4:5], 1, v[34:35]
	s_cbranch_vccnz .LBB210_345
; %bb.344:
	s_delay_alu instid0(VALU_DEP_1) | instskip(NEXT) | instid1(VALU_DEP_2)
	v_add_co_u32 v16, vcc_lo, v22, v4
	v_add_co_ci_u32_e32 v17, vcc_lo, v23, v5, vcc_lo
	flat_load_u16 v16, v[16:17]
	s_waitcnt vmcnt(0) lgkmcnt(0)
	v_mul_f16_e32 v16, v48, v16
	s_branch .LBB210_346
.LBB210_345:
	v_mov_b32_e32 v16, 0
.LBB210_346:
	v_pk_add_f16 v17, v18, v6
	v_pk_max_f16 v18, v55, v55
	v_pk_add_f16 v19, v19, v7
	v_add_co_u32 v4, vcc_lo, v20, v4
	v_add_co_ci_u32_e32 v5, vcc_lo, v21, v5, vcc_lo
	s_delay_alu instid0(VALU_DEP_4) | instskip(NEXT) | instid1(VALU_DEP_1)
	v_pk_min_f16 v17, v18, v17
	v_pk_min_f16 v17, v17, v19
	s_delay_alu instid0(VALU_DEP_1) | instskip(NEXT) | instid1(VALU_DEP_1)
	v_lshrrev_b32_e32 v18, 16, v17
	v_min3_f16 v16, v16, v17, v18
	global_store_b16 v[4:5], v16, off
	s_or_b32 exec_lo, exec_lo, s0
	s_and_b32 s1, s2, s8
	s_delay_alu instid0(SALU_CYCLE_1)
	s_and_saveexec_b32 s0, s1
	s_cbranch_execz .LBB210_333
.LBB210_347:
	v_cmp_ne_u32_e32 vcc_lo, 1, v73
	v_lshlrev_b64 v[4:5], 1, v[36:37]
	s_cbranch_vccnz .LBB210_349
; %bb.348:
	s_delay_alu instid0(VALU_DEP_1) | instskip(NEXT) | instid1(VALU_DEP_2)
	v_add_co_u32 v16, vcc_lo, v22, v4
	v_add_co_ci_u32_e32 v17, vcc_lo, v23, v5, vcc_lo
	flat_load_u16 v16, v[16:17]
	s_waitcnt vmcnt(0) lgkmcnt(0)
	v_mul_f16_e32 v16, v48, v16
	s_branch .LBB210_350
.LBB210_349:
	v_mov_b32_e32 v16, 0
.LBB210_350:
	v_pk_add_f16 v12, v12, v6
	v_pk_max_f16 v17, v54, v54
	v_pk_add_f16 v13, v13, v7
	v_add_co_u32 v4, vcc_lo, v20, v4
	v_add_co_ci_u32_e32 v5, vcc_lo, v21, v5, vcc_lo
	s_delay_alu instid0(VALU_DEP_4) | instskip(NEXT) | instid1(VALU_DEP_1)
	v_pk_min_f16 v12, v17, v12
	v_pk_min_f16 v12, v12, v13
	s_delay_alu instid0(VALU_DEP_1) | instskip(NEXT) | instid1(VALU_DEP_1)
	v_lshrrev_b32_e32 v13, 16, v12
	v_min3_f16 v12, v16, v12, v13
	global_store_b16 v[4:5], v12, off
	s_or_b32 exec_lo, exec_lo, s0
	s_and_b32 s1, s3, s8
	s_delay_alu instid0(SALU_CYCLE_1)
	s_and_saveexec_b32 s0, s1
	s_cbranch_execz .LBB210_334
.LBB210_351:
	v_cmp_ne_u32_e32 vcc_lo, 1, v73
	v_lshlrev_b64 v[4:5], 1, v[38:39]
	s_cbranch_vccnz .LBB210_353
; %bb.352:
	s_delay_alu instid0(VALU_DEP_1) | instskip(NEXT) | instid1(VALU_DEP_2)
	v_add_co_u32 v12, vcc_lo, v22, v4
	v_add_co_ci_u32_e32 v13, vcc_lo, v23, v5, vcc_lo
	flat_load_u16 v12, v[12:13]
	s_waitcnt vmcnt(0) lgkmcnt(0)
	v_mul_f16_e32 v12, v48, v12
	s_branch .LBB210_354
.LBB210_353:
	v_mov_b32_e32 v12, 0
.LBB210_354:
	v_pk_add_f16 v13, v14, v6
	v_pk_max_f16 v14, v53, v53
	v_pk_add_f16 v15, v15, v7
	v_add_co_u32 v4, vcc_lo, v20, v4
	v_add_co_ci_u32_e32 v5, vcc_lo, v21, v5, vcc_lo
	s_delay_alu instid0(VALU_DEP_4) | instskip(NEXT) | instid1(VALU_DEP_1)
	v_pk_min_f16 v13, v14, v13
	v_pk_min_f16 v13, v13, v15
	s_delay_alu instid0(VALU_DEP_1) | instskip(NEXT) | instid1(VALU_DEP_1)
	v_lshrrev_b32_e32 v14, 16, v13
	v_min3_f16 v12, v12, v13, v14
	global_store_b16 v[4:5], v12, off
	s_or_b32 exec_lo, exec_lo, s0
	s_and_b32 s1, s4, s8
	s_delay_alu instid0(SALU_CYCLE_1)
	s_and_saveexec_b32 s0, s1
	s_cbranch_execz .LBB210_335
.LBB210_355:
	v_cmp_ne_u32_e32 vcc_lo, 1, v73
	v_lshlrev_b64 v[4:5], 1, v[40:41]
	s_cbranch_vccnz .LBB210_357
; %bb.356:
	s_delay_alu instid0(VALU_DEP_1) | instskip(NEXT) | instid1(VALU_DEP_2)
	v_add_co_u32 v12, vcc_lo, v22, v4
	v_add_co_ci_u32_e32 v13, vcc_lo, v23, v5, vcc_lo
	flat_load_u16 v12, v[12:13]
	s_waitcnt vmcnt(0) lgkmcnt(0)
	v_mul_f16_e32 v12, v48, v12
	s_branch .LBB210_358
.LBB210_357:
	v_mov_b32_e32 v12, 0
.LBB210_358:
	v_pk_add_f16 v8, v8, v6
	v_pk_max_f16 v13, v52, v52
	v_pk_add_f16 v9, v9, v7
	v_add_co_u32 v4, vcc_lo, v20, v4
	v_add_co_ci_u32_e32 v5, vcc_lo, v21, v5, vcc_lo
	s_delay_alu instid0(VALU_DEP_4) | instskip(NEXT) | instid1(VALU_DEP_1)
	v_pk_min_f16 v8, v13, v8
	v_pk_min_f16 v8, v8, v9
	s_delay_alu instid0(VALU_DEP_1) | instskip(NEXT) | instid1(VALU_DEP_1)
	v_lshrrev_b32_e32 v9, 16, v8
	v_min3_f16 v8, v12, v8, v9
	global_store_b16 v[4:5], v8, off
	s_or_b32 exec_lo, exec_lo, s0
	s_and_b32 s1, s5, s8
	s_delay_alu instid0(SALU_CYCLE_1)
	s_and_saveexec_b32 s0, s1
	s_cbranch_execz .LBB210_336
.LBB210_359:
	v_cmp_ne_u32_e32 vcc_lo, 1, v73
	v_lshlrev_b64 v[4:5], 1, v[42:43]
	s_cbranch_vccnz .LBB210_361
; %bb.360:
	s_delay_alu instid0(VALU_DEP_1) | instskip(NEXT) | instid1(VALU_DEP_2)
	v_add_co_u32 v8, vcc_lo, v22, v4
	v_add_co_ci_u32_e32 v9, vcc_lo, v23, v5, vcc_lo
	flat_load_u16 v8, v[8:9]
	s_waitcnt vmcnt(0) lgkmcnt(0)
	v_mul_f16_e32 v8, v48, v8
	s_branch .LBB210_362
.LBB210_361:
	v_mov_b32_e32 v8, 0
.LBB210_362:
	v_pk_add_f16 v9, v10, v6
	v_pk_max_f16 v10, v51, v51
	v_pk_add_f16 v11, v11, v7
	v_add_co_u32 v4, vcc_lo, v20, v4
	v_add_co_ci_u32_e32 v5, vcc_lo, v21, v5, vcc_lo
	s_delay_alu instid0(VALU_DEP_4) | instskip(NEXT) | instid1(VALU_DEP_1)
	v_pk_min_f16 v9, v10, v9
	v_pk_min_f16 v9, v9, v11
	s_delay_alu instid0(VALU_DEP_1) | instskip(NEXT) | instid1(VALU_DEP_1)
	v_lshrrev_b32_e32 v10, 16, v9
	v_min3_f16 v8, v8, v9, v10
	global_store_b16 v[4:5], v8, off
	s_or_b32 exec_lo, exec_lo, s0
	s_and_b32 s1, s6, s8
	s_delay_alu instid0(SALU_CYCLE_1)
	s_and_saveexec_b32 s0, s1
	s_cbranch_execz .LBB210_337
.LBB210_363:
	v_cmp_ne_u32_e32 vcc_lo, 1, v73
	v_lshlrev_b64 v[4:5], 1, v[44:45]
	s_cbranch_vccnz .LBB210_365
; %bb.364:
	s_delay_alu instid0(VALU_DEP_1) | instskip(NEXT) | instid1(VALU_DEP_2)
	v_add_co_u32 v8, vcc_lo, v22, v4
	v_add_co_ci_u32_e32 v9, vcc_lo, v23, v5, vcc_lo
	flat_load_u16 v8, v[8:9]
	s_waitcnt vmcnt(0) lgkmcnt(0)
	v_mul_f16_e32 v8, v48, v8
	s_branch .LBB210_366
.LBB210_365:
	v_mov_b32_e32 v8, 0
.LBB210_366:
	v_pk_add_f16 v0, v0, v6
	v_pk_max_f16 v9, v50, v50
	v_pk_add_f16 v1, v1, v7
	s_delay_alu instid0(VALU_DEP_2) | instskip(NEXT) | instid1(VALU_DEP_1)
	v_pk_min_f16 v0, v9, v0
	v_pk_min_f16 v0, v0, v1
	s_delay_alu instid0(VALU_DEP_1) | instskip(NEXT) | instid1(VALU_DEP_1)
	v_lshrrev_b32_e32 v1, 16, v0
	v_min3_f16 v8, v8, v0, v1
	v_add_co_u32 v0, vcc_lo, v20, v4
	v_add_co_ci_u32_e32 v1, vcc_lo, v21, v5, vcc_lo
	global_store_b16 v[0:1], v8, off
	s_or_b32 exec_lo, exec_lo, s0
	s_and_b32 s0, s7, s8
	s_delay_alu instid0(SALU_CYCLE_1)
	s_and_saveexec_b32 s1, s0
	s_cbranch_execz .LBB210_338
.LBB210_367:
	v_cmp_ne_u32_e32 vcc_lo, 1, v73
	v_lshlrev_b64 v[0:1], 1, v[46:47]
	s_cbranch_vccnz .LBB210_369
; %bb.368:
	s_delay_alu instid0(VALU_DEP_1) | instskip(NEXT) | instid1(VALU_DEP_2)
	v_add_co_u32 v4, vcc_lo, v22, v0
	v_add_co_ci_u32_e32 v5, vcc_lo, v23, v1, vcc_lo
	flat_load_u16 v4, v[4:5]
	s_waitcnt vmcnt(0) lgkmcnt(0)
	v_mul_f16_e32 v4, v48, v4
	s_branch .LBB210_370
.LBB210_369:
	v_mov_b32_e32 v4, 0
.LBB210_370:
	v_pk_add_f16 v2, v2, v6
	v_pk_max_f16 v5, v49, v49
	v_pk_add_f16 v3, v3, v7
	v_add_co_u32 v0, vcc_lo, v20, v0
	v_add_co_ci_u32_e32 v1, vcc_lo, v21, v1, vcc_lo
	s_delay_alu instid0(VALU_DEP_4) | instskip(NEXT) | instid1(VALU_DEP_1)
	v_pk_min_f16 v2, v5, v2
	v_pk_min_f16 v2, v2, v3
	s_delay_alu instid0(VALU_DEP_1) | instskip(NEXT) | instid1(VALU_DEP_1)
	v_lshrrev_b32_e32 v3, 16, v2
	v_min3_f16 v2, v4, v2, v3
	global_store_b16 v[0:1], v2, off
	s_nop 0
	s_sendmsg sendmsg(MSG_DEALLOC_VGPRS)
	s_endpgm
	.section	.rodata,"a",@progbits
	.p2align	6, 0x0
	.amdhsa_kernel _ZN12_GLOBAL__N_120geam_min_plus_kernelIDF16_Dv2_DF16_S1_Li32ELi8ELi256ELi64ELi4ELi64ELi4ELi4ELi64ELc78ELc78ELb0ELb1ELb1EPKDF16_KS3_KPDF16_EEviiiT16_PT17_ilS9_ilS7_S9_ilPT18_ili26rocblas_geam_ex_operation_
		.amdhsa_group_segment_fixed_size 5120
		.amdhsa_private_segment_fixed_size 0
		.amdhsa_kernarg_size 136
		.amdhsa_user_sgpr_count 14
		.amdhsa_user_sgpr_dispatch_ptr 0
		.amdhsa_user_sgpr_queue_ptr 0
		.amdhsa_user_sgpr_kernarg_segment_ptr 1
		.amdhsa_user_sgpr_dispatch_id 0
		.amdhsa_user_sgpr_private_segment_size 0
		.amdhsa_wavefront_size32 1
		.amdhsa_uses_dynamic_stack 0
		.amdhsa_enable_private_segment 0
		.amdhsa_system_sgpr_workgroup_id_x 1
		.amdhsa_system_sgpr_workgroup_id_y 0
		.amdhsa_system_sgpr_workgroup_id_z 1
		.amdhsa_system_sgpr_workgroup_info 0
		.amdhsa_system_vgpr_workitem_id 1
		.amdhsa_next_free_vgpr 164
		.amdhsa_next_free_sgpr 27
		.amdhsa_reserve_vcc 1
		.amdhsa_float_round_mode_32 0
		.amdhsa_float_round_mode_16_64 0
		.amdhsa_float_denorm_mode_32 3
		.amdhsa_float_denorm_mode_16_64 3
		.amdhsa_dx10_clamp 1
		.amdhsa_ieee_mode 1
		.amdhsa_fp16_overflow 0
		.amdhsa_workgroup_processor_mode 1
		.amdhsa_memory_ordered 1
		.amdhsa_forward_progress 0
		.amdhsa_shared_vgpr_count 0
		.amdhsa_exception_fp_ieee_invalid_op 0
		.amdhsa_exception_fp_denorm_src 0
		.amdhsa_exception_fp_ieee_div_zero 0
		.amdhsa_exception_fp_ieee_overflow 0
		.amdhsa_exception_fp_ieee_underflow 0
		.amdhsa_exception_fp_ieee_inexact 0
		.amdhsa_exception_int_div_zero 0
	.end_amdhsa_kernel
	.section	.text._ZN12_GLOBAL__N_120geam_min_plus_kernelIDF16_Dv2_DF16_S1_Li32ELi8ELi256ELi64ELi4ELi64ELi4ELi4ELi64ELc78ELc78ELb0ELb1ELb1EPKDF16_KS3_KPDF16_EEviiiT16_PT17_ilS9_ilS7_S9_ilPT18_ili26rocblas_geam_ex_operation_,"axG",@progbits,_ZN12_GLOBAL__N_120geam_min_plus_kernelIDF16_Dv2_DF16_S1_Li32ELi8ELi256ELi64ELi4ELi64ELi4ELi4ELi64ELc78ELc78ELb0ELb1ELb1EPKDF16_KS3_KPDF16_EEviiiT16_PT17_ilS9_ilS7_S9_ilPT18_ili26rocblas_geam_ex_operation_,comdat
.Lfunc_end210:
	.size	_ZN12_GLOBAL__N_120geam_min_plus_kernelIDF16_Dv2_DF16_S1_Li32ELi8ELi256ELi64ELi4ELi64ELi4ELi4ELi64ELc78ELc78ELb0ELb1ELb1EPKDF16_KS3_KPDF16_EEviiiT16_PT17_ilS9_ilS7_S9_ilPT18_ili26rocblas_geam_ex_operation_, .Lfunc_end210-_ZN12_GLOBAL__N_120geam_min_plus_kernelIDF16_Dv2_DF16_S1_Li32ELi8ELi256ELi64ELi4ELi64ELi4ELi4ELi64ELc78ELc78ELb0ELb1ELb1EPKDF16_KS3_KPDF16_EEviiiT16_PT17_ilS9_ilS7_S9_ilPT18_ili26rocblas_geam_ex_operation_
                                        ; -- End function
	.section	.AMDGPU.csdata,"",@progbits
; Kernel info:
; codeLenInByte = 23472
; NumSgprs: 29
; NumVgprs: 164
; ScratchSize: 0
; MemoryBound: 0
; FloatMode: 240
; IeeeMode: 1
; LDSByteSize: 5120 bytes/workgroup (compile time only)
; SGPRBlocks: 3
; VGPRBlocks: 20
; NumSGPRsForWavesPerEU: 29
; NumVGPRsForWavesPerEU: 164
; Occupancy: 9
; WaveLimiterHint : 1
; COMPUTE_PGM_RSRC2:SCRATCH_EN: 0
; COMPUTE_PGM_RSRC2:USER_SGPR: 14
; COMPUTE_PGM_RSRC2:TRAP_HANDLER: 0
; COMPUTE_PGM_RSRC2:TGID_X_EN: 1
; COMPUTE_PGM_RSRC2:TGID_Y_EN: 0
; COMPUTE_PGM_RSRC2:TGID_Z_EN: 1
; COMPUTE_PGM_RSRC2:TIDIG_COMP_CNT: 1
	.section	.text._ZN12_GLOBAL__N_120geam_min_plus_kernelIDF16_Dv2_DF16_S1_Li32ELi8ELi256ELi64ELi4ELi64ELi4ELi4ELi64ELc78ELc78ELb1ELb1ELb1EDF16_KPKDF16_KPDF16_EEviiiT16_PT17_ilS9_ilS7_S9_ilPT18_ili26rocblas_geam_ex_operation_,"axG",@progbits,_ZN12_GLOBAL__N_120geam_min_plus_kernelIDF16_Dv2_DF16_S1_Li32ELi8ELi256ELi64ELi4ELi64ELi4ELi4ELi64ELc78ELc78ELb1ELb1ELb1EDF16_KPKDF16_KPDF16_EEviiiT16_PT17_ilS9_ilS7_S9_ilPT18_ili26rocblas_geam_ex_operation_,comdat
	.globl	_ZN12_GLOBAL__N_120geam_min_plus_kernelIDF16_Dv2_DF16_S1_Li32ELi8ELi256ELi64ELi4ELi64ELi4ELi4ELi64ELc78ELc78ELb1ELb1ELb1EDF16_KPKDF16_KPDF16_EEviiiT16_PT17_ilS9_ilS7_S9_ilPT18_ili26rocblas_geam_ex_operation_ ; -- Begin function _ZN12_GLOBAL__N_120geam_min_plus_kernelIDF16_Dv2_DF16_S1_Li32ELi8ELi256ELi64ELi4ELi64ELi4ELi4ELi64ELc78ELc78ELb1ELb1ELb1EDF16_KPKDF16_KPDF16_EEviiiT16_PT17_ilS9_ilS7_S9_ilPT18_ili26rocblas_geam_ex_operation_
	.p2align	8
	.type	_ZN12_GLOBAL__N_120geam_min_plus_kernelIDF16_Dv2_DF16_S1_Li32ELi8ELi256ELi64ELi4ELi64ELi4ELi4ELi64ELc78ELc78ELb1ELb1ELb1EDF16_KPKDF16_KPDF16_EEviiiT16_PT17_ilS9_ilS7_S9_ilPT18_ili26rocblas_geam_ex_operation_,@function
_ZN12_GLOBAL__N_120geam_min_plus_kernelIDF16_Dv2_DF16_S1_Li32ELi8ELi256ELi64ELi4ELi64ELi4ELi4ELi64ELc78ELc78ELb1ELb1ELb1EDF16_KPKDF16_KPDF16_EEviiiT16_PT17_ilS9_ilS7_S9_ilPT18_ili26rocblas_geam_ex_operation_: ; @_ZN12_GLOBAL__N_120geam_min_plus_kernelIDF16_Dv2_DF16_S1_Li32ELi8ELi256ELi64ELi4ELi64ELi4ELi4ELi64ELc78ELc78ELb1ELb1ELb1EDF16_KPKDF16_KPDF16_EEviiiT16_PT17_ilS9_ilS7_S9_ilPT18_ili26rocblas_geam_ex_operation_
; %bb.0:
	s_clause 0x1
	s_load_b128 s[16:19], s[0:1], 0x0
	s_load_b128 s[4:7], s[0:1], 0x20
	s_mov_b32 s2, s15
	s_mov_b32 s3, 0
	s_waitcnt lgkmcnt(0)
	v_cmp_eq_f16_e64 s10, s19, 0
	s_delay_alu instid0(VALU_DEP_1)
	s_and_b32 vcc_lo, exec_lo, s10
	s_cbranch_vccnz .LBB211_3
; %bb.1:
	s_load_b64 s[8:9], s[0:1], 0x10
	s_lshl_b64 s[12:13], s[2:3], 3
	s_waitcnt lgkmcnt(0)
	s_add_u32 s8, s8, s12
	s_addc_u32 s9, s9, s13
	s_lshl_b64 s[4:5], s[4:5], 1
	s_load_b64 s[8:9], s[8:9], 0x0
	s_waitcnt lgkmcnt(0)
	s_add_u32 s8, s8, s4
	s_addc_u32 s9, s9, s5
	s_and_not1_b32 vcc_lo, exec_lo, s10
	s_cbranch_vccnz .LBB211_4
.LBB211_2:
	s_mov_b64 s[20:21], 0
	s_and_not1_b32 vcc_lo, exec_lo, s3
	s_cbranch_vccz .LBB211_5
	s_branch .LBB211_6
.LBB211_3:
	s_mov_b64 s[8:9], 0
	s_and_not1_b32 vcc_lo, exec_lo, s10
	s_cbranch_vccz .LBB211_2
.LBB211_4:
	s_mov_b32 s3, -1
                                        ; implicit-def: $sgpr20_sgpr21
.LBB211_5:
	s_mov_b32 s3, 0
	s_load_b64 s[10:11], s[0:1], 0x38
	s_lshl_b64 s[4:5], s[2:3], 3
	s_delay_alu instid0(SALU_CYCLE_1) | instskip(SKIP_4) | instid1(SALU_CYCLE_1)
	s_add_u32 s4, s6, s4
	s_addc_u32 s5, s7, s5
	s_load_b64 s[4:5], s[4:5], 0x0
	s_waitcnt lgkmcnt(0)
	s_lshl_b64 s[6:7], s[10:11], 1
	s_add_u32 s20, s4, s6
	s_addc_u32 s21, s5, s7
.LBB211_6:
	s_clause 0x1
	s_load_b32 s15, s[0:1], 0x40
	s_load_b128 s[4:7], s[0:1], 0x58
	s_waitcnt lgkmcnt(0)
	v_cmp_eq_f16_e64 s10, s15, 0
	v_cmp_neq_f16_e64 s19, s15, 0
	s_delay_alu instid0(VALU_DEP_2)
	s_and_b32 vcc_lo, exec_lo, s10
	s_cbranch_vccnz .LBB211_8
; %bb.7:
	s_load_b64 s[10:11], s[0:1], 0x48
	s_lshl_b64 s[12:13], s[2:3], 3
	s_waitcnt lgkmcnt(0)
	s_add_u32 s10, s10, s12
	s_addc_u32 s11, s11, s13
	s_lshl_b64 s[4:5], s[4:5], 1
	s_load_b64 s[10:11], s[10:11], 0x0
	s_waitcnt lgkmcnt(0)
	s_add_u32 s10, s10, s4
	s_addc_u32 s11, s11, s5
	s_branch .LBB211_9
.LBB211_8:
	s_mov_b64 s[10:11], 0
.LBB211_9:
	s_lshl_b64 s[2:3], s[2:3], 3
	s_load_b32 s22, s[0:1], 0x18
	s_add_u32 s2, s6, s2
	s_addc_u32 s3, s7, s3
	s_add_i32 s4, s16, -1
	v_and_b32_e32 v38, 0x3ff, v0
	s_ashr_i32 s5, s4, 31
	v_bfe_u32 v39, v0, 10, 10
	s_lshr_b32 s5, s5, 24
	v_mov_b32_e32 v11, 0x7c00
	s_add_i32 s4, s4, s5
	v_mov_b32_e32 v10, 0x7c00
	s_ashr_i32 s4, s4, 8
	v_lshl_add_u32 v2, v39, 5, v38
	s_add_i32 s5, s4, 1
	s_not_b32 s4, s4
	v_cvt_f32_u32_e32 v1, s5
	s_delay_alu instid0(VALU_DEP_2) | instskip(SKIP_1) | instid1(VALU_DEP_3)
	v_lshrrev_b32_e32 v40, 6, v2
	v_and_b32_e32 v9, 63, v2
	v_rcp_iflag_f32_e32 v1, v1
	s_waitcnt lgkmcnt(0)
	s_delay_alu instid0(VALU_DEP_2) | instskip(NEXT) | instid1(VALU_DEP_1)
	v_mad_i64_i32 v[3:4], null, s22, v40, 0
	v_lshlrev_b64 v[3:4], 1, v[3:4]
	s_waitcnt_depctr 0xfff
	v_mul_f32_e32 v1, 0x4f7ffffe, v1
	s_delay_alu instid0(VALU_DEP_1) | instskip(NEXT) | instid1(VALU_DEP_1)
	v_cvt_u32_f32_e32 v1, v1
	v_readfirstlane_b32 s6, v1
	s_delay_alu instid0(VALU_DEP_1) | instskip(NEXT) | instid1(SALU_CYCLE_1)
	s_mul_i32 s4, s4, s6
	s_mul_hi_u32 s4, s6, s4
	s_delay_alu instid0(SALU_CYCLE_1) | instskip(NEXT) | instid1(SALU_CYCLE_1)
	s_add_i32 s6, s6, s4
	s_mul_hi_u32 s4, s14, s6
	s_delay_alu instid0(SALU_CYCLE_1) | instskip(SKIP_2) | instid1(SALU_CYCLE_1)
	s_mul_i32 s6, s4, s5
	s_add_i32 s7, s4, 1
	s_sub_i32 s6, s14, s6
	s_sub_i32 s12, s6, s5
	s_cmp_ge_u32 s6, s5
	s_cselect_b32 s4, s7, s4
	s_cselect_b32 s6, s12, s6
	s_add_i32 s7, s4, 1
	s_cmp_ge_u32 s6, s5
	s_load_b64 s[12:13], s[2:3], 0x0
	s_cselect_b32 s6, s7, s4
	v_add_co_u32 v3, s2, s8, v3
	s_mul_i32 s4, s6, s5
	v_cmp_le_i32_e64 s5, s18, v40
	s_sub_i32 s4, s14, s4
	v_add_co_ci_u32_e64 v4, s2, s9, v4, s2
	s_lshl_b32 s7, s4, 8
	s_delay_alu instid0(SALU_CYCLE_1) | instskip(NEXT) | instid1(VALU_DEP_1)
	v_or_b32_e32 v0, s7, v9
	v_cmp_le_i32_e32 vcc_lo, s16, v0
	v_ashrrev_i32_e32 v1, 31, v0
	s_or_b32 s2, vcc_lo, s5
	s_delay_alu instid0(SALU_CYCLE_1) | instskip(NEXT) | instid1(SALU_CYCLE_1)
	s_xor_b32 s2, s2, -1
	s_and_saveexec_b32 s3, s2
	s_cbranch_execz .LBB211_11
; %bb.10:
	v_lshlrev_b64 v[5:6], 1, v[0:1]
	s_delay_alu instid0(VALU_DEP_1) | instskip(NEXT) | instid1(VALU_DEP_1)
	v_add_co_u32 v5, s2, v3, v5
	v_add_co_ci_u32_e64 v6, s2, v4, v6, s2
	flat_load_u16 v11, v[5:6]
.LBB211_11:
	s_or_b32 exec_lo, exec_lo, s3
	v_or_b32_e32 v5, 64, v0
	s_delay_alu instid0(VALU_DEP_1) | instskip(NEXT) | instid1(VALU_DEP_1)
	v_cmp_le_i32_e64 s2, s16, v5
	s_or_b32 s3, s2, s5
	s_delay_alu instid0(SALU_CYCLE_1) | instskip(NEXT) | instid1(SALU_CYCLE_1)
	s_xor_b32 s3, s3, -1
	s_and_saveexec_b32 s4, s3
	s_cbranch_execz .LBB211_13
; %bb.12:
	v_lshlrev_b64 v[5:6], 1, v[0:1]
	s_delay_alu instid0(VALU_DEP_1) | instskip(NEXT) | instid1(VALU_DEP_1)
	v_add_co_u32 v5, s3, v3, v5
	v_add_co_ci_u32_e64 v6, s3, v4, v6, s3
	flat_load_u16 v10, v[5:6] offset:128
.LBB211_13:
	s_or_b32 exec_lo, exec_lo, s4
	v_or_b32_e32 v5, 0x80, v0
	v_dual_mov_b32 v12, 0x7c00 :: v_dual_mov_b32 v13, 0x7c00
	s_ashr_i32 s23, s22, 31
	s_delay_alu instid0(VALU_DEP_2) | instskip(NEXT) | instid1(VALU_DEP_1)
	v_cmp_le_i32_e64 s3, s16, v5
	s_or_b32 s4, s3, s5
	s_delay_alu instid0(SALU_CYCLE_1) | instskip(NEXT) | instid1(SALU_CYCLE_1)
	s_xor_b32 s4, s4, -1
	s_and_saveexec_b32 s14, s4
	s_cbranch_execz .LBB211_15
; %bb.14:
	v_lshlrev_b64 v[5:6], 1, v[0:1]
	s_delay_alu instid0(VALU_DEP_1) | instskip(NEXT) | instid1(VALU_DEP_1)
	v_add_co_u32 v5, s4, v3, v5
	v_add_co_ci_u32_e64 v6, s4, v4, v6, s4
	flat_load_u16 v13, v[5:6] offset:256
.LBB211_15:
	s_or_b32 exec_lo, exec_lo, s14
	v_or_b32_e32 v5, 0xc0, v0
	s_delay_alu instid0(VALU_DEP_1) | instskip(NEXT) | instid1(VALU_DEP_1)
	v_cmp_le_i32_e64 s4, s16, v5
	s_or_b32 s5, s4, s5
	s_delay_alu instid0(SALU_CYCLE_1) | instskip(NEXT) | instid1(SALU_CYCLE_1)
	s_xor_b32 s5, s5, -1
	s_and_saveexec_b32 s14, s5
	s_cbranch_execz .LBB211_17
; %bb.16:
	v_lshlrev_b64 v[5:6], 1, v[0:1]
	s_delay_alu instid0(VALU_DEP_1) | instskip(NEXT) | instid1(VALU_DEP_1)
	v_add_co_u32 v3, s5, v3, v5
	v_add_co_ci_u32_e64 v4, s5, v4, v6, s5
	flat_load_u16 v12, v[3:4] offset:384
.LBB211_17:
	s_or_b32 exec_lo, exec_lo, s14
	s_load_b32 s25, s[0:1], 0x30
	v_lshrrev_b32_e32 v14, 2, v2
	s_lshl_b32 s24, s6, 6
	v_dual_mov_b32 v4, 0x7c00 :: v_dual_and_b32 v43, 3, v38
	v_mov_b32_e32 v15, 0x7c00
	s_delay_alu instid0(VALU_DEP_3) | instskip(NEXT) | instid1(VALU_DEP_3)
	v_add_nc_u32_e32 v3, s24, v14
	v_cmp_gt_i32_e64 s6, s18, v43
	v_lshlrev_b32_e32 v2, 1, v43
	s_delay_alu instid0(VALU_DEP_3) | instskip(NEXT) | instid1(VALU_DEP_1)
	v_cmp_le_i32_e64 s5, s17, v3
	s_xor_b32 s14, s5, -1
	s_delay_alu instid0(VALU_DEP_3) | instid1(SALU_CYCLE_1)
	s_and_b32 s5, s6, s14
	s_delay_alu instid0(SALU_CYCLE_1)
	s_and_saveexec_b32 s6, s5
	s_cbranch_execz .LBB211_19
; %bb.18:
	s_waitcnt lgkmcnt(0)
	v_mad_i64_i32 v[5:6], null, v3, s25, 0
	s_delay_alu instid0(VALU_DEP_1) | instskip(NEXT) | instid1(VALU_DEP_1)
	v_lshlrev_b64 v[5:6], 1, v[5:6]
	v_add_co_u32 v5, s5, s20, v5
	s_delay_alu instid0(VALU_DEP_1) | instskip(NEXT) | instid1(VALU_DEP_2)
	v_add_co_ci_u32_e64 v6, s5, s21, v6, s5
	v_add_co_u32 v5, s5, v5, v2
	s_delay_alu instid0(VALU_DEP_1)
	v_add_co_ci_u32_e64 v6, s5, 0, v6, s5
	flat_load_u16 v15, v[5:6]
.LBB211_19:
	s_or_b32 exec_lo, exec_lo, s6
	v_add_nc_u32_e32 v7, 4, v40
	s_delay_alu instid0(VALU_DEP_1) | instskip(SKIP_1) | instid1(VALU_DEP_2)
	v_mad_i64_i32 v[5:6], null, s22, v7, 0
	v_cmp_le_i32_e64 s5, s18, v7
	v_lshlrev_b64 v[5:6], 1, v[5:6]
	s_delay_alu instid0(VALU_DEP_1) | instskip(NEXT) | instid1(VALU_DEP_1)
	v_add_co_u32 v16, s6, s8, v5
	v_add_co_ci_u32_e64 v17, s6, s9, v6, s6
	s_delay_alu instid0(VALU_DEP_4) | instskip(NEXT) | instid1(SALU_CYCLE_1)
	s_or_b32 s6, vcc_lo, s5
	s_xor_b32 s6, s6, -1
	s_delay_alu instid0(SALU_CYCLE_1)
	s_and_saveexec_b32 s26, s6
	s_cbranch_execz .LBB211_21
; %bb.20:
	v_lshlrev_b64 v[4:5], 1, v[0:1]
	s_delay_alu instid0(VALU_DEP_1) | instskip(NEXT) | instid1(VALU_DEP_1)
	v_add_co_u32 v4, s6, v16, v4
	v_add_co_ci_u32_e64 v5, s6, v17, v5, s6
	flat_load_u16 v4, v[4:5]
.LBB211_21:
	s_or_b32 exec_lo, exec_lo, s26
	v_dual_mov_b32 v5, 0x7c00 :: v_dual_mov_b32 v6, 0x7c00
	s_or_b32 s6, s2, s5
	s_delay_alu instid0(SALU_CYCLE_1) | instskip(NEXT) | instid1(SALU_CYCLE_1)
	s_xor_b32 s6, s6, -1
	s_and_saveexec_b32 s26, s6
	s_cbranch_execz .LBB211_23
; %bb.22:
	v_lshlrev_b64 v[6:7], 1, v[0:1]
	s_delay_alu instid0(VALU_DEP_1) | instskip(NEXT) | instid1(VALU_DEP_1)
	v_add_co_u32 v6, s6, v16, v6
	v_add_co_ci_u32_e64 v7, s6, v17, v7, s6
	flat_load_u16 v6, v[6:7] offset:128
.LBB211_23:
	s_or_b32 exec_lo, exec_lo, s26
	s_or_b32 s6, s3, s5
	s_delay_alu instid0(SALU_CYCLE_1) | instskip(NEXT) | instid1(SALU_CYCLE_1)
	s_xor_b32 s6, s6, -1
	s_and_saveexec_b32 s26, s6
	s_cbranch_execz .LBB211_25
; %bb.24:
	v_lshlrev_b64 v[7:8], 1, v[0:1]
	s_delay_alu instid0(VALU_DEP_1) | instskip(NEXT) | instid1(VALU_DEP_1)
	v_add_co_u32 v7, s6, v16, v7
	v_add_co_ci_u32_e64 v8, s6, v17, v8, s6
	flat_load_u16 v5, v[7:8] offset:256
.LBB211_25:
	s_or_b32 exec_lo, exec_lo, s26
	v_dual_mov_b32 v8, 0x7c00 :: v_dual_mov_b32 v7, 0x7c00
	s_or_b32 s5, s4, s5
	s_delay_alu instid0(SALU_CYCLE_1) | instskip(NEXT) | instid1(SALU_CYCLE_1)
	s_xor_b32 s5, s5, -1
	s_and_saveexec_b32 s6, s5
	s_cbranch_execz .LBB211_27
; %bb.26:
	v_lshlrev_b64 v[18:19], 1, v[0:1]
	s_delay_alu instid0(VALU_DEP_1) | instskip(NEXT) | instid1(VALU_DEP_1)
	v_add_co_u32 v16, s5, v16, v18
	v_add_co_ci_u32_e64 v17, s5, v17, v19, s5
	flat_load_u16 v7, v[16:17] offset:384
.LBB211_27:
	s_or_b32 exec_lo, exec_lo, s6
	v_or_b32_e32 v16, 4, v43
	s_delay_alu instid0(VALU_DEP_1) | instskip(NEXT) | instid1(VALU_DEP_1)
	v_cmp_gt_i32_e64 s5, s18, v16
	s_and_b32 s5, s5, s14
	s_delay_alu instid0(SALU_CYCLE_1)
	s_and_saveexec_b32 s6, s5
	s_cbranch_execz .LBB211_29
; %bb.28:
	s_waitcnt lgkmcnt(0)
	v_mad_i64_i32 v[16:17], null, v3, s25, 0
	s_delay_alu instid0(VALU_DEP_1) | instskip(NEXT) | instid1(VALU_DEP_1)
	v_lshlrev_b64 v[16:17], 1, v[16:17]
	v_add_co_u32 v8, s5, s20, v16
	s_delay_alu instid0(VALU_DEP_1) | instskip(NEXT) | instid1(VALU_DEP_2)
	v_add_co_ci_u32_e64 v17, s5, s21, v17, s5
	v_add_co_u32 v16, s5, v8, v2
	s_delay_alu instid0(VALU_DEP_1)
	v_add_co_ci_u32_e64 v17, s5, 0, v17, s5
	flat_load_u16 v8, v[16:17] offset:8
.LBB211_29:
	s_or_b32 exec_lo, exec_lo, s6
	v_lshlrev_b32_e32 v16, 1, v40
	v_lshlrev_b32_e32 v41, 3, v39
	;; [unrolled: 1-line block ×3, first 2 shown]
	s_cmp_lt_i32 s18, 9
	s_delay_alu instid0(VALU_DEP_3) | instskip(NEXT) | instid1(VALU_DEP_3)
	v_lshl_add_u32 v44, v9, 3, v16
	v_add_nc_u32_e32 v45, 0x1000, v41
	v_lshl_or_b32 v9, v14, 3, v2
	s_waitcnt vmcnt(0) lgkmcnt(0)
	ds_store_b16 v44, v11
	ds_store_b16 v44, v10 offset:512
	ds_store_b16 v44, v13 offset:1024
	;; [unrolled: 1-line block ×4, first 2 shown]
	s_waitcnt lgkmcnt(0)
	s_barrier
	buffer_gl0_inv
	ds_load_2addr_b64 v[10:13], v42 offset1:32
	ds_load_2addr_b64 v[14:17], v45 offset1:8
	ds_load_2addr_b64 v[18:21], v42 offset0:64 offset1:96
	ds_load_2addr_b64 v[22:25], v42 offset0:128 offset1:160
	;; [unrolled: 1-line block ×5, first 2 shown]
	s_waitcnt lgkmcnt(5)
	v_pk_add_f16 v46, v10, v14
	v_pk_add_f16 v47, v12, v14
	s_waitcnt lgkmcnt(4)
	v_pk_add_f16 v48, v18, v14
	v_pk_add_f16 v49, v20, v14
	;; [unrolled: 3-line block ×4, first 2 shown]
	v_pk_add_f16 v54, v10, v16
	v_pk_add_f16 v55, v12, v16
	;; [unrolled: 1-line block ×8, first 2 shown]
	s_waitcnt lgkmcnt(1)
	v_pk_add_f16 v62, v10, v30
	v_pk_add_f16 v63, v12, v30
	;; [unrolled: 1-line block ×24, first 2 shown]
	ds_load_2addr_b64 v[14:17], v45 offset0:48 offset1:56
	v_pk_min_f16 v45, 0x7c00, v46 op_sel_hi:[0,1]
	v_pk_min_f16 v46, 0x7c00, v47 op_sel_hi:[0,1]
	;; [unrolled: 1-line block ×5, first 2 shown]
	v_pk_add_f16 v70, v12, v32
	v_pk_add_f16 v71, v18, v32
	;; [unrolled: 1-line block ×10, first 2 shown]
	v_pk_min_f16 v116, v45, v76
	v_pk_min_f16 v113, v48, v79
	v_pk_min_f16 v110, v49, v80
	v_pk_min_f16 v45, 0x7c00, v51 op_sel_hi:[0,1]
	v_pk_min_f16 v48, 0x7c00, v54 op_sel_hi:[0,1]
	;; [unrolled: 1-line block ×5, first 2 shown]
	v_pk_add_f16 v69, v10, v32
	v_pk_add_f16 v72, v20, v32
	;; [unrolled: 1-line block ×8, first 2 shown]
	s_waitcnt lgkmcnt(1)
	v_pk_add_f16 v123, v10, v34
	v_pk_min_f16 v114, v47, v78
	v_pk_min_f16 v47, 0x7c00, v53 op_sel_hi:[0,1]
	v_pk_min_f16 v105, v48, v84
	v_pk_min_f16 v104, v49, v85
	v_pk_min_f16 v48, 0x7c00, v57 op_sel_hi:[0,1]
	v_pk_min_f16 v49, 0x7c00, v58 op_sel_hi:[0,1]
	v_pk_min_f16 v99, v51, v90
	v_pk_min_f16 v90, v30, v31
	v_pk_min_f16 v30, 0x7c00, v70 op_sel_hi:[0,1]
	v_pk_min_f16 v31, 0x7c00, v71 op_sel_hi:[0,1]
	v_pk_add_f16 v112, v11, v33
	v_pk_add_f16 v119, v21, v33
	v_pk_add_f16 v120, v23, v33
	v_pk_add_f16 v121, v25, v33
	v_pk_add_f16 v122, v27, v33
	v_pk_add_f16 v33, v29, v33
	v_pk_add_f16 v126, v20, v34
	v_pk_add_f16 v127, v22, v34
	v_pk_add_f16 v128, v24, v34
	v_pk_add_f16 v129, v26, v34
	v_pk_add_f16 v137, v11, v35
	v_pk_min_f16 v115, v46, v77
	v_pk_min_f16 v46, 0x7c00, v52 op_sel_hi:[0,1]
	v_pk_min_f16 v106, v47, v83
	v_pk_min_f16 v47, 0x7c00, v56 op_sel_hi:[0,1]
	v_pk_min_f16 v102, v48, v87
	v_pk_min_f16 v101, v49, v88
	v_pk_min_f16 v49, 0x7c00, v63 op_sel_hi:[0,1]
	v_pk_min_f16 v88, v30, v117
	v_pk_min_f16 v87, v31, v118
	v_pk_min_f16 v30, 0x7c00, v75 op_sel_hi:[0,1]
	v_pk_min_f16 v31, 0x7c00, v32 op_sel_hi:[0,1]
	;; [unrolled: 1-line block ×3, first 2 shown]
	v_pk_add_f16 v124, v12, v34
	v_pk_add_f16 v125, v18, v34
	;; [unrolled: 1-line block ×11, first 2 shown]
	v_pk_min_f16 v45, v45, v81
	v_pk_min_f16 v46, v46, v82
	v_pk_min_f16 v50, 0x7c00, v59 op_sel_hi:[0,1]
	v_pk_min_f16 v103, v47, v86
	v_pk_min_f16 v47, 0x7c00, v61 op_sel_hi:[0,1]
	v_pk_min_f16 v48, 0x7c00, v62 op_sel_hi:[0,1]
	v_pk_min_f16 v96, v49, v93
	v_pk_min_f16 v49, 0x7c00, v68 op_sel_hi:[0,1]
	v_pk_min_f16 v83, v30, v122
	v_pk_min_f16 v82, v31, v33
	;; [unrolled: 1-line block ×3, first 2 shown]
	v_pk_min_f16 v30, 0x7c00, v126 op_sel_hi:[0,1]
	v_pk_min_f16 v31, 0x7c00, v127 op_sel_hi:[0,1]
	;; [unrolled: 1-line block ×4, first 2 shown]
	v_pk_add_f16 v134, v22, v36
	v_pk_add_f16 v135, v24, v36
	;; [unrolled: 1-line block ×11, first 2 shown]
	s_waitcnt lgkmcnt(0)
	v_pk_add_f16 v151, v10, v14
	v_pk_min_f16 v100, v50, v89
	v_pk_min_f16 v50, 0x7c00, v64 op_sel_hi:[0,1]
	v_pk_min_f16 v98, v47, v91
	v_pk_min_f16 v97, v48, v92
	v_pk_min_f16 v47, 0x7c00, v66 op_sel_hi:[0,1]
	v_pk_min_f16 v48, 0x7c00, v67 op_sel_hi:[0,1]
	v_pk_min_f16 v91, v49, v111
	v_pk_min_f16 v49, 0x7c00, v74 op_sel_hi:[0,1]
	v_pk_min_f16 v34, 0x7c00, v34 op_sel_hi:[0,1]
	v_pk_min_f16 v77, v30, v140
	v_pk_min_f16 v76, v31, v141
	;; [unrolled: 1-line block ×4, first 2 shown]
	v_pk_min_f16 v30, 0x7c00, v130 op_sel_hi:[0,1]
	v_pk_min_f16 v31, 0x7c00, v131 op_sel_hi:[0,1]
	;; [unrolled: 1-line block ×4, first 2 shown]
	v_pk_add_f16 v148, v23, v37
	v_pk_add_f16 v149, v25, v37
	;; [unrolled: 1-line block ×8, first 2 shown]
	v_pk_min_f16 v95, v50, v94
	v_pk_min_f16 v50, 0x7c00, v69 op_sel_hi:[0,1]
	v_pk_min_f16 v93, v47, v108
	v_pk_min_f16 v92, v48, v109
	v_pk_min_f16 v47, 0x7c00, v72 op_sel_hi:[0,1]
	v_pk_min_f16 v48, 0x7c00, v73 op_sel_hi:[0,1]
	v_pk_min_f16 v73, v34, v35
	v_pk_min_f16 v34, 0x7c00, v134 op_sel_hi:[0,1]
	v_pk_min_f16 v72, v30, v144
	v_pk_min_f16 v70, v31, v145
	;; [unrolled: 1-line block ×4, first 2 shown]
	v_pk_min_f16 v30, 0x7c00, v135 op_sel_hi:[0,1]
	v_pk_min_f16 v31, 0x7c00, v136 op_sel_hi:[0,1]
	;; [unrolled: 1-line block ×4, first 2 shown]
	v_pk_add_f16 v10, v10, v16
	v_pk_add_f16 v154, v13, v15
	;; [unrolled: 1-line block ×4, first 2 shown]
	v_pk_min_f16 v51, 0x7c00, v65 op_sel_hi:[0,1]
	v_pk_min_f16 v67, v34, v148
	v_pk_min_f16 v34, 0x7c00, v152 op_sel_hi:[0,1]
	v_pk_min_f16 v35, 0x7c00, v155 op_sel_hi:[0,1]
	v_pk_min_f16 v66, v30, v149
	v_pk_add_f16 v30, v22, v14
	v_pk_min_f16 v65, v31, v150
	v_pk_add_f16 v31, v24, v14
	;; [unrolled: 2-line block ×4, first 2 shown]
	v_pk_min_f16 v33, 0x7c00, v156 op_sel_hi:[0,1]
	v_pk_add_f16 v12, v12, v16
	v_pk_add_f16 v11, v11, v17
	;; [unrolled: 1-line block ×3, first 2 shown]
	v_pk_min_f16 v14, 0x7c00, v14 op_sel_hi:[0,1]
	v_pk_min_f16 v10, 0x7c00, v10 op_sel_hi:[0,1]
	v_pk_min_f16 v62, v34, v154
	v_pk_add_f16 v34, v23, v15
	v_pk_min_f16 v61, v35, v157
	v_pk_add_f16 v35, v25, v15
	;; [unrolled: 2-line block ×3, first 2 shown]
	v_pk_add_f16 v15, v29, v15
	v_pk_add_f16 v13, v13, v17
	;; [unrolled: 1-line block ×4, first 2 shown]
	v_pk_min_f16 v12, 0x7c00, v12 op_sel_hi:[0,1]
	v_pk_min_f16 v18, 0x7c00, v18 op_sel_hi:[0,1]
	v_pk_add_f16 v22, v22, v16
	v_pk_add_f16 v24, v24, v16
	v_pk_min_f16 v56, v14, v15
	v_pk_add_f16 v14, v26, v16
	v_pk_min_f16 v55, v10, v11
	v_pk_add_f16 v10, v28, v16
	v_pk_add_f16 v21, v21, v17
	v_pk_min_f16 v86, v47, v119
	v_pk_min_f16 v85, v48, v120
	v_pk_min_f16 v47, 0x7c00, v124 op_sel_hi:[0,1]
	v_pk_min_f16 v48, 0x7c00, v125 op_sel_hi:[0,1]
	;; [unrolled: 1-line block ×10, first 2 shown]
	v_pk_min_f16 v54, v12, v13
	v_pk_min_f16 v53, v18, v19
	v_pk_add_f16 v12, v23, v17
	v_pk_add_f16 v13, v25, v17
	v_pk_add_f16 v18, v27, v17
	v_pk_add_f16 v17, v29, v17
	v_pk_min_f16 v94, v51, v107
	v_pk_min_f16 v89, v50, v112
	;; [unrolled: 1-line block ×13, first 2 shown]
	ds_store_b16 v44, v4 offset:2048
	ds_store_b16 v44, v6 offset:2560
	;; [unrolled: 1-line block ×5, first 2 shown]
	s_waitcnt lgkmcnt(0)
	s_barrier
	buffer_gl0_inv
	s_cbranch_scc1 .LBB211_52
; %bb.30:
	v_mad_i64_i32 v[4:5], null, s25, v3, 0
	v_add_nc_u32_e32 v6, 12, v40
	v_lshlrev_b64 v[0:1], 1, v[0:1]
	v_add_nc_u32_e32 v47, 0x1000, v9
	v_add_nc_u32_e32 v71, 0x1000, v41
	;; [unrolled: 1-line block ×4, first 2 shown]
	v_lshlrev_b64 v[3:4], 1, v[4:5]
	v_add_nc_u32_e32 v5, 8, v40
	v_lshl_add_u32 v108, v38, 3, 0x800
	v_lshl_add_u32 v109, v39, 3, 0x1200
	s_delay_alu instid0(VALU_DEP_4) | instskip(NEXT) | instid1(VALU_DEP_1)
	v_add_co_u32 v7, s5, v3, v2
	v_add_co_ci_u32_e64 v8, s5, 0, v4, s5
	v_mad_i64_i32 v[2:3], null, v5, s22, 0
	v_mad_i64_i32 v[4:5], null, v6, s22, 0
	s_delay_alu instid0(VALU_DEP_4) | instskip(NEXT) | instid1(VALU_DEP_1)
	v_add_co_u32 v6, s5, v7, s20
	v_add_co_ci_u32_e64 v7, s5, s21, v8, s5
	s_delay_alu instid0(VALU_DEP_4) | instskip(NEXT) | instid1(VALU_DEP_3)
	v_lshlrev_b64 v[34:35], 1, v[2:3]
	v_add_co_u32 v32, s5, v6, 24
	s_delay_alu instid0(VALU_DEP_1)
	v_add_co_ci_u32_e64 v33, s5, 0, v7, s5
	v_add_co_u32 v111, s5, s8, v0
	v_lshlrev_b64 v[36:37], 1, v[4:5]
	v_add_co_ci_u32_e64 v112, s5, s9, v1, s5
	s_add_i32 s20, s18, -8
	s_lshl_b64 s[8:9], s[22:23], 4
	s_mov_b32 s21, 0
	s_branch .LBB211_32
.LBB211_31:                             ;   in Loop: Header=BB211_32 Depth=1
	s_or_b32 exec_lo, exec_lo, s5
	ds_load_2addr_b64 v[122:125], v42 offset1:32
	ds_load_2addr_b64 v[84:87], v71 offset1:8
	ds_load_2addr_b64 v[126:129], v42 offset0:64 offset1:96
	ds_load_2addr_b64 v[130:133], v42 offset0:128 offset1:160
	ds_load_2addr_b64 v[134:137], v42 offset0:192 offset1:224
	ds_load_2addr_b64 v[138:141], v71 offset0:16 offset1:24
	ds_load_2addr_b64 v[142:145], v71 offset0:32 offset1:40
	ds_load_2addr_b64 v[146:149], v71 offset0:48 offset1:56
	v_pk_max_f16 v13, v83, v83
	v_pk_max_f16 v15, v81, v81
	;; [unrolled: 1-line block ×13, first 2 shown]
	s_waitcnt lgkmcnt(6)
	v_pk_add_f16 v80, v122, v84
	v_pk_add_f16 v81, v124, v84
	s_waitcnt lgkmcnt(5)
	v_pk_add_f16 v82, v126, v84
	v_pk_add_f16 v83, v128, v84
	s_waitcnt lgkmcnt(4)
	v_pk_add_f16 v88, v130, v84
	v_pk_min_f16 v13, v13, v80
	v_pk_min_f16 v15, v15, v81
	;; [unrolled: 1-line block ×3, first 2 shown]
	v_pk_add_f16 v80, v122, v86
	v_pk_add_f16 v81, v124, v86
	;; [unrolled: 1-line block ×4, first 2 shown]
	s_waitcnt lgkmcnt(3)
	v_pk_add_f16 v90, v134, v84
	v_pk_min_f16 v69, v69, v80
	v_pk_min_f16 v67, v67, v81
	v_pk_min_f16 v74, v74, v82
	v_pk_add_f16 v80, v132, v86
	v_pk_add_f16 v81, v134, v86
	;; [unrolled: 1-line block ×4, first 2 shown]
	v_pk_max_f16 v59, v59, v59
	v_pk_min_f16 v64, v64, v80
	v_pk_min_f16 v62, v62, v81
	;; [unrolled: 1-line block ×3, first 2 shown]
	s_waitcnt lgkmcnt(2)
	v_pk_add_f16 v80, v126, v138
	v_pk_add_f16 v81, v128, v138
	v_pk_max_f16 v57, v57, v57
	v_pk_add_f16 v82, v130, v138
	v_pk_max_f16 v65, v65, v65
	v_pk_min_f16 v19, v19, v83
	v_pk_min_f16 v75, v75, v84
	v_pk_add_f16 v83, v128, v86
	v_pk_max_f16 v73, v73, v73
	v_pk_add_f16 v84, v130, v86
	v_pk_max_f16 v72, v72, v72
	v_pk_min_f16 v59, v59, v80
	v_pk_min_f16 v57, v57, v81
	;; [unrolled: 1-line block ×3, first 2 shown]
	v_pk_add_f16 v80, v136, v138
	v_pk_max_f16 v54, v54, v54
	v_pk_add_f16 v81, v122, v140
	v_pk_max_f16 v52, v52, v52
	;; [unrolled: 2-line block ×3, first 2 shown]
	v_pk_min_f16 v73, v73, v83
	v_pk_min_f16 v72, v72, v84
	v_pk_add_f16 v83, v122, v138
	v_pk_max_f16 v68, v68, v68
	v_pk_add_f16 v84, v124, v138
	v_pk_max_f16 v66, v66, v66
	v_pk_min_f16 v54, v54, v80
	v_pk_min_f16 v52, v52, v81
	;; [unrolled: 1-line block ×3, first 2 shown]
	v_pk_add_f16 v80, v130, v140
	v_pk_max_f16 v49, v49, v49
	v_pk_add_f16 v81, v132, v140
	v_pk_max_f16 v46, v46, v46
	;; [unrolled: 2-line block ×3, first 2 shown]
	v_pk_min_f16 v68, v68, v83
	v_pk_min_f16 v66, v66, v84
	v_pk_add_f16 v83, v132, v138
	v_pk_max_f16 v63, v63, v63
	v_pk_add_f16 v84, v134, v138
	v_pk_max_f16 v61, v61, v61
	v_pk_min_f16 v49, v49, v80
	v_pk_min_f16 v80, v46, v81
	v_pk_min_f16 v55, v55, v82
	s_waitcnt lgkmcnt(1)
	v_pk_add_f16 v46, v124, v142
	v_pk_max_f16 v30, v30, v30
	v_pk_add_f16 v81, v126, v142
	v_pk_max_f16 v28, v28, v28
	v_pk_add_f16 v82, v128, v142
	v_pk_max_f16 v50, v50, v50
	v_pk_min_f16 v63, v63, v83
	v_pk_min_f16 v61, v61, v84
	v_pk_add_f16 v83, v126, v140
	v_pk_max_f16 v58, v58, v58
	v_pk_add_f16 v84, v128, v140
	v_pk_max_f16 v56, v56, v56
	v_pk_min_f16 v30, v30, v46
	v_pk_min_f16 v28, v28, v81
	v_pk_min_f16 v50, v50, v82
	v_pk_add_f16 v46, v136, v142
	v_pk_max_f16 v24, v24, v24
	v_pk_add_f16 v81, v122, v144
	v_pk_max_f16 v31, v31, v31
	v_pk_add_f16 v82, v124, v144
	v_pk_max_f16 v29, v29, v29
	v_pk_min_f16 v58, v58, v83
	v_pk_min_f16 v56, v56, v84
	v_pk_add_f16 v83, v136, v140
	v_pk_max_f16 v53, v53, v53
	v_pk_add_f16 v84, v122, v142
	v_pk_max_f16 v51, v51, v51
	v_pk_min_f16 v24, v24, v46
	v_pk_min_f16 v31, v31, v81
	v_pk_min_f16 v29, v29, v82
	;; [unrolled: 15-line block ×3, first 2 shown]
	s_waitcnt lgkmcnt(0)
	v_pk_add_f16 v46, v124, v146
	v_pk_max_f16 v10, v10, v10
	v_pk_add_f16 v81, v126, v146
	v_pk_max_f16 v21, v21, v21
	;; [unrolled: 2-line block ×3, first 2 shown]
	v_pk_min_f16 v48, v48, v83
	v_pk_min_f16 v138, v45, v84
	v_pk_add_f16 v45, v134, v142
	v_pk_max_f16 v25, v25, v25
	v_pk_add_f16 v83, v126, v144
	v_pk_max_f16 v27, v27, v27
	v_pk_min_f16 v10, v10, v46
	v_pk_min_f16 v21, v21, v81
	;; [unrolled: 1-line block ×3, first 2 shown]
	v_pk_add_f16 v46, v134, v146
	v_pk_max_f16 v4, v4, v4
	v_pk_add_f16 v81, v136, v146
	v_pk_max_f16 v11, v11, v11
	;; [unrolled: 2-line block ×3, first 2 shown]
	v_pk_min_f16 v25, v25, v45
	v_pk_min_f16 v27, v27, v83
	v_pk_add_f16 v45, v128, v144
	v_pk_max_f16 v20, v20, v20
	v_pk_add_f16 v83, v136, v144
	v_pk_max_f16 v22, v22, v22
	v_pk_min_f16 v4, v4, v46
	v_pk_min_f16 v11, v11, v81
	;; [unrolled: 1-line block ×3, first 2 shown]
	v_pk_add_f16 v46, v128, v148
	v_pk_max_f16 v0, v0, v0
	v_pk_add_f16 v81, v130, v148
	v_pk_max_f16 v7, v7, v7
	v_pk_add_f16 v82, v132, v148
	v_pk_max_f16 v5, v5, v5
	v_pk_max_f16 v76, v76, v76
	v_pk_min_f16 v20, v20, v45
	v_pk_min_f16 v22, v22, v83
	v_pk_add_f16 v45, v122, v146
	v_pk_max_f16 v12, v12, v12
	v_pk_add_f16 v83, v130, v146
	v_pk_max_f16 v14, v14, v14
	v_pk_min_f16 v0, v0, v46
	v_pk_min_f16 v7, v7, v81
	;; [unrolled: 1-line block ×3, first 2 shown]
	v_pk_add_f16 v46, v123, v85
	v_pk_add_f16 v81, v125, v85
	;; [unrolled: 1-line block ×3, first 2 shown]
	v_pk_min_f16 v76, v76, v88
	v_pk_min_f16 v78, v78, v90
	;; [unrolled: 1-line block ×4, first 2 shown]
	v_pk_add_f16 v45, v132, v146
	v_pk_max_f16 v6, v6, v6
	v_pk_add_f16 v83, v124, v148
	v_pk_max_f16 v8, v8, v8
	v_pk_min_f16 v116, v13, v46
	v_pk_min_f16 v115, v15, v81
	;; [unrolled: 1-line block ×3, first 2 shown]
	v_pk_add_f16 v13, v131, v85
	v_pk_add_f16 v17, v135, v85
	;; [unrolled: 1-line block ×3, first 2 shown]
	v_pk_min_f16 v6, v6, v45
	v_pk_min_f16 v8, v8, v83
	v_pk_add_f16 v45, v126, v148
	v_pk_max_f16 v2, v2, v2
	v_pk_add_f16 v83, v134, v148
	v_pk_max_f16 v3, v3, v3
	v_pk_min_f16 v110, v76, v13
	v_pk_min_f16 v46, v78, v17
	v_pk_min_f16 v105, v69, v81
	v_pk_add_f16 v13, v125, v87
	v_pk_add_f16 v17, v129, v87
	;; [unrolled: 1-line block ×3, first 2 shown]
	v_pk_min_f16 v77, v77, v89
	v_pk_min_f16 v2, v2, v45
	;; [unrolled: 1-line block ×3, first 2 shown]
	v_pk_add_f16 v45, v136, v148
	v_pk_max_f16 v1, v1, v1
	v_pk_add_f16 v83, v129, v85
	v_pk_add_f16 v15, v133, v85
	v_pk_min_f16 v104, v67, v13
	v_pk_min_f16 v102, v73, v17
	v_pk_min_f16 v100, v64, v69
	v_pk_add_f16 v13, v135, v87
	v_pk_add_f16 v17, v123, v139
	;; [unrolled: 1-line block ×3, first 2 shown]
	v_pk_min_f16 v1, v1, v45
	v_pk_min_f16 v113, v19, v83
	v_pk_add_f16 v19, v137, v85
	v_pk_min_f16 v45, v77, v15
	v_pk_add_f16 v15, v127, v87
	v_pk_min_f16 v99, v62, v13
	v_pk_min_f16 v97, v68, v17
	v_pk_min_f16 v95, v59, v64
	v_pk_add_f16 v13, v129, v139
	v_pk_add_f16 v17, v133, v139
	v_pk_add_f16 v59, v137, v139
	v_pk_min_f16 v106, v75, v19
	v_pk_add_f16 v19, v131, v87
	v_pk_min_f16 v103, v74, v15
	v_pk_add_f16 v15, v137, v87
	v_pk_min_f16 v94, v57, v13
	v_pk_min_f16 v92, v63, v17
	v_pk_min_f16 v90, v54, v59
	v_pk_add_f16 v13, v123, v141
	v_pk_add_f16 v17, v127, v141
	v_pk_add_f16 v54, v131, v141
	;; [unrolled: 10-line block ×7, first 2 shown]
	v_pk_add_f16 v17, v133, v147
	v_pk_min_f16 v75, v138, v19
	v_pk_add_f16 v19, v127, v145
	v_pk_min_f16 v72, v31, v15
	;; [unrolled: 2-line block ×3, first 2 shown]
	v_pk_min_f16 v61, v21, v13
	v_pk_min_f16 v59, v14, v16
	;; [unrolled: 1-line block ×3, first 2 shown]
	v_pk_add_f16 v6, v135, v147
	v_pk_add_f16 v12, v123, v149
	;; [unrolled: 1-line block ×4, first 2 shown]
	v_pk_min_f16 v69, v27, v19
	v_pk_add_f16 v19, v137, v145
	v_pk_min_f16 v66, v26, v15
	v_pk_add_f16 v15, v129, v147
	v_pk_add_f16 v10, v137, v147
	v_pk_min_f16 v57, v4, v6
	v_pk_min_f16 v55, v9, v12
	;; [unrolled: 1-line block ×4, first 2 shown]
	v_pk_add_f16 v2, v129, v149
	v_pk_add_f16 v4, v131, v149
	;; [unrolled: 1-line block ×5, first 2 shown]
	v_add_co_u32 v32, s5, v32, 16
	s_delay_alu instid0(VALU_DEP_1)
	v_add_co_ci_u32_e64 v33, s5, 0, v33, s5
	v_add_co_u32 v111, s5, v111, s8
	v_pk_min_f16 v64, v22, v19
	v_pk_min_f16 v60, v18, v15
	;; [unrolled: 1-line block ×8, first 2 shown]
	v_add_co_ci_u32_e64 v112, s5, s9, v112, s5
	s_add_i32 s21, s21, 8
	s_waitcnt vmcnt(0)
	ds_store_b16 v79, v117
	ds_store_b16 v79, v119 offset:512
	ds_store_b16 v79, v118 offset:1024
	;; [unrolled: 1-line block ×3, first 2 shown]
	ds_store_b16 v107, v120
	s_cmp_ge_i32 s21, s20
	s_waitcnt lgkmcnt(0)
	s_barrier
	buffer_gl0_inv
	s_cbranch_scc1 .LBB211_52
.LBB211_32:                             ; =>This Inner Loop Header: Depth=1
	v_dual_mov_b32 v119, 0x7c00 :: v_dual_add_nc_u32 v118, s21, v40
	v_mov_b32_e32 v120, 0x7c00
	s_delay_alu instid0(VALU_DEP_2) | instskip(NEXT) | instid1(VALU_DEP_1)
	v_add_nc_u32_e32 v0, 8, v118
	v_cmp_le_i32_e64 s5, s18, v0
	s_delay_alu instid0(VALU_DEP_1) | instskip(NEXT) | instid1(SALU_CYCLE_1)
	s_or_b32 s6, vcc_lo, s5
	s_xor_b32 s6, s6, -1
	s_delay_alu instid0(SALU_CYCLE_1)
	s_and_saveexec_b32 s22, s6
	s_cbranch_execz .LBB211_34
; %bb.33:                               ;   in Loop: Header=BB211_32 Depth=1
	v_add_co_u32 v0, s6, v111, v34
	s_delay_alu instid0(VALU_DEP_1)
	v_add_co_ci_u32_e64 v1, s6, v112, v35, s6
	flat_load_u16 v120, v[0:1]
.LBB211_34:                             ;   in Loop: Header=BB211_32 Depth=1
	s_or_b32 exec_lo, exec_lo, s22
	s_or_b32 s6, s2, s5
	s_delay_alu instid0(SALU_CYCLE_1) | instskip(NEXT) | instid1(SALU_CYCLE_1)
	s_xor_b32 s6, s6, -1
	s_and_saveexec_b32 s22, s6
	s_cbranch_execz .LBB211_36
; %bb.35:                               ;   in Loop: Header=BB211_32 Depth=1
	v_add_co_u32 v0, s6, v111, v34
	s_delay_alu instid0(VALU_DEP_1)
	v_add_co_ci_u32_e64 v1, s6, v112, v35, s6
	flat_load_u16 v119, v[0:1] offset:128
.LBB211_36:                             ;   in Loop: Header=BB211_32 Depth=1
	s_or_b32 exec_lo, exec_lo, s22
	v_mov_b32_e32 v121, 0x7c00
	v_mov_b32_e32 v123, 0x7c00
	s_or_b32 s6, s3, s5
	s_delay_alu instid0(SALU_CYCLE_1) | instskip(NEXT) | instid1(SALU_CYCLE_1)
	s_xor_b32 s6, s6, -1
	s_and_saveexec_b32 s22, s6
	s_cbranch_execz .LBB211_38
; %bb.37:                               ;   in Loop: Header=BB211_32 Depth=1
	v_add_co_u32 v0, s6, v111, v34
	s_delay_alu instid0(VALU_DEP_1)
	v_add_co_ci_u32_e64 v1, s6, v112, v35, s6
	flat_load_u16 v123, v[0:1] offset:256
.LBB211_38:                             ;   in Loop: Header=BB211_32 Depth=1
	s_or_b32 exec_lo, exec_lo, s22
	s_or_b32 s5, s4, s5
	s_delay_alu instid0(SALU_CYCLE_1) | instskip(NEXT) | instid1(SALU_CYCLE_1)
	s_xor_b32 s5, s5, -1
	s_and_saveexec_b32 s6, s5
	s_cbranch_execz .LBB211_40
; %bb.39:                               ;   in Loop: Header=BB211_32 Depth=1
	v_add_co_u32 v0, s5, v111, v34
	s_delay_alu instid0(VALU_DEP_1)
	v_add_co_ci_u32_e64 v1, s5, v112, v35, s5
	flat_load_u16 v121, v[0:1] offset:384
.LBB211_40:                             ;   in Loop: Header=BB211_32 Depth=1
	s_or_b32 exec_lo, exec_lo, s6
	v_dual_mov_b32 v117, 0x7c00 :: v_dual_add_nc_u32 v122, s21, v43
	v_mov_b32_e32 v124, 0x7c00
	s_delay_alu instid0(VALU_DEP_2) | instskip(NEXT) | instid1(VALU_DEP_1)
	v_add_nc_u32_e32 v0, 8, v122
	v_cmp_gt_i32_e64 s5, s18, v0
	s_delay_alu instid0(VALU_DEP_1) | instskip(NEXT) | instid1(SALU_CYCLE_1)
	s_and_b32 s5, s5, s14
	s_and_saveexec_b32 s6, s5
	s_cbranch_execz .LBB211_42
; %bb.41:                               ;   in Loop: Header=BB211_32 Depth=1
	v_add_co_u32 v0, s5, -8, v32
	s_delay_alu instid0(VALU_DEP_1)
	v_add_co_ci_u32_e64 v1, s5, -1, v33, s5
	flat_load_u16 v124, v[0:1]
.LBB211_42:                             ;   in Loop: Header=BB211_32 Depth=1
	s_or_b32 exec_lo, exec_lo, s6
	ds_load_2addr_b64 v[12:15], v108 offset1:32
	ds_load_2addr_b64 v[8:11], v108 offset0:64 offset1:96
	ds_load_2addr_b64 v[4:7], v108 offset0:128 offset1:160
	;; [unrolled: 1-line block ×3, first 2 shown]
	ds_load_2addr_b64 v[28:31], v109 offset1:8
	ds_load_2addr_b64 v[24:27], v109 offset0:16 offset1:24
	ds_load_2addr_b64 v[20:23], v109 offset0:32 offset1:40
	;; [unrolled: 1-line block ×3, first 2 shown]
	v_add_nc_u32_e32 v118, 12, v118
	s_waitcnt vmcnt(0) lgkmcnt(8)
	ds_store_b16 v44, v120
	ds_store_b16 v44, v119 offset:512
	ds_store_b16 v44, v123 offset:1024
	;; [unrolled: 1-line block ×3, first 2 shown]
	ds_store_b16 v47, v124
	s_waitcnt lgkmcnt(0)
	s_barrier
	buffer_gl0_inv
	v_cmp_le_i32_e64 s5, s18, v118
	s_delay_alu instid0(VALU_DEP_1) | instskip(NEXT) | instid1(SALU_CYCLE_1)
	s_or_b32 s6, vcc_lo, s5
	s_xor_b32 s6, s6, -1
	s_delay_alu instid0(SALU_CYCLE_1) | instskip(NEXT) | instid1(SALU_CYCLE_1)
	s_and_saveexec_b32 s22, s6
	s_xor_b32 s22, exec_lo, s22
	s_cbranch_execz .LBB211_44
; %bb.43:                               ;   in Loop: Header=BB211_32 Depth=1
	v_add_co_u32 v117, s6, v111, v36
	s_delay_alu instid0(VALU_DEP_1)
	v_add_co_ci_u32_e64 v118, s6, v112, v37, s6
	flat_load_u16 v117, v[117:118]
.LBB211_44:                             ;   in Loop: Header=BB211_32 Depth=1
	s_or_b32 exec_lo, exec_lo, s22
	v_dual_mov_b32 v118, 0x7c00 :: v_dual_mov_b32 v119, 0x7c00
	s_or_b32 s6, s2, s5
	s_delay_alu instid0(SALU_CYCLE_1) | instskip(NEXT) | instid1(SALU_CYCLE_1)
	s_xor_b32 s6, s6, -1
	s_and_saveexec_b32 s22, s6
	s_cbranch_execz .LBB211_46
; %bb.45:                               ;   in Loop: Header=BB211_32 Depth=1
	v_add_co_u32 v119, s6, v111, v36
	s_delay_alu instid0(VALU_DEP_1)
	v_add_co_ci_u32_e64 v120, s6, v112, v37, s6
	flat_load_u16 v119, v[119:120] offset:128
.LBB211_46:                             ;   in Loop: Header=BB211_32 Depth=1
	s_or_b32 exec_lo, exec_lo, s22
	s_or_b32 s6, s3, s5
	s_delay_alu instid0(SALU_CYCLE_1) | instskip(NEXT) | instid1(SALU_CYCLE_1)
	s_xor_b32 s6, s6, -1
	s_and_saveexec_b32 s22, s6
	s_cbranch_execz .LBB211_48
; %bb.47:                               ;   in Loop: Header=BB211_32 Depth=1
	v_add_co_u32 v120, s6, v111, v36
	s_delay_alu instid0(VALU_DEP_1)
	v_add_co_ci_u32_e64 v121, s6, v112, v37, s6
	flat_load_u16 v118, v[120:121] offset:256
.LBB211_48:                             ;   in Loop: Header=BB211_32 Depth=1
	s_or_b32 exec_lo, exec_lo, s22
	v_dual_mov_b32 v120, 0x7c00 :: v_dual_mov_b32 v121, 0x7c00
	s_or_b32 s5, s4, s5
	s_delay_alu instid0(SALU_CYCLE_1) | instskip(NEXT) | instid1(SALU_CYCLE_1)
	s_xor_b32 s5, s5, -1
	s_and_saveexec_b32 s6, s5
	s_cbranch_execz .LBB211_50
; %bb.49:                               ;   in Loop: Header=BB211_32 Depth=1
	v_add_co_u32 v123, s5, v111, v36
	s_delay_alu instid0(VALU_DEP_1)
	v_add_co_ci_u32_e64 v124, s5, v112, v37, s5
	flat_load_u16 v121, v[123:124] offset:384
.LBB211_50:                             ;   in Loop: Header=BB211_32 Depth=1
	s_or_b32 exec_lo, exec_lo, s6
	v_pk_add_f16 v123, v12, v28
	v_pk_max_f16 v116, v116, v116
	v_pk_add_f16 v124, v14, v28
	v_pk_max_f16 v115, v115, v115
	;; [unrolled: 2-line block ×4, first 2 shown]
	v_pk_min_f16 v116, v116, v123
	v_pk_min_f16 v115, v115, v124
	;; [unrolled: 1-line block ×3, first 2 shown]
	v_pk_add_f16 v123, v4, v28
	v_pk_max_f16 v110, v110, v110
	v_pk_add_f16 v124, v6, v28
	v_pk_max_f16 v45, v45, v45
	v_pk_add_f16 v125, v0, v28
	v_pk_add_f16 v28, v2, v28
	v_pk_max_f16 v106, v106, v106
	v_pk_min_f16 v113, v113, v126
	v_pk_max_f16 v46, v46, v46
	v_pk_add_f16 v126, v12, v30
	v_pk_max_f16 v105, v105, v105
	v_pk_min_f16 v110, v110, v123
	v_pk_min_f16 v45, v45, v124
	v_pk_min_f16 v28, v106, v28
	v_pk_add_f16 v106, v14, v30
	v_pk_max_f16 v104, v104, v104
	v_pk_add_f16 v123, v8, v30
	v_pk_max_f16 v103, v103, v103
	;; [unrolled: 2-line block ×3, first 2 shown]
	v_pk_min_f16 v46, v46, v125
	v_pk_min_f16 v105, v105, v126
	v_pk_add_f16 v125, v4, v30
	v_pk_max_f16 v101, v101, v101
	v_pk_add_f16 v126, v6, v30
	v_pk_min_f16 v104, v104, v106
	v_pk_min_f16 v103, v103, v123
	;; [unrolled: 1-line block ×3, first 2 shown]
	v_pk_add_f16 v106, v0, v30
	v_pk_max_f16 v99, v99, v99
	v_pk_add_f16 v30, v2, v30
	v_pk_max_f16 v98, v98, v98
	;; [unrolled: 2-line block ×4, first 2 shown]
	v_pk_min_f16 v101, v101, v125
	v_pk_add_f16 v125, v8, v24
	v_pk_min_f16 v99, v99, v106
	v_pk_min_f16 v30, v98, v30
	;; [unrolled: 1-line block ×4, first 2 shown]
	v_pk_add_f16 v98, v10, v24
	v_pk_max_f16 v94, v94, v94
	v_pk_add_f16 v106, v4, v24
	v_pk_max_f16 v93, v93, v93
	v_pk_add_f16 v123, v6, v24
	v_pk_add_f16 v124, v0, v24
	;; [unrolled: 1-line block ×3, first 2 shown]
	v_pk_max_f16 v90, v90, v90
	v_pk_max_f16 v92, v92, v92
	v_pk_min_f16 v94, v94, v98
	v_pk_min_f16 v93, v93, v106
	v_pk_max_f16 v89, v89, v89
	v_pk_min_f16 v24, v90, v24
	v_pk_add_f16 v90, v12, v26
	v_pk_add_f16 v98, v14, v26
	v_pk_max_f16 v88, v88, v88
	v_pk_add_f16 v106, v8, v26
	v_pk_max_f16 v87, v87, v87
	v_pk_max_f16 v91, v91, v91
	v_pk_min_f16 v92, v92, v123
	v_pk_add_f16 v123, v10, v26
	v_pk_max_f16 v86, v86, v86
	v_pk_min_f16 v89, v89, v90
	v_pk_min_f16 v88, v88, v98
	;; [unrolled: 1-line block ×3, first 2 shown]
	v_pk_add_f16 v90, v6, v26
	v_pk_max_f16 v84, v84, v84
	v_pk_add_f16 v98, v0, v26
	v_pk_max_f16 v83, v83, v83
	v_pk_add_f16 v106, v12, v20
	v_pk_max_f16 v81, v81, v81
	v_pk_max_f16 v95, v95, v95
	v_pk_min_f16 v91, v91, v124
	v_pk_add_f16 v124, v4, v26
	v_pk_min_f16 v86, v86, v123
	v_pk_add_f16 v26, v2, v26
	v_pk_max_f16 v82, v82, v82
	v_pk_add_f16 v123, v14, v20
	v_pk_max_f16 v80, v80, v80
	v_pk_min_f16 v84, v84, v90
	v_pk_min_f16 v90, v83, v98
	;; [unrolled: 1-line block ×3, first 2 shown]
	v_pk_add_f16 v81, v10, v20
	v_pk_max_f16 v77, v77, v77
	v_pk_max_f16 v100, v100, v100
	v_pk_min_f16 v95, v95, v125
	v_pk_min_f16 v26, v82, v26
	v_pk_min_f16 v106, v80, v123
	v_pk_add_f16 v82, v4, v20
	v_pk_max_f16 v76, v76, v76
	v_pk_add_f16 v83, v6, v20
	v_pk_max_f16 v75, v75, v75
	;; [unrolled: 2-line block ×3, first 2 shown]
	v_pk_min_f16 v125, v77, v81
	v_pk_add_f16 v77, v10, v22
	v_pk_max_f16 v68, v68, v68
	v_pk_min_f16 v100, v100, v126
	v_pk_min_f16 v126, v76, v82
	;; [unrolled: 1-line block ×4, first 2 shown]
	v_pk_add_f16 v74, v12, v22
	v_pk_max_f16 v72, v72, v72
	v_pk_add_f16 v75, v14, v22
	v_pk_max_f16 v70, v70, v70
	;; [unrolled: 2-line block ×3, first 2 shown]
	v_pk_min_f16 v131, v68, v77
	v_pk_add_f16 v68, v4, v22
	v_pk_max_f16 v67, v67, v67
	v_pk_min_f16 v128, v72, v74
	v_pk_min_f16 v129, v70, v75
	;; [unrolled: 1-line block ×3, first 2 shown]
	v_pk_add_f16 v69, v6, v22
	v_pk_max_f16 v66, v66, v66
	v_pk_add_f16 v70, v0, v22
	v_pk_max_f16 v65, v65, v65
	;; [unrolled: 2-line block ×4, first 2 shown]
	v_pk_min_f16 v132, v67, v68
	v_pk_add_f16 v67, v6, v16
	v_pk_max_f16 v58, v58, v58
	v_pk_add_f16 v80, v8, v20
	v_pk_min_f16 v133, v66, v69
	v_pk_min_f16 v134, v65, v70
	;; [unrolled: 1-line block ×4, first 2 shown]
	v_pk_add_f16 v63, v14, v16
	v_pk_add_f16 v64, v8, v16
	;; [unrolled: 1-line block ×4, first 2 shown]
	v_pk_min_f16 v140, v58, v67
	v_pk_add_f16 v58, v0, v16
	v_pk_add_f16 v16, v2, v16
	v_pk_max_f16 v56, v56, v56
	v_pk_add_f16 v12, v12, v18
	v_pk_max_f16 v55, v55, v55
	;; [unrolled: 2-line block ×3, first 2 shown]
	v_pk_min_f16 v142, v56, v16
	v_pk_add_f16 v4, v4, v18
	v_pk_min_f16 v143, v55, v12
	v_pk_max_f16 v12, v51, v51
	v_pk_min_f16 v145, v53, v8
	v_pk_add_f16 v8, v10, v18
	v_pk_max_f16 v10, v52, v52
	v_pk_add_f16 v0, v0, v18
	v_pk_max_f16 v16, v49, v49
	v_pk_add_f16 v20, v2, v20
	v_pk_add_f16 v14, v14, v18
	v_pk_add_f16 v6, v6, v18
	v_pk_add_f16 v2, v2, v18
	v_pk_max_f16 v18, v48, v48
	v_pk_max_f16 v85, v85, v85
	;; [unrolled: 1-line block ×3, first 2 shown]
	v_pk_min_f16 v146, v10, v8
	v_pk_min_f16 v147, v12, v4
	;; [unrolled: 1-line block ×3, first 2 shown]
	v_pk_add_f16 v0, v13, v29
	v_pk_add_f16 v4, v9, v29
	;; [unrolled: 1-line block ×3, first 2 shown]
	v_pk_max_f16 v54, v54, v54
	v_pk_min_f16 v150, v18, v2
	v_pk_add_f16 v2, v15, v29
	v_pk_min_f16 v85, v85, v124
	v_pk_min_f16 v124, v78, v80
	;; [unrolled: 1-line block ×5, first 2 shown]
	v_pk_add_f16 v0, v7, v29
	v_pk_add_f16 v4, v3, v29
	;; [unrolled: 1-line block ×3, first 2 shown]
	v_pk_min_f16 v144, v54, v14
	v_pk_max_f16 v14, v50, v50
	v_pk_min_f16 v81, v115, v2
	v_pk_add_f16 v2, v1, v29
	v_pk_max_f16 v62, v62, v62
	v_pk_min_f16 v82, v45, v0
	v_pk_min_f16 v75, v28, v4
	;; [unrolled: 1-line block ×3, first 2 shown]
	v_pk_add_f16 v0, v9, v31
	v_pk_add_f16 v4, v5, v31
	;; [unrolled: 1-line block ×3, first 2 shown]
	v_pk_max_f16 v73, v73, v73
	v_pk_min_f16 v148, v14, v6
	v_pk_add_f16 v6, v11, v29
	v_pk_min_f16 v80, v46, v2
	v_pk_add_f16 v2, v11, v31
	v_pk_max_f16 v59, v59, v59
	v_pk_min_f16 v136, v62, v63
	v_pk_max_f16 v57, v57, v57
	v_pk_min_f16 v74, v103, v0
	v_pk_min_f16 v72, v101, v4
	;; [unrolled: 1-line block ×3, first 2 shown]
	v_pk_add_f16 v0, v3, v31
	v_pk_add_f16 v4, v15, v25
	;; [unrolled: 1-line block ×3, first 2 shown]
	v_pk_min_f16 v20, v73, v20
	v_pk_min_f16 v77, v113, v6
	v_pk_add_f16 v6, v13, v31
	v_pk_min_f16 v73, v102, v2
	v_pk_add_f16 v2, v13, v25
	v_pk_max_f16 v61, v61, v61
	v_pk_max_f16 v60, v60, v60
	v_pk_min_f16 v139, v59, v66
	v_pk_min_f16 v141, v57, v58
	;; [unrolled: 1-line block ×5, first 2 shown]
	v_pk_add_f16 v0, v5, v25
	v_pk_add_f16 v4, v1, v25
	;; [unrolled: 1-line block ×3, first 2 shown]
	v_pk_min_f16 v69, v105, v6
	v_pk_add_f16 v6, v7, v31
	v_pk_min_f16 v68, v97, v2
	v_pk_add_f16 v2, v7, v25
	v_pk_min_f16 v137, v61, v64
	v_pk_min_f16 v138, v60, v65
	;; [unrolled: 1-line block ×5, first 2 shown]
	v_pk_add_f16 v0, v15, v27
	v_pk_add_f16 v4, v11, v27
	v_pk_add_f16 v8, v7, v27
	v_pk_min_f16 v64, v100, v6
	v_pk_add_f16 v6, v9, v25
	v_pk_min_f16 v63, v92, v2
	v_pk_add_f16 v2, v9, v27
	v_pk_min_f16 v60, v88, v0
	v_pk_min_f16 v56, v86, v4
	v_pk_min_f16 v46, v84, v8
	v_pk_add_f16 v0, v1, v27
	v_pk_add_f16 v4, v13, v21
	v_pk_add_f16 v8, v9, v21
	v_pk_min_f16 v59, v95, v6
	v_pk_add_f16 v6, v3, v25
	v_pk_min_f16 v58, v87, v2
	v_pk_add_f16 v2, v3, v27
	v_pk_min_f16 v55, v90, v0
	v_pk_min_f16 v51, v98, v4
	v_pk_min_f16 v28, v124, v8
	v_pk_add_f16 v0, v11, v21
	v_pk_add_f16 v4, v7, v21
	v_pk_add_f16 v8, v3, v21
	v_pk_min_f16 v54, v24, v6
	v_pk_add_f16 v6, v5, v27
	v_pk_min_f16 v53, v26, v2
	v_pk_add_f16 v2, v5, v21
	v_pk_min_f16 v50, v125, v0
	v_pk_min_f16 v45, v127, v4
	v_pk_min_f16 v24, v20, v8
	v_pk_add_f16 v0, v13, v23
	v_pk_add_f16 v4, v9, v23
	v_pk_add_f16 v8, v5, v23
	v_pk_min_f16 v49, v85, v6
	v_pk_add_f16 v6, v15, v21
	v_pk_min_f16 v48, v126, v2
	v_pk_add_f16 v2, v15, v23
	v_pk_min_f16 v31, v128, v0
	v_pk_min_f16 v27, v130, v4
	v_pk_min_f16 v16, v132, v8
	v_pk_add_f16 v0, v7, v23
	v_pk_add_f16 v4, v3, v23
	v_pk_add_f16 v8, v15, v17
	v_pk_min_f16 v30, v106, v6
	v_pk_add_f16 v6, v1, v21
	v_pk_min_f16 v29, v129, v2
	v_pk_add_f16 v2, v1, v23
	v_pk_min_f16 v26, v133, v0
	v_pk_min_f16 v22, v22, v4
	v_pk_min_f16 v10, v136, v8
	v_pk_add_f16 v0, v9, v17
	v_pk_add_f16 v4, v5, v17
	v_pk_add_f16 v8, v1, v17
	v_pk_min_f16 v25, v123, v6
	v_pk_add_f16 v6, v11, v23
	v_pk_min_f16 v23, v134, v2
	v_pk_add_f16 v2, v11, v17
	v_pk_min_f16 v21, v137, v0
	v_pk_min_f16 v14, v139, v4
	v_pk_min_f16 v4, v141, v8
	v_pk_add_f16 v0, v3, v17
	v_pk_add_f16 v8, v15, v19
	;; [unrolled: 1-line block ×3, first 2 shown]
	v_pk_min_f16 v20, v131, v6
	v_pk_add_f16 v6, v13, v17
	v_pk_min_f16 v18, v138, v2
	v_pk_add_f16 v2, v13, v19
	v_pk_add_f16 v13, v9, v19
	v_pk_min_f16 v11, v142, v0
	v_pk_min_f16 v0, v146, v15
	v_add_nc_u32_e32 v15, 12, v122
	v_pk_min_f16 v12, v135, v6
	v_pk_add_f16 v6, v7, v17
	v_pk_min_f16 v9, v143, v2
	v_pk_min_f16 v2, v145, v13
	v_pk_add_f16 v5, v5, v19
	v_pk_add_f16 v13, v7, v19
	;; [unrolled: 1-line block ×4, first 2 shown]
	v_cmp_gt_i32_e64 s5, s18, v15
	v_pk_min_f16 v6, v140, v6
	v_pk_min_f16 v8, v144, v8
	;; [unrolled: 1-line block ×6, first 2 shown]
	s_and_b32 s6, s5, s14
	s_delay_alu instid0(SALU_CYCLE_1)
	s_and_saveexec_b32 s5, s6
	s_cbranch_execz .LBB211_31
; %bb.51:                               ;   in Loop: Header=BB211_32 Depth=1
	flat_load_u16 v120, v[32:33]
	s_branch .LBB211_31
.LBB211_52:
	s_clause 0x2
	s_load_b32 s14, s[0:1], 0x50
	s_load_b32 s9, s[0:1], 0x68
	s_load_b64 s[2:3], s[0:1], 0x70
	v_add_nc_u32_e32 v0, 0x800, v42
	v_add_nc_u32_e32 v79, s24, v39
	;; [unrolled: 1-line block ×4, first 2 shown]
	ds_load_2addr_b64 v[16:19], v0 offset1:32
	ds_load_2addr_b64 v[12:15], v0 offset0:64 offset1:96
	ds_load_2addr_b64 v[8:11], v0 offset0:128 offset1:160
	ds_load_2addr_b64 v[0:3], v0 offset0:192 offset1:224
	ds_load_2addr_b64 v[28:31], v4 offset0:64 offset1:72
	ds_load_2addr_b64 v[24:27], v4 offset0:80 offset1:88
	ds_load_2addr_b64 v[20:23], v4 offset0:96 offset1:104
	ds_load_2addr_b64 v[4:7], v4 offset0:112 offset1:120
	v_cmp_gt_i32_e64 s0, s16, v32
	v_cmp_gt_i32_e64 s8, s17, v79
	v_ashrrev_i32_e32 v33, 31, v32
	v_cndmask_b32_e64 v71, 0, 1, s19
	s_waitcnt lgkmcnt(0)
	v_mad_i64_i32 v[34:35], null, v79, s14, 0
	v_mad_i64_i32 v[36:37], null, v79, s9, 0
	s_lshl_b64 s[2:3], s[2:3], 1
	s_delay_alu instid0(SALU_CYCLE_1) | instskip(SKIP_1) | instid1(VALU_DEP_2)
	s_add_u32 s12, s12, s2
	s_addc_u32 s13, s13, s3
	v_lshlrev_b64 v[34:35], 1, v[34:35]
	s_and_b32 s1, s0, s8
	s_delay_alu instid0(VALU_DEP_2) | instskip(NEXT) | instid1(VALU_DEP_2)
	v_lshlrev_b64 v[36:37], 1, v[36:37]
	v_add_co_u32 v109, vcc_lo, s10, v34
	s_delay_alu instid0(VALU_DEP_3) | instskip(NEXT) | instid1(VALU_DEP_3)
	v_add_co_ci_u32_e32 v111, vcc_lo, s11, v35, vcc_lo
	v_add_co_u32 v107, vcc_lo, s12, v36
	s_delay_alu instid0(VALU_DEP_4) | instskip(SKIP_1) | instid1(SALU_CYCLE_1)
	v_add_co_ci_u32_e32 v108, vcc_lo, s13, v37, vcc_lo
	s_and_saveexec_b32 s2, s1
	s_xor_b32 s1, exec_lo, s2
	s_cbranch_execz .LBB211_57
; %bb.53:
	s_and_not1_b32 vcc_lo, exec_lo, s19
	s_cbranch_vccnz .LBB211_55
; %bb.54:
	v_lshlrev_b64 v[34:35], 1, v[32:33]
	s_delay_alu instid0(VALU_DEP_1) | instskip(NEXT) | instid1(VALU_DEP_2)
	v_add_co_u32 v34, vcc_lo, v109, v34
	v_add_co_ci_u32_e32 v35, vcc_lo, v111, v35, vcc_lo
	flat_load_u16 v34, v[34:35]
	s_waitcnt vmcnt(0) lgkmcnt(0)
	v_mul_f16_e32 v34, s15, v34
	s_branch .LBB211_56
.LBB211_55:
	v_mov_b32_e32 v34, 0
.LBB211_56:
	v_pk_add_f16 v35, v16, v28
	v_pk_max_f16 v36, v116, v116
	v_pk_add_f16 v37, v17, v29
	s_delay_alu instid0(VALU_DEP_2) | instskip(NEXT) | instid1(VALU_DEP_1)
	v_pk_min_f16 v35, v36, v35
	v_pk_min_f16 v37, v35, v37
	v_lshlrev_b64 v[35:36], 1, v[32:33]
	s_delay_alu instid0(VALU_DEP_2) | instskip(NEXT) | instid1(VALU_DEP_1)
	v_lshrrev_b32_e32 v38, 16, v37
	v_min3_f16 v37, v34, v37, v38
	s_delay_alu instid0(VALU_DEP_3) | instskip(NEXT) | instid1(VALU_DEP_4)
	v_add_co_u32 v34, vcc_lo, v107, v35
	v_add_co_ci_u32_e32 v35, vcc_lo, v108, v36, vcc_lo
	global_store_b16 v[34:35], v37, off
.LBB211_57:
	s_or_b32 exec_lo, exec_lo, s1
	v_add_nc_u32_e32 v34, 32, v32
	s_delay_alu instid0(VALU_DEP_1) | instskip(SKIP_1) | instid1(VALU_DEP_2)
	v_cmp_gt_i32_e64 s1, s16, v34
	v_ashrrev_i32_e32 v35, 31, v34
	s_and_b32 s3, s1, s8
	s_delay_alu instid0(SALU_CYCLE_1)
	s_and_saveexec_b32 s2, s3
	s_cbranch_execz .LBB211_62
; %bb.58:
	v_cmp_ne_u32_e32 vcc_lo, 1, v71
	s_cbranch_vccnz .LBB211_60
; %bb.59:
	v_lshlrev_b64 v[36:37], 1, v[34:35]
	s_delay_alu instid0(VALU_DEP_1) | instskip(NEXT) | instid1(VALU_DEP_2)
	v_add_co_u32 v36, vcc_lo, v109, v36
	v_add_co_ci_u32_e32 v37, vcc_lo, v111, v37, vcc_lo
	flat_load_u16 v36, v[36:37]
	s_waitcnt vmcnt(0) lgkmcnt(0)
	v_mul_f16_e32 v36, s15, v36
	s_branch .LBB211_61
.LBB211_60:
	v_mov_b32_e32 v36, 0
.LBB211_61:
	v_pk_add_f16 v37, v18, v28
	v_pk_max_f16 v38, v115, v115
	v_pk_add_f16 v39, v19, v29
	s_delay_alu instid0(VALU_DEP_2) | instskip(NEXT) | instid1(VALU_DEP_1)
	v_pk_min_f16 v37, v38, v37
	v_pk_min_f16 v39, v37, v39
	v_lshlrev_b64 v[37:38], 1, v[34:35]
	s_delay_alu instid0(VALU_DEP_2) | instskip(NEXT) | instid1(VALU_DEP_1)
	v_lshrrev_b32_e32 v40, 16, v39
	v_min3_f16 v39, v36, v39, v40
	s_delay_alu instid0(VALU_DEP_3) | instskip(NEXT) | instid1(VALU_DEP_4)
	v_add_co_u32 v36, vcc_lo, v107, v37
	v_add_co_ci_u32_e32 v37, vcc_lo, v108, v38, vcc_lo
	global_store_b16 v[36:37], v39, off
.LBB211_62:
	s_or_b32 exec_lo, exec_lo, s2
	v_add_nc_u32_e32 v36, 64, v32
	s_delay_alu instid0(VALU_DEP_1) | instskip(SKIP_1) | instid1(VALU_DEP_2)
	v_cmp_gt_i32_e64 s2, s16, v36
	v_ashrrev_i32_e32 v37, 31, v36
	s_and_b32 s4, s2, s8
	s_delay_alu instid0(SALU_CYCLE_1)
	s_and_saveexec_b32 s3, s4
	s_cbranch_execz .LBB211_67
; %bb.63:
	v_cmp_ne_u32_e32 vcc_lo, 1, v71
	s_cbranch_vccnz .LBB211_65
; %bb.64:
	v_lshlrev_b64 v[38:39], 1, v[36:37]
	s_delay_alu instid0(VALU_DEP_1) | instskip(NEXT) | instid1(VALU_DEP_2)
	v_add_co_u32 v38, vcc_lo, v109, v38
	v_add_co_ci_u32_e32 v39, vcc_lo, v111, v39, vcc_lo
	flat_load_u16 v38, v[38:39]
	s_waitcnt vmcnt(0) lgkmcnt(0)
	v_mul_f16_e32 v38, s15, v38
	s_branch .LBB211_66
.LBB211_65:
	v_mov_b32_e32 v38, 0
.LBB211_66:
	v_pk_add_f16 v39, v12, v28
	v_pk_max_f16 v40, v114, v114
	v_pk_add_f16 v41, v13, v29
	s_delay_alu instid0(VALU_DEP_2) | instskip(NEXT) | instid1(VALU_DEP_1)
	v_pk_min_f16 v39, v40, v39
	v_pk_min_f16 v41, v39, v41
	v_lshlrev_b64 v[39:40], 1, v[36:37]
	s_delay_alu instid0(VALU_DEP_2) | instskip(NEXT) | instid1(VALU_DEP_1)
	v_lshrrev_b32_e32 v42, 16, v41
	v_min3_f16 v41, v38, v41, v42
	s_delay_alu instid0(VALU_DEP_3) | instskip(NEXT) | instid1(VALU_DEP_4)
	v_add_co_u32 v38, vcc_lo, v107, v39
	v_add_co_ci_u32_e32 v39, vcc_lo, v108, v40, vcc_lo
	global_store_b16 v[38:39], v41, off
.LBB211_67:
	s_or_b32 exec_lo, exec_lo, s3
	v_add_nc_u32_e32 v38, 0x60, v32
	s_delay_alu instid0(VALU_DEP_1) | instskip(SKIP_1) | instid1(VALU_DEP_2)
	v_cmp_gt_i32_e64 s3, s16, v38
	v_ashrrev_i32_e32 v39, 31, v38
	s_and_b32 s5, s3, s8
	s_delay_alu instid0(SALU_CYCLE_1)
	s_and_saveexec_b32 s4, s5
	s_cbranch_execz .LBB211_72
; %bb.68:
	v_cmp_ne_u32_e32 vcc_lo, 1, v71
	s_cbranch_vccnz .LBB211_70
; %bb.69:
	v_lshlrev_b64 v[40:41], 1, v[38:39]
	s_delay_alu instid0(VALU_DEP_1) | instskip(NEXT) | instid1(VALU_DEP_2)
	v_add_co_u32 v40, vcc_lo, v109, v40
	v_add_co_ci_u32_e32 v41, vcc_lo, v111, v41, vcc_lo
	flat_load_u16 v40, v[40:41]
	s_waitcnt vmcnt(0) lgkmcnt(0)
	v_mul_f16_e32 v40, s15, v40
	s_branch .LBB211_71
.LBB211_70:
	v_mov_b32_e32 v40, 0
.LBB211_71:
	v_pk_add_f16 v41, v14, v28
	v_pk_max_f16 v42, v113, v113
	v_pk_add_f16 v43, v15, v29
	s_delay_alu instid0(VALU_DEP_2) | instskip(NEXT) | instid1(VALU_DEP_1)
	v_pk_min_f16 v41, v42, v41
	v_pk_min_f16 v43, v41, v43
	v_lshlrev_b64 v[41:42], 1, v[38:39]
	s_delay_alu instid0(VALU_DEP_2) | instskip(NEXT) | instid1(VALU_DEP_1)
	v_lshrrev_b32_e32 v44, 16, v43
	v_min3_f16 v43, v40, v43, v44
	s_delay_alu instid0(VALU_DEP_3) | instskip(NEXT) | instid1(VALU_DEP_4)
	v_add_co_u32 v40, vcc_lo, v107, v41
	v_add_co_ci_u32_e32 v41, vcc_lo, v108, v42, vcc_lo
	global_store_b16 v[40:41], v43, off
.LBB211_72:
	s_or_b32 exec_lo, exec_lo, s4
	v_add_nc_u32_e32 v40, 0x80, v32
	s_delay_alu instid0(VALU_DEP_1) | instskip(SKIP_1) | instid1(VALU_DEP_2)
	v_cmp_gt_i32_e64 s4, s16, v40
	v_ashrrev_i32_e32 v41, 31, v40
	s_and_b32 s6, s4, s8
	s_delay_alu instid0(SALU_CYCLE_1)
	s_and_saveexec_b32 s5, s6
	s_cbranch_execz .LBB211_77
; %bb.73:
	v_cmp_ne_u32_e32 vcc_lo, 1, v71
	s_cbranch_vccnz .LBB211_75
; %bb.74:
	v_lshlrev_b64 v[42:43], 1, v[40:41]
	s_delay_alu instid0(VALU_DEP_1) | instskip(NEXT) | instid1(VALU_DEP_2)
	v_add_co_u32 v42, vcc_lo, v109, v42
	v_add_co_ci_u32_e32 v43, vcc_lo, v111, v43, vcc_lo
	flat_load_u16 v42, v[42:43]
	s_waitcnt vmcnt(0) lgkmcnt(0)
	v_mul_f16_e32 v42, s15, v42
	s_branch .LBB211_76
.LBB211_75:
	v_mov_b32_e32 v42, 0
.LBB211_76:
	v_pk_add_f16 v43, v8, v28
	v_pk_max_f16 v44, v110, v110
	v_pk_add_f16 v47, v9, v29
	s_delay_alu instid0(VALU_DEP_2) | instskip(NEXT) | instid1(VALU_DEP_1)
	v_pk_min_f16 v43, v44, v43
	v_pk_min_f16 v47, v43, v47
	v_lshlrev_b64 v[43:44], 1, v[40:41]
	s_delay_alu instid0(VALU_DEP_2) | instskip(NEXT) | instid1(VALU_DEP_1)
	v_lshrrev_b32_e32 v110, 16, v47
	v_min3_f16 v47, v42, v47, v110
	s_delay_alu instid0(VALU_DEP_3) | instskip(NEXT) | instid1(VALU_DEP_4)
	v_add_co_u32 v42, vcc_lo, v107, v43
	v_add_co_ci_u32_e32 v43, vcc_lo, v108, v44, vcc_lo
	global_store_b16 v[42:43], v47, off
.LBB211_77:
	s_or_b32 exec_lo, exec_lo, s5
	v_add_nc_u32_e32 v42, 0xa0, v32
	s_delay_alu instid0(VALU_DEP_1) | instskip(SKIP_1) | instid1(VALU_DEP_2)
	v_cmp_gt_i32_e64 s5, s16, v42
	v_ashrrev_i32_e32 v43, 31, v42
	s_and_b32 s7, s5, s8
	s_delay_alu instid0(SALU_CYCLE_1)
	s_and_saveexec_b32 s6, s7
	s_cbranch_execz .LBB211_82
; %bb.78:
	v_cmp_ne_u32_e32 vcc_lo, 1, v71
	s_cbranch_vccnz .LBB211_80
; %bb.79:
	v_lshlrev_b64 v[112:113], 1, v[42:43]
	s_delay_alu instid0(VALU_DEP_1) | instskip(NEXT) | instid1(VALU_DEP_2)
	v_add_co_u32 v112, vcc_lo, v109, v112
	v_add_co_ci_u32_e32 v113, vcc_lo, v111, v113, vcc_lo
	flat_load_u16 v44, v[112:113]
	s_waitcnt vmcnt(0) lgkmcnt(0)
	v_mul_f16_e32 v44, s15, v44
	s_branch .LBB211_81
.LBB211_80:
	v_mov_b32_e32 v44, 0
.LBB211_81:
	v_pk_add_f16 v47, v10, v28
	v_pk_max_f16 v45, v45, v45
	v_pk_add_f16 v110, v11, v29
	v_lshlrev_b64 v[112:113], 1, v[42:43]
	s_delay_alu instid0(VALU_DEP_3) | instskip(NEXT) | instid1(VALU_DEP_1)
	v_pk_min_f16 v45, v45, v47
	v_pk_min_f16 v45, v45, v110
	s_delay_alu instid0(VALU_DEP_1) | instskip(NEXT) | instid1(VALU_DEP_1)
	v_lshrrev_b32_e32 v47, 16, v45
	v_min3_f16 v47, v44, v45, v47
	v_add_co_u32 v44, vcc_lo, v107, v112
	v_add_co_ci_u32_e32 v45, vcc_lo, v108, v113, vcc_lo
	global_store_b16 v[44:45], v47, off
.LBB211_82:
	s_or_b32 exec_lo, exec_lo, s6
	v_add_nc_u32_e32 v44, 0xc0, v32
	s_delay_alu instid0(VALU_DEP_1) | instskip(SKIP_1) | instid1(VALU_DEP_2)
	v_cmp_gt_i32_e64 s6, s16, v44
	v_ashrrev_i32_e32 v45, 31, v44
	s_and_b32 s18, s6, s8
	s_delay_alu instid0(SALU_CYCLE_1)
	s_and_saveexec_b32 s7, s18
	s_cbranch_execz .LBB211_87
; %bb.83:
	v_cmp_ne_u32_e32 vcc_lo, 1, v71
	s_cbranch_vccnz .LBB211_85
; %bb.84:
	v_lshlrev_b64 v[112:113], 1, v[44:45]
	s_delay_alu instid0(VALU_DEP_1) | instskip(NEXT) | instid1(VALU_DEP_2)
	v_add_co_u32 v112, vcc_lo, v109, v112
	v_add_co_ci_u32_e32 v113, vcc_lo, v111, v113, vcc_lo
	flat_load_u16 v47, v[112:113]
	s_waitcnt vmcnt(0) lgkmcnt(0)
	v_mul_f16_e32 v47, s15, v47
	s_branch .LBB211_86
.LBB211_85:
	v_mov_b32_e32 v47, 0
.LBB211_86:
	v_pk_add_f16 v110, v0, v28
	v_pk_max_f16 v46, v46, v46
	v_pk_add_f16 v112, v1, v29
	s_delay_alu instid0(VALU_DEP_2) | instskip(NEXT) | instid1(VALU_DEP_1)
	v_pk_min_f16 v46, v46, v110
	v_pk_min_f16 v46, v46, v112
	v_lshlrev_b64 v[112:113], 1, v[44:45]
	s_delay_alu instid0(VALU_DEP_2) | instskip(NEXT) | instid1(VALU_DEP_1)
	v_lshrrev_b32_e32 v110, 16, v46
	v_min3_f16 v110, v47, v46, v110
	s_delay_alu instid0(VALU_DEP_3) | instskip(NEXT) | instid1(VALU_DEP_4)
	v_add_co_u32 v46, vcc_lo, v107, v112
	v_add_co_ci_u32_e32 v47, vcc_lo, v108, v113, vcc_lo
	global_store_b16 v[46:47], v110, off
.LBB211_87:
	s_or_b32 exec_lo, exec_lo, s7
	v_add_nc_u32_e32 v46, 0xe0, v32
	s_delay_alu instid0(VALU_DEP_1) | instskip(SKIP_1) | instid1(VALU_DEP_2)
	v_cmp_gt_i32_e64 s7, s16, v46
	v_ashrrev_i32_e32 v47, 31, v46
	s_and_b32 s16, s7, s8
	s_delay_alu instid0(SALU_CYCLE_1)
	s_and_saveexec_b32 s8, s16
	s_cbranch_execz .LBB211_92
; %bb.88:
	v_cmp_ne_u32_e32 vcc_lo, 1, v71
	s_cbranch_vccnz .LBB211_90
; %bb.89:
	v_lshlrev_b64 v[112:113], 1, v[46:47]
	s_delay_alu instid0(VALU_DEP_1) | instskip(NEXT) | instid1(VALU_DEP_2)
	v_add_co_u32 v109, vcc_lo, v109, v112
	v_add_co_ci_u32_e32 v110, vcc_lo, v111, v113, vcc_lo
	flat_load_u16 v109, v[109:110]
	s_waitcnt vmcnt(0) lgkmcnt(0)
	v_mul_f16_e32 v109, s15, v109
	s_branch .LBB211_91
.LBB211_90:
	v_mov_b32_e32 v109, 0
.LBB211_91:
	v_pk_add_f16 v28, v2, v28
	v_pk_max_f16 v106, v106, v106
	v_pk_add_f16 v29, v3, v29
	s_delay_alu instid0(VALU_DEP_2) | instskip(NEXT) | instid1(VALU_DEP_1)
	v_pk_min_f16 v28, v106, v28
	v_pk_min_f16 v106, v28, v29
	v_lshlrev_b64 v[28:29], 1, v[46:47]
	s_delay_alu instid0(VALU_DEP_2) | instskip(NEXT) | instid1(VALU_DEP_2)
	v_lshrrev_b32_e32 v110, 16, v106
	v_add_co_u32 v28, vcc_lo, v107, v28
	s_delay_alu instid0(VALU_DEP_3) | instskip(NEXT) | instid1(VALU_DEP_3)
	v_add_co_ci_u32_e32 v29, vcc_lo, v108, v29, vcc_lo
	v_min3_f16 v106, v109, v106, v110
	global_store_b16 v[28:29], v106, off
.LBB211_92:
	s_or_b32 exec_lo, exec_lo, s8
	v_add_nc_u32_e32 v108, 8, v79
	s_delay_alu instid0(VALU_DEP_1) | instskip(SKIP_2) | instid1(VALU_DEP_3)
	v_mad_i64_i32 v[28:29], null, v108, s14, 0
	v_mad_i64_i32 v[106:107], null, v108, s9, 0
	v_cmp_gt_i32_e64 s8, s17, v108
	v_lshlrev_b64 v[28:29], 1, v[28:29]
	s_delay_alu instid0(VALU_DEP_2) | instskip(NEXT) | instid1(VALU_DEP_3)
	s_and_b32 s18, s0, s8
	v_lshlrev_b64 v[108:109], 1, v[106:107]
	s_delay_alu instid0(VALU_DEP_2) | instskip(NEXT) | instid1(VALU_DEP_3)
	v_add_co_u32 v106, vcc_lo, s10, v28
	v_add_co_ci_u32_e32 v107, vcc_lo, s11, v29, vcc_lo
	s_delay_alu instid0(VALU_DEP_3) | instskip(NEXT) | instid1(VALU_DEP_4)
	v_add_co_u32 v28, vcc_lo, s12, v108
	v_add_co_ci_u32_e32 v29, vcc_lo, s13, v109, vcc_lo
	s_and_saveexec_b32 s16, s18
	s_cbranch_execnz .LBB211_100
; %bb.93:
	s_or_b32 exec_lo, exec_lo, s16
	s_and_b32 s18, s1, s8
	s_delay_alu instid0(SALU_CYCLE_1)
	s_and_saveexec_b32 s16, s18
	s_cbranch_execnz .LBB211_104
.LBB211_94:
	s_or_b32 exec_lo, exec_lo, s16
	s_and_b32 s18, s2, s8
	s_delay_alu instid0(SALU_CYCLE_1)
	s_and_saveexec_b32 s16, s18
	s_cbranch_execnz .LBB211_108
.LBB211_95:
	s_or_b32 exec_lo, exec_lo, s16
	s_and_b32 s18, s3, s8
	s_delay_alu instid0(SALU_CYCLE_1)
	s_and_saveexec_b32 s16, s18
	s_cbranch_execnz .LBB211_112
.LBB211_96:
	s_or_b32 exec_lo, exec_lo, s16
	s_and_b32 s18, s4, s8
	s_delay_alu instid0(SALU_CYCLE_1)
	s_and_saveexec_b32 s16, s18
	s_cbranch_execnz .LBB211_116
.LBB211_97:
	s_or_b32 exec_lo, exec_lo, s16
	s_and_b32 s18, s5, s8
	s_delay_alu instid0(SALU_CYCLE_1)
	s_and_saveexec_b32 s16, s18
	s_cbranch_execnz .LBB211_120
.LBB211_98:
	s_or_b32 exec_lo, exec_lo, s16
	s_and_b32 s18, s6, s8
	s_delay_alu instid0(SALU_CYCLE_1)
	s_and_saveexec_b32 s16, s18
	s_cbranch_execnz .LBB211_124
.LBB211_99:
	s_or_b32 exec_lo, exec_lo, s16
	s_and_b32 s16, s7, s8
	s_delay_alu instid0(SALU_CYCLE_1)
	s_and_saveexec_b32 s8, s16
	s_cbranch_execnz .LBB211_128
	s_branch .LBB211_132
.LBB211_100:
	v_cmp_ne_u32_e32 vcc_lo, 1, v71
	s_cbranch_vccnz .LBB211_102
; %bb.101:
	v_lshlrev_b64 v[108:109], 1, v[32:33]
	s_delay_alu instid0(VALU_DEP_1) | instskip(NEXT) | instid1(VALU_DEP_2)
	v_add_co_u32 v108, vcc_lo, v106, v108
	v_add_co_ci_u32_e32 v109, vcc_lo, v107, v109, vcc_lo
	flat_load_u16 v108, v[108:109]
	s_waitcnt vmcnt(0) lgkmcnt(0)
	v_mul_f16_e32 v108, s15, v108
	s_branch .LBB211_103
.LBB211_102:
	v_mov_b32_e32 v108, 0
.LBB211_103:
	v_pk_add_f16 v109, v16, v30
	v_pk_max_f16 v105, v105, v105
	v_pk_add_f16 v110, v17, v31
	s_delay_alu instid0(VALU_DEP_2) | instskip(NEXT) | instid1(VALU_DEP_1)
	v_pk_min_f16 v105, v105, v109
	v_pk_min_f16 v105, v105, v110
	v_lshlrev_b64 v[109:110], 1, v[32:33]
	s_delay_alu instid0(VALU_DEP_2) | instskip(NEXT) | instid1(VALU_DEP_1)
	v_lshrrev_b32_e32 v111, 16, v105
	v_min3_f16 v105, v108, v105, v111
	s_delay_alu instid0(VALU_DEP_3) | instskip(NEXT) | instid1(VALU_DEP_4)
	v_add_co_u32 v108, vcc_lo, v28, v109
	v_add_co_ci_u32_e32 v109, vcc_lo, v29, v110, vcc_lo
	global_store_b16 v[108:109], v105, off
	s_or_b32 exec_lo, exec_lo, s16
	s_and_b32 s18, s1, s8
	s_delay_alu instid0(SALU_CYCLE_1)
	s_and_saveexec_b32 s16, s18
	s_cbranch_execz .LBB211_94
.LBB211_104:
	v_cmp_ne_u32_e32 vcc_lo, 1, v71
	s_cbranch_vccnz .LBB211_106
; %bb.105:
	v_lshlrev_b64 v[108:109], 1, v[34:35]
	s_delay_alu instid0(VALU_DEP_1) | instskip(NEXT) | instid1(VALU_DEP_2)
	v_add_co_u32 v108, vcc_lo, v106, v108
	v_add_co_ci_u32_e32 v109, vcc_lo, v107, v109, vcc_lo
	flat_load_u16 v105, v[108:109]
	s_waitcnt vmcnt(0) lgkmcnt(0)
	v_mul_f16_e32 v105, s15, v105
	s_branch .LBB211_107
.LBB211_106:
	v_mov_b32_e32 v105, 0
.LBB211_107:
	v_pk_add_f16 v108, v18, v30
	v_pk_max_f16 v104, v104, v104
	v_pk_add_f16 v109, v19, v31
	s_delay_alu instid0(VALU_DEP_2) | instskip(NEXT) | instid1(VALU_DEP_1)
	v_pk_min_f16 v104, v104, v108
	v_pk_min_f16 v104, v104, v109
	v_lshlrev_b64 v[108:109], 1, v[34:35]
	s_delay_alu instid0(VALU_DEP_2) | instskip(NEXT) | instid1(VALU_DEP_1)
	v_lshrrev_b32_e32 v110, 16, v104
	v_min3_f16 v110, v105, v104, v110
	s_delay_alu instid0(VALU_DEP_3) | instskip(NEXT) | instid1(VALU_DEP_4)
	v_add_co_u32 v104, vcc_lo, v28, v108
	v_add_co_ci_u32_e32 v105, vcc_lo, v29, v109, vcc_lo
	global_store_b16 v[104:105], v110, off
	s_or_b32 exec_lo, exec_lo, s16
	s_and_b32 s18, s2, s8
	s_delay_alu instid0(SALU_CYCLE_1)
	s_and_saveexec_b32 s16, s18
	s_cbranch_execz .LBB211_95
.LBB211_108:
	v_cmp_ne_u32_e32 vcc_lo, 1, v71
	s_cbranch_vccnz .LBB211_110
; %bb.109:
	v_lshlrev_b64 v[104:105], 1, v[36:37]
	s_delay_alu instid0(VALU_DEP_1) | instskip(NEXT) | instid1(VALU_DEP_2)
	v_add_co_u32 v104, vcc_lo, v106, v104
	v_add_co_ci_u32_e32 v105, vcc_lo, v107, v105, vcc_lo
	flat_load_u16 v104, v[104:105]
	s_waitcnt vmcnt(0) lgkmcnt(0)
	v_mul_f16_e32 v104, s15, v104
	s_branch .LBB211_111
.LBB211_110:
	v_mov_b32_e32 v104, 0
.LBB211_111:
	v_pk_add_f16 v105, v12, v30
	v_pk_max_f16 v103, v103, v103
	v_pk_add_f16 v108, v13, v31
	s_delay_alu instid0(VALU_DEP_2) | instskip(NEXT) | instid1(VALU_DEP_1)
	v_pk_min_f16 v103, v103, v105
	v_pk_min_f16 v103, v103, v108
	v_lshlrev_b64 v[108:109], 1, v[36:37]
	s_delay_alu instid0(VALU_DEP_2) | instskip(NEXT) | instid1(VALU_DEP_1)
	v_lshrrev_b32_e32 v105, 16, v103
	v_min3_f16 v105, v104, v103, v105
	s_delay_alu instid0(VALU_DEP_3) | instskip(NEXT) | instid1(VALU_DEP_4)
	v_add_co_u32 v103, vcc_lo, v28, v108
	v_add_co_ci_u32_e32 v104, vcc_lo, v29, v109, vcc_lo
	global_store_b16 v[103:104], v105, off
	s_or_b32 exec_lo, exec_lo, s16
	s_and_b32 s18, s3, s8
	s_delay_alu instid0(SALU_CYCLE_1)
	s_and_saveexec_b32 s16, s18
	s_cbranch_execz .LBB211_96
.LBB211_112:
	v_cmp_ne_u32_e32 vcc_lo, 1, v71
	s_cbranch_vccnz .LBB211_114
; %bb.113:
	v_lshlrev_b64 v[103:104], 1, v[38:39]
	s_delay_alu instid0(VALU_DEP_1) | instskip(NEXT) | instid1(VALU_DEP_2)
	v_add_co_u32 v103, vcc_lo, v106, v103
	v_add_co_ci_u32_e32 v104, vcc_lo, v107, v104, vcc_lo
	flat_load_u16 v103, v[103:104]
	s_waitcnt vmcnt(0) lgkmcnt(0)
	v_mul_f16_e32 v103, s15, v103
	s_branch .LBB211_115
.LBB211_114:
	v_mov_b32_e32 v103, 0
.LBB211_115:
	v_pk_add_f16 v104, v14, v30
	v_pk_max_f16 v102, v102, v102
	v_pk_add_f16 v105, v15, v31
	s_delay_alu instid0(VALU_DEP_2) | instskip(NEXT) | instid1(VALU_DEP_1)
	v_pk_min_f16 v102, v102, v104
	v_pk_min_f16 v102, v102, v105
	v_lshlrev_b64 v[104:105], 1, v[38:39]
	s_delay_alu instid0(VALU_DEP_2) | instskip(NEXT) | instid1(VALU_DEP_1)
	v_lshrrev_b32_e32 v108, 16, v102
	v_min3_f16 v108, v103, v102, v108
	s_delay_alu instid0(VALU_DEP_3) | instskip(NEXT) | instid1(VALU_DEP_4)
	v_add_co_u32 v102, vcc_lo, v28, v104
	v_add_co_ci_u32_e32 v103, vcc_lo, v29, v105, vcc_lo
	global_store_b16 v[102:103], v108, off
	s_or_b32 exec_lo, exec_lo, s16
	s_and_b32 s18, s4, s8
	s_delay_alu instid0(SALU_CYCLE_1)
	s_and_saveexec_b32 s16, s18
	s_cbranch_execz .LBB211_97
.LBB211_116:
	v_cmp_ne_u32_e32 vcc_lo, 1, v71
	s_cbranch_vccnz .LBB211_118
; %bb.117:
	v_lshlrev_b64 v[102:103], 1, v[40:41]
	s_delay_alu instid0(VALU_DEP_1) | instskip(NEXT) | instid1(VALU_DEP_2)
	v_add_co_u32 v102, vcc_lo, v106, v102
	v_add_co_ci_u32_e32 v103, vcc_lo, v107, v103, vcc_lo
	flat_load_u16 v102, v[102:103]
	s_waitcnt vmcnt(0) lgkmcnt(0)
	v_mul_f16_e32 v102, s15, v102
	s_branch .LBB211_119
.LBB211_118:
	v_mov_b32_e32 v102, 0
.LBB211_119:
	v_pk_add_f16 v103, v8, v30
	v_pk_max_f16 v101, v101, v101
	v_pk_add_f16 v104, v9, v31
	s_delay_alu instid0(VALU_DEP_2) | instskip(NEXT) | instid1(VALU_DEP_1)
	v_pk_min_f16 v101, v101, v103
	v_pk_min_f16 v101, v101, v104
	v_lshlrev_b64 v[103:104], 1, v[40:41]
	s_delay_alu instid0(VALU_DEP_2) | instskip(NEXT) | instid1(VALU_DEP_1)
	v_lshrrev_b32_e32 v105, 16, v101
	v_min3_f16 v105, v102, v101, v105
	s_delay_alu instid0(VALU_DEP_3) | instskip(NEXT) | instid1(VALU_DEP_4)
	v_add_co_u32 v101, vcc_lo, v28, v103
	v_add_co_ci_u32_e32 v102, vcc_lo, v29, v104, vcc_lo
	global_store_b16 v[101:102], v105, off
	s_or_b32 exec_lo, exec_lo, s16
	s_and_b32 s18, s5, s8
	s_delay_alu instid0(SALU_CYCLE_1)
	s_and_saveexec_b32 s16, s18
	s_cbranch_execz .LBB211_98
.LBB211_120:
	v_cmp_ne_u32_e32 vcc_lo, 1, v71
	s_cbranch_vccnz .LBB211_122
; %bb.121:
	v_lshlrev_b64 v[101:102], 1, v[42:43]
	s_delay_alu instid0(VALU_DEP_1) | instskip(NEXT) | instid1(VALU_DEP_2)
	v_add_co_u32 v101, vcc_lo, v106, v101
	v_add_co_ci_u32_e32 v102, vcc_lo, v107, v102, vcc_lo
	flat_load_u16 v101, v[101:102]
	s_waitcnt vmcnt(0) lgkmcnt(0)
	v_mul_f16_e32 v101, s15, v101
	s_branch .LBB211_123
.LBB211_122:
	v_mov_b32_e32 v101, 0
.LBB211_123:
	v_pk_add_f16 v102, v10, v30
	v_pk_max_f16 v100, v100, v100
	v_pk_add_f16 v103, v11, v31
	s_delay_alu instid0(VALU_DEP_2) | instskip(NEXT) | instid1(VALU_DEP_1)
	v_pk_min_f16 v100, v100, v102
	v_pk_min_f16 v100, v100, v103
	v_lshlrev_b64 v[102:103], 1, v[42:43]
	s_delay_alu instid0(VALU_DEP_2) | instskip(NEXT) | instid1(VALU_DEP_1)
	v_lshrrev_b32_e32 v104, 16, v100
	v_min3_f16 v104, v101, v100, v104
	s_delay_alu instid0(VALU_DEP_3) | instskip(NEXT) | instid1(VALU_DEP_4)
	v_add_co_u32 v100, vcc_lo, v28, v102
	v_add_co_ci_u32_e32 v101, vcc_lo, v29, v103, vcc_lo
	global_store_b16 v[100:101], v104, off
	s_or_b32 exec_lo, exec_lo, s16
	s_and_b32 s18, s6, s8
	s_delay_alu instid0(SALU_CYCLE_1)
	s_and_saveexec_b32 s16, s18
	s_cbranch_execz .LBB211_99
.LBB211_124:
	v_cmp_ne_u32_e32 vcc_lo, 1, v71
	s_cbranch_vccnz .LBB211_126
; %bb.125:
	v_lshlrev_b64 v[100:101], 1, v[44:45]
	s_delay_alu instid0(VALU_DEP_1) | instskip(NEXT) | instid1(VALU_DEP_2)
	v_add_co_u32 v100, vcc_lo, v106, v100
	v_add_co_ci_u32_e32 v101, vcc_lo, v107, v101, vcc_lo
	flat_load_u16 v100, v[100:101]
	s_waitcnt vmcnt(0) lgkmcnt(0)
	v_mul_f16_e32 v100, s15, v100
	s_branch .LBB211_127
.LBB211_126:
	v_mov_b32_e32 v100, 0
.LBB211_127:
	v_pk_add_f16 v101, v0, v30
	v_pk_max_f16 v99, v99, v99
	v_pk_add_f16 v102, v1, v31
	s_delay_alu instid0(VALU_DEP_2) | instskip(NEXT) | instid1(VALU_DEP_1)
	v_pk_min_f16 v99, v99, v101
	v_pk_min_f16 v99, v99, v102
	v_lshlrev_b64 v[101:102], 1, v[44:45]
	s_delay_alu instid0(VALU_DEP_2) | instskip(NEXT) | instid1(VALU_DEP_1)
	v_lshrrev_b32_e32 v103, 16, v99
	v_min3_f16 v103, v100, v99, v103
	s_delay_alu instid0(VALU_DEP_3) | instskip(NEXT) | instid1(VALU_DEP_4)
	v_add_co_u32 v99, vcc_lo, v28, v101
	v_add_co_ci_u32_e32 v100, vcc_lo, v29, v102, vcc_lo
	global_store_b16 v[99:100], v103, off
	s_or_b32 exec_lo, exec_lo, s16
	s_and_b32 s16, s7, s8
	s_delay_alu instid0(SALU_CYCLE_1)
	s_and_saveexec_b32 s8, s16
	s_cbranch_execz .LBB211_132
.LBB211_128:
	v_cmp_ne_u32_e32 vcc_lo, 1, v71
	s_cbranch_vccnz .LBB211_130
; %bb.129:
	v_lshlrev_b64 v[99:100], 1, v[46:47]
	s_delay_alu instid0(VALU_DEP_1) | instskip(NEXT) | instid1(VALU_DEP_2)
	v_add_co_u32 v99, vcc_lo, v106, v99
	v_add_co_ci_u32_e32 v100, vcc_lo, v107, v100, vcc_lo
	flat_load_u16 v99, v[99:100]
	s_waitcnt vmcnt(0) lgkmcnt(0)
	v_mul_f16_e32 v99, s15, v99
	s_branch .LBB211_131
.LBB211_130:
	v_mov_b32_e32 v99, 0
.LBB211_131:
	v_pk_add_f16 v30, v2, v30
	v_pk_max_f16 v98, v98, v98
	v_pk_add_f16 v31, v3, v31
	s_delay_alu instid0(VALU_DEP_2) | instskip(NEXT) | instid1(VALU_DEP_1)
	v_pk_min_f16 v30, v98, v30
	v_pk_min_f16 v98, v30, v31
	v_lshlrev_b64 v[30:31], 1, v[46:47]
	s_delay_alu instid0(VALU_DEP_2) | instskip(NEXT) | instid1(VALU_DEP_2)
	v_lshrrev_b32_e32 v100, 16, v98
	v_add_co_u32 v28, vcc_lo, v28, v30
	s_delay_alu instid0(VALU_DEP_3) | instskip(NEXT) | instid1(VALU_DEP_3)
	v_add_co_ci_u32_e32 v29, vcc_lo, v29, v31, vcc_lo
	v_min3_f16 v98, v99, v98, v100
	global_store_b16 v[28:29], v98, off
.LBB211_132:
	s_or_b32 exec_lo, exec_lo, s8
	v_add_nc_u32_e32 v98, 16, v79
	s_delay_alu instid0(VALU_DEP_1) | instskip(SKIP_2) | instid1(VALU_DEP_3)
	v_mad_i64_i32 v[28:29], null, v98, s14, 0
	v_mad_i64_i32 v[30:31], null, v98, s9, 0
	v_cmp_gt_i32_e64 s8, s17, v98
	v_lshlrev_b64 v[28:29], 1, v[28:29]
	s_delay_alu instid0(VALU_DEP_2) | instskip(NEXT) | instid1(VALU_DEP_3)
	s_and_b32 s18, s0, s8
	v_lshlrev_b64 v[98:99], 1, v[30:31]
	s_delay_alu instid0(VALU_DEP_2) | instskip(NEXT) | instid1(VALU_DEP_3)
	v_add_co_u32 v30, vcc_lo, s10, v28
	v_add_co_ci_u32_e32 v31, vcc_lo, s11, v29, vcc_lo
	s_delay_alu instid0(VALU_DEP_3) | instskip(NEXT) | instid1(VALU_DEP_4)
	v_add_co_u32 v28, vcc_lo, s12, v98
	v_add_co_ci_u32_e32 v29, vcc_lo, s13, v99, vcc_lo
	s_and_saveexec_b32 s16, s18
	s_cbranch_execnz .LBB211_140
; %bb.133:
	s_or_b32 exec_lo, exec_lo, s16
	s_and_b32 s18, s1, s8
	s_delay_alu instid0(SALU_CYCLE_1)
	s_and_saveexec_b32 s16, s18
	s_cbranch_execnz .LBB211_144
.LBB211_134:
	s_or_b32 exec_lo, exec_lo, s16
	s_and_b32 s18, s2, s8
	s_delay_alu instid0(SALU_CYCLE_1)
	s_and_saveexec_b32 s16, s18
	s_cbranch_execnz .LBB211_148
.LBB211_135:
	s_or_b32 exec_lo, exec_lo, s16
	s_and_b32 s18, s3, s8
	s_delay_alu instid0(SALU_CYCLE_1)
	s_and_saveexec_b32 s16, s18
	s_cbranch_execnz .LBB211_152
.LBB211_136:
	s_or_b32 exec_lo, exec_lo, s16
	s_and_b32 s18, s4, s8
	s_delay_alu instid0(SALU_CYCLE_1)
	s_and_saveexec_b32 s16, s18
	s_cbranch_execnz .LBB211_156
.LBB211_137:
	s_or_b32 exec_lo, exec_lo, s16
	s_and_b32 s18, s5, s8
	s_delay_alu instid0(SALU_CYCLE_1)
	s_and_saveexec_b32 s16, s18
	s_cbranch_execnz .LBB211_160
.LBB211_138:
	s_or_b32 exec_lo, exec_lo, s16
	s_and_b32 s18, s6, s8
	s_delay_alu instid0(SALU_CYCLE_1)
	s_and_saveexec_b32 s16, s18
	s_cbranch_execnz .LBB211_164
.LBB211_139:
	s_or_b32 exec_lo, exec_lo, s16
	s_and_b32 s16, s7, s8
	s_delay_alu instid0(SALU_CYCLE_1)
	s_and_saveexec_b32 s8, s16
	s_cbranch_execnz .LBB211_168
	s_branch .LBB211_172
.LBB211_140:
	v_cmp_ne_u32_e32 vcc_lo, 1, v71
	s_cbranch_vccnz .LBB211_142
; %bb.141:
	v_lshlrev_b64 v[98:99], 1, v[32:33]
	s_delay_alu instid0(VALU_DEP_1) | instskip(NEXT) | instid1(VALU_DEP_2)
	v_add_co_u32 v98, vcc_lo, v30, v98
	v_add_co_ci_u32_e32 v99, vcc_lo, v31, v99, vcc_lo
	flat_load_u16 v98, v[98:99]
	s_waitcnt vmcnt(0) lgkmcnt(0)
	v_mul_f16_e32 v98, s15, v98
	s_branch .LBB211_143
.LBB211_142:
	v_mov_b32_e32 v98, 0
.LBB211_143:
	v_pk_add_f16 v99, v16, v24
	v_pk_max_f16 v97, v97, v97
	v_pk_add_f16 v100, v17, v25
	s_delay_alu instid0(VALU_DEP_2) | instskip(NEXT) | instid1(VALU_DEP_1)
	v_pk_min_f16 v97, v97, v99
	v_pk_min_f16 v97, v97, v100
	v_lshlrev_b64 v[99:100], 1, v[32:33]
	s_delay_alu instid0(VALU_DEP_2) | instskip(NEXT) | instid1(VALU_DEP_1)
	v_lshrrev_b32_e32 v101, 16, v97
	v_min3_f16 v101, v98, v97, v101
	s_delay_alu instid0(VALU_DEP_3) | instskip(NEXT) | instid1(VALU_DEP_4)
	v_add_co_u32 v97, vcc_lo, v28, v99
	v_add_co_ci_u32_e32 v98, vcc_lo, v29, v100, vcc_lo
	global_store_b16 v[97:98], v101, off
	s_or_b32 exec_lo, exec_lo, s16
	s_and_b32 s18, s1, s8
	s_delay_alu instid0(SALU_CYCLE_1)
	s_and_saveexec_b32 s16, s18
	s_cbranch_execz .LBB211_134
.LBB211_144:
	v_cmp_ne_u32_e32 vcc_lo, 1, v71
	s_cbranch_vccnz .LBB211_146
; %bb.145:
	v_lshlrev_b64 v[97:98], 1, v[34:35]
	s_delay_alu instid0(VALU_DEP_1) | instskip(NEXT) | instid1(VALU_DEP_2)
	v_add_co_u32 v97, vcc_lo, v30, v97
	v_add_co_ci_u32_e32 v98, vcc_lo, v31, v98, vcc_lo
	flat_load_u16 v97, v[97:98]
	s_waitcnt vmcnt(0) lgkmcnt(0)
	v_mul_f16_e32 v97, s15, v97
	s_branch .LBB211_147
.LBB211_146:
	v_mov_b32_e32 v97, 0
.LBB211_147:
	v_pk_add_f16 v98, v18, v24
	v_pk_max_f16 v96, v96, v96
	v_pk_add_f16 v99, v19, v25
	s_delay_alu instid0(VALU_DEP_2) | instskip(NEXT) | instid1(VALU_DEP_1)
	v_pk_min_f16 v96, v96, v98
	v_pk_min_f16 v96, v96, v99
	v_lshlrev_b64 v[98:99], 1, v[34:35]
	s_delay_alu instid0(VALU_DEP_2) | instskip(NEXT) | instid1(VALU_DEP_1)
	v_lshrrev_b32_e32 v100, 16, v96
	v_min3_f16 v100, v97, v96, v100
	s_delay_alu instid0(VALU_DEP_3) | instskip(NEXT) | instid1(VALU_DEP_4)
	v_add_co_u32 v96, vcc_lo, v28, v98
	v_add_co_ci_u32_e32 v97, vcc_lo, v29, v99, vcc_lo
	global_store_b16 v[96:97], v100, off
	s_or_b32 exec_lo, exec_lo, s16
	s_and_b32 s18, s2, s8
	s_delay_alu instid0(SALU_CYCLE_1)
	s_and_saveexec_b32 s16, s18
	s_cbranch_execz .LBB211_135
.LBB211_148:
	v_cmp_ne_u32_e32 vcc_lo, 1, v71
	s_cbranch_vccnz .LBB211_150
; %bb.149:
	v_lshlrev_b64 v[96:97], 1, v[36:37]
	s_delay_alu instid0(VALU_DEP_1) | instskip(NEXT) | instid1(VALU_DEP_2)
	v_add_co_u32 v96, vcc_lo, v30, v96
	v_add_co_ci_u32_e32 v97, vcc_lo, v31, v97, vcc_lo
	flat_load_u16 v96, v[96:97]
	s_waitcnt vmcnt(0) lgkmcnt(0)
	v_mul_f16_e32 v96, s15, v96
	s_branch .LBB211_151
.LBB211_150:
	v_mov_b32_e32 v96, 0
.LBB211_151:
	v_pk_add_f16 v97, v12, v24
	v_pk_max_f16 v95, v95, v95
	v_pk_add_f16 v98, v13, v25
	s_delay_alu instid0(VALU_DEP_2) | instskip(NEXT) | instid1(VALU_DEP_1)
	v_pk_min_f16 v95, v95, v97
	v_pk_min_f16 v95, v95, v98
	v_lshlrev_b64 v[97:98], 1, v[36:37]
	s_delay_alu instid0(VALU_DEP_2) | instskip(NEXT) | instid1(VALU_DEP_1)
	v_lshrrev_b32_e32 v99, 16, v95
	v_min3_f16 v99, v96, v95, v99
	s_delay_alu instid0(VALU_DEP_3) | instskip(NEXT) | instid1(VALU_DEP_4)
	v_add_co_u32 v95, vcc_lo, v28, v97
	v_add_co_ci_u32_e32 v96, vcc_lo, v29, v98, vcc_lo
	global_store_b16 v[95:96], v99, off
	s_or_b32 exec_lo, exec_lo, s16
	s_and_b32 s18, s3, s8
	s_delay_alu instid0(SALU_CYCLE_1)
	s_and_saveexec_b32 s16, s18
	s_cbranch_execz .LBB211_136
.LBB211_152:
	v_cmp_ne_u32_e32 vcc_lo, 1, v71
	s_cbranch_vccnz .LBB211_154
; %bb.153:
	v_lshlrev_b64 v[95:96], 1, v[38:39]
	s_delay_alu instid0(VALU_DEP_1) | instskip(NEXT) | instid1(VALU_DEP_2)
	v_add_co_u32 v95, vcc_lo, v30, v95
	v_add_co_ci_u32_e32 v96, vcc_lo, v31, v96, vcc_lo
	flat_load_u16 v95, v[95:96]
	s_waitcnt vmcnt(0) lgkmcnt(0)
	v_mul_f16_e32 v95, s15, v95
	s_branch .LBB211_155
.LBB211_154:
	v_mov_b32_e32 v95, 0
.LBB211_155:
	v_pk_add_f16 v96, v14, v24
	v_pk_max_f16 v94, v94, v94
	v_pk_add_f16 v97, v15, v25
	s_delay_alu instid0(VALU_DEP_2) | instskip(NEXT) | instid1(VALU_DEP_1)
	v_pk_min_f16 v94, v94, v96
	v_pk_min_f16 v94, v94, v97
	v_lshlrev_b64 v[96:97], 1, v[38:39]
	s_delay_alu instid0(VALU_DEP_2) | instskip(NEXT) | instid1(VALU_DEP_1)
	v_lshrrev_b32_e32 v98, 16, v94
	v_min3_f16 v98, v95, v94, v98
	s_delay_alu instid0(VALU_DEP_3) | instskip(NEXT) | instid1(VALU_DEP_4)
	v_add_co_u32 v94, vcc_lo, v28, v96
	v_add_co_ci_u32_e32 v95, vcc_lo, v29, v97, vcc_lo
	global_store_b16 v[94:95], v98, off
	s_or_b32 exec_lo, exec_lo, s16
	s_and_b32 s18, s4, s8
	s_delay_alu instid0(SALU_CYCLE_1)
	s_and_saveexec_b32 s16, s18
	s_cbranch_execz .LBB211_137
.LBB211_156:
	v_cmp_ne_u32_e32 vcc_lo, 1, v71
	s_cbranch_vccnz .LBB211_158
; %bb.157:
	v_lshlrev_b64 v[94:95], 1, v[40:41]
	s_delay_alu instid0(VALU_DEP_1) | instskip(NEXT) | instid1(VALU_DEP_2)
	v_add_co_u32 v94, vcc_lo, v30, v94
	v_add_co_ci_u32_e32 v95, vcc_lo, v31, v95, vcc_lo
	flat_load_u16 v94, v[94:95]
	s_waitcnt vmcnt(0) lgkmcnt(0)
	v_mul_f16_e32 v94, s15, v94
	s_branch .LBB211_159
.LBB211_158:
	v_mov_b32_e32 v94, 0
.LBB211_159:
	v_pk_add_f16 v95, v8, v24
	v_pk_max_f16 v93, v93, v93
	v_pk_add_f16 v96, v9, v25
	s_delay_alu instid0(VALU_DEP_2) | instskip(NEXT) | instid1(VALU_DEP_1)
	v_pk_min_f16 v93, v93, v95
	v_pk_min_f16 v93, v93, v96
	v_lshlrev_b64 v[95:96], 1, v[40:41]
	s_delay_alu instid0(VALU_DEP_2) | instskip(NEXT) | instid1(VALU_DEP_1)
	v_lshrrev_b32_e32 v97, 16, v93
	v_min3_f16 v97, v94, v93, v97
	s_delay_alu instid0(VALU_DEP_3) | instskip(NEXT) | instid1(VALU_DEP_4)
	v_add_co_u32 v93, vcc_lo, v28, v95
	v_add_co_ci_u32_e32 v94, vcc_lo, v29, v96, vcc_lo
	global_store_b16 v[93:94], v97, off
	s_or_b32 exec_lo, exec_lo, s16
	s_and_b32 s18, s5, s8
	s_delay_alu instid0(SALU_CYCLE_1)
	s_and_saveexec_b32 s16, s18
	s_cbranch_execz .LBB211_138
.LBB211_160:
	v_cmp_ne_u32_e32 vcc_lo, 1, v71
	s_cbranch_vccnz .LBB211_162
; %bb.161:
	v_lshlrev_b64 v[93:94], 1, v[42:43]
	s_delay_alu instid0(VALU_DEP_1) | instskip(NEXT) | instid1(VALU_DEP_2)
	v_add_co_u32 v93, vcc_lo, v30, v93
	v_add_co_ci_u32_e32 v94, vcc_lo, v31, v94, vcc_lo
	flat_load_u16 v93, v[93:94]
	s_waitcnt vmcnt(0) lgkmcnt(0)
	v_mul_f16_e32 v93, s15, v93
	s_branch .LBB211_163
.LBB211_162:
	v_mov_b32_e32 v93, 0
.LBB211_163:
	v_pk_add_f16 v94, v10, v24
	v_pk_max_f16 v92, v92, v92
	v_pk_add_f16 v95, v11, v25
	s_delay_alu instid0(VALU_DEP_2) | instskip(NEXT) | instid1(VALU_DEP_1)
	v_pk_min_f16 v92, v92, v94
	v_pk_min_f16 v92, v92, v95
	v_lshlrev_b64 v[94:95], 1, v[42:43]
	s_delay_alu instid0(VALU_DEP_2) | instskip(NEXT) | instid1(VALU_DEP_1)
	v_lshrrev_b32_e32 v96, 16, v92
	v_min3_f16 v96, v93, v92, v96
	s_delay_alu instid0(VALU_DEP_3) | instskip(NEXT) | instid1(VALU_DEP_4)
	v_add_co_u32 v92, vcc_lo, v28, v94
	v_add_co_ci_u32_e32 v93, vcc_lo, v29, v95, vcc_lo
	global_store_b16 v[92:93], v96, off
	s_or_b32 exec_lo, exec_lo, s16
	s_and_b32 s18, s6, s8
	s_delay_alu instid0(SALU_CYCLE_1)
	s_and_saveexec_b32 s16, s18
	s_cbranch_execz .LBB211_139
.LBB211_164:
	v_cmp_ne_u32_e32 vcc_lo, 1, v71
	s_cbranch_vccnz .LBB211_166
; %bb.165:
	v_lshlrev_b64 v[92:93], 1, v[44:45]
	s_delay_alu instid0(VALU_DEP_1) | instskip(NEXT) | instid1(VALU_DEP_2)
	v_add_co_u32 v92, vcc_lo, v30, v92
	v_add_co_ci_u32_e32 v93, vcc_lo, v31, v93, vcc_lo
	flat_load_u16 v92, v[92:93]
	s_waitcnt vmcnt(0) lgkmcnt(0)
	v_mul_f16_e32 v92, s15, v92
	s_branch .LBB211_167
.LBB211_166:
	v_mov_b32_e32 v92, 0
.LBB211_167:
	v_pk_add_f16 v93, v0, v24
	v_pk_max_f16 v91, v91, v91
	v_pk_add_f16 v94, v1, v25
	s_delay_alu instid0(VALU_DEP_2) | instskip(NEXT) | instid1(VALU_DEP_1)
	v_pk_min_f16 v91, v91, v93
	v_pk_min_f16 v91, v91, v94
	v_lshlrev_b64 v[93:94], 1, v[44:45]
	s_delay_alu instid0(VALU_DEP_2) | instskip(NEXT) | instid1(VALU_DEP_1)
	v_lshrrev_b32_e32 v95, 16, v91
	v_min3_f16 v95, v92, v91, v95
	s_delay_alu instid0(VALU_DEP_3) | instskip(NEXT) | instid1(VALU_DEP_4)
	v_add_co_u32 v91, vcc_lo, v28, v93
	v_add_co_ci_u32_e32 v92, vcc_lo, v29, v94, vcc_lo
	global_store_b16 v[91:92], v95, off
	s_or_b32 exec_lo, exec_lo, s16
	s_and_b32 s16, s7, s8
	s_delay_alu instid0(SALU_CYCLE_1)
	s_and_saveexec_b32 s8, s16
	s_cbranch_execz .LBB211_172
.LBB211_168:
	v_cmp_ne_u32_e32 vcc_lo, 1, v71
	s_cbranch_vccnz .LBB211_170
; %bb.169:
	v_lshlrev_b64 v[91:92], 1, v[46:47]
	s_delay_alu instid0(VALU_DEP_1) | instskip(NEXT) | instid1(VALU_DEP_2)
	v_add_co_u32 v30, vcc_lo, v30, v91
	v_add_co_ci_u32_e32 v31, vcc_lo, v31, v92, vcc_lo
	flat_load_u16 v30, v[30:31]
	s_waitcnt vmcnt(0) lgkmcnt(0)
	v_mul_f16_e32 v30, s15, v30
	s_branch .LBB211_171
.LBB211_170:
	v_mov_b32_e32 v30, 0
.LBB211_171:
	v_pk_add_f16 v24, v2, v24
	v_pk_max_f16 v31, v90, v90
	v_pk_add_f16 v25, v3, v25
	s_delay_alu instid0(VALU_DEP_2) | instskip(NEXT) | instid1(VALU_DEP_1)
	v_pk_min_f16 v24, v31, v24
	v_pk_min_f16 v31, v24, v25
	v_lshlrev_b64 v[24:25], 1, v[46:47]
	s_delay_alu instid0(VALU_DEP_2) | instskip(NEXT) | instid1(VALU_DEP_2)
	v_lshrrev_b32_e32 v90, 16, v31
	v_add_co_u32 v24, vcc_lo, v28, v24
	s_delay_alu instid0(VALU_DEP_3) | instskip(NEXT) | instid1(VALU_DEP_3)
	v_add_co_ci_u32_e32 v25, vcc_lo, v29, v25, vcc_lo
	v_min3_f16 v30, v30, v31, v90
	global_store_b16 v[24:25], v30, off
.LBB211_172:
	s_or_b32 exec_lo, exec_lo, s8
	v_add_nc_u32_e32 v30, 24, v79
	s_delay_alu instid0(VALU_DEP_1) | instskip(SKIP_2) | instid1(VALU_DEP_3)
	v_mad_i64_i32 v[24:25], null, v30, s14, 0
	v_mad_i64_i32 v[28:29], null, v30, s9, 0
	v_cmp_gt_i32_e64 s8, s17, v30
	v_lshlrev_b64 v[24:25], 1, v[24:25]
	s_delay_alu instid0(VALU_DEP_2) | instskip(NEXT) | instid1(VALU_DEP_3)
	s_and_b32 s18, s0, s8
	v_lshlrev_b64 v[30:31], 1, v[28:29]
	s_delay_alu instid0(VALU_DEP_2) | instskip(NEXT) | instid1(VALU_DEP_3)
	v_add_co_u32 v28, vcc_lo, s10, v24
	v_add_co_ci_u32_e32 v29, vcc_lo, s11, v25, vcc_lo
	s_delay_alu instid0(VALU_DEP_3) | instskip(NEXT) | instid1(VALU_DEP_4)
	v_add_co_u32 v24, vcc_lo, s12, v30
	v_add_co_ci_u32_e32 v25, vcc_lo, s13, v31, vcc_lo
	s_and_saveexec_b32 s16, s18
	s_cbranch_execnz .LBB211_180
; %bb.173:
	s_or_b32 exec_lo, exec_lo, s16
	s_and_b32 s18, s1, s8
	s_delay_alu instid0(SALU_CYCLE_1)
	s_and_saveexec_b32 s16, s18
	s_cbranch_execnz .LBB211_184
.LBB211_174:
	s_or_b32 exec_lo, exec_lo, s16
	s_and_b32 s18, s2, s8
	s_delay_alu instid0(SALU_CYCLE_1)
	s_and_saveexec_b32 s16, s18
	s_cbranch_execnz .LBB211_188
.LBB211_175:
	s_or_b32 exec_lo, exec_lo, s16
	s_and_b32 s18, s3, s8
	s_delay_alu instid0(SALU_CYCLE_1)
	s_and_saveexec_b32 s16, s18
	s_cbranch_execnz .LBB211_192
.LBB211_176:
	s_or_b32 exec_lo, exec_lo, s16
	s_and_b32 s18, s4, s8
	s_delay_alu instid0(SALU_CYCLE_1)
	s_and_saveexec_b32 s16, s18
	s_cbranch_execnz .LBB211_196
.LBB211_177:
	s_or_b32 exec_lo, exec_lo, s16
	s_and_b32 s18, s5, s8
	s_delay_alu instid0(SALU_CYCLE_1)
	s_and_saveexec_b32 s16, s18
	s_cbranch_execnz .LBB211_200
.LBB211_178:
	s_or_b32 exec_lo, exec_lo, s16
	s_and_b32 s18, s6, s8
	s_delay_alu instid0(SALU_CYCLE_1)
	s_and_saveexec_b32 s16, s18
	s_cbranch_execnz .LBB211_204
.LBB211_179:
	s_or_b32 exec_lo, exec_lo, s16
	s_and_b32 s16, s7, s8
	s_delay_alu instid0(SALU_CYCLE_1)
	s_and_saveexec_b32 s8, s16
	s_cbranch_execnz .LBB211_208
	s_branch .LBB211_212
.LBB211_180:
	v_cmp_ne_u32_e32 vcc_lo, 1, v71
	s_cbranch_vccnz .LBB211_182
; %bb.181:
	v_lshlrev_b64 v[30:31], 1, v[32:33]
	s_delay_alu instid0(VALU_DEP_1) | instskip(NEXT) | instid1(VALU_DEP_2)
	v_add_co_u32 v30, vcc_lo, v28, v30
	v_add_co_ci_u32_e32 v31, vcc_lo, v29, v31, vcc_lo
	flat_load_u16 v30, v[30:31]
	s_waitcnt vmcnt(0) lgkmcnt(0)
	v_mul_f16_e32 v30, s15, v30
	s_branch .LBB211_183
.LBB211_182:
	v_mov_b32_e32 v30, 0
.LBB211_183:
	v_pk_add_f16 v31, v16, v26
	v_pk_max_f16 v89, v89, v89
	v_pk_add_f16 v90, v17, v27
	s_delay_alu instid0(VALU_DEP_2) | instskip(NEXT) | instid1(VALU_DEP_1)
	v_pk_min_f16 v31, v89, v31
	v_pk_min_f16 v31, v31, v90
	v_lshlrev_b64 v[89:90], 1, v[32:33]
	s_delay_alu instid0(VALU_DEP_2) | instskip(NEXT) | instid1(VALU_DEP_1)
	v_lshrrev_b32_e32 v91, 16, v31
	v_min3_f16 v91, v30, v31, v91
	s_delay_alu instid0(VALU_DEP_3) | instskip(NEXT) | instid1(VALU_DEP_4)
	v_add_co_u32 v30, vcc_lo, v24, v89
	v_add_co_ci_u32_e32 v31, vcc_lo, v25, v90, vcc_lo
	global_store_b16 v[30:31], v91, off
	s_or_b32 exec_lo, exec_lo, s16
	s_and_b32 s18, s1, s8
	s_delay_alu instid0(SALU_CYCLE_1)
	s_and_saveexec_b32 s16, s18
	s_cbranch_execz .LBB211_174
.LBB211_184:
	v_cmp_ne_u32_e32 vcc_lo, 1, v71
	s_cbranch_vccnz .LBB211_186
; %bb.185:
	v_lshlrev_b64 v[30:31], 1, v[34:35]
	s_delay_alu instid0(VALU_DEP_1) | instskip(NEXT) | instid1(VALU_DEP_2)
	v_add_co_u32 v30, vcc_lo, v28, v30
	v_add_co_ci_u32_e32 v31, vcc_lo, v29, v31, vcc_lo
	flat_load_u16 v30, v[30:31]
	s_waitcnt vmcnt(0) lgkmcnt(0)
	v_mul_f16_e32 v30, s15, v30
	s_branch .LBB211_187
.LBB211_186:
	v_mov_b32_e32 v30, 0
.LBB211_187:
	v_pk_add_f16 v31, v18, v26
	v_pk_max_f16 v88, v88, v88
	v_pk_add_f16 v89, v19, v27
	s_delay_alu instid0(VALU_DEP_2) | instskip(NEXT) | instid1(VALU_DEP_1)
	v_pk_min_f16 v31, v88, v31
	v_pk_min_f16 v31, v31, v89
	v_lshlrev_b64 v[88:89], 1, v[34:35]
	s_delay_alu instid0(VALU_DEP_2) | instskip(NEXT) | instid1(VALU_DEP_1)
	v_lshrrev_b32_e32 v90, 16, v31
	v_min3_f16 v90, v30, v31, v90
	s_delay_alu instid0(VALU_DEP_3) | instskip(NEXT) | instid1(VALU_DEP_4)
	v_add_co_u32 v30, vcc_lo, v24, v88
	v_add_co_ci_u32_e32 v31, vcc_lo, v25, v89, vcc_lo
	global_store_b16 v[30:31], v90, off
	s_or_b32 exec_lo, exec_lo, s16
	s_and_b32 s18, s2, s8
	s_delay_alu instid0(SALU_CYCLE_1)
	s_and_saveexec_b32 s16, s18
	s_cbranch_execz .LBB211_175
.LBB211_188:
	v_cmp_ne_u32_e32 vcc_lo, 1, v71
	s_cbranch_vccnz .LBB211_190
; %bb.189:
	v_lshlrev_b64 v[30:31], 1, v[36:37]
	s_delay_alu instid0(VALU_DEP_1) | instskip(NEXT) | instid1(VALU_DEP_2)
	v_add_co_u32 v30, vcc_lo, v28, v30
	v_add_co_ci_u32_e32 v31, vcc_lo, v29, v31, vcc_lo
	flat_load_u16 v30, v[30:31]
	s_waitcnt vmcnt(0) lgkmcnt(0)
	v_mul_f16_e32 v30, s15, v30
	s_branch .LBB211_191
.LBB211_190:
	v_mov_b32_e32 v30, 0
.LBB211_191:
	v_pk_add_f16 v31, v12, v26
	v_pk_max_f16 v87, v87, v87
	v_pk_add_f16 v88, v13, v27
	s_delay_alu instid0(VALU_DEP_2) | instskip(NEXT) | instid1(VALU_DEP_1)
	v_pk_min_f16 v31, v87, v31
	v_pk_min_f16 v31, v31, v88
	v_lshlrev_b64 v[87:88], 1, v[36:37]
	s_delay_alu instid0(VALU_DEP_2) | instskip(NEXT) | instid1(VALU_DEP_1)
	v_lshrrev_b32_e32 v89, 16, v31
	v_min3_f16 v89, v30, v31, v89
	s_delay_alu instid0(VALU_DEP_3) | instskip(NEXT) | instid1(VALU_DEP_4)
	v_add_co_u32 v30, vcc_lo, v24, v87
	v_add_co_ci_u32_e32 v31, vcc_lo, v25, v88, vcc_lo
	global_store_b16 v[30:31], v89, off
	s_or_b32 exec_lo, exec_lo, s16
	s_and_b32 s18, s3, s8
	s_delay_alu instid0(SALU_CYCLE_1)
	s_and_saveexec_b32 s16, s18
	s_cbranch_execz .LBB211_176
.LBB211_192:
	v_cmp_ne_u32_e32 vcc_lo, 1, v71
	s_cbranch_vccnz .LBB211_194
; %bb.193:
	v_lshlrev_b64 v[30:31], 1, v[38:39]
	s_delay_alu instid0(VALU_DEP_1) | instskip(NEXT) | instid1(VALU_DEP_2)
	v_add_co_u32 v30, vcc_lo, v28, v30
	v_add_co_ci_u32_e32 v31, vcc_lo, v29, v31, vcc_lo
	flat_load_u16 v30, v[30:31]
	s_waitcnt vmcnt(0) lgkmcnt(0)
	v_mul_f16_e32 v30, s15, v30
	s_branch .LBB211_195
.LBB211_194:
	v_mov_b32_e32 v30, 0
.LBB211_195:
	v_pk_add_f16 v31, v14, v26
	v_pk_max_f16 v86, v86, v86
	v_pk_add_f16 v87, v15, v27
	s_delay_alu instid0(VALU_DEP_2) | instskip(NEXT) | instid1(VALU_DEP_1)
	v_pk_min_f16 v31, v86, v31
	v_pk_min_f16 v31, v31, v87
	v_lshlrev_b64 v[86:87], 1, v[38:39]
	s_delay_alu instid0(VALU_DEP_2) | instskip(NEXT) | instid1(VALU_DEP_1)
	v_lshrrev_b32_e32 v88, 16, v31
	v_min3_f16 v88, v30, v31, v88
	s_delay_alu instid0(VALU_DEP_3) | instskip(NEXT) | instid1(VALU_DEP_4)
	v_add_co_u32 v30, vcc_lo, v24, v86
	v_add_co_ci_u32_e32 v31, vcc_lo, v25, v87, vcc_lo
	global_store_b16 v[30:31], v88, off
	s_or_b32 exec_lo, exec_lo, s16
	s_and_b32 s18, s4, s8
	s_delay_alu instid0(SALU_CYCLE_1)
	s_and_saveexec_b32 s16, s18
	s_cbranch_execz .LBB211_177
.LBB211_196:
	v_cmp_ne_u32_e32 vcc_lo, 1, v71
	s_cbranch_vccnz .LBB211_198
; %bb.197:
	v_lshlrev_b64 v[30:31], 1, v[40:41]
	s_delay_alu instid0(VALU_DEP_1) | instskip(NEXT) | instid1(VALU_DEP_2)
	v_add_co_u32 v30, vcc_lo, v28, v30
	v_add_co_ci_u32_e32 v31, vcc_lo, v29, v31, vcc_lo
	flat_load_u16 v30, v[30:31]
	s_waitcnt vmcnt(0) lgkmcnt(0)
	v_mul_f16_e32 v30, s15, v30
	s_branch .LBB211_199
.LBB211_198:
	v_mov_b32_e32 v30, 0
.LBB211_199:
	v_pk_add_f16 v31, v8, v26
	v_pk_max_f16 v85, v85, v85
	v_pk_add_f16 v86, v9, v27
	s_delay_alu instid0(VALU_DEP_2) | instskip(NEXT) | instid1(VALU_DEP_1)
	v_pk_min_f16 v31, v85, v31
	v_pk_min_f16 v31, v31, v86
	v_lshlrev_b64 v[85:86], 1, v[40:41]
	s_delay_alu instid0(VALU_DEP_2) | instskip(NEXT) | instid1(VALU_DEP_1)
	v_lshrrev_b32_e32 v87, 16, v31
	v_min3_f16 v87, v30, v31, v87
	s_delay_alu instid0(VALU_DEP_3) | instskip(NEXT) | instid1(VALU_DEP_4)
	v_add_co_u32 v30, vcc_lo, v24, v85
	v_add_co_ci_u32_e32 v31, vcc_lo, v25, v86, vcc_lo
	global_store_b16 v[30:31], v87, off
	s_or_b32 exec_lo, exec_lo, s16
	s_and_b32 s18, s5, s8
	s_delay_alu instid0(SALU_CYCLE_1)
	s_and_saveexec_b32 s16, s18
	s_cbranch_execz .LBB211_178
.LBB211_200:
	v_cmp_ne_u32_e32 vcc_lo, 1, v71
	s_cbranch_vccnz .LBB211_202
; %bb.201:
	v_lshlrev_b64 v[30:31], 1, v[42:43]
	s_delay_alu instid0(VALU_DEP_1) | instskip(NEXT) | instid1(VALU_DEP_2)
	v_add_co_u32 v30, vcc_lo, v28, v30
	v_add_co_ci_u32_e32 v31, vcc_lo, v29, v31, vcc_lo
	flat_load_u16 v30, v[30:31]
	s_waitcnt vmcnt(0) lgkmcnt(0)
	v_mul_f16_e32 v30, s15, v30
	s_branch .LBB211_203
.LBB211_202:
	v_mov_b32_e32 v30, 0
.LBB211_203:
	v_pk_add_f16 v31, v10, v26
	v_pk_max_f16 v84, v84, v84
	v_pk_add_f16 v85, v11, v27
	s_delay_alu instid0(VALU_DEP_2) | instskip(NEXT) | instid1(VALU_DEP_1)
	v_pk_min_f16 v31, v84, v31
	v_pk_min_f16 v31, v31, v85
	v_lshlrev_b64 v[84:85], 1, v[42:43]
	s_delay_alu instid0(VALU_DEP_2) | instskip(NEXT) | instid1(VALU_DEP_1)
	v_lshrrev_b32_e32 v86, 16, v31
	v_min3_f16 v86, v30, v31, v86
	s_delay_alu instid0(VALU_DEP_3) | instskip(NEXT) | instid1(VALU_DEP_4)
	v_add_co_u32 v30, vcc_lo, v24, v84
	v_add_co_ci_u32_e32 v31, vcc_lo, v25, v85, vcc_lo
	global_store_b16 v[30:31], v86, off
	s_or_b32 exec_lo, exec_lo, s16
	s_and_b32 s18, s6, s8
	s_delay_alu instid0(SALU_CYCLE_1)
	s_and_saveexec_b32 s16, s18
	s_cbranch_execz .LBB211_179
.LBB211_204:
	v_cmp_ne_u32_e32 vcc_lo, 1, v71
	s_cbranch_vccnz .LBB211_206
; %bb.205:
	v_lshlrev_b64 v[30:31], 1, v[44:45]
	s_delay_alu instid0(VALU_DEP_1) | instskip(NEXT) | instid1(VALU_DEP_2)
	v_add_co_u32 v30, vcc_lo, v28, v30
	v_add_co_ci_u32_e32 v31, vcc_lo, v29, v31, vcc_lo
	flat_load_u16 v30, v[30:31]
	s_waitcnt vmcnt(0) lgkmcnt(0)
	v_mul_f16_e32 v30, s15, v30
	s_branch .LBB211_207
.LBB211_206:
	v_mov_b32_e32 v30, 0
.LBB211_207:
	v_pk_add_f16 v31, v0, v26
	v_pk_max_f16 v83, v83, v83
	v_pk_add_f16 v84, v1, v27
	s_delay_alu instid0(VALU_DEP_2) | instskip(NEXT) | instid1(VALU_DEP_1)
	v_pk_min_f16 v31, v83, v31
	v_pk_min_f16 v31, v31, v84
	v_lshlrev_b64 v[83:84], 1, v[44:45]
	s_delay_alu instid0(VALU_DEP_2) | instskip(NEXT) | instid1(VALU_DEP_1)
	v_lshrrev_b32_e32 v85, 16, v31
	v_min3_f16 v85, v30, v31, v85
	s_delay_alu instid0(VALU_DEP_3) | instskip(NEXT) | instid1(VALU_DEP_4)
	v_add_co_u32 v30, vcc_lo, v24, v83
	v_add_co_ci_u32_e32 v31, vcc_lo, v25, v84, vcc_lo
	global_store_b16 v[30:31], v85, off
	s_or_b32 exec_lo, exec_lo, s16
	s_and_b32 s16, s7, s8
	s_delay_alu instid0(SALU_CYCLE_1)
	s_and_saveexec_b32 s8, s16
	s_cbranch_execz .LBB211_212
.LBB211_208:
	v_cmp_ne_u32_e32 vcc_lo, 1, v71
	s_cbranch_vccnz .LBB211_210
; %bb.209:
	v_lshlrev_b64 v[30:31], 1, v[46:47]
	s_delay_alu instid0(VALU_DEP_1) | instskip(NEXT) | instid1(VALU_DEP_2)
	v_add_co_u32 v28, vcc_lo, v28, v30
	v_add_co_ci_u32_e32 v29, vcc_lo, v29, v31, vcc_lo
	flat_load_u16 v28, v[28:29]
	s_waitcnt vmcnt(0) lgkmcnt(0)
	v_mul_f16_e32 v28, s15, v28
	s_branch .LBB211_211
.LBB211_210:
	v_mov_b32_e32 v28, 0
.LBB211_211:
	v_pk_add_f16 v26, v2, v26
	v_pk_max_f16 v29, v82, v82
	v_pk_add_f16 v27, v3, v27
	s_delay_alu instid0(VALU_DEP_2) | instskip(NEXT) | instid1(VALU_DEP_1)
	v_pk_min_f16 v26, v29, v26
	v_pk_min_f16 v29, v26, v27
	v_lshlrev_b64 v[26:27], 1, v[46:47]
	s_delay_alu instid0(VALU_DEP_2) | instskip(NEXT) | instid1(VALU_DEP_2)
	v_lshrrev_b32_e32 v30, 16, v29
	v_add_co_u32 v24, vcc_lo, v24, v26
	s_delay_alu instid0(VALU_DEP_3) | instskip(NEXT) | instid1(VALU_DEP_3)
	v_add_co_ci_u32_e32 v25, vcc_lo, v25, v27, vcc_lo
	v_min3_f16 v28, v28, v29, v30
	global_store_b16 v[24:25], v28, off
.LBB211_212:
	s_or_b32 exec_lo, exec_lo, s8
	v_add_nc_u32_e32 v28, 32, v79
	s_delay_alu instid0(VALU_DEP_1) | instskip(SKIP_2) | instid1(VALU_DEP_3)
	v_mad_i64_i32 v[24:25], null, v28, s14, 0
	v_mad_i64_i32 v[26:27], null, v28, s9, 0
	v_cmp_gt_i32_e64 s8, s17, v28
	v_lshlrev_b64 v[24:25], 1, v[24:25]
	s_delay_alu instid0(VALU_DEP_2) | instskip(NEXT) | instid1(VALU_DEP_3)
	s_and_b32 s18, s0, s8
	v_lshlrev_b64 v[28:29], 1, v[26:27]
	s_delay_alu instid0(VALU_DEP_2) | instskip(NEXT) | instid1(VALU_DEP_3)
	v_add_co_u32 v26, vcc_lo, s10, v24
	v_add_co_ci_u32_e32 v27, vcc_lo, s11, v25, vcc_lo
	s_delay_alu instid0(VALU_DEP_3) | instskip(NEXT) | instid1(VALU_DEP_4)
	v_add_co_u32 v24, vcc_lo, s12, v28
	v_add_co_ci_u32_e32 v25, vcc_lo, s13, v29, vcc_lo
	s_and_saveexec_b32 s16, s18
	s_cbranch_execnz .LBB211_220
; %bb.213:
	s_or_b32 exec_lo, exec_lo, s16
	s_and_b32 s18, s1, s8
	s_delay_alu instid0(SALU_CYCLE_1)
	s_and_saveexec_b32 s16, s18
	s_cbranch_execnz .LBB211_224
.LBB211_214:
	s_or_b32 exec_lo, exec_lo, s16
	s_and_b32 s18, s2, s8
	s_delay_alu instid0(SALU_CYCLE_1)
	s_and_saveexec_b32 s16, s18
	s_cbranch_execnz .LBB211_228
.LBB211_215:
	s_or_b32 exec_lo, exec_lo, s16
	s_and_b32 s18, s3, s8
	s_delay_alu instid0(SALU_CYCLE_1)
	s_and_saveexec_b32 s16, s18
	s_cbranch_execnz .LBB211_232
.LBB211_216:
	s_or_b32 exec_lo, exec_lo, s16
	s_and_b32 s18, s4, s8
	s_delay_alu instid0(SALU_CYCLE_1)
	s_and_saveexec_b32 s16, s18
	s_cbranch_execnz .LBB211_236
.LBB211_217:
	s_or_b32 exec_lo, exec_lo, s16
	s_and_b32 s18, s5, s8
	s_delay_alu instid0(SALU_CYCLE_1)
	s_and_saveexec_b32 s16, s18
	s_cbranch_execnz .LBB211_240
.LBB211_218:
	s_or_b32 exec_lo, exec_lo, s16
	s_and_b32 s18, s6, s8
	s_delay_alu instid0(SALU_CYCLE_1)
	s_and_saveexec_b32 s16, s18
	s_cbranch_execnz .LBB211_244
.LBB211_219:
	s_or_b32 exec_lo, exec_lo, s16
	s_and_b32 s16, s7, s8
	s_delay_alu instid0(SALU_CYCLE_1)
	s_and_saveexec_b32 s8, s16
	s_cbranch_execnz .LBB211_248
	s_branch .LBB211_252
.LBB211_220:
	v_cmp_ne_u32_e32 vcc_lo, 1, v71
	s_cbranch_vccnz .LBB211_222
; %bb.221:
	v_lshlrev_b64 v[28:29], 1, v[32:33]
	s_delay_alu instid0(VALU_DEP_1) | instskip(NEXT) | instid1(VALU_DEP_2)
	v_add_co_u32 v28, vcc_lo, v26, v28
	v_add_co_ci_u32_e32 v29, vcc_lo, v27, v29, vcc_lo
	flat_load_u16 v28, v[28:29]
	s_waitcnt vmcnt(0) lgkmcnt(0)
	v_mul_f16_e32 v28, s15, v28
	s_branch .LBB211_223
.LBB211_222:
	v_mov_b32_e32 v28, 0
.LBB211_223:
	v_pk_add_f16 v29, v16, v20
	v_pk_max_f16 v30, v81, v81
	v_pk_add_f16 v31, v17, v21
	s_delay_alu instid0(VALU_DEP_2) | instskip(NEXT) | instid1(VALU_DEP_1)
	v_pk_min_f16 v29, v30, v29
	v_pk_min_f16 v31, v29, v31
	v_lshlrev_b64 v[29:30], 1, v[32:33]
	s_delay_alu instid0(VALU_DEP_2) | instskip(NEXT) | instid1(VALU_DEP_1)
	v_lshrrev_b32_e32 v81, 16, v31
	v_min3_f16 v31, v28, v31, v81
	s_delay_alu instid0(VALU_DEP_3) | instskip(NEXT) | instid1(VALU_DEP_4)
	v_add_co_u32 v28, vcc_lo, v24, v29
	v_add_co_ci_u32_e32 v29, vcc_lo, v25, v30, vcc_lo
	global_store_b16 v[28:29], v31, off
	s_or_b32 exec_lo, exec_lo, s16
	s_and_b32 s18, s1, s8
	s_delay_alu instid0(SALU_CYCLE_1)
	s_and_saveexec_b32 s16, s18
	s_cbranch_execz .LBB211_214
.LBB211_224:
	v_cmp_ne_u32_e32 vcc_lo, 1, v71
	s_cbranch_vccnz .LBB211_226
; %bb.225:
	v_lshlrev_b64 v[28:29], 1, v[34:35]
	s_delay_alu instid0(VALU_DEP_1) | instskip(NEXT) | instid1(VALU_DEP_2)
	v_add_co_u32 v28, vcc_lo, v26, v28
	v_add_co_ci_u32_e32 v29, vcc_lo, v27, v29, vcc_lo
	flat_load_u16 v28, v[28:29]
	s_waitcnt vmcnt(0) lgkmcnt(0)
	v_mul_f16_e32 v28, s15, v28
	s_branch .LBB211_227
.LBB211_226:
	v_mov_b32_e32 v28, 0
.LBB211_227:
	v_pk_add_f16 v29, v18, v20
	v_pk_max_f16 v30, v80, v80
	v_pk_add_f16 v31, v19, v21
	s_delay_alu instid0(VALU_DEP_2) | instskip(NEXT) | instid1(VALU_DEP_1)
	v_pk_min_f16 v29, v30, v29
	v_pk_min_f16 v31, v29, v31
	v_lshlrev_b64 v[29:30], 1, v[34:35]
	s_delay_alu instid0(VALU_DEP_2) | instskip(NEXT) | instid1(VALU_DEP_1)
	v_lshrrev_b32_e32 v80, 16, v31
	v_min3_f16 v31, v28, v31, v80
	s_delay_alu instid0(VALU_DEP_3) | instskip(NEXT) | instid1(VALU_DEP_4)
	v_add_co_u32 v28, vcc_lo, v24, v29
	v_add_co_ci_u32_e32 v29, vcc_lo, v25, v30, vcc_lo
	global_store_b16 v[28:29], v31, off
	s_or_b32 exec_lo, exec_lo, s16
	s_and_b32 s18, s2, s8
	s_delay_alu instid0(SALU_CYCLE_1)
	s_and_saveexec_b32 s16, s18
	s_cbranch_execz .LBB211_215
.LBB211_228:
	v_cmp_ne_u32_e32 vcc_lo, 1, v71
	s_cbranch_vccnz .LBB211_230
; %bb.229:
	v_lshlrev_b64 v[28:29], 1, v[36:37]
	s_delay_alu instid0(VALU_DEP_1) | instskip(NEXT) | instid1(VALU_DEP_2)
	v_add_co_u32 v28, vcc_lo, v26, v28
	v_add_co_ci_u32_e32 v29, vcc_lo, v27, v29, vcc_lo
	flat_load_u16 v28, v[28:29]
	s_waitcnt vmcnt(0) lgkmcnt(0)
	v_mul_f16_e32 v28, s15, v28
	s_branch .LBB211_231
.LBB211_230:
	v_mov_b32_e32 v28, 0
.LBB211_231:
	v_pk_add_f16 v29, v12, v20
	v_pk_max_f16 v30, v78, v78
	v_pk_add_f16 v31, v13, v21
	s_delay_alu instid0(VALU_DEP_2) | instskip(NEXT) | instid1(VALU_DEP_1)
	v_pk_min_f16 v29, v30, v29
	v_pk_min_f16 v31, v29, v31
	v_lshlrev_b64 v[29:30], 1, v[36:37]
	s_delay_alu instid0(VALU_DEP_2) | instskip(NEXT) | instid1(VALU_DEP_1)
	v_lshrrev_b32_e32 v78, 16, v31
	v_min3_f16 v31, v28, v31, v78
	s_delay_alu instid0(VALU_DEP_3) | instskip(NEXT) | instid1(VALU_DEP_4)
	v_add_co_u32 v28, vcc_lo, v24, v29
	v_add_co_ci_u32_e32 v29, vcc_lo, v25, v30, vcc_lo
	global_store_b16 v[28:29], v31, off
	s_or_b32 exec_lo, exec_lo, s16
	s_and_b32 s18, s3, s8
	s_delay_alu instid0(SALU_CYCLE_1)
	s_and_saveexec_b32 s16, s18
	s_cbranch_execz .LBB211_216
.LBB211_232:
	v_cmp_ne_u32_e32 vcc_lo, 1, v71
	s_cbranch_vccnz .LBB211_234
; %bb.233:
	v_lshlrev_b64 v[28:29], 1, v[38:39]
	s_delay_alu instid0(VALU_DEP_1) | instskip(NEXT) | instid1(VALU_DEP_2)
	v_add_co_u32 v28, vcc_lo, v26, v28
	v_add_co_ci_u32_e32 v29, vcc_lo, v27, v29, vcc_lo
	flat_load_u16 v28, v[28:29]
	s_waitcnt vmcnt(0) lgkmcnt(0)
	v_mul_f16_e32 v28, s15, v28
	s_branch .LBB211_235
.LBB211_234:
	v_mov_b32_e32 v28, 0
.LBB211_235:
	v_pk_add_f16 v29, v14, v20
	v_pk_max_f16 v30, v77, v77
	v_pk_add_f16 v31, v15, v21
	s_delay_alu instid0(VALU_DEP_2) | instskip(NEXT) | instid1(VALU_DEP_1)
	v_pk_min_f16 v29, v30, v29
	v_pk_min_f16 v31, v29, v31
	v_lshlrev_b64 v[29:30], 1, v[38:39]
	s_delay_alu instid0(VALU_DEP_2) | instskip(NEXT) | instid1(VALU_DEP_1)
	v_lshrrev_b32_e32 v77, 16, v31
	v_min3_f16 v31, v28, v31, v77
	s_delay_alu instid0(VALU_DEP_3) | instskip(NEXT) | instid1(VALU_DEP_4)
	v_add_co_u32 v28, vcc_lo, v24, v29
	v_add_co_ci_u32_e32 v29, vcc_lo, v25, v30, vcc_lo
	global_store_b16 v[28:29], v31, off
	s_or_b32 exec_lo, exec_lo, s16
	s_and_b32 s18, s4, s8
	s_delay_alu instid0(SALU_CYCLE_1)
	s_and_saveexec_b32 s16, s18
	s_cbranch_execz .LBB211_217
.LBB211_236:
	v_cmp_ne_u32_e32 vcc_lo, 1, v71
	s_cbranch_vccnz .LBB211_238
; %bb.237:
	v_lshlrev_b64 v[28:29], 1, v[40:41]
	s_delay_alu instid0(VALU_DEP_1) | instskip(NEXT) | instid1(VALU_DEP_2)
	v_add_co_u32 v28, vcc_lo, v26, v28
	v_add_co_ci_u32_e32 v29, vcc_lo, v27, v29, vcc_lo
	flat_load_u16 v28, v[28:29]
	s_waitcnt vmcnt(0) lgkmcnt(0)
	v_mul_f16_e32 v28, s15, v28
	s_branch .LBB211_239
.LBB211_238:
	v_mov_b32_e32 v28, 0
.LBB211_239:
	v_pk_add_f16 v29, v8, v20
	v_pk_max_f16 v30, v76, v76
	v_pk_add_f16 v31, v9, v21
	s_delay_alu instid0(VALU_DEP_2) | instskip(NEXT) | instid1(VALU_DEP_1)
	v_pk_min_f16 v29, v30, v29
	v_pk_min_f16 v31, v29, v31
	v_lshlrev_b64 v[29:30], 1, v[40:41]
	s_delay_alu instid0(VALU_DEP_2) | instskip(NEXT) | instid1(VALU_DEP_1)
	v_lshrrev_b32_e32 v76, 16, v31
	v_min3_f16 v31, v28, v31, v76
	s_delay_alu instid0(VALU_DEP_3) | instskip(NEXT) | instid1(VALU_DEP_4)
	v_add_co_u32 v28, vcc_lo, v24, v29
	v_add_co_ci_u32_e32 v29, vcc_lo, v25, v30, vcc_lo
	global_store_b16 v[28:29], v31, off
	s_or_b32 exec_lo, exec_lo, s16
	s_and_b32 s18, s5, s8
	s_delay_alu instid0(SALU_CYCLE_1)
	s_and_saveexec_b32 s16, s18
	s_cbranch_execz .LBB211_218
.LBB211_240:
	v_cmp_ne_u32_e32 vcc_lo, 1, v71
	s_cbranch_vccnz .LBB211_242
; %bb.241:
	v_lshlrev_b64 v[28:29], 1, v[42:43]
	s_delay_alu instid0(VALU_DEP_1) | instskip(NEXT) | instid1(VALU_DEP_2)
	v_add_co_u32 v28, vcc_lo, v26, v28
	v_add_co_ci_u32_e32 v29, vcc_lo, v27, v29, vcc_lo
	flat_load_u16 v28, v[28:29]
	s_waitcnt vmcnt(0) lgkmcnt(0)
	v_mul_f16_e32 v28, s15, v28
	s_branch .LBB211_243
.LBB211_242:
	v_mov_b32_e32 v28, 0
.LBB211_243:
	v_pk_add_f16 v29, v10, v20
	v_pk_max_f16 v30, v75, v75
	v_pk_add_f16 v31, v11, v21
	s_delay_alu instid0(VALU_DEP_2) | instskip(NEXT) | instid1(VALU_DEP_1)
	v_pk_min_f16 v29, v30, v29
	v_pk_min_f16 v31, v29, v31
	v_lshlrev_b64 v[29:30], 1, v[42:43]
	s_delay_alu instid0(VALU_DEP_2) | instskip(NEXT) | instid1(VALU_DEP_1)
	v_lshrrev_b32_e32 v75, 16, v31
	v_min3_f16 v31, v28, v31, v75
	s_delay_alu instid0(VALU_DEP_3) | instskip(NEXT) | instid1(VALU_DEP_4)
	v_add_co_u32 v28, vcc_lo, v24, v29
	v_add_co_ci_u32_e32 v29, vcc_lo, v25, v30, vcc_lo
	global_store_b16 v[28:29], v31, off
	s_or_b32 exec_lo, exec_lo, s16
	s_and_b32 s18, s6, s8
	s_delay_alu instid0(SALU_CYCLE_1)
	s_and_saveexec_b32 s16, s18
	s_cbranch_execz .LBB211_219
.LBB211_244:
	v_cmp_ne_u32_e32 vcc_lo, 1, v71
	s_cbranch_vccnz .LBB211_246
; %bb.245:
	v_lshlrev_b64 v[28:29], 1, v[44:45]
	s_delay_alu instid0(VALU_DEP_1) | instskip(NEXT) | instid1(VALU_DEP_2)
	v_add_co_u32 v28, vcc_lo, v26, v28
	v_add_co_ci_u32_e32 v29, vcc_lo, v27, v29, vcc_lo
	flat_load_u16 v28, v[28:29]
	s_waitcnt vmcnt(0) lgkmcnt(0)
	v_mul_f16_e32 v28, s15, v28
	s_branch .LBB211_247
.LBB211_246:
	v_mov_b32_e32 v28, 0
.LBB211_247:
	v_pk_add_f16 v29, v0, v20
	v_pk_max_f16 v30, v74, v74
	v_pk_add_f16 v31, v1, v21
	s_delay_alu instid0(VALU_DEP_2) | instskip(NEXT) | instid1(VALU_DEP_1)
	v_pk_min_f16 v29, v30, v29
	v_pk_min_f16 v31, v29, v31
	v_lshlrev_b64 v[29:30], 1, v[44:45]
	s_delay_alu instid0(VALU_DEP_2) | instskip(NEXT) | instid1(VALU_DEP_1)
	v_lshrrev_b32_e32 v74, 16, v31
	v_min3_f16 v31, v28, v31, v74
	s_delay_alu instid0(VALU_DEP_3) | instskip(NEXT) | instid1(VALU_DEP_4)
	v_add_co_u32 v28, vcc_lo, v24, v29
	v_add_co_ci_u32_e32 v29, vcc_lo, v25, v30, vcc_lo
	global_store_b16 v[28:29], v31, off
	s_or_b32 exec_lo, exec_lo, s16
	s_and_b32 s16, s7, s8
	s_delay_alu instid0(SALU_CYCLE_1)
	s_and_saveexec_b32 s8, s16
	s_cbranch_execz .LBB211_252
.LBB211_248:
	v_cmp_ne_u32_e32 vcc_lo, 1, v71
	s_cbranch_vccnz .LBB211_250
; %bb.249:
	v_lshlrev_b64 v[28:29], 1, v[46:47]
	s_delay_alu instid0(VALU_DEP_1) | instskip(NEXT) | instid1(VALU_DEP_2)
	v_add_co_u32 v26, vcc_lo, v26, v28
	v_add_co_ci_u32_e32 v27, vcc_lo, v27, v29, vcc_lo
	flat_load_u16 v26, v[26:27]
	s_waitcnt vmcnt(0) lgkmcnt(0)
	v_mul_f16_e32 v26, s15, v26
	s_branch .LBB211_251
.LBB211_250:
	v_mov_b32_e32 v26, 0
.LBB211_251:
	v_pk_add_f16 v20, v2, v20
	v_pk_max_f16 v27, v73, v73
	v_pk_add_f16 v21, v3, v21
	s_delay_alu instid0(VALU_DEP_2) | instskip(NEXT) | instid1(VALU_DEP_1)
	v_pk_min_f16 v20, v27, v20
	v_pk_min_f16 v27, v20, v21
	v_lshlrev_b64 v[20:21], 1, v[46:47]
	s_delay_alu instid0(VALU_DEP_2) | instskip(NEXT) | instid1(VALU_DEP_2)
	v_lshrrev_b32_e32 v28, 16, v27
	v_add_co_u32 v20, vcc_lo, v24, v20
	s_delay_alu instid0(VALU_DEP_3) | instskip(NEXT) | instid1(VALU_DEP_3)
	v_add_co_ci_u32_e32 v21, vcc_lo, v25, v21, vcc_lo
	v_min3_f16 v26, v26, v27, v28
	global_store_b16 v[20:21], v26, off
.LBB211_252:
	s_or_b32 exec_lo, exec_lo, s8
	v_add_nc_u32_e32 v26, 40, v79
	s_delay_alu instid0(VALU_DEP_1) | instskip(SKIP_2) | instid1(VALU_DEP_3)
	v_mad_i64_i32 v[20:21], null, v26, s14, 0
	v_mad_i64_i32 v[24:25], null, v26, s9, 0
	v_cmp_gt_i32_e64 s8, s17, v26
	v_lshlrev_b64 v[20:21], 1, v[20:21]
	s_delay_alu instid0(VALU_DEP_2) | instskip(NEXT) | instid1(VALU_DEP_3)
	s_and_b32 s18, s0, s8
	v_lshlrev_b64 v[26:27], 1, v[24:25]
	s_delay_alu instid0(VALU_DEP_2) | instskip(NEXT) | instid1(VALU_DEP_3)
	v_add_co_u32 v24, vcc_lo, s10, v20
	v_add_co_ci_u32_e32 v25, vcc_lo, s11, v21, vcc_lo
	s_delay_alu instid0(VALU_DEP_3) | instskip(NEXT) | instid1(VALU_DEP_4)
	v_add_co_u32 v20, vcc_lo, s12, v26
	v_add_co_ci_u32_e32 v21, vcc_lo, s13, v27, vcc_lo
	s_and_saveexec_b32 s16, s18
	s_cbranch_execnz .LBB211_260
; %bb.253:
	s_or_b32 exec_lo, exec_lo, s16
	s_and_b32 s18, s1, s8
	s_delay_alu instid0(SALU_CYCLE_1)
	s_and_saveexec_b32 s16, s18
	s_cbranch_execnz .LBB211_264
.LBB211_254:
	s_or_b32 exec_lo, exec_lo, s16
	s_and_b32 s18, s2, s8
	s_delay_alu instid0(SALU_CYCLE_1)
	s_and_saveexec_b32 s16, s18
	s_cbranch_execnz .LBB211_268
.LBB211_255:
	s_or_b32 exec_lo, exec_lo, s16
	s_and_b32 s18, s3, s8
	s_delay_alu instid0(SALU_CYCLE_1)
	s_and_saveexec_b32 s16, s18
	s_cbranch_execnz .LBB211_272
.LBB211_256:
	s_or_b32 exec_lo, exec_lo, s16
	s_and_b32 s18, s4, s8
	s_delay_alu instid0(SALU_CYCLE_1)
	s_and_saveexec_b32 s16, s18
	s_cbranch_execnz .LBB211_276
.LBB211_257:
	s_or_b32 exec_lo, exec_lo, s16
	s_and_b32 s18, s5, s8
	s_delay_alu instid0(SALU_CYCLE_1)
	s_and_saveexec_b32 s16, s18
	s_cbranch_execnz .LBB211_280
.LBB211_258:
	s_or_b32 exec_lo, exec_lo, s16
	s_and_b32 s18, s6, s8
	s_delay_alu instid0(SALU_CYCLE_1)
	s_and_saveexec_b32 s16, s18
	s_cbranch_execnz .LBB211_284
.LBB211_259:
	s_or_b32 exec_lo, exec_lo, s16
	s_and_b32 s16, s7, s8
	s_delay_alu instid0(SALU_CYCLE_1)
	s_and_saveexec_b32 s8, s16
	s_cbranch_execnz .LBB211_288
	s_branch .LBB211_292
.LBB211_260:
	v_cmp_ne_u32_e32 vcc_lo, 1, v71
	s_cbranch_vccnz .LBB211_262
; %bb.261:
	v_lshlrev_b64 v[26:27], 1, v[32:33]
	s_delay_alu instid0(VALU_DEP_1) | instskip(NEXT) | instid1(VALU_DEP_2)
	v_add_co_u32 v26, vcc_lo, v24, v26
	v_add_co_ci_u32_e32 v27, vcc_lo, v25, v27, vcc_lo
	flat_load_u16 v26, v[26:27]
	s_waitcnt vmcnt(0) lgkmcnt(0)
	v_mul_f16_e32 v26, s15, v26
	s_branch .LBB211_263
.LBB211_262:
	v_mov_b32_e32 v26, 0
.LBB211_263:
	v_pk_add_f16 v27, v16, v22
	v_pk_max_f16 v28, v72, v72
	v_pk_add_f16 v29, v17, v23
	s_delay_alu instid0(VALU_DEP_2) | instskip(NEXT) | instid1(VALU_DEP_1)
	v_pk_min_f16 v27, v28, v27
	v_pk_min_f16 v29, v27, v29
	v_lshlrev_b64 v[27:28], 1, v[32:33]
	s_delay_alu instid0(VALU_DEP_2) | instskip(NEXT) | instid1(VALU_DEP_1)
	v_lshrrev_b32_e32 v30, 16, v29
	v_min3_f16 v29, v26, v29, v30
	s_delay_alu instid0(VALU_DEP_3) | instskip(NEXT) | instid1(VALU_DEP_4)
	v_add_co_u32 v26, vcc_lo, v20, v27
	v_add_co_ci_u32_e32 v27, vcc_lo, v21, v28, vcc_lo
	global_store_b16 v[26:27], v29, off
	s_or_b32 exec_lo, exec_lo, s16
	s_and_b32 s18, s1, s8
	s_delay_alu instid0(SALU_CYCLE_1)
	s_and_saveexec_b32 s16, s18
	s_cbranch_execz .LBB211_254
.LBB211_264:
	v_cmp_ne_u32_e32 vcc_lo, 1, v71
	s_cbranch_vccnz .LBB211_266
; %bb.265:
	v_lshlrev_b64 v[26:27], 1, v[34:35]
	s_delay_alu instid0(VALU_DEP_1) | instskip(NEXT) | instid1(VALU_DEP_2)
	v_add_co_u32 v26, vcc_lo, v24, v26
	v_add_co_ci_u32_e32 v27, vcc_lo, v25, v27, vcc_lo
	flat_load_u16 v26, v[26:27]
	s_waitcnt vmcnt(0) lgkmcnt(0)
	v_mul_f16_e32 v26, s15, v26
	s_branch .LBB211_267
.LBB211_266:
	v_mov_b32_e32 v26, 0
.LBB211_267:
	v_pk_add_f16 v27, v18, v22
	v_pk_max_f16 v28, v70, v70
	v_pk_add_f16 v29, v19, v23
	s_delay_alu instid0(VALU_DEP_2) | instskip(NEXT) | instid1(VALU_DEP_1)
	v_pk_min_f16 v27, v28, v27
	v_pk_min_f16 v29, v27, v29
	v_lshlrev_b64 v[27:28], 1, v[34:35]
	s_delay_alu instid0(VALU_DEP_2) | instskip(NEXT) | instid1(VALU_DEP_1)
	v_lshrrev_b32_e32 v30, 16, v29
	v_min3_f16 v29, v26, v29, v30
	s_delay_alu instid0(VALU_DEP_3) | instskip(NEXT) | instid1(VALU_DEP_4)
	v_add_co_u32 v26, vcc_lo, v20, v27
	v_add_co_ci_u32_e32 v27, vcc_lo, v21, v28, vcc_lo
	global_store_b16 v[26:27], v29, off
	s_or_b32 exec_lo, exec_lo, s16
	s_and_b32 s18, s2, s8
	s_delay_alu instid0(SALU_CYCLE_1)
	s_and_saveexec_b32 s16, s18
	s_cbranch_execz .LBB211_255
.LBB211_268:
	v_cmp_ne_u32_e32 vcc_lo, 1, v71
	s_cbranch_vccnz .LBB211_270
; %bb.269:
	v_lshlrev_b64 v[26:27], 1, v[36:37]
	s_delay_alu instid0(VALU_DEP_1) | instskip(NEXT) | instid1(VALU_DEP_2)
	v_add_co_u32 v26, vcc_lo, v24, v26
	v_add_co_ci_u32_e32 v27, vcc_lo, v25, v27, vcc_lo
	flat_load_u16 v26, v[26:27]
	s_waitcnt vmcnt(0) lgkmcnt(0)
	v_mul_f16_e32 v26, s15, v26
	s_branch .LBB211_271
.LBB211_270:
	v_mov_b32_e32 v26, 0
.LBB211_271:
	v_pk_add_f16 v27, v12, v22
	v_pk_max_f16 v28, v69, v69
	v_pk_add_f16 v29, v13, v23
	s_delay_alu instid0(VALU_DEP_2) | instskip(NEXT) | instid1(VALU_DEP_1)
	v_pk_min_f16 v27, v28, v27
	v_pk_min_f16 v29, v27, v29
	v_lshlrev_b64 v[27:28], 1, v[36:37]
	s_delay_alu instid0(VALU_DEP_2) | instskip(NEXT) | instid1(VALU_DEP_1)
	v_lshrrev_b32_e32 v30, 16, v29
	v_min3_f16 v29, v26, v29, v30
	s_delay_alu instid0(VALU_DEP_3) | instskip(NEXT) | instid1(VALU_DEP_4)
	v_add_co_u32 v26, vcc_lo, v20, v27
	v_add_co_ci_u32_e32 v27, vcc_lo, v21, v28, vcc_lo
	global_store_b16 v[26:27], v29, off
	s_or_b32 exec_lo, exec_lo, s16
	s_and_b32 s18, s3, s8
	s_delay_alu instid0(SALU_CYCLE_1)
	s_and_saveexec_b32 s16, s18
	s_cbranch_execz .LBB211_256
.LBB211_272:
	v_cmp_ne_u32_e32 vcc_lo, 1, v71
	s_cbranch_vccnz .LBB211_274
; %bb.273:
	v_lshlrev_b64 v[26:27], 1, v[38:39]
	s_delay_alu instid0(VALU_DEP_1) | instskip(NEXT) | instid1(VALU_DEP_2)
	v_add_co_u32 v26, vcc_lo, v24, v26
	v_add_co_ci_u32_e32 v27, vcc_lo, v25, v27, vcc_lo
	flat_load_u16 v26, v[26:27]
	s_waitcnt vmcnt(0) lgkmcnt(0)
	v_mul_f16_e32 v26, s15, v26
	s_branch .LBB211_275
.LBB211_274:
	v_mov_b32_e32 v26, 0
.LBB211_275:
	v_pk_add_f16 v27, v14, v22
	v_pk_max_f16 v28, v68, v68
	v_pk_add_f16 v29, v15, v23
	s_delay_alu instid0(VALU_DEP_2) | instskip(NEXT) | instid1(VALU_DEP_1)
	v_pk_min_f16 v27, v28, v27
	v_pk_min_f16 v29, v27, v29
	v_lshlrev_b64 v[27:28], 1, v[38:39]
	s_delay_alu instid0(VALU_DEP_2) | instskip(NEXT) | instid1(VALU_DEP_1)
	v_lshrrev_b32_e32 v30, 16, v29
	v_min3_f16 v29, v26, v29, v30
	s_delay_alu instid0(VALU_DEP_3) | instskip(NEXT) | instid1(VALU_DEP_4)
	v_add_co_u32 v26, vcc_lo, v20, v27
	v_add_co_ci_u32_e32 v27, vcc_lo, v21, v28, vcc_lo
	global_store_b16 v[26:27], v29, off
	s_or_b32 exec_lo, exec_lo, s16
	s_and_b32 s18, s4, s8
	s_delay_alu instid0(SALU_CYCLE_1)
	s_and_saveexec_b32 s16, s18
	s_cbranch_execz .LBB211_257
.LBB211_276:
	v_cmp_ne_u32_e32 vcc_lo, 1, v71
	s_cbranch_vccnz .LBB211_278
; %bb.277:
	v_lshlrev_b64 v[26:27], 1, v[40:41]
	s_delay_alu instid0(VALU_DEP_1) | instskip(NEXT) | instid1(VALU_DEP_2)
	v_add_co_u32 v26, vcc_lo, v24, v26
	v_add_co_ci_u32_e32 v27, vcc_lo, v25, v27, vcc_lo
	flat_load_u16 v26, v[26:27]
	s_waitcnt vmcnt(0) lgkmcnt(0)
	v_mul_f16_e32 v26, s15, v26
	s_branch .LBB211_279
.LBB211_278:
	v_mov_b32_e32 v26, 0
.LBB211_279:
	v_pk_add_f16 v27, v8, v22
	v_pk_max_f16 v28, v67, v67
	v_pk_add_f16 v29, v9, v23
	s_delay_alu instid0(VALU_DEP_2) | instskip(NEXT) | instid1(VALU_DEP_1)
	v_pk_min_f16 v27, v28, v27
	v_pk_min_f16 v29, v27, v29
	v_lshlrev_b64 v[27:28], 1, v[40:41]
	s_delay_alu instid0(VALU_DEP_2) | instskip(NEXT) | instid1(VALU_DEP_1)
	v_lshrrev_b32_e32 v30, 16, v29
	v_min3_f16 v29, v26, v29, v30
	s_delay_alu instid0(VALU_DEP_3) | instskip(NEXT) | instid1(VALU_DEP_4)
	v_add_co_u32 v26, vcc_lo, v20, v27
	v_add_co_ci_u32_e32 v27, vcc_lo, v21, v28, vcc_lo
	global_store_b16 v[26:27], v29, off
	s_or_b32 exec_lo, exec_lo, s16
	s_and_b32 s18, s5, s8
	s_delay_alu instid0(SALU_CYCLE_1)
	s_and_saveexec_b32 s16, s18
	s_cbranch_execz .LBB211_258
.LBB211_280:
	v_cmp_ne_u32_e32 vcc_lo, 1, v71
	s_cbranch_vccnz .LBB211_282
; %bb.281:
	v_lshlrev_b64 v[26:27], 1, v[42:43]
	s_delay_alu instid0(VALU_DEP_1) | instskip(NEXT) | instid1(VALU_DEP_2)
	v_add_co_u32 v26, vcc_lo, v24, v26
	v_add_co_ci_u32_e32 v27, vcc_lo, v25, v27, vcc_lo
	flat_load_u16 v26, v[26:27]
	s_waitcnt vmcnt(0) lgkmcnt(0)
	v_mul_f16_e32 v26, s15, v26
	s_branch .LBB211_283
.LBB211_282:
	v_mov_b32_e32 v26, 0
.LBB211_283:
	v_pk_add_f16 v27, v10, v22
	v_pk_max_f16 v28, v66, v66
	v_pk_add_f16 v29, v11, v23
	s_delay_alu instid0(VALU_DEP_2) | instskip(NEXT) | instid1(VALU_DEP_1)
	v_pk_min_f16 v27, v28, v27
	v_pk_min_f16 v29, v27, v29
	v_lshlrev_b64 v[27:28], 1, v[42:43]
	s_delay_alu instid0(VALU_DEP_2) | instskip(NEXT) | instid1(VALU_DEP_1)
	v_lshrrev_b32_e32 v30, 16, v29
	v_min3_f16 v29, v26, v29, v30
	s_delay_alu instid0(VALU_DEP_3) | instskip(NEXT) | instid1(VALU_DEP_4)
	v_add_co_u32 v26, vcc_lo, v20, v27
	v_add_co_ci_u32_e32 v27, vcc_lo, v21, v28, vcc_lo
	global_store_b16 v[26:27], v29, off
	s_or_b32 exec_lo, exec_lo, s16
	s_and_b32 s18, s6, s8
	s_delay_alu instid0(SALU_CYCLE_1)
	s_and_saveexec_b32 s16, s18
	s_cbranch_execz .LBB211_259
.LBB211_284:
	v_cmp_ne_u32_e32 vcc_lo, 1, v71
	s_cbranch_vccnz .LBB211_286
; %bb.285:
	v_lshlrev_b64 v[26:27], 1, v[44:45]
	s_delay_alu instid0(VALU_DEP_1) | instskip(NEXT) | instid1(VALU_DEP_2)
	v_add_co_u32 v26, vcc_lo, v24, v26
	v_add_co_ci_u32_e32 v27, vcc_lo, v25, v27, vcc_lo
	flat_load_u16 v26, v[26:27]
	s_waitcnt vmcnt(0) lgkmcnt(0)
	v_mul_f16_e32 v26, s15, v26
	s_branch .LBB211_287
.LBB211_286:
	v_mov_b32_e32 v26, 0
.LBB211_287:
	v_pk_add_f16 v27, v0, v22
	v_pk_max_f16 v28, v65, v65
	v_pk_add_f16 v29, v1, v23
	s_delay_alu instid0(VALU_DEP_2) | instskip(NEXT) | instid1(VALU_DEP_1)
	v_pk_min_f16 v27, v28, v27
	v_pk_min_f16 v29, v27, v29
	v_lshlrev_b64 v[27:28], 1, v[44:45]
	s_delay_alu instid0(VALU_DEP_2) | instskip(NEXT) | instid1(VALU_DEP_1)
	v_lshrrev_b32_e32 v30, 16, v29
	v_min3_f16 v29, v26, v29, v30
	s_delay_alu instid0(VALU_DEP_3) | instskip(NEXT) | instid1(VALU_DEP_4)
	v_add_co_u32 v26, vcc_lo, v20, v27
	v_add_co_ci_u32_e32 v27, vcc_lo, v21, v28, vcc_lo
	global_store_b16 v[26:27], v29, off
	s_or_b32 exec_lo, exec_lo, s16
	s_and_b32 s16, s7, s8
	s_delay_alu instid0(SALU_CYCLE_1)
	s_and_saveexec_b32 s8, s16
	s_cbranch_execz .LBB211_292
.LBB211_288:
	v_cmp_ne_u32_e32 vcc_lo, 1, v71
	s_cbranch_vccnz .LBB211_290
; %bb.289:
	v_lshlrev_b64 v[26:27], 1, v[46:47]
	s_delay_alu instid0(VALU_DEP_1) | instskip(NEXT) | instid1(VALU_DEP_2)
	v_add_co_u32 v24, vcc_lo, v24, v26
	v_add_co_ci_u32_e32 v25, vcc_lo, v25, v27, vcc_lo
	flat_load_u16 v24, v[24:25]
	s_waitcnt vmcnt(0) lgkmcnt(0)
	v_mul_f16_e32 v24, s15, v24
	s_branch .LBB211_291
.LBB211_290:
	v_mov_b32_e32 v24, 0
.LBB211_291:
	v_pk_add_f16 v22, v2, v22
	v_pk_max_f16 v25, v64, v64
	v_pk_add_f16 v23, v3, v23
	s_delay_alu instid0(VALU_DEP_2) | instskip(NEXT) | instid1(VALU_DEP_1)
	v_pk_min_f16 v22, v25, v22
	v_pk_min_f16 v25, v22, v23
	v_lshlrev_b64 v[22:23], 1, v[46:47]
	s_delay_alu instid0(VALU_DEP_2) | instskip(NEXT) | instid1(VALU_DEP_2)
	v_lshrrev_b32_e32 v26, 16, v25
	v_add_co_u32 v20, vcc_lo, v20, v22
	s_delay_alu instid0(VALU_DEP_3) | instskip(NEXT) | instid1(VALU_DEP_3)
	v_add_co_ci_u32_e32 v21, vcc_lo, v21, v23, vcc_lo
	v_min3_f16 v24, v24, v25, v26
	global_store_b16 v[20:21], v24, off
.LBB211_292:
	s_or_b32 exec_lo, exec_lo, s8
	v_add_nc_u32_e32 v24, 48, v79
	s_delay_alu instid0(VALU_DEP_1) | instskip(SKIP_2) | instid1(VALU_DEP_3)
	v_mad_i64_i32 v[20:21], null, v24, s14, 0
	v_mad_i64_i32 v[22:23], null, v24, s9, 0
	v_cmp_gt_i32_e64 s8, s17, v24
	v_lshlrev_b64 v[20:21], 1, v[20:21]
	s_delay_alu instid0(VALU_DEP_2) | instskip(NEXT) | instid1(VALU_DEP_3)
	s_and_b32 s18, s0, s8
	v_lshlrev_b64 v[24:25], 1, v[22:23]
	s_delay_alu instid0(VALU_DEP_2) | instskip(NEXT) | instid1(VALU_DEP_3)
	v_add_co_u32 v22, vcc_lo, s10, v20
	v_add_co_ci_u32_e32 v23, vcc_lo, s11, v21, vcc_lo
	s_delay_alu instid0(VALU_DEP_3) | instskip(NEXT) | instid1(VALU_DEP_4)
	v_add_co_u32 v20, vcc_lo, s12, v24
	v_add_co_ci_u32_e32 v21, vcc_lo, s13, v25, vcc_lo
	s_and_saveexec_b32 s16, s18
	s_cbranch_execnz .LBB211_300
; %bb.293:
	s_or_b32 exec_lo, exec_lo, s16
	s_and_b32 s18, s1, s8
	s_delay_alu instid0(SALU_CYCLE_1)
	s_and_saveexec_b32 s16, s18
	s_cbranch_execnz .LBB211_304
.LBB211_294:
	s_or_b32 exec_lo, exec_lo, s16
	s_and_b32 s18, s2, s8
	s_delay_alu instid0(SALU_CYCLE_1)
	s_and_saveexec_b32 s16, s18
	s_cbranch_execnz .LBB211_308
.LBB211_295:
	s_or_b32 exec_lo, exec_lo, s16
	s_and_b32 s18, s3, s8
	s_delay_alu instid0(SALU_CYCLE_1)
	s_and_saveexec_b32 s16, s18
	s_cbranch_execnz .LBB211_312
.LBB211_296:
	s_or_b32 exec_lo, exec_lo, s16
	s_and_b32 s18, s4, s8
	s_delay_alu instid0(SALU_CYCLE_1)
	s_and_saveexec_b32 s16, s18
	s_cbranch_execnz .LBB211_316
.LBB211_297:
	s_or_b32 exec_lo, exec_lo, s16
	s_and_b32 s18, s5, s8
	s_delay_alu instid0(SALU_CYCLE_1)
	s_and_saveexec_b32 s16, s18
	s_cbranch_execnz .LBB211_320
.LBB211_298:
	s_or_b32 exec_lo, exec_lo, s16
	s_and_b32 s18, s6, s8
	s_delay_alu instid0(SALU_CYCLE_1)
	s_and_saveexec_b32 s16, s18
	s_cbranch_execnz .LBB211_324
.LBB211_299:
	s_or_b32 exec_lo, exec_lo, s16
	s_and_b32 s16, s7, s8
	s_delay_alu instid0(SALU_CYCLE_1)
	s_and_saveexec_b32 s8, s16
	s_cbranch_execnz .LBB211_328
	s_branch .LBB211_332
.LBB211_300:
	v_cmp_ne_u32_e32 vcc_lo, 1, v71
	s_cbranch_vccnz .LBB211_302
; %bb.301:
	v_lshlrev_b64 v[24:25], 1, v[32:33]
	s_delay_alu instid0(VALU_DEP_1) | instskip(NEXT) | instid1(VALU_DEP_2)
	v_add_co_u32 v24, vcc_lo, v22, v24
	v_add_co_ci_u32_e32 v25, vcc_lo, v23, v25, vcc_lo
	flat_load_u16 v24, v[24:25]
	s_waitcnt vmcnt(0) lgkmcnt(0)
	v_mul_f16_e32 v24, s15, v24
	s_branch .LBB211_303
.LBB211_302:
	v_mov_b32_e32 v24, 0
.LBB211_303:
	v_pk_add_f16 v25, v16, v4
	v_pk_max_f16 v26, v63, v63
	v_pk_add_f16 v27, v17, v5
	s_delay_alu instid0(VALU_DEP_2) | instskip(NEXT) | instid1(VALU_DEP_1)
	v_pk_min_f16 v25, v26, v25
	v_pk_min_f16 v27, v25, v27
	v_lshlrev_b64 v[25:26], 1, v[32:33]
	s_delay_alu instid0(VALU_DEP_2) | instskip(NEXT) | instid1(VALU_DEP_1)
	v_lshrrev_b32_e32 v28, 16, v27
	v_min3_f16 v27, v24, v27, v28
	s_delay_alu instid0(VALU_DEP_3) | instskip(NEXT) | instid1(VALU_DEP_4)
	v_add_co_u32 v24, vcc_lo, v20, v25
	v_add_co_ci_u32_e32 v25, vcc_lo, v21, v26, vcc_lo
	global_store_b16 v[24:25], v27, off
	s_or_b32 exec_lo, exec_lo, s16
	s_and_b32 s18, s1, s8
	s_delay_alu instid0(SALU_CYCLE_1)
	s_and_saveexec_b32 s16, s18
	s_cbranch_execz .LBB211_294
.LBB211_304:
	v_cmp_ne_u32_e32 vcc_lo, 1, v71
	s_cbranch_vccnz .LBB211_306
; %bb.305:
	v_lshlrev_b64 v[24:25], 1, v[34:35]
	s_delay_alu instid0(VALU_DEP_1) | instskip(NEXT) | instid1(VALU_DEP_2)
	v_add_co_u32 v24, vcc_lo, v22, v24
	v_add_co_ci_u32_e32 v25, vcc_lo, v23, v25, vcc_lo
	flat_load_u16 v24, v[24:25]
	s_waitcnt vmcnt(0) lgkmcnt(0)
	v_mul_f16_e32 v24, s15, v24
	s_branch .LBB211_307
.LBB211_306:
	v_mov_b32_e32 v24, 0
.LBB211_307:
	v_pk_add_f16 v25, v18, v4
	v_pk_max_f16 v26, v62, v62
	v_pk_add_f16 v27, v19, v5
	s_delay_alu instid0(VALU_DEP_2) | instskip(NEXT) | instid1(VALU_DEP_1)
	v_pk_min_f16 v25, v26, v25
	v_pk_min_f16 v27, v25, v27
	v_lshlrev_b64 v[25:26], 1, v[34:35]
	s_delay_alu instid0(VALU_DEP_2) | instskip(NEXT) | instid1(VALU_DEP_1)
	v_lshrrev_b32_e32 v28, 16, v27
	v_min3_f16 v27, v24, v27, v28
	s_delay_alu instid0(VALU_DEP_3) | instskip(NEXT) | instid1(VALU_DEP_4)
	v_add_co_u32 v24, vcc_lo, v20, v25
	v_add_co_ci_u32_e32 v25, vcc_lo, v21, v26, vcc_lo
	global_store_b16 v[24:25], v27, off
	s_or_b32 exec_lo, exec_lo, s16
	s_and_b32 s18, s2, s8
	s_delay_alu instid0(SALU_CYCLE_1)
	s_and_saveexec_b32 s16, s18
	s_cbranch_execz .LBB211_295
.LBB211_308:
	v_cmp_ne_u32_e32 vcc_lo, 1, v71
	s_cbranch_vccnz .LBB211_310
; %bb.309:
	v_lshlrev_b64 v[24:25], 1, v[36:37]
	s_delay_alu instid0(VALU_DEP_1) | instskip(NEXT) | instid1(VALU_DEP_2)
	v_add_co_u32 v24, vcc_lo, v22, v24
	v_add_co_ci_u32_e32 v25, vcc_lo, v23, v25, vcc_lo
	flat_load_u16 v24, v[24:25]
	s_waitcnt vmcnt(0) lgkmcnt(0)
	v_mul_f16_e32 v24, s15, v24
	s_branch .LBB211_311
.LBB211_310:
	v_mov_b32_e32 v24, 0
.LBB211_311:
	v_pk_add_f16 v25, v12, v4
	v_pk_max_f16 v26, v61, v61
	v_pk_add_f16 v27, v13, v5
	s_delay_alu instid0(VALU_DEP_2) | instskip(NEXT) | instid1(VALU_DEP_1)
	v_pk_min_f16 v25, v26, v25
	v_pk_min_f16 v27, v25, v27
	v_lshlrev_b64 v[25:26], 1, v[36:37]
	s_delay_alu instid0(VALU_DEP_2) | instskip(NEXT) | instid1(VALU_DEP_1)
	v_lshrrev_b32_e32 v28, 16, v27
	v_min3_f16 v27, v24, v27, v28
	s_delay_alu instid0(VALU_DEP_3) | instskip(NEXT) | instid1(VALU_DEP_4)
	v_add_co_u32 v24, vcc_lo, v20, v25
	v_add_co_ci_u32_e32 v25, vcc_lo, v21, v26, vcc_lo
	global_store_b16 v[24:25], v27, off
	s_or_b32 exec_lo, exec_lo, s16
	s_and_b32 s18, s3, s8
	s_delay_alu instid0(SALU_CYCLE_1)
	s_and_saveexec_b32 s16, s18
	s_cbranch_execz .LBB211_296
.LBB211_312:
	v_cmp_ne_u32_e32 vcc_lo, 1, v71
	s_cbranch_vccnz .LBB211_314
; %bb.313:
	v_lshlrev_b64 v[24:25], 1, v[38:39]
	s_delay_alu instid0(VALU_DEP_1) | instskip(NEXT) | instid1(VALU_DEP_2)
	v_add_co_u32 v24, vcc_lo, v22, v24
	v_add_co_ci_u32_e32 v25, vcc_lo, v23, v25, vcc_lo
	flat_load_u16 v24, v[24:25]
	s_waitcnt vmcnt(0) lgkmcnt(0)
	v_mul_f16_e32 v24, s15, v24
	s_branch .LBB211_315
.LBB211_314:
	v_mov_b32_e32 v24, 0
.LBB211_315:
	v_pk_add_f16 v25, v14, v4
	v_pk_max_f16 v26, v60, v60
	v_pk_add_f16 v27, v15, v5
	s_delay_alu instid0(VALU_DEP_2) | instskip(NEXT) | instid1(VALU_DEP_1)
	v_pk_min_f16 v25, v26, v25
	v_pk_min_f16 v27, v25, v27
	v_lshlrev_b64 v[25:26], 1, v[38:39]
	s_delay_alu instid0(VALU_DEP_2) | instskip(NEXT) | instid1(VALU_DEP_1)
	v_lshrrev_b32_e32 v28, 16, v27
	v_min3_f16 v27, v24, v27, v28
	s_delay_alu instid0(VALU_DEP_3) | instskip(NEXT) | instid1(VALU_DEP_4)
	v_add_co_u32 v24, vcc_lo, v20, v25
	v_add_co_ci_u32_e32 v25, vcc_lo, v21, v26, vcc_lo
	global_store_b16 v[24:25], v27, off
	s_or_b32 exec_lo, exec_lo, s16
	s_and_b32 s18, s4, s8
	s_delay_alu instid0(SALU_CYCLE_1)
	s_and_saveexec_b32 s16, s18
	s_cbranch_execz .LBB211_297
.LBB211_316:
	v_cmp_ne_u32_e32 vcc_lo, 1, v71
	s_cbranch_vccnz .LBB211_318
; %bb.317:
	v_lshlrev_b64 v[24:25], 1, v[40:41]
	s_delay_alu instid0(VALU_DEP_1) | instskip(NEXT) | instid1(VALU_DEP_2)
	v_add_co_u32 v24, vcc_lo, v22, v24
	v_add_co_ci_u32_e32 v25, vcc_lo, v23, v25, vcc_lo
	flat_load_u16 v24, v[24:25]
	s_waitcnt vmcnt(0) lgkmcnt(0)
	v_mul_f16_e32 v24, s15, v24
	s_branch .LBB211_319
.LBB211_318:
	v_mov_b32_e32 v24, 0
.LBB211_319:
	v_pk_add_f16 v25, v8, v4
	v_pk_max_f16 v26, v59, v59
	v_pk_add_f16 v27, v9, v5
	s_delay_alu instid0(VALU_DEP_2) | instskip(NEXT) | instid1(VALU_DEP_1)
	v_pk_min_f16 v25, v26, v25
	v_pk_min_f16 v27, v25, v27
	v_lshlrev_b64 v[25:26], 1, v[40:41]
	s_delay_alu instid0(VALU_DEP_2) | instskip(NEXT) | instid1(VALU_DEP_1)
	v_lshrrev_b32_e32 v28, 16, v27
	v_min3_f16 v27, v24, v27, v28
	s_delay_alu instid0(VALU_DEP_3) | instskip(NEXT) | instid1(VALU_DEP_4)
	v_add_co_u32 v24, vcc_lo, v20, v25
	v_add_co_ci_u32_e32 v25, vcc_lo, v21, v26, vcc_lo
	global_store_b16 v[24:25], v27, off
	s_or_b32 exec_lo, exec_lo, s16
	s_and_b32 s18, s5, s8
	s_delay_alu instid0(SALU_CYCLE_1)
	s_and_saveexec_b32 s16, s18
	s_cbranch_execz .LBB211_298
.LBB211_320:
	v_cmp_ne_u32_e32 vcc_lo, 1, v71
	s_cbranch_vccnz .LBB211_322
; %bb.321:
	v_lshlrev_b64 v[24:25], 1, v[42:43]
	s_delay_alu instid0(VALU_DEP_1) | instskip(NEXT) | instid1(VALU_DEP_2)
	v_add_co_u32 v24, vcc_lo, v22, v24
	v_add_co_ci_u32_e32 v25, vcc_lo, v23, v25, vcc_lo
	flat_load_u16 v24, v[24:25]
	s_waitcnt vmcnt(0) lgkmcnt(0)
	v_mul_f16_e32 v24, s15, v24
	s_branch .LBB211_323
.LBB211_322:
	v_mov_b32_e32 v24, 0
.LBB211_323:
	v_pk_add_f16 v25, v10, v4
	v_pk_max_f16 v26, v58, v58
	v_pk_add_f16 v27, v11, v5
	s_delay_alu instid0(VALU_DEP_2) | instskip(NEXT) | instid1(VALU_DEP_1)
	v_pk_min_f16 v25, v26, v25
	v_pk_min_f16 v27, v25, v27
	v_lshlrev_b64 v[25:26], 1, v[42:43]
	s_delay_alu instid0(VALU_DEP_2) | instskip(NEXT) | instid1(VALU_DEP_1)
	v_lshrrev_b32_e32 v28, 16, v27
	v_min3_f16 v27, v24, v27, v28
	s_delay_alu instid0(VALU_DEP_3) | instskip(NEXT) | instid1(VALU_DEP_4)
	v_add_co_u32 v24, vcc_lo, v20, v25
	v_add_co_ci_u32_e32 v25, vcc_lo, v21, v26, vcc_lo
	global_store_b16 v[24:25], v27, off
	s_or_b32 exec_lo, exec_lo, s16
	s_and_b32 s18, s6, s8
	s_delay_alu instid0(SALU_CYCLE_1)
	s_and_saveexec_b32 s16, s18
	s_cbranch_execz .LBB211_299
.LBB211_324:
	v_cmp_ne_u32_e32 vcc_lo, 1, v71
	s_cbranch_vccnz .LBB211_326
; %bb.325:
	v_lshlrev_b64 v[24:25], 1, v[44:45]
	s_delay_alu instid0(VALU_DEP_1) | instskip(NEXT) | instid1(VALU_DEP_2)
	v_add_co_u32 v24, vcc_lo, v22, v24
	v_add_co_ci_u32_e32 v25, vcc_lo, v23, v25, vcc_lo
	flat_load_u16 v24, v[24:25]
	s_waitcnt vmcnt(0) lgkmcnt(0)
	v_mul_f16_e32 v24, s15, v24
	s_branch .LBB211_327
.LBB211_326:
	v_mov_b32_e32 v24, 0
.LBB211_327:
	v_pk_add_f16 v25, v0, v4
	v_pk_max_f16 v26, v57, v57
	v_pk_add_f16 v27, v1, v5
	s_delay_alu instid0(VALU_DEP_2) | instskip(NEXT) | instid1(VALU_DEP_1)
	v_pk_min_f16 v25, v26, v25
	v_pk_min_f16 v27, v25, v27
	v_lshlrev_b64 v[25:26], 1, v[44:45]
	s_delay_alu instid0(VALU_DEP_2) | instskip(NEXT) | instid1(VALU_DEP_1)
	v_lshrrev_b32_e32 v28, 16, v27
	v_min3_f16 v27, v24, v27, v28
	s_delay_alu instid0(VALU_DEP_3) | instskip(NEXT) | instid1(VALU_DEP_4)
	v_add_co_u32 v24, vcc_lo, v20, v25
	v_add_co_ci_u32_e32 v25, vcc_lo, v21, v26, vcc_lo
	global_store_b16 v[24:25], v27, off
	s_or_b32 exec_lo, exec_lo, s16
	s_and_b32 s16, s7, s8
	s_delay_alu instid0(SALU_CYCLE_1)
	s_and_saveexec_b32 s8, s16
	s_cbranch_execz .LBB211_332
.LBB211_328:
	v_cmp_ne_u32_e32 vcc_lo, 1, v71
	s_cbranch_vccnz .LBB211_330
; %bb.329:
	v_lshlrev_b64 v[24:25], 1, v[46:47]
	s_delay_alu instid0(VALU_DEP_1) | instskip(NEXT) | instid1(VALU_DEP_2)
	v_add_co_u32 v22, vcc_lo, v22, v24
	v_add_co_ci_u32_e32 v23, vcc_lo, v23, v25, vcc_lo
	flat_load_u16 v22, v[22:23]
	s_waitcnt vmcnt(0) lgkmcnt(0)
	v_mul_f16_e32 v22, s15, v22
	s_branch .LBB211_331
.LBB211_330:
	v_mov_b32_e32 v22, 0
.LBB211_331:
	v_pk_add_f16 v4, v2, v4
	v_pk_max_f16 v23, v56, v56
	v_pk_add_f16 v5, v3, v5
	s_delay_alu instid0(VALU_DEP_2) | instskip(NEXT) | instid1(VALU_DEP_1)
	v_pk_min_f16 v4, v23, v4
	v_pk_min_f16 v23, v4, v5
	v_lshlrev_b64 v[4:5], 1, v[46:47]
	s_delay_alu instid0(VALU_DEP_2) | instskip(NEXT) | instid1(VALU_DEP_2)
	v_lshrrev_b32_e32 v24, 16, v23
	v_add_co_u32 v4, vcc_lo, v20, v4
	s_delay_alu instid0(VALU_DEP_3) | instskip(NEXT) | instid1(VALU_DEP_3)
	v_add_co_ci_u32_e32 v5, vcc_lo, v21, v5, vcc_lo
	v_min3_f16 v22, v22, v23, v24
	global_store_b16 v[4:5], v22, off
.LBB211_332:
	s_or_b32 exec_lo, exec_lo, s8
	v_add_nc_u32_e32 v22, 56, v79
	s_delay_alu instid0(VALU_DEP_1) | instskip(SKIP_2) | instid1(VALU_DEP_3)
	v_mad_i64_i32 v[4:5], null, v22, s14, 0
	v_mad_i64_i32 v[20:21], null, v22, s9, 0
	v_cmp_gt_i32_e64 s8, s17, v22
	v_lshlrev_b64 v[4:5], 1, v[4:5]
	s_delay_alu instid0(VALU_DEP_2) | instskip(NEXT) | instid1(VALU_DEP_3)
	s_and_b32 s9, s0, s8
	v_lshlrev_b64 v[20:21], 1, v[20:21]
	s_delay_alu instid0(VALU_DEP_2) | instskip(NEXT) | instid1(VALU_DEP_3)
	v_add_co_u32 v22, vcc_lo, s10, v4
	v_add_co_ci_u32_e32 v23, vcc_lo, s11, v5, vcc_lo
	s_delay_alu instid0(VALU_DEP_3) | instskip(NEXT) | instid1(VALU_DEP_4)
	v_add_co_u32 v20, vcc_lo, s12, v20
	v_add_co_ci_u32_e32 v21, vcc_lo, s13, v21, vcc_lo
	s_and_saveexec_b32 s0, s9
	s_cbranch_execnz .LBB211_341
; %bb.333:
	s_or_b32 exec_lo, exec_lo, s0
	s_and_b32 s1, s1, s8
	s_delay_alu instid0(SALU_CYCLE_1)
	s_and_saveexec_b32 s0, s1
	s_cbranch_execnz .LBB211_345
.LBB211_334:
	s_or_b32 exec_lo, exec_lo, s0
	s_and_b32 s1, s2, s8
	s_delay_alu instid0(SALU_CYCLE_1)
	s_and_saveexec_b32 s0, s1
	s_cbranch_execnz .LBB211_349
.LBB211_335:
	s_or_b32 exec_lo, exec_lo, s0
	s_and_b32 s1, s3, s8
	s_delay_alu instid0(SALU_CYCLE_1)
	s_and_saveexec_b32 s0, s1
	s_cbranch_execnz .LBB211_353
.LBB211_336:
	s_or_b32 exec_lo, exec_lo, s0
	s_and_b32 s1, s4, s8
	s_delay_alu instid0(SALU_CYCLE_1)
	s_and_saveexec_b32 s0, s1
	s_cbranch_execnz .LBB211_357
.LBB211_337:
	s_or_b32 exec_lo, exec_lo, s0
	s_and_b32 s1, s5, s8
	s_delay_alu instid0(SALU_CYCLE_1)
	s_and_saveexec_b32 s0, s1
	s_cbranch_execnz .LBB211_361
.LBB211_338:
	s_or_b32 exec_lo, exec_lo, s0
	s_and_b32 s1, s6, s8
	s_delay_alu instid0(SALU_CYCLE_1)
	s_and_saveexec_b32 s0, s1
	s_cbranch_execnz .LBB211_365
.LBB211_339:
	s_or_b32 exec_lo, exec_lo, s0
	s_and_b32 s0, s7, s8
	s_delay_alu instid0(SALU_CYCLE_1)
	s_and_saveexec_b32 s1, s0
	s_cbranch_execnz .LBB211_369
.LBB211_340:
	s_nop 0
	s_sendmsg sendmsg(MSG_DEALLOC_VGPRS)
	s_endpgm
.LBB211_341:
	v_cmp_ne_u32_e32 vcc_lo, 1, v71
	v_lshlrev_b64 v[4:5], 1, v[32:33]
	s_cbranch_vccnz .LBB211_343
; %bb.342:
	s_delay_alu instid0(VALU_DEP_1) | instskip(NEXT) | instid1(VALU_DEP_2)
	v_add_co_u32 v24, vcc_lo, v22, v4
	v_add_co_ci_u32_e32 v25, vcc_lo, v23, v5, vcc_lo
	flat_load_u16 v24, v[24:25]
	s_waitcnt vmcnt(0) lgkmcnt(0)
	v_mul_f16_e32 v24, s15, v24
	s_branch .LBB211_344
.LBB211_343:
	v_mov_b32_e32 v24, 0
.LBB211_344:
	v_pk_add_f16 v16, v16, v6
	v_pk_max_f16 v25, v55, v55
	v_pk_add_f16 v17, v17, v7
	v_add_co_u32 v4, vcc_lo, v20, v4
	v_add_co_ci_u32_e32 v5, vcc_lo, v21, v5, vcc_lo
	s_delay_alu instid0(VALU_DEP_4) | instskip(NEXT) | instid1(VALU_DEP_1)
	v_pk_min_f16 v16, v25, v16
	v_pk_min_f16 v16, v16, v17
	s_delay_alu instid0(VALU_DEP_1) | instskip(NEXT) | instid1(VALU_DEP_1)
	v_lshrrev_b32_e32 v17, 16, v16
	v_min3_f16 v16, v24, v16, v17
	global_store_b16 v[4:5], v16, off
	s_or_b32 exec_lo, exec_lo, s0
	s_and_b32 s1, s1, s8
	s_delay_alu instid0(SALU_CYCLE_1)
	s_and_saveexec_b32 s0, s1
	s_cbranch_execz .LBB211_334
.LBB211_345:
	v_cmp_ne_u32_e32 vcc_lo, 1, v71
	v_lshlrev_b64 v[4:5], 1, v[34:35]
	s_cbranch_vccnz .LBB211_347
; %bb.346:
	s_delay_alu instid0(VALU_DEP_1) | instskip(NEXT) | instid1(VALU_DEP_2)
	v_add_co_u32 v16, vcc_lo, v22, v4
	v_add_co_ci_u32_e32 v17, vcc_lo, v23, v5, vcc_lo
	flat_load_u16 v16, v[16:17]
	s_waitcnt vmcnt(0) lgkmcnt(0)
	v_mul_f16_e32 v16, s15, v16
	s_branch .LBB211_348
.LBB211_347:
	v_mov_b32_e32 v16, 0
.LBB211_348:
	v_pk_add_f16 v17, v18, v6
	v_pk_max_f16 v18, v54, v54
	v_pk_add_f16 v19, v19, v7
	v_add_co_u32 v4, vcc_lo, v20, v4
	v_add_co_ci_u32_e32 v5, vcc_lo, v21, v5, vcc_lo
	s_delay_alu instid0(VALU_DEP_4) | instskip(NEXT) | instid1(VALU_DEP_1)
	v_pk_min_f16 v17, v18, v17
	v_pk_min_f16 v17, v17, v19
	s_delay_alu instid0(VALU_DEP_1) | instskip(NEXT) | instid1(VALU_DEP_1)
	v_lshrrev_b32_e32 v18, 16, v17
	v_min3_f16 v16, v16, v17, v18
	global_store_b16 v[4:5], v16, off
	s_or_b32 exec_lo, exec_lo, s0
	s_and_b32 s1, s2, s8
	s_delay_alu instid0(SALU_CYCLE_1)
	s_and_saveexec_b32 s0, s1
	s_cbranch_execz .LBB211_335
.LBB211_349:
	v_cmp_ne_u32_e32 vcc_lo, 1, v71
	v_lshlrev_b64 v[4:5], 1, v[36:37]
	s_cbranch_vccnz .LBB211_351
; %bb.350:
	s_delay_alu instid0(VALU_DEP_1) | instskip(NEXT) | instid1(VALU_DEP_2)
	v_add_co_u32 v16, vcc_lo, v22, v4
	v_add_co_ci_u32_e32 v17, vcc_lo, v23, v5, vcc_lo
	flat_load_u16 v16, v[16:17]
	s_waitcnt vmcnt(0) lgkmcnt(0)
	v_mul_f16_e32 v16, s15, v16
	s_branch .LBB211_352
.LBB211_351:
	v_mov_b32_e32 v16, 0
.LBB211_352:
	v_pk_add_f16 v12, v12, v6
	v_pk_max_f16 v17, v53, v53
	v_pk_add_f16 v13, v13, v7
	v_add_co_u32 v4, vcc_lo, v20, v4
	v_add_co_ci_u32_e32 v5, vcc_lo, v21, v5, vcc_lo
	s_delay_alu instid0(VALU_DEP_4) | instskip(NEXT) | instid1(VALU_DEP_1)
	v_pk_min_f16 v12, v17, v12
	v_pk_min_f16 v12, v12, v13
	s_delay_alu instid0(VALU_DEP_1) | instskip(NEXT) | instid1(VALU_DEP_1)
	v_lshrrev_b32_e32 v13, 16, v12
	v_min3_f16 v12, v16, v12, v13
	global_store_b16 v[4:5], v12, off
	s_or_b32 exec_lo, exec_lo, s0
	s_and_b32 s1, s3, s8
	s_delay_alu instid0(SALU_CYCLE_1)
	s_and_saveexec_b32 s0, s1
	s_cbranch_execz .LBB211_336
.LBB211_353:
	v_cmp_ne_u32_e32 vcc_lo, 1, v71
	v_lshlrev_b64 v[4:5], 1, v[38:39]
	s_cbranch_vccnz .LBB211_355
; %bb.354:
	s_delay_alu instid0(VALU_DEP_1) | instskip(NEXT) | instid1(VALU_DEP_2)
	v_add_co_u32 v12, vcc_lo, v22, v4
	v_add_co_ci_u32_e32 v13, vcc_lo, v23, v5, vcc_lo
	flat_load_u16 v12, v[12:13]
	s_waitcnt vmcnt(0) lgkmcnt(0)
	v_mul_f16_e32 v12, s15, v12
	s_branch .LBB211_356
.LBB211_355:
	v_mov_b32_e32 v12, 0
.LBB211_356:
	v_pk_add_f16 v13, v14, v6
	v_pk_max_f16 v14, v52, v52
	v_pk_add_f16 v15, v15, v7
	v_add_co_u32 v4, vcc_lo, v20, v4
	v_add_co_ci_u32_e32 v5, vcc_lo, v21, v5, vcc_lo
	s_delay_alu instid0(VALU_DEP_4) | instskip(NEXT) | instid1(VALU_DEP_1)
	v_pk_min_f16 v13, v14, v13
	v_pk_min_f16 v13, v13, v15
	s_delay_alu instid0(VALU_DEP_1) | instskip(NEXT) | instid1(VALU_DEP_1)
	v_lshrrev_b32_e32 v14, 16, v13
	v_min3_f16 v12, v12, v13, v14
	global_store_b16 v[4:5], v12, off
	s_or_b32 exec_lo, exec_lo, s0
	s_and_b32 s1, s4, s8
	s_delay_alu instid0(SALU_CYCLE_1)
	s_and_saveexec_b32 s0, s1
	s_cbranch_execz .LBB211_337
.LBB211_357:
	v_cmp_ne_u32_e32 vcc_lo, 1, v71
	v_lshlrev_b64 v[4:5], 1, v[40:41]
	s_cbranch_vccnz .LBB211_359
; %bb.358:
	s_delay_alu instid0(VALU_DEP_1) | instskip(NEXT) | instid1(VALU_DEP_2)
	v_add_co_u32 v12, vcc_lo, v22, v4
	v_add_co_ci_u32_e32 v13, vcc_lo, v23, v5, vcc_lo
	flat_load_u16 v12, v[12:13]
	s_waitcnt vmcnt(0) lgkmcnt(0)
	v_mul_f16_e32 v12, s15, v12
	s_branch .LBB211_360
.LBB211_359:
	v_mov_b32_e32 v12, 0
.LBB211_360:
	v_pk_add_f16 v8, v8, v6
	v_pk_max_f16 v13, v51, v51
	v_pk_add_f16 v9, v9, v7
	v_add_co_u32 v4, vcc_lo, v20, v4
	v_add_co_ci_u32_e32 v5, vcc_lo, v21, v5, vcc_lo
	s_delay_alu instid0(VALU_DEP_4) | instskip(NEXT) | instid1(VALU_DEP_1)
	v_pk_min_f16 v8, v13, v8
	v_pk_min_f16 v8, v8, v9
	s_delay_alu instid0(VALU_DEP_1) | instskip(NEXT) | instid1(VALU_DEP_1)
	v_lshrrev_b32_e32 v9, 16, v8
	v_min3_f16 v8, v12, v8, v9
	global_store_b16 v[4:5], v8, off
	s_or_b32 exec_lo, exec_lo, s0
	s_and_b32 s1, s5, s8
	s_delay_alu instid0(SALU_CYCLE_1)
	s_and_saveexec_b32 s0, s1
	s_cbranch_execz .LBB211_338
.LBB211_361:
	v_cmp_ne_u32_e32 vcc_lo, 1, v71
	v_lshlrev_b64 v[4:5], 1, v[42:43]
	s_cbranch_vccnz .LBB211_363
; %bb.362:
	s_delay_alu instid0(VALU_DEP_1) | instskip(NEXT) | instid1(VALU_DEP_2)
	v_add_co_u32 v8, vcc_lo, v22, v4
	v_add_co_ci_u32_e32 v9, vcc_lo, v23, v5, vcc_lo
	flat_load_u16 v8, v[8:9]
	s_waitcnt vmcnt(0) lgkmcnt(0)
	v_mul_f16_e32 v8, s15, v8
	s_branch .LBB211_364
.LBB211_363:
	v_mov_b32_e32 v8, 0
.LBB211_364:
	v_pk_add_f16 v9, v10, v6
	v_pk_max_f16 v10, v50, v50
	v_pk_add_f16 v11, v11, v7
	v_add_co_u32 v4, vcc_lo, v20, v4
	v_add_co_ci_u32_e32 v5, vcc_lo, v21, v5, vcc_lo
	s_delay_alu instid0(VALU_DEP_4) | instskip(NEXT) | instid1(VALU_DEP_1)
	v_pk_min_f16 v9, v10, v9
	v_pk_min_f16 v9, v9, v11
	s_delay_alu instid0(VALU_DEP_1) | instskip(NEXT) | instid1(VALU_DEP_1)
	v_lshrrev_b32_e32 v10, 16, v9
	v_min3_f16 v8, v8, v9, v10
	global_store_b16 v[4:5], v8, off
	s_or_b32 exec_lo, exec_lo, s0
	s_and_b32 s1, s6, s8
	s_delay_alu instid0(SALU_CYCLE_1)
	s_and_saveexec_b32 s0, s1
	s_cbranch_execz .LBB211_339
.LBB211_365:
	v_cmp_ne_u32_e32 vcc_lo, 1, v71
	v_lshlrev_b64 v[4:5], 1, v[44:45]
	s_cbranch_vccnz .LBB211_367
; %bb.366:
	s_delay_alu instid0(VALU_DEP_1) | instskip(NEXT) | instid1(VALU_DEP_2)
	v_add_co_u32 v8, vcc_lo, v22, v4
	v_add_co_ci_u32_e32 v9, vcc_lo, v23, v5, vcc_lo
	flat_load_u16 v8, v[8:9]
	s_waitcnt vmcnt(0) lgkmcnt(0)
	v_mul_f16_e32 v8, s15, v8
	s_branch .LBB211_368
.LBB211_367:
	v_mov_b32_e32 v8, 0
.LBB211_368:
	v_pk_add_f16 v0, v0, v6
	v_pk_max_f16 v9, v49, v49
	v_pk_add_f16 v1, v1, v7
	s_delay_alu instid0(VALU_DEP_2) | instskip(NEXT) | instid1(VALU_DEP_1)
	v_pk_min_f16 v0, v9, v0
	v_pk_min_f16 v0, v0, v1
	s_delay_alu instid0(VALU_DEP_1) | instskip(NEXT) | instid1(VALU_DEP_1)
	v_lshrrev_b32_e32 v1, 16, v0
	v_min3_f16 v8, v8, v0, v1
	v_add_co_u32 v0, vcc_lo, v20, v4
	v_add_co_ci_u32_e32 v1, vcc_lo, v21, v5, vcc_lo
	global_store_b16 v[0:1], v8, off
	s_or_b32 exec_lo, exec_lo, s0
	s_and_b32 s0, s7, s8
	s_delay_alu instid0(SALU_CYCLE_1)
	s_and_saveexec_b32 s1, s0
	s_cbranch_execz .LBB211_340
.LBB211_369:
	v_cmp_ne_u32_e32 vcc_lo, 1, v71
	v_lshlrev_b64 v[0:1], 1, v[46:47]
	s_cbranch_vccnz .LBB211_371
; %bb.370:
	s_delay_alu instid0(VALU_DEP_1) | instskip(NEXT) | instid1(VALU_DEP_2)
	v_add_co_u32 v4, vcc_lo, v22, v0
	v_add_co_ci_u32_e32 v5, vcc_lo, v23, v1, vcc_lo
	flat_load_u16 v4, v[4:5]
	s_waitcnt vmcnt(0) lgkmcnt(0)
	v_mul_f16_e32 v4, s15, v4
	s_branch .LBB211_372
.LBB211_371:
	v_mov_b32_e32 v4, 0
.LBB211_372:
	v_pk_add_f16 v2, v2, v6
	v_pk_max_f16 v5, v48, v48
	v_pk_add_f16 v3, v3, v7
	v_add_co_u32 v0, vcc_lo, v20, v0
	v_add_co_ci_u32_e32 v1, vcc_lo, v21, v1, vcc_lo
	s_delay_alu instid0(VALU_DEP_4) | instskip(NEXT) | instid1(VALU_DEP_1)
	v_pk_min_f16 v2, v5, v2
	v_pk_min_f16 v2, v2, v3
	s_delay_alu instid0(VALU_DEP_1) | instskip(NEXT) | instid1(VALU_DEP_1)
	v_lshrrev_b32_e32 v3, 16, v2
	v_min3_f16 v2, v4, v2, v3
	global_store_b16 v[0:1], v2, off
	s_nop 0
	s_sendmsg sendmsg(MSG_DEALLOC_VGPRS)
	s_endpgm
	.section	.rodata,"a",@progbits
	.p2align	6, 0x0
	.amdhsa_kernel _ZN12_GLOBAL__N_120geam_min_plus_kernelIDF16_Dv2_DF16_S1_Li32ELi8ELi256ELi64ELi4ELi64ELi4ELi4ELi64ELc78ELc78ELb1ELb1ELb1EDF16_KPKDF16_KPDF16_EEviiiT16_PT17_ilS9_ilS7_S9_ilPT18_ili26rocblas_geam_ex_operation_
		.amdhsa_group_segment_fixed_size 5120
		.amdhsa_private_segment_fixed_size 0
		.amdhsa_kernarg_size 128
		.amdhsa_user_sgpr_count 14
		.amdhsa_user_sgpr_dispatch_ptr 0
		.amdhsa_user_sgpr_queue_ptr 0
		.amdhsa_user_sgpr_kernarg_segment_ptr 1
		.amdhsa_user_sgpr_dispatch_id 0
		.amdhsa_user_sgpr_private_segment_size 0
		.amdhsa_wavefront_size32 1
		.amdhsa_uses_dynamic_stack 0
		.amdhsa_enable_private_segment 0
		.amdhsa_system_sgpr_workgroup_id_x 1
		.amdhsa_system_sgpr_workgroup_id_y 0
		.amdhsa_system_sgpr_workgroup_id_z 1
		.amdhsa_system_sgpr_workgroup_info 0
		.amdhsa_system_vgpr_workitem_id 1
		.amdhsa_next_free_vgpr 159
		.amdhsa_next_free_sgpr 27
		.amdhsa_reserve_vcc 1
		.amdhsa_float_round_mode_32 0
		.amdhsa_float_round_mode_16_64 0
		.amdhsa_float_denorm_mode_32 3
		.amdhsa_float_denorm_mode_16_64 3
		.amdhsa_dx10_clamp 1
		.amdhsa_ieee_mode 1
		.amdhsa_fp16_overflow 0
		.amdhsa_workgroup_processor_mode 1
		.amdhsa_memory_ordered 1
		.amdhsa_forward_progress 0
		.amdhsa_shared_vgpr_count 0
		.amdhsa_exception_fp_ieee_invalid_op 0
		.amdhsa_exception_fp_denorm_src 0
		.amdhsa_exception_fp_ieee_div_zero 0
		.amdhsa_exception_fp_ieee_overflow 0
		.amdhsa_exception_fp_ieee_underflow 0
		.amdhsa_exception_fp_ieee_inexact 0
		.amdhsa_exception_int_div_zero 0
	.end_amdhsa_kernel
	.section	.text._ZN12_GLOBAL__N_120geam_min_plus_kernelIDF16_Dv2_DF16_S1_Li32ELi8ELi256ELi64ELi4ELi64ELi4ELi4ELi64ELc78ELc78ELb1ELb1ELb1EDF16_KPKDF16_KPDF16_EEviiiT16_PT17_ilS9_ilS7_S9_ilPT18_ili26rocblas_geam_ex_operation_,"axG",@progbits,_ZN12_GLOBAL__N_120geam_min_plus_kernelIDF16_Dv2_DF16_S1_Li32ELi8ELi256ELi64ELi4ELi64ELi4ELi4ELi64ELc78ELc78ELb1ELb1ELb1EDF16_KPKDF16_KPDF16_EEviiiT16_PT17_ilS9_ilS7_S9_ilPT18_ili26rocblas_geam_ex_operation_,comdat
.Lfunc_end211:
	.size	_ZN12_GLOBAL__N_120geam_min_plus_kernelIDF16_Dv2_DF16_S1_Li32ELi8ELi256ELi64ELi4ELi64ELi4ELi4ELi64ELc78ELc78ELb1ELb1ELb1EDF16_KPKDF16_KPDF16_EEviiiT16_PT17_ilS9_ilS7_S9_ilPT18_ili26rocblas_geam_ex_operation_, .Lfunc_end211-_ZN12_GLOBAL__N_120geam_min_plus_kernelIDF16_Dv2_DF16_S1_Li32ELi8ELi256ELi64ELi4ELi64ELi4ELi4ELi64ELc78ELc78ELb1ELb1ELb1EDF16_KPKDF16_KPDF16_EEviiiT16_PT17_ilS9_ilS7_S9_ilPT18_ili26rocblas_geam_ex_operation_
                                        ; -- End function
	.section	.AMDGPU.csdata,"",@progbits
; Kernel info:
; codeLenInByte = 22984
; NumSgprs: 29
; NumVgprs: 159
; ScratchSize: 0
; MemoryBound: 0
; FloatMode: 240
; IeeeMode: 1
; LDSByteSize: 5120 bytes/workgroup (compile time only)
; SGPRBlocks: 3
; VGPRBlocks: 19
; NumSGPRsForWavesPerEU: 29
; NumVGPRsForWavesPerEU: 159
; Occupancy: 9
; WaveLimiterHint : 1
; COMPUTE_PGM_RSRC2:SCRATCH_EN: 0
; COMPUTE_PGM_RSRC2:USER_SGPR: 14
; COMPUTE_PGM_RSRC2:TRAP_HANDLER: 0
; COMPUTE_PGM_RSRC2:TGID_X_EN: 1
; COMPUTE_PGM_RSRC2:TGID_Y_EN: 0
; COMPUTE_PGM_RSRC2:TGID_Z_EN: 1
; COMPUTE_PGM_RSRC2:TIDIG_COMP_CNT: 1
	.section	.text._ZN12_GLOBAL__N_120geam_min_plus_kernelIDF16_Dv2_DF16_S1_Li32ELi8ELi256ELi64ELi4ELi64ELi4ELi4ELi64ELc78ELc78ELb0ELb1ELb1EDF16_KPKDF16_KPDF16_EEviiiT16_PT17_ilS9_ilS7_S9_ilPT18_ili26rocblas_geam_ex_operation_,"axG",@progbits,_ZN12_GLOBAL__N_120geam_min_plus_kernelIDF16_Dv2_DF16_S1_Li32ELi8ELi256ELi64ELi4ELi64ELi4ELi4ELi64ELc78ELc78ELb0ELb1ELb1EDF16_KPKDF16_KPDF16_EEviiiT16_PT17_ilS9_ilS7_S9_ilPT18_ili26rocblas_geam_ex_operation_,comdat
	.globl	_ZN12_GLOBAL__N_120geam_min_plus_kernelIDF16_Dv2_DF16_S1_Li32ELi8ELi256ELi64ELi4ELi64ELi4ELi4ELi64ELc78ELc78ELb0ELb1ELb1EDF16_KPKDF16_KPDF16_EEviiiT16_PT17_ilS9_ilS7_S9_ilPT18_ili26rocblas_geam_ex_operation_ ; -- Begin function _ZN12_GLOBAL__N_120geam_min_plus_kernelIDF16_Dv2_DF16_S1_Li32ELi8ELi256ELi64ELi4ELi64ELi4ELi4ELi64ELc78ELc78ELb0ELb1ELb1EDF16_KPKDF16_KPDF16_EEviiiT16_PT17_ilS9_ilS7_S9_ilPT18_ili26rocblas_geam_ex_operation_
	.p2align	8
	.type	_ZN12_GLOBAL__N_120geam_min_plus_kernelIDF16_Dv2_DF16_S1_Li32ELi8ELi256ELi64ELi4ELi64ELi4ELi4ELi64ELc78ELc78ELb0ELb1ELb1EDF16_KPKDF16_KPDF16_EEviiiT16_PT17_ilS9_ilS7_S9_ilPT18_ili26rocblas_geam_ex_operation_,@function
_ZN12_GLOBAL__N_120geam_min_plus_kernelIDF16_Dv2_DF16_S1_Li32ELi8ELi256ELi64ELi4ELi64ELi4ELi4ELi64ELc78ELc78ELb0ELb1ELb1EDF16_KPKDF16_KPDF16_EEviiiT16_PT17_ilS9_ilS7_S9_ilPT18_ili26rocblas_geam_ex_operation_: ; @_ZN12_GLOBAL__N_120geam_min_plus_kernelIDF16_Dv2_DF16_S1_Li32ELi8ELi256ELi64ELi4ELi64ELi4ELi4ELi64ELc78ELc78ELb0ELb1ELb1EDF16_KPKDF16_KPDF16_EEviiiT16_PT17_ilS9_ilS7_S9_ilPT18_ili26rocblas_geam_ex_operation_
; %bb.0:
	s_clause 0x1
	s_load_b128 s[16:19], s[0:1], 0x0
	s_load_b128 s[4:7], s[0:1], 0x20
	s_mov_b32 s2, s15
	s_mov_b32 s3, 0
	s_waitcnt lgkmcnt(0)
	v_cmp_eq_f16_e64 s10, s19, 0
	s_delay_alu instid0(VALU_DEP_1)
	s_and_b32 vcc_lo, exec_lo, s10
	s_cbranch_vccnz .LBB212_3
; %bb.1:
	s_load_b64 s[8:9], s[0:1], 0x10
	s_lshl_b64 s[12:13], s[2:3], 3
	s_waitcnt lgkmcnt(0)
	s_add_u32 s8, s8, s12
	s_addc_u32 s9, s9, s13
	s_lshl_b64 s[4:5], s[4:5], 1
	s_load_b64 s[8:9], s[8:9], 0x0
	s_waitcnt lgkmcnt(0)
	s_add_u32 s8, s8, s4
	s_addc_u32 s9, s9, s5
	s_and_not1_b32 vcc_lo, exec_lo, s10
	s_cbranch_vccnz .LBB212_4
.LBB212_2:
	s_mov_b64 s[20:21], 0
	s_and_not1_b32 vcc_lo, exec_lo, s3
	s_cbranch_vccz .LBB212_5
	s_branch .LBB212_6
.LBB212_3:
	s_mov_b64 s[8:9], 0
	s_and_not1_b32 vcc_lo, exec_lo, s10
	s_cbranch_vccz .LBB212_2
.LBB212_4:
	s_mov_b32 s3, -1
                                        ; implicit-def: $sgpr20_sgpr21
.LBB212_5:
	s_mov_b32 s3, 0
	s_load_b64 s[10:11], s[0:1], 0x38
	s_lshl_b64 s[4:5], s[2:3], 3
	s_delay_alu instid0(SALU_CYCLE_1) | instskip(SKIP_4) | instid1(SALU_CYCLE_1)
	s_add_u32 s4, s6, s4
	s_addc_u32 s5, s7, s5
	s_load_b64 s[4:5], s[4:5], 0x0
	s_waitcnt lgkmcnt(0)
	s_lshl_b64 s[6:7], s[10:11], 1
	s_add_u32 s20, s4, s6
	s_addc_u32 s21, s5, s7
.LBB212_6:
	s_clause 0x1
	s_load_b32 s15, s[0:1], 0x40
	s_load_b128 s[4:7], s[0:1], 0x58
	s_waitcnt lgkmcnt(0)
	v_cmp_eq_f16_e64 s10, s15, 0
	v_cmp_neq_f16_e64 s22, s15, 0
	s_delay_alu instid0(VALU_DEP_2)
	s_and_b32 vcc_lo, exec_lo, s10
	s_cbranch_vccnz .LBB212_8
; %bb.7:
	s_load_b64 s[10:11], s[0:1], 0x48
	s_lshl_b64 s[12:13], s[2:3], 3
	s_waitcnt lgkmcnt(0)
	s_add_u32 s10, s10, s12
	s_addc_u32 s11, s11, s13
	s_lshl_b64 s[4:5], s[4:5], 1
	s_load_b64 s[10:11], s[10:11], 0x0
	s_waitcnt lgkmcnt(0)
	s_add_u32 s10, s10, s4
	s_addc_u32 s11, s11, s5
	s_branch .LBB212_9
.LBB212_8:
	s_mov_b64 s[10:11], 0
.LBB212_9:
	s_lshl_b64 s[2:3], s[2:3], 3
	v_and_b32_e32 v42, 0x3ff, v0
	s_add_u32 s2, s6, s2
	s_addc_u32 s3, s7, s3
	s_add_i32 s6, s16, -1
	v_bfe_u32 v43, v0, 10, 10
	s_ashr_i32 s4, s6, 31
	s_load_b32 s25, s[0:1], 0x18
	s_lshr_b32 s4, s4, 24
	s_delay_alu instid0(SALU_CYCLE_1) | instskip(SKIP_2) | instid1(SALU_CYCLE_1)
	s_add_i32 s4, s6, s4
	v_lshl_add_u32 v5, v43, 5, v42
	s_ashr_i32 s4, s4, 8
	s_add_i32 s5, s4, 1
	s_not_b32 s4, s4
	v_cvt_f32_u32_e32 v1, s5
	v_lshrrev_b32_e32 v44, 6, v5
	v_and_b32_e32 v0, 63, v5
	s_delay_alu instid0(VALU_DEP_3) | instskip(SKIP_2) | instid1(VALU_DEP_1)
	v_rcp_iflag_f32_e32 v1, v1
	s_waitcnt_depctr 0xfff
	v_mul_f32_e32 v1, 0x4f7ffffe, v1
	v_cvt_u32_f32_e32 v1, v1
	s_delay_alu instid0(VALU_DEP_1) | instskip(NEXT) | instid1(VALU_DEP_1)
	v_readfirstlane_b32 s7, v1
	s_mul_i32 s4, s4, s7
	s_delay_alu instid0(SALU_CYCLE_1) | instskip(NEXT) | instid1(SALU_CYCLE_1)
	s_mul_hi_u32 s4, s7, s4
	s_add_i32 s7, s7, s4
	s_delay_alu instid0(SALU_CYCLE_1) | instskip(NEXT) | instid1(SALU_CYCLE_1)
	s_mul_hi_u32 s4, s14, s7
	s_mul_i32 s7, s4, s5
	s_add_i32 s12, s4, 1
	s_sub_i32 s7, s14, s7
	s_delay_alu instid0(SALU_CYCLE_1)
	s_sub_i32 s13, s7, s5
	s_cmp_ge_u32 s7, s5
	s_cselect_b32 s4, s12, s4
	s_cselect_b32 s7, s13, s7
	s_add_i32 s12, s4, 1
	s_cmp_ge_u32 s7, s5
	s_cselect_b32 s7, s12, s4
	s_add_i32 s26, s18, -1
	s_mul_i32 s4, s7, s5
	v_min_i32_e32 v3, s26, v44
	s_sub_i32 s4, s14, s4
	s_load_b64 s[12:13], s[2:3], 0x0
	s_lshl_b32 s23, s4, 8
	v_cmp_le_i32_e64 s5, s18, v44
	s_waitcnt lgkmcnt(0)
	v_mad_i64_i32 v[1:2], null, s25, v3, 0
	v_or_b32_e32 v8, s23, v0
	v_cmp_eq_f16_e64 s14, s19, 0
	s_delay_alu instid0(VALU_DEP_2) | instskip(NEXT) | instid1(VALU_DEP_4)
	v_cmp_le_i32_e32 vcc_lo, s16, v8
	v_lshlrev_b64 v[2:3], 1, v[1:2]
	v_ashrrev_i32_e32 v9, 31, v8
	s_or_b32 s3, vcc_lo, s5
	s_delay_alu instid0(VALU_DEP_2) | instskip(SKIP_1) | instid1(VALU_DEP_4)
	v_add_co_u32 v6, s2, s8, v2
	v_cndmask_b32_e64 v1, 0, 0x7c00, s3
	v_add_co_ci_u32_e64 v7, s2, s9, v3, s2
	s_or_b32 s2, s14, s3
	s_delay_alu instid0(SALU_CYCLE_1) | instskip(NEXT) | instid1(SALU_CYCLE_1)
	s_xor_b32 s2, s2, -1
	s_and_saveexec_b32 s3, s2
	s_cbranch_execz .LBB212_11
; %bb.10:
	v_lshlrev_b64 v[1:2], 1, v[8:9]
	s_delay_alu instid0(VALU_DEP_1) | instskip(NEXT) | instid1(VALU_DEP_1)
	v_add_co_u32 v1, s2, v6, v1
	v_add_co_ci_u32_e64 v2, s2, v7, v2, s2
	flat_load_u16 v1, v[1:2]
	s_waitcnt vmcnt(0) lgkmcnt(0)
	v_mul_f16_e32 v1, s19, v1
.LBB212_11:
	s_or_b32 exec_lo, exec_lo, s3
	v_or_b32_e32 v2, 64, v8
	s_delay_alu instid0(VALU_DEP_1) | instskip(SKIP_1) | instid1(VALU_DEP_2)
	v_cmp_le_i32_e64 s2, s16, v2
	v_min_i32_e32 v10, s6, v2
	s_or_b32 s3, s2, s5
	s_delay_alu instid0(VALU_DEP_1) | instskip(SKIP_2) | instid1(SALU_CYCLE_1)
	v_ashrrev_i32_e32 v11, 31, v10
	v_cndmask_b32_e64 v2, 0, 0x7c00, s3
	s_or_b32 s3, s14, s3
	s_xor_b32 s3, s3, -1
	s_delay_alu instid0(SALU_CYCLE_1)
	s_and_saveexec_b32 s4, s3
	s_cbranch_execz .LBB212_13
; %bb.12:
	v_lshlrev_b64 v[2:3], 1, v[10:11]
	s_delay_alu instid0(VALU_DEP_1) | instskip(NEXT) | instid1(VALU_DEP_1)
	v_add_co_u32 v2, s3, v6, v2
	v_add_co_ci_u32_e64 v3, s3, v7, v3, s3
	flat_load_u16 v2, v[2:3]
	s_waitcnt vmcnt(0) lgkmcnt(0)
	v_mul_f16_e32 v2, s19, v2
.LBB212_13:
	s_or_b32 exec_lo, exec_lo, s4
	v_or_b32_e32 v3, 0x80, v8
	s_delay_alu instid0(VALU_DEP_1) | instskip(SKIP_1) | instid1(VALU_DEP_2)
	v_cmp_le_i32_e64 s3, s16, v3
	v_min_i32_e32 v12, s6, v3
	s_or_b32 s4, s3, s5
	s_delay_alu instid0(VALU_DEP_1) | instskip(SKIP_2) | instid1(SALU_CYCLE_1)
	v_ashrrev_i32_e32 v13, 31, v12
	v_cndmask_b32_e64 v3, 0, 0x7c00, s4
	s_or_b32 s4, s14, s4
	s_xor_b32 s4, s4, -1
	s_delay_alu instid0(SALU_CYCLE_1)
	s_and_saveexec_b32 s24, s4
	s_cbranch_execz .LBB212_15
; %bb.14:
	v_lshlrev_b64 v[3:4], 1, v[12:13]
	s_delay_alu instid0(VALU_DEP_1) | instskip(NEXT) | instid1(VALU_DEP_1)
	v_add_co_u32 v3, s4, v6, v3
	v_add_co_ci_u32_e64 v4, s4, v7, v4, s4
	flat_load_u16 v3, v[3:4]
	s_waitcnt vmcnt(0) lgkmcnt(0)
	v_mul_f16_e32 v3, s19, v3
.LBB212_15:
	s_or_b32 exec_lo, exec_lo, s24
	v_or_b32_e32 v4, 0xc0, v8
	s_delay_alu instid0(VALU_DEP_1) | instskip(SKIP_1) | instid1(VALU_DEP_2)
	v_cmp_le_i32_e64 s4, s16, v4
	v_min_i32_e32 v14, s6, v4
	s_or_b32 s5, s4, s5
	s_delay_alu instid0(VALU_DEP_1) | instskip(SKIP_2) | instid1(SALU_CYCLE_1)
	v_ashrrev_i32_e32 v15, 31, v14
	v_cndmask_b32_e64 v4, 0, 0x7c00, s5
	s_or_b32 s5, s14, s5
	s_xor_b32 s5, s5, -1
	s_delay_alu instid0(SALU_CYCLE_1)
	s_and_saveexec_b32 s6, s5
	s_cbranch_execz .LBB212_17
; %bb.16:
	v_lshlrev_b64 v[16:17], 1, v[14:15]
	s_delay_alu instid0(VALU_DEP_1) | instskip(NEXT) | instid1(VALU_DEP_1)
	v_add_co_u32 v6, s5, v6, v16
	v_add_co_ci_u32_e64 v7, s5, v7, v17, s5
	flat_load_u16 v4, v[6:7]
	s_waitcnt vmcnt(0) lgkmcnt(0)
	v_mul_f16_e32 v4, s19, v4
.LBB212_17:
	s_or_b32 exec_lo, exec_lo, s6
	v_lshrrev_b32_e32 v5, 2, v5
	s_load_b32 s27, s[0:1], 0x30
	s_lshl_b32 s24, s7, 6
	v_and_b32_e32 v47, 3, v42
	s_delay_alu instid0(VALU_DEP_2) | instskip(NEXT) | instid1(VALU_DEP_2)
	v_add_nc_u32_e32 v16, s24, v5
	v_cmp_le_i32_e64 s6, s18, v47
	s_delay_alu instid0(VALU_DEP_2) | instskip(NEXT) | instid1(VALU_DEP_1)
	v_cmp_le_i32_e64 s5, s17, v16
	s_or_b32 s6, s6, s5
	s_delay_alu instid0(SALU_CYCLE_1) | instskip(SKIP_1) | instid1(SALU_CYCLE_1)
	v_cndmask_b32_e64 v6, 0, 0x7c00, s6
	s_or_b32 s6, s14, s6
	s_xor_b32 s6, s6, -1
	s_delay_alu instid0(SALU_CYCLE_1)
	s_and_saveexec_b32 s7, s6
	s_cbranch_execz .LBB212_19
; %bb.18:
	s_waitcnt lgkmcnt(0)
	v_mad_i64_i32 v[6:7], null, v16, s27, 0
	v_min_u32_e32 v17, s26, v47
	s_delay_alu instid0(VALU_DEP_1) | instskip(NEXT) | instid1(VALU_DEP_3)
	v_lshlrev_b32_e32 v17, 1, v17
	v_lshlrev_b64 v[6:7], 1, v[6:7]
	s_delay_alu instid0(VALU_DEP_1) | instskip(NEXT) | instid1(VALU_DEP_1)
	v_add_co_u32 v6, s6, s20, v6
	v_add_co_ci_u32_e64 v7, s6, s21, v7, s6
	s_delay_alu instid0(VALU_DEP_2) | instskip(NEXT) | instid1(VALU_DEP_1)
	v_add_co_u32 v6, s6, v6, v17
	v_add_co_ci_u32_e64 v7, s6, 0, v7, s6
	flat_load_u16 v6, v[6:7]
	s_waitcnt vmcnt(0) lgkmcnt(0)
	v_mul_f16_e32 v6, s19, v6
.LBB212_19:
	s_or_b32 exec_lo, exec_lo, s7
	v_add_nc_u32_e32 v7, 4, v44
	s_delay_alu instid0(VALU_DEP_1) | instskip(SKIP_1) | instid1(VALU_DEP_2)
	v_min_i32_e32 v19, s26, v7
	v_cmp_le_i32_e64 s6, s18, v7
	v_mad_i64_i32 v[17:18], null, s25, v19, 0
	s_delay_alu instid0(VALU_DEP_1) | instskip(NEXT) | instid1(VALU_DEP_1)
	v_lshlrev_b64 v[17:18], 1, v[17:18]
	v_add_co_u32 v7, s7, s8, v17
	s_delay_alu instid0(VALU_DEP_1) | instskip(SKIP_1) | instid1(SALU_CYCLE_1)
	v_add_co_ci_u32_e64 v21, s7, s9, v18, s7
	s_or_b32 s7, vcc_lo, s6
	v_cndmask_b32_e64 v17, 0, 0x7c00, s7
	s_or_b32 s7, s14, s7
	s_delay_alu instid0(SALU_CYCLE_1) | instskip(NEXT) | instid1(SALU_CYCLE_1)
	s_xor_b32 s7, s7, -1
	s_and_saveexec_b32 s28, s7
	s_cbranch_execz .LBB212_21
; %bb.20:
	v_lshlrev_b64 v[17:18], 1, v[8:9]
	s_delay_alu instid0(VALU_DEP_1) | instskip(NEXT) | instid1(VALU_DEP_1)
	v_add_co_u32 v17, s7, v7, v17
	v_add_co_ci_u32_e64 v18, s7, v21, v18, s7
	flat_load_u16 v17, v[17:18]
	s_waitcnt vmcnt(0) lgkmcnt(0)
	v_mul_f16_e32 v17, s19, v17
.LBB212_21:
	s_or_b32 exec_lo, exec_lo, s28
	s_or_b32 s7, s2, s6
	s_delay_alu instid0(SALU_CYCLE_1) | instskip(SKIP_1) | instid1(SALU_CYCLE_1)
	v_cndmask_b32_e64 v18, 0, 0x7c00, s7
	s_or_b32 s7, s14, s7
	s_xor_b32 s7, s7, -1
	s_delay_alu instid0(SALU_CYCLE_1)
	s_and_saveexec_b32 s28, s7
	s_cbranch_execz .LBB212_23
; %bb.22:
	v_lshlrev_b64 v[18:19], 1, v[10:11]
	s_delay_alu instid0(VALU_DEP_1) | instskip(NEXT) | instid1(VALU_DEP_1)
	v_add_co_u32 v18, s7, v7, v18
	v_add_co_ci_u32_e64 v19, s7, v21, v19, s7
	flat_load_u16 v18, v[18:19]
	s_waitcnt vmcnt(0) lgkmcnt(0)
	v_mul_f16_e32 v18, s19, v18
.LBB212_23:
	s_or_b32 exec_lo, exec_lo, s28
	s_or_b32 s7, s3, s6
	s_delay_alu instid0(SALU_CYCLE_1) | instskip(SKIP_1) | instid1(SALU_CYCLE_1)
	v_cndmask_b32_e64 v19, 0, 0x7c00, s7
	s_or_b32 s7, s14, s7
	s_xor_b32 s7, s7, -1
	s_delay_alu instid0(SALU_CYCLE_1)
	;; [unrolled: 18-line block ×3, first 2 shown]
	s_and_saveexec_b32 s7, s6
	s_cbranch_execz .LBB212_27
; %bb.26:
	v_lshlrev_b64 v[22:23], 1, v[14:15]
	s_delay_alu instid0(VALU_DEP_1) | instskip(NEXT) | instid1(VALU_DEP_1)
	v_add_co_u32 v20, s6, v7, v22
	v_add_co_ci_u32_e64 v21, s6, v21, v23, s6
	flat_load_u16 v7, v[20:21]
	s_waitcnt vmcnt(0) lgkmcnt(0)
	v_mul_f16_e32 v20, s19, v7
.LBB212_27:
	s_or_b32 exec_lo, exec_lo, s7
	v_or_b32_e32 v7, 4, v47
	s_delay_alu instid0(VALU_DEP_1) | instskip(NEXT) | instid1(VALU_DEP_1)
	v_cmp_le_i32_e64 s6, s18, v7
	s_or_b32 s6, s6, s5
	s_delay_alu instid0(SALU_CYCLE_1) | instskip(SKIP_1) | instid1(SALU_CYCLE_1)
	v_cndmask_b32_e64 v22, 0, 0x7c00, s6
	s_or_b32 s6, s14, s6
	s_xor_b32 s6, s6, -1
	s_delay_alu instid0(SALU_CYCLE_1)
	s_and_saveexec_b32 s7, s6
	s_cbranch_execz .LBB212_29
; %bb.28:
	s_waitcnt lgkmcnt(0)
	v_mad_i64_i32 v[21:22], null, v16, s27, 0
	v_min_u32_e32 v7, s26, v7
	s_delay_alu instid0(VALU_DEP_1) | instskip(NEXT) | instid1(VALU_DEP_3)
	v_lshlrev_b32_e32 v7, 1, v7
	v_lshlrev_b64 v[21:22], 1, v[21:22]
	s_delay_alu instid0(VALU_DEP_1) | instskip(NEXT) | instid1(VALU_DEP_1)
	v_add_co_u32 v21, s6, s20, v21
	v_add_co_ci_u32_e64 v22, s6, s21, v22, s6
	s_delay_alu instid0(VALU_DEP_2) | instskip(NEXT) | instid1(VALU_DEP_1)
	v_add_co_u32 v21, s6, v21, v7
	v_add_co_ci_u32_e64 v22, s6, 0, v22, s6
	flat_load_u16 v7, v[21:22]
	s_waitcnt vmcnt(0) lgkmcnt(0)
	v_mul_f16_e32 v22, s19, v7
.LBB212_29:
	s_or_b32 exec_lo, exec_lo, s7
	v_lshlrev_b32_e32 v7, 1, v44
	v_lshlrev_b32_e32 v46, 3, v43
	;; [unrolled: 1-line block ×4, first 2 shown]
	s_cmp_lt_i32 s18, 9
	v_lshl_add_u32 v72, v0, 3, v7
	v_add_nc_u32_e32 v40, 0x1000, v46
	v_lshl_or_b32 v23, v5, 3, v21
	ds_store_b16 v72, v1
	ds_store_b16 v72, v2 offset:512
	ds_store_b16 v72, v3 offset:1024
	;; [unrolled: 1-line block ×4, first 2 shown]
	s_waitcnt lgkmcnt(0)
	s_barrier
	buffer_gl0_inv
	ds_load_2addr_b64 v[24:27], v45 offset1:32
	ds_load_2addr_b64 v[28:31], v40 offset1:8
	ds_load_2addr_b64 v[32:35], v45 offset0:64 offset1:96
	ds_load_2addr_b64 v[4:7], v45 offset0:128 offset1:160
	;; [unrolled: 1-line block ×5, first 2 shown]
	s_waitcnt lgkmcnt(5)
	v_pk_add_f16 v41, v24, v28
	v_pk_add_f16 v52, v26, v28
	s_waitcnt lgkmcnt(4)
	v_pk_add_f16 v53, v32, v28
	v_pk_add_f16 v54, v34, v28
	;; [unrolled: 3-line block ×3, first 2 shown]
	v_pk_add_f16 v83, v27, v29
	v_pk_min_f16 v41, 0x7c00, v41 op_sel_hi:[0,1]
	v_pk_min_f16 v52, 0x7c00, v52 op_sel_hi:[0,1]
	s_waitcnt lgkmcnt(2)
	v_pk_add_f16 v57, v0, v28
	v_pk_add_f16 v58, v2, v28
	;; [unrolled: 1-line block ×3, first 2 shown]
	s_waitcnt lgkmcnt(1)
	v_pk_add_f16 v67, v24, v36
	v_pk_add_f16 v68, v26, v36
	;; [unrolled: 1-line block ×11, first 2 shown]
	v_pk_min_f16 v118, v41, v82
	v_pk_min_f16 v41, 0x7c00, v53 op_sel_hi:[0,1]
	v_pk_min_f16 v53, 0x7c00, v54 op_sel_hi:[0,1]
	v_pk_min_f16 v117, v52, v83
	v_pk_min_f16 v52, 0x7c00, v56 op_sel_hi:[0,1]
	v_pk_add_f16 v55, v4, v28
	v_pk_add_f16 v61, v32, v30
	;; [unrolled: 1-line block ×15, first 2 shown]
	v_pk_min_f16 v116, v41, v84
	v_pk_min_f16 v115, v53, v85
	v_pk_min_f16 v41, 0x7c00, v57 op_sel_hi:[0,1]
	v_pk_min_f16 v108, v52, v87
	v_pk_min_f16 v52, 0x7c00, v58 op_sel_hi:[0,1]
	v_pk_min_f16 v53, 0x7c00, v59 op_sel_hi:[0,1]
	;; [unrolled: 1-line block ×3, first 2 shown]
	v_pk_add_f16 v60, v26, v30
	v_pk_add_f16 v63, v4, v30
	;; [unrolled: 1-line block ×9, first 2 shown]
	v_pk_min_f16 v54, 0x7c00, v55 op_sel_hi:[0,1]
	v_pk_min_f16 v107, v41, v88
	v_pk_min_f16 v41, 0x7c00, v61 op_sel_hi:[0,1]
	v_pk_min_f16 v106, v52, v89
	v_pk_min_f16 v105, v53, v90
	v_pk_min_f16 v52, 0x7c00, v62 op_sel_hi:[0,1]
	v_pk_min_f16 v90, v36, v37
	v_pk_min_f16 v36, 0x7c00, v77 op_sel_hi:[0,1]
	v_pk_add_f16 v65, v0, v30
	v_pk_add_f16 v75, v24, v38
	;; [unrolled: 1-line block ×11, first 2 shown]
	s_waitcnt lgkmcnt(0)
	v_pk_add_f16 v128, v24, v48
	v_pk_min_f16 v114, v54, v86
	v_pk_min_f16 v54, 0x7c00, v60 op_sel_hi:[0,1]
	v_pk_min_f16 v103, v41, v92
	v_pk_min_f16 v41, 0x7c00, v63 op_sel_hi:[0,1]
	;; [unrolled: 2-line block ×3, first 2 shown]
	v_pk_min_f16 v37, 0x7c00, v78 op_sel_hi:[0,1]
	v_pk_min_f16 v87, v36, v123
	v_pk_min_f16 v36, 0x7c00, v81 op_sel_hi:[0,1]
	v_pk_add_f16 v64, v6, v30
	v_pk_add_f16 v95, v7, v31
	;; [unrolled: 1-line block ×10, first 2 shown]
	ds_load_2addr_b64 v[28:31], v40 offset0:48 offset1:56
	v_pk_add_f16 v141, v25, v49
	v_pk_min_f16 v104, v54, v91
	v_pk_min_f16 v54, 0x7c00, v65 op_sel_hi:[0,1]
	v_pk_min_f16 v101, v41, v94
	v_pk_min_f16 v41, 0x7c00, v67 op_sel_hi:[0,1]
	;; [unrolled: 2-line block ×5, first 2 shown]
	v_pk_add_f16 v129, v26, v48
	v_pk_add_f16 v133, v6, v48
	;; [unrolled: 1-line block ×5, first 2 shown]
	v_pk_min_f16 v53, 0x7c00, v64 op_sel_hi:[0,1]
	v_pk_min_f16 v99, v54, v96
	v_pk_min_f16 v97, v41, v109
	v_pk_min_f16 v41, 0x7c00, v71 op_sel_hi:[0,1]
	v_pk_min_f16 v96, v52, v110
	v_pk_min_f16 v52, 0x7c00, v73 op_sel_hi:[0,1]
	;; [unrolled: 2-line block ×4, first 2 shown]
	v_pk_add_f16 v130, v32, v48
	v_pk_add_f16 v134, v0, v48
	;; [unrolled: 1-line block ×8, first 2 shown]
	v_pk_min_f16 v100, v53, v95
	v_pk_min_f16 v53, 0x7c00, v69 op_sel_hi:[0,1]
	v_pk_min_f16 v93, v41, v113
	v_pk_min_f16 v41, 0x7c00, v74 op_sel_hi:[0,1]
	;; [unrolled: 2-line block ×3, first 2 shown]
	v_pk_min_f16 v38, 0x7c00, v129 op_sel_hi:[0,1]
	v_pk_min_f16 v77, v37, v144
	v_pk_min_f16 v37, 0x7c00, v133 op_sel_hi:[0,1]
	v_pk_min_f16 v76, v36, v145
	v_pk_min_f16 v36, 0x7c00, v135 op_sel_hi:[0,1]
	v_pk_add_f16 v138, v34, v50
	v_pk_add_f16 v139, v4, v50
	;; [unrolled: 1-line block ×9, first 2 shown]
	v_pk_min_f16 v95, v53, v111
	v_pk_min_f16 v53, 0x7c00, v75 op_sel_hi:[0,1]
	v_pk_min_f16 v91, v41, v120
	v_pk_min_f16 v41, 0x7c00, v79 op_sel_hi:[0,1]
	;; [unrolled: 2-line block ×3, first 2 shown]
	v_pk_min_f16 v39, 0x7c00, v48 op_sel_hi:[0,1]
	v_pk_min_f16 v75, v37, v146
	v_pk_min_f16 v37, 0x7c00, v136 op_sel_hi:[0,1]
	v_pk_min_f16 v71, v36, v148
	v_pk_min_f16 v36, 0x7c00, v137 op_sel_hi:[0,1]
	v_pk_add_f16 v50, v2, v50
	v_pk_add_f16 v151, v35, v51
	v_pk_add_f16 v152, v5, v51
	v_pk_add_f16 v153, v7, v51
	v_pk_add_f16 v154, v1, v51
	s_waitcnt lgkmcnt(0)
	v_pk_add_f16 v155, v24, v28
	v_pk_add_f16 v156, v26, v28
	v_pk_min_f16 v54, 0x7c00, v70 op_sel_hi:[0,1]
	v_pk_min_f16 v74, v38, v147
	v_pk_min_f16 v73, v39, v49
	v_pk_min_f16 v38, 0x7c00, v138 op_sel_hi:[0,1]
	v_pk_min_f16 v39, 0x7c00, v139 op_sel_hi:[0,1]
	v_pk_min_f16 v70, v37, v149
	v_pk_min_f16 v37, 0x7c00, v40 op_sel_hi:[0,1]
	v_pk_min_f16 v69, v36, v150
	v_pk_min_f16 v36, 0x7c00, v140 op_sel_hi:[0,1]
	v_pk_add_f16 v51, v3, v51
	v_pk_add_f16 v24, v24, v30
	;; [unrolled: 1-line block ×5, first 2 shown]
	v_pk_min_f16 v68, v38, v151
	v_pk_min_f16 v67, v39, v152
	;; [unrolled: 1-line block ×3, first 2 shown]
	v_pk_min_f16 v37, 0x7c00, v50 op_sel_hi:[0,1]
	v_pk_min_f16 v38, 0x7c00, v155 op_sel_hi:[0,1]
	;; [unrolled: 1-line block ×3, first 2 shown]
	v_pk_min_f16 v65, v36, v154
	v_pk_add_f16 v36, v4, v28
	v_pk_add_f16 v26, v26, v30
	;; [unrolled: 1-line block ×7, first 2 shown]
	v_pk_min_f16 v85, v41, v125
	v_pk_min_f16 v41, 0x7c00, v130 op_sel_hi:[0,1]
	v_pk_min_f16 v64, v37, v51
	v_pk_add_f16 v37, v6, v28
	v_pk_min_f16 v63, v38, v157
	v_pk_add_f16 v38, v0, v28
	v_pk_min_f16 v40, 0x7c00, v159 op_sel_hi:[0,1]
	v_pk_min_f16 v36, 0x7c00, v36 op_sel_hi:[0,1]
	v_pk_min_f16 v62, v39, v158
	v_pk_add_f16 v28, v2, v28
	v_pk_add_f16 v39, v5, v29
	v_pk_min_f16 v24, 0x7c00, v24 op_sel_hi:[0,1]
	v_pk_add_f16 v4, v4, v30
	v_pk_add_f16 v6, v6, v30
	;; [unrolled: 1-line block ×8, first 2 shown]
	v_pk_min_f16 v88, v52, v122
	v_pk_min_f16 v52, 0x7c00, v80 op_sel_hi:[0,1]
	v_pk_min_f16 v78, v41, v143
	v_pk_min_f16 v41, 0x7c00, v160 op_sel_hi:[0,1]
	v_pk_min_f16 v37, 0x7c00, v37 op_sel_hi:[0,1]
	;; [unrolled: 1-line block ×3, first 2 shown]
	v_pk_min_f16 v61, v40, v161
	v_pk_add_f16 v40, v7, v29
	v_pk_min_f16 v28, 0x7c00, v28 op_sel_hi:[0,1]
	v_pk_min_f16 v59, v36, v39
	v_pk_add_f16 v36, v1, v29
	v_pk_add_f16 v29, v3, v29
	v_pk_min_f16 v26, 0x7c00, v26 op_sel_hi:[0,1]
	v_pk_min_f16 v32, 0x7c00, v32 op_sel_hi:[0,1]
	v_pk_min_f16 v55, v24, v25
	v_pk_min_f16 v24, 0x7c00, v34 op_sel_hi:[0,1]
	v_pk_min_f16 v4, 0x7c00, v4 op_sel_hi:[0,1]
	;; [unrolled: 1-line block ×5, first 2 shown]
	v_pk_add_f16 v5, v5, v31
	v_pk_add_f16 v7, v7, v31
	;; [unrolled: 1-line block ×4, first 2 shown]
	v_pk_min_f16 v94, v54, v112
	v_pk_min_f16 v89, v53, v121
	;; [unrolled: 1-line block ×14, first 2 shown]
	ds_store_b16 v72, v17 offset:2048
	ds_store_b16 v72, v18 offset:2560
	;; [unrolled: 1-line block ×5, first 2 shown]
	s_waitcnt lgkmcnt(0)
	s_barrier
	buffer_gl0_inv
	s_cbranch_scc1 .LBB212_52
; %bb.30:
	v_mad_i64_i32 v[0:1], null, s27, v16, 0
	v_lshlrev_b64 v[32:33], 1, v[8:9]
	v_lshlrev_b64 v[34:35], 1, v[10:11]
	;; [unrolled: 1-line block ×4, first 2 shown]
	v_add_nc_u32_e32 v80, 0x1000, v23
	v_add_nc_u32_e32 v109, 0x1000, v46
	v_lshlrev_b64 v[0:1], 1, v[0:1]
	v_add_nc_u32_e32 v110, 0x800, v72
	v_add_nc_u32_e32 v111, 0x1200, v23
	v_lshl_add_u32 v112, v42, 3, 0x800
	v_lshl_add_u32 v113, v43, 3, 0x1200
	v_add_co_u32 v0, s6, v0, v21
	s_delay_alu instid0(VALU_DEP_1) | instskip(NEXT) | instid1(VALU_DEP_2)
	v_add_co_ci_u32_e64 v1, s6, 0, v1, s6
	v_add_co_u32 v0, s6, v0, s20
	s_delay_alu instid0(VALU_DEP_1) | instskip(SKIP_1) | instid1(VALU_DEP_2)
	v_add_co_ci_u32_e64 v1, s6, s21, v1, s6
	s_add_i32 s20, s18, -8
	v_add_co_u32 v40, s6, v0, 24
	s_delay_alu instid0(VALU_DEP_1)
	v_add_co_ci_u32_e64 v41, s6, 0, v1, s6
	s_mov_b32 s21, 0
	s_branch .LBB212_32
.LBB212_31:                             ;   in Loop: Header=BB212_32 Depth=1
	s_or_b32 exec_lo, exec_lo, s6
	ds_load_2addr_b64 v[123:126], v45 offset1:32
	ds_load_2addr_b64 v[87:90], v109 offset1:8
	ds_load_2addr_b64 v[127:130], v45 offset0:64 offset1:96
	ds_load_2addr_b64 v[131:134], v45 offset0:128 offset1:160
	;; [unrolled: 1-line block ×6, first 2 shown]
	v_pk_max_f16 v11, v86, v86
	v_pk_max_f16 v15, v84, v84
	;; [unrolled: 1-line block ×13, first 2 shown]
	s_waitcnt lgkmcnt(6)
	v_pk_add_f16 v83, v123, v87
	v_pk_add_f16 v84, v125, v87
	s_waitcnt lgkmcnt(5)
	v_pk_add_f16 v85, v127, v87
	v_pk_add_f16 v86, v129, v87
	s_waitcnt lgkmcnt(4)
	v_pk_add_f16 v91, v131, v87
	v_pk_min_f16 v11, v11, v83
	v_pk_min_f16 v15, v15, v84
	;; [unrolled: 1-line block ×3, first 2 shown]
	v_pk_add_f16 v83, v123, v89
	v_pk_add_f16 v84, v125, v89
	;; [unrolled: 1-line block ×4, first 2 shown]
	s_waitcnt lgkmcnt(3)
	v_pk_add_f16 v93, v135, v87
	v_pk_min_f16 v73, v73, v83
	v_pk_min_f16 v70, v70, v84
	;; [unrolled: 1-line block ×3, first 2 shown]
	v_pk_add_f16 v83, v133, v89
	v_pk_add_f16 v84, v135, v89
	;; [unrolled: 1-line block ×4, first 2 shown]
	v_pk_min_f16 v19, v19, v86
	v_pk_add_f16 v86, v129, v89
	v_pk_max_f16 v76, v76, v76
	v_pk_min_f16 v67, v67, v83
	v_pk_min_f16 v65, v65, v84
	;; [unrolled: 1-line block ×3, first 2 shown]
	s_waitcnt lgkmcnt(2)
	v_pk_add_f16 v83, v127, v139
	v_pk_max_f16 v62, v62, v62
	v_pk_add_f16 v84, v129, v139
	v_pk_max_f16 v60, v60, v60
	v_pk_add_f16 v85, v131, v139
	v_pk_max_f16 v68, v68, v68
	v_pk_min_f16 v78, v78, v87
	v_pk_add_f16 v87, v131, v89
	v_pk_max_f16 v75, v75, v75
	v_pk_min_f16 v76, v76, v86
	v_pk_add_f16 v86, v123, v139
	v_pk_max_f16 v71, v71, v71
	v_pk_min_f16 v62, v62, v83
	v_pk_min_f16 v60, v60, v84
	v_pk_min_f16 v68, v68, v85
	v_pk_add_f16 v83, v137, v139
	v_pk_max_f16 v57, v57, v57
	v_pk_add_f16 v84, v123, v141
	v_pk_max_f16 v55, v55, v55
	v_pk_add_f16 v85, v125, v141
	v_pk_max_f16 v63, v63, v63
	v_pk_min_f16 v75, v75, v87
	v_pk_add_f16 v87, v125, v139
	v_pk_max_f16 v69, v69, v69
	v_pk_min_f16 v71, v71, v86
	v_pk_add_f16 v86, v133, v139
	v_pk_max_f16 v66, v66, v66
	v_pk_min_f16 v57, v57, v83
	v_pk_min_f16 v55, v55, v84
	v_pk_min_f16 v63, v63, v85
	;; [unrolled: 15-line block ×3, first 2 shown]
	s_waitcnt lgkmcnt(1)
	v_pk_add_f16 v83, v125, v143
	v_pk_max_f16 v31, v31, v31
	v_pk_add_f16 v84, v127, v143
	v_pk_max_f16 v29, v29, v29
	v_pk_add_f16 v85, v129, v143
	v_pk_max_f16 v53, v53, v53
	v_pk_min_f16 v64, v64, v87
	v_pk_add_f16 v87, v129, v141
	v_pk_max_f16 v59, v59, v59
	v_pk_min_f16 v61, v61, v86
	v_pk_add_f16 v86, v137, v141
	v_pk_max_f16 v56, v56, v56
	v_pk_min_f16 v31, v31, v83
	v_pk_min_f16 v29, v29, v84
	v_pk_min_f16 v53, v53, v85
	v_pk_add_f16 v83, v135, v143
	v_pk_max_f16 v26, v26, v26
	v_pk_add_f16 v84, v137, v143
	v_pk_max_f16 v24, v24, v24
	v_pk_add_f16 v85, v123, v145
	v_pk_max_f16 v48, v48, v48
	v_pk_min_f16 v59, v59, v87
	v_pk_add_f16 v87, v123, v143
	v_pk_max_f16 v54, v54, v54
	v_pk_min_f16 v56, v56, v86
	v_pk_add_f16 v86, v131, v143
	v_pk_max_f16 v51, v51, v51
	v_pk_min_f16 v26, v26, v83
	v_pk_min_f16 v24, v24, v84
	v_pk_min_f16 v48, v48, v85
	;; [unrolled: 15-line block ×3, first 2 shown]
	s_waitcnt lgkmcnt(0)
	v_pk_add_f16 v83, v123, v147
	v_pk_max_f16 v14, v14, v14
	v_pk_add_f16 v84, v125, v147
	v_pk_max_f16 v10, v10, v10
	v_pk_add_f16 v85, v127, v147
	v_pk_max_f16 v22, v22, v22
	v_pk_min_f16 v49, v49, v87
	v_pk_add_f16 v87, v127, v145
	v_pk_max_f16 v28, v28, v28
	v_pk_min_f16 v30, v30, v86
	v_pk_add_f16 v86, v135, v145
	v_pk_max_f16 v25, v25, v25
	v_pk_min_f16 v14, v14, v83
	v_pk_min_f16 v10, v10, v84
	;; [unrolled: 1-line block ×3, first 2 shown]
	v_pk_add_f16 v83, v133, v147
	v_pk_max_f16 v8, v8, v8
	v_pk_add_f16 v84, v135, v147
	v_pk_max_f16 v6, v6, v6
	;; [unrolled: 2-line block ×3, first 2 shown]
	v_pk_min_f16 v28, v28, v87
	v_pk_add_f16 v87, v137, v145
	v_pk_max_f16 v23, v23, v23
	v_pk_min_f16 v25, v25, v86
	v_pk_add_f16 v86, v129, v147
	v_pk_max_f16 v20, v20, v20
	v_pk_min_f16 v8, v8, v83
	v_pk_min_f16 v6, v6, v84
	;; [unrolled: 1-line block ×3, first 2 shown]
	v_pk_add_f16 v83, v127, v149
	v_pk_max_f16 v4, v4, v4
	v_pk_add_f16 v84, v129, v149
	v_pk_max_f16 v2, v2, v2
	;; [unrolled: 2-line block ×3, first 2 shown]
	v_pk_max_f16 v79, v79, v79
	v_pk_min_f16 v23, v23, v87
	v_pk_add_f16 v87, v131, v147
	v_pk_max_f16 v16, v16, v16
	v_pk_min_f16 v20, v20, v86
	v_pk_add_f16 v86, v123, v149
	v_pk_max_f16 v12, v12, v12
	v_pk_min_f16 v4, v4, v83
	v_pk_min_f16 v2, v2, v84
	v_pk_min_f16 v7, v7, v85
	v_pk_add_f16 v83, v137, v149
	v_pk_max_f16 v1, v1, v1
	v_pk_add_f16 v84, v124, v88
	v_pk_add_f16 v85, v126, v88
	v_pk_min_f16 v79, v79, v91
	v_pk_min_f16 v81, v81, v92
	;; [unrolled: 1-line block ×3, first 2 shown]
	v_pk_add_f16 v87, v125, v149
	v_pk_max_f16 v9, v9, v9
	v_pk_min_f16 v12, v12, v86
	v_pk_add_f16 v86, v133, v149
	v_pk_max_f16 v5, v5, v5
	v_pk_min_f16 v1, v1, v83
	v_pk_min_f16 v118, v11, v84
	;; [unrolled: 1-line block ×3, first 2 shown]
	v_pk_add_f16 v11, v132, v88
	v_pk_add_f16 v15, v134, v88
	;; [unrolled: 1-line block ×3, first 2 shown]
	v_pk_min_f16 v9, v9, v87
	v_pk_add_f16 v87, v135, v149
	v_pk_max_f16 v3, v3, v3
	v_pk_min_f16 v5, v5, v86
	v_pk_add_f16 v86, v128, v88
	v_pk_min_f16 v114, v79, v11
	v_pk_min_f16 v108, v81, v15
	;; [unrolled: 1-line block ×3, first 2 shown]
	v_pk_add_f16 v11, v126, v90
	v_pk_add_f16 v15, v128, v90
	;; [unrolled: 1-line block ×3, first 2 shown]
	v_pk_min_f16 v82, v82, v93
	v_pk_min_f16 v3, v3, v87
	v_pk_add_f16 v87, v130, v88
	v_pk_min_f16 v116, v17, v86
	v_pk_add_f16 v17, v136, v88
	v_pk_min_f16 v104, v70, v11
	v_pk_min_f16 v103, v77, v15
	v_pk_min_f16 v100, v67, v73
	v_pk_add_f16 v11, v136, v90
	v_pk_add_f16 v15, v138, v90
	v_pk_add_f16 v67, v128, v140
	v_pk_min_f16 v115, v19, v87
	v_pk_add_f16 v19, v138, v88
	v_pk_min_f16 v107, v82, v17
	v_pk_add_f16 v17, v130, v90
	v_pk_min_f16 v99, v65, v11
	v_pk_min_f16 v98, v74, v15
	v_pk_min_f16 v95, v62, v67
	v_pk_add_f16 v11, v130, v140
	v_pk_add_f16 v15, v132, v140
	v_pk_add_f16 v62, v138, v140
	;; [unrolled: 10-line block ×8, first 2 shown]
	v_pk_add_f16 v18, v134, v148
	v_pk_min_f16 v75, v49, v19
	v_pk_add_f16 v19, v128, v146
	v_pk_min_f16 v70, v30, v17
	;; [unrolled: 2-line block ×3, first 2 shown]
	v_pk_min_f16 v61, v22, v14
	v_pk_min_f16 v60, v20, v15
	;; [unrolled: 1-line block ×3, first 2 shown]
	v_pk_add_f16 v8, v136, v148
	v_pk_add_f16 v10, v138, v148
	;; [unrolled: 1-line block ×4, first 2 shown]
	v_pk_min_f16 v69, v28, v19
	v_pk_add_f16 v19, v138, v146
	v_pk_min_f16 v65, v25, v17
	v_pk_add_f16 v17, v132, v148
	v_pk_add_f16 v11, v124, v150
	v_pk_min_f16 v57, v6, v8
	v_pk_min_f16 v56, v13, v10
	;; [unrolled: 1-line block ×4, first 2 shown]
	v_pk_add_f16 v4, v130, v150
	v_pk_add_f16 v6, v132, v150
	;; [unrolled: 1-line block ×5, first 2 shown]
	v_add_co_u32 v40, s6, v40, 16
	v_pk_min_f16 v64, v23, v19
	v_pk_min_f16 v59, v16, v17
	;; [unrolled: 1-line block ×8, first 2 shown]
	v_add_co_ci_u32_e64 v41, s6, 0, v41, s6
	s_add_i32 s21, s21, 8
	ds_store_b16 v110, v119
	ds_store_b16 v110, v120 offset:512
	ds_store_b16 v110, v121 offset:1024
	;; [unrolled: 1-line block ×3, first 2 shown]
	ds_store_b16 v111, v0
	s_cmp_ge_i32 s21, s20
	s_waitcnt lgkmcnt(0)
	s_barrier
	buffer_gl0_inv
	s_cbranch_scc1 .LBB212_52
.LBB212_32:                             ; =>This Inner Loop Header: Depth=1
	v_add_nc_u32_e32 v0, s21, v44
	s_delay_alu instid0(VALU_DEP_1) | instskip(NEXT) | instid1(VALU_DEP_1)
	v_add_nc_u32_e32 v3, 8, v0
	v_min_i32_e32 v4, s26, v3
	v_cmp_le_i32_e64 s6, s18, v3
	s_delay_alu instid0(VALU_DEP_2) | instskip(NEXT) | instid1(VALU_DEP_1)
	v_mad_i64_i32 v[1:2], null, v4, s25, 0
	v_lshlrev_b64 v[1:2], 1, v[1:2]
	s_delay_alu instid0(VALU_DEP_1) | instskip(NEXT) | instid1(VALU_DEP_1)
	v_add_co_u32 v1, s7, s8, v1
	v_add_co_ci_u32_e64 v2, s7, s9, v2, s7
	s_or_b32 s7, vcc_lo, s6
	s_delay_alu instid0(SALU_CYCLE_1) | instskip(SKIP_1) | instid1(SALU_CYCLE_1)
	v_cndmask_b32_e64 v119, 0, 0x7c00, s7
	s_or_b32 s7, s14, s7
	s_xor_b32 s7, s7, -1
	s_delay_alu instid0(SALU_CYCLE_1)
	s_and_saveexec_b32 s27, s7
	s_cbranch_execz .LBB212_34
; %bb.33:                               ;   in Loop: Header=BB212_32 Depth=1
	v_add_co_u32 v3, s7, v1, v32
	s_delay_alu instid0(VALU_DEP_1)
	v_add_co_ci_u32_e64 v4, s7, v2, v33, s7
	flat_load_u16 v3, v[3:4]
	s_waitcnt vmcnt(0) lgkmcnt(0)
	v_mul_f16_e32 v119, s19, v3
.LBB212_34:                             ;   in Loop: Header=BB212_32 Depth=1
	s_or_b32 exec_lo, exec_lo, s27
	s_or_b32 s7, s2, s6
	s_delay_alu instid0(SALU_CYCLE_1) | instskip(SKIP_1) | instid1(SALU_CYCLE_1)
	v_cndmask_b32_e64 v120, 0, 0x7c00, s7
	s_or_b32 s7, s14, s7
	s_xor_b32 s7, s7, -1
	s_delay_alu instid0(SALU_CYCLE_1)
	s_and_saveexec_b32 s27, s7
	s_cbranch_execz .LBB212_36
; %bb.35:                               ;   in Loop: Header=BB212_32 Depth=1
	v_add_co_u32 v3, s7, v1, v34
	s_delay_alu instid0(VALU_DEP_1)
	v_add_co_ci_u32_e64 v4, s7, v2, v35, s7
	flat_load_u16 v3, v[3:4]
	s_waitcnt vmcnt(0) lgkmcnt(0)
	v_mul_f16_e32 v120, s19, v3
.LBB212_36:                             ;   in Loop: Header=BB212_32 Depth=1
	s_or_b32 exec_lo, exec_lo, s27
	s_or_b32 s7, s3, s6
	;; [unrolled: 17-line block ×3, first 2 shown]
	s_delay_alu instid0(SALU_CYCLE_1) | instskip(SKIP_1) | instid1(SALU_CYCLE_1)
	v_cndmask_b32_e64 v122, 0, 0x7c00, s6
	s_or_b32 s6, s14, s6
	s_xor_b32 s6, s6, -1
	s_delay_alu instid0(SALU_CYCLE_1)
	s_and_saveexec_b32 s7, s6
	s_cbranch_execz .LBB212_40
; %bb.39:                               ;   in Loop: Header=BB212_32 Depth=1
	v_add_co_u32 v1, s6, v1, v38
	s_delay_alu instid0(VALU_DEP_1)
	v_add_co_ci_u32_e64 v2, s6, v2, v39, s6
	flat_load_u16 v1, v[1:2]
	s_waitcnt vmcnt(0) lgkmcnt(0)
	v_mul_f16_e32 v122, s19, v1
.LBB212_40:                             ;   in Loop: Header=BB212_32 Depth=1
	s_or_b32 exec_lo, exec_lo, s7
	v_add_nc_u32_e32 v123, s21, v47
	s_delay_alu instid0(VALU_DEP_1) | instskip(NEXT) | instid1(VALU_DEP_1)
	v_add_nc_u32_e32 v1, 8, v123
	v_cmp_le_i32_e64 s6, s18, v1
	s_delay_alu instid0(VALU_DEP_1) | instskip(NEXT) | instid1(SALU_CYCLE_1)
	s_or_b32 s6, s6, s5
	v_cndmask_b32_e64 v124, 0, 0x7c00, s6
	s_or_b32 s6, s14, s6
	s_delay_alu instid0(SALU_CYCLE_1) | instskip(NEXT) | instid1(SALU_CYCLE_1)
	s_xor_b32 s6, s6, -1
	s_and_saveexec_b32 s7, s6
	s_cbranch_execz .LBB212_42
; %bb.41:                               ;   in Loop: Header=BB212_32 Depth=1
	v_add_co_u32 v1, s6, -8, v40
	s_delay_alu instid0(VALU_DEP_1)
	v_add_co_ci_u32_e64 v2, s6, -1, v41, s6
	flat_load_u16 v1, v[1:2]
	s_waitcnt vmcnt(0) lgkmcnt(0)
	v_mul_f16_e32 v124, s19, v1
.LBB212_42:                             ;   in Loop: Header=BB212_32 Depth=1
	s_or_b32 exec_lo, exec_lo, s7
	v_add_nc_u32_e32 v127, 12, v0
	ds_load_2addr_b64 v[16:19], v112 offset1:32
	ds_load_2addr_b64 v[12:15], v112 offset0:64 offset1:96
	v_min_i32_e32 v0, s26, v127
	v_cmp_le_i32_e64 s6, s18, v127
	s_delay_alu instid0(VALU_DEP_2)
	v_mad_i64_i32 v[125:126], null, v0, s25, 0
	ds_load_2addr_b64 v[4:7], v112 offset0:128 offset1:160
	ds_load_2addr_b64 v[0:3], v112 offset0:192 offset1:224
	ds_load_2addr_b64 v[28:31], v113 offset1:8
	ds_load_2addr_b64 v[24:27], v113 offset0:16 offset1:24
	ds_load_2addr_b64 v[20:23], v113 offset0:32 offset1:40
	ds_load_2addr_b64 v[8:11], v113 offset0:48 offset1:56
	ds_store_b16 v72, v119
	ds_store_b16 v72, v120 offset:512
	ds_store_b16 v72, v121 offset:1024
	;; [unrolled: 1-line block ×3, first 2 shown]
	ds_store_b16 v80, v124
	s_waitcnt lgkmcnt(0)
	s_barrier
	buffer_gl0_inv
	v_lshlrev_b64 v[125:126], 1, v[125:126]
	s_delay_alu instid0(VALU_DEP_1) | instskip(NEXT) | instid1(VALU_DEP_1)
	v_add_co_u32 v124, s7, s8, v125
	v_add_co_ci_u32_e64 v125, s7, s9, v126, s7
	s_or_b32 s7, vcc_lo, s6
	s_delay_alu instid0(SALU_CYCLE_1) | instskip(SKIP_1) | instid1(SALU_CYCLE_1)
	v_cndmask_b32_e64 v119, 0, 0x7c00, s7
	s_or_b32 s7, s14, s7
	s_xor_b32 s7, s7, -1
	s_delay_alu instid0(SALU_CYCLE_1) | instskip(NEXT) | instid1(SALU_CYCLE_1)
	s_and_saveexec_b32 s27, s7
	s_xor_b32 s27, exec_lo, s27
	s_cbranch_execz .LBB212_44
; %bb.43:                               ;   in Loop: Header=BB212_32 Depth=1
	v_add_co_u32 v119, s7, v124, v32
	s_delay_alu instid0(VALU_DEP_1)
	v_add_co_ci_u32_e64 v120, s7, v125, v33, s7
	flat_load_u16 v119, v[119:120]
	s_waitcnt vmcnt(0) lgkmcnt(0)
	v_mul_f16_e32 v119, s19, v119
.LBB212_44:                             ;   in Loop: Header=BB212_32 Depth=1
	s_or_b32 exec_lo, exec_lo, s27
	s_or_b32 s7, s2, s6
	s_delay_alu instid0(SALU_CYCLE_1) | instskip(SKIP_1) | instid1(SALU_CYCLE_1)
	v_cndmask_b32_e64 v120, 0, 0x7c00, s7
	s_or_b32 s7, s14, s7
	s_xor_b32 s7, s7, -1
	s_delay_alu instid0(SALU_CYCLE_1)
	s_and_saveexec_b32 s27, s7
	s_cbranch_execz .LBB212_46
; %bb.45:                               ;   in Loop: Header=BB212_32 Depth=1
	v_add_co_u32 v120, s7, v124, v34
	s_delay_alu instid0(VALU_DEP_1)
	v_add_co_ci_u32_e64 v121, s7, v125, v35, s7
	flat_load_u16 v120, v[120:121]
	s_waitcnt vmcnt(0) lgkmcnt(0)
	v_mul_f16_e32 v120, s19, v120
.LBB212_46:                             ;   in Loop: Header=BB212_32 Depth=1
	s_or_b32 exec_lo, exec_lo, s27
	s_or_b32 s7, s3, s6
	s_delay_alu instid0(SALU_CYCLE_1) | instskip(SKIP_1) | instid1(SALU_CYCLE_1)
	v_cndmask_b32_e64 v121, 0, 0x7c00, s7
	s_or_b32 s7, s14, s7
	s_xor_b32 s7, s7, -1
	s_delay_alu instid0(SALU_CYCLE_1)
	s_and_saveexec_b32 s27, s7
	;; [unrolled: 17-line block ×3, first 2 shown]
	s_cbranch_execz .LBB212_50
; %bb.49:                               ;   in Loop: Header=BB212_32 Depth=1
	v_add_co_u32 v124, s6, v124, v38
	s_delay_alu instid0(VALU_DEP_1)
	v_add_co_ci_u32_e64 v125, s6, v125, v39, s6
	flat_load_u16 v122, v[124:125]
	s_waitcnt vmcnt(0) lgkmcnt(0)
	v_mul_f16_e32 v122, s19, v122
.LBB212_50:                             ;   in Loop: Header=BB212_32 Depth=1
	s_or_b32 exec_lo, exec_lo, s7
	v_pk_add_f16 v124, v16, v28
	v_pk_max_f16 v118, v118, v118
	v_pk_add_f16 v125, v18, v28
	v_pk_max_f16 v117, v117, v117
	;; [unrolled: 2-line block ×3, first 2 shown]
	v_pk_add_f16 v127, v14, v28
	v_pk_min_f16 v118, v118, v124
	v_pk_min_f16 v117, v117, v125
	v_pk_add_f16 v124, v4, v28
	v_pk_min_f16 v116, v116, v126
	v_pk_add_f16 v125, v6, v28
	v_pk_add_f16 v126, v0, v28
	v_pk_add_f16 v28, v2, v28
	v_pk_max_f16 v106, v106, v106
	v_pk_max_f16 v115, v115, v115
	;; [unrolled: 1-line block ×5, first 2 shown]
	v_pk_min_f16 v28, v106, v28
	v_pk_add_f16 v106, v18, v30
	v_pk_min_f16 v115, v115, v127
	v_pk_max_f16 v107, v107, v107
	v_pk_add_f16 v127, v16, v30
	v_pk_max_f16 v105, v105, v105
	v_pk_min_f16 v114, v114, v124
	v_pk_min_f16 v108, v108, v125
	v_pk_add_f16 v124, v12, v30
	v_pk_max_f16 v103, v103, v103
	v_pk_add_f16 v125, v14, v30
	v_pk_max_f16 v102, v102, v102
	v_pk_min_f16 v104, v104, v106
	v_pk_add_f16 v106, v0, v30
	v_pk_max_f16 v99, v99, v99
	v_pk_min_f16 v107, v107, v126
	v_pk_min_f16 v105, v105, v127
	v_pk_add_f16 v126, v4, v30
	v_pk_max_f16 v101, v101, v101
	v_pk_add_f16 v127, v6, v30
	v_pk_min_f16 v103, v103, v124
	v_pk_min_f16 v102, v102, v125
	v_pk_add_f16 v30, v2, v30
	v_pk_max_f16 v98, v98, v98
	v_pk_add_f16 v124, v16, v24
	v_pk_max_f16 v97, v97, v97
	;; [unrolled: 2-line block ×3, first 2 shown]
	v_pk_min_f16 v99, v99, v106
	v_pk_add_f16 v106, v4, v24
	v_pk_max_f16 v93, v93, v93
	v_pk_min_f16 v101, v101, v126
	v_pk_add_f16 v126, v12, v24
	v_pk_min_f16 v30, v98, v30
	v_pk_min_f16 v97, v97, v124
	v_pk_min_f16 v96, v96, v125
	v_pk_add_f16 v98, v14, v24
	v_pk_max_f16 v94, v94, v94
	v_pk_add_f16 v124, v6, v24
	v_pk_max_f16 v92, v92, v92
	;; [unrolled: 2-line block ×4, first 2 shown]
	v_pk_min_f16 v93, v93, v106
	v_pk_add_f16 v106, v12, v26
	v_pk_max_f16 v87, v87, v87
	v_pk_min_f16 v94, v94, v98
	v_pk_min_f16 v92, v92, v124
	;; [unrolled: 1-line block ×4, first 2 shown]
	v_pk_add_f16 v90, v16, v26
	v_pk_max_f16 v89, v89, v89
	v_pk_add_f16 v98, v18, v26
	v_pk_max_f16 v88, v88, v88
	v_pk_add_f16 v124, v14, v26
	v_pk_max_f16 v86, v86, v86
	v_pk_add_f16 v125, v4, v26
	v_pk_max_f16 v85, v85, v85
	v_pk_min_f16 v87, v87, v106
	v_pk_add_f16 v106, v16, v20
	v_pk_max_f16 v81, v81, v81
	v_pk_max_f16 v95, v95, v95
	v_pk_min_f16 v89, v89, v90
	v_pk_min_f16 v88, v88, v98
	;; [unrolled: 1-line block ×4, first 2 shown]
	v_pk_add_f16 v85, v6, v26
	v_pk_max_f16 v84, v84, v84
	v_pk_add_f16 v86, v0, v26
	v_pk_max_f16 v83, v83, v83
	;; [unrolled: 2-line block ×3, first 2 shown]
	v_pk_min_f16 v106, v81, v106
	v_pk_add_f16 v81, v14, v20
	v_pk_max_f16 v77, v77, v77
	v_pk_min_f16 v95, v95, v126
	v_pk_min_f16 v125, v84, v85
	;; [unrolled: 1-line block ×4, first 2 shown]
	v_pk_add_f16 v82, v4, v20
	v_pk_max_f16 v76, v76, v76
	v_pk_add_f16 v83, v6, v20
	v_pk_max_f16 v75, v75, v75
	;; [unrolled: 2-line block ×3, first 2 shown]
	v_pk_min_f16 v128, v77, v81
	v_pk_add_f16 v77, v14, v22
	v_pk_max_f16 v68, v68, v68
	v_pk_min_f16 v129, v76, v82
	v_pk_min_f16 v130, v75, v83
	;; [unrolled: 1-line block ×3, first 2 shown]
	v_pk_add_f16 v74, v16, v22
	v_pk_max_f16 v71, v71, v71
	v_pk_add_f16 v75, v18, v22
	v_pk_max_f16 v70, v70, v70
	;; [unrolled: 2-line block ×3, first 2 shown]
	v_pk_min_f16 v135, v68, v77
	v_pk_add_f16 v68, v4, v22
	v_pk_max_f16 v67, v67, v67
	v_pk_min_f16 v132, v71, v74
	v_pk_min_f16 v133, v70, v75
	;; [unrolled: 1-line block ×3, first 2 shown]
	v_pk_add_f16 v69, v6, v22
	v_pk_max_f16 v66, v66, v66
	v_pk_add_f16 v70, v0, v22
	v_pk_max_f16 v65, v65, v65
	;; [unrolled: 2-line block ×4, first 2 shown]
	v_pk_min_f16 v136, v67, v68
	v_pk_add_f16 v67, v6, v8
	v_pk_max_f16 v58, v58, v58
	v_pk_add_f16 v124, v18, v20
	v_pk_max_f16 v79, v79, v79
	v_pk_min_f16 v137, v66, v69
	v_pk_min_f16 v138, v65, v70
	;; [unrolled: 1-line block ×4, first 2 shown]
	v_pk_add_f16 v63, v18, v8
	v_pk_add_f16 v64, v12, v8
	;; [unrolled: 1-line block ×4, first 2 shown]
	v_pk_min_f16 v144, v58, v67
	v_pk_add_f16 v58, v0, v8
	v_pk_add_f16 v8, v2, v8
	v_pk_max_f16 v56, v56, v56
	v_pk_min_f16 v124, v79, v124
	v_pk_add_f16 v79, v12, v20
	v_pk_add_f16 v20, v2, v20
	;; [unrolled: 1-line block ×3, first 2 shown]
	v_pk_max_f16 v55, v55, v55
	v_pk_add_f16 v18, v18, v10
	v_pk_add_f16 v12, v12, v10
	v_pk_min_f16 v146, v56, v8
	v_pk_add_f16 v8, v14, v10
	v_pk_add_f16 v4, v4, v10
	;; [unrolled: 1-line block ×5, first 2 shown]
	v_pk_max_f16 v10, v48, v48
	v_pk_min_f16 v147, v55, v16
	v_pk_max_f16 v14, v51, v51
	v_pk_max_f16 v16, v50, v50
	;; [unrolled: 1-line block ×3, first 2 shown]
	v_pk_min_f16 v153, v10, v2
	v_pk_add_f16 v2, v17, v29
	v_pk_min_f16 v151, v14, v4
	v_pk_min_f16 v152, v16, v6
	v_pk_add_f16 v4, v19, v29
	v_pk_add_f16 v6, v13, v29
	v_pk_min_f16 v86, v118, v2
	v_pk_add_f16 v2, v7, v29
	v_pk_max_f16 v100, v100, v100
	v_pk_max_f16 v78, v78, v78
	v_pk_min_f16 v149, v53, v12
	v_pk_max_f16 v12, v52, v52
	v_pk_min_f16 v84, v117, v4
	v_pk_min_f16 v82, v116, v6
	v_pk_add_f16 v4, v1, v29
	v_pk_add_f16 v6, v3, v29
	v_pk_min_f16 v85, v108, v2
	v_pk_add_f16 v2, v13, v31
	v_pk_min_f16 v100, v100, v127
	v_pk_min_f16 v127, v78, v79
	;; [unrolled: 1-line block ×3, first 2 shown]
	v_pk_add_f16 v8, v15, v29
	v_pk_add_f16 v10, v5, v29
	v_pk_min_f16 v83, v107, v4
	v_pk_min_f16 v78, v28, v6
	v_pk_add_f16 v4, v15, v31
	v_pk_add_f16 v6, v5, v31
	v_pk_min_f16 v77, v103, v2
	v_pk_add_f16 v2, v3, v31
	v_pk_max_f16 v73, v73, v73
	v_pk_min_f16 v81, v115, v8
	v_pk_min_f16 v79, v114, v10
	v_pk_add_f16 v8, v17, v31
	v_pk_add_f16 v10, v19, v31
	v_pk_min_f16 v76, v102, v4
	v_pk_min_f16 v75, v101, v6
	v_pk_add_f16 v4, v17, v25
	v_pk_add_f16 v6, v19, v25
	v_pk_min_f16 v74, v30, v2
	v_pk_add_f16 v2, v5, v25
	v_pk_min_f16 v20, v73, v20
	v_pk_max_f16 v62, v62, v62
	v_pk_max_f16 v61, v61, v61
	;; [unrolled: 1-line block ×4, first 2 shown]
	v_pk_min_f16 v73, v105, v8
	v_pk_min_f16 v70, v104, v10
	v_pk_add_f16 v8, v7, v31
	v_pk_add_f16 v10, v1, v31
	v_pk_min_f16 v71, v97, v4
	v_pk_min_f16 v69, v96, v6
	v_pk_add_f16 v4, v7, v25
	v_pk_add_f16 v6, v1, v25
	v_pk_min_f16 v68, v93, v2
	v_pk_add_f16 v2, v19, v27
	v_pk_min_f16 v140, v62, v63
	v_pk_min_f16 v141, v61, v64
	;; [unrolled: 1-line block ×4, first 2 shown]
	v_pk_max_f16 v57, v57, v57
	v_pk_min_f16 v67, v100, v8
	v_pk_min_f16 v65, v99, v10
	v_pk_add_f16 v8, v13, v25
	v_pk_add_f16 v10, v15, v25
	v_pk_min_f16 v66, v92, v4
	v_pk_min_f16 v64, v91, v6
	v_pk_add_f16 v4, v13, v27
	v_pk_add_f16 v6, v15, v27
	v_pk_min_f16 v63, v88, v2
	v_pk_add_f16 v2, v1, v27
	v_pk_max_f16 v54, v54, v54
	v_pk_min_f16 v145, v57, v58
	v_pk_min_f16 v62, v95, v8
	;; [unrolled: 1-line block ×3, first 2 shown]
	v_pk_add_f16 v8, v3, v25
	v_pk_add_f16 v10, v17, v27
	v_pk_min_f16 v61, v87, v4
	v_pk_min_f16 v59, v90, v6
	v_pk_add_f16 v4, v3, v27
	v_pk_add_f16 v6, v17, v21
	v_pk_min_f16 v58, v126, v2
	v_pk_add_f16 v2, v15, v21
	v_pk_min_f16 v148, v54, v18
	v_pk_min_f16 v57, v24, v8
	;; [unrolled: 1-line block ×3, first 2 shown]
	v_pk_add_f16 v8, v5, v27
	v_pk_add_f16 v10, v7, v27
	v_pk_min_f16 v56, v26, v4
	v_pk_min_f16 v54, v106, v6
	v_pk_add_f16 v4, v5, v21
	v_pk_add_f16 v6, v7, v21
	v_pk_min_f16 v53, v128, v2
	v_pk_add_f16 v2, v17, v23
	v_pk_max_f16 v18, v49, v49
	v_pk_min_f16 v52, v98, v8
	v_pk_min_f16 v50, v125, v10
	v_pk_add_f16 v8, v19, v21
	v_pk_add_f16 v10, v13, v21
	v_pk_min_f16 v51, v129, v4
	v_pk_min_f16 v49, v130, v6
	v_pk_add_f16 v4, v19, v23
	v_pk_add_f16 v6, v13, v23
	v_pk_min_f16 v48, v132, v2
	v_pk_add_f16 v2, v7, v23
	v_pk_min_f16 v31, v124, v8
	v_pk_min_f16 v29, v127, v10
	v_pk_add_f16 v8, v1, v21
	v_pk_add_f16 v10, v3, v21
	v_pk_min_f16 v30, v133, v4
	v_pk_min_f16 v28, v134, v6
	v_pk_add_f16 v4, v1, v23
	v_pk_add_f16 v6, v3, v23
	v_pk_min_f16 v27, v137, v2
	v_pk_add_f16 v2, v13, v9
	v_pk_min_f16 v26, v131, v8
	v_pk_min_f16 v24, v20, v10
	v_pk_add_f16 v8, v15, v23
	v_pk_add_f16 v10, v5, v23
	v_pk_min_f16 v25, v138, v4
	v_pk_min_f16 v23, v22, v6
	v_pk_add_f16 v4, v15, v9
	v_pk_min_f16 v22, v141, v2
	v_pk_add_f16 v2, v3, v9
	v_pk_add_f16 v15, v15, v11
	v_pk_min_f16 v21, v135, v8
	v_pk_add_f16 v8, v17, v9
	v_pk_min_f16 v20, v142, v4
	v_pk_add_f16 v4, v17, v11
	v_pk_add_f16 v17, v13, v11
	v_pk_min_f16 v13, v146, v2
	v_pk_min_f16 v2, v150, v15
	v_add_nc_u32_e32 v15, 12, v123
	v_pk_add_f16 v6, v5, v9
	v_pk_add_f16 v12, v1, v9
	v_pk_min_f16 v0, v18, v0
	v_pk_min_f16 v18, v136, v10
	v_cmp_le_i32_e64 s6, s18, v15
	v_pk_add_f16 v10, v19, v9
	v_pk_min_f16 v14, v139, v8
	v_pk_add_f16 v8, v7, v9
	v_pk_min_f16 v16, v143, v6
	v_pk_min_f16 v6, v145, v12
	v_pk_add_f16 v9, v19, v11
	v_pk_min_f16 v12, v147, v4
	v_pk_min_f16 v4, v149, v17
	v_pk_add_f16 v5, v5, v11
	v_pk_add_f16 v17, v7, v11
	v_pk_add_f16 v1, v1, v11
	v_pk_add_f16 v11, v3, v11
	s_or_b32 s6, s6, s5
	v_pk_min_f16 v10, v140, v10
	v_pk_min_f16 v8, v144, v8
	;; [unrolled: 1-line block ×7, first 2 shown]
	v_cndmask_b32_e64 v0, 0, 0x7c00, s6
	s_or_b32 s6, s14, s6
	s_delay_alu instid0(SALU_CYCLE_1) | instskip(NEXT) | instid1(SALU_CYCLE_1)
	s_xor_b32 s7, s6, -1
	s_and_saveexec_b32 s6, s7
	s_cbranch_execz .LBB212_31
; %bb.51:                               ;   in Loop: Header=BB212_32 Depth=1
	flat_load_u16 v0, v[40:41]
	s_waitcnt vmcnt(0) lgkmcnt(0)
	v_mul_f16_e32 v0, s19, v0
	s_branch .LBB212_31
.LBB212_52:
	s_clause 0x2
	s_load_b32 s14, s[0:1], 0x50
	s_load_b32 s9, s[0:1], 0x68
	s_load_b64 s[2:3], s[0:1], 0x70
	v_add_nc_u32_e32 v0, 0x800, v45
	v_add_nc_u32_e32 v80, s24, v43
	;; [unrolled: 1-line block ×4, first 2 shown]
	ds_load_2addr_b64 v[16:19], v0 offset1:32
	ds_load_2addr_b64 v[12:15], v0 offset0:64 offset1:96
	ds_load_2addr_b64 v[8:11], v0 offset0:128 offset1:160
	;; [unrolled: 1-line block ×7, first 2 shown]
	v_cmp_gt_i32_e64 s0, s16, v32
	v_cmp_gt_i32_e64 s8, s17, v80
	v_ashrrev_i32_e32 v33, 31, v32
	v_cndmask_b32_e64 v72, 0, 1, s22
	s_waitcnt lgkmcnt(0)
	v_mad_i64_i32 v[34:35], null, v80, s14, 0
	v_mad_i64_i32 v[36:37], null, v80, s9, 0
	s_lshl_b64 s[2:3], s[2:3], 1
	s_delay_alu instid0(SALU_CYCLE_1) | instskip(SKIP_1) | instid1(VALU_DEP_2)
	s_add_u32 s12, s12, s2
	s_addc_u32 s13, s13, s3
	v_lshlrev_b64 v[34:35], 1, v[34:35]
	s_and_b32 s1, s0, s8
	s_delay_alu instid0(VALU_DEP_2) | instskip(NEXT) | instid1(VALU_DEP_2)
	v_lshlrev_b64 v[36:37], 1, v[36:37]
	v_add_co_u32 v111, vcc_lo, s10, v34
	s_delay_alu instid0(VALU_DEP_3) | instskip(NEXT) | instid1(VALU_DEP_3)
	v_add_co_ci_u32_e32 v112, vcc_lo, s11, v35, vcc_lo
	v_add_co_u32 v109, vcc_lo, s12, v36
	s_delay_alu instid0(VALU_DEP_4) | instskip(SKIP_1) | instid1(SALU_CYCLE_1)
	v_add_co_ci_u32_e32 v110, vcc_lo, s13, v37, vcc_lo
	s_and_saveexec_b32 s2, s1
	s_xor_b32 s1, exec_lo, s2
	s_cbranch_execz .LBB212_57
; %bb.53:
	s_and_not1_b32 vcc_lo, exec_lo, s22
	s_cbranch_vccnz .LBB212_55
; %bb.54:
	v_lshlrev_b64 v[34:35], 1, v[32:33]
	s_delay_alu instid0(VALU_DEP_1) | instskip(NEXT) | instid1(VALU_DEP_2)
	v_add_co_u32 v34, vcc_lo, v111, v34
	v_add_co_ci_u32_e32 v35, vcc_lo, v112, v35, vcc_lo
	flat_load_u16 v34, v[34:35]
	s_waitcnt vmcnt(0) lgkmcnt(0)
	v_mul_f16_e32 v34, s15, v34
	s_branch .LBB212_56
.LBB212_55:
	v_mov_b32_e32 v34, 0
.LBB212_56:
	v_pk_add_f16 v35, v16, v28
	v_pk_max_f16 v36, v118, v118
	v_pk_add_f16 v37, v17, v29
	s_delay_alu instid0(VALU_DEP_2) | instskip(NEXT) | instid1(VALU_DEP_1)
	v_pk_min_f16 v35, v36, v35
	v_pk_min_f16 v37, v35, v37
	v_lshlrev_b64 v[35:36], 1, v[32:33]
	s_delay_alu instid0(VALU_DEP_2) | instskip(NEXT) | instid1(VALU_DEP_1)
	v_lshrrev_b32_e32 v38, 16, v37
	v_min3_f16 v37, v34, v37, v38
	s_delay_alu instid0(VALU_DEP_3) | instskip(NEXT) | instid1(VALU_DEP_4)
	v_add_co_u32 v34, vcc_lo, v109, v35
	v_add_co_ci_u32_e32 v35, vcc_lo, v110, v36, vcc_lo
	global_store_b16 v[34:35], v37, off
.LBB212_57:
	s_or_b32 exec_lo, exec_lo, s1
	v_add_nc_u32_e32 v34, 32, v32
	s_delay_alu instid0(VALU_DEP_1) | instskip(SKIP_1) | instid1(VALU_DEP_2)
	v_cmp_gt_i32_e64 s1, s16, v34
	v_ashrrev_i32_e32 v35, 31, v34
	s_and_b32 s3, s1, s8
	s_delay_alu instid0(SALU_CYCLE_1)
	s_and_saveexec_b32 s2, s3
	s_cbranch_execz .LBB212_62
; %bb.58:
	v_cmp_ne_u32_e32 vcc_lo, 1, v72
	s_cbranch_vccnz .LBB212_60
; %bb.59:
	v_lshlrev_b64 v[36:37], 1, v[34:35]
	s_delay_alu instid0(VALU_DEP_1) | instskip(NEXT) | instid1(VALU_DEP_2)
	v_add_co_u32 v36, vcc_lo, v111, v36
	v_add_co_ci_u32_e32 v37, vcc_lo, v112, v37, vcc_lo
	flat_load_u16 v36, v[36:37]
	s_waitcnt vmcnt(0) lgkmcnt(0)
	v_mul_f16_e32 v36, s15, v36
	s_branch .LBB212_61
.LBB212_60:
	v_mov_b32_e32 v36, 0
.LBB212_61:
	v_pk_add_f16 v37, v18, v28
	v_pk_max_f16 v38, v117, v117
	v_pk_add_f16 v39, v19, v29
	s_delay_alu instid0(VALU_DEP_2) | instskip(NEXT) | instid1(VALU_DEP_1)
	v_pk_min_f16 v37, v38, v37
	v_pk_min_f16 v39, v37, v39
	v_lshlrev_b64 v[37:38], 1, v[34:35]
	s_delay_alu instid0(VALU_DEP_2) | instskip(NEXT) | instid1(VALU_DEP_1)
	v_lshrrev_b32_e32 v40, 16, v39
	v_min3_f16 v39, v36, v39, v40
	s_delay_alu instid0(VALU_DEP_3) | instskip(NEXT) | instid1(VALU_DEP_4)
	v_add_co_u32 v36, vcc_lo, v109, v37
	v_add_co_ci_u32_e32 v37, vcc_lo, v110, v38, vcc_lo
	global_store_b16 v[36:37], v39, off
.LBB212_62:
	s_or_b32 exec_lo, exec_lo, s2
	v_add_nc_u32_e32 v36, 64, v32
	s_delay_alu instid0(VALU_DEP_1) | instskip(SKIP_1) | instid1(VALU_DEP_2)
	v_cmp_gt_i32_e64 s2, s16, v36
	v_ashrrev_i32_e32 v37, 31, v36
	s_and_b32 s4, s2, s8
	s_delay_alu instid0(SALU_CYCLE_1)
	s_and_saveexec_b32 s3, s4
	s_cbranch_execz .LBB212_67
; %bb.63:
	v_cmp_ne_u32_e32 vcc_lo, 1, v72
	s_cbranch_vccnz .LBB212_65
; %bb.64:
	v_lshlrev_b64 v[38:39], 1, v[36:37]
	s_delay_alu instid0(VALU_DEP_1) | instskip(NEXT) | instid1(VALU_DEP_2)
	v_add_co_u32 v38, vcc_lo, v111, v38
	v_add_co_ci_u32_e32 v39, vcc_lo, v112, v39, vcc_lo
	flat_load_u16 v38, v[38:39]
	s_waitcnt vmcnt(0) lgkmcnt(0)
	v_mul_f16_e32 v38, s15, v38
	s_branch .LBB212_66
.LBB212_65:
	v_mov_b32_e32 v38, 0
.LBB212_66:
	v_pk_add_f16 v39, v12, v28
	v_pk_max_f16 v40, v116, v116
	v_pk_add_f16 v41, v13, v29
	s_delay_alu instid0(VALU_DEP_2) | instskip(NEXT) | instid1(VALU_DEP_1)
	v_pk_min_f16 v39, v40, v39
	v_pk_min_f16 v41, v39, v41
	v_lshlrev_b64 v[39:40], 1, v[36:37]
	s_delay_alu instid0(VALU_DEP_2) | instskip(NEXT) | instid1(VALU_DEP_1)
	v_lshrrev_b32_e32 v42, 16, v41
	v_min3_f16 v41, v38, v41, v42
	s_delay_alu instid0(VALU_DEP_3) | instskip(NEXT) | instid1(VALU_DEP_4)
	v_add_co_u32 v38, vcc_lo, v109, v39
	v_add_co_ci_u32_e32 v39, vcc_lo, v110, v40, vcc_lo
	global_store_b16 v[38:39], v41, off
.LBB212_67:
	;; [unrolled: 39-line block ×6, first 2 shown]
	s_or_b32 exec_lo, exec_lo, s7
	v_add_nc_u32_e32 v46, 0xe0, v32
	s_delay_alu instid0(VALU_DEP_1) | instskip(SKIP_1) | instid1(VALU_DEP_2)
	v_cmp_gt_i32_e64 s7, s16, v46
	v_ashrrev_i32_e32 v47, 31, v46
	s_and_b32 s16, s7, s8
	s_delay_alu instid0(SALU_CYCLE_1)
	s_and_saveexec_b32 s8, s16
	s_cbranch_execz .LBB212_92
; %bb.88:
	v_cmp_ne_u32_e32 vcc_lo, 1, v72
	s_cbranch_vccnz .LBB212_90
; %bb.89:
	v_lshlrev_b64 v[107:108], 1, v[46:47]
	s_delay_alu instid0(VALU_DEP_1) | instskip(NEXT) | instid1(VALU_DEP_2)
	v_add_co_u32 v107, vcc_lo, v111, v107
	v_add_co_ci_u32_e32 v108, vcc_lo, v112, v108, vcc_lo
	flat_load_u16 v107, v[107:108]
	s_waitcnt vmcnt(0) lgkmcnt(0)
	v_mul_f16_e32 v107, s15, v107
	s_branch .LBB212_91
.LBB212_90:
	v_mov_b32_e32 v107, 0
.LBB212_91:
	v_pk_add_f16 v28, v2, v28
	v_pk_max_f16 v106, v106, v106
	v_pk_add_f16 v29, v3, v29
	s_delay_alu instid0(VALU_DEP_2) | instskip(NEXT) | instid1(VALU_DEP_1)
	v_pk_min_f16 v28, v106, v28
	v_pk_min_f16 v106, v28, v29
	v_lshlrev_b64 v[28:29], 1, v[46:47]
	s_delay_alu instid0(VALU_DEP_2) | instskip(NEXT) | instid1(VALU_DEP_2)
	v_lshrrev_b32_e32 v108, 16, v106
	v_add_co_u32 v28, vcc_lo, v109, v28
	s_delay_alu instid0(VALU_DEP_3) | instskip(NEXT) | instid1(VALU_DEP_3)
	v_add_co_ci_u32_e32 v29, vcc_lo, v110, v29, vcc_lo
	v_min3_f16 v106, v107, v106, v108
	global_store_b16 v[28:29], v106, off
.LBB212_92:
	s_or_b32 exec_lo, exec_lo, s8
	v_add_nc_u32_e32 v108, 8, v80
	s_delay_alu instid0(VALU_DEP_1) | instskip(SKIP_2) | instid1(VALU_DEP_3)
	v_mad_i64_i32 v[28:29], null, v108, s14, 0
	v_mad_i64_i32 v[106:107], null, v108, s9, 0
	v_cmp_gt_i32_e64 s8, s17, v108
	v_lshlrev_b64 v[28:29], 1, v[28:29]
	s_delay_alu instid0(VALU_DEP_2) | instskip(NEXT) | instid1(VALU_DEP_3)
	s_and_b32 s18, s0, s8
	v_lshlrev_b64 v[108:109], 1, v[106:107]
	s_delay_alu instid0(VALU_DEP_2) | instskip(NEXT) | instid1(VALU_DEP_3)
	v_add_co_u32 v106, vcc_lo, s10, v28
	v_add_co_ci_u32_e32 v107, vcc_lo, s11, v29, vcc_lo
	s_delay_alu instid0(VALU_DEP_3) | instskip(NEXT) | instid1(VALU_DEP_4)
	v_add_co_u32 v28, vcc_lo, s12, v108
	v_add_co_ci_u32_e32 v29, vcc_lo, s13, v109, vcc_lo
	s_and_saveexec_b32 s16, s18
	s_cbranch_execnz .LBB212_100
; %bb.93:
	s_or_b32 exec_lo, exec_lo, s16
	s_and_b32 s18, s1, s8
	s_delay_alu instid0(SALU_CYCLE_1)
	s_and_saveexec_b32 s16, s18
	s_cbranch_execnz .LBB212_104
.LBB212_94:
	s_or_b32 exec_lo, exec_lo, s16
	s_and_b32 s18, s2, s8
	s_delay_alu instid0(SALU_CYCLE_1)
	s_and_saveexec_b32 s16, s18
	s_cbranch_execnz .LBB212_108
.LBB212_95:
	s_or_b32 exec_lo, exec_lo, s16
	s_and_b32 s18, s3, s8
	s_delay_alu instid0(SALU_CYCLE_1)
	s_and_saveexec_b32 s16, s18
	s_cbranch_execnz .LBB212_112
.LBB212_96:
	s_or_b32 exec_lo, exec_lo, s16
	s_and_b32 s18, s4, s8
	s_delay_alu instid0(SALU_CYCLE_1)
	s_and_saveexec_b32 s16, s18
	s_cbranch_execnz .LBB212_116
.LBB212_97:
	s_or_b32 exec_lo, exec_lo, s16
	s_and_b32 s18, s5, s8
	s_delay_alu instid0(SALU_CYCLE_1)
	s_and_saveexec_b32 s16, s18
	s_cbranch_execnz .LBB212_120
.LBB212_98:
	s_or_b32 exec_lo, exec_lo, s16
	s_and_b32 s18, s6, s8
	s_delay_alu instid0(SALU_CYCLE_1)
	s_and_saveexec_b32 s16, s18
	s_cbranch_execnz .LBB212_124
.LBB212_99:
	s_or_b32 exec_lo, exec_lo, s16
	s_and_b32 s16, s7, s8
	s_delay_alu instid0(SALU_CYCLE_1)
	s_and_saveexec_b32 s8, s16
	s_cbranch_execnz .LBB212_128
	s_branch .LBB212_132
.LBB212_100:
	v_cmp_ne_u32_e32 vcc_lo, 1, v72
	s_cbranch_vccnz .LBB212_102
; %bb.101:
	v_lshlrev_b64 v[108:109], 1, v[32:33]
	s_delay_alu instid0(VALU_DEP_1) | instskip(NEXT) | instid1(VALU_DEP_2)
	v_add_co_u32 v108, vcc_lo, v106, v108
	v_add_co_ci_u32_e32 v109, vcc_lo, v107, v109, vcc_lo
	flat_load_u16 v108, v[108:109]
	s_waitcnt vmcnt(0) lgkmcnt(0)
	v_mul_f16_e32 v108, s15, v108
	s_branch .LBB212_103
.LBB212_102:
	v_mov_b32_e32 v108, 0
.LBB212_103:
	v_pk_add_f16 v109, v16, v30
	v_pk_max_f16 v105, v105, v105
	v_pk_add_f16 v110, v17, v31
	s_delay_alu instid0(VALU_DEP_2) | instskip(NEXT) | instid1(VALU_DEP_1)
	v_pk_min_f16 v105, v105, v109
	v_pk_min_f16 v105, v105, v110
	v_lshlrev_b64 v[109:110], 1, v[32:33]
	s_delay_alu instid0(VALU_DEP_2) | instskip(NEXT) | instid1(VALU_DEP_1)
	v_lshrrev_b32_e32 v111, 16, v105
	v_min3_f16 v105, v108, v105, v111
	s_delay_alu instid0(VALU_DEP_3) | instskip(NEXT) | instid1(VALU_DEP_4)
	v_add_co_u32 v108, vcc_lo, v28, v109
	v_add_co_ci_u32_e32 v109, vcc_lo, v29, v110, vcc_lo
	global_store_b16 v[108:109], v105, off
	s_or_b32 exec_lo, exec_lo, s16
	s_and_b32 s18, s1, s8
	s_delay_alu instid0(SALU_CYCLE_1)
	s_and_saveexec_b32 s16, s18
	s_cbranch_execz .LBB212_94
.LBB212_104:
	v_cmp_ne_u32_e32 vcc_lo, 1, v72
	s_cbranch_vccnz .LBB212_106
; %bb.105:
	v_lshlrev_b64 v[108:109], 1, v[34:35]
	s_delay_alu instid0(VALU_DEP_1) | instskip(NEXT) | instid1(VALU_DEP_2)
	v_add_co_u32 v108, vcc_lo, v106, v108
	v_add_co_ci_u32_e32 v109, vcc_lo, v107, v109, vcc_lo
	flat_load_u16 v105, v[108:109]
	s_waitcnt vmcnt(0) lgkmcnt(0)
	v_mul_f16_e32 v105, s15, v105
	s_branch .LBB212_107
.LBB212_106:
	v_mov_b32_e32 v105, 0
.LBB212_107:
	v_pk_add_f16 v108, v18, v30
	v_pk_max_f16 v104, v104, v104
	v_pk_add_f16 v109, v19, v31
	s_delay_alu instid0(VALU_DEP_2) | instskip(NEXT) | instid1(VALU_DEP_1)
	v_pk_min_f16 v104, v104, v108
	v_pk_min_f16 v104, v104, v109
	v_lshlrev_b64 v[108:109], 1, v[34:35]
	s_delay_alu instid0(VALU_DEP_2) | instskip(NEXT) | instid1(VALU_DEP_1)
	v_lshrrev_b32_e32 v110, 16, v104
	v_min3_f16 v110, v105, v104, v110
	s_delay_alu instid0(VALU_DEP_3) | instskip(NEXT) | instid1(VALU_DEP_4)
	v_add_co_u32 v104, vcc_lo, v28, v108
	v_add_co_ci_u32_e32 v105, vcc_lo, v29, v109, vcc_lo
	global_store_b16 v[104:105], v110, off
	s_or_b32 exec_lo, exec_lo, s16
	s_and_b32 s18, s2, s8
	s_delay_alu instid0(SALU_CYCLE_1)
	s_and_saveexec_b32 s16, s18
	s_cbranch_execz .LBB212_95
.LBB212_108:
	v_cmp_ne_u32_e32 vcc_lo, 1, v72
	s_cbranch_vccnz .LBB212_110
; %bb.109:
	v_lshlrev_b64 v[104:105], 1, v[36:37]
	s_delay_alu instid0(VALU_DEP_1) | instskip(NEXT) | instid1(VALU_DEP_2)
	v_add_co_u32 v104, vcc_lo, v106, v104
	v_add_co_ci_u32_e32 v105, vcc_lo, v107, v105, vcc_lo
	flat_load_u16 v104, v[104:105]
	s_waitcnt vmcnt(0) lgkmcnt(0)
	v_mul_f16_e32 v104, s15, v104
	s_branch .LBB212_111
.LBB212_110:
	v_mov_b32_e32 v104, 0
.LBB212_111:
	v_pk_add_f16 v105, v12, v30
	v_pk_max_f16 v103, v103, v103
	v_pk_add_f16 v108, v13, v31
	s_delay_alu instid0(VALU_DEP_2) | instskip(NEXT) | instid1(VALU_DEP_1)
	v_pk_min_f16 v103, v103, v105
	v_pk_min_f16 v103, v103, v108
	v_lshlrev_b64 v[108:109], 1, v[36:37]
	s_delay_alu instid0(VALU_DEP_2) | instskip(NEXT) | instid1(VALU_DEP_1)
	v_lshrrev_b32_e32 v105, 16, v103
	v_min3_f16 v105, v104, v103, v105
	s_delay_alu instid0(VALU_DEP_3) | instskip(NEXT) | instid1(VALU_DEP_4)
	v_add_co_u32 v103, vcc_lo, v28, v108
	v_add_co_ci_u32_e32 v104, vcc_lo, v29, v109, vcc_lo
	global_store_b16 v[103:104], v105, off
	s_or_b32 exec_lo, exec_lo, s16
	s_and_b32 s18, s3, s8
	s_delay_alu instid0(SALU_CYCLE_1)
	s_and_saveexec_b32 s16, s18
	s_cbranch_execz .LBB212_96
.LBB212_112:
	v_cmp_ne_u32_e32 vcc_lo, 1, v72
	s_cbranch_vccnz .LBB212_114
; %bb.113:
	v_lshlrev_b64 v[103:104], 1, v[38:39]
	s_delay_alu instid0(VALU_DEP_1) | instskip(NEXT) | instid1(VALU_DEP_2)
	v_add_co_u32 v103, vcc_lo, v106, v103
	v_add_co_ci_u32_e32 v104, vcc_lo, v107, v104, vcc_lo
	flat_load_u16 v103, v[103:104]
	s_waitcnt vmcnt(0) lgkmcnt(0)
	v_mul_f16_e32 v103, s15, v103
	s_branch .LBB212_115
.LBB212_114:
	v_mov_b32_e32 v103, 0
.LBB212_115:
	v_pk_add_f16 v104, v14, v30
	v_pk_max_f16 v102, v102, v102
	v_pk_add_f16 v105, v15, v31
	s_delay_alu instid0(VALU_DEP_2) | instskip(NEXT) | instid1(VALU_DEP_1)
	v_pk_min_f16 v102, v102, v104
	v_pk_min_f16 v102, v102, v105
	v_lshlrev_b64 v[104:105], 1, v[38:39]
	s_delay_alu instid0(VALU_DEP_2) | instskip(NEXT) | instid1(VALU_DEP_1)
	v_lshrrev_b32_e32 v108, 16, v102
	v_min3_f16 v108, v103, v102, v108
	s_delay_alu instid0(VALU_DEP_3) | instskip(NEXT) | instid1(VALU_DEP_4)
	v_add_co_u32 v102, vcc_lo, v28, v104
	v_add_co_ci_u32_e32 v103, vcc_lo, v29, v105, vcc_lo
	global_store_b16 v[102:103], v108, off
	s_or_b32 exec_lo, exec_lo, s16
	s_and_b32 s18, s4, s8
	s_delay_alu instid0(SALU_CYCLE_1)
	s_and_saveexec_b32 s16, s18
	s_cbranch_execz .LBB212_97
.LBB212_116:
	v_cmp_ne_u32_e32 vcc_lo, 1, v72
	s_cbranch_vccnz .LBB212_118
; %bb.117:
	v_lshlrev_b64 v[102:103], 1, v[40:41]
	s_delay_alu instid0(VALU_DEP_1) | instskip(NEXT) | instid1(VALU_DEP_2)
	v_add_co_u32 v102, vcc_lo, v106, v102
	v_add_co_ci_u32_e32 v103, vcc_lo, v107, v103, vcc_lo
	flat_load_u16 v102, v[102:103]
	s_waitcnt vmcnt(0) lgkmcnt(0)
	v_mul_f16_e32 v102, s15, v102
	s_branch .LBB212_119
.LBB212_118:
	v_mov_b32_e32 v102, 0
.LBB212_119:
	v_pk_add_f16 v103, v8, v30
	v_pk_max_f16 v101, v101, v101
	v_pk_add_f16 v104, v9, v31
	s_delay_alu instid0(VALU_DEP_2) | instskip(NEXT) | instid1(VALU_DEP_1)
	v_pk_min_f16 v101, v101, v103
	v_pk_min_f16 v101, v101, v104
	v_lshlrev_b64 v[103:104], 1, v[40:41]
	s_delay_alu instid0(VALU_DEP_2) | instskip(NEXT) | instid1(VALU_DEP_1)
	v_lshrrev_b32_e32 v105, 16, v101
	v_min3_f16 v105, v102, v101, v105
	s_delay_alu instid0(VALU_DEP_3) | instskip(NEXT) | instid1(VALU_DEP_4)
	v_add_co_u32 v101, vcc_lo, v28, v103
	v_add_co_ci_u32_e32 v102, vcc_lo, v29, v104, vcc_lo
	global_store_b16 v[101:102], v105, off
	s_or_b32 exec_lo, exec_lo, s16
	s_and_b32 s18, s5, s8
	s_delay_alu instid0(SALU_CYCLE_1)
	s_and_saveexec_b32 s16, s18
	s_cbranch_execz .LBB212_98
.LBB212_120:
	v_cmp_ne_u32_e32 vcc_lo, 1, v72
	s_cbranch_vccnz .LBB212_122
; %bb.121:
	v_lshlrev_b64 v[101:102], 1, v[42:43]
	s_delay_alu instid0(VALU_DEP_1) | instskip(NEXT) | instid1(VALU_DEP_2)
	v_add_co_u32 v101, vcc_lo, v106, v101
	v_add_co_ci_u32_e32 v102, vcc_lo, v107, v102, vcc_lo
	flat_load_u16 v101, v[101:102]
	s_waitcnt vmcnt(0) lgkmcnt(0)
	v_mul_f16_e32 v101, s15, v101
	s_branch .LBB212_123
.LBB212_122:
	v_mov_b32_e32 v101, 0
.LBB212_123:
	v_pk_add_f16 v102, v10, v30
	v_pk_max_f16 v100, v100, v100
	v_pk_add_f16 v103, v11, v31
	s_delay_alu instid0(VALU_DEP_2) | instskip(NEXT) | instid1(VALU_DEP_1)
	v_pk_min_f16 v100, v100, v102
	v_pk_min_f16 v100, v100, v103
	v_lshlrev_b64 v[102:103], 1, v[42:43]
	s_delay_alu instid0(VALU_DEP_2) | instskip(NEXT) | instid1(VALU_DEP_1)
	v_lshrrev_b32_e32 v104, 16, v100
	v_min3_f16 v104, v101, v100, v104
	s_delay_alu instid0(VALU_DEP_3) | instskip(NEXT) | instid1(VALU_DEP_4)
	v_add_co_u32 v100, vcc_lo, v28, v102
	v_add_co_ci_u32_e32 v101, vcc_lo, v29, v103, vcc_lo
	global_store_b16 v[100:101], v104, off
	s_or_b32 exec_lo, exec_lo, s16
	s_and_b32 s18, s6, s8
	s_delay_alu instid0(SALU_CYCLE_1)
	s_and_saveexec_b32 s16, s18
	s_cbranch_execz .LBB212_99
.LBB212_124:
	v_cmp_ne_u32_e32 vcc_lo, 1, v72
	s_cbranch_vccnz .LBB212_126
; %bb.125:
	v_lshlrev_b64 v[100:101], 1, v[44:45]
	s_delay_alu instid0(VALU_DEP_1) | instskip(NEXT) | instid1(VALU_DEP_2)
	v_add_co_u32 v100, vcc_lo, v106, v100
	v_add_co_ci_u32_e32 v101, vcc_lo, v107, v101, vcc_lo
	flat_load_u16 v100, v[100:101]
	s_waitcnt vmcnt(0) lgkmcnt(0)
	v_mul_f16_e32 v100, s15, v100
	s_branch .LBB212_127
.LBB212_126:
	v_mov_b32_e32 v100, 0
.LBB212_127:
	v_pk_add_f16 v101, v0, v30
	v_pk_max_f16 v99, v99, v99
	v_pk_add_f16 v102, v1, v31
	s_delay_alu instid0(VALU_DEP_2) | instskip(NEXT) | instid1(VALU_DEP_1)
	v_pk_min_f16 v99, v99, v101
	v_pk_min_f16 v99, v99, v102
	v_lshlrev_b64 v[101:102], 1, v[44:45]
	s_delay_alu instid0(VALU_DEP_2) | instskip(NEXT) | instid1(VALU_DEP_1)
	v_lshrrev_b32_e32 v103, 16, v99
	v_min3_f16 v103, v100, v99, v103
	s_delay_alu instid0(VALU_DEP_3) | instskip(NEXT) | instid1(VALU_DEP_4)
	v_add_co_u32 v99, vcc_lo, v28, v101
	v_add_co_ci_u32_e32 v100, vcc_lo, v29, v102, vcc_lo
	global_store_b16 v[99:100], v103, off
	s_or_b32 exec_lo, exec_lo, s16
	s_and_b32 s16, s7, s8
	s_delay_alu instid0(SALU_CYCLE_1)
	s_and_saveexec_b32 s8, s16
	s_cbranch_execz .LBB212_132
.LBB212_128:
	v_cmp_ne_u32_e32 vcc_lo, 1, v72
	s_cbranch_vccnz .LBB212_130
; %bb.129:
	v_lshlrev_b64 v[99:100], 1, v[46:47]
	s_delay_alu instid0(VALU_DEP_1) | instskip(NEXT) | instid1(VALU_DEP_2)
	v_add_co_u32 v99, vcc_lo, v106, v99
	v_add_co_ci_u32_e32 v100, vcc_lo, v107, v100, vcc_lo
	flat_load_u16 v99, v[99:100]
	s_waitcnt vmcnt(0) lgkmcnt(0)
	v_mul_f16_e32 v99, s15, v99
	s_branch .LBB212_131
.LBB212_130:
	v_mov_b32_e32 v99, 0
.LBB212_131:
	v_pk_add_f16 v30, v2, v30
	v_pk_max_f16 v98, v98, v98
	v_pk_add_f16 v31, v3, v31
	s_delay_alu instid0(VALU_DEP_2) | instskip(NEXT) | instid1(VALU_DEP_1)
	v_pk_min_f16 v30, v98, v30
	v_pk_min_f16 v98, v30, v31
	v_lshlrev_b64 v[30:31], 1, v[46:47]
	s_delay_alu instid0(VALU_DEP_2) | instskip(NEXT) | instid1(VALU_DEP_2)
	v_lshrrev_b32_e32 v100, 16, v98
	v_add_co_u32 v28, vcc_lo, v28, v30
	s_delay_alu instid0(VALU_DEP_3) | instskip(NEXT) | instid1(VALU_DEP_3)
	v_add_co_ci_u32_e32 v29, vcc_lo, v29, v31, vcc_lo
	v_min3_f16 v98, v99, v98, v100
	global_store_b16 v[28:29], v98, off
.LBB212_132:
	s_or_b32 exec_lo, exec_lo, s8
	v_add_nc_u32_e32 v98, 16, v80
	s_delay_alu instid0(VALU_DEP_1) | instskip(SKIP_2) | instid1(VALU_DEP_3)
	v_mad_i64_i32 v[28:29], null, v98, s14, 0
	v_mad_i64_i32 v[30:31], null, v98, s9, 0
	v_cmp_gt_i32_e64 s8, s17, v98
	v_lshlrev_b64 v[28:29], 1, v[28:29]
	s_delay_alu instid0(VALU_DEP_2) | instskip(NEXT) | instid1(VALU_DEP_3)
	s_and_b32 s18, s0, s8
	v_lshlrev_b64 v[98:99], 1, v[30:31]
	s_delay_alu instid0(VALU_DEP_2) | instskip(NEXT) | instid1(VALU_DEP_3)
	v_add_co_u32 v30, vcc_lo, s10, v28
	v_add_co_ci_u32_e32 v31, vcc_lo, s11, v29, vcc_lo
	s_delay_alu instid0(VALU_DEP_3) | instskip(NEXT) | instid1(VALU_DEP_4)
	v_add_co_u32 v28, vcc_lo, s12, v98
	v_add_co_ci_u32_e32 v29, vcc_lo, s13, v99, vcc_lo
	s_and_saveexec_b32 s16, s18
	s_cbranch_execnz .LBB212_140
; %bb.133:
	s_or_b32 exec_lo, exec_lo, s16
	s_and_b32 s18, s1, s8
	s_delay_alu instid0(SALU_CYCLE_1)
	s_and_saveexec_b32 s16, s18
	s_cbranch_execnz .LBB212_144
.LBB212_134:
	s_or_b32 exec_lo, exec_lo, s16
	s_and_b32 s18, s2, s8
	s_delay_alu instid0(SALU_CYCLE_1)
	s_and_saveexec_b32 s16, s18
	s_cbranch_execnz .LBB212_148
.LBB212_135:
	s_or_b32 exec_lo, exec_lo, s16
	s_and_b32 s18, s3, s8
	s_delay_alu instid0(SALU_CYCLE_1)
	s_and_saveexec_b32 s16, s18
	s_cbranch_execnz .LBB212_152
.LBB212_136:
	s_or_b32 exec_lo, exec_lo, s16
	s_and_b32 s18, s4, s8
	s_delay_alu instid0(SALU_CYCLE_1)
	s_and_saveexec_b32 s16, s18
	s_cbranch_execnz .LBB212_156
.LBB212_137:
	s_or_b32 exec_lo, exec_lo, s16
	s_and_b32 s18, s5, s8
	s_delay_alu instid0(SALU_CYCLE_1)
	s_and_saveexec_b32 s16, s18
	s_cbranch_execnz .LBB212_160
.LBB212_138:
	s_or_b32 exec_lo, exec_lo, s16
	s_and_b32 s18, s6, s8
	s_delay_alu instid0(SALU_CYCLE_1)
	s_and_saveexec_b32 s16, s18
	s_cbranch_execnz .LBB212_164
.LBB212_139:
	s_or_b32 exec_lo, exec_lo, s16
	s_and_b32 s16, s7, s8
	s_delay_alu instid0(SALU_CYCLE_1)
	s_and_saveexec_b32 s8, s16
	s_cbranch_execnz .LBB212_168
	s_branch .LBB212_172
.LBB212_140:
	v_cmp_ne_u32_e32 vcc_lo, 1, v72
	s_cbranch_vccnz .LBB212_142
; %bb.141:
	v_lshlrev_b64 v[98:99], 1, v[32:33]
	s_delay_alu instid0(VALU_DEP_1) | instskip(NEXT) | instid1(VALU_DEP_2)
	v_add_co_u32 v98, vcc_lo, v30, v98
	v_add_co_ci_u32_e32 v99, vcc_lo, v31, v99, vcc_lo
	flat_load_u16 v98, v[98:99]
	s_waitcnt vmcnt(0) lgkmcnt(0)
	v_mul_f16_e32 v98, s15, v98
	s_branch .LBB212_143
.LBB212_142:
	v_mov_b32_e32 v98, 0
.LBB212_143:
	v_pk_add_f16 v99, v16, v24
	v_pk_max_f16 v97, v97, v97
	v_pk_add_f16 v100, v17, v25
	s_delay_alu instid0(VALU_DEP_2) | instskip(NEXT) | instid1(VALU_DEP_1)
	v_pk_min_f16 v97, v97, v99
	v_pk_min_f16 v97, v97, v100
	v_lshlrev_b64 v[99:100], 1, v[32:33]
	s_delay_alu instid0(VALU_DEP_2) | instskip(NEXT) | instid1(VALU_DEP_1)
	v_lshrrev_b32_e32 v101, 16, v97
	v_min3_f16 v101, v98, v97, v101
	s_delay_alu instid0(VALU_DEP_3) | instskip(NEXT) | instid1(VALU_DEP_4)
	v_add_co_u32 v97, vcc_lo, v28, v99
	v_add_co_ci_u32_e32 v98, vcc_lo, v29, v100, vcc_lo
	global_store_b16 v[97:98], v101, off
	s_or_b32 exec_lo, exec_lo, s16
	s_and_b32 s18, s1, s8
	s_delay_alu instid0(SALU_CYCLE_1)
	s_and_saveexec_b32 s16, s18
	s_cbranch_execz .LBB212_134
.LBB212_144:
	v_cmp_ne_u32_e32 vcc_lo, 1, v72
	s_cbranch_vccnz .LBB212_146
; %bb.145:
	v_lshlrev_b64 v[97:98], 1, v[34:35]
	s_delay_alu instid0(VALU_DEP_1) | instskip(NEXT) | instid1(VALU_DEP_2)
	v_add_co_u32 v97, vcc_lo, v30, v97
	v_add_co_ci_u32_e32 v98, vcc_lo, v31, v98, vcc_lo
	flat_load_u16 v97, v[97:98]
	s_waitcnt vmcnt(0) lgkmcnt(0)
	v_mul_f16_e32 v97, s15, v97
	s_branch .LBB212_147
.LBB212_146:
	v_mov_b32_e32 v97, 0
.LBB212_147:
	v_pk_add_f16 v98, v18, v24
	v_pk_max_f16 v96, v96, v96
	v_pk_add_f16 v99, v19, v25
	s_delay_alu instid0(VALU_DEP_2) | instskip(NEXT) | instid1(VALU_DEP_1)
	v_pk_min_f16 v96, v96, v98
	v_pk_min_f16 v96, v96, v99
	v_lshlrev_b64 v[98:99], 1, v[34:35]
	s_delay_alu instid0(VALU_DEP_2) | instskip(NEXT) | instid1(VALU_DEP_1)
	v_lshrrev_b32_e32 v100, 16, v96
	v_min3_f16 v100, v97, v96, v100
	s_delay_alu instid0(VALU_DEP_3) | instskip(NEXT) | instid1(VALU_DEP_4)
	v_add_co_u32 v96, vcc_lo, v28, v98
	v_add_co_ci_u32_e32 v97, vcc_lo, v29, v99, vcc_lo
	global_store_b16 v[96:97], v100, off
	s_or_b32 exec_lo, exec_lo, s16
	s_and_b32 s18, s2, s8
	s_delay_alu instid0(SALU_CYCLE_1)
	s_and_saveexec_b32 s16, s18
	s_cbranch_execz .LBB212_135
.LBB212_148:
	v_cmp_ne_u32_e32 vcc_lo, 1, v72
	s_cbranch_vccnz .LBB212_150
; %bb.149:
	v_lshlrev_b64 v[96:97], 1, v[36:37]
	s_delay_alu instid0(VALU_DEP_1) | instskip(NEXT) | instid1(VALU_DEP_2)
	v_add_co_u32 v96, vcc_lo, v30, v96
	v_add_co_ci_u32_e32 v97, vcc_lo, v31, v97, vcc_lo
	flat_load_u16 v96, v[96:97]
	s_waitcnt vmcnt(0) lgkmcnt(0)
	v_mul_f16_e32 v96, s15, v96
	s_branch .LBB212_151
.LBB212_150:
	v_mov_b32_e32 v96, 0
.LBB212_151:
	v_pk_add_f16 v97, v12, v24
	v_pk_max_f16 v95, v95, v95
	v_pk_add_f16 v98, v13, v25
	s_delay_alu instid0(VALU_DEP_2) | instskip(NEXT) | instid1(VALU_DEP_1)
	v_pk_min_f16 v95, v95, v97
	v_pk_min_f16 v95, v95, v98
	v_lshlrev_b64 v[97:98], 1, v[36:37]
	s_delay_alu instid0(VALU_DEP_2) | instskip(NEXT) | instid1(VALU_DEP_1)
	v_lshrrev_b32_e32 v99, 16, v95
	v_min3_f16 v99, v96, v95, v99
	s_delay_alu instid0(VALU_DEP_3) | instskip(NEXT) | instid1(VALU_DEP_4)
	v_add_co_u32 v95, vcc_lo, v28, v97
	v_add_co_ci_u32_e32 v96, vcc_lo, v29, v98, vcc_lo
	global_store_b16 v[95:96], v99, off
	s_or_b32 exec_lo, exec_lo, s16
	s_and_b32 s18, s3, s8
	s_delay_alu instid0(SALU_CYCLE_1)
	s_and_saveexec_b32 s16, s18
	s_cbranch_execz .LBB212_136
.LBB212_152:
	v_cmp_ne_u32_e32 vcc_lo, 1, v72
	s_cbranch_vccnz .LBB212_154
; %bb.153:
	v_lshlrev_b64 v[95:96], 1, v[38:39]
	s_delay_alu instid0(VALU_DEP_1) | instskip(NEXT) | instid1(VALU_DEP_2)
	v_add_co_u32 v95, vcc_lo, v30, v95
	v_add_co_ci_u32_e32 v96, vcc_lo, v31, v96, vcc_lo
	flat_load_u16 v95, v[95:96]
	s_waitcnt vmcnt(0) lgkmcnt(0)
	v_mul_f16_e32 v95, s15, v95
	s_branch .LBB212_155
.LBB212_154:
	v_mov_b32_e32 v95, 0
.LBB212_155:
	v_pk_add_f16 v96, v14, v24
	v_pk_max_f16 v94, v94, v94
	v_pk_add_f16 v97, v15, v25
	s_delay_alu instid0(VALU_DEP_2) | instskip(NEXT) | instid1(VALU_DEP_1)
	v_pk_min_f16 v94, v94, v96
	v_pk_min_f16 v94, v94, v97
	v_lshlrev_b64 v[96:97], 1, v[38:39]
	s_delay_alu instid0(VALU_DEP_2) | instskip(NEXT) | instid1(VALU_DEP_1)
	v_lshrrev_b32_e32 v98, 16, v94
	v_min3_f16 v98, v95, v94, v98
	s_delay_alu instid0(VALU_DEP_3) | instskip(NEXT) | instid1(VALU_DEP_4)
	v_add_co_u32 v94, vcc_lo, v28, v96
	v_add_co_ci_u32_e32 v95, vcc_lo, v29, v97, vcc_lo
	global_store_b16 v[94:95], v98, off
	s_or_b32 exec_lo, exec_lo, s16
	s_and_b32 s18, s4, s8
	s_delay_alu instid0(SALU_CYCLE_1)
	s_and_saveexec_b32 s16, s18
	s_cbranch_execz .LBB212_137
.LBB212_156:
	v_cmp_ne_u32_e32 vcc_lo, 1, v72
	s_cbranch_vccnz .LBB212_158
; %bb.157:
	v_lshlrev_b64 v[94:95], 1, v[40:41]
	s_delay_alu instid0(VALU_DEP_1) | instskip(NEXT) | instid1(VALU_DEP_2)
	v_add_co_u32 v94, vcc_lo, v30, v94
	v_add_co_ci_u32_e32 v95, vcc_lo, v31, v95, vcc_lo
	flat_load_u16 v94, v[94:95]
	s_waitcnt vmcnt(0) lgkmcnt(0)
	v_mul_f16_e32 v94, s15, v94
	s_branch .LBB212_159
.LBB212_158:
	v_mov_b32_e32 v94, 0
.LBB212_159:
	v_pk_add_f16 v95, v8, v24
	v_pk_max_f16 v93, v93, v93
	v_pk_add_f16 v96, v9, v25
	s_delay_alu instid0(VALU_DEP_2) | instskip(NEXT) | instid1(VALU_DEP_1)
	v_pk_min_f16 v93, v93, v95
	v_pk_min_f16 v93, v93, v96
	v_lshlrev_b64 v[95:96], 1, v[40:41]
	s_delay_alu instid0(VALU_DEP_2) | instskip(NEXT) | instid1(VALU_DEP_1)
	v_lshrrev_b32_e32 v97, 16, v93
	v_min3_f16 v97, v94, v93, v97
	s_delay_alu instid0(VALU_DEP_3) | instskip(NEXT) | instid1(VALU_DEP_4)
	v_add_co_u32 v93, vcc_lo, v28, v95
	v_add_co_ci_u32_e32 v94, vcc_lo, v29, v96, vcc_lo
	global_store_b16 v[93:94], v97, off
	s_or_b32 exec_lo, exec_lo, s16
	s_and_b32 s18, s5, s8
	s_delay_alu instid0(SALU_CYCLE_1)
	s_and_saveexec_b32 s16, s18
	s_cbranch_execz .LBB212_138
.LBB212_160:
	v_cmp_ne_u32_e32 vcc_lo, 1, v72
	s_cbranch_vccnz .LBB212_162
; %bb.161:
	v_lshlrev_b64 v[93:94], 1, v[42:43]
	s_delay_alu instid0(VALU_DEP_1) | instskip(NEXT) | instid1(VALU_DEP_2)
	v_add_co_u32 v93, vcc_lo, v30, v93
	v_add_co_ci_u32_e32 v94, vcc_lo, v31, v94, vcc_lo
	flat_load_u16 v93, v[93:94]
	s_waitcnt vmcnt(0) lgkmcnt(0)
	v_mul_f16_e32 v93, s15, v93
	s_branch .LBB212_163
.LBB212_162:
	v_mov_b32_e32 v93, 0
.LBB212_163:
	v_pk_add_f16 v94, v10, v24
	v_pk_max_f16 v92, v92, v92
	v_pk_add_f16 v95, v11, v25
	s_delay_alu instid0(VALU_DEP_2) | instskip(NEXT) | instid1(VALU_DEP_1)
	v_pk_min_f16 v92, v92, v94
	v_pk_min_f16 v92, v92, v95
	v_lshlrev_b64 v[94:95], 1, v[42:43]
	s_delay_alu instid0(VALU_DEP_2) | instskip(NEXT) | instid1(VALU_DEP_1)
	v_lshrrev_b32_e32 v96, 16, v92
	v_min3_f16 v96, v93, v92, v96
	s_delay_alu instid0(VALU_DEP_3) | instskip(NEXT) | instid1(VALU_DEP_4)
	v_add_co_u32 v92, vcc_lo, v28, v94
	v_add_co_ci_u32_e32 v93, vcc_lo, v29, v95, vcc_lo
	global_store_b16 v[92:93], v96, off
	s_or_b32 exec_lo, exec_lo, s16
	s_and_b32 s18, s6, s8
	s_delay_alu instid0(SALU_CYCLE_1)
	s_and_saveexec_b32 s16, s18
	s_cbranch_execz .LBB212_139
.LBB212_164:
	v_cmp_ne_u32_e32 vcc_lo, 1, v72
	s_cbranch_vccnz .LBB212_166
; %bb.165:
	v_lshlrev_b64 v[92:93], 1, v[44:45]
	s_delay_alu instid0(VALU_DEP_1) | instskip(NEXT) | instid1(VALU_DEP_2)
	v_add_co_u32 v92, vcc_lo, v30, v92
	v_add_co_ci_u32_e32 v93, vcc_lo, v31, v93, vcc_lo
	flat_load_u16 v92, v[92:93]
	s_waitcnt vmcnt(0) lgkmcnt(0)
	v_mul_f16_e32 v92, s15, v92
	s_branch .LBB212_167
.LBB212_166:
	v_mov_b32_e32 v92, 0
.LBB212_167:
	v_pk_add_f16 v93, v0, v24
	v_pk_max_f16 v91, v91, v91
	v_pk_add_f16 v94, v1, v25
	s_delay_alu instid0(VALU_DEP_2) | instskip(NEXT) | instid1(VALU_DEP_1)
	v_pk_min_f16 v91, v91, v93
	v_pk_min_f16 v91, v91, v94
	v_lshlrev_b64 v[93:94], 1, v[44:45]
	s_delay_alu instid0(VALU_DEP_2) | instskip(NEXT) | instid1(VALU_DEP_1)
	v_lshrrev_b32_e32 v95, 16, v91
	v_min3_f16 v95, v92, v91, v95
	s_delay_alu instid0(VALU_DEP_3) | instskip(NEXT) | instid1(VALU_DEP_4)
	v_add_co_u32 v91, vcc_lo, v28, v93
	v_add_co_ci_u32_e32 v92, vcc_lo, v29, v94, vcc_lo
	global_store_b16 v[91:92], v95, off
	s_or_b32 exec_lo, exec_lo, s16
	s_and_b32 s16, s7, s8
	s_delay_alu instid0(SALU_CYCLE_1)
	s_and_saveexec_b32 s8, s16
	s_cbranch_execz .LBB212_172
.LBB212_168:
	v_cmp_ne_u32_e32 vcc_lo, 1, v72
	s_cbranch_vccnz .LBB212_170
; %bb.169:
	v_lshlrev_b64 v[91:92], 1, v[46:47]
	s_delay_alu instid0(VALU_DEP_1) | instskip(NEXT) | instid1(VALU_DEP_2)
	v_add_co_u32 v30, vcc_lo, v30, v91
	v_add_co_ci_u32_e32 v31, vcc_lo, v31, v92, vcc_lo
	flat_load_u16 v30, v[30:31]
	s_waitcnt vmcnt(0) lgkmcnt(0)
	v_mul_f16_e32 v30, s15, v30
	s_branch .LBB212_171
.LBB212_170:
	v_mov_b32_e32 v30, 0
.LBB212_171:
	v_pk_add_f16 v24, v2, v24
	v_pk_max_f16 v31, v90, v90
	v_pk_add_f16 v25, v3, v25
	s_delay_alu instid0(VALU_DEP_2) | instskip(NEXT) | instid1(VALU_DEP_1)
	v_pk_min_f16 v24, v31, v24
	v_pk_min_f16 v31, v24, v25
	v_lshlrev_b64 v[24:25], 1, v[46:47]
	s_delay_alu instid0(VALU_DEP_2) | instskip(NEXT) | instid1(VALU_DEP_2)
	v_lshrrev_b32_e32 v90, 16, v31
	v_add_co_u32 v24, vcc_lo, v28, v24
	s_delay_alu instid0(VALU_DEP_3) | instskip(NEXT) | instid1(VALU_DEP_3)
	v_add_co_ci_u32_e32 v25, vcc_lo, v29, v25, vcc_lo
	v_min3_f16 v30, v30, v31, v90
	global_store_b16 v[24:25], v30, off
.LBB212_172:
	s_or_b32 exec_lo, exec_lo, s8
	v_add_nc_u32_e32 v30, 24, v80
	s_delay_alu instid0(VALU_DEP_1) | instskip(SKIP_2) | instid1(VALU_DEP_3)
	v_mad_i64_i32 v[24:25], null, v30, s14, 0
	v_mad_i64_i32 v[28:29], null, v30, s9, 0
	v_cmp_gt_i32_e64 s8, s17, v30
	v_lshlrev_b64 v[24:25], 1, v[24:25]
	s_delay_alu instid0(VALU_DEP_2) | instskip(NEXT) | instid1(VALU_DEP_3)
	s_and_b32 s18, s0, s8
	v_lshlrev_b64 v[30:31], 1, v[28:29]
	s_delay_alu instid0(VALU_DEP_2) | instskip(NEXT) | instid1(VALU_DEP_3)
	v_add_co_u32 v28, vcc_lo, s10, v24
	v_add_co_ci_u32_e32 v29, vcc_lo, s11, v25, vcc_lo
	s_delay_alu instid0(VALU_DEP_3) | instskip(NEXT) | instid1(VALU_DEP_4)
	v_add_co_u32 v24, vcc_lo, s12, v30
	v_add_co_ci_u32_e32 v25, vcc_lo, s13, v31, vcc_lo
	s_and_saveexec_b32 s16, s18
	s_cbranch_execnz .LBB212_180
; %bb.173:
	s_or_b32 exec_lo, exec_lo, s16
	s_and_b32 s18, s1, s8
	s_delay_alu instid0(SALU_CYCLE_1)
	s_and_saveexec_b32 s16, s18
	s_cbranch_execnz .LBB212_184
.LBB212_174:
	s_or_b32 exec_lo, exec_lo, s16
	s_and_b32 s18, s2, s8
	s_delay_alu instid0(SALU_CYCLE_1)
	s_and_saveexec_b32 s16, s18
	s_cbranch_execnz .LBB212_188
.LBB212_175:
	s_or_b32 exec_lo, exec_lo, s16
	s_and_b32 s18, s3, s8
	s_delay_alu instid0(SALU_CYCLE_1)
	s_and_saveexec_b32 s16, s18
	s_cbranch_execnz .LBB212_192
.LBB212_176:
	s_or_b32 exec_lo, exec_lo, s16
	s_and_b32 s18, s4, s8
	s_delay_alu instid0(SALU_CYCLE_1)
	s_and_saveexec_b32 s16, s18
	s_cbranch_execnz .LBB212_196
.LBB212_177:
	s_or_b32 exec_lo, exec_lo, s16
	s_and_b32 s18, s5, s8
	s_delay_alu instid0(SALU_CYCLE_1)
	s_and_saveexec_b32 s16, s18
	s_cbranch_execnz .LBB212_200
.LBB212_178:
	s_or_b32 exec_lo, exec_lo, s16
	s_and_b32 s18, s6, s8
	s_delay_alu instid0(SALU_CYCLE_1)
	s_and_saveexec_b32 s16, s18
	s_cbranch_execnz .LBB212_204
.LBB212_179:
	s_or_b32 exec_lo, exec_lo, s16
	s_and_b32 s16, s7, s8
	s_delay_alu instid0(SALU_CYCLE_1)
	s_and_saveexec_b32 s8, s16
	s_cbranch_execnz .LBB212_208
	s_branch .LBB212_212
.LBB212_180:
	v_cmp_ne_u32_e32 vcc_lo, 1, v72
	s_cbranch_vccnz .LBB212_182
; %bb.181:
	v_lshlrev_b64 v[30:31], 1, v[32:33]
	s_delay_alu instid0(VALU_DEP_1) | instskip(NEXT) | instid1(VALU_DEP_2)
	v_add_co_u32 v30, vcc_lo, v28, v30
	v_add_co_ci_u32_e32 v31, vcc_lo, v29, v31, vcc_lo
	flat_load_u16 v30, v[30:31]
	s_waitcnt vmcnt(0) lgkmcnt(0)
	v_mul_f16_e32 v30, s15, v30
	s_branch .LBB212_183
.LBB212_182:
	v_mov_b32_e32 v30, 0
.LBB212_183:
	v_pk_add_f16 v31, v16, v26
	v_pk_max_f16 v89, v89, v89
	v_pk_add_f16 v90, v17, v27
	s_delay_alu instid0(VALU_DEP_2) | instskip(NEXT) | instid1(VALU_DEP_1)
	v_pk_min_f16 v31, v89, v31
	v_pk_min_f16 v31, v31, v90
	v_lshlrev_b64 v[89:90], 1, v[32:33]
	s_delay_alu instid0(VALU_DEP_2) | instskip(NEXT) | instid1(VALU_DEP_1)
	v_lshrrev_b32_e32 v91, 16, v31
	v_min3_f16 v91, v30, v31, v91
	s_delay_alu instid0(VALU_DEP_3) | instskip(NEXT) | instid1(VALU_DEP_4)
	v_add_co_u32 v30, vcc_lo, v24, v89
	v_add_co_ci_u32_e32 v31, vcc_lo, v25, v90, vcc_lo
	global_store_b16 v[30:31], v91, off
	s_or_b32 exec_lo, exec_lo, s16
	s_and_b32 s18, s1, s8
	s_delay_alu instid0(SALU_CYCLE_1)
	s_and_saveexec_b32 s16, s18
	s_cbranch_execz .LBB212_174
.LBB212_184:
	v_cmp_ne_u32_e32 vcc_lo, 1, v72
	s_cbranch_vccnz .LBB212_186
; %bb.185:
	v_lshlrev_b64 v[30:31], 1, v[34:35]
	s_delay_alu instid0(VALU_DEP_1) | instskip(NEXT) | instid1(VALU_DEP_2)
	v_add_co_u32 v30, vcc_lo, v28, v30
	v_add_co_ci_u32_e32 v31, vcc_lo, v29, v31, vcc_lo
	flat_load_u16 v30, v[30:31]
	s_waitcnt vmcnt(0) lgkmcnt(0)
	v_mul_f16_e32 v30, s15, v30
	s_branch .LBB212_187
.LBB212_186:
	v_mov_b32_e32 v30, 0
.LBB212_187:
	v_pk_add_f16 v31, v18, v26
	v_pk_max_f16 v88, v88, v88
	v_pk_add_f16 v89, v19, v27
	s_delay_alu instid0(VALU_DEP_2) | instskip(NEXT) | instid1(VALU_DEP_1)
	v_pk_min_f16 v31, v88, v31
	v_pk_min_f16 v31, v31, v89
	v_lshlrev_b64 v[88:89], 1, v[34:35]
	s_delay_alu instid0(VALU_DEP_2) | instskip(NEXT) | instid1(VALU_DEP_1)
	v_lshrrev_b32_e32 v90, 16, v31
	v_min3_f16 v90, v30, v31, v90
	s_delay_alu instid0(VALU_DEP_3) | instskip(NEXT) | instid1(VALU_DEP_4)
	v_add_co_u32 v30, vcc_lo, v24, v88
	v_add_co_ci_u32_e32 v31, vcc_lo, v25, v89, vcc_lo
	global_store_b16 v[30:31], v90, off
	s_or_b32 exec_lo, exec_lo, s16
	s_and_b32 s18, s2, s8
	s_delay_alu instid0(SALU_CYCLE_1)
	s_and_saveexec_b32 s16, s18
	s_cbranch_execz .LBB212_175
.LBB212_188:
	v_cmp_ne_u32_e32 vcc_lo, 1, v72
	s_cbranch_vccnz .LBB212_190
; %bb.189:
	v_lshlrev_b64 v[30:31], 1, v[36:37]
	s_delay_alu instid0(VALU_DEP_1) | instskip(NEXT) | instid1(VALU_DEP_2)
	v_add_co_u32 v30, vcc_lo, v28, v30
	v_add_co_ci_u32_e32 v31, vcc_lo, v29, v31, vcc_lo
	flat_load_u16 v30, v[30:31]
	s_waitcnt vmcnt(0) lgkmcnt(0)
	v_mul_f16_e32 v30, s15, v30
	s_branch .LBB212_191
.LBB212_190:
	v_mov_b32_e32 v30, 0
.LBB212_191:
	v_pk_add_f16 v31, v12, v26
	v_pk_max_f16 v87, v87, v87
	v_pk_add_f16 v88, v13, v27
	s_delay_alu instid0(VALU_DEP_2) | instskip(NEXT) | instid1(VALU_DEP_1)
	v_pk_min_f16 v31, v87, v31
	v_pk_min_f16 v31, v31, v88
	v_lshlrev_b64 v[87:88], 1, v[36:37]
	s_delay_alu instid0(VALU_DEP_2) | instskip(NEXT) | instid1(VALU_DEP_1)
	v_lshrrev_b32_e32 v89, 16, v31
	v_min3_f16 v89, v30, v31, v89
	s_delay_alu instid0(VALU_DEP_3) | instskip(NEXT) | instid1(VALU_DEP_4)
	v_add_co_u32 v30, vcc_lo, v24, v87
	v_add_co_ci_u32_e32 v31, vcc_lo, v25, v88, vcc_lo
	global_store_b16 v[30:31], v89, off
	s_or_b32 exec_lo, exec_lo, s16
	s_and_b32 s18, s3, s8
	s_delay_alu instid0(SALU_CYCLE_1)
	s_and_saveexec_b32 s16, s18
	s_cbranch_execz .LBB212_176
.LBB212_192:
	v_cmp_ne_u32_e32 vcc_lo, 1, v72
	s_cbranch_vccnz .LBB212_194
; %bb.193:
	v_lshlrev_b64 v[30:31], 1, v[38:39]
	s_delay_alu instid0(VALU_DEP_1) | instskip(NEXT) | instid1(VALU_DEP_2)
	v_add_co_u32 v30, vcc_lo, v28, v30
	v_add_co_ci_u32_e32 v31, vcc_lo, v29, v31, vcc_lo
	flat_load_u16 v30, v[30:31]
	s_waitcnt vmcnt(0) lgkmcnt(0)
	v_mul_f16_e32 v30, s15, v30
	s_branch .LBB212_195
.LBB212_194:
	v_mov_b32_e32 v30, 0
.LBB212_195:
	v_pk_add_f16 v31, v14, v26
	v_pk_max_f16 v86, v86, v86
	v_pk_add_f16 v87, v15, v27
	s_delay_alu instid0(VALU_DEP_2) | instskip(NEXT) | instid1(VALU_DEP_1)
	v_pk_min_f16 v31, v86, v31
	v_pk_min_f16 v31, v31, v87
	v_lshlrev_b64 v[86:87], 1, v[38:39]
	s_delay_alu instid0(VALU_DEP_2) | instskip(NEXT) | instid1(VALU_DEP_1)
	v_lshrrev_b32_e32 v88, 16, v31
	v_min3_f16 v88, v30, v31, v88
	s_delay_alu instid0(VALU_DEP_3) | instskip(NEXT) | instid1(VALU_DEP_4)
	v_add_co_u32 v30, vcc_lo, v24, v86
	v_add_co_ci_u32_e32 v31, vcc_lo, v25, v87, vcc_lo
	global_store_b16 v[30:31], v88, off
	s_or_b32 exec_lo, exec_lo, s16
	s_and_b32 s18, s4, s8
	s_delay_alu instid0(SALU_CYCLE_1)
	s_and_saveexec_b32 s16, s18
	s_cbranch_execz .LBB212_177
.LBB212_196:
	v_cmp_ne_u32_e32 vcc_lo, 1, v72
	s_cbranch_vccnz .LBB212_198
; %bb.197:
	v_lshlrev_b64 v[30:31], 1, v[40:41]
	s_delay_alu instid0(VALU_DEP_1) | instskip(NEXT) | instid1(VALU_DEP_2)
	v_add_co_u32 v30, vcc_lo, v28, v30
	v_add_co_ci_u32_e32 v31, vcc_lo, v29, v31, vcc_lo
	flat_load_u16 v30, v[30:31]
	s_waitcnt vmcnt(0) lgkmcnt(0)
	v_mul_f16_e32 v30, s15, v30
	s_branch .LBB212_199
.LBB212_198:
	v_mov_b32_e32 v30, 0
.LBB212_199:
	v_pk_add_f16 v31, v8, v26
	v_pk_max_f16 v85, v85, v85
	v_pk_add_f16 v86, v9, v27
	s_delay_alu instid0(VALU_DEP_2) | instskip(NEXT) | instid1(VALU_DEP_1)
	v_pk_min_f16 v31, v85, v31
	v_pk_min_f16 v31, v31, v86
	v_lshlrev_b64 v[85:86], 1, v[40:41]
	s_delay_alu instid0(VALU_DEP_2) | instskip(NEXT) | instid1(VALU_DEP_1)
	v_lshrrev_b32_e32 v87, 16, v31
	v_min3_f16 v87, v30, v31, v87
	s_delay_alu instid0(VALU_DEP_3) | instskip(NEXT) | instid1(VALU_DEP_4)
	v_add_co_u32 v30, vcc_lo, v24, v85
	v_add_co_ci_u32_e32 v31, vcc_lo, v25, v86, vcc_lo
	global_store_b16 v[30:31], v87, off
	s_or_b32 exec_lo, exec_lo, s16
	s_and_b32 s18, s5, s8
	s_delay_alu instid0(SALU_CYCLE_1)
	s_and_saveexec_b32 s16, s18
	s_cbranch_execz .LBB212_178
.LBB212_200:
	v_cmp_ne_u32_e32 vcc_lo, 1, v72
	s_cbranch_vccnz .LBB212_202
; %bb.201:
	v_lshlrev_b64 v[30:31], 1, v[42:43]
	s_delay_alu instid0(VALU_DEP_1) | instskip(NEXT) | instid1(VALU_DEP_2)
	v_add_co_u32 v30, vcc_lo, v28, v30
	v_add_co_ci_u32_e32 v31, vcc_lo, v29, v31, vcc_lo
	flat_load_u16 v30, v[30:31]
	s_waitcnt vmcnt(0) lgkmcnt(0)
	v_mul_f16_e32 v30, s15, v30
	s_branch .LBB212_203
.LBB212_202:
	v_mov_b32_e32 v30, 0
.LBB212_203:
	v_pk_add_f16 v31, v10, v26
	v_pk_max_f16 v84, v84, v84
	v_pk_add_f16 v85, v11, v27
	s_delay_alu instid0(VALU_DEP_2) | instskip(NEXT) | instid1(VALU_DEP_1)
	v_pk_min_f16 v31, v84, v31
	v_pk_min_f16 v31, v31, v85
	v_lshlrev_b64 v[84:85], 1, v[42:43]
	s_delay_alu instid0(VALU_DEP_2) | instskip(NEXT) | instid1(VALU_DEP_1)
	v_lshrrev_b32_e32 v86, 16, v31
	v_min3_f16 v86, v30, v31, v86
	s_delay_alu instid0(VALU_DEP_3) | instskip(NEXT) | instid1(VALU_DEP_4)
	v_add_co_u32 v30, vcc_lo, v24, v84
	v_add_co_ci_u32_e32 v31, vcc_lo, v25, v85, vcc_lo
	global_store_b16 v[30:31], v86, off
	s_or_b32 exec_lo, exec_lo, s16
	s_and_b32 s18, s6, s8
	s_delay_alu instid0(SALU_CYCLE_1)
	s_and_saveexec_b32 s16, s18
	s_cbranch_execz .LBB212_179
.LBB212_204:
	v_cmp_ne_u32_e32 vcc_lo, 1, v72
	s_cbranch_vccnz .LBB212_206
; %bb.205:
	v_lshlrev_b64 v[30:31], 1, v[44:45]
	s_delay_alu instid0(VALU_DEP_1) | instskip(NEXT) | instid1(VALU_DEP_2)
	v_add_co_u32 v30, vcc_lo, v28, v30
	v_add_co_ci_u32_e32 v31, vcc_lo, v29, v31, vcc_lo
	flat_load_u16 v30, v[30:31]
	s_waitcnt vmcnt(0) lgkmcnt(0)
	v_mul_f16_e32 v30, s15, v30
	s_branch .LBB212_207
.LBB212_206:
	v_mov_b32_e32 v30, 0
.LBB212_207:
	v_pk_add_f16 v31, v0, v26
	v_pk_max_f16 v83, v83, v83
	v_pk_add_f16 v84, v1, v27
	s_delay_alu instid0(VALU_DEP_2) | instskip(NEXT) | instid1(VALU_DEP_1)
	v_pk_min_f16 v31, v83, v31
	v_pk_min_f16 v31, v31, v84
	v_lshlrev_b64 v[83:84], 1, v[44:45]
	s_delay_alu instid0(VALU_DEP_2) | instskip(NEXT) | instid1(VALU_DEP_1)
	v_lshrrev_b32_e32 v85, 16, v31
	v_min3_f16 v85, v30, v31, v85
	s_delay_alu instid0(VALU_DEP_3) | instskip(NEXT) | instid1(VALU_DEP_4)
	v_add_co_u32 v30, vcc_lo, v24, v83
	v_add_co_ci_u32_e32 v31, vcc_lo, v25, v84, vcc_lo
	global_store_b16 v[30:31], v85, off
	s_or_b32 exec_lo, exec_lo, s16
	s_and_b32 s16, s7, s8
	s_delay_alu instid0(SALU_CYCLE_1)
	s_and_saveexec_b32 s8, s16
	s_cbranch_execz .LBB212_212
.LBB212_208:
	v_cmp_ne_u32_e32 vcc_lo, 1, v72
	s_cbranch_vccnz .LBB212_210
; %bb.209:
	v_lshlrev_b64 v[30:31], 1, v[46:47]
	s_delay_alu instid0(VALU_DEP_1) | instskip(NEXT) | instid1(VALU_DEP_2)
	v_add_co_u32 v28, vcc_lo, v28, v30
	v_add_co_ci_u32_e32 v29, vcc_lo, v29, v31, vcc_lo
	flat_load_u16 v28, v[28:29]
	s_waitcnt vmcnt(0) lgkmcnt(0)
	v_mul_f16_e32 v28, s15, v28
	s_branch .LBB212_211
.LBB212_210:
	v_mov_b32_e32 v28, 0
.LBB212_211:
	v_pk_add_f16 v26, v2, v26
	v_pk_max_f16 v29, v82, v82
	v_pk_add_f16 v27, v3, v27
	s_delay_alu instid0(VALU_DEP_2) | instskip(NEXT) | instid1(VALU_DEP_1)
	v_pk_min_f16 v26, v29, v26
	v_pk_min_f16 v29, v26, v27
	v_lshlrev_b64 v[26:27], 1, v[46:47]
	s_delay_alu instid0(VALU_DEP_2) | instskip(NEXT) | instid1(VALU_DEP_2)
	v_lshrrev_b32_e32 v30, 16, v29
	v_add_co_u32 v24, vcc_lo, v24, v26
	s_delay_alu instid0(VALU_DEP_3) | instskip(NEXT) | instid1(VALU_DEP_3)
	v_add_co_ci_u32_e32 v25, vcc_lo, v25, v27, vcc_lo
	v_min3_f16 v28, v28, v29, v30
	global_store_b16 v[24:25], v28, off
.LBB212_212:
	s_or_b32 exec_lo, exec_lo, s8
	v_add_nc_u32_e32 v28, 32, v80
	s_delay_alu instid0(VALU_DEP_1) | instskip(SKIP_2) | instid1(VALU_DEP_3)
	v_mad_i64_i32 v[24:25], null, v28, s14, 0
	v_mad_i64_i32 v[26:27], null, v28, s9, 0
	v_cmp_gt_i32_e64 s8, s17, v28
	v_lshlrev_b64 v[24:25], 1, v[24:25]
	s_delay_alu instid0(VALU_DEP_2) | instskip(NEXT) | instid1(VALU_DEP_3)
	s_and_b32 s18, s0, s8
	v_lshlrev_b64 v[28:29], 1, v[26:27]
	s_delay_alu instid0(VALU_DEP_2) | instskip(NEXT) | instid1(VALU_DEP_3)
	v_add_co_u32 v26, vcc_lo, s10, v24
	v_add_co_ci_u32_e32 v27, vcc_lo, s11, v25, vcc_lo
	s_delay_alu instid0(VALU_DEP_3) | instskip(NEXT) | instid1(VALU_DEP_4)
	v_add_co_u32 v24, vcc_lo, s12, v28
	v_add_co_ci_u32_e32 v25, vcc_lo, s13, v29, vcc_lo
	s_and_saveexec_b32 s16, s18
	s_cbranch_execnz .LBB212_220
; %bb.213:
	s_or_b32 exec_lo, exec_lo, s16
	s_and_b32 s18, s1, s8
	s_delay_alu instid0(SALU_CYCLE_1)
	s_and_saveexec_b32 s16, s18
	s_cbranch_execnz .LBB212_224
.LBB212_214:
	s_or_b32 exec_lo, exec_lo, s16
	s_and_b32 s18, s2, s8
	s_delay_alu instid0(SALU_CYCLE_1)
	s_and_saveexec_b32 s16, s18
	s_cbranch_execnz .LBB212_228
.LBB212_215:
	s_or_b32 exec_lo, exec_lo, s16
	s_and_b32 s18, s3, s8
	s_delay_alu instid0(SALU_CYCLE_1)
	s_and_saveexec_b32 s16, s18
	s_cbranch_execnz .LBB212_232
.LBB212_216:
	s_or_b32 exec_lo, exec_lo, s16
	s_and_b32 s18, s4, s8
	s_delay_alu instid0(SALU_CYCLE_1)
	s_and_saveexec_b32 s16, s18
	s_cbranch_execnz .LBB212_236
.LBB212_217:
	s_or_b32 exec_lo, exec_lo, s16
	s_and_b32 s18, s5, s8
	s_delay_alu instid0(SALU_CYCLE_1)
	s_and_saveexec_b32 s16, s18
	s_cbranch_execnz .LBB212_240
.LBB212_218:
	s_or_b32 exec_lo, exec_lo, s16
	s_and_b32 s18, s6, s8
	s_delay_alu instid0(SALU_CYCLE_1)
	s_and_saveexec_b32 s16, s18
	s_cbranch_execnz .LBB212_244
.LBB212_219:
	s_or_b32 exec_lo, exec_lo, s16
	s_and_b32 s16, s7, s8
	s_delay_alu instid0(SALU_CYCLE_1)
	s_and_saveexec_b32 s8, s16
	s_cbranch_execnz .LBB212_248
	s_branch .LBB212_252
.LBB212_220:
	v_cmp_ne_u32_e32 vcc_lo, 1, v72
	s_cbranch_vccnz .LBB212_222
; %bb.221:
	v_lshlrev_b64 v[28:29], 1, v[32:33]
	s_delay_alu instid0(VALU_DEP_1) | instskip(NEXT) | instid1(VALU_DEP_2)
	v_add_co_u32 v28, vcc_lo, v26, v28
	v_add_co_ci_u32_e32 v29, vcc_lo, v27, v29, vcc_lo
	flat_load_u16 v28, v[28:29]
	s_waitcnt vmcnt(0) lgkmcnt(0)
	v_mul_f16_e32 v28, s15, v28
	s_branch .LBB212_223
.LBB212_222:
	v_mov_b32_e32 v28, 0
.LBB212_223:
	v_pk_add_f16 v29, v16, v20
	v_pk_max_f16 v30, v81, v81
	v_pk_add_f16 v31, v17, v21
	s_delay_alu instid0(VALU_DEP_2) | instskip(NEXT) | instid1(VALU_DEP_1)
	v_pk_min_f16 v29, v30, v29
	v_pk_min_f16 v31, v29, v31
	v_lshlrev_b64 v[29:30], 1, v[32:33]
	s_delay_alu instid0(VALU_DEP_2) | instskip(NEXT) | instid1(VALU_DEP_1)
	v_lshrrev_b32_e32 v81, 16, v31
	v_min3_f16 v31, v28, v31, v81
	s_delay_alu instid0(VALU_DEP_3) | instskip(NEXT) | instid1(VALU_DEP_4)
	v_add_co_u32 v28, vcc_lo, v24, v29
	v_add_co_ci_u32_e32 v29, vcc_lo, v25, v30, vcc_lo
	global_store_b16 v[28:29], v31, off
	s_or_b32 exec_lo, exec_lo, s16
	s_and_b32 s18, s1, s8
	s_delay_alu instid0(SALU_CYCLE_1)
	s_and_saveexec_b32 s16, s18
	s_cbranch_execz .LBB212_214
.LBB212_224:
	v_cmp_ne_u32_e32 vcc_lo, 1, v72
	s_cbranch_vccnz .LBB212_226
; %bb.225:
	v_lshlrev_b64 v[28:29], 1, v[34:35]
	s_delay_alu instid0(VALU_DEP_1) | instskip(NEXT) | instid1(VALU_DEP_2)
	v_add_co_u32 v28, vcc_lo, v26, v28
	v_add_co_ci_u32_e32 v29, vcc_lo, v27, v29, vcc_lo
	flat_load_u16 v28, v[28:29]
	s_waitcnt vmcnt(0) lgkmcnt(0)
	v_mul_f16_e32 v28, s15, v28
	s_branch .LBB212_227
.LBB212_226:
	v_mov_b32_e32 v28, 0
.LBB212_227:
	v_pk_add_f16 v29, v18, v20
	v_pk_max_f16 v30, v79, v79
	v_pk_add_f16 v31, v19, v21
	s_delay_alu instid0(VALU_DEP_2) | instskip(NEXT) | instid1(VALU_DEP_1)
	v_pk_min_f16 v29, v30, v29
	v_pk_min_f16 v31, v29, v31
	v_lshlrev_b64 v[29:30], 1, v[34:35]
	s_delay_alu instid0(VALU_DEP_2) | instskip(NEXT) | instid1(VALU_DEP_1)
	v_lshrrev_b32_e32 v79, 16, v31
	v_min3_f16 v31, v28, v31, v79
	s_delay_alu instid0(VALU_DEP_3) | instskip(NEXT) | instid1(VALU_DEP_4)
	v_add_co_u32 v28, vcc_lo, v24, v29
	v_add_co_ci_u32_e32 v29, vcc_lo, v25, v30, vcc_lo
	global_store_b16 v[28:29], v31, off
	s_or_b32 exec_lo, exec_lo, s16
	s_and_b32 s18, s2, s8
	s_delay_alu instid0(SALU_CYCLE_1)
	s_and_saveexec_b32 s16, s18
	s_cbranch_execz .LBB212_215
.LBB212_228:
	v_cmp_ne_u32_e32 vcc_lo, 1, v72
	s_cbranch_vccnz .LBB212_230
; %bb.229:
	v_lshlrev_b64 v[28:29], 1, v[36:37]
	s_delay_alu instid0(VALU_DEP_1) | instskip(NEXT) | instid1(VALU_DEP_2)
	v_add_co_u32 v28, vcc_lo, v26, v28
	v_add_co_ci_u32_e32 v29, vcc_lo, v27, v29, vcc_lo
	flat_load_u16 v28, v[28:29]
	s_waitcnt vmcnt(0) lgkmcnt(0)
	v_mul_f16_e32 v28, s15, v28
	s_branch .LBB212_231
.LBB212_230:
	v_mov_b32_e32 v28, 0
.LBB212_231:
	v_pk_add_f16 v29, v12, v20
	v_pk_max_f16 v30, v78, v78
	v_pk_add_f16 v31, v13, v21
	s_delay_alu instid0(VALU_DEP_2) | instskip(NEXT) | instid1(VALU_DEP_1)
	v_pk_min_f16 v29, v30, v29
	v_pk_min_f16 v31, v29, v31
	v_lshlrev_b64 v[29:30], 1, v[36:37]
	s_delay_alu instid0(VALU_DEP_2) | instskip(NEXT) | instid1(VALU_DEP_1)
	v_lshrrev_b32_e32 v78, 16, v31
	v_min3_f16 v31, v28, v31, v78
	s_delay_alu instid0(VALU_DEP_3) | instskip(NEXT) | instid1(VALU_DEP_4)
	v_add_co_u32 v28, vcc_lo, v24, v29
	v_add_co_ci_u32_e32 v29, vcc_lo, v25, v30, vcc_lo
	global_store_b16 v[28:29], v31, off
	s_or_b32 exec_lo, exec_lo, s16
	s_and_b32 s18, s3, s8
	s_delay_alu instid0(SALU_CYCLE_1)
	s_and_saveexec_b32 s16, s18
	s_cbranch_execz .LBB212_216
.LBB212_232:
	v_cmp_ne_u32_e32 vcc_lo, 1, v72
	s_cbranch_vccnz .LBB212_234
; %bb.233:
	v_lshlrev_b64 v[28:29], 1, v[38:39]
	s_delay_alu instid0(VALU_DEP_1) | instskip(NEXT) | instid1(VALU_DEP_2)
	v_add_co_u32 v28, vcc_lo, v26, v28
	v_add_co_ci_u32_e32 v29, vcc_lo, v27, v29, vcc_lo
	flat_load_u16 v28, v[28:29]
	s_waitcnt vmcnt(0) lgkmcnt(0)
	v_mul_f16_e32 v28, s15, v28
	s_branch .LBB212_235
.LBB212_234:
	v_mov_b32_e32 v28, 0
.LBB212_235:
	v_pk_add_f16 v29, v14, v20
	v_pk_max_f16 v30, v77, v77
	v_pk_add_f16 v31, v15, v21
	s_delay_alu instid0(VALU_DEP_2) | instskip(NEXT) | instid1(VALU_DEP_1)
	v_pk_min_f16 v29, v30, v29
	v_pk_min_f16 v31, v29, v31
	v_lshlrev_b64 v[29:30], 1, v[38:39]
	s_delay_alu instid0(VALU_DEP_2) | instskip(NEXT) | instid1(VALU_DEP_1)
	v_lshrrev_b32_e32 v77, 16, v31
	v_min3_f16 v31, v28, v31, v77
	s_delay_alu instid0(VALU_DEP_3) | instskip(NEXT) | instid1(VALU_DEP_4)
	v_add_co_u32 v28, vcc_lo, v24, v29
	v_add_co_ci_u32_e32 v29, vcc_lo, v25, v30, vcc_lo
	global_store_b16 v[28:29], v31, off
	s_or_b32 exec_lo, exec_lo, s16
	s_and_b32 s18, s4, s8
	s_delay_alu instid0(SALU_CYCLE_1)
	s_and_saveexec_b32 s16, s18
	s_cbranch_execz .LBB212_217
.LBB212_236:
	v_cmp_ne_u32_e32 vcc_lo, 1, v72
	s_cbranch_vccnz .LBB212_238
; %bb.237:
	v_lshlrev_b64 v[28:29], 1, v[40:41]
	s_delay_alu instid0(VALU_DEP_1) | instskip(NEXT) | instid1(VALU_DEP_2)
	v_add_co_u32 v28, vcc_lo, v26, v28
	v_add_co_ci_u32_e32 v29, vcc_lo, v27, v29, vcc_lo
	flat_load_u16 v28, v[28:29]
	s_waitcnt vmcnt(0) lgkmcnt(0)
	v_mul_f16_e32 v28, s15, v28
	s_branch .LBB212_239
.LBB212_238:
	v_mov_b32_e32 v28, 0
.LBB212_239:
	v_pk_add_f16 v29, v8, v20
	v_pk_max_f16 v30, v76, v76
	v_pk_add_f16 v31, v9, v21
	s_delay_alu instid0(VALU_DEP_2) | instskip(NEXT) | instid1(VALU_DEP_1)
	v_pk_min_f16 v29, v30, v29
	v_pk_min_f16 v31, v29, v31
	v_lshlrev_b64 v[29:30], 1, v[40:41]
	s_delay_alu instid0(VALU_DEP_2) | instskip(NEXT) | instid1(VALU_DEP_1)
	v_lshrrev_b32_e32 v76, 16, v31
	v_min3_f16 v31, v28, v31, v76
	s_delay_alu instid0(VALU_DEP_3) | instskip(NEXT) | instid1(VALU_DEP_4)
	v_add_co_u32 v28, vcc_lo, v24, v29
	v_add_co_ci_u32_e32 v29, vcc_lo, v25, v30, vcc_lo
	global_store_b16 v[28:29], v31, off
	s_or_b32 exec_lo, exec_lo, s16
	s_and_b32 s18, s5, s8
	s_delay_alu instid0(SALU_CYCLE_1)
	s_and_saveexec_b32 s16, s18
	s_cbranch_execz .LBB212_218
.LBB212_240:
	v_cmp_ne_u32_e32 vcc_lo, 1, v72
	s_cbranch_vccnz .LBB212_242
; %bb.241:
	v_lshlrev_b64 v[28:29], 1, v[42:43]
	s_delay_alu instid0(VALU_DEP_1) | instskip(NEXT) | instid1(VALU_DEP_2)
	v_add_co_u32 v28, vcc_lo, v26, v28
	v_add_co_ci_u32_e32 v29, vcc_lo, v27, v29, vcc_lo
	flat_load_u16 v28, v[28:29]
	s_waitcnt vmcnt(0) lgkmcnt(0)
	v_mul_f16_e32 v28, s15, v28
	s_branch .LBB212_243
.LBB212_242:
	v_mov_b32_e32 v28, 0
.LBB212_243:
	v_pk_add_f16 v29, v10, v20
	v_pk_max_f16 v30, v75, v75
	v_pk_add_f16 v31, v11, v21
	s_delay_alu instid0(VALU_DEP_2) | instskip(NEXT) | instid1(VALU_DEP_1)
	v_pk_min_f16 v29, v30, v29
	v_pk_min_f16 v31, v29, v31
	v_lshlrev_b64 v[29:30], 1, v[42:43]
	s_delay_alu instid0(VALU_DEP_2) | instskip(NEXT) | instid1(VALU_DEP_1)
	v_lshrrev_b32_e32 v75, 16, v31
	v_min3_f16 v31, v28, v31, v75
	s_delay_alu instid0(VALU_DEP_3) | instskip(NEXT) | instid1(VALU_DEP_4)
	v_add_co_u32 v28, vcc_lo, v24, v29
	v_add_co_ci_u32_e32 v29, vcc_lo, v25, v30, vcc_lo
	global_store_b16 v[28:29], v31, off
	s_or_b32 exec_lo, exec_lo, s16
	s_and_b32 s18, s6, s8
	s_delay_alu instid0(SALU_CYCLE_1)
	s_and_saveexec_b32 s16, s18
	s_cbranch_execz .LBB212_219
.LBB212_244:
	v_cmp_ne_u32_e32 vcc_lo, 1, v72
	s_cbranch_vccnz .LBB212_246
; %bb.245:
	v_lshlrev_b64 v[28:29], 1, v[44:45]
	s_delay_alu instid0(VALU_DEP_1) | instskip(NEXT) | instid1(VALU_DEP_2)
	v_add_co_u32 v28, vcc_lo, v26, v28
	v_add_co_ci_u32_e32 v29, vcc_lo, v27, v29, vcc_lo
	flat_load_u16 v28, v[28:29]
	s_waitcnt vmcnt(0) lgkmcnt(0)
	v_mul_f16_e32 v28, s15, v28
	s_branch .LBB212_247
.LBB212_246:
	v_mov_b32_e32 v28, 0
.LBB212_247:
	v_pk_add_f16 v29, v0, v20
	v_pk_max_f16 v30, v74, v74
	v_pk_add_f16 v31, v1, v21
	s_delay_alu instid0(VALU_DEP_2) | instskip(NEXT) | instid1(VALU_DEP_1)
	v_pk_min_f16 v29, v30, v29
	v_pk_min_f16 v31, v29, v31
	v_lshlrev_b64 v[29:30], 1, v[44:45]
	s_delay_alu instid0(VALU_DEP_2) | instskip(NEXT) | instid1(VALU_DEP_1)
	v_lshrrev_b32_e32 v74, 16, v31
	v_min3_f16 v31, v28, v31, v74
	s_delay_alu instid0(VALU_DEP_3) | instskip(NEXT) | instid1(VALU_DEP_4)
	v_add_co_u32 v28, vcc_lo, v24, v29
	v_add_co_ci_u32_e32 v29, vcc_lo, v25, v30, vcc_lo
	global_store_b16 v[28:29], v31, off
	s_or_b32 exec_lo, exec_lo, s16
	s_and_b32 s16, s7, s8
	s_delay_alu instid0(SALU_CYCLE_1)
	s_and_saveexec_b32 s8, s16
	s_cbranch_execz .LBB212_252
.LBB212_248:
	v_cmp_ne_u32_e32 vcc_lo, 1, v72
	s_cbranch_vccnz .LBB212_250
; %bb.249:
	v_lshlrev_b64 v[28:29], 1, v[46:47]
	s_delay_alu instid0(VALU_DEP_1) | instskip(NEXT) | instid1(VALU_DEP_2)
	v_add_co_u32 v26, vcc_lo, v26, v28
	v_add_co_ci_u32_e32 v27, vcc_lo, v27, v29, vcc_lo
	flat_load_u16 v26, v[26:27]
	s_waitcnt vmcnt(0) lgkmcnt(0)
	v_mul_f16_e32 v26, s15, v26
	s_branch .LBB212_251
.LBB212_250:
	v_mov_b32_e32 v26, 0
.LBB212_251:
	v_pk_add_f16 v20, v2, v20
	v_pk_max_f16 v27, v73, v73
	v_pk_add_f16 v21, v3, v21
	s_delay_alu instid0(VALU_DEP_2) | instskip(NEXT) | instid1(VALU_DEP_1)
	v_pk_min_f16 v20, v27, v20
	v_pk_min_f16 v27, v20, v21
	v_lshlrev_b64 v[20:21], 1, v[46:47]
	s_delay_alu instid0(VALU_DEP_2) | instskip(NEXT) | instid1(VALU_DEP_2)
	v_lshrrev_b32_e32 v28, 16, v27
	v_add_co_u32 v20, vcc_lo, v24, v20
	s_delay_alu instid0(VALU_DEP_3) | instskip(NEXT) | instid1(VALU_DEP_3)
	v_add_co_ci_u32_e32 v21, vcc_lo, v25, v21, vcc_lo
	v_min3_f16 v26, v26, v27, v28
	global_store_b16 v[20:21], v26, off
.LBB212_252:
	s_or_b32 exec_lo, exec_lo, s8
	v_add_nc_u32_e32 v26, 40, v80
	s_delay_alu instid0(VALU_DEP_1) | instskip(SKIP_2) | instid1(VALU_DEP_3)
	v_mad_i64_i32 v[20:21], null, v26, s14, 0
	v_mad_i64_i32 v[24:25], null, v26, s9, 0
	v_cmp_gt_i32_e64 s8, s17, v26
	v_lshlrev_b64 v[20:21], 1, v[20:21]
	s_delay_alu instid0(VALU_DEP_2) | instskip(NEXT) | instid1(VALU_DEP_3)
	s_and_b32 s18, s0, s8
	v_lshlrev_b64 v[26:27], 1, v[24:25]
	s_delay_alu instid0(VALU_DEP_2) | instskip(NEXT) | instid1(VALU_DEP_3)
	v_add_co_u32 v24, vcc_lo, s10, v20
	v_add_co_ci_u32_e32 v25, vcc_lo, s11, v21, vcc_lo
	s_delay_alu instid0(VALU_DEP_3) | instskip(NEXT) | instid1(VALU_DEP_4)
	v_add_co_u32 v20, vcc_lo, s12, v26
	v_add_co_ci_u32_e32 v21, vcc_lo, s13, v27, vcc_lo
	s_and_saveexec_b32 s16, s18
	s_cbranch_execnz .LBB212_260
; %bb.253:
	s_or_b32 exec_lo, exec_lo, s16
	s_and_b32 s18, s1, s8
	s_delay_alu instid0(SALU_CYCLE_1)
	s_and_saveexec_b32 s16, s18
	s_cbranch_execnz .LBB212_264
.LBB212_254:
	s_or_b32 exec_lo, exec_lo, s16
	s_and_b32 s18, s2, s8
	s_delay_alu instid0(SALU_CYCLE_1)
	s_and_saveexec_b32 s16, s18
	s_cbranch_execnz .LBB212_268
.LBB212_255:
	s_or_b32 exec_lo, exec_lo, s16
	s_and_b32 s18, s3, s8
	s_delay_alu instid0(SALU_CYCLE_1)
	s_and_saveexec_b32 s16, s18
	s_cbranch_execnz .LBB212_272
.LBB212_256:
	s_or_b32 exec_lo, exec_lo, s16
	s_and_b32 s18, s4, s8
	s_delay_alu instid0(SALU_CYCLE_1)
	s_and_saveexec_b32 s16, s18
	s_cbranch_execnz .LBB212_276
.LBB212_257:
	s_or_b32 exec_lo, exec_lo, s16
	s_and_b32 s18, s5, s8
	s_delay_alu instid0(SALU_CYCLE_1)
	s_and_saveexec_b32 s16, s18
	s_cbranch_execnz .LBB212_280
.LBB212_258:
	s_or_b32 exec_lo, exec_lo, s16
	s_and_b32 s18, s6, s8
	s_delay_alu instid0(SALU_CYCLE_1)
	s_and_saveexec_b32 s16, s18
	s_cbranch_execnz .LBB212_284
.LBB212_259:
	s_or_b32 exec_lo, exec_lo, s16
	s_and_b32 s16, s7, s8
	s_delay_alu instid0(SALU_CYCLE_1)
	s_and_saveexec_b32 s8, s16
	s_cbranch_execnz .LBB212_288
	s_branch .LBB212_292
.LBB212_260:
	v_cmp_ne_u32_e32 vcc_lo, 1, v72
	s_cbranch_vccnz .LBB212_262
; %bb.261:
	v_lshlrev_b64 v[26:27], 1, v[32:33]
	s_delay_alu instid0(VALU_DEP_1) | instskip(NEXT) | instid1(VALU_DEP_2)
	v_add_co_u32 v26, vcc_lo, v24, v26
	v_add_co_ci_u32_e32 v27, vcc_lo, v25, v27, vcc_lo
	flat_load_u16 v26, v[26:27]
	s_waitcnt vmcnt(0) lgkmcnt(0)
	v_mul_f16_e32 v26, s15, v26
	s_branch .LBB212_263
.LBB212_262:
	v_mov_b32_e32 v26, 0
.LBB212_263:
	v_pk_add_f16 v27, v16, v22
	v_pk_max_f16 v28, v71, v71
	v_pk_add_f16 v29, v17, v23
	s_delay_alu instid0(VALU_DEP_2) | instskip(NEXT) | instid1(VALU_DEP_1)
	v_pk_min_f16 v27, v28, v27
	v_pk_min_f16 v29, v27, v29
	v_lshlrev_b64 v[27:28], 1, v[32:33]
	s_delay_alu instid0(VALU_DEP_2) | instskip(NEXT) | instid1(VALU_DEP_1)
	v_lshrrev_b32_e32 v30, 16, v29
	v_min3_f16 v29, v26, v29, v30
	s_delay_alu instid0(VALU_DEP_3) | instskip(NEXT) | instid1(VALU_DEP_4)
	v_add_co_u32 v26, vcc_lo, v20, v27
	v_add_co_ci_u32_e32 v27, vcc_lo, v21, v28, vcc_lo
	global_store_b16 v[26:27], v29, off
	s_or_b32 exec_lo, exec_lo, s16
	s_and_b32 s18, s1, s8
	s_delay_alu instid0(SALU_CYCLE_1)
	s_and_saveexec_b32 s16, s18
	s_cbranch_execz .LBB212_254
.LBB212_264:
	v_cmp_ne_u32_e32 vcc_lo, 1, v72
	s_cbranch_vccnz .LBB212_266
; %bb.265:
	v_lshlrev_b64 v[26:27], 1, v[34:35]
	s_delay_alu instid0(VALU_DEP_1) | instskip(NEXT) | instid1(VALU_DEP_2)
	v_add_co_u32 v26, vcc_lo, v24, v26
	v_add_co_ci_u32_e32 v27, vcc_lo, v25, v27, vcc_lo
	flat_load_u16 v26, v[26:27]
	s_waitcnt vmcnt(0) lgkmcnt(0)
	v_mul_f16_e32 v26, s15, v26
	s_branch .LBB212_267
.LBB212_266:
	v_mov_b32_e32 v26, 0
.LBB212_267:
	v_pk_add_f16 v27, v18, v22
	v_pk_max_f16 v28, v70, v70
	v_pk_add_f16 v29, v19, v23
	s_delay_alu instid0(VALU_DEP_2) | instskip(NEXT) | instid1(VALU_DEP_1)
	v_pk_min_f16 v27, v28, v27
	v_pk_min_f16 v29, v27, v29
	v_lshlrev_b64 v[27:28], 1, v[34:35]
	s_delay_alu instid0(VALU_DEP_2) | instskip(NEXT) | instid1(VALU_DEP_1)
	v_lshrrev_b32_e32 v30, 16, v29
	v_min3_f16 v29, v26, v29, v30
	s_delay_alu instid0(VALU_DEP_3) | instskip(NEXT) | instid1(VALU_DEP_4)
	v_add_co_u32 v26, vcc_lo, v20, v27
	v_add_co_ci_u32_e32 v27, vcc_lo, v21, v28, vcc_lo
	global_store_b16 v[26:27], v29, off
	s_or_b32 exec_lo, exec_lo, s16
	s_and_b32 s18, s2, s8
	s_delay_alu instid0(SALU_CYCLE_1)
	s_and_saveexec_b32 s16, s18
	s_cbranch_execz .LBB212_255
.LBB212_268:
	v_cmp_ne_u32_e32 vcc_lo, 1, v72
	s_cbranch_vccnz .LBB212_270
; %bb.269:
	v_lshlrev_b64 v[26:27], 1, v[36:37]
	s_delay_alu instid0(VALU_DEP_1) | instskip(NEXT) | instid1(VALU_DEP_2)
	v_add_co_u32 v26, vcc_lo, v24, v26
	v_add_co_ci_u32_e32 v27, vcc_lo, v25, v27, vcc_lo
	flat_load_u16 v26, v[26:27]
	s_waitcnt vmcnt(0) lgkmcnt(0)
	v_mul_f16_e32 v26, s15, v26
	s_branch .LBB212_271
.LBB212_270:
	v_mov_b32_e32 v26, 0
.LBB212_271:
	v_pk_add_f16 v27, v12, v22
	v_pk_max_f16 v28, v69, v69
	v_pk_add_f16 v29, v13, v23
	s_delay_alu instid0(VALU_DEP_2) | instskip(NEXT) | instid1(VALU_DEP_1)
	v_pk_min_f16 v27, v28, v27
	v_pk_min_f16 v29, v27, v29
	v_lshlrev_b64 v[27:28], 1, v[36:37]
	s_delay_alu instid0(VALU_DEP_2) | instskip(NEXT) | instid1(VALU_DEP_1)
	v_lshrrev_b32_e32 v30, 16, v29
	v_min3_f16 v29, v26, v29, v30
	s_delay_alu instid0(VALU_DEP_3) | instskip(NEXT) | instid1(VALU_DEP_4)
	v_add_co_u32 v26, vcc_lo, v20, v27
	v_add_co_ci_u32_e32 v27, vcc_lo, v21, v28, vcc_lo
	global_store_b16 v[26:27], v29, off
	s_or_b32 exec_lo, exec_lo, s16
	s_and_b32 s18, s3, s8
	s_delay_alu instid0(SALU_CYCLE_1)
	s_and_saveexec_b32 s16, s18
	s_cbranch_execz .LBB212_256
.LBB212_272:
	v_cmp_ne_u32_e32 vcc_lo, 1, v72
	s_cbranch_vccnz .LBB212_274
; %bb.273:
	v_lshlrev_b64 v[26:27], 1, v[38:39]
	s_delay_alu instid0(VALU_DEP_1) | instskip(NEXT) | instid1(VALU_DEP_2)
	v_add_co_u32 v26, vcc_lo, v24, v26
	v_add_co_ci_u32_e32 v27, vcc_lo, v25, v27, vcc_lo
	flat_load_u16 v26, v[26:27]
	s_waitcnt vmcnt(0) lgkmcnt(0)
	v_mul_f16_e32 v26, s15, v26
	s_branch .LBB212_275
.LBB212_274:
	v_mov_b32_e32 v26, 0
.LBB212_275:
	v_pk_add_f16 v27, v14, v22
	v_pk_max_f16 v28, v68, v68
	v_pk_add_f16 v29, v15, v23
	s_delay_alu instid0(VALU_DEP_2) | instskip(NEXT) | instid1(VALU_DEP_1)
	v_pk_min_f16 v27, v28, v27
	v_pk_min_f16 v29, v27, v29
	v_lshlrev_b64 v[27:28], 1, v[38:39]
	s_delay_alu instid0(VALU_DEP_2) | instskip(NEXT) | instid1(VALU_DEP_1)
	v_lshrrev_b32_e32 v30, 16, v29
	v_min3_f16 v29, v26, v29, v30
	s_delay_alu instid0(VALU_DEP_3) | instskip(NEXT) | instid1(VALU_DEP_4)
	v_add_co_u32 v26, vcc_lo, v20, v27
	v_add_co_ci_u32_e32 v27, vcc_lo, v21, v28, vcc_lo
	global_store_b16 v[26:27], v29, off
	s_or_b32 exec_lo, exec_lo, s16
	s_and_b32 s18, s4, s8
	s_delay_alu instid0(SALU_CYCLE_1)
	s_and_saveexec_b32 s16, s18
	s_cbranch_execz .LBB212_257
.LBB212_276:
	v_cmp_ne_u32_e32 vcc_lo, 1, v72
	s_cbranch_vccnz .LBB212_278
; %bb.277:
	v_lshlrev_b64 v[26:27], 1, v[40:41]
	s_delay_alu instid0(VALU_DEP_1) | instskip(NEXT) | instid1(VALU_DEP_2)
	v_add_co_u32 v26, vcc_lo, v24, v26
	v_add_co_ci_u32_e32 v27, vcc_lo, v25, v27, vcc_lo
	flat_load_u16 v26, v[26:27]
	s_waitcnt vmcnt(0) lgkmcnt(0)
	v_mul_f16_e32 v26, s15, v26
	s_branch .LBB212_279
.LBB212_278:
	v_mov_b32_e32 v26, 0
.LBB212_279:
	v_pk_add_f16 v27, v8, v22
	v_pk_max_f16 v28, v67, v67
	v_pk_add_f16 v29, v9, v23
	s_delay_alu instid0(VALU_DEP_2) | instskip(NEXT) | instid1(VALU_DEP_1)
	v_pk_min_f16 v27, v28, v27
	v_pk_min_f16 v29, v27, v29
	v_lshlrev_b64 v[27:28], 1, v[40:41]
	s_delay_alu instid0(VALU_DEP_2) | instskip(NEXT) | instid1(VALU_DEP_1)
	v_lshrrev_b32_e32 v30, 16, v29
	v_min3_f16 v29, v26, v29, v30
	s_delay_alu instid0(VALU_DEP_3) | instskip(NEXT) | instid1(VALU_DEP_4)
	v_add_co_u32 v26, vcc_lo, v20, v27
	v_add_co_ci_u32_e32 v27, vcc_lo, v21, v28, vcc_lo
	global_store_b16 v[26:27], v29, off
	s_or_b32 exec_lo, exec_lo, s16
	s_and_b32 s18, s5, s8
	s_delay_alu instid0(SALU_CYCLE_1)
	s_and_saveexec_b32 s16, s18
	s_cbranch_execz .LBB212_258
.LBB212_280:
	v_cmp_ne_u32_e32 vcc_lo, 1, v72
	s_cbranch_vccnz .LBB212_282
; %bb.281:
	v_lshlrev_b64 v[26:27], 1, v[42:43]
	s_delay_alu instid0(VALU_DEP_1) | instskip(NEXT) | instid1(VALU_DEP_2)
	v_add_co_u32 v26, vcc_lo, v24, v26
	v_add_co_ci_u32_e32 v27, vcc_lo, v25, v27, vcc_lo
	flat_load_u16 v26, v[26:27]
	s_waitcnt vmcnt(0) lgkmcnt(0)
	v_mul_f16_e32 v26, s15, v26
	s_branch .LBB212_283
.LBB212_282:
	v_mov_b32_e32 v26, 0
.LBB212_283:
	v_pk_add_f16 v27, v10, v22
	v_pk_max_f16 v28, v66, v66
	v_pk_add_f16 v29, v11, v23
	s_delay_alu instid0(VALU_DEP_2) | instskip(NEXT) | instid1(VALU_DEP_1)
	v_pk_min_f16 v27, v28, v27
	v_pk_min_f16 v29, v27, v29
	v_lshlrev_b64 v[27:28], 1, v[42:43]
	s_delay_alu instid0(VALU_DEP_2) | instskip(NEXT) | instid1(VALU_DEP_1)
	v_lshrrev_b32_e32 v30, 16, v29
	v_min3_f16 v29, v26, v29, v30
	s_delay_alu instid0(VALU_DEP_3) | instskip(NEXT) | instid1(VALU_DEP_4)
	v_add_co_u32 v26, vcc_lo, v20, v27
	v_add_co_ci_u32_e32 v27, vcc_lo, v21, v28, vcc_lo
	global_store_b16 v[26:27], v29, off
	s_or_b32 exec_lo, exec_lo, s16
	s_and_b32 s18, s6, s8
	s_delay_alu instid0(SALU_CYCLE_1)
	s_and_saveexec_b32 s16, s18
	s_cbranch_execz .LBB212_259
.LBB212_284:
	v_cmp_ne_u32_e32 vcc_lo, 1, v72
	s_cbranch_vccnz .LBB212_286
; %bb.285:
	v_lshlrev_b64 v[26:27], 1, v[44:45]
	s_delay_alu instid0(VALU_DEP_1) | instskip(NEXT) | instid1(VALU_DEP_2)
	v_add_co_u32 v26, vcc_lo, v24, v26
	v_add_co_ci_u32_e32 v27, vcc_lo, v25, v27, vcc_lo
	flat_load_u16 v26, v[26:27]
	s_waitcnt vmcnt(0) lgkmcnt(0)
	v_mul_f16_e32 v26, s15, v26
	s_branch .LBB212_287
.LBB212_286:
	v_mov_b32_e32 v26, 0
.LBB212_287:
	v_pk_add_f16 v27, v0, v22
	v_pk_max_f16 v28, v65, v65
	v_pk_add_f16 v29, v1, v23
	s_delay_alu instid0(VALU_DEP_2) | instskip(NEXT) | instid1(VALU_DEP_1)
	v_pk_min_f16 v27, v28, v27
	v_pk_min_f16 v29, v27, v29
	v_lshlrev_b64 v[27:28], 1, v[44:45]
	s_delay_alu instid0(VALU_DEP_2) | instskip(NEXT) | instid1(VALU_DEP_1)
	v_lshrrev_b32_e32 v30, 16, v29
	v_min3_f16 v29, v26, v29, v30
	s_delay_alu instid0(VALU_DEP_3) | instskip(NEXT) | instid1(VALU_DEP_4)
	v_add_co_u32 v26, vcc_lo, v20, v27
	v_add_co_ci_u32_e32 v27, vcc_lo, v21, v28, vcc_lo
	global_store_b16 v[26:27], v29, off
	s_or_b32 exec_lo, exec_lo, s16
	s_and_b32 s16, s7, s8
	s_delay_alu instid0(SALU_CYCLE_1)
	s_and_saveexec_b32 s8, s16
	s_cbranch_execz .LBB212_292
.LBB212_288:
	v_cmp_ne_u32_e32 vcc_lo, 1, v72
	s_cbranch_vccnz .LBB212_290
; %bb.289:
	v_lshlrev_b64 v[26:27], 1, v[46:47]
	s_delay_alu instid0(VALU_DEP_1) | instskip(NEXT) | instid1(VALU_DEP_2)
	v_add_co_u32 v24, vcc_lo, v24, v26
	v_add_co_ci_u32_e32 v25, vcc_lo, v25, v27, vcc_lo
	flat_load_u16 v24, v[24:25]
	s_waitcnt vmcnt(0) lgkmcnt(0)
	v_mul_f16_e32 v24, s15, v24
	s_branch .LBB212_291
.LBB212_290:
	v_mov_b32_e32 v24, 0
.LBB212_291:
	v_pk_add_f16 v22, v2, v22
	v_pk_max_f16 v25, v64, v64
	v_pk_add_f16 v23, v3, v23
	s_delay_alu instid0(VALU_DEP_2) | instskip(NEXT) | instid1(VALU_DEP_1)
	v_pk_min_f16 v22, v25, v22
	v_pk_min_f16 v25, v22, v23
	v_lshlrev_b64 v[22:23], 1, v[46:47]
	s_delay_alu instid0(VALU_DEP_2) | instskip(NEXT) | instid1(VALU_DEP_2)
	v_lshrrev_b32_e32 v26, 16, v25
	v_add_co_u32 v20, vcc_lo, v20, v22
	s_delay_alu instid0(VALU_DEP_3) | instskip(NEXT) | instid1(VALU_DEP_3)
	v_add_co_ci_u32_e32 v21, vcc_lo, v21, v23, vcc_lo
	v_min3_f16 v24, v24, v25, v26
	global_store_b16 v[20:21], v24, off
.LBB212_292:
	s_or_b32 exec_lo, exec_lo, s8
	v_add_nc_u32_e32 v24, 48, v80
	s_delay_alu instid0(VALU_DEP_1) | instskip(SKIP_2) | instid1(VALU_DEP_3)
	v_mad_i64_i32 v[20:21], null, v24, s14, 0
	v_mad_i64_i32 v[22:23], null, v24, s9, 0
	v_cmp_gt_i32_e64 s8, s17, v24
	v_lshlrev_b64 v[20:21], 1, v[20:21]
	s_delay_alu instid0(VALU_DEP_2) | instskip(NEXT) | instid1(VALU_DEP_3)
	s_and_b32 s18, s0, s8
	v_lshlrev_b64 v[24:25], 1, v[22:23]
	s_delay_alu instid0(VALU_DEP_2) | instskip(NEXT) | instid1(VALU_DEP_3)
	v_add_co_u32 v22, vcc_lo, s10, v20
	v_add_co_ci_u32_e32 v23, vcc_lo, s11, v21, vcc_lo
	s_delay_alu instid0(VALU_DEP_3) | instskip(NEXT) | instid1(VALU_DEP_4)
	v_add_co_u32 v20, vcc_lo, s12, v24
	v_add_co_ci_u32_e32 v21, vcc_lo, s13, v25, vcc_lo
	s_and_saveexec_b32 s16, s18
	s_cbranch_execnz .LBB212_300
; %bb.293:
	s_or_b32 exec_lo, exec_lo, s16
	s_and_b32 s18, s1, s8
	s_delay_alu instid0(SALU_CYCLE_1)
	s_and_saveexec_b32 s16, s18
	s_cbranch_execnz .LBB212_304
.LBB212_294:
	s_or_b32 exec_lo, exec_lo, s16
	s_and_b32 s18, s2, s8
	s_delay_alu instid0(SALU_CYCLE_1)
	s_and_saveexec_b32 s16, s18
	s_cbranch_execnz .LBB212_308
.LBB212_295:
	s_or_b32 exec_lo, exec_lo, s16
	s_and_b32 s18, s3, s8
	s_delay_alu instid0(SALU_CYCLE_1)
	s_and_saveexec_b32 s16, s18
	s_cbranch_execnz .LBB212_312
.LBB212_296:
	s_or_b32 exec_lo, exec_lo, s16
	s_and_b32 s18, s4, s8
	s_delay_alu instid0(SALU_CYCLE_1)
	s_and_saveexec_b32 s16, s18
	s_cbranch_execnz .LBB212_316
.LBB212_297:
	s_or_b32 exec_lo, exec_lo, s16
	s_and_b32 s18, s5, s8
	s_delay_alu instid0(SALU_CYCLE_1)
	s_and_saveexec_b32 s16, s18
	s_cbranch_execnz .LBB212_320
.LBB212_298:
	s_or_b32 exec_lo, exec_lo, s16
	s_and_b32 s18, s6, s8
	s_delay_alu instid0(SALU_CYCLE_1)
	s_and_saveexec_b32 s16, s18
	s_cbranch_execnz .LBB212_324
.LBB212_299:
	s_or_b32 exec_lo, exec_lo, s16
	s_and_b32 s16, s7, s8
	s_delay_alu instid0(SALU_CYCLE_1)
	s_and_saveexec_b32 s8, s16
	s_cbranch_execnz .LBB212_328
	s_branch .LBB212_332
.LBB212_300:
	v_cmp_ne_u32_e32 vcc_lo, 1, v72
	s_cbranch_vccnz .LBB212_302
; %bb.301:
	v_lshlrev_b64 v[24:25], 1, v[32:33]
	s_delay_alu instid0(VALU_DEP_1) | instskip(NEXT) | instid1(VALU_DEP_2)
	v_add_co_u32 v24, vcc_lo, v22, v24
	v_add_co_ci_u32_e32 v25, vcc_lo, v23, v25, vcc_lo
	flat_load_u16 v24, v[24:25]
	s_waitcnt vmcnt(0) lgkmcnt(0)
	v_mul_f16_e32 v24, s15, v24
	s_branch .LBB212_303
.LBB212_302:
	v_mov_b32_e32 v24, 0
.LBB212_303:
	v_pk_add_f16 v25, v16, v4
	v_pk_max_f16 v26, v63, v63
	v_pk_add_f16 v27, v17, v5
	s_delay_alu instid0(VALU_DEP_2) | instskip(NEXT) | instid1(VALU_DEP_1)
	v_pk_min_f16 v25, v26, v25
	v_pk_min_f16 v27, v25, v27
	v_lshlrev_b64 v[25:26], 1, v[32:33]
	s_delay_alu instid0(VALU_DEP_2) | instskip(NEXT) | instid1(VALU_DEP_1)
	v_lshrrev_b32_e32 v28, 16, v27
	v_min3_f16 v27, v24, v27, v28
	s_delay_alu instid0(VALU_DEP_3) | instskip(NEXT) | instid1(VALU_DEP_4)
	v_add_co_u32 v24, vcc_lo, v20, v25
	v_add_co_ci_u32_e32 v25, vcc_lo, v21, v26, vcc_lo
	global_store_b16 v[24:25], v27, off
	s_or_b32 exec_lo, exec_lo, s16
	s_and_b32 s18, s1, s8
	s_delay_alu instid0(SALU_CYCLE_1)
	s_and_saveexec_b32 s16, s18
	s_cbranch_execz .LBB212_294
.LBB212_304:
	v_cmp_ne_u32_e32 vcc_lo, 1, v72
	s_cbranch_vccnz .LBB212_306
; %bb.305:
	v_lshlrev_b64 v[24:25], 1, v[34:35]
	s_delay_alu instid0(VALU_DEP_1) | instskip(NEXT) | instid1(VALU_DEP_2)
	v_add_co_u32 v24, vcc_lo, v22, v24
	v_add_co_ci_u32_e32 v25, vcc_lo, v23, v25, vcc_lo
	flat_load_u16 v24, v[24:25]
	s_waitcnt vmcnt(0) lgkmcnt(0)
	v_mul_f16_e32 v24, s15, v24
	s_branch .LBB212_307
.LBB212_306:
	v_mov_b32_e32 v24, 0
.LBB212_307:
	v_pk_add_f16 v25, v18, v4
	v_pk_max_f16 v26, v62, v62
	v_pk_add_f16 v27, v19, v5
	s_delay_alu instid0(VALU_DEP_2) | instskip(NEXT) | instid1(VALU_DEP_1)
	v_pk_min_f16 v25, v26, v25
	v_pk_min_f16 v27, v25, v27
	v_lshlrev_b64 v[25:26], 1, v[34:35]
	s_delay_alu instid0(VALU_DEP_2) | instskip(NEXT) | instid1(VALU_DEP_1)
	v_lshrrev_b32_e32 v28, 16, v27
	v_min3_f16 v27, v24, v27, v28
	s_delay_alu instid0(VALU_DEP_3) | instskip(NEXT) | instid1(VALU_DEP_4)
	v_add_co_u32 v24, vcc_lo, v20, v25
	v_add_co_ci_u32_e32 v25, vcc_lo, v21, v26, vcc_lo
	global_store_b16 v[24:25], v27, off
	s_or_b32 exec_lo, exec_lo, s16
	s_and_b32 s18, s2, s8
	s_delay_alu instid0(SALU_CYCLE_1)
	s_and_saveexec_b32 s16, s18
	s_cbranch_execz .LBB212_295
.LBB212_308:
	v_cmp_ne_u32_e32 vcc_lo, 1, v72
	s_cbranch_vccnz .LBB212_310
; %bb.309:
	v_lshlrev_b64 v[24:25], 1, v[36:37]
	s_delay_alu instid0(VALU_DEP_1) | instskip(NEXT) | instid1(VALU_DEP_2)
	v_add_co_u32 v24, vcc_lo, v22, v24
	v_add_co_ci_u32_e32 v25, vcc_lo, v23, v25, vcc_lo
	flat_load_u16 v24, v[24:25]
	s_waitcnt vmcnt(0) lgkmcnt(0)
	v_mul_f16_e32 v24, s15, v24
	s_branch .LBB212_311
.LBB212_310:
	v_mov_b32_e32 v24, 0
.LBB212_311:
	v_pk_add_f16 v25, v12, v4
	v_pk_max_f16 v26, v61, v61
	v_pk_add_f16 v27, v13, v5
	s_delay_alu instid0(VALU_DEP_2) | instskip(NEXT) | instid1(VALU_DEP_1)
	v_pk_min_f16 v25, v26, v25
	v_pk_min_f16 v27, v25, v27
	v_lshlrev_b64 v[25:26], 1, v[36:37]
	s_delay_alu instid0(VALU_DEP_2) | instskip(NEXT) | instid1(VALU_DEP_1)
	v_lshrrev_b32_e32 v28, 16, v27
	v_min3_f16 v27, v24, v27, v28
	s_delay_alu instid0(VALU_DEP_3) | instskip(NEXT) | instid1(VALU_DEP_4)
	v_add_co_u32 v24, vcc_lo, v20, v25
	v_add_co_ci_u32_e32 v25, vcc_lo, v21, v26, vcc_lo
	global_store_b16 v[24:25], v27, off
	s_or_b32 exec_lo, exec_lo, s16
	s_and_b32 s18, s3, s8
	s_delay_alu instid0(SALU_CYCLE_1)
	s_and_saveexec_b32 s16, s18
	s_cbranch_execz .LBB212_296
.LBB212_312:
	v_cmp_ne_u32_e32 vcc_lo, 1, v72
	s_cbranch_vccnz .LBB212_314
; %bb.313:
	v_lshlrev_b64 v[24:25], 1, v[38:39]
	s_delay_alu instid0(VALU_DEP_1) | instskip(NEXT) | instid1(VALU_DEP_2)
	v_add_co_u32 v24, vcc_lo, v22, v24
	v_add_co_ci_u32_e32 v25, vcc_lo, v23, v25, vcc_lo
	flat_load_u16 v24, v[24:25]
	s_waitcnt vmcnt(0) lgkmcnt(0)
	v_mul_f16_e32 v24, s15, v24
	s_branch .LBB212_315
.LBB212_314:
	v_mov_b32_e32 v24, 0
.LBB212_315:
	v_pk_add_f16 v25, v14, v4
	v_pk_max_f16 v26, v60, v60
	v_pk_add_f16 v27, v15, v5
	s_delay_alu instid0(VALU_DEP_2) | instskip(NEXT) | instid1(VALU_DEP_1)
	v_pk_min_f16 v25, v26, v25
	v_pk_min_f16 v27, v25, v27
	v_lshlrev_b64 v[25:26], 1, v[38:39]
	s_delay_alu instid0(VALU_DEP_2) | instskip(NEXT) | instid1(VALU_DEP_1)
	v_lshrrev_b32_e32 v28, 16, v27
	v_min3_f16 v27, v24, v27, v28
	s_delay_alu instid0(VALU_DEP_3) | instskip(NEXT) | instid1(VALU_DEP_4)
	v_add_co_u32 v24, vcc_lo, v20, v25
	v_add_co_ci_u32_e32 v25, vcc_lo, v21, v26, vcc_lo
	global_store_b16 v[24:25], v27, off
	s_or_b32 exec_lo, exec_lo, s16
	s_and_b32 s18, s4, s8
	s_delay_alu instid0(SALU_CYCLE_1)
	s_and_saveexec_b32 s16, s18
	s_cbranch_execz .LBB212_297
.LBB212_316:
	v_cmp_ne_u32_e32 vcc_lo, 1, v72
	s_cbranch_vccnz .LBB212_318
; %bb.317:
	v_lshlrev_b64 v[24:25], 1, v[40:41]
	s_delay_alu instid0(VALU_DEP_1) | instskip(NEXT) | instid1(VALU_DEP_2)
	v_add_co_u32 v24, vcc_lo, v22, v24
	v_add_co_ci_u32_e32 v25, vcc_lo, v23, v25, vcc_lo
	flat_load_u16 v24, v[24:25]
	s_waitcnt vmcnt(0) lgkmcnt(0)
	v_mul_f16_e32 v24, s15, v24
	s_branch .LBB212_319
.LBB212_318:
	v_mov_b32_e32 v24, 0
.LBB212_319:
	v_pk_add_f16 v25, v8, v4
	v_pk_max_f16 v26, v59, v59
	v_pk_add_f16 v27, v9, v5
	s_delay_alu instid0(VALU_DEP_2) | instskip(NEXT) | instid1(VALU_DEP_1)
	v_pk_min_f16 v25, v26, v25
	v_pk_min_f16 v27, v25, v27
	v_lshlrev_b64 v[25:26], 1, v[40:41]
	s_delay_alu instid0(VALU_DEP_2) | instskip(NEXT) | instid1(VALU_DEP_1)
	v_lshrrev_b32_e32 v28, 16, v27
	v_min3_f16 v27, v24, v27, v28
	s_delay_alu instid0(VALU_DEP_3) | instskip(NEXT) | instid1(VALU_DEP_4)
	v_add_co_u32 v24, vcc_lo, v20, v25
	v_add_co_ci_u32_e32 v25, vcc_lo, v21, v26, vcc_lo
	global_store_b16 v[24:25], v27, off
	s_or_b32 exec_lo, exec_lo, s16
	s_and_b32 s18, s5, s8
	s_delay_alu instid0(SALU_CYCLE_1)
	s_and_saveexec_b32 s16, s18
	s_cbranch_execz .LBB212_298
.LBB212_320:
	v_cmp_ne_u32_e32 vcc_lo, 1, v72
	s_cbranch_vccnz .LBB212_322
; %bb.321:
	v_lshlrev_b64 v[24:25], 1, v[42:43]
	s_delay_alu instid0(VALU_DEP_1) | instskip(NEXT) | instid1(VALU_DEP_2)
	v_add_co_u32 v24, vcc_lo, v22, v24
	v_add_co_ci_u32_e32 v25, vcc_lo, v23, v25, vcc_lo
	flat_load_u16 v24, v[24:25]
	s_waitcnt vmcnt(0) lgkmcnt(0)
	v_mul_f16_e32 v24, s15, v24
	s_branch .LBB212_323
.LBB212_322:
	v_mov_b32_e32 v24, 0
.LBB212_323:
	v_pk_add_f16 v25, v10, v4
	v_pk_max_f16 v26, v58, v58
	v_pk_add_f16 v27, v11, v5
	s_delay_alu instid0(VALU_DEP_2) | instskip(NEXT) | instid1(VALU_DEP_1)
	v_pk_min_f16 v25, v26, v25
	v_pk_min_f16 v27, v25, v27
	v_lshlrev_b64 v[25:26], 1, v[42:43]
	s_delay_alu instid0(VALU_DEP_2) | instskip(NEXT) | instid1(VALU_DEP_1)
	v_lshrrev_b32_e32 v28, 16, v27
	v_min3_f16 v27, v24, v27, v28
	s_delay_alu instid0(VALU_DEP_3) | instskip(NEXT) | instid1(VALU_DEP_4)
	v_add_co_u32 v24, vcc_lo, v20, v25
	v_add_co_ci_u32_e32 v25, vcc_lo, v21, v26, vcc_lo
	global_store_b16 v[24:25], v27, off
	s_or_b32 exec_lo, exec_lo, s16
	s_and_b32 s18, s6, s8
	s_delay_alu instid0(SALU_CYCLE_1)
	s_and_saveexec_b32 s16, s18
	s_cbranch_execz .LBB212_299
.LBB212_324:
	v_cmp_ne_u32_e32 vcc_lo, 1, v72
	s_cbranch_vccnz .LBB212_326
; %bb.325:
	v_lshlrev_b64 v[24:25], 1, v[44:45]
	s_delay_alu instid0(VALU_DEP_1) | instskip(NEXT) | instid1(VALU_DEP_2)
	v_add_co_u32 v24, vcc_lo, v22, v24
	v_add_co_ci_u32_e32 v25, vcc_lo, v23, v25, vcc_lo
	flat_load_u16 v24, v[24:25]
	s_waitcnt vmcnt(0) lgkmcnt(0)
	v_mul_f16_e32 v24, s15, v24
	s_branch .LBB212_327
.LBB212_326:
	v_mov_b32_e32 v24, 0
.LBB212_327:
	v_pk_add_f16 v25, v0, v4
	v_pk_max_f16 v26, v57, v57
	v_pk_add_f16 v27, v1, v5
	s_delay_alu instid0(VALU_DEP_2) | instskip(NEXT) | instid1(VALU_DEP_1)
	v_pk_min_f16 v25, v26, v25
	v_pk_min_f16 v27, v25, v27
	v_lshlrev_b64 v[25:26], 1, v[44:45]
	s_delay_alu instid0(VALU_DEP_2) | instskip(NEXT) | instid1(VALU_DEP_1)
	v_lshrrev_b32_e32 v28, 16, v27
	v_min3_f16 v27, v24, v27, v28
	s_delay_alu instid0(VALU_DEP_3) | instskip(NEXT) | instid1(VALU_DEP_4)
	v_add_co_u32 v24, vcc_lo, v20, v25
	v_add_co_ci_u32_e32 v25, vcc_lo, v21, v26, vcc_lo
	global_store_b16 v[24:25], v27, off
	s_or_b32 exec_lo, exec_lo, s16
	s_and_b32 s16, s7, s8
	s_delay_alu instid0(SALU_CYCLE_1)
	s_and_saveexec_b32 s8, s16
	s_cbranch_execz .LBB212_332
.LBB212_328:
	v_cmp_ne_u32_e32 vcc_lo, 1, v72
	s_cbranch_vccnz .LBB212_330
; %bb.329:
	v_lshlrev_b64 v[24:25], 1, v[46:47]
	s_delay_alu instid0(VALU_DEP_1) | instskip(NEXT) | instid1(VALU_DEP_2)
	v_add_co_u32 v22, vcc_lo, v22, v24
	v_add_co_ci_u32_e32 v23, vcc_lo, v23, v25, vcc_lo
	flat_load_u16 v22, v[22:23]
	s_waitcnt vmcnt(0) lgkmcnt(0)
	v_mul_f16_e32 v22, s15, v22
	s_branch .LBB212_331
.LBB212_330:
	v_mov_b32_e32 v22, 0
.LBB212_331:
	v_pk_add_f16 v4, v2, v4
	v_pk_max_f16 v23, v56, v56
	v_pk_add_f16 v5, v3, v5
	s_delay_alu instid0(VALU_DEP_2) | instskip(NEXT) | instid1(VALU_DEP_1)
	v_pk_min_f16 v4, v23, v4
	v_pk_min_f16 v23, v4, v5
	v_lshlrev_b64 v[4:5], 1, v[46:47]
	s_delay_alu instid0(VALU_DEP_2) | instskip(NEXT) | instid1(VALU_DEP_2)
	v_lshrrev_b32_e32 v24, 16, v23
	v_add_co_u32 v4, vcc_lo, v20, v4
	s_delay_alu instid0(VALU_DEP_3) | instskip(NEXT) | instid1(VALU_DEP_3)
	v_add_co_ci_u32_e32 v5, vcc_lo, v21, v5, vcc_lo
	v_min3_f16 v22, v22, v23, v24
	global_store_b16 v[4:5], v22, off
.LBB212_332:
	s_or_b32 exec_lo, exec_lo, s8
	v_add_nc_u32_e32 v22, 56, v80
	s_delay_alu instid0(VALU_DEP_1) | instskip(SKIP_2) | instid1(VALU_DEP_3)
	v_mad_i64_i32 v[4:5], null, v22, s14, 0
	v_mad_i64_i32 v[20:21], null, v22, s9, 0
	v_cmp_gt_i32_e64 s8, s17, v22
	v_lshlrev_b64 v[4:5], 1, v[4:5]
	s_delay_alu instid0(VALU_DEP_2) | instskip(NEXT) | instid1(VALU_DEP_3)
	s_and_b32 s9, s0, s8
	v_lshlrev_b64 v[20:21], 1, v[20:21]
	s_delay_alu instid0(VALU_DEP_2) | instskip(NEXT) | instid1(VALU_DEP_3)
	v_add_co_u32 v22, vcc_lo, s10, v4
	v_add_co_ci_u32_e32 v23, vcc_lo, s11, v5, vcc_lo
	s_delay_alu instid0(VALU_DEP_3) | instskip(NEXT) | instid1(VALU_DEP_4)
	v_add_co_u32 v20, vcc_lo, s12, v20
	v_add_co_ci_u32_e32 v21, vcc_lo, s13, v21, vcc_lo
	s_and_saveexec_b32 s0, s9
	s_cbranch_execnz .LBB212_341
; %bb.333:
	s_or_b32 exec_lo, exec_lo, s0
	s_and_b32 s1, s1, s8
	s_delay_alu instid0(SALU_CYCLE_1)
	s_and_saveexec_b32 s0, s1
	s_cbranch_execnz .LBB212_345
.LBB212_334:
	s_or_b32 exec_lo, exec_lo, s0
	s_and_b32 s1, s2, s8
	s_delay_alu instid0(SALU_CYCLE_1)
	s_and_saveexec_b32 s0, s1
	s_cbranch_execnz .LBB212_349
.LBB212_335:
	s_or_b32 exec_lo, exec_lo, s0
	s_and_b32 s1, s3, s8
	s_delay_alu instid0(SALU_CYCLE_1)
	s_and_saveexec_b32 s0, s1
	s_cbranch_execnz .LBB212_353
.LBB212_336:
	s_or_b32 exec_lo, exec_lo, s0
	s_and_b32 s1, s4, s8
	s_delay_alu instid0(SALU_CYCLE_1)
	s_and_saveexec_b32 s0, s1
	s_cbranch_execnz .LBB212_357
.LBB212_337:
	s_or_b32 exec_lo, exec_lo, s0
	s_and_b32 s1, s5, s8
	s_delay_alu instid0(SALU_CYCLE_1)
	s_and_saveexec_b32 s0, s1
	s_cbranch_execnz .LBB212_361
.LBB212_338:
	s_or_b32 exec_lo, exec_lo, s0
	s_and_b32 s1, s6, s8
	s_delay_alu instid0(SALU_CYCLE_1)
	s_and_saveexec_b32 s0, s1
	s_cbranch_execnz .LBB212_365
.LBB212_339:
	s_or_b32 exec_lo, exec_lo, s0
	s_and_b32 s0, s7, s8
	s_delay_alu instid0(SALU_CYCLE_1)
	s_and_saveexec_b32 s1, s0
	s_cbranch_execnz .LBB212_369
.LBB212_340:
	s_nop 0
	s_sendmsg sendmsg(MSG_DEALLOC_VGPRS)
	s_endpgm
.LBB212_341:
	v_cmp_ne_u32_e32 vcc_lo, 1, v72
	v_lshlrev_b64 v[4:5], 1, v[32:33]
	s_cbranch_vccnz .LBB212_343
; %bb.342:
	s_delay_alu instid0(VALU_DEP_1) | instskip(NEXT) | instid1(VALU_DEP_2)
	v_add_co_u32 v24, vcc_lo, v22, v4
	v_add_co_ci_u32_e32 v25, vcc_lo, v23, v5, vcc_lo
	flat_load_u16 v24, v[24:25]
	s_waitcnt vmcnt(0) lgkmcnt(0)
	v_mul_f16_e32 v24, s15, v24
	s_branch .LBB212_344
.LBB212_343:
	v_mov_b32_e32 v24, 0
.LBB212_344:
	v_pk_add_f16 v16, v16, v6
	v_pk_max_f16 v25, v55, v55
	v_pk_add_f16 v17, v17, v7
	v_add_co_u32 v4, vcc_lo, v20, v4
	v_add_co_ci_u32_e32 v5, vcc_lo, v21, v5, vcc_lo
	s_delay_alu instid0(VALU_DEP_4) | instskip(NEXT) | instid1(VALU_DEP_1)
	v_pk_min_f16 v16, v25, v16
	v_pk_min_f16 v16, v16, v17
	s_delay_alu instid0(VALU_DEP_1) | instskip(NEXT) | instid1(VALU_DEP_1)
	v_lshrrev_b32_e32 v17, 16, v16
	v_min3_f16 v16, v24, v16, v17
	global_store_b16 v[4:5], v16, off
	s_or_b32 exec_lo, exec_lo, s0
	s_and_b32 s1, s1, s8
	s_delay_alu instid0(SALU_CYCLE_1)
	s_and_saveexec_b32 s0, s1
	s_cbranch_execz .LBB212_334
.LBB212_345:
	v_cmp_ne_u32_e32 vcc_lo, 1, v72
	v_lshlrev_b64 v[4:5], 1, v[34:35]
	s_cbranch_vccnz .LBB212_347
; %bb.346:
	s_delay_alu instid0(VALU_DEP_1) | instskip(NEXT) | instid1(VALU_DEP_2)
	v_add_co_u32 v16, vcc_lo, v22, v4
	v_add_co_ci_u32_e32 v17, vcc_lo, v23, v5, vcc_lo
	flat_load_u16 v16, v[16:17]
	s_waitcnt vmcnt(0) lgkmcnt(0)
	v_mul_f16_e32 v16, s15, v16
	s_branch .LBB212_348
.LBB212_347:
	v_mov_b32_e32 v16, 0
.LBB212_348:
	v_pk_add_f16 v17, v18, v6
	v_pk_max_f16 v18, v54, v54
	v_pk_add_f16 v19, v19, v7
	v_add_co_u32 v4, vcc_lo, v20, v4
	v_add_co_ci_u32_e32 v5, vcc_lo, v21, v5, vcc_lo
	s_delay_alu instid0(VALU_DEP_4) | instskip(NEXT) | instid1(VALU_DEP_1)
	v_pk_min_f16 v17, v18, v17
	v_pk_min_f16 v17, v17, v19
	s_delay_alu instid0(VALU_DEP_1) | instskip(NEXT) | instid1(VALU_DEP_1)
	v_lshrrev_b32_e32 v18, 16, v17
	v_min3_f16 v16, v16, v17, v18
	global_store_b16 v[4:5], v16, off
	s_or_b32 exec_lo, exec_lo, s0
	s_and_b32 s1, s2, s8
	s_delay_alu instid0(SALU_CYCLE_1)
	s_and_saveexec_b32 s0, s1
	s_cbranch_execz .LBB212_335
.LBB212_349:
	v_cmp_ne_u32_e32 vcc_lo, 1, v72
	v_lshlrev_b64 v[4:5], 1, v[36:37]
	s_cbranch_vccnz .LBB212_351
; %bb.350:
	s_delay_alu instid0(VALU_DEP_1) | instskip(NEXT) | instid1(VALU_DEP_2)
	v_add_co_u32 v16, vcc_lo, v22, v4
	v_add_co_ci_u32_e32 v17, vcc_lo, v23, v5, vcc_lo
	flat_load_u16 v16, v[16:17]
	s_waitcnt vmcnt(0) lgkmcnt(0)
	v_mul_f16_e32 v16, s15, v16
	s_branch .LBB212_352
.LBB212_351:
	v_mov_b32_e32 v16, 0
.LBB212_352:
	v_pk_add_f16 v12, v12, v6
	v_pk_max_f16 v17, v53, v53
	v_pk_add_f16 v13, v13, v7
	v_add_co_u32 v4, vcc_lo, v20, v4
	v_add_co_ci_u32_e32 v5, vcc_lo, v21, v5, vcc_lo
	s_delay_alu instid0(VALU_DEP_4) | instskip(NEXT) | instid1(VALU_DEP_1)
	v_pk_min_f16 v12, v17, v12
	v_pk_min_f16 v12, v12, v13
	s_delay_alu instid0(VALU_DEP_1) | instskip(NEXT) | instid1(VALU_DEP_1)
	v_lshrrev_b32_e32 v13, 16, v12
	v_min3_f16 v12, v16, v12, v13
	global_store_b16 v[4:5], v12, off
	s_or_b32 exec_lo, exec_lo, s0
	s_and_b32 s1, s3, s8
	s_delay_alu instid0(SALU_CYCLE_1)
	s_and_saveexec_b32 s0, s1
	s_cbranch_execz .LBB212_336
.LBB212_353:
	v_cmp_ne_u32_e32 vcc_lo, 1, v72
	v_lshlrev_b64 v[4:5], 1, v[38:39]
	s_cbranch_vccnz .LBB212_355
; %bb.354:
	s_delay_alu instid0(VALU_DEP_1) | instskip(NEXT) | instid1(VALU_DEP_2)
	v_add_co_u32 v12, vcc_lo, v22, v4
	v_add_co_ci_u32_e32 v13, vcc_lo, v23, v5, vcc_lo
	flat_load_u16 v12, v[12:13]
	s_waitcnt vmcnt(0) lgkmcnt(0)
	v_mul_f16_e32 v12, s15, v12
	s_branch .LBB212_356
.LBB212_355:
	v_mov_b32_e32 v12, 0
.LBB212_356:
	v_pk_add_f16 v13, v14, v6
	v_pk_max_f16 v14, v52, v52
	v_pk_add_f16 v15, v15, v7
	v_add_co_u32 v4, vcc_lo, v20, v4
	v_add_co_ci_u32_e32 v5, vcc_lo, v21, v5, vcc_lo
	s_delay_alu instid0(VALU_DEP_4) | instskip(NEXT) | instid1(VALU_DEP_1)
	v_pk_min_f16 v13, v14, v13
	v_pk_min_f16 v13, v13, v15
	s_delay_alu instid0(VALU_DEP_1) | instskip(NEXT) | instid1(VALU_DEP_1)
	v_lshrrev_b32_e32 v14, 16, v13
	v_min3_f16 v12, v12, v13, v14
	global_store_b16 v[4:5], v12, off
	s_or_b32 exec_lo, exec_lo, s0
	s_and_b32 s1, s4, s8
	s_delay_alu instid0(SALU_CYCLE_1)
	s_and_saveexec_b32 s0, s1
	s_cbranch_execz .LBB212_337
.LBB212_357:
	v_cmp_ne_u32_e32 vcc_lo, 1, v72
	v_lshlrev_b64 v[4:5], 1, v[40:41]
	s_cbranch_vccnz .LBB212_359
; %bb.358:
	s_delay_alu instid0(VALU_DEP_1) | instskip(NEXT) | instid1(VALU_DEP_2)
	v_add_co_u32 v12, vcc_lo, v22, v4
	v_add_co_ci_u32_e32 v13, vcc_lo, v23, v5, vcc_lo
	flat_load_u16 v12, v[12:13]
	s_waitcnt vmcnt(0) lgkmcnt(0)
	v_mul_f16_e32 v12, s15, v12
	s_branch .LBB212_360
.LBB212_359:
	v_mov_b32_e32 v12, 0
.LBB212_360:
	v_pk_add_f16 v8, v8, v6
	v_pk_max_f16 v13, v51, v51
	v_pk_add_f16 v9, v9, v7
	v_add_co_u32 v4, vcc_lo, v20, v4
	v_add_co_ci_u32_e32 v5, vcc_lo, v21, v5, vcc_lo
	s_delay_alu instid0(VALU_DEP_4) | instskip(NEXT) | instid1(VALU_DEP_1)
	v_pk_min_f16 v8, v13, v8
	v_pk_min_f16 v8, v8, v9
	s_delay_alu instid0(VALU_DEP_1) | instskip(NEXT) | instid1(VALU_DEP_1)
	v_lshrrev_b32_e32 v9, 16, v8
	v_min3_f16 v8, v12, v8, v9
	global_store_b16 v[4:5], v8, off
	s_or_b32 exec_lo, exec_lo, s0
	s_and_b32 s1, s5, s8
	s_delay_alu instid0(SALU_CYCLE_1)
	s_and_saveexec_b32 s0, s1
	s_cbranch_execz .LBB212_338
.LBB212_361:
	v_cmp_ne_u32_e32 vcc_lo, 1, v72
	v_lshlrev_b64 v[4:5], 1, v[42:43]
	s_cbranch_vccnz .LBB212_363
; %bb.362:
	s_delay_alu instid0(VALU_DEP_1) | instskip(NEXT) | instid1(VALU_DEP_2)
	v_add_co_u32 v8, vcc_lo, v22, v4
	v_add_co_ci_u32_e32 v9, vcc_lo, v23, v5, vcc_lo
	flat_load_u16 v8, v[8:9]
	s_waitcnt vmcnt(0) lgkmcnt(0)
	v_mul_f16_e32 v8, s15, v8
	s_branch .LBB212_364
.LBB212_363:
	v_mov_b32_e32 v8, 0
.LBB212_364:
	v_pk_add_f16 v9, v10, v6
	v_pk_max_f16 v10, v50, v50
	v_pk_add_f16 v11, v11, v7
	v_add_co_u32 v4, vcc_lo, v20, v4
	v_add_co_ci_u32_e32 v5, vcc_lo, v21, v5, vcc_lo
	s_delay_alu instid0(VALU_DEP_4) | instskip(NEXT) | instid1(VALU_DEP_1)
	v_pk_min_f16 v9, v10, v9
	v_pk_min_f16 v9, v9, v11
	s_delay_alu instid0(VALU_DEP_1) | instskip(NEXT) | instid1(VALU_DEP_1)
	v_lshrrev_b32_e32 v10, 16, v9
	v_min3_f16 v8, v8, v9, v10
	global_store_b16 v[4:5], v8, off
	s_or_b32 exec_lo, exec_lo, s0
	s_and_b32 s1, s6, s8
	s_delay_alu instid0(SALU_CYCLE_1)
	s_and_saveexec_b32 s0, s1
	s_cbranch_execz .LBB212_339
.LBB212_365:
	v_cmp_ne_u32_e32 vcc_lo, 1, v72
	v_lshlrev_b64 v[4:5], 1, v[44:45]
	s_cbranch_vccnz .LBB212_367
; %bb.366:
	s_delay_alu instid0(VALU_DEP_1) | instskip(NEXT) | instid1(VALU_DEP_2)
	v_add_co_u32 v8, vcc_lo, v22, v4
	v_add_co_ci_u32_e32 v9, vcc_lo, v23, v5, vcc_lo
	flat_load_u16 v8, v[8:9]
	s_waitcnt vmcnt(0) lgkmcnt(0)
	v_mul_f16_e32 v8, s15, v8
	s_branch .LBB212_368
.LBB212_367:
	v_mov_b32_e32 v8, 0
.LBB212_368:
	v_pk_add_f16 v0, v0, v6
	v_pk_max_f16 v9, v49, v49
	v_pk_add_f16 v1, v1, v7
	s_delay_alu instid0(VALU_DEP_2) | instskip(NEXT) | instid1(VALU_DEP_1)
	v_pk_min_f16 v0, v9, v0
	v_pk_min_f16 v0, v0, v1
	s_delay_alu instid0(VALU_DEP_1) | instskip(NEXT) | instid1(VALU_DEP_1)
	v_lshrrev_b32_e32 v1, 16, v0
	v_min3_f16 v8, v8, v0, v1
	v_add_co_u32 v0, vcc_lo, v20, v4
	v_add_co_ci_u32_e32 v1, vcc_lo, v21, v5, vcc_lo
	global_store_b16 v[0:1], v8, off
	s_or_b32 exec_lo, exec_lo, s0
	s_and_b32 s0, s7, s8
	s_delay_alu instid0(SALU_CYCLE_1)
	s_and_saveexec_b32 s1, s0
	s_cbranch_execz .LBB212_340
.LBB212_369:
	v_cmp_ne_u32_e32 vcc_lo, 1, v72
	v_lshlrev_b64 v[0:1], 1, v[46:47]
	s_cbranch_vccnz .LBB212_371
; %bb.370:
	s_delay_alu instid0(VALU_DEP_1) | instskip(NEXT) | instid1(VALU_DEP_2)
	v_add_co_u32 v4, vcc_lo, v22, v0
	v_add_co_ci_u32_e32 v5, vcc_lo, v23, v1, vcc_lo
	flat_load_u16 v4, v[4:5]
	s_waitcnt vmcnt(0) lgkmcnt(0)
	v_mul_f16_e32 v4, s15, v4
	s_branch .LBB212_372
.LBB212_371:
	v_mov_b32_e32 v4, 0
.LBB212_372:
	v_pk_add_f16 v2, v2, v6
	v_pk_max_f16 v5, v48, v48
	v_pk_add_f16 v3, v3, v7
	v_add_co_u32 v0, vcc_lo, v20, v0
	v_add_co_ci_u32_e32 v1, vcc_lo, v21, v1, vcc_lo
	s_delay_alu instid0(VALU_DEP_4) | instskip(NEXT) | instid1(VALU_DEP_1)
	v_pk_min_f16 v2, v5, v2
	v_pk_min_f16 v2, v2, v3
	s_delay_alu instid0(VALU_DEP_1) | instskip(NEXT) | instid1(VALU_DEP_1)
	v_lshrrev_b32_e32 v3, 16, v2
	v_min3_f16 v2, v4, v2, v3
	global_store_b16 v[0:1], v2, off
	s_nop 0
	s_sendmsg sendmsg(MSG_DEALLOC_VGPRS)
	s_endpgm
	.section	.rodata,"a",@progbits
	.p2align	6, 0x0
	.amdhsa_kernel _ZN12_GLOBAL__N_120geam_min_plus_kernelIDF16_Dv2_DF16_S1_Li32ELi8ELi256ELi64ELi4ELi64ELi4ELi4ELi64ELc78ELc78ELb0ELb1ELb1EDF16_KPKDF16_KPDF16_EEviiiT16_PT17_ilS9_ilS7_S9_ilPT18_ili26rocblas_geam_ex_operation_
		.amdhsa_group_segment_fixed_size 5120
		.amdhsa_private_segment_fixed_size 0
		.amdhsa_kernarg_size 128
		.amdhsa_user_sgpr_count 14
		.amdhsa_user_sgpr_dispatch_ptr 0
		.amdhsa_user_sgpr_queue_ptr 0
		.amdhsa_user_sgpr_kernarg_segment_ptr 1
		.amdhsa_user_sgpr_dispatch_id 0
		.amdhsa_user_sgpr_private_segment_size 0
		.amdhsa_wavefront_size32 1
		.amdhsa_uses_dynamic_stack 0
		.amdhsa_enable_private_segment 0
		.amdhsa_system_sgpr_workgroup_id_x 1
		.amdhsa_system_sgpr_workgroup_id_y 0
		.amdhsa_system_sgpr_workgroup_id_z 1
		.amdhsa_system_sgpr_workgroup_info 0
		.amdhsa_system_vgpr_workitem_id 1
		.amdhsa_next_free_vgpr 163
		.amdhsa_next_free_sgpr 29
		.amdhsa_reserve_vcc 1
		.amdhsa_float_round_mode_32 0
		.amdhsa_float_round_mode_16_64 0
		.amdhsa_float_denorm_mode_32 3
		.amdhsa_float_denorm_mode_16_64 3
		.amdhsa_dx10_clamp 1
		.amdhsa_ieee_mode 1
		.amdhsa_fp16_overflow 0
		.amdhsa_workgroup_processor_mode 1
		.amdhsa_memory_ordered 1
		.amdhsa_forward_progress 0
		.amdhsa_shared_vgpr_count 0
		.amdhsa_exception_fp_ieee_invalid_op 0
		.amdhsa_exception_fp_denorm_src 0
		.amdhsa_exception_fp_ieee_div_zero 0
		.amdhsa_exception_fp_ieee_overflow 0
		.amdhsa_exception_fp_ieee_underflow 0
		.amdhsa_exception_fp_ieee_inexact 0
		.amdhsa_exception_int_div_zero 0
	.end_amdhsa_kernel
	.section	.text._ZN12_GLOBAL__N_120geam_min_plus_kernelIDF16_Dv2_DF16_S1_Li32ELi8ELi256ELi64ELi4ELi64ELi4ELi4ELi64ELc78ELc78ELb0ELb1ELb1EDF16_KPKDF16_KPDF16_EEviiiT16_PT17_ilS9_ilS7_S9_ilPT18_ili26rocblas_geam_ex_operation_,"axG",@progbits,_ZN12_GLOBAL__N_120geam_min_plus_kernelIDF16_Dv2_DF16_S1_Li32ELi8ELi256ELi64ELi4ELi64ELi4ELi4ELi64ELc78ELc78ELb0ELb1ELb1EDF16_KPKDF16_KPDF16_EEviiiT16_PT17_ilS9_ilS7_S9_ilPT18_ili26rocblas_geam_ex_operation_,comdat
.Lfunc_end212:
	.size	_ZN12_GLOBAL__N_120geam_min_plus_kernelIDF16_Dv2_DF16_S1_Li32ELi8ELi256ELi64ELi4ELi64ELi4ELi4ELi64ELc78ELc78ELb0ELb1ELb1EDF16_KPKDF16_KPDF16_EEviiiT16_PT17_ilS9_ilS7_S9_ilPT18_ili26rocblas_geam_ex_operation_, .Lfunc_end212-_ZN12_GLOBAL__N_120geam_min_plus_kernelIDF16_Dv2_DF16_S1_Li32ELi8ELi256ELi64ELi4ELi64ELi4ELi4ELi64ELc78ELc78ELb0ELb1ELb1EDF16_KPKDF16_KPDF16_EEviiiT16_PT17_ilS9_ilS7_S9_ilPT18_ili26rocblas_geam_ex_operation_
                                        ; -- End function
	.section	.AMDGPU.csdata,"",@progbits
; Kernel info:
; codeLenInByte = 23468
; NumSgprs: 31
; NumVgprs: 163
; ScratchSize: 0
; MemoryBound: 0
; FloatMode: 240
; IeeeMode: 1
; LDSByteSize: 5120 bytes/workgroup (compile time only)
; SGPRBlocks: 3
; VGPRBlocks: 20
; NumSGPRsForWavesPerEU: 31
; NumVGPRsForWavesPerEU: 163
; Occupancy: 9
; WaveLimiterHint : 1
; COMPUTE_PGM_RSRC2:SCRATCH_EN: 0
; COMPUTE_PGM_RSRC2:USER_SGPR: 14
; COMPUTE_PGM_RSRC2:TRAP_HANDLER: 0
; COMPUTE_PGM_RSRC2:TGID_X_EN: 1
; COMPUTE_PGM_RSRC2:TGID_Y_EN: 0
; COMPUTE_PGM_RSRC2:TGID_Z_EN: 1
; COMPUTE_PGM_RSRC2:TIDIG_COMP_CNT: 1
	.section	.text._ZN12_GLOBAL__N_120geam_min_plus_kernelIDF16_Dv2_DF16_S1_Li32ELi8ELi128ELi128ELi4ELi4ELi64ELi4ELi64ELc84ELc78ELb0ELb0ELb1EPKDF16_KS3_KPDF16_EEviiiT16_PT17_ilS9_ilS7_S9_ilPT18_ili26rocblas_geam_ex_operation_,"axG",@progbits,_ZN12_GLOBAL__N_120geam_min_plus_kernelIDF16_Dv2_DF16_S1_Li32ELi8ELi128ELi128ELi4ELi4ELi64ELi4ELi64ELc84ELc78ELb0ELb0ELb1EPKDF16_KS3_KPDF16_EEviiiT16_PT17_ilS9_ilS7_S9_ilPT18_ili26rocblas_geam_ex_operation_,comdat
	.globl	_ZN12_GLOBAL__N_120geam_min_plus_kernelIDF16_Dv2_DF16_S1_Li32ELi8ELi128ELi128ELi4ELi4ELi64ELi4ELi64ELc84ELc78ELb0ELb0ELb1EPKDF16_KS3_KPDF16_EEviiiT16_PT17_ilS9_ilS7_S9_ilPT18_ili26rocblas_geam_ex_operation_ ; -- Begin function _ZN12_GLOBAL__N_120geam_min_plus_kernelIDF16_Dv2_DF16_S1_Li32ELi8ELi128ELi128ELi4ELi4ELi64ELi4ELi64ELc84ELc78ELb0ELb0ELb1EPKDF16_KS3_KPDF16_EEviiiT16_PT17_ilS9_ilS7_S9_ilPT18_ili26rocblas_geam_ex_operation_
	.p2align	8
	.type	_ZN12_GLOBAL__N_120geam_min_plus_kernelIDF16_Dv2_DF16_S1_Li32ELi8ELi128ELi128ELi4ELi4ELi64ELi4ELi64ELc84ELc78ELb0ELb0ELb1EPKDF16_KS3_KPDF16_EEviiiT16_PT17_ilS9_ilS7_S9_ilPT18_ili26rocblas_geam_ex_operation_,@function
_ZN12_GLOBAL__N_120geam_min_plus_kernelIDF16_Dv2_DF16_S1_Li32ELi8ELi128ELi128ELi4ELi4ELi64ELi4ELi64ELc84ELc78ELb0ELb0ELb1EPKDF16_KS3_KPDF16_EEviiiT16_PT17_ilS9_ilS7_S9_ilPT18_ili26rocblas_geam_ex_operation_: ; @_ZN12_GLOBAL__N_120geam_min_plus_kernelIDF16_Dv2_DF16_S1_Li32ELi8ELi128ELi128ELi4ELi4ELi64ELi4ELi64ELc84ELc78ELb0ELb0ELb1EPKDF16_KS3_KPDF16_EEviiiT16_PT17_ilS9_ilS7_S9_ilPT18_ili26rocblas_geam_ex_operation_
; %bb.0:
	s_clause 0x1
	s_load_b128 s[4:7], s[0:1], 0x10
	s_load_b128 s[8:11], s[0:1], 0x28
	s_mov_b32 s20, s15
	s_mov_b32 s21, 0
	v_mov_b32_e32 v1, 0
	s_lshl_b64 s[2:3], s[20:21], 1
	s_mov_b64 s[12:13], 0
	s_waitcnt lgkmcnt(0)
	s_add_u32 s4, s4, s2
	s_addc_u32 s5, s5, s3
	global_load_u16 v42, v1, s[4:5]
	s_clause 0x1
	s_load_b128 s[16:19], s[0:1], 0x40
	s_load_b64 s[22:23], s[0:1], 0x50
	s_waitcnt lgkmcnt(0)
	s_add_u32 s2, s18, s2
	s_addc_u32 s3, s19, s3
	s_mov_b64 s[18:19], 0
	s_waitcnt vmcnt(0)
	v_cmp_eq_f16_e32 vcc_lo, 0, v42
	v_cmp_neq_f16_e64 s4, 0, v42
	s_cbranch_vccnz .LBB213_2
; %bb.1:
	s_lshl_b64 s[12:13], s[20:21], 3
	s_delay_alu instid0(SALU_CYCLE_1)
	s_add_u32 s6, s6, s12
	s_addc_u32 s7, s7, s13
	s_lshl_b64 s[8:9], s[8:9], 1
	s_load_b64 s[6:7], s[6:7], 0x0
	s_waitcnt lgkmcnt(0)
	s_add_u32 s12, s6, s8
	s_addc_u32 s13, s7, s9
.LBB213_2:
	global_load_u16 v48, v1, s[2:3]
	v_cndmask_b32_e64 v1, 0, 1, s4
	s_and_not1_b32 vcc_lo, exec_lo, s4
	s_delay_alu instid0(VALU_DEP_1)
	v_cmp_ne_u32_e64 s3, 1, v1
	s_cbranch_vccnz .LBB213_4
; %bb.3:
	s_lshl_b64 s[6:7], s[20:21], 3
	s_delay_alu instid0(SALU_CYCLE_1)
	s_add_u32 s6, s10, s6
	s_addc_u32 s7, s11, s7
	s_lshl_b64 s[8:9], s[16:17], 1
	s_load_b64 s[6:7], s[6:7], 0x0
	s_waitcnt lgkmcnt(0)
	s_add_u32 s18, s6, s8
	s_addc_u32 s19, s7, s9
.LBB213_4:
	s_load_b128 s[8:11], s[0:1], 0x60
	s_waitcnt vmcnt(0)
	v_cmp_eq_f16_e32 vcc_lo, 0, v48
	s_and_b32 s2, exec_lo, vcc_lo
	s_delay_alu instid0(SALU_CYCLE_1)
	s_mov_b32 vcc_lo, s2
	s_cbranch_vccnz .LBB213_6
; %bb.5:
	s_lshl_b64 s[6:7], s[20:21], 3
	s_delay_alu instid0(SALU_CYCLE_1)
	s_add_u32 s6, s22, s6
	s_addc_u32 s7, s23, s7
	s_waitcnt lgkmcnt(0)
	s_lshl_b64 s[8:9], s[8:9], 1
	s_load_b64 s[6:7], s[6:7], 0x0
	s_waitcnt lgkmcnt(0)
	s_add_u32 s6, s6, s8
	s_addc_u32 s7, s7, s9
	s_branch .LBB213_7
.LBB213_6:
	s_mov_b64 s[6:7], 0
.LBB213_7:
	s_clause 0x1
	s_load_b32 s15, s[0:1], 0x0
	s_load_b32 s5, s[0:1], 0x20
	s_waitcnt lgkmcnt(0)
	s_lshl_b64 s[8:9], s[20:21], 3
	v_and_b32_e32 v40, 0x3ff, v0
	s_add_u32 s8, s10, s8
	s_addc_u32 s9, s11, s9
	v_bfe_u32 v41, v0, 10, 10
	s_delay_alu instid0(VALU_DEP_1) | instskip(NEXT) | instid1(VALU_DEP_1)
	v_lshl_add_u32 v0, v41, 5, v40
	v_lshrrev_b32_e32 v8, 2, v0
	s_add_i32 s10, s15, -1
	s_delay_alu instid0(SALU_CYCLE_1) | instskip(NEXT) | instid1(SALU_CYCLE_1)
	s_ashr_i32 s11, s10, 31
	s_lshr_b32 s11, s11, 25
	s_delay_alu instid0(SALU_CYCLE_1) | instskip(NEXT) | instid1(SALU_CYCLE_1)
	s_add_i32 s10, s10, s11
	s_ashr_i32 s10, s10, 7
	s_delay_alu instid0(SALU_CYCLE_1) | instskip(SKIP_2) | instid1(VALU_DEP_1)
	s_add_i32 s15, s10, 1
	s_not_b32 s10, s10
	v_cvt_f32_u32_e32 v1, s15
	v_rcp_iflag_f32_e32 v1, v1
	s_waitcnt_depctr 0xfff
	v_mul_f32_e32 v1, 0x4f7ffffe, v1
	s_delay_alu instid0(VALU_DEP_1) | instskip(NEXT) | instid1(VALU_DEP_1)
	v_cvt_u32_f32_e32 v1, v1
	v_readfirstlane_b32 s11, v1
	v_and_b32_e32 v1, 3, v40
	s_delay_alu instid0(VALU_DEP_2) | instskip(NEXT) | instid1(VALU_DEP_1)
	s_mul_i32 s10, s10, s11
	v_lshlrev_b32_e32 v44, 1, v1
	s_mul_hi_u32 s10, s11, s10
	s_delay_alu instid0(SALU_CYCLE_1) | instskip(NEXT) | instid1(SALU_CYCLE_1)
	s_add_i32 s11, s11, s10
	s_mul_hi_u32 s10, s14, s11
	s_delay_alu instid0(SALU_CYCLE_1) | instskip(SKIP_2) | instid1(SALU_CYCLE_1)
	s_mul_i32 s11, s10, s15
	s_add_i32 s16, s10, 1
	s_sub_i32 s11, s14, s11
	s_sub_i32 s17, s11, s15
	s_cmp_ge_u32 s11, s15
	s_cselect_b32 s10, s16, s10
	s_cselect_b32 s11, s17, s11
	s_add_i32 s16, s10, 1
	s_cmp_ge_u32 s11, s15
	s_cselect_b32 s11, s16, s10
	s_and_b32 vcc_lo, exec_lo, s3
	s_mul_i32 s10, s11, s15
	s_delay_alu instid0(SALU_CYCLE_1) | instskip(NEXT) | instid1(SALU_CYCLE_1)
	s_sub_i32 s10, s14, s10
	s_lshl_b32 s10, s10, 7
	s_delay_alu instid0(SALU_CYCLE_1) | instskip(NEXT) | instid1(VALU_DEP_1)
	v_add_nc_u32_e32 v0, s10, v8
	v_add_nc_u32_e32 v1, 64, v0
	s_cbranch_vccnz .LBB213_9
; %bb.8:
	v_mad_i64_i32 v[2:3], null, v0, s5, 0
	s_delay_alu instid0(VALU_DEP_2) | instskip(SKIP_1) | instid1(VALU_DEP_1)
	v_mad_i64_i32 v[4:5], null, v1, s5, 0
	v_add_co_u32 v6, s14, s12, v44
	v_add_co_ci_u32_e64 v7, null, s13, 0, s14
	s_delay_alu instid0(VALU_DEP_4) | instskip(NEXT) | instid1(VALU_DEP_4)
	v_lshlrev_b64 v[2:3], 1, v[2:3]
	v_lshlrev_b64 v[4:5], 1, v[4:5]
	s_delay_alu instid0(VALU_DEP_2) | instskip(NEXT) | instid1(VALU_DEP_3)
	v_add_co_u32 v2, vcc_lo, v6, v2
	v_add_co_ci_u32_e32 v3, vcc_lo, v7, v3, vcc_lo
	s_delay_alu instid0(VALU_DEP_3) | instskip(NEXT) | instid1(VALU_DEP_4)
	v_add_co_u32 v4, vcc_lo, v6, v4
	v_add_co_ci_u32_e32 v5, vcc_lo, v7, v5, vcc_lo
	s_clause 0x1
	flat_load_u16 v2, v[2:3]
	flat_load_u16 v3, v[4:5]
	s_waitcnt vmcnt(1) lgkmcnt(1)
	v_mul_f16_e32 v9, v42, v2
	s_waitcnt vmcnt(0) lgkmcnt(0)
	v_mul_f16_e32 v10, v42, v3
	s_branch .LBB213_10
.LBB213_9:
	v_dual_mov_b32 v9, 0 :: v_dual_mov_b32 v10, 0
.LBB213_10:
	s_load_b32 s14, s[0:1], 0x38
	s_lshl_b32 s11, s11, 7
	s_and_b32 vcc_lo, exec_lo, s3
	v_add_nc_u32_e32 v2, s11, v8
	s_delay_alu instid0(VALU_DEP_1)
	v_add_nc_u32_e32 v3, 64, v2
	s_cbranch_vccnz .LBB213_14
; %bb.11:
	s_waitcnt lgkmcnt(0)
	v_mad_i64_i32 v[4:5], null, v2, s14, 0
	s_delay_alu instid0(VALU_DEP_2) | instskip(SKIP_1) | instid1(VALU_DEP_1)
	v_mad_i64_i32 v[6:7], null, v3, s14, 0
	v_add_co_u32 v11, s15, s18, v44
	v_add_co_ci_u32_e64 v12, null, s19, 0, s15
	s_delay_alu instid0(VALU_DEP_4) | instskip(NEXT) | instid1(VALU_DEP_4)
	v_lshlrev_b64 v[4:5], 1, v[4:5]
	v_lshlrev_b64 v[6:7], 1, v[6:7]
	s_delay_alu instid0(VALU_DEP_2) | instskip(NEXT) | instid1(VALU_DEP_3)
	v_add_co_u32 v4, vcc_lo, v11, v4
	v_add_co_ci_u32_e32 v5, vcc_lo, v12, v5, vcc_lo
	s_delay_alu instid0(VALU_DEP_3) | instskip(NEXT) | instid1(VALU_DEP_4)
	v_add_co_u32 v6, vcc_lo, v11, v6
	v_add_co_ci_u32_e32 v7, vcc_lo, v12, v7, vcc_lo
	s_clause 0x1
	flat_load_u16 v4, v[4:5]
	flat_load_u16 v5, v[6:7]
	s_waitcnt vmcnt(1) lgkmcnt(1)
	v_mul_f16_e32 v11, v42, v4
	s_waitcnt vmcnt(0) lgkmcnt(0)
	v_mul_f16_e32 v12, v42, v5
	s_and_b32 vcc_lo, exec_lo, s3
	s_cbranch_vccnz .LBB213_15
.LBB213_12:
	v_mad_i64_i32 v[4:5], null, v0, s5, 0
	v_mad_i64_i32 v[6:7], null, v1, s5, 0
	v_add_co_u32 v13, s15, s12, v44
	s_delay_alu instid0(VALU_DEP_1) | instskip(NEXT) | instid1(VALU_DEP_4)
	v_add_co_ci_u32_e64 v14, null, s13, 0, s15
	v_lshlrev_b64 v[4:5], 1, v[4:5]
	s_delay_alu instid0(VALU_DEP_4) | instskip(NEXT) | instid1(VALU_DEP_2)
	v_lshlrev_b64 v[6:7], 1, v[6:7]
	v_add_co_u32 v4, vcc_lo, v13, v4
	s_delay_alu instid0(VALU_DEP_3) | instskip(NEXT) | instid1(VALU_DEP_3)
	v_add_co_ci_u32_e32 v5, vcc_lo, v14, v5, vcc_lo
	v_add_co_u32 v6, vcc_lo, v13, v6
	s_delay_alu instid0(VALU_DEP_4)
	v_add_co_ci_u32_e32 v7, vcc_lo, v14, v7, vcc_lo
	s_clause 0x1
	flat_load_u16 v4, v[4:5] offset:8
	flat_load_u16 v5, v[6:7] offset:8
	s_waitcnt vmcnt(1) lgkmcnt(0)
	v_mul_f16_e32 v4, v42, v4
	s_waitcnt vmcnt(0)
	v_mul_f16_e32 v5, v42, v5
	s_and_b32 vcc_lo, exec_lo, s3
	s_cbranch_vccnz .LBB213_16
.LBB213_13:
	s_waitcnt lgkmcnt(0)
	v_mad_i64_i32 v[6:7], null, v2, s14, 0
	v_mad_i64_i32 v[13:14], null, v3, s14, 0
	v_add_co_u32 v15, s15, s18, v44
	s_delay_alu instid0(VALU_DEP_1) | instskip(NEXT) | instid1(VALU_DEP_4)
	v_add_co_ci_u32_e64 v16, null, s19, 0, s15
	v_lshlrev_b64 v[6:7], 1, v[6:7]
	s_delay_alu instid0(VALU_DEP_4) | instskip(NEXT) | instid1(VALU_DEP_2)
	v_lshlrev_b64 v[13:14], 1, v[13:14]
	v_add_co_u32 v6, vcc_lo, v15, v6
	s_delay_alu instid0(VALU_DEP_3) | instskip(NEXT) | instid1(VALU_DEP_3)
	v_add_co_ci_u32_e32 v7, vcc_lo, v16, v7, vcc_lo
	v_add_co_u32 v13, vcc_lo, v15, v13
	s_delay_alu instid0(VALU_DEP_4)
	v_add_co_ci_u32_e32 v14, vcc_lo, v16, v14, vcc_lo
	s_clause 0x1
	flat_load_u16 v6, v[6:7] offset:8
	flat_load_u16 v7, v[13:14] offset:8
	s_waitcnt vmcnt(1) lgkmcnt(1)
	v_mul_f16_e32 v6, v42, v6
	s_waitcnt vmcnt(0) lgkmcnt(0)
	v_mul_f16_e32 v7, v42, v7
	s_branch .LBB213_17
.LBB213_14:
	v_dual_mov_b32 v11, 0 :: v_dual_mov_b32 v12, 0
	s_and_b32 vcc_lo, exec_lo, s3
	s_cbranch_vccz .LBB213_12
.LBB213_15:
	v_dual_mov_b32 v4, 0 :: v_dual_mov_b32 v5, 0
	s_and_b32 vcc_lo, exec_lo, s3
	s_cbranch_vccz .LBB213_13
.LBB213_16:
	v_dual_mov_b32 v6, 0 :: v_dual_mov_b32 v7, 0
.LBB213_17:
	v_lshlrev_b32_e32 v43, 3, v41
	v_lshl_or_b32 v45, v8, 3, v44
	v_lshlrev_b32_e32 v87, 3, v40
	s_load_b64 s[8:9], s[8:9], 0x0
	s_load_b32 s15, s[0:1], 0x8
	v_add_nc_u32_e32 v46, 0x800, v43
	ds_store_b16 v45, v9
	ds_store_b16 v45, v10 offset:512
	ds_store_b16 v45, v11 offset:2048
	;; [unrolled: 1-line block ×3, first 2 shown]
	s_waitcnt lgkmcnt(0)
	s_barrier
	buffer_gl0_inv
	ds_load_2addr_b64 v[8:11], v87 offset1:32
	ds_load_2addr_b64 v[12:15], v46 offset1:8
	ds_load_2addr_b64 v[16:19], v87 offset0:64 offset1:96
	ds_load_2addr_b64 v[20:23], v46 offset0:16 offset1:24
	ds_load_2addr_b64 v[24:27], v46 offset0:32 offset1:40
	ds_load_2addr_b64 v[28:31], v46 offset0:48 offset1:56
	ds_load_2addr_b64 v[32:35], v46 offset0:64 offset1:72
	ds_load_2addr_b64 v[36:39], v46 offset0:80 offset1:88
	ds_load_2addr_b64 v[49:52], v46 offset0:96 offset1:104
	s_cmp_lt_i32 s15, 9
	s_waitcnt lgkmcnt(4)
	v_pk_add_f16 v64, v8, v24
	v_pk_add_f16 v47, v8, v12
	;; [unrolled: 1-line block ×10, first 2 shown]
	v_pk_min_f16 v12, 0x7c00, v12 op_sel_hi:[0,1]
	v_pk_add_f16 v81, v9, v13
	v_pk_add_f16 v82, v11, v13
	;; [unrolled: 1-line block ×5, first 2 shown]
	v_pk_min_f16 v14, 0x7c00, v14 op_sel_hi:[0,1]
	v_pk_min_f16 v58, 0x7c00, v58 op_sel_hi:[0,1]
	v_pk_add_f16 v60, v16, v20
	v_pk_add_f16 v20, v18, v20
	;; [unrolled: 1-line block ×6, first 2 shown]
	v_pk_min_f16 v122, v12, v13
	v_pk_add_f16 v12, v9, v21
	v_pk_min_f16 v59, 0x7c00, v59 op_sel_hi:[0,1]
	v_pk_add_f16 v61, v8, v22
	v_pk_add_f16 v62, v10, v22
	v_pk_add_f16 v63, v16, v22
	v_pk_min_f16 v60, 0x7c00, v60 op_sel_hi:[0,1]
	v_pk_min_f16 v20, 0x7c00, v20 op_sel_hi:[0,1]
	v_pk_add_f16 v13, v11, v21
	v_pk_min_f16 v107, v14, v15
	v_pk_add_f16 v14, v17, v21
	v_pk_min_f16 v106, v58, v12
	v_pk_add_f16 v12, v19, v21
	v_pk_min_f16 v61, 0x7c00, v61 op_sel_hi:[0,1]
	v_pk_min_f16 v62, 0x7c00, v62 op_sel_hi:[0,1]
	;; [unrolled: 1-line block ×3, first 2 shown]
	v_pk_add_f16 v22, v18, v22
	v_pk_add_f16 v65, v10, v24
	;; [unrolled: 1-line block ×3, first 2 shown]
	v_pk_min_f16 v105, v59, v13
	v_pk_add_f16 v13, v9, v23
	v_pk_min_f16 v104, v60, v14
	v_pk_add_f16 v14, v11, v23
	;; [unrolled: 2-line block ×3, first 2 shown]
	v_pk_min_f16 v22, 0x7c00, v22 op_sel_hi:[0,1]
	v_pk_min_f16 v64, 0x7c00, v64 op_sel_hi:[0,1]
	;; [unrolled: 1-line block ×4, first 2 shown]
	v_pk_add_f16 v67, v8, v26
	v_pk_add_f16 v68, v10, v26
	;; [unrolled: 1-line block ×4, first 2 shown]
	v_pk_min_f16 v102, v61, v13
	v_pk_min_f16 v101, v62, v14
	;; [unrolled: 1-line block ×3, first 2 shown]
	v_pk_add_f16 v12, v19, v23
	v_pk_add_f16 v13, v9, v25
	;; [unrolled: 1-line block ×4, first 2 shown]
	s_waitcnt lgkmcnt(3)
	v_pk_add_f16 v70, v8, v28
	v_pk_min_f16 v67, 0x7c00, v67 op_sel_hi:[0,1]
	v_pk_min_f16 v68, 0x7c00, v68 op_sel_hi:[0,1]
	;; [unrolled: 1-line block ×4, first 2 shown]
	v_pk_add_f16 v71, v10, v28
	v_pk_add_f16 v72, v16, v28
	;; [unrolled: 1-line block ×4, first 2 shown]
	v_pk_min_f16 v99, v22, v12
	v_pk_min_f16 v98, v64, v13
	;; [unrolled: 1-line block ×4, first 2 shown]
	v_pk_add_f16 v12, v9, v27
	v_pk_add_f16 v13, v11, v27
	;; [unrolled: 1-line block ×4, first 2 shown]
	v_pk_min_f16 v56, 0x7c00, v56 op_sel_hi:[0,1]
	v_pk_min_f16 v57, 0x7c00, v57 op_sel_hi:[0,1]
	v_pk_add_f16 v24, v18, v24
	v_pk_min_f16 v70, 0x7c00, v70 op_sel_hi:[0,1]
	v_pk_add_f16 v74, v10, v30
	v_pk_min_f16 v71, 0x7c00, v71 op_sel_hi:[0,1]
	v_pk_min_f16 v72, 0x7c00, v72 op_sel_hi:[0,1]
	;; [unrolled: 1-line block ×4, first 2 shown]
	v_pk_add_f16 v22, v9, v29
	v_pk_min_f16 v94, v67, v12
	v_pk_min_f16 v93, v68, v13
	;; [unrolled: 1-line block ×4, first 2 shown]
	v_pk_add_f16 v12, v11, v29
	v_pk_add_f16 v13, v17, v29
	;; [unrolled: 1-line block ×4, first 2 shown]
	v_pk_min_f16 v54, 0x7c00, v54 op_sel_hi:[0,1]
	v_pk_min_f16 v24, 0x7c00, v24 op_sel_hi:[0,1]
	;; [unrolled: 1-line block ×3, first 2 shown]
	v_pk_add_f16 v75, v16, v30
	v_pk_add_f16 v30, v18, v30
	v_pk_min_f16 v109, v56, v85
	v_pk_min_f16 v108, v57, v86
	v_pk_add_f16 v23, v19, v25
	v_pk_min_f16 v90, v70, v22
	v_pk_add_f16 v22, v11, v31
	v_pk_min_f16 v89, v71, v12
	v_pk_min_f16 v88, v72, v13
	;; [unrolled: 1-line block ×4, first 2 shown]
	ds_load_2addr_b64 v[12:15], v46 offset0:112 offset1:120
	v_pk_min_f16 v53, 0x7c00, v53 op_sel_hi:[0,1]
	v_pk_min_f16 v55, 0x7c00, v55 op_sel_hi:[0,1]
	s_waitcnt lgkmcnt(3)
	v_pk_add_f16 v76, v8, v32
	v_pk_add_f16 v77, v10, v32
	;; [unrolled: 1-line block ×8, first 2 shown]
	s_waitcnt lgkmcnt(2)
	v_pk_add_f16 v111, v8, v36
	v_pk_min_f16 v123, v54, v83
	v_pk_add_f16 v20, v16, v38
	v_pk_min_f16 v95, v24, v23
	v_pk_min_f16 v83, v74, v22
	v_pk_add_f16 v22, v17, v31
	v_pk_add_f16 v23, v19, v31
	v_pk_min_f16 v46, 0x7c00, v75 op_sel_hi:[0,1]
	v_pk_min_f16 v30, 0x7c00, v30 op_sel_hi:[0,1]
	;; [unrolled: 1-line block ×3, first 2 shown]
	v_pk_min_f16 v124, v53, v82
	v_pk_min_f16 v117, v55, v84
	v_pk_add_f16 v21, v18, v38
	v_pk_add_f16 v24, v9, v33
	;; [unrolled: 1-line block ×11, first 2 shown]
	v_pk_min_f16 v60, 0x7c00, v76 op_sel_hi:[0,1]
	v_pk_min_f16 v61, 0x7c00, v77 op_sel_hi:[0,1]
	;; [unrolled: 1-line block ×6, first 2 shown]
	v_pk_min_f16 v84, v46, v22
	s_waitcnt lgkmcnt(1)
	v_pk_add_f16 v22, v8, v49
	v_pk_min_f16 v82, v30, v23
	v_pk_add_f16 v23, v10, v49
	v_pk_min_f16 v20, 0x7c00, v20 op_sel_hi:[0,1]
	v_pk_min_f16 v125, v47, v81
	v_pk_add_f16 v57, v9, v39
	v_pk_add_f16 v58, v11, v39
	;; [unrolled: 1-line block ×3, first 2 shown]
	v_pk_min_f16 v63, 0x7c00, v79 op_sel_hi:[0,1]
	v_pk_min_f16 v64, 0x7c00, v80 op_sel_hi:[0,1]
	;; [unrolled: 1-line block ×3, first 2 shown]
	v_pk_min_f16 v81, v60, v24
	v_pk_add_f16 v24, v16, v49
	v_pk_min_f16 v21, 0x7c00, v21 op_sel_hi:[0,1]
	v_pk_min_f16 v22, 0x7c00, v22 op_sel_hi:[0,1]
	;; [unrolled: 1-line block ×3, first 2 shown]
	v_pk_min_f16 v79, v61, v25
	v_pk_add_f16 v25, v18, v49
	v_pk_min_f16 v78, v62, v26
	v_pk_add_f16 v26, v8, v51
	;; [unrolled: 2-line block ×3, first 2 shown]
	v_pk_min_f16 v73, v34, v33
	v_pk_min_f16 v72, v66, v35
	v_pk_add_f16 v33, v9, v50
	v_pk_min_f16 v66, v20, v59
	v_pk_add_f16 v20, v11, v50
	v_pk_add_f16 v47, v10, v36
	;; [unrolled: 1-line block ×6, first 2 shown]
	v_pk_min_f16 v24, 0x7c00, v24 op_sel_hi:[0,1]
	v_pk_min_f16 v76, v63, v28
	v_pk_add_f16 v28, v16, v51
	v_pk_min_f16 v75, v64, v29
	v_pk_add_f16 v29, v18, v51
	v_pk_min_f16 v25, 0x7c00, v25 op_sel_hi:[0,1]
	v_pk_min_f16 v26, 0x7c00, v26 op_sel_hi:[0,1]
	;; [unrolled: 1-line block ×3, first 2 shown]
	v_pk_min_f16 v74, v65, v31
	s_waitcnt lgkmcnt(0)
	v_pk_add_f16 v30, v8, v12
	v_pk_add_f16 v31, v10, v12
	;; [unrolled: 1-line block ×6, first 2 shown]
	v_pk_min_f16 v65, v21, v39
	v_pk_min_f16 v64, v22, v33
	v_pk_add_f16 v21, v17, v50
	v_pk_add_f16 v22, v19, v50
	;; [unrolled: 1-line block ×3, first 2 shown]
	v_pk_min_f16 v63, v23, v20
	v_pk_add_f16 v14, v18, v14
	v_pk_add_f16 v18, v9, v52
	;; [unrolled: 1-line block ×6, first 2 shown]
	v_pk_min_f16 v47, 0x7c00, v47 op_sel_hi:[0,1]
	v_pk_min_f16 v53, 0x7c00, v53 op_sel_hi:[0,1]
	;; [unrolled: 1-line block ×12, first 2 shown]
	v_pk_min_f16 v62, v24, v21
	v_pk_min_f16 v61, v25, v22
	v_pk_min_f16 v10, 0x7c00, v10 op_sel_hi:[0,1]
	v_pk_min_f16 v16, 0x7c00, v16 op_sel_hi:[0,1]
	;; [unrolled: 1-line block ×3, first 2 shown]
	v_pk_min_f16 v60, v26, v18
	v_pk_min_f16 v59, v27, v20
	v_pk_add_f16 v18, v17, v52
	v_pk_add_f16 v20, v19, v52
	v_pk_add_f16 v21, v9, v13
	v_pk_add_f16 v22, v11, v13
	v_pk_add_f16 v23, v17, v13
	v_pk_add_f16 v13, v19, v13
	v_pk_add_f16 v9, v9, v15
	v_pk_add_f16 v11, v11, v15
	v_pk_add_f16 v17, v17, v15
	v_pk_add_f16 v15, v19, v15
	v_pk_min_f16 v71, v47, v38
	v_pk_min_f16 v70, v53, v56
	;; [unrolled: 1-line block ×15, first 2 shown]
	ds_store_b16 v45, v4 offset:1024
	ds_store_b16 v45, v5 offset:1536
	;; [unrolled: 1-line block ×4, first 2 shown]
	s_waitcnt lgkmcnt(0)
	s_barrier
	buffer_gl0_inv
	s_cbranch_scc1 .LBB213_31
; %bb.18:
	v_mad_i64_i32 v[4:5], null, s14, v3, 0
	v_mad_i64_i32 v[6:7], null, s14, v2, 0
	;; [unrolled: 1-line block ×3, first 2 shown]
	v_add_nc_u32_e32 v46, 0x800, v45
	v_add_nc_u32_e32 v47, 0x800, v43
	v_lshlrev_b64 v[2:3], 1, v[4:5]
	v_mad_i64_i32 v[4:5], null, s5, v1, 0
	v_lshlrev_b64 v[6:7], 1, v[6:7]
	v_add_nc_u32_e32 v80, 0x400, v45
	v_add_nc_u32_e32 v110, 0xc00, v45
	v_add_co_u32 v113, vcc_lo, s18, v2
	v_add_co_ci_u32_e32 v114, vcc_lo, s19, v3, vcc_lo
	v_lshlrev_b64 v[0:1], 1, v[4:5]
	v_add_co_u32 v115, vcc_lo, s18, v6
	v_lshlrev_b64 v[2:3], 1, v[8:9]
	v_add_co_ci_u32_e32 v116, vcc_lo, s19, v7, vcc_lo
	s_delay_alu instid0(VALU_DEP_4) | instskip(SKIP_1) | instid1(VALU_DEP_4)
	v_add_co_u32 v118, vcc_lo, s12, v0
	v_add_co_ci_u32_e32 v119, vcc_lo, s13, v1, vcc_lo
	v_add_co_u32 v120, vcc_lo, s12, v2
	v_lshl_add_u32 v111, v40, 3, 0x400
	v_lshl_add_u32 v112, v41, 3, 0xc00
	v_add_co_ci_u32_e32 v121, vcc_lo, s13, v3, vcc_lo
	s_add_i32 s5, s15, -8
	s_mov_b32 s12, 0
	s_and_b32 s4, exec_lo, s4
	s_branch .LBB213_21
.LBB213_19:                             ;   in Loop: Header=BB213_21 Depth=1
	v_add_co_u32 v0, vcc_lo, v115, v44
	v_add_co_ci_u32_e32 v1, vcc_lo, 0, v116, vcc_lo
	v_add_co_u32 v76, vcc_lo, v113, v44
	v_add_co_ci_u32_e32 v77, vcc_lo, 0, v114, vcc_lo
	flat_load_u16 v0, v[0:1] offset:24
	flat_load_u16 v1, v[76:77] offset:24
	s_waitcnt vmcnt(1) lgkmcnt(1)
	v_mul_f16_e32 v0, v42, v0
	s_waitcnt vmcnt(0) lgkmcnt(0)
	v_mul_f16_e32 v1, v42, v1
.LBB213_20:                             ;   in Loop: Header=BB213_21 Depth=1
	ds_load_2addr_b64 v[128:131], v87 offset1:32
	ds_load_2addr_b64 v[76:79], v47 offset1:8
	ds_load_2addr_b64 v[132:135], v87 offset0:64 offset1:96
	ds_load_2addr_b64 v[81:84], v47 offset0:16 offset1:24
	ds_load_2addr_b64 v[88:91], v47 offset0:32 offset1:40
	ds_load_2addr_b64 v[136:139], v47 offset0:48 offset1:56
	ds_load_2addr_b64 v[140:143], v47 offset0:64 offset1:72
	ds_load_2addr_b64 v[144:147], v47 offset0:80 offset1:88
	ds_load_2addr_b64 v[148:151], v47 offset0:96 offset1:104
	ds_load_2addr_b64 v[152:155], v47 offset0:112 offset1:120
	v_pk_max_f16 v11, v74, v74
	v_pk_max_f16 v74, v75, v75
	;; [unrolled: 1-line block ×11, first 2 shown]
	s_waitcnt lgkmcnt(8)
	v_pk_add_f16 v75, v128, v76
	v_pk_add_f16 v85, v130, v76
	s_waitcnt lgkmcnt(7)
	v_pk_add_f16 v86, v132, v76
	v_pk_add_f16 v76, v134, v76
	;; [unrolled: 1-line block ×3, first 2 shown]
	v_pk_min_f16 v11, v11, v75
	v_pk_add_f16 v75, v134, v78
	v_pk_add_f16 v93, v130, v78
	;; [unrolled: 1-line block ×3, first 2 shown]
	v_pk_min_f16 v70, v70, v76
	s_waitcnt lgkmcnt(6)
	v_pk_add_f16 v76, v130, v81
	v_pk_min_f16 v67, v67, v75
	v_pk_add_f16 v75, v128, v81
	v_pk_add_f16 v78, v132, v81
	;; [unrolled: 1-line block ×3, first 2 shown]
	v_pk_min_f16 v68, v68, v76
	v_pk_add_f16 v76, v132, v83
	v_pk_min_f16 v61, v61, v75
	v_pk_min_f16 v66, v66, v78
	;; [unrolled: 1-line block ×3, first 2 shown]
	v_pk_add_f16 v75, v130, v83
	v_pk_add_f16 v78, v134, v83
	s_waitcnt lgkmcnt(5)
	v_pk_add_f16 v81, v128, v88
	v_pk_max_f16 v60, v60, v60
	v_pk_min_f16 v64, v64, v76
	v_pk_min_f16 v56, v56, v75
	;; [unrolled: 1-line block ×3, first 2 shown]
	v_pk_add_f16 v75, v132, v88
	v_pk_min_f16 v60, v60, v81
	v_pk_max_f16 v51, v51, v51
	v_pk_add_f16 v76, v134, v88
	v_pk_max_f16 v59, v59, v59
	v_pk_add_f16 v78, v128, v90
	;; [unrolled: 2-line block ×3, first 2 shown]
	v_pk_max_f16 v55, v55, v55
	v_pk_min_f16 v51, v51, v75
	v_pk_min_f16 v59, v59, v76
	v_pk_min_f16 v57, v57, v78
	v_pk_add_f16 v75, v134, v90
	v_pk_min_f16 v55, v55, v81
	v_pk_max_f16 v37, v37, v37
	s_waitcnt lgkmcnt(4)
	v_pk_add_f16 v76, v128, v136
	v_pk_max_f16 v54, v54, v54
	v_pk_add_f16 v78, v130, v136
	v_pk_max_f16 v52, v52, v52
	;; [unrolled: 2-line block ×3, first 2 shown]
	v_pk_min_f16 v37, v37, v75
	v_pk_min_f16 v54, v54, v76
	;; [unrolled: 1-line block ×3, first 2 shown]
	v_pk_add_f16 v75, v128, v138
	v_pk_min_f16 v50, v50, v81
	v_pk_max_f16 v32, v32, v32
	v_pk_add_f16 v76, v130, v138
	v_pk_max_f16 v49, v49, v49
	v_pk_add_f16 v78, v132, v138
	;; [unrolled: 2-line block ×3, first 2 shown]
	v_pk_max_f16 v36, v36, v36
	v_pk_min_f16 v32, v32, v75
	v_pk_min_f16 v49, v49, v76
	;; [unrolled: 1-line block ×3, first 2 shown]
	s_waitcnt lgkmcnt(3)
	v_pk_add_f16 v75, v130, v140
	v_pk_min_f16 v36, v36, v81
	v_pk_max_f16 v27, v27, v27
	v_pk_add_f16 v76, v132, v140
	v_pk_max_f16 v35, v35, v35
	v_pk_add_f16 v78, v134, v140
	;; [unrolled: 2-line block ×3, first 2 shown]
	v_pk_max_f16 v31, v31, v31
	v_pk_min_f16 v27, v27, v75
	v_pk_min_f16 v35, v35, v76
	;; [unrolled: 1-line block ×3, first 2 shown]
	v_pk_add_f16 v75, v132, v142
	v_pk_min_f16 v31, v31, v81
	v_pk_max_f16 v22, v22, v22
	v_pk_add_f16 v76, v134, v142
	v_pk_max_f16 v30, v30, v30
	s_waitcnt lgkmcnt(2)
	v_pk_add_f16 v78, v128, v144
	v_pk_max_f16 v28, v28, v28
	v_pk_add_f16 v81, v130, v144
	v_pk_max_f16 v26, v26, v26
	v_pk_max_f16 v72, v72, v72
	v_pk_min_f16 v22, v22, v75
	v_pk_min_f16 v30, v30, v76
	;; [unrolled: 1-line block ×4, first 2 shown]
	v_pk_add_f16 v75, v134, v144
	v_pk_max_f16 v17, v17, v17
	v_pk_add_f16 v76, v128, v146
	v_pk_max_f16 v25, v25, v25
	;; [unrolled: 2-line block ×4, first 2 shown]
	v_pk_min_f16 v72, v72, v85
	v_pk_add_f16 v85, v128, v83
	v_pk_add_f16 v83, v130, v88
	v_pk_max_f16 v58, v58, v58
	v_pk_min_f16 v17, v17, v75
	v_pk_min_f16 v25, v25, v76
	;; [unrolled: 1-line block ×4, first 2 shown]
	s_waitcnt lgkmcnt(1)
	v_pk_add_f16 v75, v128, v148
	v_pk_max_f16 v12, v12, v12
	v_pk_add_f16 v76, v130, v148
	v_pk_max_f16 v20, v20, v20
	;; [unrolled: 2-line block ×4, first 2 shown]
	v_pk_min_f16 v58, v58, v83
	v_pk_add_f16 v83, v132, v90
	v_pk_max_f16 v53, v53, v53
	v_pk_min_f16 v12, v12, v75
	v_pk_min_f16 v20, v20, v76
	;; [unrolled: 1-line block ×4, first 2 shown]
	v_pk_add_f16 v75, v130, v150
	v_pk_max_f16 v6, v6, v6
	v_pk_add_f16 v76, v132, v150
	v_pk_max_f16 v15, v15, v15
	v_pk_add_f16 v78, v134, v150
	v_pk_max_f16 v13, v13, v13
	s_waitcnt lgkmcnt(0)
	v_pk_add_f16 v81, v128, v152
	v_pk_max_f16 v10, v10, v10
	v_pk_max_f16 v71, v71, v71
	v_pk_min_f16 v53, v53, v83
	v_pk_add_f16 v83, v134, v136
	v_pk_max_f16 v39, v39, v39
	v_pk_min_f16 v6, v6, v75
	v_pk_min_f16 v15, v15, v76
	;; [unrolled: 1-line block ×4, first 2 shown]
	v_pk_add_f16 v75, v132, v152
	v_pk_max_f16 v4, v4, v4
	v_pk_add_f16 v76, v134, v152
	v_pk_max_f16 v9, v9, v9
	v_pk_add_f16 v78, v128, v154
	v_pk_max_f16 v7, v7, v7
	v_pk_add_f16 v81, v130, v154
	v_pk_max_f16 v5, v5, v5
	v_pk_max_f16 v73, v73, v73
	v_pk_min_f16 v71, v71, v86
	v_pk_max_f16 v69, v69, v69
	v_pk_min_f16 v39, v39, v83
	v_pk_add_f16 v83, v128, v140
	v_pk_max_f16 v34, v34, v34
	v_pk_min_f16 v4, v4, v75
	v_pk_min_f16 v9, v9, v76
	;; [unrolled: 1-line block ×4, first 2 shown]
	v_pk_add_f16 v75, v134, v154
	v_pk_max_f16 v2, v2, v2
	v_pk_add_f16 v76, v129, v77
	v_pk_add_f16 v78, v131, v77
	;; [unrolled: 1-line block ×4, first 2 shown]
	v_pk_min_f16 v74, v74, v92
	v_pk_min_f16 v73, v73, v93
	;; [unrolled: 1-line block ×3, first 2 shown]
	v_pk_max_f16 v63, v63, v63
	v_pk_min_f16 v34, v34, v83
	v_pk_add_f16 v83, v130, v142
	v_pk_max_f16 v29, v29, v29
	v_pk_min_f16 v2, v2, v75
	v_pk_min_f16 v125, v11, v76
	;; [unrolled: 1-line block ×5, first 2 shown]
	v_pk_add_f16 v11, v129, v79
	v_pk_add_f16 v70, v131, v79
	;; [unrolled: 1-line block ×5, first 2 shown]
	v_pk_min_f16 v63, v63, v85
	v_pk_min_f16 v29, v29, v83
	v_pk_add_f16 v83, v132, v144
	v_pk_max_f16 v24, v24, v24
	v_pk_min_f16 v117, v74, v11
	v_pk_min_f16 v109, v73, v70
	v_pk_min_f16 v108, v69, v71
	v_pk_min_f16 v107, v67, v72
	v_pk_min_f16 v106, v61, v75
	v_pk_add_f16 v11, v131, v82
	v_pk_add_f16 v61, v133, v82
	v_pk_add_f16 v67, v135, v82
	v_pk_add_f16 v69, v129, v84
	v_pk_add_f16 v70, v131, v84
	v_pk_min_f16 v24, v24, v83
	v_pk_add_f16 v83, v134, v146
	v_pk_max_f16 v19, v19, v19
	v_pk_min_f16 v105, v68, v11
	v_pk_min_f16 v104, v66, v61
	v_pk_min_f16 v103, v65, v67
	v_pk_min_f16 v102, v63, v69
	v_pk_min_f16 v101, v56, v70
	v_pk_add_f16 v11, v133, v84
	v_pk_add_f16 v56, v135, v84
	v_pk_add_f16 v61, v129, v89
	v_pk_add_f16 v63, v131, v89
	v_pk_add_f16 v65, v133, v89
	;; [unrolled: 13-line block ×5, first 2 shown]
	v_pk_min_f16 v3, v3, v83
	v_pk_min_f16 v83, v49, v11
	;; [unrolled: 1-line block ×6, first 2 shown]
	v_pk_add_f16 v11, v133, v141
	v_pk_add_f16 v27, v135, v141
	v_pk_add_f16 v32, v129, v143
	v_pk_add_f16 v34, v131, v143
	v_pk_add_f16 v36, v133, v143
	v_pk_min_f16 v78, v35, v11
	v_pk_min_f16 v77, v33, v27
	v_pk_min_f16 v76, v31, v32
	v_pk_min_f16 v75, v29, v34
	v_pk_min_f16 v74, v22, v36
	v_pk_add_f16 v11, v135, v143
	v_pk_add_f16 v22, v129, v145
	v_pk_add_f16 v27, v131, v145
	v_pk_add_f16 v29, v133, v145
	v_pk_add_f16 v31, v135, v145
	v_pk_min_f16 v73, v30, v11
	v_pk_min_f16 v72, v28, v22
	v_pk_min_f16 v71, v26, v27
	v_pk_min_f16 v70, v24, v29
	v_pk_min_f16 v69, v17, v31
	;; [unrolled: 10-line block ×3, first 2 shown]
	v_pk_add_f16 v11, v131, v149
	v_pk_add_f16 v12, v133, v149
	;; [unrolled: 1-line block ×5, first 2 shown]
	v_add_co_u32 v113, vcc_lo, v113, 16
	v_pk_min_f16 v63, v20, v11
	v_pk_min_f16 v62, v18, v12
	;; [unrolled: 1-line block ×5, first 2 shown]
	v_pk_add_f16 v6, v133, v151
	v_pk_add_f16 v11, v135, v151
	;; [unrolled: 1-line block ×5, first 2 shown]
	v_add_co_ci_u32_e32 v114, vcc_lo, 0, v114, vcc_lo
	v_add_co_u32 v115, vcc_lo, v115, 16
	v_add_co_ci_u32_e32 v116, vcc_lo, 0, v116, vcc_lo
	v_pk_min_f16 v58, v15, v6
	v_pk_min_f16 v57, v13, v11
	;; [unrolled: 1-line block ×5, first 2 shown]
	v_pk_add_f16 v4, v135, v153
	v_pk_add_f16 v6, v129, v155
	;; [unrolled: 1-line block ×5, first 2 shown]
	v_add_co_u32 v118, vcc_lo, v118, 16
	v_add_co_ci_u32_e32 v119, vcc_lo, 0, v119, vcc_lo
	v_add_co_u32 v120, vcc_lo, v120, 16
	v_pk_min_f16 v53, v9, v4
	v_pk_min_f16 v52, v7, v6
	;; [unrolled: 1-line block ×5, first 2 shown]
	v_add_co_ci_u32_e32 v121, vcc_lo, 0, v121, vcc_lo
	s_add_i32 s12, s12, 8
	ds_store_b16 v80, v126
	ds_store_b16 v80, v127 offset:512
	ds_store_b16 v110, v0
	ds_store_b16 v110, v1 offset:512
	s_cmp_ge_i32 s12, s5
	s_waitcnt lgkmcnt(0)
	s_barrier
	buffer_gl0_inv
	s_cbranch_scc1 .LBB213_31
.LBB213_21:                             ; =>This Inner Loop Header: Depth=1
	s_and_b32 vcc_lo, exec_lo, s3
	s_cbranch_vccnz .LBB213_24
; %bb.22:                               ;   in Loop: Header=BB213_21 Depth=1
	v_add_co_u32 v0, vcc_lo, v120, v44
	v_add_co_ci_u32_e32 v1, vcc_lo, 0, v121, vcc_lo
	v_add_co_u32 v2, vcc_lo, v118, v44
	v_add_co_ci_u32_e32 v3, vcc_lo, 0, v119, vcc_lo
	flat_load_u16 v0, v[0:1] offset:16
	flat_load_u16 v1, v[2:3] offset:16
	s_waitcnt vmcnt(1) lgkmcnt(1)
	v_mul_f16_e32 v126, v42, v0
	s_waitcnt vmcnt(0) lgkmcnt(0)
	v_mul_f16_e32 v127, v42, v1
	s_and_b32 vcc_lo, exec_lo, s3
	s_cbranch_vccnz .LBB213_25
.LBB213_23:                             ;   in Loop: Header=BB213_21 Depth=1
	v_add_co_u32 v0, vcc_lo, v115, v44
	v_add_co_ci_u32_e32 v1, vcc_lo, 0, v116, vcc_lo
	v_add_co_u32 v2, vcc_lo, v113, v44
	v_add_co_ci_u32_e32 v3, vcc_lo, 0, v114, vcc_lo
	flat_load_u16 v0, v[0:1] offset:16
	flat_load_u16 v1, v[2:3] offset:16
	s_waitcnt vmcnt(1) lgkmcnt(1)
	v_mul_f16_e64 v128, v42, v0
	s_waitcnt vmcnt(0) lgkmcnt(0)
	v_mul_f16_e64 v129, v42, v1
	s_branch .LBB213_26
.LBB213_24:                             ;   in Loop: Header=BB213_21 Depth=1
	v_dual_mov_b32 v126, 0 :: v_dual_mov_b32 v127, 0
	s_and_b32 vcc_lo, exec_lo, s3
	s_cbranch_vccz .LBB213_23
.LBB213_25:                             ;   in Loop: Header=BB213_21 Depth=1
	v_dual_mov_b32 v128, 0 :: v_dual_mov_b32 v129, 0
.LBB213_26:                             ;   in Loop: Header=BB213_21 Depth=1
	ds_load_2addr_b64 v[4:7], v111 offset1:32
	ds_load_2addr_b64 v[0:3], v111 offset0:64 offset1:96
	ds_load_2addr_b64 v[36:39], v112 offset1:8
	ds_load_2addr_b64 v[32:35], v112 offset0:16 offset1:24
	ds_load_2addr_b64 v[28:31], v112 offset0:32 offset1:40
	;; [unrolled: 1-line block ×7, first 2 shown]
	s_mov_b32 vcc_lo, s4
	ds_store_b16 v45, v126
	ds_store_b16 v45, v127 offset:512
	ds_store_b16 v46, v128
	ds_store_b16 v46, v129 offset:512
	s_waitcnt lgkmcnt(0)
	s_barrier
	buffer_gl0_inv
	s_cbranch_vccz .LBB213_28
; %bb.27:                               ;   in Loop: Header=BB213_21 Depth=1
	v_add_co_u32 v126, vcc_lo, v120, v44
	v_add_co_ci_u32_e32 v127, vcc_lo, 0, v121, vcc_lo
	v_add_co_u32 v128, vcc_lo, v118, v44
	v_add_co_ci_u32_e32 v129, vcc_lo, 0, v119, vcc_lo
	flat_load_u16 v126, v[126:127] offset:24
	flat_load_u16 v127, v[128:129] offset:24
	s_waitcnt vmcnt(1) lgkmcnt(1)
	v_mul_f16_e32 v126, v42, v126
	s_waitcnt vmcnt(0) lgkmcnt(0)
	v_mul_f16_e32 v127, v42, v127
	s_branch .LBB213_29
.LBB213_28:                             ;   in Loop: Header=BB213_21 Depth=1
	v_dual_mov_b32 v126, 0 :: v_dual_mov_b32 v127, 0
.LBB213_29:                             ;   in Loop: Header=BB213_21 Depth=1
	v_pk_add_f16 v128, v4, v36
	v_pk_max_f16 v125, v125, v125
	v_pk_add_f16 v129, v6, v36
	v_pk_max_f16 v124, v124, v124
	;; [unrolled: 2-line block ×3, first 2 shown]
	v_pk_min_f16 v125, v125, v128
	v_pk_add_f16 v36, v2, v36
	v_pk_min_f16 v124, v124, v129
	v_pk_max_f16 v122, v122, v122
	v_pk_min_f16 v123, v123, v130
	v_pk_add_f16 v128, v4, v38
	v_pk_max_f16 v117, v117, v117
	v_pk_add_f16 v129, v6, v38
	v_pk_add_f16 v130, v0, v38
	;; [unrolled: 1-line block ×3, first 2 shown]
	v_pk_max_f16 v107, v107, v107
	v_pk_max_f16 v109, v109, v109
	v_pk_min_f16 v36, v122, v36
	v_pk_min_f16 v117, v117, v128
	v_pk_max_f16 v106, v106, v106
	v_pk_min_f16 v38, v107, v38
	v_pk_add_f16 v107, v4, v32
	v_pk_add_f16 v122, v6, v32
	;; [unrolled: 1-line block ×4, first 2 shown]
	v_pk_max_f16 v103, v103, v103
	v_pk_min_f16 v109, v109, v129
	v_pk_max_f16 v105, v105, v105
	v_pk_max_f16 v104, v104, v104
	v_pk_add_f16 v129, v4, v34
	v_pk_min_f16 v106, v106, v107
	v_pk_min_f16 v32, v103, v32
	v_pk_add_f16 v103, v6, v34
	v_pk_max_f16 v101, v101, v101
	v_pk_add_f16 v107, v0, v34
	v_pk_add_f16 v34, v2, v34
	v_pk_max_f16 v99, v99, v99
	v_pk_min_f16 v105, v105, v122
	v_pk_min_f16 v104, v104, v128
	v_pk_max_f16 v100, v100, v100
	v_pk_add_f16 v122, v4, v28
	v_pk_max_f16 v98, v98, v98
	v_pk_add_f16 v128, v6, v28
	v_pk_min_f16 v101, v101, v103
	v_pk_min_f16 v34, v99, v34
	v_pk_add_f16 v99, v0, v28
	v_pk_max_f16 v96, v96, v96
	v_pk_add_f16 v28, v2, v28
	v_pk_max_f16 v95, v95, v95
	v_pk_add_f16 v103, v4, v30
	v_pk_max_f16 v94, v94, v94
	v_pk_min_f16 v100, v100, v107
	v_pk_min_f16 v98, v98, v122
	v_pk_add_f16 v107, v6, v30
	v_pk_add_f16 v122, v0, v30
	v_pk_min_f16 v96, v96, v99
	v_pk_min_f16 v28, v95, v28
	;; [unrolled: 1-line block ×3, first 2 shown]
	v_pk_add_f16 v30, v2, v30
	v_pk_max_f16 v91, v91, v91
	v_pk_add_f16 v95, v4, v24
	v_pk_max_f16 v90, v90, v90
	v_pk_add_f16 v99, v6, v24
	v_pk_add_f16 v103, v0, v24
	;; [unrolled: 1-line block ×3, first 2 shown]
	v_pk_max_f16 v86, v86, v86
	v_pk_max_f16 v89, v89, v89
	v_pk_min_f16 v30, v91, v30
	v_pk_min_f16 v90, v90, v95
	v_pk_max_f16 v85, v85, v85
	v_pk_min_f16 v24, v86, v24
	v_pk_add_f16 v86, v4, v26
	v_pk_add_f16 v91, v6, v26
	v_pk_max_f16 v83, v83, v83
	v_pk_add_f16 v95, v0, v26
	v_pk_max_f16 v84, v84, v84
	;; [unrolled: 2-line block ×3, first 2 shown]
	v_pk_min_f16 v89, v89, v99
	v_pk_add_f16 v99, v4, v20
	v_pk_min_f16 v85, v85, v86
	v_pk_min_f16 v83, v83, v91
	;; [unrolled: 1-line block ×4, first 2 shown]
	v_pk_add_f16 v82, v6, v20
	v_pk_add_f16 v86, v0, v20
	v_pk_max_f16 v78, v78, v78
	v_pk_add_f16 v20, v2, v20
	v_pk_max_f16 v77, v77, v77
	;; [unrolled: 2-line block ×4, first 2 shown]
	v_pk_max_f16 v81, v81, v81
	v_pk_max_f16 v79, v79, v79
	v_pk_min_f16 v78, v78, v86
	v_pk_min_f16 v20, v77, v20
	;; [unrolled: 1-line block ×4, first 2 shown]
	v_pk_add_f16 v75, v0, v22
	v_pk_add_f16 v22, v2, v22
	v_pk_max_f16 v73, v73, v73
	v_pk_add_f16 v86, v6, v16
	v_pk_max_f16 v71, v71, v71
	;; [unrolled: 2-line block ×3, first 2 shown]
	v_pk_max_f16 v92, v92, v92
	v_pk_min_f16 v81, v81, v99
	v_pk_min_f16 v79, v79, v82
	v_pk_add_f16 v82, v4, v16
	v_pk_min_f16 v99, v73, v22
	v_pk_min_f16 v86, v71, v86
	;; [unrolled: 1-line block ×3, first 2 shown]
	v_pk_add_f16 v16, v2, v16
	v_pk_max_f16 v22, v69, v69
	v_pk_add_f16 v69, v4, v18
	v_pk_add_f16 v70, v6, v18
	v_pk_add_f16 v71, v0, v18
	v_pk_max_f16 v66, v66, v66
	v_pk_add_f16 v18, v2, v18
	v_pk_max_f16 v65, v65, v65
	v_pk_max_f16 v97, v97, v97
	v_pk_max_f16 v93, v93, v93
	v_pk_min_f16 v92, v92, v122
	v_pk_max_f16 v67, v67, v67
	v_pk_min_f16 v16, v22, v16
	v_pk_min_f16 v122, v66, v71
	;; [unrolled: 1-line block ×3, first 2 shown]
	v_pk_add_f16 v22, v4, v12
	v_pk_max_f16 v64, v64, v64
	v_pk_add_f16 v65, v6, v12
	v_pk_add_f16 v66, v0, v12
	;; [unrolled: 1-line block ×3, first 2 shown]
	v_pk_max_f16 v61, v61, v61
	v_pk_min_f16 v97, v97, v128
	v_pk_min_f16 v93, v93, v107
	;; [unrolled: 1-line block ×3, first 2 shown]
	v_pk_add_f16 v67, v4, v14
	v_pk_max_f16 v60, v60, v60
	v_pk_min_f16 v128, v64, v22
	v_pk_min_f16 v131, v61, v12
	v_pk_add_f16 v12, v6, v14
	v_pk_max_f16 v22, v59, v59
	v_pk_min_f16 v132, v60, v67
	v_pk_add_f16 v60, v4, v8
	v_pk_add_f16 v61, v6, v8
	v_pk_max_f16 v108, v108, v108
	v_pk_min_f16 v133, v22, v12
	v_pk_add_f16 v12, v0, v8
	v_pk_add_f16 v8, v2, v8
	v_pk_max_f16 v22, v53, v53
	v_pk_max_f16 v72, v72, v72
	v_pk_add_f16 v59, v0, v14
	v_pk_add_f16 v14, v2, v14
	v_pk_max_f16 v57, v57, v57
	v_pk_add_f16 v4, v4, v10
	v_pk_max_f16 v52, v52, v52
	;; [unrolled: 2-line block ×3, first 2 shown]
	v_pk_min_f16 v139, v22, v8
	v_pk_add_f16 v8, v7, v37
	v_pk_min_f16 v108, v108, v130
	v_pk_max_f16 v88, v88, v88
	v_pk_max_f16 v74, v74, v74
	v_pk_min_f16 v82, v72, v82
	v_pk_max_f16 v68, v68, v68
	v_pk_min_f16 v135, v57, v14
	v_pk_max_f16 v14, v54, v54
	v_pk_add_f16 v0, v0, v10
	v_pk_min_f16 v140, v52, v4
	v_pk_min_f16 v141, v51, v6
	v_pk_add_f16 v2, v2, v10
	v_pk_max_f16 v4, v49, v49
	v_pk_add_f16 v6, v5, v37
	v_pk_add_f16 v10, v1, v37
	v_pk_min_f16 v72, v124, v8
	v_pk_add_f16 v8, v1, v39
	v_pk_max_f16 v102, v102, v102
	v_pk_min_f16 v88, v88, v103
	v_pk_min_f16 v95, v74, v75
	;; [unrolled: 1-line block ×3, first 2 shown]
	v_pk_max_f16 v63, v63, v63
	v_pk_min_f16 v138, v14, v12
	v_pk_add_f16 v12, v3, v37
	v_pk_min_f16 v2, v4, v2
	v_pk_min_f16 v74, v125, v6
	;; [unrolled: 1-line block ×3, first 2 shown]
	v_pk_add_f16 v4, v5, v39
	v_pk_add_f16 v6, v7, v39
	;; [unrolled: 1-line block ×3, first 2 shown]
	v_pk_min_f16 v69, v108, v8
	v_pk_add_f16 v8, v3, v33
	v_pk_min_f16 v102, v102, v129
	v_pk_max_f16 v62, v62, v62
	v_pk_min_f16 v129, v63, v65
	v_pk_max_f16 v56, v56, v56
	v_pk_max_f16 v55, v55, v55
	v_pk_min_f16 v70, v36, v12
	v_pk_add_f16 v12, v5, v33
	v_pk_min_f16 v75, v117, v4
	v_pk_min_f16 v73, v109, v6
	;; [unrolled: 1-line block ×3, first 2 shown]
	v_pk_add_f16 v4, v7, v33
	v_pk_add_f16 v6, v1, v33
	;; [unrolled: 1-line block ×3, first 2 shown]
	v_pk_min_f16 v65, v32, v8
	v_pk_add_f16 v8, v5, v29
	v_pk_min_f16 v130, v62, v66
	v_pk_max_f16 v58, v58, v58
	v_pk_min_f16 v136, v56, v60
	v_pk_min_f16 v137, v55, v61
	;; [unrolled: 1-line block ×3, first 2 shown]
	v_pk_add_f16 v12, v7, v35
	v_pk_min_f16 v68, v105, v4
	v_pk_min_f16 v66, v104, v6
	;; [unrolled: 1-line block ×3, first 2 shown]
	v_pk_add_f16 v4, v1, v35
	v_pk_add_f16 v6, v3, v35
	;; [unrolled: 1-line block ×3, first 2 shown]
	v_pk_min_f16 v60, v98, v8
	v_pk_add_f16 v8, v7, v31
	v_pk_min_f16 v134, v58, v59
	v_pk_max_f16 v50, v50, v50
	v_pk_min_f16 v56, v101, v12
	v_pk_add_f16 v12, v1, v29
	v_pk_min_f16 v64, v100, v4
	v_pk_min_f16 v62, v34, v6
	;; [unrolled: 1-line block ×3, first 2 shown]
	v_pk_add_f16 v4, v3, v29
	v_pk_add_f16 v6, v5, v31
	;; [unrolled: 1-line block ×3, first 2 shown]
	v_pk_min_f16 v55, v93, v8
	v_pk_add_f16 v8, v1, v25
	v_pk_min_f16 v0, v50, v0
	v_pk_min_f16 v51, v96, v12
	v_pk_add_f16 v12, v3, v31
	v_pk_min_f16 v59, v28, v4
	v_pk_min_f16 v57, v94, v6
	v_pk_min_f16 v53, v92, v10
	v_pk_add_f16 v4, v5, v25
	v_pk_add_f16 v6, v7, v25
	v_pk_add_f16 v10, v3, v25
	v_pk_min_f16 v50, v88, v8
	v_pk_add_f16 v8, v3, v27
	v_pk_min_f16 v37, v30, v12
	v_pk_add_f16 v12, v5, v27
	v_pk_min_f16 v54, v90, v4
	v_pk_min_f16 v52, v89, v6
	v_pk_min_f16 v39, v24, v10
	v_pk_add_f16 v4, v7, v27
	v_pk_add_f16 v6, v1, v27
	v_pk_add_f16 v10, v5, v21
	v_pk_min_f16 v36, v26, v8
	v_pk_add_f16 v8, v5, v23
	;; [unrolled: 10-line block ×5, first 2 shown]
	v_pk_min_f16 v17, v16, v12
	v_pk_add_f16 v12, v5, v13
	v_pk_min_f16 v25, v103, v4
	v_pk_min_f16 v23, v107, v6
	;; [unrolled: 1-line block ×3, first 2 shown]
	v_pk_add_f16 v4, v7, v13
	v_pk_add_f16 v6, v1, v13
	;; [unrolled: 1-line block ×4, first 2 shown]
	v_pk_min_f16 v16, v131, v8
	v_pk_add_f16 v8, v3, v15
	v_pk_add_f16 v76, v7, v9
	v_pk_min_f16 v20, v129, v4
	v_pk_min_f16 v18, v130, v6
	;; [unrolled: 1-line block ×4, first 2 shown]
	v_pk_add_f16 v4, v1, v15
	v_pk_add_f16 v10, v5, v9
	;; [unrolled: 1-line block ×3, first 2 shown]
	v_pk_min_f16 v13, v135, v8
	v_pk_min_f16 v8, v137, v76
	v_pk_add_f16 v9, v3, v9
	v_pk_add_f16 v5, v5, v11
	;; [unrolled: 1-line block ×5, first 2 shown]
	v_pk_min_f16 v12, v128, v12
	v_pk_min_f16 v15, v134, v4
	;; [unrolled: 1-line block ×9, first 2 shown]
	s_and_b32 vcc_lo, exec_lo, s3
	s_cbranch_vccz .LBB213_19
; %bb.30:                               ;   in Loop: Header=BB213_21 Depth=1
	v_dual_mov_b32 v0, 0 :: v_dual_mov_b32 v1, 0
	s_branch .LBB213_20
.LBB213_31:
	s_load_b32 s5, s[0:1], 0x58
	v_dual_mov_b32 v41, 0 :: v_dual_add_nc_u32 v80, s11, v41
	ds_load_b64 v[36:37], v87 offset:1024
	ds_load_b64 v[46:47], v43 offset:3072
	v_add_nc_u32_e32 v44, s10, v40
	v_cmp_neq_f16_e64 s3, 0, v48
	v_mov_b32_e32 v40, 0
	s_delay_alu instid0(VALU_DEP_3) | instskip(NEXT) | instid1(VALU_DEP_3)
	v_ashrrev_i32_e32 v45, 31, v44
	s_and_b32 vcc_lo, exec_lo, s3
	s_delay_alu instid0(VALU_DEP_1) | instskip(SKIP_2) | instid1(VALU_DEP_1)
	v_lshlrev_b64 v[38:39], 1, v[44:45]
	s_waitcnt lgkmcnt(0)
	v_mad_i64_i32 v[0:1], null, v80, s5, 0
	v_lshlrev_b64 v[0:1], 1, v[0:1]
	s_delay_alu instid0(VALU_DEP_1) | instskip(NEXT) | instid1(VALU_DEP_1)
	v_add_co_u32 v110, s4, s6, v0
	v_add_co_ci_u32_e64 v111, s4, s7, v1, s4
	s_cbranch_vccz .LBB213_33
; %bb.32:
	s_delay_alu instid0(VALU_DEP_2) | instskip(NEXT) | instid1(VALU_DEP_2)
	v_add_co_u32 v0, vcc_lo, v110, v38
	v_add_co_ci_u32_e32 v1, vcc_lo, v111, v39, vcc_lo
	flat_load_u16 v0, v[0:1]
	s_waitcnt vmcnt(0) lgkmcnt(0)
	v_mul_f16_e32 v41, v48, v0
.LBB213_33:
	s_clause 0x1
	s_load_b32 s4, s[0:1], 0x70
	s_load_b64 s[10:11], s[0:1], 0x78
	v_add_nc_u32_e32 v4, 0x800, v43
	v_pk_add_f16 v5, v36, v46
	v_pk_max_f16 v6, v125, v125
	ds_load_2addr_b64 v[0:3], v87 offset0:160 offset1:192
	ds_load_b64 v[32:33], v87 offset:1792
	ds_load_b64 v[34:35], v43 offset:4032
	ds_load_2addr_b64 v[28:31], v4 offset0:136 offset1:144
	ds_load_2addr_b64 v[24:27], v4 offset0:152 offset1:160
	;; [unrolled: 1-line block ×3, first 2 shown]
	v_pk_add_f16 v43, v37, v47
	v_pk_min_f16 v87, v6, v5
	ds_load_2addr_b64 v[16:19], v4 offset0:184 offset1:192
	ds_load_2addr_b64 v[12:15], v4 offset0:200 offset1:208
	;; [unrolled: 1-line block ×4, first 2 shown]
	v_add_nc_u32_e32 v42, 32, v44
	v_cndmask_b32_e64 v45, 0, 1, s3
	v_pk_min_f16 v114, v87, v43
	s_delay_alu instid0(VALU_DEP_3) | instskip(NEXT) | instid1(VALU_DEP_3)
	v_ashrrev_i32_e32 v43, 31, v42
	v_cmp_ne_u32_e64 s0, 1, v45
	s_delay_alu instid0(VALU_DEP_3)
	v_lshrrev_b32_e32 v45, 16, v114
	s_waitcnt lgkmcnt(0)
	v_mad_i64_i32 v[112:113], null, v80, s4, 0
	s_lshl_b64 s[10:11], s[10:11], 1
	v_lshlrev_b64 v[42:43], 1, v[42:43]
	s_add_u32 s1, s8, s10
	s_addc_u32 s8, s9, s11
	v_min3_f16 v41, v41, v114, v45
	s_delay_alu instid0(VALU_DEP_3) | instskip(NEXT) | instid1(VALU_DEP_1)
	v_lshlrev_b64 v[112:113], 1, v[112:113]
	v_add_co_u32 v87, vcc_lo, s1, v112
	s_delay_alu instid0(VALU_DEP_2) | instskip(NEXT) | instid1(VALU_DEP_2)
	v_add_co_ci_u32_e32 v112, vcc_lo, s8, v113, vcc_lo
	v_add_co_u32 v113, vcc_lo, v87, v38
	s_delay_alu instid0(VALU_DEP_2)
	v_add_co_ci_u32_e32 v114, vcc_lo, v112, v39, vcc_lo
	s_and_not1_b32 vcc_lo, exec_lo, s3
	global_store_b16 v[113:114], v41, off
	s_cbranch_vccnz .LBB213_35
; %bb.34:
	v_add_co_u32 v40, vcc_lo, v110, v42
	v_add_co_ci_u32_e32 v41, vcc_lo, v111, v43, vcc_lo
	flat_load_u16 v40, v[40:41]
	s_waitcnt vmcnt(0) lgkmcnt(0)
	v_mul_f16_e32 v40, v48, v40
.LBB213_35:
	v_pk_add_f16 v41, v0, v46
	v_pk_max_f16 v45, v124, v124
	v_pk_add_f16 v113, v1, v47
	v_add_nc_u32_e32 v114, 64, v44
	v_add_co_u32 v118, vcc_lo, v87, v42
	s_delay_alu instid0(VALU_DEP_4) | instskip(SKIP_2) | instid1(VALU_DEP_2)
	v_pk_min_f16 v41, v45, v41
	v_add_co_ci_u32_e32 v119, vcc_lo, v112, v43, vcc_lo
	s_and_b32 vcc_lo, exec_lo, s0
	v_pk_min_f16 v41, v41, v113
	v_mov_b32_e32 v113, 0
	v_ashrrev_i32_e32 v115, 31, v114
	s_delay_alu instid0(VALU_DEP_3) | instskip(NEXT) | instid1(VALU_DEP_1)
	v_lshrrev_b32_e32 v45, 16, v41
	v_min3_f16 v116, v40, v41, v45
	s_delay_alu instid0(VALU_DEP_3)
	v_lshlrev_b64 v[40:41], 1, v[114:115]
	v_mov_b32_e32 v45, 0
	global_store_b16 v[118:119], v116, off
	s_cbranch_vccnz .LBB213_37
; %bb.36:
	v_add_co_u32 v114, vcc_lo, v110, v40
	v_add_co_ci_u32_e32 v115, vcc_lo, v111, v41, vcc_lo
	flat_load_u16 v45, v[114:115]
	s_waitcnt vmcnt(0) lgkmcnt(0)
	v_mul_f16_e32 v45, v48, v45
.LBB213_37:
	v_pk_add_f16 v114, v2, v46
	v_pk_max_f16 v115, v123, v123
	v_pk_add_f16 v116, v3, v47
	v_add_co_u32 v118, vcc_lo, v87, v40
	v_add_co_ci_u32_e32 v119, vcc_lo, v112, v41, vcc_lo
	s_delay_alu instid0(VALU_DEP_4) | instskip(SKIP_2) | instid1(VALU_DEP_2)
	v_pk_min_f16 v115, v115, v114
	v_add_nc_u32_e32 v114, 0x60, v44
	s_and_b32 vcc_lo, exec_lo, s0
	v_pk_min_f16 v44, v115, v116
	s_delay_alu instid0(VALU_DEP_2) | instskip(NEXT) | instid1(VALU_DEP_2)
	v_ashrrev_i32_e32 v115, 31, v114
	v_lshrrev_b32_e32 v116, 16, v44
	s_delay_alu instid0(VALU_DEP_1) | instskip(NEXT) | instid1(VALU_DEP_3)
	v_min3_f16 v116, v45, v44, v116
	v_lshlrev_b64 v[44:45], 1, v[114:115]
	global_store_b16 v[118:119], v116, off
	s_cbranch_vccnz .LBB213_39
; %bb.38:
	v_add_co_u32 v110, vcc_lo, v110, v44
	v_add_co_ci_u32_e32 v111, vcc_lo, v111, v45, vcc_lo
	flat_load_u16 v110, v[110:111]
	s_waitcnt vmcnt(0) lgkmcnt(0)
	v_mul_f16_e32 v113, v48, v110
.LBB213_39:
	v_add_nc_u32_e32 v110, 8, v80
	v_pk_add_f16 v46, v32, v46
	v_pk_max_f16 v111, v122, v122
	v_pk_add_f16 v47, v33, v47
	s_delay_alu instid0(VALU_DEP_4) | instskip(NEXT) | instid1(VALU_DEP_3)
	v_mad_i64_i32 v[114:115], null, v110, s5, 0
	v_pk_min_f16 v46, v111, v46
	s_delay_alu instid0(VALU_DEP_1) | instskip(NEXT) | instid1(VALU_DEP_3)
	v_pk_min_f16 v111, v46, v47
	v_lshlrev_b64 v[46:47], 1, v[114:115]
	v_add_co_u32 v114, vcc_lo, v87, v44
	v_add_co_ci_u32_e32 v115, vcc_lo, v112, v45, vcc_lo
	s_delay_alu instid0(VALU_DEP_4) | instskip(NEXT) | instid1(VALU_DEP_4)
	v_lshrrev_b32_e32 v87, 16, v111
	v_add_co_u32 v46, vcc_lo, s6, v46
	v_add_co_ci_u32_e32 v47, vcc_lo, s7, v47, vcc_lo
	s_delay_alu instid0(VALU_DEP_3)
	v_min3_f16 v87, v113, v111, v87
	v_dual_mov_b32 v111, 0 :: v_dual_mov_b32 v112, 0
	s_and_b32 vcc_lo, exec_lo, s0
	global_store_b16 v[114:115], v87, off
	s_cbranch_vccnz .LBB213_41
; %bb.40:
	v_add_co_u32 v112, vcc_lo, v46, v38
	v_add_co_ci_u32_e32 v113, vcc_lo, v47, v39, vcc_lo
	flat_load_u16 v87, v[112:113]
	s_waitcnt vmcnt(0) lgkmcnt(0)
	v_mul_f16_e32 v112, v48, v87
.LBB213_41:
	v_pk_add_f16 v87, v36, v28
	v_pk_max_f16 v115, v117, v117
	v_mad_i64_i32 v[113:114], null, v110, s4, 0
	v_pk_add_f16 v110, v37, v29
	s_delay_alu instid0(VALU_DEP_3) | instskip(NEXT) | instid1(VALU_DEP_3)
	v_pk_min_f16 v87, v115, v87
	v_lshlrev_b64 v[113:114], 1, v[113:114]
	s_delay_alu instid0(VALU_DEP_2) | instskip(NEXT) | instid1(VALU_DEP_2)
	v_pk_min_f16 v115, v87, v110
	v_add_co_u32 v87, vcc_lo, s1, v113
	s_delay_alu instid0(VALU_DEP_2) | instskip(NEXT) | instid1(VALU_DEP_4)
	v_lshrrev_b32_e32 v116, 16, v115
	v_add_co_ci_u32_e32 v110, vcc_lo, s8, v114, vcc_lo
	s_delay_alu instid0(VALU_DEP_2) | instskip(NEXT) | instid1(VALU_DEP_4)
	v_min3_f16 v114, v112, v115, v116
	v_add_co_u32 v112, vcc_lo, v87, v38
	s_delay_alu instid0(VALU_DEP_3)
	v_add_co_ci_u32_e32 v113, vcc_lo, v110, v39, vcc_lo
	s_and_b32 vcc_lo, exec_lo, s0
	global_store_b16 v[112:113], v114, off
	s_cbranch_vccnz .LBB213_43
; %bb.42:
	v_add_co_u32 v111, vcc_lo, v46, v42
	v_add_co_ci_u32_e32 v112, vcc_lo, v47, v43, vcc_lo
	flat_load_u16 v111, v[111:112]
	s_waitcnt vmcnt(0) lgkmcnt(0)
	v_mul_f16_e32 v111, v48, v111
.LBB213_43:
	v_pk_add_f16 v112, v0, v28
	v_pk_max_f16 v109, v109, v109
	v_pk_add_f16 v113, v1, v29
	s_delay_alu instid0(VALU_DEP_2) | instskip(SKIP_1) | instid1(VALU_DEP_2)
	v_pk_min_f16 v109, v109, v112
	v_add_co_u32 v112, vcc_lo, v87, v42
	v_pk_min_f16 v109, v109, v113
	v_add_co_ci_u32_e32 v113, vcc_lo, v110, v43, vcc_lo
	s_and_b32 vcc_lo, exec_lo, s0
	s_delay_alu instid0(VALU_DEP_2) | instskip(NEXT) | instid1(VALU_DEP_1)
	v_lshrrev_b32_e32 v114, 16, v109
	v_min3_f16 v114, v111, v109, v114
	v_mov_b32_e32 v109, 0
	v_mov_b32_e32 v111, 0
	global_store_b16 v[112:113], v114, off
	s_cbranch_vccnz .LBB213_45
; %bb.44:
	v_add_co_u32 v111, vcc_lo, v46, v40
	v_add_co_ci_u32_e32 v112, vcc_lo, v47, v41, vcc_lo
	flat_load_u16 v111, v[111:112]
	s_waitcnt vmcnt(0) lgkmcnt(0)
	v_mul_f16_e32 v111, v48, v111
.LBB213_45:
	v_pk_add_f16 v112, v2, v28
	v_pk_max_f16 v108, v108, v108
	v_pk_add_f16 v113, v3, v29
	s_delay_alu instid0(VALU_DEP_2) | instskip(NEXT) | instid1(VALU_DEP_1)
	v_pk_min_f16 v108, v108, v112
	v_pk_min_f16 v108, v108, v113
	s_delay_alu instid0(VALU_DEP_1) | instskip(NEXT) | instid1(VALU_DEP_1)
	v_lshrrev_b32_e32 v112, 16, v108
	v_min3_f16 v108, v111, v108, v112
	v_add_co_u32 v111, vcc_lo, v87, v40
	v_add_co_ci_u32_e32 v112, vcc_lo, v110, v41, vcc_lo
	s_and_b32 vcc_lo, exec_lo, s0
	global_store_b16 v[111:112], v108, off
	s_cbranch_vccnz .LBB213_47
; %bb.46:
	v_add_co_u32 v46, vcc_lo, v46, v44
	v_add_co_ci_u32_e32 v47, vcc_lo, v47, v45, vcc_lo
	flat_load_u16 v46, v[46:47]
	s_waitcnt vmcnt(0) lgkmcnt(0)
	v_mul_f16_e32 v109, v48, v46
.LBB213_47:
	v_pk_add_f16 v28, v32, v28
	v_pk_max_f16 v47, v107, v107
	v_pk_add_f16 v29, v33, v29
	v_add_nc_u32_e32 v46, 16, v80
	v_add_co_u32 v111, vcc_lo, v87, v44
	s_delay_alu instid0(VALU_DEP_4) | instskip(SKIP_1) | instid1(VALU_DEP_2)
	v_pk_min_f16 v28, v47, v28
	v_add_co_ci_u32_e32 v112, vcc_lo, v110, v45, vcc_lo
	v_pk_min_f16 v47, v28, v29
	s_delay_alu instid0(VALU_DEP_1) | instskip(NEXT) | instid1(VALU_DEP_1)
	v_lshrrev_b32_e32 v87, 16, v47
	v_min3_f16 v47, v109, v47, v87
	v_mov_b32_e32 v87, 0
	v_mad_i64_i32 v[107:108], null, v46, s5, 0
	global_store_b16 v[111:112], v47, off
	v_lshlrev_b64 v[28:29], 1, v[107:108]
	v_mov_b32_e32 v107, 0
	s_delay_alu instid0(VALU_DEP_2) | instskip(NEXT) | instid1(VALU_DEP_3)
	v_add_co_u32 v28, vcc_lo, s6, v28
	v_add_co_ci_u32_e32 v29, vcc_lo, s7, v29, vcc_lo
	s_and_b32 vcc_lo, exec_lo, s0
	s_cbranch_vccnz .LBB213_49
; %bb.48:
	s_delay_alu instid0(VALU_DEP_2) | instskip(NEXT) | instid1(VALU_DEP_2)
	v_add_co_u32 v107, vcc_lo, v28, v38
	v_add_co_ci_u32_e32 v108, vcc_lo, v29, v39, vcc_lo
	flat_load_u16 v47, v[107:108]
	s_waitcnt vmcnt(0) lgkmcnt(0)
	v_mul_f16_e32 v107, v48, v47
.LBB213_49:
	v_pk_add_f16 v47, v36, v30
	v_pk_max_f16 v106, v106, v106
	v_mad_i64_i32 v[108:109], null, v46, s4, 0
	v_pk_add_f16 v46, v37, v31
	s_delay_alu instid0(VALU_DEP_3) | instskip(NEXT) | instid1(VALU_DEP_1)
	v_pk_min_f16 v47, v106, v47
	v_pk_min_f16 v106, v47, v46
	s_delay_alu instid0(VALU_DEP_4) | instskip(NEXT) | instid1(VALU_DEP_2)
	v_lshlrev_b64 v[46:47], 1, v[108:109]
	v_lshrrev_b32_e32 v108, 16, v106
	s_delay_alu instid0(VALU_DEP_2) | instskip(NEXT) | instid1(VALU_DEP_3)
	v_add_co_u32 v46, vcc_lo, s1, v46
	v_add_co_ci_u32_e32 v47, vcc_lo, s8, v47, vcc_lo
	s_delay_alu instid0(VALU_DEP_3) | instskip(NEXT) | instid1(VALU_DEP_3)
	v_min3_f16 v108, v107, v106, v108
	v_add_co_u32 v106, vcc_lo, v46, v38
	s_delay_alu instid0(VALU_DEP_3)
	v_add_co_ci_u32_e32 v107, vcc_lo, v47, v39, vcc_lo
	s_and_b32 vcc_lo, exec_lo, s0
	global_store_b16 v[106:107], v108, off
	s_cbranch_vccnz .LBB213_51
; %bb.50:
	v_add_co_u32 v106, vcc_lo, v28, v42
	v_add_co_ci_u32_e32 v107, vcc_lo, v29, v43, vcc_lo
	flat_load_u16 v87, v[106:107]
	s_waitcnt vmcnt(0) lgkmcnt(0)
	v_mul_f16_e32 v87, v48, v87
.LBB213_51:
	v_pk_add_f16 v106, v0, v30
	v_pk_max_f16 v105, v105, v105
	v_pk_add_f16 v107, v1, v31
	s_delay_alu instid0(VALU_DEP_2) | instskip(SKIP_1) | instid1(VALU_DEP_2)
	v_pk_min_f16 v105, v105, v106
	v_add_co_u32 v106, vcc_lo, v46, v42
	v_pk_min_f16 v105, v105, v107
	v_add_co_ci_u32_e32 v107, vcc_lo, v47, v43, vcc_lo
	s_and_b32 vcc_lo, exec_lo, s0
	s_delay_alu instid0(VALU_DEP_2) | instskip(NEXT) | instid1(VALU_DEP_1)
	v_lshrrev_b32_e32 v108, 16, v105
	v_min3_f16 v108, v87, v105, v108
	v_mov_b32_e32 v87, 0
	v_mov_b32_e32 v105, 0
	global_store_b16 v[106:107], v108, off
	s_cbranch_vccnz .LBB213_53
; %bb.52:
	v_add_co_u32 v105, vcc_lo, v28, v40
	v_add_co_ci_u32_e32 v106, vcc_lo, v29, v41, vcc_lo
	flat_load_u16 v105, v[105:106]
	s_waitcnt vmcnt(0) lgkmcnt(0)
	v_mul_f16_e32 v105, v48, v105
.LBB213_53:
	v_pk_add_f16 v106, v2, v30
	v_pk_max_f16 v104, v104, v104
	v_pk_add_f16 v107, v3, v31
	s_delay_alu instid0(VALU_DEP_2) | instskip(NEXT) | instid1(VALU_DEP_1)
	v_pk_min_f16 v104, v104, v106
	v_pk_min_f16 v104, v104, v107
	s_delay_alu instid0(VALU_DEP_1) | instskip(NEXT) | instid1(VALU_DEP_1)
	v_lshrrev_b32_e32 v106, 16, v104
	v_min3_f16 v106, v105, v104, v106
	v_add_co_u32 v104, vcc_lo, v46, v40
	v_add_co_ci_u32_e32 v105, vcc_lo, v47, v41, vcc_lo
	s_and_b32 vcc_lo, exec_lo, s0
	global_store_b16 v[104:105], v106, off
	s_cbranch_vccnz .LBB213_55
; %bb.54:
	v_add_co_u32 v28, vcc_lo, v28, v44
	v_add_co_ci_u32_e32 v29, vcc_lo, v29, v45, vcc_lo
	flat_load_u16 v28, v[28:29]
	s_waitcnt vmcnt(0) lgkmcnt(0)
	v_mul_f16_e32 v87, v48, v28
.LBB213_55:
	v_pk_add_f16 v30, v32, v30
	v_pk_max_f16 v103, v103, v103
	v_pk_add_f16 v31, v33, v31
	v_add_nc_u32_e32 v104, 24, v80
	s_delay_alu instid0(VALU_DEP_3) | instskip(NEXT) | instid1(VALU_DEP_1)
	v_pk_min_f16 v30, v103, v30
	v_pk_min_f16 v103, v30, v31
	v_add_co_u32 v30, vcc_lo, v46, v44
	v_add_co_ci_u32_e32 v31, vcc_lo, v47, v45, vcc_lo
	v_mov_b32_e32 v47, 0
	v_mad_i64_i32 v[28:29], null, v104, s5, 0
	v_lshrrev_b32_e32 v46, 16, v103
	s_delay_alu instid0(VALU_DEP_1) | instskip(NEXT) | instid1(VALU_DEP_3)
	v_min3_f16 v87, v87, v103, v46
	v_lshlrev_b64 v[28:29], 1, v[28:29]
	v_mov_b32_e32 v46, 0
	global_store_b16 v[30:31], v87, off
	v_add_co_u32 v28, vcc_lo, s6, v28
	v_add_co_ci_u32_e32 v29, vcc_lo, s7, v29, vcc_lo
	s_and_b32 vcc_lo, exec_lo, s0
	s_cbranch_vccnz .LBB213_57
; %bb.56:
	s_delay_alu instid0(VALU_DEP_2) | instskip(NEXT) | instid1(VALU_DEP_2)
	v_add_co_u32 v30, vcc_lo, v28, v38
	v_add_co_ci_u32_e32 v31, vcc_lo, v29, v39, vcc_lo
	flat_load_u16 v30, v[30:31]
	s_waitcnt vmcnt(0) lgkmcnt(0)
	v_mul_f16_e32 v47, v48, v30
.LBB213_57:
	v_pk_add_f16 v87, v36, v24
	v_pk_max_f16 v102, v102, v102
	v_mad_i64_i32 v[30:31], null, v104, s4, 0
	v_pk_add_f16 v103, v37, v25
	s_delay_alu instid0(VALU_DEP_3) | instskip(NEXT) | instid1(VALU_DEP_3)
	v_pk_min_f16 v87, v102, v87
	v_lshlrev_b64 v[30:31], 1, v[30:31]
	s_delay_alu instid0(VALU_DEP_2) | instskip(NEXT) | instid1(VALU_DEP_2)
	v_pk_min_f16 v87, v87, v103
	v_add_co_u32 v30, vcc_lo, s1, v30
	s_delay_alu instid0(VALU_DEP_2) | instskip(NEXT) | instid1(VALU_DEP_4)
	v_lshrrev_b32_e32 v102, 16, v87
	v_add_co_ci_u32_e32 v31, vcc_lo, s8, v31, vcc_lo
	s_delay_alu instid0(VALU_DEP_2) | instskip(NEXT) | instid1(VALU_DEP_4)
	v_min3_f16 v47, v47, v87, v102
	v_add_co_u32 v102, vcc_lo, v30, v38
	s_delay_alu instid0(VALU_DEP_3)
	v_add_co_ci_u32_e32 v103, vcc_lo, v31, v39, vcc_lo
	s_and_b32 vcc_lo, exec_lo, s0
	global_store_b16 v[102:103], v47, off
	s_cbranch_vccnz .LBB213_59
; %bb.58:
	v_add_co_u32 v46, vcc_lo, v28, v42
	v_add_co_ci_u32_e32 v47, vcc_lo, v29, v43, vcc_lo
	flat_load_u16 v46, v[46:47]
	s_waitcnt vmcnt(0) lgkmcnt(0)
	v_mul_f16_e32 v46, v48, v46
.LBB213_59:
	v_pk_add_f16 v47, v0, v24
	v_pk_max_f16 v87, v101, v101
	v_pk_add_f16 v101, v1, v25
	s_delay_alu instid0(VALU_DEP_2) | instskip(NEXT) | instid1(VALU_DEP_1)
	v_pk_min_f16 v47, v87, v47
	v_pk_min_f16 v47, v47, v101
	v_add_co_u32 v101, vcc_lo, v30, v42
	v_add_co_ci_u32_e32 v102, vcc_lo, v31, v43, vcc_lo
	s_delay_alu instid0(VALU_DEP_3) | instskip(SKIP_1) | instid1(VALU_DEP_1)
	v_lshrrev_b32_e32 v87, 16, v47
	s_and_b32 vcc_lo, exec_lo, s0
	v_min3_f16 v87, v46, v47, v87
	v_dual_mov_b32 v46, 0 :: v_dual_mov_b32 v47, 0
	global_store_b16 v[101:102], v87, off
	s_cbranch_vccnz .LBB213_61
; %bb.60:
	v_add_co_u32 v101, vcc_lo, v28, v40
	v_add_co_ci_u32_e32 v102, vcc_lo, v29, v41, vcc_lo
	flat_load_u16 v47, v[101:102]
	s_waitcnt vmcnt(0) lgkmcnt(0)
	v_mul_f16_e32 v47, v48, v47
.LBB213_61:
	v_pk_add_f16 v87, v2, v24
	v_pk_max_f16 v100, v100, v100
	v_pk_add_f16 v101, v3, v25
	s_delay_alu instid0(VALU_DEP_2) | instskip(NEXT) | instid1(VALU_DEP_1)
	v_pk_min_f16 v87, v100, v87
	v_pk_min_f16 v87, v87, v101
	s_delay_alu instid0(VALU_DEP_1) | instskip(NEXT) | instid1(VALU_DEP_1)
	v_lshrrev_b32_e32 v100, 16, v87
	v_min3_f16 v47, v47, v87, v100
	v_add_co_u32 v100, vcc_lo, v30, v40
	v_add_co_ci_u32_e32 v101, vcc_lo, v31, v41, vcc_lo
	s_and_b32 vcc_lo, exec_lo, s0
	global_store_b16 v[100:101], v47, off
	s_cbranch_vccnz .LBB213_63
; %bb.62:
	v_add_co_u32 v28, vcc_lo, v28, v44
	v_add_co_ci_u32_e32 v29, vcc_lo, v29, v45, vcc_lo
	flat_load_u16 v28, v[28:29]
	s_waitcnt vmcnt(0) lgkmcnt(0)
	v_mul_f16_e32 v46, v48, v28
.LBB213_63:
	v_add_nc_u32_e32 v28, 32, v80
	v_pk_add_f16 v24, v32, v24
	v_pk_max_f16 v29, v99, v99
	v_pk_add_f16 v25, v33, v25
	s_delay_alu instid0(VALU_DEP_4) | instskip(NEXT) | instid1(VALU_DEP_3)
	v_mad_i64_i32 v[99:100], null, v28, s5, 0
	v_pk_min_f16 v24, v29, v24
	s_delay_alu instid0(VALU_DEP_1) | instskip(NEXT) | instid1(VALU_DEP_3)
	v_pk_min_f16 v29, v24, v25
	v_lshlrev_b64 v[24:25], 1, v[99:100]
	v_add_co_u32 v99, vcc_lo, v30, v44
	v_add_co_ci_u32_e32 v100, vcc_lo, v31, v45, vcc_lo
	v_mov_b32_e32 v31, 0
	v_lshrrev_b32_e32 v30, 16, v29
	v_add_co_u32 v24, vcc_lo, s6, v24
	v_add_co_ci_u32_e32 v25, vcc_lo, s7, v25, vcc_lo
	s_delay_alu instid0(VALU_DEP_3)
	v_min3_f16 v29, v46, v29, v30
	v_mov_b32_e32 v30, 0
	s_and_b32 vcc_lo, exec_lo, s0
	global_store_b16 v[99:100], v29, off
	s_cbranch_vccnz .LBB213_65
; %bb.64:
	v_add_co_u32 v46, vcc_lo, v24, v38
	v_add_co_ci_u32_e32 v47, vcc_lo, v25, v39, vcc_lo
	flat_load_u16 v29, v[46:47]
	s_waitcnt vmcnt(0) lgkmcnt(0)
	v_mul_f16_e32 v31, v48, v29
.LBB213_65:
	v_pk_add_f16 v29, v36, v26
	v_pk_max_f16 v87, v98, v98
	v_mad_i64_i32 v[46:47], null, v28, s4, 0
	v_pk_add_f16 v28, v37, v27
	s_delay_alu instid0(VALU_DEP_3) | instskip(NEXT) | instid1(VALU_DEP_1)
	v_pk_min_f16 v29, v87, v29
	v_pk_min_f16 v87, v29, v28
	s_delay_alu instid0(VALU_DEP_4) | instskip(NEXT) | instid1(VALU_DEP_2)
	v_lshlrev_b64 v[28:29], 1, v[46:47]
	v_lshrrev_b32_e32 v46, 16, v87
	s_delay_alu instid0(VALU_DEP_2) | instskip(NEXT) | instid1(VALU_DEP_3)
	v_add_co_u32 v28, vcc_lo, s1, v28
	v_add_co_ci_u32_e32 v29, vcc_lo, s8, v29, vcc_lo
	s_delay_alu instid0(VALU_DEP_3) | instskip(NEXT) | instid1(VALU_DEP_3)
	v_min3_f16 v31, v31, v87, v46
	v_add_co_u32 v46, vcc_lo, v28, v38
	s_delay_alu instid0(VALU_DEP_3)
	v_add_co_ci_u32_e32 v47, vcc_lo, v29, v39, vcc_lo
	s_and_b32 vcc_lo, exec_lo, s0
	global_store_b16 v[46:47], v31, off
	s_cbranch_vccnz .LBB213_67
; %bb.66:
	v_add_co_u32 v30, vcc_lo, v24, v42
	v_add_co_ci_u32_e32 v31, vcc_lo, v25, v43, vcc_lo
	flat_load_u16 v30, v[30:31]
	s_waitcnt vmcnt(0) lgkmcnt(0)
	v_mul_f16_e32 v30, v48, v30
.LBB213_67:
	v_pk_add_f16 v31, v0, v26
	v_pk_max_f16 v46, v97, v97
	v_pk_add_f16 v47, v1, v27
	s_delay_alu instid0(VALU_DEP_2) | instskip(SKIP_1) | instid1(VALU_DEP_2)
	v_pk_min_f16 v31, v46, v31
	v_add_co_u32 v46, vcc_lo, v28, v42
	v_pk_min_f16 v31, v31, v47
	v_add_co_ci_u32_e32 v47, vcc_lo, v29, v43, vcc_lo
	s_and_b32 vcc_lo, exec_lo, s0
	s_delay_alu instid0(VALU_DEP_2) | instskip(NEXT) | instid1(VALU_DEP_1)
	v_lshrrev_b32_e32 v87, 16, v31
	v_min3_f16 v87, v30, v31, v87
	v_dual_mov_b32 v30, 0 :: v_dual_mov_b32 v31, 0
	global_store_b16 v[46:47], v87, off
	s_cbranch_vccnz .LBB213_69
; %bb.68:
	v_add_co_u32 v46, vcc_lo, v24, v40
	v_add_co_ci_u32_e32 v47, vcc_lo, v25, v41, vcc_lo
	flat_load_u16 v31, v[46:47]
	s_waitcnt vmcnt(0) lgkmcnt(0)
	v_mul_f16_e32 v31, v48, v31
.LBB213_69:
	v_pk_add_f16 v46, v2, v26
	v_pk_max_f16 v47, v96, v96
	v_pk_add_f16 v87, v3, v27
	s_delay_alu instid0(VALU_DEP_2) | instskip(NEXT) | instid1(VALU_DEP_1)
	v_pk_min_f16 v46, v47, v46
	v_pk_min_f16 v46, v46, v87
	s_delay_alu instid0(VALU_DEP_1) | instskip(NEXT) | instid1(VALU_DEP_1)
	v_lshrrev_b32_e32 v47, 16, v46
	v_min3_f16 v31, v31, v46, v47
	v_add_co_u32 v46, vcc_lo, v28, v40
	v_add_co_ci_u32_e32 v47, vcc_lo, v29, v41, vcc_lo
	s_and_b32 vcc_lo, exec_lo, s0
	global_store_b16 v[46:47], v31, off
	s_cbranch_vccnz .LBB213_71
; %bb.70:
	v_add_co_u32 v24, vcc_lo, v24, v44
	v_add_co_ci_u32_e32 v25, vcc_lo, v25, v45, vcc_lo
	flat_load_u16 v24, v[24:25]
	s_waitcnt vmcnt(0) lgkmcnt(0)
	v_mul_f16_e32 v30, v48, v24
.LBB213_71:
	v_pk_add_f16 v26, v32, v26
	v_pk_max_f16 v46, v95, v95
	v_pk_add_f16 v27, v33, v27
	v_add_nc_u32_e32 v31, 40, v80
	s_delay_alu instid0(VALU_DEP_3) | instskip(NEXT) | instid1(VALU_DEP_1)
	v_pk_min_f16 v26, v46, v26
	v_pk_min_f16 v46, v26, v27
	v_add_co_u32 v26, vcc_lo, v28, v44
	v_add_co_ci_u32_e32 v27, vcc_lo, v29, v45, vcc_lo
	s_delay_alu instid0(VALU_DEP_3) | instskip(SKIP_1) | instid1(VALU_DEP_2)
	v_lshrrev_b32_e32 v28, 16, v46
	v_mov_b32_e32 v29, 0
	v_min3_f16 v30, v30, v46, v28
	v_mov_b32_e32 v28, 0
	v_mad_i64_i32 v[24:25], null, v31, s5, 0
	global_store_b16 v[26:27], v30, off
	v_lshlrev_b64 v[24:25], 1, v[24:25]
	s_delay_alu instid0(VALU_DEP_1) | instskip(NEXT) | instid1(VALU_DEP_2)
	v_add_co_u32 v24, vcc_lo, s6, v24
	v_add_co_ci_u32_e32 v25, vcc_lo, s7, v25, vcc_lo
	s_and_b32 vcc_lo, exec_lo, s0
	s_cbranch_vccnz .LBB213_73
; %bb.72:
	s_delay_alu instid0(VALU_DEP_2) | instskip(NEXT) | instid1(VALU_DEP_2)
	v_add_co_u32 v26, vcc_lo, v24, v38
	v_add_co_ci_u32_e32 v27, vcc_lo, v25, v39, vcc_lo
	flat_load_u16 v26, v[26:27]
	s_waitcnt vmcnt(0) lgkmcnt(0)
	v_mul_f16_e32 v29, v48, v26
.LBB213_73:
	v_pk_add_f16 v30, v36, v20
	v_pk_max_f16 v46, v94, v94
	v_mad_i64_i32 v[26:27], null, v31, s4, 0
	v_pk_add_f16 v31, v37, v21
	s_delay_alu instid0(VALU_DEP_3) | instskip(NEXT) | instid1(VALU_DEP_3)
	v_pk_min_f16 v30, v46, v30
	v_lshlrev_b64 v[26:27], 1, v[26:27]
	s_delay_alu instid0(VALU_DEP_2) | instskip(NEXT) | instid1(VALU_DEP_2)
	v_pk_min_f16 v30, v30, v31
	v_add_co_u32 v26, vcc_lo, s1, v26
	s_delay_alu instid0(VALU_DEP_2) | instskip(NEXT) | instid1(VALU_DEP_4)
	v_lshrrev_b32_e32 v31, 16, v30
	v_add_co_ci_u32_e32 v27, vcc_lo, s8, v27, vcc_lo
	s_delay_alu instid0(VALU_DEP_2) | instskip(NEXT) | instid1(VALU_DEP_4)
	v_min3_f16 v31, v29, v30, v31
	v_add_co_u32 v29, vcc_lo, v26, v38
	s_delay_alu instid0(VALU_DEP_3)
	v_add_co_ci_u32_e32 v30, vcc_lo, v27, v39, vcc_lo
	s_and_b32 vcc_lo, exec_lo, s0
	global_store_b16 v[29:30], v31, off
	s_cbranch_vccnz .LBB213_75
; %bb.74:
	v_add_co_u32 v28, vcc_lo, v24, v42
	v_add_co_ci_u32_e32 v29, vcc_lo, v25, v43, vcc_lo
	flat_load_u16 v28, v[28:29]
	s_waitcnt vmcnt(0) lgkmcnt(0)
	v_mul_f16_e32 v28, v48, v28
.LBB213_75:
	v_pk_add_f16 v29, v0, v20
	v_pk_max_f16 v30, v93, v93
	v_pk_add_f16 v31, v1, v21
	s_delay_alu instid0(VALU_DEP_2) | instskip(SKIP_1) | instid1(VALU_DEP_2)
	v_pk_min_f16 v29, v30, v29
	v_add_co_u32 v30, vcc_lo, v26, v42
	v_pk_min_f16 v29, v29, v31
	v_add_co_ci_u32_e32 v31, vcc_lo, v27, v43, vcc_lo
	s_and_b32 vcc_lo, exec_lo, s0
	s_delay_alu instid0(VALU_DEP_2) | instskip(NEXT) | instid1(VALU_DEP_1)
	v_lshrrev_b32_e32 v46, 16, v29
	v_min3_f16 v46, v28, v29, v46
	v_dual_mov_b32 v28, 0 :: v_dual_mov_b32 v29, 0
	global_store_b16 v[30:31], v46, off
	s_cbranch_vccnz .LBB213_77
; %bb.76:
	v_add_co_u32 v29, vcc_lo, v24, v40
	v_add_co_ci_u32_e32 v30, vcc_lo, v25, v41, vcc_lo
	flat_load_u16 v29, v[29:30]
	s_waitcnt vmcnt(0) lgkmcnt(0)
	v_mul_f16_e32 v29, v48, v29
.LBB213_77:
	v_pk_add_f16 v30, v2, v20
	v_pk_max_f16 v31, v92, v92
	v_pk_add_f16 v46, v3, v21
	s_delay_alu instid0(VALU_DEP_2) | instskip(NEXT) | instid1(VALU_DEP_1)
	v_pk_min_f16 v30, v31, v30
	v_pk_min_f16 v30, v30, v46
	s_delay_alu instid0(VALU_DEP_1) | instskip(NEXT) | instid1(VALU_DEP_1)
	v_lshrrev_b32_e32 v31, 16, v30
	v_min3_f16 v31, v29, v30, v31
	v_add_co_u32 v29, vcc_lo, v26, v40
	v_add_co_ci_u32_e32 v30, vcc_lo, v27, v41, vcc_lo
	s_and_b32 vcc_lo, exec_lo, s0
	global_store_b16 v[29:30], v31, off
	s_cbranch_vccnz .LBB213_79
; %bb.78:
	v_add_co_u32 v24, vcc_lo, v24, v44
	v_add_co_ci_u32_e32 v25, vcc_lo, v25, v45, vcc_lo
	flat_load_u16 v24, v[24:25]
	s_waitcnt vmcnt(0) lgkmcnt(0)
	v_mul_f16_e32 v28, v48, v24
.LBB213_79:
	v_add_nc_u32_e32 v24, 48, v80
	v_pk_add_f16 v20, v32, v20
	v_pk_max_f16 v25, v91, v91
	v_pk_add_f16 v21, v33, v21
	s_delay_alu instid0(VALU_DEP_4) | instskip(NEXT) | instid1(VALU_DEP_3)
	v_mad_i64_i32 v[29:30], null, v24, s5, 0
	v_pk_min_f16 v20, v25, v20
	s_delay_alu instid0(VALU_DEP_1) | instskip(NEXT) | instid1(VALU_DEP_3)
	v_pk_min_f16 v25, v20, v21
	v_lshlrev_b64 v[20:21], 1, v[29:30]
	v_add_co_u32 v29, vcc_lo, v26, v44
	v_add_co_ci_u32_e32 v30, vcc_lo, v27, v45, vcc_lo
	v_mov_b32_e32 v27, 0
	v_lshrrev_b32_e32 v26, 16, v25
	v_add_co_u32 v20, vcc_lo, s6, v20
	v_add_co_ci_u32_e32 v21, vcc_lo, s7, v21, vcc_lo
	s_delay_alu instid0(VALU_DEP_3)
	v_min3_f16 v25, v28, v25, v26
	v_mov_b32_e32 v26, 0
	s_and_b32 vcc_lo, exec_lo, s0
	global_store_b16 v[29:30], v25, off
	s_cbranch_vccnz .LBB213_81
; %bb.80:
	v_add_co_u32 v27, vcc_lo, v20, v38
	v_add_co_ci_u32_e32 v28, vcc_lo, v21, v39, vcc_lo
	flat_load_u16 v25, v[27:28]
	s_waitcnt vmcnt(0) lgkmcnt(0)
	v_mul_f16_e32 v27, v48, v25
.LBB213_81:
	v_pk_add_f16 v25, v36, v22
	v_pk_max_f16 v30, v90, v90
	v_mad_i64_i32 v[28:29], null, v24, s4, 0
	v_pk_add_f16 v24, v37, v23
	s_delay_alu instid0(VALU_DEP_3) | instskip(NEXT) | instid1(VALU_DEP_1)
	v_pk_min_f16 v25, v30, v25
	v_pk_min_f16 v30, v25, v24
	s_delay_alu instid0(VALU_DEP_4) | instskip(NEXT) | instid1(VALU_DEP_2)
	v_lshlrev_b64 v[24:25], 1, v[28:29]
	v_lshrrev_b32_e32 v28, 16, v30
	s_delay_alu instid0(VALU_DEP_2) | instskip(NEXT) | instid1(VALU_DEP_3)
	v_add_co_u32 v24, vcc_lo, s1, v24
	v_add_co_ci_u32_e32 v25, vcc_lo, s8, v25, vcc_lo
	s_delay_alu instid0(VALU_DEP_3) | instskip(NEXT) | instid1(VALU_DEP_3)
	v_min3_f16 v29, v27, v30, v28
	v_add_co_u32 v27, vcc_lo, v24, v38
	s_delay_alu instid0(VALU_DEP_3)
	v_add_co_ci_u32_e32 v28, vcc_lo, v25, v39, vcc_lo
	s_and_b32 vcc_lo, exec_lo, s0
	global_store_b16 v[27:28], v29, off
	s_cbranch_vccnz .LBB213_83
; %bb.82:
	v_add_co_u32 v26, vcc_lo, v20, v42
	v_add_co_ci_u32_e32 v27, vcc_lo, v21, v43, vcc_lo
	flat_load_u16 v26, v[26:27]
	s_waitcnt vmcnt(0) lgkmcnt(0)
	v_mul_f16_e32 v26, v48, v26
.LBB213_83:
	v_pk_add_f16 v27, v0, v22
	v_pk_max_f16 v28, v89, v89
	v_pk_add_f16 v29, v1, v23
	s_delay_alu instid0(VALU_DEP_2) | instskip(SKIP_1) | instid1(VALU_DEP_2)
	v_pk_min_f16 v27, v28, v27
	v_add_co_u32 v28, vcc_lo, v24, v42
	v_pk_min_f16 v27, v27, v29
	v_add_co_ci_u32_e32 v29, vcc_lo, v25, v43, vcc_lo
	s_and_b32 vcc_lo, exec_lo, s0
	s_delay_alu instid0(VALU_DEP_2) | instskip(NEXT) | instid1(VALU_DEP_1)
	v_lshrrev_b32_e32 v30, 16, v27
	v_min3_f16 v30, v26, v27, v30
	v_dual_mov_b32 v26, 0 :: v_dual_mov_b32 v27, 0
	global_store_b16 v[28:29], v30, off
	s_cbranch_vccnz .LBB213_85
; %bb.84:
	v_add_co_u32 v27, vcc_lo, v20, v40
	v_add_co_ci_u32_e32 v28, vcc_lo, v21, v41, vcc_lo
	flat_load_u16 v27, v[27:28]
	s_waitcnt vmcnt(0) lgkmcnt(0)
	v_mul_f16_e32 v27, v48, v27
.LBB213_85:
	v_pk_add_f16 v28, v2, v22
	v_pk_max_f16 v29, v88, v88
	v_pk_add_f16 v30, v3, v23
	s_delay_alu instid0(VALU_DEP_2) | instskip(NEXT) | instid1(VALU_DEP_1)
	v_pk_min_f16 v28, v29, v28
	v_pk_min_f16 v28, v28, v30
	s_delay_alu instid0(VALU_DEP_1) | instskip(NEXT) | instid1(VALU_DEP_1)
	v_lshrrev_b32_e32 v29, 16, v28
	v_min3_f16 v29, v27, v28, v29
	v_add_co_u32 v27, vcc_lo, v24, v40
	v_add_co_ci_u32_e32 v28, vcc_lo, v25, v41, vcc_lo
	s_and_b32 vcc_lo, exec_lo, s0
	global_store_b16 v[27:28], v29, off
	s_cbranch_vccnz .LBB213_87
; %bb.86:
	v_add_co_u32 v20, vcc_lo, v20, v44
	v_add_co_ci_u32_e32 v21, vcc_lo, v21, v45, vcc_lo
	flat_load_u16 v20, v[20:21]
	s_waitcnt vmcnt(0) lgkmcnt(0)
	v_mul_f16_e32 v26, v48, v20
.LBB213_87:
	v_pk_add_f16 v22, v32, v22
	v_pk_max_f16 v28, v86, v86
	v_pk_add_f16 v23, v33, v23
	v_add_nc_u32_e32 v27, 56, v80
	s_delay_alu instid0(VALU_DEP_3) | instskip(NEXT) | instid1(VALU_DEP_1)
	v_pk_min_f16 v22, v28, v22
	v_pk_min_f16 v28, v22, v23
	v_add_co_u32 v22, vcc_lo, v24, v44
	v_add_co_ci_u32_e32 v23, vcc_lo, v25, v45, vcc_lo
	s_delay_alu instid0(VALU_DEP_3) | instskip(SKIP_1) | instid1(VALU_DEP_2)
	v_lshrrev_b32_e32 v24, 16, v28
	v_mov_b32_e32 v25, 0
	v_min3_f16 v26, v26, v28, v24
	v_mov_b32_e32 v24, 0
	v_mad_i64_i32 v[20:21], null, v27, s5, 0
	global_store_b16 v[22:23], v26, off
	v_lshlrev_b64 v[20:21], 1, v[20:21]
	s_delay_alu instid0(VALU_DEP_1) | instskip(NEXT) | instid1(VALU_DEP_2)
	v_add_co_u32 v20, vcc_lo, s6, v20
	v_add_co_ci_u32_e32 v21, vcc_lo, s7, v21, vcc_lo
	s_and_b32 vcc_lo, exec_lo, s0
	s_cbranch_vccnz .LBB213_89
; %bb.88:
	s_delay_alu instid0(VALU_DEP_2) | instskip(NEXT) | instid1(VALU_DEP_2)
	v_add_co_u32 v22, vcc_lo, v20, v38
	v_add_co_ci_u32_e32 v23, vcc_lo, v21, v39, vcc_lo
	flat_load_u16 v22, v[22:23]
	s_waitcnt vmcnt(0) lgkmcnt(0)
	v_mul_f16_e32 v25, v48, v22
.LBB213_89:
	v_pk_add_f16 v26, v36, v16
	v_pk_max_f16 v28, v85, v85
	v_mad_i64_i32 v[22:23], null, v27, s4, 0
	v_pk_add_f16 v27, v37, v17
	s_delay_alu instid0(VALU_DEP_3) | instskip(NEXT) | instid1(VALU_DEP_3)
	v_pk_min_f16 v26, v28, v26
	v_lshlrev_b64 v[22:23], 1, v[22:23]
	s_delay_alu instid0(VALU_DEP_2) | instskip(NEXT) | instid1(VALU_DEP_2)
	v_pk_min_f16 v26, v26, v27
	v_add_co_u32 v22, vcc_lo, s1, v22
	s_delay_alu instid0(VALU_DEP_2) | instskip(NEXT) | instid1(VALU_DEP_4)
	v_lshrrev_b32_e32 v27, 16, v26
	v_add_co_ci_u32_e32 v23, vcc_lo, s8, v23, vcc_lo
	s_delay_alu instid0(VALU_DEP_2) | instskip(NEXT) | instid1(VALU_DEP_4)
	v_min3_f16 v27, v25, v26, v27
	v_add_co_u32 v25, vcc_lo, v22, v38
	s_delay_alu instid0(VALU_DEP_3)
	v_add_co_ci_u32_e32 v26, vcc_lo, v23, v39, vcc_lo
	s_and_b32 vcc_lo, exec_lo, s0
	global_store_b16 v[25:26], v27, off
	s_cbranch_vccnz .LBB213_91
; %bb.90:
	v_add_co_u32 v24, vcc_lo, v20, v42
	v_add_co_ci_u32_e32 v25, vcc_lo, v21, v43, vcc_lo
	flat_load_u16 v24, v[24:25]
	s_waitcnt vmcnt(0) lgkmcnt(0)
	v_mul_f16_e32 v24, v48, v24
.LBB213_91:
	v_pk_add_f16 v25, v0, v16
	v_pk_max_f16 v26, v83, v83
	v_pk_add_f16 v27, v1, v17
	s_delay_alu instid0(VALU_DEP_2) | instskip(SKIP_1) | instid1(VALU_DEP_2)
	v_pk_min_f16 v25, v26, v25
	v_add_co_u32 v26, vcc_lo, v22, v42
	v_pk_min_f16 v25, v25, v27
	v_add_co_ci_u32_e32 v27, vcc_lo, v23, v43, vcc_lo
	s_and_b32 vcc_lo, exec_lo, s0
	s_delay_alu instid0(VALU_DEP_2) | instskip(NEXT) | instid1(VALU_DEP_1)
	v_lshrrev_b32_e32 v28, 16, v25
	v_min3_f16 v28, v24, v25, v28
	v_dual_mov_b32 v24, 0 :: v_dual_mov_b32 v25, 0
	global_store_b16 v[26:27], v28, off
	s_cbranch_vccnz .LBB213_93
; %bb.92:
	v_add_co_u32 v25, vcc_lo, v20, v40
	v_add_co_ci_u32_e32 v26, vcc_lo, v21, v41, vcc_lo
	flat_load_u16 v25, v[25:26]
	s_waitcnt vmcnt(0) lgkmcnt(0)
	v_mul_f16_e32 v25, v48, v25
.LBB213_93:
	v_pk_add_f16 v26, v2, v16
	v_pk_max_f16 v27, v84, v84
	v_pk_add_f16 v28, v3, v17
	s_delay_alu instid0(VALU_DEP_2) | instskip(NEXT) | instid1(VALU_DEP_1)
	v_pk_min_f16 v26, v27, v26
	v_pk_min_f16 v26, v26, v28
	s_delay_alu instid0(VALU_DEP_1) | instskip(NEXT) | instid1(VALU_DEP_1)
	v_lshrrev_b32_e32 v27, 16, v26
	v_min3_f16 v27, v25, v26, v27
	v_add_co_u32 v25, vcc_lo, v22, v40
	v_add_co_ci_u32_e32 v26, vcc_lo, v23, v41, vcc_lo
	s_and_b32 vcc_lo, exec_lo, s0
	global_store_b16 v[25:26], v27, off
	s_cbranch_vccnz .LBB213_95
; %bb.94:
	v_add_co_u32 v20, vcc_lo, v20, v44
	v_add_co_ci_u32_e32 v21, vcc_lo, v21, v45, vcc_lo
	flat_load_u16 v20, v[20:21]
	s_waitcnt vmcnt(0) lgkmcnt(0)
	v_mul_f16_e32 v24, v48, v20
.LBB213_95:
	v_add_nc_u32_e32 v20, 64, v80
	v_pk_add_f16 v16, v32, v16
	v_pk_max_f16 v21, v82, v82
	v_pk_add_f16 v17, v33, v17
	s_delay_alu instid0(VALU_DEP_4) | instskip(NEXT) | instid1(VALU_DEP_3)
	v_mad_i64_i32 v[25:26], null, v20, s5, 0
	v_pk_min_f16 v16, v21, v16
	s_delay_alu instid0(VALU_DEP_1) | instskip(NEXT) | instid1(VALU_DEP_3)
	v_pk_min_f16 v21, v16, v17
	v_lshlrev_b64 v[16:17], 1, v[25:26]
	v_add_co_u32 v25, vcc_lo, v22, v44
	v_add_co_ci_u32_e32 v26, vcc_lo, v23, v45, vcc_lo
	v_mov_b32_e32 v23, 0
	v_lshrrev_b32_e32 v22, 16, v21
	v_add_co_u32 v16, vcc_lo, s6, v16
	v_add_co_ci_u32_e32 v17, vcc_lo, s7, v17, vcc_lo
	s_delay_alu instid0(VALU_DEP_3)
	v_min3_f16 v21, v24, v21, v22
	v_mov_b32_e32 v22, 0
	s_and_b32 vcc_lo, exec_lo, s0
	global_store_b16 v[25:26], v21, off
	s_cbranch_vccnz .LBB213_97
; %bb.96:
	v_add_co_u32 v23, vcc_lo, v16, v38
	v_add_co_ci_u32_e32 v24, vcc_lo, v17, v39, vcc_lo
	flat_load_u16 v21, v[23:24]
	s_waitcnt vmcnt(0) lgkmcnt(0)
	v_mul_f16_e32 v23, v48, v21
.LBB213_97:
	v_pk_add_f16 v21, v36, v18
	v_pk_max_f16 v26, v81, v81
	v_mad_i64_i32 v[24:25], null, v20, s4, 0
	v_pk_add_f16 v20, v37, v19
	s_delay_alu instid0(VALU_DEP_3) | instskip(NEXT) | instid1(VALU_DEP_1)
	v_pk_min_f16 v21, v26, v21
	v_pk_min_f16 v26, v21, v20
	s_delay_alu instid0(VALU_DEP_4) | instskip(NEXT) | instid1(VALU_DEP_2)
	v_lshlrev_b64 v[20:21], 1, v[24:25]
	v_lshrrev_b32_e32 v24, 16, v26
	s_delay_alu instid0(VALU_DEP_2) | instskip(NEXT) | instid1(VALU_DEP_3)
	v_add_co_u32 v20, vcc_lo, s1, v20
	v_add_co_ci_u32_e32 v21, vcc_lo, s8, v21, vcc_lo
	s_delay_alu instid0(VALU_DEP_3) | instskip(NEXT) | instid1(VALU_DEP_3)
	v_min3_f16 v25, v23, v26, v24
	v_add_co_u32 v23, vcc_lo, v20, v38
	s_delay_alu instid0(VALU_DEP_3)
	v_add_co_ci_u32_e32 v24, vcc_lo, v21, v39, vcc_lo
	s_and_b32 vcc_lo, exec_lo, s0
	global_store_b16 v[23:24], v25, off
	s_cbranch_vccnz .LBB213_99
; %bb.98:
	v_add_co_u32 v22, vcc_lo, v16, v42
	v_add_co_ci_u32_e32 v23, vcc_lo, v17, v43, vcc_lo
	flat_load_u16 v22, v[22:23]
	s_waitcnt vmcnt(0) lgkmcnt(0)
	v_mul_f16_e32 v22, v48, v22
.LBB213_99:
	v_pk_add_f16 v23, v0, v18
	v_pk_max_f16 v24, v79, v79
	v_pk_add_f16 v25, v1, v19
	s_delay_alu instid0(VALU_DEP_2) | instskip(SKIP_1) | instid1(VALU_DEP_2)
	v_pk_min_f16 v23, v24, v23
	v_add_co_u32 v24, vcc_lo, v20, v42
	v_pk_min_f16 v23, v23, v25
	v_add_co_ci_u32_e32 v25, vcc_lo, v21, v43, vcc_lo
	s_and_b32 vcc_lo, exec_lo, s0
	s_delay_alu instid0(VALU_DEP_2) | instskip(NEXT) | instid1(VALU_DEP_1)
	v_lshrrev_b32_e32 v26, 16, v23
	v_min3_f16 v26, v22, v23, v26
	v_dual_mov_b32 v22, 0 :: v_dual_mov_b32 v23, 0
	global_store_b16 v[24:25], v26, off
	s_cbranch_vccnz .LBB213_101
; %bb.100:
	v_add_co_u32 v23, vcc_lo, v16, v40
	v_add_co_ci_u32_e32 v24, vcc_lo, v17, v41, vcc_lo
	flat_load_u16 v23, v[23:24]
	s_waitcnt vmcnt(0) lgkmcnt(0)
	v_mul_f16_e32 v23, v48, v23
.LBB213_101:
	v_pk_add_f16 v24, v2, v18
	v_pk_max_f16 v25, v78, v78
	v_pk_add_f16 v26, v3, v19
	s_delay_alu instid0(VALU_DEP_2) | instskip(NEXT) | instid1(VALU_DEP_1)
	v_pk_min_f16 v24, v25, v24
	v_pk_min_f16 v24, v24, v26
	s_delay_alu instid0(VALU_DEP_1) | instskip(NEXT) | instid1(VALU_DEP_1)
	v_lshrrev_b32_e32 v25, 16, v24
	v_min3_f16 v25, v23, v24, v25
	v_add_co_u32 v23, vcc_lo, v20, v40
	v_add_co_ci_u32_e32 v24, vcc_lo, v21, v41, vcc_lo
	s_and_b32 vcc_lo, exec_lo, s0
	global_store_b16 v[23:24], v25, off
	s_cbranch_vccnz .LBB213_103
; %bb.102:
	v_add_co_u32 v16, vcc_lo, v16, v44
	v_add_co_ci_u32_e32 v17, vcc_lo, v17, v45, vcc_lo
	flat_load_u16 v16, v[16:17]
	s_waitcnt vmcnt(0) lgkmcnt(0)
	v_mul_f16_e32 v22, v48, v16
.LBB213_103:
	v_pk_add_f16 v18, v32, v18
	v_pk_max_f16 v24, v77, v77
	v_pk_add_f16 v19, v33, v19
	v_add_nc_u32_e32 v23, 0x48, v80
	s_delay_alu instid0(VALU_DEP_3) | instskip(NEXT) | instid1(VALU_DEP_1)
	v_pk_min_f16 v18, v24, v18
	v_pk_min_f16 v24, v18, v19
	v_add_co_u32 v18, vcc_lo, v20, v44
	v_add_co_ci_u32_e32 v19, vcc_lo, v21, v45, vcc_lo
	s_delay_alu instid0(VALU_DEP_3) | instskip(SKIP_1) | instid1(VALU_DEP_2)
	v_lshrrev_b32_e32 v20, 16, v24
	v_mov_b32_e32 v21, 0
	v_min3_f16 v22, v22, v24, v20
	v_mov_b32_e32 v20, 0
	v_mad_i64_i32 v[16:17], null, v23, s5, 0
	global_store_b16 v[18:19], v22, off
	v_lshlrev_b64 v[16:17], 1, v[16:17]
	s_delay_alu instid0(VALU_DEP_1) | instskip(NEXT) | instid1(VALU_DEP_2)
	v_add_co_u32 v16, vcc_lo, s6, v16
	v_add_co_ci_u32_e32 v17, vcc_lo, s7, v17, vcc_lo
	s_and_b32 vcc_lo, exec_lo, s0
	s_cbranch_vccnz .LBB213_105
; %bb.104:
	s_delay_alu instid0(VALU_DEP_2) | instskip(NEXT) | instid1(VALU_DEP_2)
	v_add_co_u32 v18, vcc_lo, v16, v38
	v_add_co_ci_u32_e32 v19, vcc_lo, v17, v39, vcc_lo
	flat_load_u16 v18, v[18:19]
	s_waitcnt vmcnt(0) lgkmcnt(0)
	v_mul_f16_e32 v21, v48, v18
.LBB213_105:
	v_pk_add_f16 v22, v36, v12
	v_pk_max_f16 v24, v76, v76
	v_mad_i64_i32 v[18:19], null, v23, s4, 0
	v_pk_add_f16 v23, v37, v13
	s_delay_alu instid0(VALU_DEP_3) | instskip(NEXT) | instid1(VALU_DEP_3)
	v_pk_min_f16 v22, v24, v22
	v_lshlrev_b64 v[18:19], 1, v[18:19]
	s_delay_alu instid0(VALU_DEP_2) | instskip(NEXT) | instid1(VALU_DEP_2)
	v_pk_min_f16 v22, v22, v23
	v_add_co_u32 v18, vcc_lo, s1, v18
	s_delay_alu instid0(VALU_DEP_2) | instskip(NEXT) | instid1(VALU_DEP_4)
	v_lshrrev_b32_e32 v23, 16, v22
	v_add_co_ci_u32_e32 v19, vcc_lo, s8, v19, vcc_lo
	s_delay_alu instid0(VALU_DEP_2) | instskip(NEXT) | instid1(VALU_DEP_4)
	v_min3_f16 v23, v21, v22, v23
	v_add_co_u32 v21, vcc_lo, v18, v38
	s_delay_alu instid0(VALU_DEP_3)
	v_add_co_ci_u32_e32 v22, vcc_lo, v19, v39, vcc_lo
	s_and_b32 vcc_lo, exec_lo, s0
	global_store_b16 v[21:22], v23, off
	s_cbranch_vccnz .LBB213_107
; %bb.106:
	v_add_co_u32 v20, vcc_lo, v16, v42
	v_add_co_ci_u32_e32 v21, vcc_lo, v17, v43, vcc_lo
	flat_load_u16 v20, v[20:21]
	s_waitcnt vmcnt(0) lgkmcnt(0)
	v_mul_f16_e32 v20, v48, v20
.LBB213_107:
	v_pk_add_f16 v21, v0, v12
	v_pk_max_f16 v22, v75, v75
	v_pk_add_f16 v23, v1, v13
	s_delay_alu instid0(VALU_DEP_2) | instskip(SKIP_1) | instid1(VALU_DEP_2)
	v_pk_min_f16 v21, v22, v21
	v_add_co_u32 v22, vcc_lo, v18, v42
	v_pk_min_f16 v21, v21, v23
	v_add_co_ci_u32_e32 v23, vcc_lo, v19, v43, vcc_lo
	s_and_b32 vcc_lo, exec_lo, s0
	s_delay_alu instid0(VALU_DEP_2) | instskip(NEXT) | instid1(VALU_DEP_1)
	v_lshrrev_b32_e32 v24, 16, v21
	v_min3_f16 v24, v20, v21, v24
	v_dual_mov_b32 v20, 0 :: v_dual_mov_b32 v21, 0
	global_store_b16 v[22:23], v24, off
	s_cbranch_vccnz .LBB213_109
; %bb.108:
	v_add_co_u32 v21, vcc_lo, v16, v40
	v_add_co_ci_u32_e32 v22, vcc_lo, v17, v41, vcc_lo
	flat_load_u16 v21, v[21:22]
	s_waitcnt vmcnt(0) lgkmcnt(0)
	v_mul_f16_e32 v21, v48, v21
.LBB213_109:
	v_pk_add_f16 v22, v2, v12
	v_pk_max_f16 v23, v74, v74
	v_pk_add_f16 v24, v3, v13
	s_delay_alu instid0(VALU_DEP_2) | instskip(NEXT) | instid1(VALU_DEP_1)
	v_pk_min_f16 v22, v23, v22
	v_pk_min_f16 v22, v22, v24
	s_delay_alu instid0(VALU_DEP_1) | instskip(NEXT) | instid1(VALU_DEP_1)
	v_lshrrev_b32_e32 v23, 16, v22
	v_min3_f16 v23, v21, v22, v23
	v_add_co_u32 v21, vcc_lo, v18, v40
	v_add_co_ci_u32_e32 v22, vcc_lo, v19, v41, vcc_lo
	s_and_b32 vcc_lo, exec_lo, s0
	global_store_b16 v[21:22], v23, off
	s_cbranch_vccnz .LBB213_111
; %bb.110:
	v_add_co_u32 v16, vcc_lo, v16, v44
	v_add_co_ci_u32_e32 v17, vcc_lo, v17, v45, vcc_lo
	flat_load_u16 v16, v[16:17]
	s_waitcnt vmcnt(0) lgkmcnt(0)
	v_mul_f16_e32 v20, v48, v16
.LBB213_111:
	v_add_nc_u32_e32 v16, 0x50, v80
	v_pk_add_f16 v12, v32, v12
	v_pk_max_f16 v17, v73, v73
	v_pk_add_f16 v13, v33, v13
	s_delay_alu instid0(VALU_DEP_4) | instskip(NEXT) | instid1(VALU_DEP_3)
	v_mad_i64_i32 v[21:22], null, v16, s5, 0
	v_pk_min_f16 v12, v17, v12
	s_delay_alu instid0(VALU_DEP_1) | instskip(NEXT) | instid1(VALU_DEP_3)
	v_pk_min_f16 v17, v12, v13
	v_lshlrev_b64 v[12:13], 1, v[21:22]
	v_add_co_u32 v21, vcc_lo, v18, v44
	v_add_co_ci_u32_e32 v22, vcc_lo, v19, v45, vcc_lo
	v_mov_b32_e32 v19, 0
	v_lshrrev_b32_e32 v18, 16, v17
	v_add_co_u32 v12, vcc_lo, s6, v12
	v_add_co_ci_u32_e32 v13, vcc_lo, s7, v13, vcc_lo
	s_delay_alu instid0(VALU_DEP_3)
	v_min3_f16 v17, v20, v17, v18
	v_mov_b32_e32 v18, 0
	s_and_b32 vcc_lo, exec_lo, s0
	global_store_b16 v[21:22], v17, off
	s_cbranch_vccnz .LBB213_113
; %bb.112:
	v_add_co_u32 v19, vcc_lo, v12, v38
	v_add_co_ci_u32_e32 v20, vcc_lo, v13, v39, vcc_lo
	flat_load_u16 v17, v[19:20]
	s_waitcnt vmcnt(0) lgkmcnt(0)
	v_mul_f16_e32 v19, v48, v17
.LBB213_113:
	v_pk_add_f16 v17, v36, v14
	v_pk_max_f16 v22, v72, v72
	v_mad_i64_i32 v[20:21], null, v16, s4, 0
	v_pk_add_f16 v16, v37, v15
	s_delay_alu instid0(VALU_DEP_3) | instskip(NEXT) | instid1(VALU_DEP_1)
	v_pk_min_f16 v17, v22, v17
	v_pk_min_f16 v22, v17, v16
	s_delay_alu instid0(VALU_DEP_4) | instskip(NEXT) | instid1(VALU_DEP_2)
	v_lshlrev_b64 v[16:17], 1, v[20:21]
	v_lshrrev_b32_e32 v20, 16, v22
	s_delay_alu instid0(VALU_DEP_2) | instskip(NEXT) | instid1(VALU_DEP_3)
	v_add_co_u32 v16, vcc_lo, s1, v16
	v_add_co_ci_u32_e32 v17, vcc_lo, s8, v17, vcc_lo
	s_delay_alu instid0(VALU_DEP_3) | instskip(NEXT) | instid1(VALU_DEP_3)
	v_min3_f16 v21, v19, v22, v20
	v_add_co_u32 v19, vcc_lo, v16, v38
	s_delay_alu instid0(VALU_DEP_3)
	v_add_co_ci_u32_e32 v20, vcc_lo, v17, v39, vcc_lo
	s_and_b32 vcc_lo, exec_lo, s0
	global_store_b16 v[19:20], v21, off
	s_cbranch_vccnz .LBB213_115
; %bb.114:
	v_add_co_u32 v18, vcc_lo, v12, v42
	v_add_co_ci_u32_e32 v19, vcc_lo, v13, v43, vcc_lo
	flat_load_u16 v18, v[18:19]
	s_waitcnt vmcnt(0) lgkmcnt(0)
	v_mul_f16_e32 v18, v48, v18
.LBB213_115:
	v_pk_add_f16 v19, v0, v14
	v_pk_max_f16 v20, v71, v71
	v_pk_add_f16 v21, v1, v15
	s_delay_alu instid0(VALU_DEP_2) | instskip(SKIP_1) | instid1(VALU_DEP_2)
	v_pk_min_f16 v19, v20, v19
	v_add_co_u32 v20, vcc_lo, v16, v42
	v_pk_min_f16 v19, v19, v21
	v_add_co_ci_u32_e32 v21, vcc_lo, v17, v43, vcc_lo
	s_and_b32 vcc_lo, exec_lo, s0
	s_delay_alu instid0(VALU_DEP_2) | instskip(NEXT) | instid1(VALU_DEP_1)
	v_lshrrev_b32_e32 v22, 16, v19
	v_min3_f16 v22, v18, v19, v22
	v_dual_mov_b32 v18, 0 :: v_dual_mov_b32 v19, 0
	global_store_b16 v[20:21], v22, off
	s_cbranch_vccnz .LBB213_117
; %bb.116:
	v_add_co_u32 v19, vcc_lo, v12, v40
	v_add_co_ci_u32_e32 v20, vcc_lo, v13, v41, vcc_lo
	flat_load_u16 v19, v[19:20]
	s_waitcnt vmcnt(0) lgkmcnt(0)
	v_mul_f16_e32 v19, v48, v19
.LBB213_117:
	v_pk_add_f16 v20, v2, v14
	v_pk_max_f16 v21, v70, v70
	v_pk_add_f16 v22, v3, v15
	s_delay_alu instid0(VALU_DEP_2) | instskip(NEXT) | instid1(VALU_DEP_1)
	v_pk_min_f16 v20, v21, v20
	v_pk_min_f16 v20, v20, v22
	s_delay_alu instid0(VALU_DEP_1) | instskip(NEXT) | instid1(VALU_DEP_1)
	v_lshrrev_b32_e32 v21, 16, v20
	v_min3_f16 v21, v19, v20, v21
	v_add_co_u32 v19, vcc_lo, v16, v40
	v_add_co_ci_u32_e32 v20, vcc_lo, v17, v41, vcc_lo
	s_and_b32 vcc_lo, exec_lo, s0
	global_store_b16 v[19:20], v21, off
	s_cbranch_vccnz .LBB213_119
; %bb.118:
	v_add_co_u32 v12, vcc_lo, v12, v44
	v_add_co_ci_u32_e32 v13, vcc_lo, v13, v45, vcc_lo
	flat_load_u16 v12, v[12:13]
	s_waitcnt vmcnt(0) lgkmcnt(0)
	v_mul_f16_e32 v18, v48, v12
.LBB213_119:
	v_pk_add_f16 v14, v32, v14
	v_pk_max_f16 v20, v69, v69
	v_pk_add_f16 v15, v33, v15
	v_add_nc_u32_e32 v19, 0x58, v80
	s_delay_alu instid0(VALU_DEP_3) | instskip(NEXT) | instid1(VALU_DEP_1)
	v_pk_min_f16 v14, v20, v14
	v_pk_min_f16 v20, v14, v15
	v_add_co_u32 v14, vcc_lo, v16, v44
	v_add_co_ci_u32_e32 v15, vcc_lo, v17, v45, vcc_lo
	s_delay_alu instid0(VALU_DEP_3) | instskip(SKIP_1) | instid1(VALU_DEP_2)
	v_lshrrev_b32_e32 v16, 16, v20
	v_mov_b32_e32 v17, 0
	v_min3_f16 v18, v18, v20, v16
	v_mov_b32_e32 v16, 0
	v_mad_i64_i32 v[12:13], null, v19, s5, 0
	global_store_b16 v[14:15], v18, off
	v_lshlrev_b64 v[12:13], 1, v[12:13]
	s_delay_alu instid0(VALU_DEP_1) | instskip(NEXT) | instid1(VALU_DEP_2)
	v_add_co_u32 v12, vcc_lo, s6, v12
	v_add_co_ci_u32_e32 v13, vcc_lo, s7, v13, vcc_lo
	s_and_b32 vcc_lo, exec_lo, s0
	s_cbranch_vccnz .LBB213_121
; %bb.120:
	s_delay_alu instid0(VALU_DEP_2) | instskip(NEXT) | instid1(VALU_DEP_2)
	v_add_co_u32 v14, vcc_lo, v12, v38
	v_add_co_ci_u32_e32 v15, vcc_lo, v13, v39, vcc_lo
	flat_load_u16 v14, v[14:15]
	s_waitcnt vmcnt(0) lgkmcnt(0)
	v_mul_f16_e32 v17, v48, v14
.LBB213_121:
	v_pk_add_f16 v18, v36, v8
	v_pk_max_f16 v20, v68, v68
	v_mad_i64_i32 v[14:15], null, v19, s4, 0
	v_pk_add_f16 v19, v37, v9
	s_delay_alu instid0(VALU_DEP_3) | instskip(NEXT) | instid1(VALU_DEP_3)
	v_pk_min_f16 v18, v20, v18
	v_lshlrev_b64 v[14:15], 1, v[14:15]
	s_delay_alu instid0(VALU_DEP_2) | instskip(NEXT) | instid1(VALU_DEP_2)
	v_pk_min_f16 v18, v18, v19
	v_add_co_u32 v14, vcc_lo, s1, v14
	s_delay_alu instid0(VALU_DEP_2) | instskip(NEXT) | instid1(VALU_DEP_4)
	v_lshrrev_b32_e32 v19, 16, v18
	v_add_co_ci_u32_e32 v15, vcc_lo, s8, v15, vcc_lo
	s_delay_alu instid0(VALU_DEP_2) | instskip(NEXT) | instid1(VALU_DEP_4)
	v_min3_f16 v19, v17, v18, v19
	v_add_co_u32 v17, vcc_lo, v14, v38
	s_delay_alu instid0(VALU_DEP_3)
	v_add_co_ci_u32_e32 v18, vcc_lo, v15, v39, vcc_lo
	s_and_b32 vcc_lo, exec_lo, s0
	global_store_b16 v[17:18], v19, off
	s_cbranch_vccnz .LBB213_123
; %bb.122:
	v_add_co_u32 v16, vcc_lo, v12, v42
	v_add_co_ci_u32_e32 v17, vcc_lo, v13, v43, vcc_lo
	flat_load_u16 v16, v[16:17]
	s_waitcnt vmcnt(0) lgkmcnt(0)
	v_mul_f16_e32 v16, v48, v16
.LBB213_123:
	v_pk_add_f16 v17, v0, v8
	v_pk_max_f16 v18, v67, v67
	v_pk_add_f16 v19, v1, v9
	s_delay_alu instid0(VALU_DEP_2) | instskip(SKIP_1) | instid1(VALU_DEP_2)
	v_pk_min_f16 v17, v18, v17
	v_add_co_u32 v18, vcc_lo, v14, v42
	v_pk_min_f16 v17, v17, v19
	v_add_co_ci_u32_e32 v19, vcc_lo, v15, v43, vcc_lo
	s_and_b32 vcc_lo, exec_lo, s0
	s_delay_alu instid0(VALU_DEP_2) | instskip(NEXT) | instid1(VALU_DEP_1)
	v_lshrrev_b32_e32 v20, 16, v17
	v_min3_f16 v20, v16, v17, v20
	v_dual_mov_b32 v16, 0 :: v_dual_mov_b32 v17, 0
	global_store_b16 v[18:19], v20, off
	s_cbranch_vccnz .LBB213_125
; %bb.124:
	v_add_co_u32 v17, vcc_lo, v12, v40
	v_add_co_ci_u32_e32 v18, vcc_lo, v13, v41, vcc_lo
	flat_load_u16 v17, v[17:18]
	s_waitcnt vmcnt(0) lgkmcnt(0)
	v_mul_f16_e32 v17, v48, v17
.LBB213_125:
	v_pk_add_f16 v18, v2, v8
	v_pk_max_f16 v19, v66, v66
	v_pk_add_f16 v20, v3, v9
	s_delay_alu instid0(VALU_DEP_2) | instskip(NEXT) | instid1(VALU_DEP_1)
	v_pk_min_f16 v18, v19, v18
	v_pk_min_f16 v18, v18, v20
	s_delay_alu instid0(VALU_DEP_1) | instskip(NEXT) | instid1(VALU_DEP_1)
	v_lshrrev_b32_e32 v19, 16, v18
	v_min3_f16 v19, v17, v18, v19
	v_add_co_u32 v17, vcc_lo, v14, v40
	v_add_co_ci_u32_e32 v18, vcc_lo, v15, v41, vcc_lo
	s_and_b32 vcc_lo, exec_lo, s0
	global_store_b16 v[17:18], v19, off
	s_cbranch_vccnz .LBB213_127
; %bb.126:
	v_add_co_u32 v12, vcc_lo, v12, v44
	v_add_co_ci_u32_e32 v13, vcc_lo, v13, v45, vcc_lo
	flat_load_u16 v12, v[12:13]
	s_waitcnt vmcnt(0) lgkmcnt(0)
	v_mul_f16_e32 v16, v48, v12
.LBB213_127:
	v_add_nc_u32_e32 v12, 0x60, v80
	v_pk_add_f16 v8, v32, v8
	v_pk_max_f16 v13, v65, v65
	v_pk_add_f16 v9, v33, v9
	s_delay_alu instid0(VALU_DEP_4) | instskip(NEXT) | instid1(VALU_DEP_3)
	v_mad_i64_i32 v[17:18], null, v12, s5, 0
	v_pk_min_f16 v8, v13, v8
	s_delay_alu instid0(VALU_DEP_1) | instskip(NEXT) | instid1(VALU_DEP_3)
	v_pk_min_f16 v13, v8, v9
	v_lshlrev_b64 v[8:9], 1, v[17:18]
	v_add_co_u32 v17, vcc_lo, v14, v44
	v_add_co_ci_u32_e32 v18, vcc_lo, v15, v45, vcc_lo
	v_mov_b32_e32 v15, 0
	v_lshrrev_b32_e32 v14, 16, v13
	v_add_co_u32 v8, vcc_lo, s6, v8
	v_add_co_ci_u32_e32 v9, vcc_lo, s7, v9, vcc_lo
	s_delay_alu instid0(VALU_DEP_3)
	v_min3_f16 v13, v16, v13, v14
	v_mov_b32_e32 v14, 0
	s_and_b32 vcc_lo, exec_lo, s0
	global_store_b16 v[17:18], v13, off
	s_cbranch_vccnz .LBB213_129
; %bb.128:
	v_add_co_u32 v15, vcc_lo, v8, v38
	v_add_co_ci_u32_e32 v16, vcc_lo, v9, v39, vcc_lo
	flat_load_u16 v13, v[15:16]
	s_waitcnt vmcnt(0) lgkmcnt(0)
	v_mul_f16_e32 v15, v48, v13
.LBB213_129:
	v_pk_add_f16 v13, v36, v10
	v_pk_max_f16 v18, v64, v64
	v_mad_i64_i32 v[16:17], null, v12, s4, 0
	v_pk_add_f16 v12, v37, v11
	s_delay_alu instid0(VALU_DEP_3) | instskip(NEXT) | instid1(VALU_DEP_1)
	v_pk_min_f16 v13, v18, v13
	v_pk_min_f16 v18, v13, v12
	s_delay_alu instid0(VALU_DEP_4) | instskip(NEXT) | instid1(VALU_DEP_2)
	v_lshlrev_b64 v[12:13], 1, v[16:17]
	v_lshrrev_b32_e32 v16, 16, v18
	s_delay_alu instid0(VALU_DEP_2) | instskip(NEXT) | instid1(VALU_DEP_3)
	v_add_co_u32 v12, vcc_lo, s1, v12
	v_add_co_ci_u32_e32 v13, vcc_lo, s8, v13, vcc_lo
	s_delay_alu instid0(VALU_DEP_3) | instskip(NEXT) | instid1(VALU_DEP_3)
	v_min3_f16 v17, v15, v18, v16
	v_add_co_u32 v15, vcc_lo, v12, v38
	s_delay_alu instid0(VALU_DEP_3)
	v_add_co_ci_u32_e32 v16, vcc_lo, v13, v39, vcc_lo
	s_and_b32 vcc_lo, exec_lo, s0
	global_store_b16 v[15:16], v17, off
	s_cbranch_vccnz .LBB213_131
; %bb.130:
	v_add_co_u32 v14, vcc_lo, v8, v42
	v_add_co_ci_u32_e32 v15, vcc_lo, v9, v43, vcc_lo
	flat_load_u16 v14, v[14:15]
	s_waitcnt vmcnt(0) lgkmcnt(0)
	v_mul_f16_e32 v14, v48, v14
.LBB213_131:
	v_pk_add_f16 v15, v0, v10
	v_pk_max_f16 v16, v63, v63
	v_pk_add_f16 v17, v1, v11
	s_delay_alu instid0(VALU_DEP_2) | instskip(SKIP_1) | instid1(VALU_DEP_2)
	v_pk_min_f16 v15, v16, v15
	v_add_co_u32 v16, vcc_lo, v12, v42
	v_pk_min_f16 v15, v15, v17
	v_add_co_ci_u32_e32 v17, vcc_lo, v13, v43, vcc_lo
	s_and_b32 vcc_lo, exec_lo, s0
	s_delay_alu instid0(VALU_DEP_2) | instskip(NEXT) | instid1(VALU_DEP_1)
	v_lshrrev_b32_e32 v18, 16, v15
	v_min3_f16 v18, v14, v15, v18
	v_dual_mov_b32 v14, 0 :: v_dual_mov_b32 v15, 0
	global_store_b16 v[16:17], v18, off
	s_cbranch_vccnz .LBB213_133
; %bb.132:
	v_add_co_u32 v15, vcc_lo, v8, v40
	v_add_co_ci_u32_e32 v16, vcc_lo, v9, v41, vcc_lo
	flat_load_u16 v15, v[15:16]
	s_waitcnt vmcnt(0) lgkmcnt(0)
	v_mul_f16_e32 v15, v48, v15
.LBB213_133:
	v_pk_add_f16 v16, v2, v10
	v_pk_max_f16 v17, v62, v62
	v_pk_add_f16 v18, v3, v11
	s_delay_alu instid0(VALU_DEP_2) | instskip(NEXT) | instid1(VALU_DEP_1)
	v_pk_min_f16 v16, v17, v16
	v_pk_min_f16 v16, v16, v18
	s_delay_alu instid0(VALU_DEP_1) | instskip(NEXT) | instid1(VALU_DEP_1)
	v_lshrrev_b32_e32 v17, 16, v16
	v_min3_f16 v17, v15, v16, v17
	v_add_co_u32 v15, vcc_lo, v12, v40
	v_add_co_ci_u32_e32 v16, vcc_lo, v13, v41, vcc_lo
	s_and_b32 vcc_lo, exec_lo, s0
	global_store_b16 v[15:16], v17, off
	s_cbranch_vccnz .LBB213_135
; %bb.134:
	v_add_co_u32 v8, vcc_lo, v8, v44
	v_add_co_ci_u32_e32 v9, vcc_lo, v9, v45, vcc_lo
	flat_load_u16 v8, v[8:9]
	s_waitcnt vmcnt(0) lgkmcnt(0)
	v_mul_f16_e32 v14, v48, v8
.LBB213_135:
	v_pk_add_f16 v10, v32, v10
	v_pk_max_f16 v16, v61, v61
	v_pk_add_f16 v11, v33, v11
	v_add_nc_u32_e32 v15, 0x68, v80
	s_delay_alu instid0(VALU_DEP_3) | instskip(NEXT) | instid1(VALU_DEP_1)
	v_pk_min_f16 v10, v16, v10
	v_pk_min_f16 v16, v10, v11
	v_add_co_u32 v10, vcc_lo, v12, v44
	v_add_co_ci_u32_e32 v11, vcc_lo, v13, v45, vcc_lo
	s_delay_alu instid0(VALU_DEP_3) | instskip(SKIP_1) | instid1(VALU_DEP_2)
	v_lshrrev_b32_e32 v12, 16, v16
	v_mov_b32_e32 v13, 0
	v_min3_f16 v14, v14, v16, v12
	v_mov_b32_e32 v12, 0
	v_mad_i64_i32 v[8:9], null, v15, s5, 0
	global_store_b16 v[10:11], v14, off
	v_lshlrev_b64 v[8:9], 1, v[8:9]
	s_delay_alu instid0(VALU_DEP_1) | instskip(NEXT) | instid1(VALU_DEP_2)
	v_add_co_u32 v8, vcc_lo, s6, v8
	v_add_co_ci_u32_e32 v9, vcc_lo, s7, v9, vcc_lo
	s_and_b32 vcc_lo, exec_lo, s0
	s_cbranch_vccnz .LBB213_137
; %bb.136:
	s_delay_alu instid0(VALU_DEP_2) | instskip(NEXT) | instid1(VALU_DEP_2)
	v_add_co_u32 v10, vcc_lo, v8, v38
	v_add_co_ci_u32_e32 v11, vcc_lo, v9, v39, vcc_lo
	flat_load_u16 v10, v[10:11]
	s_waitcnt vmcnt(0) lgkmcnt(0)
	v_mul_f16_e32 v13, v48, v10
.LBB213_137:
	v_pk_add_f16 v14, v36, v4
	v_pk_max_f16 v16, v60, v60
	v_mad_i64_i32 v[10:11], null, v15, s4, 0
	v_pk_add_f16 v15, v37, v5
	s_delay_alu instid0(VALU_DEP_3) | instskip(NEXT) | instid1(VALU_DEP_3)
	v_pk_min_f16 v14, v16, v14
	v_lshlrev_b64 v[10:11], 1, v[10:11]
	s_delay_alu instid0(VALU_DEP_2) | instskip(NEXT) | instid1(VALU_DEP_2)
	v_pk_min_f16 v14, v14, v15
	v_add_co_u32 v10, vcc_lo, s1, v10
	s_delay_alu instid0(VALU_DEP_2) | instskip(NEXT) | instid1(VALU_DEP_4)
	v_lshrrev_b32_e32 v15, 16, v14
	v_add_co_ci_u32_e32 v11, vcc_lo, s8, v11, vcc_lo
	s_delay_alu instid0(VALU_DEP_2) | instskip(NEXT) | instid1(VALU_DEP_4)
	v_min3_f16 v15, v13, v14, v15
	v_add_co_u32 v13, vcc_lo, v10, v38
	s_delay_alu instid0(VALU_DEP_3)
	v_add_co_ci_u32_e32 v14, vcc_lo, v11, v39, vcc_lo
	s_and_b32 vcc_lo, exec_lo, s0
	global_store_b16 v[13:14], v15, off
	s_cbranch_vccnz .LBB213_139
; %bb.138:
	v_add_co_u32 v12, vcc_lo, v8, v42
	v_add_co_ci_u32_e32 v13, vcc_lo, v9, v43, vcc_lo
	flat_load_u16 v12, v[12:13]
	s_waitcnt vmcnt(0) lgkmcnt(0)
	v_mul_f16_e32 v12, v48, v12
.LBB213_139:
	v_pk_add_f16 v13, v0, v4
	v_pk_max_f16 v14, v59, v59
	v_pk_add_f16 v15, v1, v5
	s_delay_alu instid0(VALU_DEP_2) | instskip(SKIP_1) | instid1(VALU_DEP_2)
	v_pk_min_f16 v13, v14, v13
	v_add_co_u32 v14, vcc_lo, v10, v42
	v_pk_min_f16 v13, v13, v15
	v_add_co_ci_u32_e32 v15, vcc_lo, v11, v43, vcc_lo
	s_and_b32 vcc_lo, exec_lo, s0
	s_delay_alu instid0(VALU_DEP_2) | instskip(NEXT) | instid1(VALU_DEP_1)
	v_lshrrev_b32_e32 v16, 16, v13
	v_min3_f16 v16, v12, v13, v16
	v_dual_mov_b32 v12, 0 :: v_dual_mov_b32 v13, 0
	global_store_b16 v[14:15], v16, off
	s_cbranch_vccnz .LBB213_141
; %bb.140:
	v_add_co_u32 v13, vcc_lo, v8, v40
	v_add_co_ci_u32_e32 v14, vcc_lo, v9, v41, vcc_lo
	flat_load_u16 v13, v[13:14]
	s_waitcnt vmcnt(0) lgkmcnt(0)
	v_mul_f16_e32 v13, v48, v13
.LBB213_141:
	v_pk_add_f16 v14, v2, v4
	v_pk_max_f16 v15, v58, v58
	v_pk_add_f16 v16, v3, v5
	s_delay_alu instid0(VALU_DEP_2) | instskip(NEXT) | instid1(VALU_DEP_1)
	v_pk_min_f16 v14, v15, v14
	v_pk_min_f16 v14, v14, v16
	s_delay_alu instid0(VALU_DEP_1) | instskip(NEXT) | instid1(VALU_DEP_1)
	v_lshrrev_b32_e32 v15, 16, v14
	v_min3_f16 v15, v13, v14, v15
	v_add_co_u32 v13, vcc_lo, v10, v40
	v_add_co_ci_u32_e32 v14, vcc_lo, v11, v41, vcc_lo
	s_and_b32 vcc_lo, exec_lo, s0
	global_store_b16 v[13:14], v15, off
	s_cbranch_vccnz .LBB213_143
; %bb.142:
	v_add_co_u32 v8, vcc_lo, v8, v44
	v_add_co_ci_u32_e32 v9, vcc_lo, v9, v45, vcc_lo
	flat_load_u16 v8, v[8:9]
	s_waitcnt vmcnt(0) lgkmcnt(0)
	v_mul_f16_e32 v12, v48, v8
.LBB213_143:
	v_add_nc_u32_e32 v8, 0x70, v80
	v_pk_add_f16 v4, v32, v4
	v_pk_max_f16 v9, v57, v57
	v_pk_add_f16 v5, v33, v5
	s_delay_alu instid0(VALU_DEP_4) | instskip(NEXT) | instid1(VALU_DEP_3)
	v_mad_i64_i32 v[13:14], null, v8, s5, 0
	v_pk_min_f16 v4, v9, v4
	s_delay_alu instid0(VALU_DEP_1) | instskip(NEXT) | instid1(VALU_DEP_3)
	v_pk_min_f16 v9, v4, v5
	v_lshlrev_b64 v[4:5], 1, v[13:14]
	v_add_co_u32 v13, vcc_lo, v10, v44
	v_add_co_ci_u32_e32 v14, vcc_lo, v11, v45, vcc_lo
	v_mov_b32_e32 v11, 0
	v_lshrrev_b32_e32 v10, 16, v9
	v_add_co_u32 v4, vcc_lo, s6, v4
	v_add_co_ci_u32_e32 v5, vcc_lo, s7, v5, vcc_lo
	s_delay_alu instid0(VALU_DEP_3)
	v_min3_f16 v9, v12, v9, v10
	v_mov_b32_e32 v10, 0
	s_and_b32 vcc_lo, exec_lo, s0
	global_store_b16 v[13:14], v9, off
	s_cbranch_vccnz .LBB213_145
; %bb.144:
	v_add_co_u32 v11, vcc_lo, v4, v38
	v_add_co_ci_u32_e32 v12, vcc_lo, v5, v39, vcc_lo
	flat_load_u16 v9, v[11:12]
	s_waitcnt vmcnt(0) lgkmcnt(0)
	v_mul_f16_e32 v11, v48, v9
.LBB213_145:
	v_pk_add_f16 v9, v36, v6
	v_pk_max_f16 v14, v56, v56
	v_mad_i64_i32 v[12:13], null, v8, s4, 0
	v_pk_add_f16 v8, v37, v7
	s_delay_alu instid0(VALU_DEP_3) | instskip(NEXT) | instid1(VALU_DEP_1)
	v_pk_min_f16 v9, v14, v9
	v_pk_min_f16 v14, v9, v8
	s_delay_alu instid0(VALU_DEP_4) | instskip(NEXT) | instid1(VALU_DEP_2)
	v_lshlrev_b64 v[8:9], 1, v[12:13]
	v_lshrrev_b32_e32 v12, 16, v14
	s_delay_alu instid0(VALU_DEP_2) | instskip(NEXT) | instid1(VALU_DEP_3)
	v_add_co_u32 v8, vcc_lo, s1, v8
	v_add_co_ci_u32_e32 v9, vcc_lo, s8, v9, vcc_lo
	s_delay_alu instid0(VALU_DEP_3) | instskip(NEXT) | instid1(VALU_DEP_3)
	v_min3_f16 v13, v11, v14, v12
	v_add_co_u32 v11, vcc_lo, v8, v38
	s_delay_alu instid0(VALU_DEP_3)
	v_add_co_ci_u32_e32 v12, vcc_lo, v9, v39, vcc_lo
	s_and_b32 vcc_lo, exec_lo, s0
	global_store_b16 v[11:12], v13, off
	s_cbranch_vccnz .LBB213_147
; %bb.146:
	v_add_co_u32 v10, vcc_lo, v4, v42
	v_add_co_ci_u32_e32 v11, vcc_lo, v5, v43, vcc_lo
	flat_load_u16 v10, v[10:11]
	s_waitcnt vmcnt(0) lgkmcnt(0)
	v_mul_f16_e32 v10, v48, v10
.LBB213_147:
	v_pk_add_f16 v11, v0, v6
	v_pk_max_f16 v12, v55, v55
	v_pk_add_f16 v13, v1, v7
	s_delay_alu instid0(VALU_DEP_2) | instskip(SKIP_1) | instid1(VALU_DEP_2)
	v_pk_min_f16 v11, v12, v11
	v_add_co_u32 v12, vcc_lo, v8, v42
	v_pk_min_f16 v11, v11, v13
	v_add_co_ci_u32_e32 v13, vcc_lo, v9, v43, vcc_lo
	s_and_b32 vcc_lo, exec_lo, s0
	s_delay_alu instid0(VALU_DEP_2) | instskip(NEXT) | instid1(VALU_DEP_1)
	v_lshrrev_b32_e32 v14, 16, v11
	v_min3_f16 v14, v10, v11, v14
	v_dual_mov_b32 v10, 0 :: v_dual_mov_b32 v11, 0
	global_store_b16 v[12:13], v14, off
	s_cbranch_vccnz .LBB213_149
; %bb.148:
	v_add_co_u32 v11, vcc_lo, v4, v40
	v_add_co_ci_u32_e32 v12, vcc_lo, v5, v41, vcc_lo
	flat_load_u16 v11, v[11:12]
	s_waitcnt vmcnt(0) lgkmcnt(0)
	v_mul_f16_e32 v11, v48, v11
.LBB213_149:
	v_pk_add_f16 v12, v2, v6
	v_pk_max_f16 v13, v54, v54
	v_pk_add_f16 v14, v3, v7
	s_delay_alu instid0(VALU_DEP_2) | instskip(NEXT) | instid1(VALU_DEP_1)
	v_pk_min_f16 v12, v13, v12
	v_pk_min_f16 v12, v12, v14
	s_delay_alu instid0(VALU_DEP_1) | instskip(NEXT) | instid1(VALU_DEP_1)
	v_lshrrev_b32_e32 v13, 16, v12
	v_min3_f16 v13, v11, v12, v13
	v_add_co_u32 v11, vcc_lo, v8, v40
	v_add_co_ci_u32_e32 v12, vcc_lo, v9, v41, vcc_lo
	s_and_b32 vcc_lo, exec_lo, s0
	global_store_b16 v[11:12], v13, off
	s_cbranch_vccnz .LBB213_151
; %bb.150:
	v_add_co_u32 v4, vcc_lo, v4, v44
	v_add_co_ci_u32_e32 v5, vcc_lo, v5, v45, vcc_lo
	flat_load_u16 v4, v[4:5]
	s_waitcnt vmcnt(0) lgkmcnt(0)
	v_mul_f16_e32 v10, v48, v4
.LBB213_151:
	v_pk_add_f16 v6, v32, v6
	v_pk_max_f16 v12, v53, v53
	v_pk_add_f16 v7, v33, v7
	v_add_nc_u32_e32 v11, 0x78, v80
	s_delay_alu instid0(VALU_DEP_3) | instskip(NEXT) | instid1(VALU_DEP_1)
	v_pk_min_f16 v6, v12, v6
	v_pk_min_f16 v12, v6, v7
	v_add_co_u32 v6, vcc_lo, v8, v44
	v_add_co_ci_u32_e32 v7, vcc_lo, v9, v45, vcc_lo
	s_delay_alu instid0(VALU_DEP_3) | instskip(SKIP_1) | instid1(VALU_DEP_2)
	v_lshrrev_b32_e32 v8, 16, v12
	v_mov_b32_e32 v9, 0
	v_min3_f16 v10, v10, v12, v8
	v_mov_b32_e32 v8, 0
	v_mad_i64_i32 v[4:5], null, v11, s5, 0
	global_store_b16 v[6:7], v10, off
	v_lshlrev_b64 v[4:5], 1, v[4:5]
	s_delay_alu instid0(VALU_DEP_1) | instskip(NEXT) | instid1(VALU_DEP_2)
	v_add_co_u32 v4, vcc_lo, s6, v4
	v_add_co_ci_u32_e32 v5, vcc_lo, s7, v5, vcc_lo
	s_and_b32 vcc_lo, exec_lo, s0
	s_cbranch_vccnz .LBB213_153
; %bb.152:
	s_delay_alu instid0(VALU_DEP_2) | instskip(NEXT) | instid1(VALU_DEP_2)
	v_add_co_u32 v6, vcc_lo, v4, v38
	v_add_co_ci_u32_e32 v7, vcc_lo, v5, v39, vcc_lo
	flat_load_u16 v6, v[6:7]
	s_waitcnt vmcnt(0) lgkmcnt(0)
	v_mul_f16_e32 v9, v48, v6
.LBB213_153:
	v_pk_add_f16 v10, v36, v34
	v_pk_max_f16 v12, v52, v52
	v_mad_i64_i32 v[6:7], null, v11, s4, 0
	v_pk_add_f16 v11, v37, v35
	s_delay_alu instid0(VALU_DEP_3) | instskip(NEXT) | instid1(VALU_DEP_3)
	v_pk_min_f16 v10, v12, v10
	v_lshlrev_b64 v[6:7], 1, v[6:7]
	s_delay_alu instid0(VALU_DEP_2) | instskip(NEXT) | instid1(VALU_DEP_2)
	v_pk_min_f16 v10, v10, v11
	v_add_co_u32 v6, vcc_lo, s1, v6
	s_delay_alu instid0(VALU_DEP_2) | instskip(NEXT) | instid1(VALU_DEP_4)
	v_lshrrev_b32_e32 v11, 16, v10
	v_add_co_ci_u32_e32 v7, vcc_lo, s8, v7, vcc_lo
	s_delay_alu instid0(VALU_DEP_2) | instskip(NEXT) | instid1(VALU_DEP_4)
	v_min3_f16 v11, v9, v10, v11
	v_add_co_u32 v9, vcc_lo, v6, v38
	s_delay_alu instid0(VALU_DEP_3)
	v_add_co_ci_u32_e32 v10, vcc_lo, v7, v39, vcc_lo
	s_and_b32 vcc_lo, exec_lo, s0
	global_store_b16 v[9:10], v11, off
	s_cbranch_vccnz .LBB213_155
; %bb.154:
	v_add_co_u32 v8, vcc_lo, v4, v42
	v_add_co_ci_u32_e32 v9, vcc_lo, v5, v43, vcc_lo
	flat_load_u16 v8, v[8:9]
	s_waitcnt vmcnt(0) lgkmcnt(0)
	v_mul_f16_e32 v8, v48, v8
.LBB213_155:
	v_pk_add_f16 v0, v0, v34
	v_pk_max_f16 v9, v51, v51
	v_pk_add_f16 v2, v2, v34
	v_pk_max_f16 v10, v50, v50
	v_pk_add_f16 v1, v1, v35
	v_pk_add_f16 v3, v3, v35
	v_pk_min_f16 v0, v9, v0
	s_delay_alu instid0(VALU_DEP_4) | instskip(NEXT) | instid1(VALU_DEP_2)
	v_pk_min_f16 v2, v10, v2
	v_pk_min_f16 v0, v0, v1
	s_delay_alu instid0(VALU_DEP_2) | instskip(NEXT) | instid1(VALU_DEP_2)
	v_pk_min_f16 v1, v2, v3
	v_lshrrev_b32_e32 v2, 16, v0
	s_delay_alu instid0(VALU_DEP_2) | instskip(NEXT) | instid1(VALU_DEP_2)
	v_lshrrev_b32_e32 v3, 16, v1
	v_min3_f16 v8, v8, v0, v2
	s_delay_alu instid0(VALU_DEP_2) | instskip(SKIP_2) | instid1(VALU_DEP_3)
	v_min_f16_e32 v0, v1, v3
	v_add_co_u32 v1, vcc_lo, v6, v42
	v_add_co_ci_u32_e32 v2, vcc_lo, v7, v43, vcc_lo
	v_max_f16_e32 v0, v0, v0
	s_mov_b32 vcc_lo, s2
	global_store_b16 v[1:2], v8, off
	s_cbranch_vccz .LBB213_158
; %bb.156:
	v_add_co_u32 v1, vcc_lo, v6, v40
	v_min_f16_e32 v3, 0, v0
	v_add_co_ci_u32_e32 v2, vcc_lo, v7, v41, vcc_lo
	s_mov_b32 s0, 0
	global_store_b16 v[1:2], v3, off
	s_cbranch_execz .LBB213_159
; %bb.157:
	v_mov_b32_e32 v0, s0
	s_branch .LBB213_160
.LBB213_158:
	s_mov_b32 s0, -1
.LBB213_159:
	v_add_co_u32 v1, vcc_lo, v4, v40
	v_add_co_ci_u32_e32 v2, vcc_lo, v5, v41, vcc_lo
	flat_load_u16 v1, v[1:2]
	s_waitcnt vmcnt(0) lgkmcnt(0)
	v_mul_f16_e32 v3, v48, v1
	v_add_co_u32 v1, vcc_lo, v6, v40
	v_add_co_ci_u32_e32 v2, vcc_lo, v7, v41, vcc_lo
	s_delay_alu instid0(VALU_DEP_3)
	v_min_f16_e32 v0, v3, v0
	v_add_co_u32 v3, vcc_lo, v4, v44
	v_add_co_ci_u32_e32 v4, vcc_lo, v5, v45, vcc_lo
	global_store_b16 v[1:2], v0, off
	flat_load_u16 v0, v[3:4]
	s_waitcnt vmcnt(0) lgkmcnt(0)
	v_mul_f16_e32 v0, v48, v0
.LBB213_160:
	v_pk_add_f16 v1, v32, v34
	v_pk_max_f16 v2, v49, v49
	v_pk_add_f16 v3, v33, v35
	s_delay_alu instid0(VALU_DEP_2) | instskip(NEXT) | instid1(VALU_DEP_1)
	v_pk_min_f16 v1, v2, v1
	v_pk_min_f16 v1, v1, v3
	s_delay_alu instid0(VALU_DEP_1) | instskip(NEXT) | instid1(VALU_DEP_1)
	v_lshrrev_b32_e32 v2, 16, v1
	v_min3_f16 v2, v0, v1, v2
	v_add_co_u32 v0, vcc_lo, v6, v44
	v_add_co_ci_u32_e32 v1, vcc_lo, v7, v45, vcc_lo
	global_store_b16 v[0:1], v2, off
	s_nop 0
	s_sendmsg sendmsg(MSG_DEALLOC_VGPRS)
	s_endpgm
	.section	.rodata,"a",@progbits
	.p2align	6, 0x0
	.amdhsa_kernel _ZN12_GLOBAL__N_120geam_min_plus_kernelIDF16_Dv2_DF16_S1_Li32ELi8ELi128ELi128ELi4ELi4ELi64ELi4ELi64ELc84ELc78ELb0ELb0ELb1EPKDF16_KS3_KPDF16_EEviiiT16_PT17_ilS9_ilS7_S9_ilPT18_ili26rocblas_geam_ex_operation_
		.amdhsa_group_segment_fixed_size 4096
		.amdhsa_private_segment_fixed_size 0
		.amdhsa_kernarg_size 136
		.amdhsa_user_sgpr_count 14
		.amdhsa_user_sgpr_dispatch_ptr 0
		.amdhsa_user_sgpr_queue_ptr 0
		.amdhsa_user_sgpr_kernarg_segment_ptr 1
		.amdhsa_user_sgpr_dispatch_id 0
		.amdhsa_user_sgpr_private_segment_size 0
		.amdhsa_wavefront_size32 1
		.amdhsa_uses_dynamic_stack 0
		.amdhsa_enable_private_segment 0
		.amdhsa_system_sgpr_workgroup_id_x 1
		.amdhsa_system_sgpr_workgroup_id_y 0
		.amdhsa_system_sgpr_workgroup_id_z 1
		.amdhsa_system_sgpr_workgroup_info 0
		.amdhsa_system_vgpr_workitem_id 1
		.amdhsa_next_free_vgpr 156
		.amdhsa_next_free_sgpr 24
		.amdhsa_reserve_vcc 1
		.amdhsa_float_round_mode_32 0
		.amdhsa_float_round_mode_16_64 0
		.amdhsa_float_denorm_mode_32 3
		.amdhsa_float_denorm_mode_16_64 3
		.amdhsa_dx10_clamp 1
		.amdhsa_ieee_mode 1
		.amdhsa_fp16_overflow 0
		.amdhsa_workgroup_processor_mode 1
		.amdhsa_memory_ordered 1
		.amdhsa_forward_progress 0
		.amdhsa_shared_vgpr_count 0
		.amdhsa_exception_fp_ieee_invalid_op 0
		.amdhsa_exception_fp_denorm_src 0
		.amdhsa_exception_fp_ieee_div_zero 0
		.amdhsa_exception_fp_ieee_overflow 0
		.amdhsa_exception_fp_ieee_underflow 0
		.amdhsa_exception_fp_ieee_inexact 0
		.amdhsa_exception_int_div_zero 0
	.end_amdhsa_kernel
	.section	.text._ZN12_GLOBAL__N_120geam_min_plus_kernelIDF16_Dv2_DF16_S1_Li32ELi8ELi128ELi128ELi4ELi4ELi64ELi4ELi64ELc84ELc78ELb0ELb0ELb1EPKDF16_KS3_KPDF16_EEviiiT16_PT17_ilS9_ilS7_S9_ilPT18_ili26rocblas_geam_ex_operation_,"axG",@progbits,_ZN12_GLOBAL__N_120geam_min_plus_kernelIDF16_Dv2_DF16_S1_Li32ELi8ELi128ELi128ELi4ELi4ELi64ELi4ELi64ELc84ELc78ELb0ELb0ELb1EPKDF16_KS3_KPDF16_EEviiiT16_PT17_ilS9_ilS7_S9_ilPT18_ili26rocblas_geam_ex_operation_,comdat
.Lfunc_end213:
	.size	_ZN12_GLOBAL__N_120geam_min_plus_kernelIDF16_Dv2_DF16_S1_Li32ELi8ELi128ELi128ELi4ELi4ELi64ELi4ELi64ELc84ELc78ELb0ELb0ELb1EPKDF16_KS3_KPDF16_EEviiiT16_PT17_ilS9_ilS7_S9_ilPT18_ili26rocblas_geam_ex_operation_, .Lfunc_end213-_ZN12_GLOBAL__N_120geam_min_plus_kernelIDF16_Dv2_DF16_S1_Li32ELi8ELi128ELi128ELi4ELi4ELi64ELi4ELi64ELc84ELc78ELb0ELb0ELb1EPKDF16_KS3_KPDF16_EEviiiT16_PT17_ilS9_ilS7_S9_ilPT18_ili26rocblas_geam_ex_operation_
                                        ; -- End function
	.section	.AMDGPU.csdata,"",@progbits
; Kernel info:
; codeLenInByte = 18976
; NumSgprs: 26
; NumVgprs: 156
; ScratchSize: 0
; MemoryBound: 0
; FloatMode: 240
; IeeeMode: 1
; LDSByteSize: 4096 bytes/workgroup (compile time only)
; SGPRBlocks: 3
; VGPRBlocks: 19
; NumSGPRsForWavesPerEU: 26
; NumVGPRsForWavesPerEU: 156
; Occupancy: 9
; WaveLimiterHint : 1
; COMPUTE_PGM_RSRC2:SCRATCH_EN: 0
; COMPUTE_PGM_RSRC2:USER_SGPR: 14
; COMPUTE_PGM_RSRC2:TRAP_HANDLER: 0
; COMPUTE_PGM_RSRC2:TGID_X_EN: 1
; COMPUTE_PGM_RSRC2:TGID_Y_EN: 0
; COMPUTE_PGM_RSRC2:TGID_Z_EN: 1
; COMPUTE_PGM_RSRC2:TIDIG_COMP_CNT: 1
	.section	.text._ZN12_GLOBAL__N_120geam_min_plus_kernelIDF16_Dv2_DF16_S1_Li32ELi8ELi128ELi128ELi4ELi4ELi64ELi4ELi64ELc84ELc78ELb1ELb0ELb1EDF16_KPKDF16_KPDF16_EEviiiT16_PT17_ilS9_ilS7_S9_ilPT18_ili26rocblas_geam_ex_operation_,"axG",@progbits,_ZN12_GLOBAL__N_120geam_min_plus_kernelIDF16_Dv2_DF16_S1_Li32ELi8ELi128ELi128ELi4ELi4ELi64ELi4ELi64ELc84ELc78ELb1ELb0ELb1EDF16_KPKDF16_KPDF16_EEviiiT16_PT17_ilS9_ilS7_S9_ilPT18_ili26rocblas_geam_ex_operation_,comdat
	.globl	_ZN12_GLOBAL__N_120geam_min_plus_kernelIDF16_Dv2_DF16_S1_Li32ELi8ELi128ELi128ELi4ELi4ELi64ELi4ELi64ELc84ELc78ELb1ELb0ELb1EDF16_KPKDF16_KPDF16_EEviiiT16_PT17_ilS9_ilS7_S9_ilPT18_ili26rocblas_geam_ex_operation_ ; -- Begin function _ZN12_GLOBAL__N_120geam_min_plus_kernelIDF16_Dv2_DF16_S1_Li32ELi8ELi128ELi128ELi4ELi4ELi64ELi4ELi64ELc84ELc78ELb1ELb0ELb1EDF16_KPKDF16_KPDF16_EEviiiT16_PT17_ilS9_ilS7_S9_ilPT18_ili26rocblas_geam_ex_operation_
	.p2align	8
	.type	_ZN12_GLOBAL__N_120geam_min_plus_kernelIDF16_Dv2_DF16_S1_Li32ELi8ELi128ELi128ELi4ELi4ELi64ELi4ELi64ELc84ELc78ELb1ELb0ELb1EDF16_KPKDF16_KPDF16_EEviiiT16_PT17_ilS9_ilS7_S9_ilPT18_ili26rocblas_geam_ex_operation_,@function
_ZN12_GLOBAL__N_120geam_min_plus_kernelIDF16_Dv2_DF16_S1_Li32ELi8ELi128ELi128ELi4ELi4ELi64ELi4ELi64ELc84ELc78ELb1ELb0ELb1EDF16_KPKDF16_KPDF16_EEviiiT16_PT17_ilS9_ilS7_S9_ilPT18_ili26rocblas_geam_ex_operation_: ; @_ZN12_GLOBAL__N_120geam_min_plus_kernelIDF16_Dv2_DF16_S1_Li32ELi8ELi128ELi128ELi4ELi4ELi64ELi4ELi64ELc84ELc78ELb1ELb0ELb1EDF16_KPKDF16_KPDF16_EEviiiT16_PT17_ilS9_ilS7_S9_ilPT18_ili26rocblas_geam_ex_operation_
; %bb.0:
	s_clause 0x1
	s_load_b64 s[8:9], s[0:1], 0x8
	s_load_b128 s[4:7], s[0:1], 0x20
	s_mov_b32 s16, s15
	s_mov_b32 s17, 0
	s_waitcnt lgkmcnt(0)
	v_cmp_eq_f16_e64 s2, s9, 0
	s_delay_alu instid0(VALU_DEP_1)
	s_and_b32 vcc_lo, exec_lo, s2
	s_cbranch_vccnz .LBB214_3
; %bb.1:
	s_load_b64 s[10:11], s[0:1], 0x10
	s_lshl_b64 s[12:13], s[16:17], 3
	s_waitcnt lgkmcnt(0)
	s_add_u32 s10, s10, s12
	s_addc_u32 s11, s11, s13
	s_lshl_b64 s[4:5], s[4:5], 1
	s_load_b64 s[10:11], s[10:11], 0x0
	s_waitcnt lgkmcnt(0)
	s_add_u32 s10, s10, s4
	s_addc_u32 s11, s11, s5
	s_and_not1_b32 vcc_lo, exec_lo, s2
	s_cbranch_vccnz .LBB214_4
.LBB214_2:
	s_mov_b64 s[12:13], 0
	s_and_not1_b32 vcc_lo, exec_lo, s17
	s_cbranch_vccz .LBB214_5
	s_branch .LBB214_6
.LBB214_3:
	s_mov_b64 s[10:11], 0
	s_and_not1_b32 vcc_lo, exec_lo, s2
	s_cbranch_vccz .LBB214_2
.LBB214_4:
	s_mov_b32 s17, -1
                                        ; implicit-def: $sgpr12_sgpr13
.LBB214_5:
	s_mov_b32 s17, 0
	s_load_b64 s[4:5], s[0:1], 0x38
	s_lshl_b64 s[2:3], s[16:17], 3
	s_delay_alu instid0(SALU_CYCLE_1) | instskip(SKIP_4) | instid1(SALU_CYCLE_1)
	s_add_u32 s2, s6, s2
	s_addc_u32 s3, s7, s3
	s_load_b64 s[2:3], s[2:3], 0x0
	s_waitcnt lgkmcnt(0)
	s_lshl_b64 s[4:5], s[4:5], 1
	s_add_u32 s12, s2, s4
	s_addc_u32 s13, s3, s5
.LBB214_6:
	s_clause 0x1
	s_load_b32 s9, s[0:1], 0x40
	s_load_b128 s[4:7], s[0:1], 0x58
	s_waitcnt lgkmcnt(0)
	v_cmp_eq_f16_e64 s2, s9, 0
	s_delay_alu instid0(VALU_DEP_1) | instskip(NEXT) | instid1(SALU_CYCLE_1)
	s_and_b32 s2, exec_lo, s2
	s_mov_b32 vcc_lo, s2
	s_cbranch_vccnz .LBB214_8
; %bb.7:
	s_load_b64 s[18:19], s[0:1], 0x48
	s_lshl_b64 s[20:21], s[16:17], 3
	s_waitcnt lgkmcnt(0)
	s_add_u32 s18, s18, s20
	s_addc_u32 s19, s19, s21
	s_lshl_b64 s[4:5], s[4:5], 1
	s_load_b64 s[18:19], s[18:19], 0x0
	s_waitcnt lgkmcnt(0)
	s_add_u32 s4, s18, s4
	s_addc_u32 s5, s19, s5
	s_branch .LBB214_9
.LBB214_8:
	s_mov_b64 s[4:5], 0
.LBB214_9:
	s_load_b32 s3, s[0:1], 0x0
	s_lshl_b64 s[16:17], s[16:17], 3
	v_and_b32_e32 v157, 0x3ff, v0
	s_add_u32 s6, s6, s16
	s_addc_u32 s7, s7, s17
	v_bfe_u32 v158, v0, 10, 10
	s_clause 0x1
	s_load_b32 s15, s[0:1], 0x18
	s_load_b32 s18, s[0:1], 0x30
	v_lshlrev_b32_e32 v160, 3, v157
	v_lshl_add_u32 v0, v158, 5, v157
	v_lshlrev_b32_e32 v159, 3, v158
	s_delay_alu instid0(VALU_DEP_2) | instskip(SKIP_3) | instid1(VALU_DEP_1)
	v_lshrrev_b32_e32 v20, 2, v0
	v_and_b32_e32 v0, 3, v157
	s_waitcnt lgkmcnt(0)
	s_add_i32 s3, s3, -1
	v_lshlrev_b32_e32 v165, 1, v0
	s_ashr_i32 s16, s3, 31
	s_delay_alu instid0(SALU_CYCLE_1) | instskip(NEXT) | instid1(VALU_DEP_1)
	s_lshr_b32 s16, s16, 25
	v_lshl_or_b32 v166, v20, 3, v165
	s_add_i32 s3, s3, s16
	s_delay_alu instid0(SALU_CYCLE_1) | instskip(NEXT) | instid1(SALU_CYCLE_1)
	s_ashr_i32 s3, s3, 7
	s_add_i32 s16, s3, 1
	s_not_b32 s3, s3
	v_cvt_f32_u32_e32 v1, s16
	s_delay_alu instid0(VALU_DEP_1) | instskip(SKIP_2) | instid1(VALU_DEP_1)
	v_rcp_iflag_f32_e32 v1, v1
	s_waitcnt_depctr 0xfff
	v_mul_f32_e32 v1, 0x4f7ffffe, v1
	v_cvt_u32_f32_e32 v1, v1
	s_delay_alu instid0(VALU_DEP_1) | instskip(NEXT) | instid1(VALU_DEP_1)
	v_readfirstlane_b32 s17, v1
	s_mul_i32 s3, s3, s17
	s_delay_alu instid0(SALU_CYCLE_1) | instskip(NEXT) | instid1(SALU_CYCLE_1)
	s_mul_hi_u32 s3, s17, s3
	s_add_i32 s17, s17, s3
	s_delay_alu instid0(SALU_CYCLE_1) | instskip(NEXT) | instid1(SALU_CYCLE_1)
	s_mul_hi_u32 s3, s14, s17
	s_mul_i32 s17, s3, s16
	s_add_i32 s19, s3, 1
	s_sub_i32 s17, s14, s17
	s_delay_alu instid0(SALU_CYCLE_1)
	s_sub_i32 s20, s17, s16
	s_cmp_ge_u32 s17, s16
	s_cselect_b32 s3, s19, s3
	s_cselect_b32 s17, s20, s17
	s_add_i32 s19, s3, 1
	s_cmp_ge_u32 s17, s16
	s_cselect_b32 s3, s19, s3
	s_delay_alu instid0(SALU_CYCLE_1)
	s_mul_i32 s16, s3, s16
	s_lshl_b32 s3, s3, 7
	s_sub_i32 s14, s14, s16
	v_add_nc_u32_e32 v2, s3, v20
	s_lshl_b32 s14, s14, 7
	v_add_co_u32 v15, s16, s10, v165
	v_add_nc_u32_e32 v3, s14, v20
	s_delay_alu instid0(VALU_DEP_3) | instskip(SKIP_2) | instid1(VALU_DEP_4)
	v_mad_i64_i32 v[0:1], null, v2, s18, 0
	v_add_nc_u32_e32 v2, 64, v2
	v_add_co_ci_u32_e64 v16, null, s11, 0, s16
	v_add_nc_u32_e32 v13, 64, v3
	v_mad_i64_i32 v[4:5], null, v3, s15, 0
	s_delay_alu instid0(VALU_DEP_4) | instskip(NEXT) | instid1(VALU_DEP_3)
	v_mad_i64_i32 v[6:7], null, v2, s18, 0
	v_mad_i64_i32 v[10:11], null, v13, s15, 0
	v_lshlrev_b64 v[2:3], 1, v[0:1]
	v_add_co_u32 v17, s15, s12, v165
	s_delay_alu instid0(VALU_DEP_1) | instskip(SKIP_1) | instid1(VALU_DEP_3)
	v_add_co_ci_u32_e64 v19, null, s13, 0, s15
	v_lshlrev_b64 v[0:1], 1, v[4:5]
	v_add_co_u32 v13, vcc_lo, v17, v2
	v_lshlrev_b64 v[4:5], 1, v[10:11]
	s_delay_alu instid0(VALU_DEP_4)
	v_add_co_ci_u32_e32 v14, vcc_lo, v19, v3, vcc_lo
	v_lshlrev_b64 v[6:7], 1, v[6:7]
	v_add_co_u32 v10, vcc_lo, v15, v0
	v_add_co_ci_u32_e32 v11, vcc_lo, v16, v1, vcc_lo
	v_add_co_u32 v15, vcc_lo, v15, v4
	v_add_co_ci_u32_e32 v16, vcc_lo, v16, v5, vcc_lo
	v_add_co_u32 v18, vcc_lo, v17, v6
	v_add_co_ci_u32_e32 v19, vcc_lo, v19, v7, vcc_lo
	s_clause 0x1
	flat_load_u16 v21, v[10:11]
	flat_load_u16 v22, v[15:16]
	s_clause 0x1
	flat_load_u16 v23, v[13:14]
	flat_load_u16 v24, v[18:19]
	s_clause 0x1
	flat_load_u16 v15, v[15:16] offset:8
	flat_load_u16 v17, v[10:11] offset:8
	s_clause 0x1
	flat_load_u16 v16, v[18:19] offset:8
	flat_load_u16 v18, v[13:14] offset:8
	v_add_nc_u32_e32 v14, 0x800, v159
	s_load_b64 s[6:7], s[6:7], 0x0
	s_cmp_lt_i32 s8, 9
	s_waitcnt vmcnt(7) lgkmcnt(0)
	ds_store_b16 v166, v21
	s_waitcnt vmcnt(6)
	ds_store_b16 v166, v22 offset:512
	s_waitcnt vmcnt(5)
	ds_store_b16 v166, v23 offset:2048
	;; [unrolled: 2-line block ×3, first 2 shown]
	s_waitcnt vmcnt(0) lgkmcnt(0)
	s_barrier
	buffer_gl0_inv
	ds_load_2addr_b64 v[19:22], v160 offset1:32
	ds_load_2addr_b64 v[23:26], v14 offset1:8
	ds_load_2addr_b64 v[27:30], v160 offset0:64 offset1:96
	ds_load_2addr_b64 v[31:34], v14 offset0:16 offset1:24
	;; [unrolled: 1-line block ×8, first 2 shown]
	ds_store_b16 v166, v17 offset:1024
	ds_store_b16 v166, v15 offset:1536
	;; [unrolled: 1-line block ×3, first 2 shown]
	scratch_store_b32 off, v166, off offset:340 ; 4-byte Folded Spill
	ds_store_b16 v166, v16 offset:3584
	s_waitcnt lgkmcnt(0)
	s_waitcnt_vscnt null, 0x0
	s_barrier
	buffer_gl0_inv
	v_pk_add_f16 v14, v19, v23
	v_pk_add_f16 v59, v21, v23
	;; [unrolled: 1-line block ×128, first 2 shown]
	v_pk_min_f16 v14, 0x7c00, v14 op_sel_hi:[0,1]
	v_pk_min_f16 v56, 0x7c00, v59 op_sel_hi:[0,1]
	;; [unrolled: 1-line block ×64, first 2 shown]
	v_pk_min_f16 v14, v14, v82
	v_pk_min_f16 v40, v56, v83
	;; [unrolled: 1-line block ×64, first 2 shown]
	s_cbranch_scc1 .LBB214_13
; %bb.10:
	scratch_load_b32 v10, off, off offset:340 ; 4-byte Folded Reload
	v_add_co_u32 v6, vcc_lo, s12, v6
	v_add_co_ci_u32_e32 v7, vcc_lo, s13, v7, vcc_lo
	v_add_co_u32 v2, vcc_lo, s12, v2
	v_add_co_ci_u32_e32 v3, vcc_lo, s13, v3, vcc_lo
	;; [unrolled: 2-line block ×3, first 2 shown]
	v_add_co_u32 v0, vcc_lo, s10, v0
	v_dual_mov_b32 v22, v9 :: v_dual_add_nc_u32 v183, 0x800, v159
	v_lshl_add_u32 v20, v158, 3, 0xc00
	v_add_co_ci_u32_e32 v1, vcc_lo, s11, v1, vcc_lo
	v_mov_b32_e32 v16, v31
	s_add_i32 s8, s8, -8
	s_mov_b32 s10, 0
	v_mov_b32_e32 v21, v8
	s_waitcnt vmcnt(0)
	v_dual_mov_b32 v27, v11 :: v_dual_add_nc_u32 v12, 0x800, v10
	s_clause 0x1
	scratch_store_b32 off, v12, off offset:344
	scratch_store_b32 off, v159, off offset:368
	v_add_nc_u32_e32 v12, 0x400, v10
	v_add_nc_u32_e32 v10, 0xc00, v10
	s_clause 0x2
	scratch_store_b32 off, v12, off offset:348
	scratch_store_b32 off, v10, off offset:352
	;; [unrolled: 1-line block ×3, first 2 shown]
	v_lshl_add_u32 v10, v157, 3, 0x400
	s_clause 0x1
	scratch_store_b32 off, v10, off offset:356
	scratch_store_b32 off, v158, off offset:364
.LBB214_11:                             ; =>This Inner Loop Header: Depth=1
	scratch_load_b32 v8, off, off offset:356 ; 4-byte Folded Reload
	v_add_co_u32 v224, vcc_lo, v2, v165
	v_add_co_ci_u32_e32 v225, vcc_lo, 0, v3, vcc_lo
	v_add_co_u32 v226, vcc_lo, v4, v165
	v_add_co_ci_u32_e32 v227, vcc_lo, 0, v5, vcc_lo
	;; [unrolled: 2-line block ×4, first 2 shown]
	v_mov_b32_e32 v119, v90
	v_mov_b32_e32 v111, v64
	v_mov_b32_e32 v115, v68
	v_pk_max_f16 v182, v182, v182
	v_pk_max_f16 v181, v181, v181
	;; [unrolled: 1-line block ×61, first 2 shown]
	v_add_co_u32 v6, vcc_lo, v6, 16
	v_add_co_ci_u32_e32 v7, vcc_lo, 0, v7, vcc_lo
	v_add_co_u32 v2, vcc_lo, v2, 16
	v_add_co_ci_u32_e32 v3, vcc_lo, 0, v3, vcc_lo
	;; [unrolled: 2-line block ×4, first 2 shown]
	s_add_i32 s10, s10, 8
	s_waitcnt vmcnt(0)
	ds_load_2addr_b64 v[207:210], v8 offset0:64 offset1:96
	ds_load_2addr_b64 v[28:31], v20 offset0:112 offset1:120
	ds_load_2addr_b64 v[211:214], v8 offset1:32
	ds_load_2addr_b64 v[129:132], v20 offset0:96 offset1:104
	ds_load_2addr_b64 v[145:148], v20 offset0:80 offset1:88
	;; [unrolled: 1-line block ×6, first 2 shown]
	ds_load_2addr_b64 v[215:218], v20 offset1:8
	s_cmp_ge_i32 s10, s8
	s_waitcnt lgkmcnt(8)
	v_pk_add_f16 v9, v209, v30
	s_waitcnt lgkmcnt(7)
	v_pk_add_f16 v8, v213, v30
	s_clause 0x1
	scratch_store_b32 off, v9, off offset:60
	scratch_store_b32 off, v8, off offset:76
	v_pk_add_f16 v9, v210, v31
	v_pk_add_f16 v8, v214, v31
	s_waitcnt lgkmcnt(2)
	v_pk_add_f16 v185, v211, v192
	v_pk_add_f16 v186, v209, v190
	;; [unrolled: 1-line block ×3, first 2 shown]
	s_clause 0x1
	scratch_store_b32 off, v9, off
	scratch_store_b32 off, v8, off offset:8
	v_pk_add_f16 v9, v207, v30
	v_pk_add_f16 v8, v211, v30
	v_pk_add_f16 v30, v207, v192
	v_pk_add_f16 v189, v213, v190
	s_waitcnt lgkmcnt(1)
	v_pk_add_f16 v194, v209, v205
	scratch_store_b32 off, v9, off offset:68 ; 4-byte Folded Spill
	v_pk_add_f16 v9, v208, v31
	scratch_store_b32 off, v8, off offset:84 ; 4-byte Folded Spill
	v_pk_add_f16 v8, v212, v31
	v_pk_add_f16 v199, v211, v205
	;; [unrolled: 1-line block ×3, first 2 shown]
	scratch_store_b32 off, v9, off offset:4 ; 4-byte Folded Spill
	v_pk_add_f16 v201, v207, v203
	scratch_store_b32 off, v8, off offset:12 ; 4-byte Folded Spill
	v_pk_add_f16 v8, v209, v28
	v_pk_add_f16 v31, v208, v204
	;; [unrolled: 1-line block ×4, first 2 shown]
	s_waitcnt lgkmcnt(0)
	v_pk_add_f16 v184, v208, v218
	scratch_store_b32 off, v8, off offset:92 ; 4-byte Folded Spill
	v_pk_add_f16 v8, v210, v29
	v_pk_add_f16 v187, v210, v216
	;; [unrolled: 1-line block ×5, first 2 shown]
	scratch_store_b32 off, v8, off offset:16 ; 4-byte Folded Spill
	v_pk_add_f16 v8, v207, v28
	v_pk_add_f16 v197, v213, v205
	;; [unrolled: 1-line block ×5, first 2 shown]
	scratch_store_b32 off, v8, off offset:100 ; 4-byte Folded Spill
	v_pk_add_f16 v8, v208, v29
	v_pk_add_f16 v195, v214, v216
	;; [unrolled: 1-line block ×3, first 2 shown]
	v_pk_min_f16 v30, v89, v30
	v_pk_min_f16 v89, v92, v185
	scratch_store_b32 off, v8, off offset:20 ; 4-byte Folded Spill
	v_pk_add_f16 v8, v213, v28
	v_pk_min_f16 v92, v94, v188
	v_pk_min_f16 v40, v40, v234
	;; [unrolled: 1-line block ×3, first 2 shown]
	scratch_store_b32 off, v8, off offset:108 ; 4-byte Folded Spill
	v_pk_add_f16 v8, v214, v29
	v_pk_min_f16 v40, v40, v195
	v_pk_min_f16 v14, v14, v198
	scratch_store_b32 off, v8, off offset:24 ; 4-byte Folded Spill
	v_pk_add_f16 v8, v211, v28
	v_pk_add_f16 v28, v213, v192
	scratch_store_b32 off, v8, off offset:116 ; 4-byte Folded Spill
	v_pk_add_f16 v8, v212, v29
	v_pk_add_f16 v29, v210, v218
	v_pk_min_f16 v28, v91, v28
	v_pk_min_f16 v91, v93, v186
	;; [unrolled: 1-line block ×3, first 2 shown]
	scratch_store_b32 off, v8, off offset:28 ; 4-byte Folded Spill
	v_pk_add_f16 v8, v209, v131
	v_pk_min_f16 v95, v97, v194
	v_pk_min_f16 v97, v99, v197
	;; [unrolled: 1-line block ×4, first 2 shown]
	scratch_store_b32 off, v8, off offset:124 ; 4-byte Folded Spill
	v_pk_add_f16 v8, v210, v132
	scratch_store_b32 off, v8, off offset:32 ; 4-byte Folded Spill
	v_pk_add_f16 v8, v207, v131
	scratch_store_b32 off, v8, off offset:132 ; 4-byte Folded Spill
	v_pk_add_f16 v8, v208, v132
	scratch_store_b32 off, v8, off offset:36 ; 4-byte Folded Spill
	v_pk_add_f16 v8, v213, v131
	scratch_store_b32 off, v8, off offset:140 ; 4-byte Folded Spill
	v_pk_add_f16 v8, v214, v132
	scratch_store_b32 off, v8, off offset:40 ; 4-byte Folded Spill
	v_pk_add_f16 v8, v211, v131
	v_pk_add_f16 v131, v207, v177
	scratch_store_b32 off, v8, off offset:148 ; 4-byte Folded Spill
	v_pk_add_f16 v8, v212, v132
	v_pk_min_f16 v85, v85, v131
	scratch_store_b32 off, v8, off offset:44 ; 4-byte Folded Spill
	v_pk_add_f16 v8, v209, v129
	scratch_store_b32 off, v8, off offset:156 ; 4-byte Folded Spill
	v_pk_add_f16 v8, v210, v130
	scratch_store_b32 off, v8, off offset:48 ; 4-byte Folded Spill
	v_pk_add_f16 v8, v207, v129
	scratch_store_b32 off, v8, off offset:164 ; 4-byte Folded Spill
	v_pk_add_f16 v8, v208, v130
	scratch_store_b32 off, v8, off offset:52 ; 4-byte Folded Spill
	v_pk_add_f16 v8, v213, v129
	scratch_store_b32 off, v8, off offset:172 ; 4-byte Folded Spill
	v_pk_add_f16 v8, v214, v130
	scratch_store_b32 off, v8, off offset:56 ; 4-byte Folded Spill
	v_pk_add_f16 v8, v211, v129
	v_pk_add_f16 v129, v213, v177
	scratch_store_b32 off, v8, off offset:180 ; 4-byte Folded Spill
	v_pk_add_f16 v8, v212, v130
	v_pk_min_f16 v86, v86, v129
	scratch_store_b32 off, v8, off offset:64 ; 4-byte Folded Spill
	v_pk_add_f16 v8, v209, v147
	;; [unrolled: 18-line block ×3, first 2 shown]
	scratch_store_b32 off, v8, off offset:220 ; 4-byte Folded Spill
	v_pk_add_f16 v8, v210, v146
	scratch_store_b32 off, v8, off offset:104 ; 4-byte Folded Spill
	v_pk_add_f16 v8, v207, v145
	;; [unrolled: 2-line block ×6, first 2 shown]
	v_pk_add_f16 v145, v209, v177
	v_pk_add_f16 v177, v211, v177
	scratch_store_b32 off, v8, off offset:244 ; 4-byte Folded Spill
	v_pk_add_f16 v8, v212, v146
	v_pk_min_f16 v84, v84, v145
	v_pk_min_f16 v87, v87, v177
	scratch_store_b32 off, v8, off offset:128 ; 4-byte Folded Spill
	v_pk_add_f16 v8, v209, v163
	scratch_store_b32 off, v8, off offset:252 ; 4-byte Folded Spill
	v_pk_add_f16 v8, v210, v164
	;; [unrolled: 2-line block ×7, first 2 shown]
	v_pk_add_f16 v163, v207, v179
	scratch_store_b32 off, v8, off offset:276 ; 4-byte Folded Spill
	v_pk_add_f16 v8, v212, v164
	v_pk_add_f16 v164, v210, v204
	v_pk_min_f16 v81, v81, v163
	scratch_store_b32 off, v8, off offset:160 ; 4-byte Folded Spill
	v_pk_add_f16 v8, v209, v161
	v_pk_min_f16 v99, v99, v164
	scratch_store_b32 off, v8, off offset:284 ; 4-byte Folded Spill
	v_pk_add_f16 v8, v210, v162
	scratch_store_b32 off, v8, off offset:168 ; 4-byte Folded Spill
	v_pk_add_f16 v8, v207, v161
	v_pk_add_f16 v207, v207, v215
	scratch_store_b32 off, v8, off offset:292 ; 4-byte Folded Spill
	v_pk_add_f16 v8, v208, v162
	scratch_store_b32 off, v8, off offset:176 ; 4-byte Folded Spill
	;; [unrolled: 2-line block ×4, first 2 shown]
	v_pk_add_f16 v8, v211, v161
	v_pk_add_f16 v161, v213, v179
	scratch_store_b32 off, v8, off offset:308 ; 4-byte Folded Spill
	v_pk_add_f16 v8, v212, v162
	v_pk_min_f16 v82, v82, v161
	scratch_store_b32 off, v8, off offset:192 ; 4-byte Folded Spill
	v_pk_add_f16 v8, v209, v179
	v_pk_add_f16 v179, v209, v192
	;; [unrolled: 1-line block ×4, first 2 shown]
	scratch_store_b32 off, v8, off offset:316 ; 4-byte Folded Spill
	v_pk_add_f16 v8, v210, v180
	v_pk_min_f16 v94, v96, v192
	v_pk_min_f16 v96, v98, v196
	;; [unrolled: 1-line block ×4, first 2 shown]
	scratch_store_b32 off, v8, off offset:200 ; 4-byte Folded Spill
	v_pk_add_f16 v8, v208, v180
	v_pk_min_f16 v102, v104, v203
	v_pk_min_f16 v104, v106, v205
	;; [unrolled: 1-line block ×4, first 2 shown]
	scratch_store_b32 off, v8, off offset:208 ; 4-byte Folded Spill
	v_pk_add_f16 v8, v214, v180
	v_pk_min_f16 v88, v88, v179
	v_pk_min_f16 v31, v100, v31
	scratch_store_b32 off, v8, off offset:216 ; 4-byte Folded Spill
	v_pk_add_f16 v8, v212, v180
	v_pk_add_f16 v180, v212, v204
	scratch_store_b32 off, v8, off offset:224 ; 4-byte Folded Spill
	v_pk_add_f16 v8, v210, v178
	scratch_store_b32 off, v8, off offset:232 ; 4-byte Folded Spill
	;; [unrolled: 2-line block ×4, first 2 shown]
	v_pk_add_f16 v8, v212, v178
	v_pk_add_f16 v178, v214, v204
	;; [unrolled: 1-line block ×3, first 2 shown]
	scratch_store_b32 off, v8, off offset:256 ; 4-byte Folded Spill
	v_pk_add_f16 v8, v210, v193
	v_pk_min_f16 v103, v105, v204
	v_pk_min_f16 v105, v107, v232
	;; [unrolled: 1-line block ×4, first 2 shown]
	scratch_store_b32 off, v8, off offset:264 ; 4-byte Folded Spill
	v_pk_add_f16 v8, v208, v193
	v_pk_min_f16 v29, v103, v29
	v_pk_min_f16 v102, v104, v184
	;; [unrolled: 1-line block ×3, first 2 shown]
	scratch_store_b32 off, v8, off offset:272 ; 4-byte Folded Spill
	v_pk_add_f16 v8, v214, v193
	scratch_store_b32 off, v8, off offset:280 ; 4-byte Folded Spill
	v_pk_add_f16 v8, v212, v193
	v_pk_add_f16 v193, v214, v218
	scratch_store_b32 off, v8, off offset:288 ; 4-byte Folded Spill
	v_pk_add_f16 v8, v210, v191
	v_pk_min_f16 v103, v105, v193
	scratch_store_b32 off, v8, off offset:296 ; 4-byte Folded Spill
	v_pk_add_f16 v8, v208, v191
	scratch_store_b32 off, v8, off offset:304 ; 4-byte Folded Spill
	v_pk_add_f16 v8, v214, v191
	;; [unrolled: 2-line block ×3, first 2 shown]
	v_pk_add_f16 v191, v212, v218
	scratch_store_b32 off, v8, off offset:320 ; 4-byte Folded Spill
	v_pk_add_f16 v8, v210, v206
	v_pk_min_f16 v106, v106, v191
	scratch_store_b32 off, v8, off offset:324 ; 4-byte Folded Spill
	v_pk_add_f16 v8, v208, v206
	scratch_store_b32 off, v8, off offset:328 ; 4-byte Folded Spill
	v_pk_add_f16 v8, v214, v206
	;; [unrolled: 2-line block ×3, first 2 shown]
	v_pk_add_f16 v206, v209, v215
	scratch_store_b32 off, v8, off offset:336 ; 4-byte Folded Spill
	flat_load_u16 v208, v[228:229] offset:16
	flat_load_u16 v209, v[226:227] offset:16
	;; [unrolled: 1-line block ×4, first 2 shown]
	scratch_load_b32 v8, off, off offset:340 ; 4-byte Folded Reload
	v_pk_min_f16 v107, v109, v206
	s_waitcnt vmcnt(0) lgkmcnt(3)
	ds_store_b16 v8, v208
	s_waitcnt lgkmcnt(3)
	ds_store_b16 v8, v209 offset:512
	scratch_load_b32 v8, off, off offset:344 ; 4-byte Folded Reload
	v_pk_min_f16 v105, v107, v187
	s_waitcnt vmcnt(0) lgkmcnt(3)
	ds_store_b16 v8, v210
	s_waitcnt lgkmcnt(3)
	ds_store_b16 v8, v211 offset:512
	s_waitcnt lgkmcnt(0)
	s_waitcnt_vscnt null, 0x0
	s_barrier
	buffer_gl0_inv
	ds_load_2addr_b64 v[212:215], v160 offset1:32
	ds_load_2addr_b64 v[216:219], v183 offset1:8
	ds_load_2addr_b64 v[220:223], v160 offset0:64 offset1:96
	s_waitcnt lgkmcnt(1)
	v_pk_add_f16 v208, v212, v216
	v_pk_add_f16 v209, v214, v216
	s_waitcnt lgkmcnt(0)
	v_pk_add_f16 v210, v220, v216
	v_pk_add_f16 v211, v222, v216
	;; [unrolled: 1-line block ×14, first 2 shown]
	ds_load_2addr_b64 v[216:219], v183 offset0:16 offset1:24
	v_pk_min_f16 v14, v14, v208
	v_pk_min_f16 v40, v40, v209
	;; [unrolled: 1-line block ×13, first 2 shown]
	s_waitcnt lgkmcnt(0)
	v_pk_add_f16 v248, v212, v216
	v_pk_add_f16 v249, v214, v216
	;; [unrolled: 1-line block ×16, first 2 shown]
	ds_load_2addr_b64 v[216:219], v183 offset0:32 offset1:40
	v_pk_min_f16 v101, v101, v248
	v_pk_min_f16 v100, v100, v249
	v_pk_min_f16 v31, v31, v250
	v_pk_min_f16 v99, v99, v251
	s_delay_alu instid0(VALU_DEP_3) | instskip(NEXT) | instid1(VALU_DEP_3)
	v_pk_min_f16 v103, v100, v148
	v_pk_min_f16 v102, v31, v146
	s_waitcnt lgkmcnt(0)
	v_pk_add_f16 v19, v212, v216
	v_pk_add_f16 v12, v214, v216
	v_pk_add_f16 v48, v220, v216
	v_pk_add_f16 v49, v222, v216
	v_pk_add_f16 v50, v212, v218
	v_pk_add_f16 v51, v214, v218
	v_pk_add_f16 v52, v220, v218
	v_pk_add_f16 v53, v222, v218
	v_pk_add_f16 v54, v213, v217
	v_pk_add_f16 v55, v215, v217
	v_pk_add_f16 v56, v221, v217
	v_pk_add_f16 v57, v223, v217
	v_pk_add_f16 v58, v213, v219
	v_pk_add_f16 v32, v215, v219
	v_pk_add_f16 v59, v221, v219
	v_pk_add_f16 v33, v223, v219
	ds_load_2addr_b64 v[216:219], v183 offset0:48 offset1:56
	s_waitcnt lgkmcnt(0)
	v_pk_add_f16 v34, v212, v216
	v_pk_add_f16 v60, v214, v216
	v_pk_add_f16 v35, v220, v216
	v_pk_add_f16 v36, v222, v216
	v_pk_add_f16 v37, v212, v218
	v_pk_add_f16 v61, v214, v218
	v_pk_add_f16 v38, v220, v218
	v_pk_add_f16 v39, v222, v218
	v_pk_add_f16 v41, v213, v217
	v_pk_add_f16 v62, v215, v217
	v_pk_add_f16 v43, v221, v217
	v_pk_add_f16 v44, v223, v217
	v_pk_add_f16 v63, v213, v219
	v_pk_add_f16 v90, v215, v219
	v_pk_add_f16 v64, v221, v219
	v_pk_add_f16 v65, v223, v219
	ds_load_2addr_b64 v[216:219], v183 offset0:64 offset1:72
	;; [unrolled: 18-line block ×5, first 2 shown]
	s_waitcnt lgkmcnt(0)
	v_pk_add_f16 v167, v212, v216
	v_pk_add_f16 v168, v214, v216
	;; [unrolled: 1-line block ×16, first 2 shown]
	flat_load_u16 v223, v[226:227] offset:24
	flat_load_u16 v226, v[228:229] offset:24
	v_pk_max_f16 v229, v120, v120
	flat_load_u16 v224, v[224:225] offset:24
	flat_load_u16 v225, v[230:231] offset:24
	scratch_load_b32 v120, off, off offset:60 ; 4-byte Folded Reload
	v_pk_max_f16 v228, v123, v123
	v_pk_max_f16 v227, v124, v124
	s_clause 0x1
	scratch_load_b32 v109, off, off
	scratch_load_b32 v110, off, off offset:4
	s_waitcnt vmcnt(2)
	v_pk_min_f16 v182, v182, v120
	scratch_load_b32 v120, off, off offset:68 ; 4-byte Folded Reload
	s_waitcnt vmcnt(0)
	v_pk_min_f16 v181, v181, v120
	scratch_load_b32 v120, off, off offset:76 ; 4-byte Folded Reload
	;; [unrolled: 3-line block ×33, first 2 shown]
	v_pk_min_f16 v109, v182, v109
	v_pk_min_f16 v110, v181, v110
	s_waitcnt vmcnt(0)
	v_pk_min_f16 v129, v176, v120
	scratch_load_b32 v120, off, off offset:12 ; 4-byte Folded Reload
	s_waitcnt vmcnt(0)
	v_pk_min_f16 v131, v175, v120
	scratch_load_b32 v120, off, off offset:16 ; 4-byte Folded Reload
	;; [unrolled: 3-line block ×6, first 2 shown]
	v_pk_min_f16 v21, v21, v167
	s_delay_alu instid0(VALU_DEP_1) | instskip(SKIP_4) | instid1(VALU_DEP_1)
	v_pk_min_f16 v21, v21, v169
	s_waitcnt vmcnt(0)
	v_pk_min_f16 v22, v22, v120
	scratch_load_b32 v120, off, off offset:36 ; 4-byte Folded Reload
	v_pk_min_f16 v22, v22, v157
	v_pk_min_f16 v22, v22, v166
	s_waitcnt vmcnt(0)
	v_pk_min_f16 v23, v23, v120
	scratch_load_b32 v120, off, off offset:40 ; 4-byte Folded Reload
	v_pk_min_f16 v23, v23, v42
	v_pk_min_f16 v42, v161, v168
	s_delay_alu instid0(VALU_DEP_2) | instskip(SKIP_4) | instid1(VALU_DEP_1)
	v_pk_min_f16 v23, v23, v11
	s_waitcnt vmcnt(0)
	v_pk_min_f16 v24, v24, v120
	scratch_load_b32 v120, off, off offset:44 ; 4-byte Folded Reload
	v_pk_min_f16 v24, v24, v156
	v_pk_min_f16 v24, v24, v77
	s_waitcnt vmcnt(0)
	v_pk_min_f16 v25, v25, v120
	scratch_load_b32 v120, off, off offset:48 ; 4-byte Folded Reload
	v_pk_min_f16 v25, v25, v155
	s_delay_alu instid0(VALU_DEP_1)
	v_pk_min_f16 v25, v25, v76
	s_waitcnt vmcnt(0)
	v_pk_min_f16 v26, v26, v120
	scratch_load_b32 v120, off, off offset:52 ; 4-byte Folded Reload
	v_pk_min_f16 v26, v26, v74
	v_pk_min_f16 v74, v147, v78
	;; [unrolled: 1-line block ×3, first 2 shown]
	s_delay_alu instid0(VALU_DEP_3) | instskip(NEXT) | instid1(VALU_DEP_2)
	v_pk_min_f16 v26, v26, v13
	v_pk_min_f16 v174, v78, v217
	s_waitcnt vmcnt(0)
	v_pk_min_f16 v27, v27, v120
	scratch_load_b32 v120, off, off offset:56 ; 4-byte Folded Reload
	v_pk_min_f16 v27, v27, v154
	s_delay_alu instid0(VALU_DEP_1) | instskip(SKIP_4) | instid1(VALU_DEP_1)
	v_pk_min_f16 v27, v27, v159
	s_waitcnt vmcnt(0)
	v_pk_min_f16 v45, v45, v120
	scratch_load_b32 v120, off, off offset:64 ; 4-byte Folded Reload
	v_pk_min_f16 v45, v45, v153
	v_pk_min_f16 v45, v45, v158
	s_waitcnt vmcnt(0)
	v_pk_min_f16 v46, v46, v120
	scratch_load_b32 v120, off, off offset:72 ; 4-byte Folded Reload
	v_pk_min_f16 v46, v46, v152
	s_delay_alu instid0(VALU_DEP_1) | instskip(SKIP_4) | instid1(VALU_DEP_1)
	v_pk_min_f16 v46, v46, v75
	s_waitcnt vmcnt(0)
	v_pk_min_f16 v47, v47, v120
	scratch_load_b32 v120, off, off offset:80 ; 4-byte Folded Reload
	v_pk_min_f16 v47, v47, v141
	v_pk_min_f16 v47, v47, v151
	s_waitcnt vmcnt(0)
	v_pk_min_f16 v111, v111, v120
	scratch_load_b32 v120, off, off offset:88 ; 4-byte Folded Reload
	v_pk_min_f16 v71, v111, v71
	v_pk_min_f16 v111, v131, v212
	s_delay_alu instid0(VALU_DEP_1) | instskip(SKIP_4) | instid1(VALU_DEP_1)
	v_pk_min_f16 v175, v111, v213
	s_waitcnt vmcnt(0)
	v_pk_min_f16 v112, v112, v120
	scratch_load_b32 v120, off, off offset:96 ; 4-byte Folded Reload
	v_pk_min_f16 v112, v112, v140
	v_pk_min_f16 v112, v112, v149
	s_waitcnt vmcnt(0)
	v_pk_min_f16 v113, v113, v120
	scratch_load_b32 v120, off, off offset:104 ; 4-byte Folded Reload
	v_pk_min_f16 v113, v113, v139
	s_delay_alu instid0(VALU_DEP_1) | instskip(SKIP_4) | instid1(VALU_DEP_1)
	v_pk_min_f16 v113, v113, v73
	s_waitcnt vmcnt(0)
	v_pk_min_f16 v114, v114, v120
	scratch_load_b32 v120, off, off offset:112 ; 4-byte Folded Reload
	v_pk_min_f16 v114, v114, v138
	v_pk_min_f16 v114, v114, v72
	s_waitcnt vmcnt(0)
	v_pk_min_f16 v115, v115, v120
	scratch_load_b32 v120, off, off offset:120 ; 4-byte Folded Reload
	v_pk_min_f16 v70, v115, v70
	;; [unrolled: 23-line block ×3, first 2 shown]
	v_pk_min_f16 v119, v110, v220
	v_pk_min_f16 v110, v104, v242
	;; [unrolled: 1-line block ×4, first 2 shown]
	s_delay_alu instid0(VALU_DEP_4) | instskip(SKIP_4) | instid1(VALU_DEP_1)
	v_pk_min_f16 v181, v119, v221
	s_waitcnt vmcnt(0)
	v_pk_min_f16 v16, v16, v120
	scratch_load_b32 v120, off, off offset:160 ; 4-byte Folded Reload
	v_pk_min_f16 v16, v16, v10
	v_pk_min_f16 v16, v16, v133
	s_waitcnt vmcnt(0)
	v_pk_min_f16 v163, v229, v120
	scratch_load_b32 v120, off, off offset:168 ; 4-byte Folded Reload
	s_waitcnt vmcnt(0)
	v_pk_min_f16 v172, v228, v120
	scratch_load_b32 v120, off, off offset:176 ; 4-byte Folded Reload
	;; [unrolled: 3-line block ×3, first 2 shown]
	v_pk_min_f16 v66, v173, v66
	v_pk_min_f16 v173, v74, v222
	s_delay_alu instid0(VALU_DEP_2)
	v_pk_min_f16 v124, v66, v128
	s_waitcnt vmcnt(0)
	v_pk_min_f16 v171, v171, v120
	scratch_load_b32 v120, off, off offset:192 ; 4-byte Folded Reload
	s_waitcnt vmcnt(0)
	v_pk_min_f16 v79, v79, v120
	scratch_load_b32 v120, off, off offset:200 ; 4-byte Folded Reload
	;; [unrolled: 3-line block ×3, first 2 shown]
	v_pk_min_f16 v39, v80, v39
	s_delay_alu instid0(VALU_DEP_1) | instskip(SKIP_4) | instid1(VALU_DEP_1)
	v_pk_min_f16 v80, v39, v65
	s_waitcnt vmcnt(0)
	v_pk_min_f16 v81, v81, v120
	scratch_load_b32 v120, off, off offset:216 ; 4-byte Folded Reload
	v_pk_min_f16 v38, v81, v38
	v_pk_min_f16 v81, v38, v64
	;; [unrolled: 1-line block ×3, first 2 shown]
	s_waitcnt vmcnt(0)
	v_pk_min_f16 v82, v82, v120
	scratch_load_b32 v120, off, off offset:224 ; 4-byte Folded Reload
	s_waitcnt vmcnt(0)
	v_pk_min_f16 v83, v83, v120
	scratch_load_b32 v120, off, off offset:232 ; 4-byte Folded Reload
	v_pk_min_f16 v37, v83, v37
	s_delay_alu instid0(VALU_DEP_1) | instskip(SKIP_4) | instid1(VALU_DEP_1)
	v_pk_min_f16 v83, v37, v63
	s_waitcnt vmcnt(0)
	v_pk_min_f16 v84, v84, v120
	scratch_load_b32 v120, off, off offset:240 ; 4-byte Folded Reload
	v_pk_min_f16 v36, v84, v36
	v_pk_min_f16 v84, v36, v44
	s_waitcnt vmcnt(0)
	v_pk_min_f16 v85, v85, v120
	scratch_load_b32 v120, off, off offset:248 ; 4-byte Folded Reload
	v_pk_min_f16 v35, v85, v35
	s_delay_alu instid0(VALU_DEP_1)
	v_pk_min_f16 v85, v35, v43
	s_waitcnt vmcnt(0)
	v_pk_min_f16 v86, v86, v120
	scratch_load_b32 v120, off, off offset:256 ; 4-byte Folded Reload
	s_waitcnt vmcnt(0)
	v_pk_min_f16 v87, v87, v120
	scratch_load_b32 v120, off, off offset:264 ; 4-byte Folded Reload
	v_pk_min_f16 v34, v87, v34
	s_delay_alu instid0(VALU_DEP_1)
	v_pk_min_f16 v87, v34, v41
	s_waitcnt vmcnt(0)
	v_pk_min_f16 v88, v88, v120
	scratch_load_b32 v120, off, off offset:272 ; 4-byte Folded Reload
	s_waitcnt vmcnt(0)
	v_pk_min_f16 v30, v30, v120
	scratch_load_b32 v120, off, off offset:280 ; 4-byte Folded Reload
	v_pk_min_f16 v30, v30, v52
	v_pk_min_f16 v52, v86, v60
	;; [unrolled: 1-line block ×3, first 2 shown]
	scratch_load_b32 v8, off, off offset:348 ; 4-byte Folded Reload
	v_pk_min_f16 v86, v52, v62
	v_pk_min_f16 v79, v60, v126
	s_waitcnt vmcnt(1)
	v_pk_min_f16 v28, v28, v120
	scratch_load_b32 v120, off, off offset:288 ; 4-byte Folded Reload
	v_pk_min_f16 v28, v28, v51
	v_pk_min_f16 v51, v88, v53
	v_pk_min_f16 v53, v82, v61
	v_pk_min_f16 v61, v171, v121
	v_pk_min_f16 v121, v163, v9
	s_delay_alu instid0(VALU_DEP_4) | instskip(NEXT) | instid1(VALU_DEP_4)
	v_pk_min_f16 v88, v51, v33
	v_pk_min_f16 v82, v53, v90
	s_delay_alu instid0(VALU_DEP_4)
	v_pk_min_f16 v171, v61, v127
	v_pk_min_f16 v90, v67, v134
	s_waitcnt vmcnt(0)
	v_pk_min_f16 v89, v89, v120
	scratch_load_b32 v120, off, off offset:296 ; 4-byte Folded Reload
	v_pk_min_f16 v50, v89, v50
	v_pk_min_f16 v89, v30, v59
	s_waitcnt vmcnt(0)
	v_pk_min_f16 v91, v91, v120
	scratch_load_b32 v120, off, off offset:304 ; 4-byte Folded Reload
	;; [unrolled: 5-line block ×6, first 2 shown]
	v_pk_min_f16 v95, v95, v255
	s_waitcnt vmcnt(0)
	v_pk_min_f16 v96, v96, v120
	scratch_load_b32 v120, off, off offset:332 ; 4-byte Folded Reload
	v_pk_min_f16 v96, v96, v254
	s_waitcnt vmcnt(0)
	v_pk_min_f16 v97, v97, v120
	scratch_load_b32 v120, off, off offset:336 ; 4-byte Folded Reload
	s_waitcnt lgkmcnt(2)
	ds_store_b16 v8, v226
	ds_store_b16 v8, v223 offset:512
	scratch_load_b32 v8, off, off offset:352 ; 4-byte Folded Reload
	s_waitcnt vmcnt(0) lgkmcnt(3)
	ds_store_b16 v8, v224
	s_waitcnt lgkmcnt(3)
	ds_store_b16 v8, v225 offset:512
	v_pk_min_f16 v98, v98, v120
	v_pk_min_f16 v97, v97, v253
	v_pk_min_f16 v120, v172, v122
	v_pk_min_f16 v122, v109, v218
	v_pk_min_f16 v109, v105, v243
	v_pk_min_f16 v98, v98, v252
	v_pk_min_f16 v105, v29, v247
	v_pk_min_f16 v99, v97, v15
	v_pk_min_f16 v97, v95, v18
	v_pk_min_f16 v95, v12, v55
	v_pk_min_f16 v100, v98, v130
	v_pk_min_f16 v98, v96, v17
	v_pk_min_f16 v96, v19, v54
	v_pk_min_f16 v123, v120, v68
	v_pk_min_f16 v120, v121, v69
	v_pk_min_f16 v68, v70, v144
	v_pk_min_f16 v172, v42, v170
	v_pk_min_f16 v182, v122, v219
	s_waitcnt lgkmcnt(0)
	s_barrier
	buffer_gl0_inv
	s_cbranch_scc0 .LBB214_11
; %bb.12:
	s_clause 0x2
	scratch_load_b32 v157, off, off offset:360
	scratch_load_b32 v158, off, off offset:364
	;; [unrolled: 1-line block ×3, first 2 shown]
	s_branch .LBB214_14
.LBB214_13:
	v_dual_mov_b32 v21, v8 :: v_dual_mov_b32 v22, v9
	v_mov_b32_e32 v27, v11
	v_mov_b32_e32 v16, v31
.LBB214_14:
	s_load_b32 s8, s[0:1], 0x50
	s_waitcnt vmcnt(1)
	v_dual_mov_b32 v38, 0 :: v_dual_add_nc_u32 v43, s3, v158
	v_dual_mov_b32 v65, v112 :: v_dual_mov_b32 v62, v46
	v_dual_mov_b32 v63, v47 :: v_dual_mov_b32 v72, v16
	ds_load_b64 v[34:35], v160 offset:1024
	s_waitcnt vmcnt(0)
	ds_load_b64 v[46:47], v159 offset:3072
	v_dual_mov_b32 v39, 0 :: v_dual_add_nc_u32 v50, s14, v157
	v_cmp_neq_f16_e64 s10, s9, 0
	v_dual_mov_b32 v71, v118 :: v_dual_mov_b32 v70, v117
	s_delay_alu instid0(VALU_DEP_3) | instskip(SKIP_2) | instid1(VALU_DEP_3)
	v_ashrrev_i32_e32 v51, 31, v50
	v_dual_mov_b32 v69, v116 :: v_dual_mov_b32 v66, v113
	v_dual_mov_b32 v67, v114 :: v_dual_mov_b32 v60, v27
	v_lshlrev_b64 v[36:37], 1, v[50:51]
	s_waitcnt lgkmcnt(0)
	v_mad_i64_i32 v[0:1], null, v43, s8, 0
	v_dual_mov_b32 v59, v26 :: v_dual_mov_b32 v58, v25
	v_dual_mov_b32 v57, v24 :: v_dual_mov_b32 v56, v23
	;; [unrolled: 1-line block ×3, first 2 shown]
	s_delay_alu instid0(VALU_DEP_4) | instskip(SKIP_1) | instid1(VALU_DEP_1)
	v_lshlrev_b64 v[0:1], 1, v[0:1]
	s_and_b32 vcc_lo, exec_lo, s10
	v_add_co_u32 v111, s3, s4, v0
	s_delay_alu instid0(VALU_DEP_1)
	v_add_co_ci_u32_e64 v112, s3, s5, v1, s3
	s_cbranch_vccz .LBB214_16
; %bb.15:
	s_delay_alu instid0(VALU_DEP_2) | instskip(NEXT) | instid1(VALU_DEP_2)
	v_add_co_u32 v0, vcc_lo, v111, v36
	v_add_co_ci_u32_e32 v1, vcc_lo, v112, v37, vcc_lo
	flat_load_u16 v0, v[0:1]
	s_waitcnt vmcnt(0) lgkmcnt(0)
	v_mul_f16_e32 v39, s9, v0
.LBB214_16:
	s_clause 0x1
	s_load_b32 s3, s[0:1], 0x68
	s_load_b64 s[12:13], s[0:1], 0x70
	v_dual_mov_b32 v61, v45 :: v_dual_add_nc_u32 v4, 0x800, v159
	v_pk_add_f16 v5, v34, v46
	v_pk_max_f16 v6, v14, v14
	ds_load_2addr_b64 v[0:3], v160 offset0:160 offset1:192
	ds_load_b64 v[48:49], v160 offset:1792
	ds_load_b64 v[32:33], v159 offset:4032
	ds_load_2addr_b64 v[28:31], v4 offset0:136 offset1:144
	ds_load_2addr_b64 v[24:27], v4 offset0:152 offset1:160
	;; [unrolled: 1-line block ×3, first 2 shown]
	v_pk_add_f16 v41, v35, v47
	v_pk_min_f16 v44, v6, v5
	ds_load_2addr_b64 v[16:19], v4 offset0:184 offset1:192
	ds_load_2addr_b64 v[12:15], v4 offset0:200 offset1:208
	;; [unrolled: 1-line block ×4, first 2 shown]
	v_add_nc_u32_e32 v115, 32, v50
	v_cndmask_b32_e64 v42, 0, 1, s10
	v_pk_min_f16 v41, v44, v41
	s_delay_alu instid0(VALU_DEP_3) | instskip(NEXT) | instid1(VALU_DEP_3)
	v_ashrrev_i32_e32 v116, 31, v115
	v_cmp_ne_u32_e64 s0, 1, v42
	s_delay_alu instid0(VALU_DEP_3)
	v_lshrrev_b32_e32 v42, 16, v41
	s_waitcnt lgkmcnt(0)
	v_mad_i64_i32 v[113:114], null, v43, s3, 0
	s_lshl_b64 s[12:13], s[12:13], 1
	v_lshlrev_b64 v[52:53], 1, v[115:116]
	s_add_u32 s1, s6, s12
	s_addc_u32 s6, s7, s13
	v_min3_f16 v39, v39, v41, v42
	s_delay_alu instid0(VALU_DEP_3) | instskip(NEXT) | instid1(VALU_DEP_1)
	v_lshlrev_b64 v[113:114], 1, v[113:114]
	v_add_co_u32 v113, vcc_lo, s1, v113
	s_delay_alu instid0(VALU_DEP_2) | instskip(NEXT) | instid1(VALU_DEP_2)
	v_add_co_ci_u32_e32 v114, vcc_lo, s6, v114, vcc_lo
	v_add_co_u32 v117, vcc_lo, v113, v36
	s_delay_alu instid0(VALU_DEP_2)
	v_add_co_ci_u32_e32 v118, vcc_lo, v114, v37, vcc_lo
	s_and_not1_b32 vcc_lo, exec_lo, s10
	global_store_b16 v[117:118], v39, off
	s_cbranch_vccnz .LBB214_18
; %bb.17:
	v_add_co_u32 v115, vcc_lo, v111, v52
	v_add_co_ci_u32_e32 v116, vcc_lo, v112, v53, vcc_lo
	flat_load_u16 v38, v[115:116]
	s_waitcnt vmcnt(0) lgkmcnt(0)
	v_mul_f16_e32 v38, s9, v38
.LBB214_18:
	v_pk_add_f16 v39, v0, v46
	v_pk_max_f16 v40, v40, v40
	v_pk_add_f16 v41, v1, v47
	v_dual_mov_b32 v115, 0 :: v_dual_add_nc_u32 v116, 64, v50
	v_add_co_u32 v118, vcc_lo, v113, v52
	s_delay_alu instid0(VALU_DEP_4) | instskip(NEXT) | instid1(VALU_DEP_3)
	v_pk_min_f16 v39, v40, v39
	v_ashrrev_i32_e32 v117, 31, v116
	v_add_co_ci_u32_e32 v119, vcc_lo, v114, v53, vcc_lo
	v_mov_b32_e32 v45, 0
	s_delay_alu instid0(VALU_DEP_4) | instskip(SKIP_1) | instid1(VALU_DEP_1)
	v_pk_min_f16 v39, v39, v41
	s_and_b32 vcc_lo, exec_lo, s0
	v_lshrrev_b32_e32 v40, 16, v39
	s_delay_alu instid0(VALU_DEP_1)
	v_min3_f16 v40, v38, v39, v40
	v_lshlrev_b64 v[38:39], 1, v[116:117]
	global_store_b16 v[118:119], v40, off
	s_cbranch_vccnz .LBB214_20
; %bb.19:
	v_add_co_u32 v116, vcc_lo, v111, v38
	v_add_co_ci_u32_e32 v117, vcc_lo, v112, v39, vcc_lo
	flat_load_u16 v40, v[116:117]
	s_waitcnt vmcnt(0) lgkmcnt(0)
	v_mul_f16_e32 v45, s9, v40
.LBB214_20:
	v_pk_add_f16 v40, v2, v46
	v_pk_max_f16 v41, v110, v110
	v_pk_add_f16 v42, v3, v47
	v_add_nc_u32_e32 v116, 0x60, v50
	v_add_co_u32 v118, vcc_lo, v113, v38
	s_delay_alu instid0(VALU_DEP_4) | instskip(SKIP_1) | instid1(VALU_DEP_4)
	v_pk_min_f16 v40, v41, v40
	v_add_co_ci_u32_e32 v119, vcc_lo, v114, v39, vcc_lo
	v_ashrrev_i32_e32 v117, 31, v116
	s_and_b32 vcc_lo, exec_lo, s0
	s_delay_alu instid0(VALU_DEP_3) | instskip(NEXT) | instid1(VALU_DEP_2)
	v_pk_min_f16 v40, v40, v42
	v_lshlrev_b64 v[50:51], 1, v[116:117]
	s_delay_alu instid0(VALU_DEP_2) | instskip(NEXT) | instid1(VALU_DEP_1)
	v_lshrrev_b32_e32 v41, 16, v40
	v_min3_f16 v40, v45, v40, v41
	global_store_b16 v[118:119], v40, off
	s_cbranch_vccnz .LBB214_22
; %bb.21:
	v_add_co_u32 v110, vcc_lo, v111, v50
	v_add_co_ci_u32_e32 v111, vcc_lo, v112, v51, vcc_lo
	flat_load_u16 v40, v[110:111]
	s_waitcnt vmcnt(0) lgkmcnt(0)
	v_mul_f16_e32 v115, s9, v40
.LBB214_22:
	v_add_nc_u32_e32 v111, 8, v43
	v_pk_add_f16 v40, v48, v46
	v_pk_max_f16 v41, v109, v109
	v_pk_add_f16 v42, v49, v47
	v_add_co_u32 v113, vcc_lo, v113, v50
	v_mad_i64_i32 v[109:110], null, v111, s8, 0
	s_delay_alu instid0(VALU_DEP_4) | instskip(SKIP_3) | instid1(VALU_DEP_4)
	v_pk_min_f16 v40, v41, v40
	v_add_co_ci_u32_e32 v114, vcc_lo, v114, v51, vcc_lo
	v_mov_b32_e32 v112, 0
	v_mov_b32_e32 v44, v61
	v_pk_min_f16 v40, v40, v42
	v_lshlrev_b64 v[46:47], 1, v[109:110]
	v_mov_b32_e32 v110, 0
	s_delay_alu instid0(VALU_DEP_3) | instskip(NEXT) | instid1(VALU_DEP_3)
	v_lshrrev_b32_e32 v41, 16, v40
	v_add_co_u32 v46, vcc_lo, s4, v46
	s_delay_alu instid0(VALU_DEP_4) | instskip(NEXT) | instid1(VALU_DEP_3)
	v_add_co_ci_u32_e32 v47, vcc_lo, s5, v47, vcc_lo
	v_min3_f16 v40, v115, v40, v41
	s_and_b32 vcc_lo, exec_lo, s0
	global_store_b16 v[113:114], v40, off
	s_cbranch_vccnz .LBB214_24
; %bb.23:
	v_add_co_u32 v112, vcc_lo, v46, v36
	v_add_co_ci_u32_e32 v113, vcc_lo, v47, v37, vcc_lo
	flat_load_u16 v40, v[112:113]
	s_waitcnt vmcnt(0) lgkmcnt(0)
	v_mul_f16_e32 v112, s9, v40
.LBB214_24:
	v_pk_max_f16 v41, v108, v108
	v_mad_i64_i32 v[108:109], null, v111, s3, 0
	v_pk_add_f16 v40, v34, v28
	v_pk_add_f16 v42, v35, v29
	s_delay_alu instid0(VALU_DEP_2) | instskip(NEXT) | instid1(VALU_DEP_4)
	v_pk_min_f16 v40, v41, v40
	v_lshlrev_b64 v[108:109], 1, v[108:109]
	s_delay_alu instid0(VALU_DEP_2) | instskip(NEXT) | instid1(VALU_DEP_2)
	v_pk_min_f16 v40, v40, v42
	v_add_co_u32 v108, vcc_lo, s1, v108
	s_delay_alu instid0(VALU_DEP_3) | instskip(NEXT) | instid1(VALU_DEP_3)
	v_add_co_ci_u32_e32 v109, vcc_lo, s6, v109, vcc_lo
	v_lshrrev_b32_e32 v41, 16, v40
	s_delay_alu instid0(VALU_DEP_3) | instskip(NEXT) | instid1(VALU_DEP_2)
	v_add_co_u32 v111, vcc_lo, v108, v36
	v_min3_f16 v40, v112, v40, v41
	s_delay_alu instid0(VALU_DEP_4)
	v_add_co_ci_u32_e32 v112, vcc_lo, v109, v37, vcc_lo
	s_and_b32 vcc_lo, exec_lo, s0
	global_store_b16 v[111:112], v40, off
	s_cbranch_vccnz .LBB214_26
; %bb.25:
	v_add_co_u32 v110, vcc_lo, v46, v52
	v_add_co_ci_u32_e32 v111, vcc_lo, v47, v53, vcc_lo
	flat_load_u16 v40, v[110:111]
	s_waitcnt vmcnt(0) lgkmcnt(0)
	v_mul_f16_e32 v110, s9, v40
.LBB214_26:
	v_pk_add_f16 v40, v0, v28
	v_pk_max_f16 v41, v107, v107
	v_pk_add_f16 v42, v1, v29
	v_add_co_u32 v111, vcc_lo, v108, v52
	v_add_co_ci_u32_e32 v112, vcc_lo, v109, v53, vcc_lo
	s_delay_alu instid0(VALU_DEP_4) | instskip(SKIP_3) | instid1(VALU_DEP_3)
	v_pk_min_f16 v40, v41, v40
	v_mov_b32_e32 v107, 0
	v_mov_b32_e32 v61, v66
	s_and_b32 vcc_lo, exec_lo, s0
	v_pk_min_f16 v40, v40, v42
	s_delay_alu instid0(VALU_DEP_1) | instskip(NEXT) | instid1(VALU_DEP_1)
	v_lshrrev_b32_e32 v41, 16, v40
	v_min3_f16 v40, v110, v40, v41
	v_mov_b32_e32 v110, 0
	global_store_b16 v[111:112], v40, off
	s_cbranch_vccnz .LBB214_28
; %bb.27:
	v_add_co_u32 v110, vcc_lo, v46, v38
	v_add_co_ci_u32_e32 v111, vcc_lo, v47, v39, vcc_lo
	flat_load_u16 v40, v[110:111]
	s_waitcnt vmcnt(0) lgkmcnt(0)
	v_mul_f16_e32 v110, s9, v40
.LBB214_28:
	v_pk_add_f16 v40, v2, v28
	v_pk_max_f16 v41, v106, v106
	v_pk_add_f16 v42, v3, v29
	v_mov_b32_e32 v45, v65
	s_delay_alu instid0(VALU_DEP_3) | instskip(NEXT) | instid1(VALU_DEP_1)
	v_pk_min_f16 v40, v41, v40
	v_pk_min_f16 v40, v40, v42
	s_delay_alu instid0(VALU_DEP_1) | instskip(NEXT) | instid1(VALU_DEP_1)
	v_lshrrev_b32_e32 v41, 16, v40
	v_min3_f16 v40, v110, v40, v41
	v_add_co_u32 v110, vcc_lo, v108, v38
	v_add_co_ci_u32_e32 v111, vcc_lo, v109, v39, vcc_lo
	s_and_b32 vcc_lo, exec_lo, s0
	global_store_b16 v[110:111], v40, off
	s_cbranch_vccnz .LBB214_30
; %bb.29:
	v_add_co_u32 v46, vcc_lo, v46, v50
	v_add_co_ci_u32_e32 v47, vcc_lo, v47, v51, vcc_lo
	flat_load_u16 v40, v[46:47]
	s_waitcnt vmcnt(0) lgkmcnt(0)
	v_mul_f16_e32 v107, s9, v40
.LBB214_30:
	v_add_nc_u32_e32 v46, 16, v43
	v_pk_add_f16 v28, v48, v28
	v_pk_max_f16 v40, v105, v105
	v_pk_add_f16 v29, v49, v29
	v_add_co_u32 v108, vcc_lo, v108, v50
	v_mad_i64_i32 v[105:106], null, v46, s8, 0
	s_delay_alu instid0(VALU_DEP_4) | instskip(SKIP_1) | instid1(VALU_DEP_2)
	v_pk_min_f16 v28, v40, v28
	v_add_co_ci_u32_e32 v109, vcc_lo, v109, v51, vcc_lo
	v_pk_min_f16 v40, v28, v29
	s_delay_alu instid0(VALU_DEP_4) | instskip(SKIP_1) | instid1(VALU_DEP_3)
	v_lshlrev_b64 v[28:29], 1, v[105:106]
	v_dual_mov_b32 v105, 0 :: v_dual_mov_b32 v106, 0
	v_lshrrev_b32_e32 v41, 16, v40
	s_delay_alu instid0(VALU_DEP_3) | instskip(NEXT) | instid1(VALU_DEP_4)
	v_add_co_u32 v28, vcc_lo, s4, v28
	v_add_co_ci_u32_e32 v29, vcc_lo, s5, v29, vcc_lo
	s_delay_alu instid0(VALU_DEP_3)
	v_min3_f16 v40, v107, v40, v41
	s_and_b32 vcc_lo, exec_lo, s0
	global_store_b16 v[108:109], v40, off
	s_cbranch_vccnz .LBB214_32
; %bb.31:
	v_add_co_u32 v106, vcc_lo, v28, v36
	v_add_co_ci_u32_e32 v107, vcc_lo, v29, v37, vcc_lo
	flat_load_u16 v40, v[106:107]
	s_waitcnt vmcnt(0) lgkmcnt(0)
	v_mul_f16_e32 v106, s9, v40
.LBB214_32:
	v_pk_add_f16 v40, v34, v30
	v_pk_max_f16 v41, v104, v104
	v_mad_i64_i32 v[107:108], null, v46, s3, 0
	v_pk_add_f16 v42, v35, v31
	s_delay_alu instid0(VALU_DEP_3) | instskip(NEXT) | instid1(VALU_DEP_3)
	v_pk_min_f16 v40, v41, v40
	v_lshlrev_b64 v[46:47], 1, v[107:108]
	s_delay_alu instid0(VALU_DEP_2) | instskip(NEXT) | instid1(VALU_DEP_2)
	v_pk_min_f16 v40, v40, v42
	v_add_co_u32 v46, vcc_lo, s1, v46
	s_delay_alu instid0(VALU_DEP_2) | instskip(NEXT) | instid1(VALU_DEP_4)
	v_lshrrev_b32_e32 v41, 16, v40
	v_add_co_ci_u32_e32 v47, vcc_lo, s6, v47, vcc_lo
	s_delay_alu instid0(VALU_DEP_2) | instskip(NEXT) | instid1(VALU_DEP_4)
	v_min3_f16 v40, v106, v40, v41
	v_add_co_u32 v106, vcc_lo, v46, v36
	s_delay_alu instid0(VALU_DEP_3)
	v_add_co_ci_u32_e32 v107, vcc_lo, v47, v37, vcc_lo
	s_and_b32 vcc_lo, exec_lo, s0
	global_store_b16 v[106:107], v40, off
	s_cbranch_vccnz .LBB214_34
; %bb.33:
	v_add_co_u32 v104, vcc_lo, v28, v52
	v_add_co_ci_u32_e32 v105, vcc_lo, v29, v53, vcc_lo
	flat_load_u16 v40, v[104:105]
	s_waitcnt vmcnt(0) lgkmcnt(0)
	v_mul_f16_e32 v105, s9, v40
.LBB214_34:
	v_pk_add_f16 v40, v0, v30
	v_pk_max_f16 v41, v103, v103
	v_pk_add_f16 v42, v1, v31
	v_add_co_u32 v106, vcc_lo, v46, v52
	v_add_co_ci_u32_e32 v107, vcc_lo, v47, v53, vcc_lo
	s_delay_alu instid0(VALU_DEP_4) | instskip(SKIP_2) | instid1(VALU_DEP_2)
	v_pk_min_f16 v40, v41, v40
	v_dual_mov_b32 v103, 0 :: v_dual_mov_b32 v104, 0
	s_and_b32 vcc_lo, exec_lo, s0
	v_pk_min_f16 v40, v40, v42
	s_delay_alu instid0(VALU_DEP_1) | instskip(NEXT) | instid1(VALU_DEP_1)
	v_lshrrev_b32_e32 v41, 16, v40
	v_min3_f16 v40, v105, v40, v41
	global_store_b16 v[106:107], v40, off
	s_cbranch_vccnz .LBB214_36
; %bb.35:
	v_add_co_u32 v104, vcc_lo, v28, v38
	v_add_co_ci_u32_e32 v105, vcc_lo, v29, v39, vcc_lo
	flat_load_u16 v40, v[104:105]
	s_waitcnt vmcnt(0) lgkmcnt(0)
	v_mul_f16_e32 v104, s9, v40
.LBB214_36:
	v_pk_add_f16 v40, v2, v30
	v_pk_max_f16 v41, v102, v102
	v_pk_add_f16 v42, v3, v31
	s_delay_alu instid0(VALU_DEP_2) | instskip(NEXT) | instid1(VALU_DEP_1)
	v_pk_min_f16 v40, v41, v40
	v_pk_min_f16 v40, v40, v42
	s_delay_alu instid0(VALU_DEP_1) | instskip(NEXT) | instid1(VALU_DEP_1)
	v_lshrrev_b32_e32 v41, 16, v40
	v_min3_f16 v40, v104, v40, v41
	v_add_co_u32 v104, vcc_lo, v46, v38
	v_add_co_ci_u32_e32 v105, vcc_lo, v47, v39, vcc_lo
	s_and_b32 vcc_lo, exec_lo, s0
	global_store_b16 v[104:105], v40, off
	s_cbranch_vccnz .LBB214_38
; %bb.37:
	v_add_co_u32 v28, vcc_lo, v28, v50
	v_add_co_ci_u32_e32 v29, vcc_lo, v29, v51, vcc_lo
	flat_load_u16 v28, v[28:29]
	s_waitcnt vmcnt(0) lgkmcnt(0)
	v_mul_f16_e32 v103, s9, v28
.LBB214_38:
	v_pk_add_f16 v30, v48, v30
	v_pk_max_f16 v40, v101, v101
	v_pk_add_f16 v31, v49, v31
	v_add_nc_u32_e32 v102, 24, v43
	s_delay_alu instid0(VALU_DEP_3) | instskip(NEXT) | instid1(VALU_DEP_1)
	v_pk_min_f16 v30, v40, v30
	v_pk_min_f16 v40, v30, v31
	v_add_co_u32 v30, vcc_lo, v46, v50
	v_add_co_ci_u32_e32 v31, vcc_lo, v47, v51, vcc_lo
	v_mov_b32_e32 v47, 0
	v_mad_i64_i32 v[28:29], null, v102, s8, 0
	v_lshrrev_b32_e32 v41, 16, v40
	v_mov_b32_e32 v46, 0
	s_delay_alu instid0(VALU_DEP_2) | instskip(NEXT) | instid1(VALU_DEP_4)
	v_min3_f16 v40, v103, v40, v41
	v_lshlrev_b64 v[28:29], 1, v[28:29]
	global_store_b16 v[30:31], v40, off
	v_add_co_u32 v28, vcc_lo, s4, v28
	v_add_co_ci_u32_e32 v29, vcc_lo, s5, v29, vcc_lo
	s_and_b32 vcc_lo, exec_lo, s0
	s_cbranch_vccnz .LBB214_40
; %bb.39:
	s_delay_alu instid0(VALU_DEP_2) | instskip(NEXT) | instid1(VALU_DEP_2)
	v_add_co_u32 v30, vcc_lo, v28, v36
	v_add_co_ci_u32_e32 v31, vcc_lo, v29, v37, vcc_lo
	flat_load_u16 v30, v[30:31]
	s_waitcnt vmcnt(0) lgkmcnt(0)
	v_mul_f16_e32 v47, s9, v30
.LBB214_40:
	v_mad_i64_i32 v[30:31], null, v102, s3, 0
	v_pk_add_f16 v40, v34, v24
	v_pk_max_f16 v41, v100, v100
	v_pk_add_f16 v42, v35, v25
	s_delay_alu instid0(VALU_DEP_2) | instskip(SKIP_1) | instid1(VALU_DEP_2)
	v_pk_min_f16 v40, v41, v40
	v_lshlrev_b64 v[30:31], 1, v[30:31]
	v_pk_min_f16 v40, v40, v42
	s_delay_alu instid0(VALU_DEP_2) | instskip(NEXT) | instid1(VALU_DEP_3)
	v_add_co_u32 v30, vcc_lo, s1, v30
	v_add_co_ci_u32_e32 v31, vcc_lo, s6, v31, vcc_lo
	s_delay_alu instid0(VALU_DEP_3) | instskip(NEXT) | instid1(VALU_DEP_3)
	v_lshrrev_b32_e32 v41, 16, v40
	v_add_co_u32 v100, vcc_lo, v30, v36
	s_delay_alu instid0(VALU_DEP_3) | instskip(NEXT) | instid1(VALU_DEP_3)
	v_add_co_ci_u32_e32 v101, vcc_lo, v31, v37, vcc_lo
	v_min3_f16 v40, v47, v40, v41
	s_and_b32 vcc_lo, exec_lo, s0
	global_store_b16 v[100:101], v40, off
	s_cbranch_vccnz .LBB214_42
; %bb.41:
	v_add_co_u32 v46, vcc_lo, v28, v52
	v_add_co_ci_u32_e32 v47, vcc_lo, v29, v53, vcc_lo
	flat_load_u16 v40, v[46:47]
	s_waitcnt vmcnt(0) lgkmcnt(0)
	v_mul_f16_e32 v46, s9, v40
.LBB214_42:
	v_pk_add_f16 v40, v0, v24
	v_pk_max_f16 v41, v99, v99
	v_pk_add_f16 v42, v1, v25
	v_add_co_u32 v99, vcc_lo, v30, v52
	v_add_co_ci_u32_e32 v100, vcc_lo, v31, v53, vcc_lo
	s_delay_alu instid0(VALU_DEP_4) | instskip(SKIP_2) | instid1(VALU_DEP_2)
	v_pk_min_f16 v40, v41, v40
	s_and_b32 vcc_lo, exec_lo, s0
	v_mov_b32_e32 v47, 0
	v_pk_min_f16 v40, v40, v42
	s_delay_alu instid0(VALU_DEP_1) | instskip(NEXT) | instid1(VALU_DEP_1)
	v_lshrrev_b32_e32 v41, 16, v40
	v_min3_f16 v40, v46, v40, v41
	v_mov_b32_e32 v46, 0
	global_store_b16 v[99:100], v40, off
	s_cbranch_vccnz .LBB214_44
; %bb.43:
	v_add_co_u32 v99, vcc_lo, v28, v38
	v_add_co_ci_u32_e32 v100, vcc_lo, v29, v39, vcc_lo
	flat_load_u16 v40, v[99:100]
	s_waitcnt vmcnt(0) lgkmcnt(0)
	v_mul_f16_e32 v47, s9, v40
.LBB214_44:
	v_pk_add_f16 v40, v2, v24
	v_pk_max_f16 v41, v98, v98
	v_pk_add_f16 v42, v3, v25
	v_add_co_u32 v98, vcc_lo, v30, v38
	v_add_co_ci_u32_e32 v99, vcc_lo, v31, v39, vcc_lo
	s_delay_alu instid0(VALU_DEP_4) | instskip(SKIP_1) | instid1(VALU_DEP_1)
	v_pk_min_f16 v40, v41, v40
	s_and_b32 vcc_lo, exec_lo, s0
	v_pk_min_f16 v40, v40, v42
	s_delay_alu instid0(VALU_DEP_1) | instskip(NEXT) | instid1(VALU_DEP_1)
	v_lshrrev_b32_e32 v41, 16, v40
	v_min3_f16 v40, v47, v40, v41
	global_store_b16 v[98:99], v40, off
	s_cbranch_vccnz .LBB214_46
; %bb.45:
	v_add_co_u32 v28, vcc_lo, v28, v50
	v_add_co_ci_u32_e32 v29, vcc_lo, v29, v51, vcc_lo
	flat_load_u16 v28, v[28:29]
	s_waitcnt vmcnt(0) lgkmcnt(0)
	v_mul_f16_e32 v46, s9, v28
.LBB214_46:
	v_add_nc_u32_e32 v28, 32, v43
	v_pk_add_f16 v24, v48, v24
	v_pk_max_f16 v29, v97, v97
	v_pk_add_f16 v25, v49, v25
	s_delay_alu instid0(VALU_DEP_4) | instskip(NEXT) | instid1(VALU_DEP_3)
	v_mad_i64_i32 v[97:98], null, v28, s8, 0
	v_pk_min_f16 v24, v29, v24
	s_delay_alu instid0(VALU_DEP_1) | instskip(NEXT) | instid1(VALU_DEP_3)
	v_pk_min_f16 v29, v24, v25
	v_lshlrev_b64 v[24:25], 1, v[97:98]
	v_add_co_u32 v97, vcc_lo, v30, v50
	v_add_co_ci_u32_e32 v98, vcc_lo, v31, v51, vcc_lo
	v_mov_b32_e32 v31, 0
	v_lshrrev_b32_e32 v30, 16, v29
	v_add_co_u32 v24, vcc_lo, s4, v24
	v_add_co_ci_u32_e32 v25, vcc_lo, s5, v25, vcc_lo
	s_delay_alu instid0(VALU_DEP_3)
	v_min3_f16 v29, v46, v29, v30
	v_mov_b32_e32 v30, 0
	s_and_b32 vcc_lo, exec_lo, s0
	global_store_b16 v[97:98], v29, off
	s_cbranch_vccnz .LBB214_48
; %bb.47:
	v_add_co_u32 v46, vcc_lo, v24, v36
	v_add_co_ci_u32_e32 v47, vcc_lo, v25, v37, vcc_lo
	flat_load_u16 v29, v[46:47]
	s_waitcnt vmcnt(0) lgkmcnt(0)
	v_mul_f16_e32 v31, s9, v29
.LBB214_48:
	v_pk_add_f16 v29, v34, v26
	v_pk_max_f16 v40, v96, v96
	v_mad_i64_i32 v[46:47], null, v28, s3, 0
	v_pk_add_f16 v28, v35, v27
	s_delay_alu instid0(VALU_DEP_3) | instskip(NEXT) | instid1(VALU_DEP_1)
	v_pk_min_f16 v29, v40, v29
	v_pk_min_f16 v40, v29, v28
	s_delay_alu instid0(VALU_DEP_4) | instskip(NEXT) | instid1(VALU_DEP_2)
	v_lshlrev_b64 v[28:29], 1, v[46:47]
	v_lshrrev_b32_e32 v41, 16, v40
	s_delay_alu instid0(VALU_DEP_2) | instskip(NEXT) | instid1(VALU_DEP_3)
	v_add_co_u32 v28, vcc_lo, s1, v28
	v_add_co_ci_u32_e32 v29, vcc_lo, s6, v29, vcc_lo
	s_delay_alu instid0(VALU_DEP_3) | instskip(NEXT) | instid1(VALU_DEP_3)
	v_min3_f16 v31, v31, v40, v41
	v_add_co_u32 v46, vcc_lo, v28, v36
	s_delay_alu instid0(VALU_DEP_3)
	v_add_co_ci_u32_e32 v47, vcc_lo, v29, v37, vcc_lo
	s_and_b32 vcc_lo, exec_lo, s0
	global_store_b16 v[46:47], v31, off
	s_cbranch_vccnz .LBB214_50
; %bb.49:
	v_add_co_u32 v30, vcc_lo, v24, v52
	v_add_co_ci_u32_e32 v31, vcc_lo, v25, v53, vcc_lo
	flat_load_u16 v30, v[30:31]
	s_waitcnt vmcnt(0) lgkmcnt(0)
	v_mul_f16_e32 v30, s9, v30
.LBB214_50:
	v_pk_add_f16 v31, v0, v26
	v_pk_max_f16 v40, v95, v95
	v_pk_add_f16 v41, v1, v27
	v_add_co_u32 v46, vcc_lo, v28, v52
	v_add_co_ci_u32_e32 v47, vcc_lo, v29, v53, vcc_lo
	s_delay_alu instid0(VALU_DEP_4) | instskip(SKIP_1) | instid1(VALU_DEP_1)
	v_pk_min_f16 v31, v40, v31
	s_and_b32 vcc_lo, exec_lo, s0
	v_pk_min_f16 v31, v31, v41
	s_delay_alu instid0(VALU_DEP_1) | instskip(NEXT) | instid1(VALU_DEP_1)
	v_lshrrev_b32_e32 v40, 16, v31
	v_min3_f16 v40, v30, v31, v40
	v_dual_mov_b32 v30, 0 :: v_dual_mov_b32 v31, 0
	global_store_b16 v[46:47], v40, off
	s_cbranch_vccnz .LBB214_52
; %bb.51:
	v_add_co_u32 v46, vcc_lo, v24, v38
	v_add_co_ci_u32_e32 v47, vcc_lo, v25, v39, vcc_lo
	flat_load_u16 v31, v[46:47]
	s_waitcnt vmcnt(0) lgkmcnt(0)
	v_mul_f16_e32 v31, s9, v31
.LBB214_52:
	v_pk_add_f16 v40, v2, v26
	v_pk_max_f16 v41, v94, v94
	v_pk_add_f16 v42, v3, v27
	v_add_co_u32 v46, vcc_lo, v28, v38
	v_add_co_ci_u32_e32 v47, vcc_lo, v29, v39, vcc_lo
	s_delay_alu instid0(VALU_DEP_4) | instskip(SKIP_1) | instid1(VALU_DEP_1)
	v_pk_min_f16 v40, v41, v40
	s_and_b32 vcc_lo, exec_lo, s0
	v_pk_min_f16 v40, v40, v42
	s_delay_alu instid0(VALU_DEP_1) | instskip(NEXT) | instid1(VALU_DEP_1)
	v_lshrrev_b32_e32 v41, 16, v40
	v_min3_f16 v31, v31, v40, v41
	global_store_b16 v[46:47], v31, off
	s_cbranch_vccnz .LBB214_54
; %bb.53:
	v_add_co_u32 v24, vcc_lo, v24, v50
	v_add_co_ci_u32_e32 v25, vcc_lo, v25, v51, vcc_lo
	flat_load_u16 v24, v[24:25]
	s_waitcnt vmcnt(0) lgkmcnt(0)
	v_mul_f16_e32 v30, s9, v24
.LBB214_54:
	v_pk_add_f16 v26, v48, v26
	v_pk_max_f16 v40, v93, v93
	v_pk_add_f16 v27, v49, v27
	v_add_nc_u32_e32 v31, 40, v43
	v_dual_mov_b32 v41, v62 :: v_dual_mov_b32 v42, v63
	s_delay_alu instid0(VALU_DEP_4) | instskip(NEXT) | instid1(VALU_DEP_1)
	v_pk_min_f16 v26, v40, v26
	v_pk_min_f16 v40, v26, v27
	v_add_co_u32 v26, vcc_lo, v28, v50
	v_add_co_ci_u32_e32 v27, vcc_lo, v29, v51, vcc_lo
	s_delay_alu instid0(VALU_DEP_3) | instskip(SKIP_1) | instid1(VALU_DEP_2)
	v_lshrrev_b32_e32 v28, 16, v40
	v_mov_b32_e32 v29, 0
	v_min3_f16 v30, v30, v40, v28
	v_mov_b32_e32 v28, 0
	v_mad_i64_i32 v[24:25], null, v31, s8, 0
	global_store_b16 v[26:27], v30, off
	v_lshlrev_b64 v[24:25], 1, v[24:25]
	s_delay_alu instid0(VALU_DEP_1) | instskip(NEXT) | instid1(VALU_DEP_2)
	v_add_co_u32 v24, vcc_lo, s4, v24
	v_add_co_ci_u32_e32 v25, vcc_lo, s5, v25, vcc_lo
	s_and_b32 vcc_lo, exec_lo, s0
	s_cbranch_vccnz .LBB214_56
; %bb.55:
	s_delay_alu instid0(VALU_DEP_2) | instskip(NEXT) | instid1(VALU_DEP_2)
	v_add_co_u32 v26, vcc_lo, v24, v36
	v_add_co_ci_u32_e32 v27, vcc_lo, v25, v37, vcc_lo
	flat_load_u16 v26, v[26:27]
	s_waitcnt vmcnt(0) lgkmcnt(0)
	v_mul_f16_e32 v29, s9, v26
.LBB214_56:
	v_pk_add_f16 v30, v34, v20
	v_pk_max_f16 v40, v92, v92
	v_mad_i64_i32 v[26:27], null, v31, s3, 0
	v_pk_add_f16 v31, v35, v21
	s_delay_alu instid0(VALU_DEP_3) | instskip(NEXT) | instid1(VALU_DEP_3)
	v_pk_min_f16 v30, v40, v30
	v_lshlrev_b64 v[26:27], 1, v[26:27]
	s_delay_alu instid0(VALU_DEP_2) | instskip(NEXT) | instid1(VALU_DEP_2)
	v_pk_min_f16 v30, v30, v31
	v_add_co_u32 v26, vcc_lo, s1, v26
	s_delay_alu instid0(VALU_DEP_2) | instskip(NEXT) | instid1(VALU_DEP_4)
	v_lshrrev_b32_e32 v31, 16, v30
	v_add_co_ci_u32_e32 v27, vcc_lo, s6, v27, vcc_lo
	s_delay_alu instid0(VALU_DEP_2) | instskip(NEXT) | instid1(VALU_DEP_4)
	v_min3_f16 v31, v29, v30, v31
	v_add_co_u32 v29, vcc_lo, v26, v36
	s_delay_alu instid0(VALU_DEP_3)
	v_add_co_ci_u32_e32 v30, vcc_lo, v27, v37, vcc_lo
	s_and_b32 vcc_lo, exec_lo, s0
	global_store_b16 v[29:30], v31, off
	s_cbranch_vccnz .LBB214_58
; %bb.57:
	v_add_co_u32 v28, vcc_lo, v24, v52
	v_add_co_ci_u32_e32 v29, vcc_lo, v25, v53, vcc_lo
	flat_load_u16 v28, v[28:29]
	s_waitcnt vmcnt(0) lgkmcnt(0)
	v_mul_f16_e32 v28, s9, v28
.LBB214_58:
	v_pk_add_f16 v29, v0, v20
	v_pk_max_f16 v30, v91, v91
	v_pk_add_f16 v31, v1, v21
	s_delay_alu instid0(VALU_DEP_2) | instskip(SKIP_1) | instid1(VALU_DEP_2)
	v_pk_min_f16 v29, v30, v29
	v_add_co_u32 v30, vcc_lo, v26, v52
	v_pk_min_f16 v29, v29, v31
	v_add_co_ci_u32_e32 v31, vcc_lo, v27, v53, vcc_lo
	s_and_b32 vcc_lo, exec_lo, s0
	s_delay_alu instid0(VALU_DEP_2) | instskip(NEXT) | instid1(VALU_DEP_1)
	v_lshrrev_b32_e32 v40, 16, v29
	v_min3_f16 v40, v28, v29, v40
	v_dual_mov_b32 v28, 0 :: v_dual_mov_b32 v29, 0
	global_store_b16 v[30:31], v40, off
	s_cbranch_vccnz .LBB214_60
; %bb.59:
	v_add_co_u32 v29, vcc_lo, v24, v38
	v_add_co_ci_u32_e32 v30, vcc_lo, v25, v39, vcc_lo
	flat_load_u16 v29, v[29:30]
	s_waitcnt vmcnt(0) lgkmcnt(0)
	v_mul_f16_e32 v29, s9, v29
.LBB214_60:
	v_pk_add_f16 v30, v2, v20
	v_pk_max_f16 v31, v89, v89
	v_pk_add_f16 v40, v3, v21
	s_delay_alu instid0(VALU_DEP_2) | instskip(NEXT) | instid1(VALU_DEP_1)
	v_pk_min_f16 v30, v31, v30
	v_pk_min_f16 v30, v30, v40
	s_delay_alu instid0(VALU_DEP_1) | instskip(NEXT) | instid1(VALU_DEP_1)
	v_lshrrev_b32_e32 v31, 16, v30
	v_min3_f16 v31, v29, v30, v31
	v_add_co_u32 v29, vcc_lo, v26, v38
	v_add_co_ci_u32_e32 v30, vcc_lo, v27, v39, vcc_lo
	s_and_b32 vcc_lo, exec_lo, s0
	global_store_b16 v[29:30], v31, off
	s_cbranch_vccnz .LBB214_62
; %bb.61:
	v_add_co_u32 v24, vcc_lo, v24, v50
	v_add_co_ci_u32_e32 v25, vcc_lo, v25, v51, vcc_lo
	flat_load_u16 v24, v[24:25]
	s_waitcnt vmcnt(0) lgkmcnt(0)
	v_mul_f16_e32 v28, s9, v24
.LBB214_62:
	v_add_nc_u32_e32 v24, 48, v43
	v_pk_add_f16 v20, v48, v20
	v_pk_max_f16 v25, v88, v88
	v_pk_add_f16 v21, v49, v21
	s_delay_alu instid0(VALU_DEP_4) | instskip(NEXT) | instid1(VALU_DEP_3)
	v_mad_i64_i32 v[29:30], null, v24, s8, 0
	v_pk_min_f16 v20, v25, v20
	s_delay_alu instid0(VALU_DEP_1) | instskip(NEXT) | instid1(VALU_DEP_3)
	v_pk_min_f16 v25, v20, v21
	v_lshlrev_b64 v[20:21], 1, v[29:30]
	v_add_co_u32 v29, vcc_lo, v26, v50
	v_add_co_ci_u32_e32 v30, vcc_lo, v27, v51, vcc_lo
	v_mov_b32_e32 v27, 0
	v_lshrrev_b32_e32 v26, 16, v25
	v_add_co_u32 v20, vcc_lo, s4, v20
	v_add_co_ci_u32_e32 v21, vcc_lo, s5, v21, vcc_lo
	s_delay_alu instid0(VALU_DEP_3)
	v_min3_f16 v25, v28, v25, v26
	v_mov_b32_e32 v26, 0
	s_and_b32 vcc_lo, exec_lo, s0
	global_store_b16 v[29:30], v25, off
	s_cbranch_vccnz .LBB214_64
; %bb.63:
	v_add_co_u32 v27, vcc_lo, v20, v36
	v_add_co_ci_u32_e32 v28, vcc_lo, v21, v37, vcc_lo
	flat_load_u16 v25, v[27:28]
	s_waitcnt vmcnt(0) lgkmcnt(0)
	v_mul_f16_e32 v27, s9, v25
.LBB214_64:
	v_pk_add_f16 v25, v34, v22
	v_pk_max_f16 v30, v87, v87
	v_mad_i64_i32 v[28:29], null, v24, s3, 0
	v_pk_add_f16 v24, v35, v23
	s_delay_alu instid0(VALU_DEP_3) | instskip(NEXT) | instid1(VALU_DEP_1)
	v_pk_min_f16 v25, v30, v25
	v_pk_min_f16 v30, v25, v24
	s_delay_alu instid0(VALU_DEP_4) | instskip(NEXT) | instid1(VALU_DEP_2)
	v_lshlrev_b64 v[24:25], 1, v[28:29]
	v_lshrrev_b32_e32 v28, 16, v30
	s_delay_alu instid0(VALU_DEP_2) | instskip(NEXT) | instid1(VALU_DEP_3)
	v_add_co_u32 v24, vcc_lo, s1, v24
	v_add_co_ci_u32_e32 v25, vcc_lo, s6, v25, vcc_lo
	s_delay_alu instid0(VALU_DEP_3) | instskip(NEXT) | instid1(VALU_DEP_3)
	v_min3_f16 v29, v27, v30, v28
	v_add_co_u32 v27, vcc_lo, v24, v36
	s_delay_alu instid0(VALU_DEP_3)
	v_add_co_ci_u32_e32 v28, vcc_lo, v25, v37, vcc_lo
	s_and_b32 vcc_lo, exec_lo, s0
	global_store_b16 v[27:28], v29, off
	s_cbranch_vccnz .LBB214_66
; %bb.65:
	v_add_co_u32 v26, vcc_lo, v20, v52
	v_add_co_ci_u32_e32 v27, vcc_lo, v21, v53, vcc_lo
	flat_load_u16 v26, v[26:27]
	s_waitcnt vmcnt(0) lgkmcnt(0)
	v_mul_f16_e32 v26, s9, v26
.LBB214_66:
	v_pk_add_f16 v27, v0, v22
	v_pk_max_f16 v28, v86, v86
	v_pk_add_f16 v29, v1, v23
	s_delay_alu instid0(VALU_DEP_2) | instskip(SKIP_1) | instid1(VALU_DEP_2)
	v_pk_min_f16 v27, v28, v27
	v_add_co_u32 v28, vcc_lo, v24, v52
	v_pk_min_f16 v27, v27, v29
	v_add_co_ci_u32_e32 v29, vcc_lo, v25, v53, vcc_lo
	s_and_b32 vcc_lo, exec_lo, s0
	s_delay_alu instid0(VALU_DEP_2) | instskip(NEXT) | instid1(VALU_DEP_1)
	v_lshrrev_b32_e32 v30, 16, v27
	v_min3_f16 v30, v26, v27, v30
	v_dual_mov_b32 v26, 0 :: v_dual_mov_b32 v27, 0
	global_store_b16 v[28:29], v30, off
	s_cbranch_vccnz .LBB214_68
; %bb.67:
	v_add_co_u32 v27, vcc_lo, v20, v38
	v_add_co_ci_u32_e32 v28, vcc_lo, v21, v39, vcc_lo
	flat_load_u16 v27, v[27:28]
	s_waitcnt vmcnt(0) lgkmcnt(0)
	v_mul_f16_e32 v27, s9, v27
.LBB214_68:
	v_pk_add_f16 v28, v2, v22
	v_pk_max_f16 v29, v85, v85
	v_pk_add_f16 v30, v3, v23
	s_delay_alu instid0(VALU_DEP_2) | instskip(NEXT) | instid1(VALU_DEP_1)
	v_pk_min_f16 v28, v29, v28
	v_pk_min_f16 v28, v28, v30
	s_delay_alu instid0(VALU_DEP_1) | instskip(NEXT) | instid1(VALU_DEP_1)
	v_lshrrev_b32_e32 v29, 16, v28
	v_min3_f16 v29, v27, v28, v29
	v_add_co_u32 v27, vcc_lo, v24, v38
	v_add_co_ci_u32_e32 v28, vcc_lo, v25, v39, vcc_lo
	s_and_b32 vcc_lo, exec_lo, s0
	global_store_b16 v[27:28], v29, off
	s_cbranch_vccnz .LBB214_70
; %bb.69:
	v_add_co_u32 v20, vcc_lo, v20, v50
	v_add_co_ci_u32_e32 v21, vcc_lo, v21, v51, vcc_lo
	flat_load_u16 v20, v[20:21]
	s_waitcnt vmcnt(0) lgkmcnt(0)
	v_mul_f16_e32 v26, s9, v20
.LBB214_70:
	v_pk_add_f16 v22, v48, v22
	v_pk_max_f16 v28, v84, v84
	v_pk_add_f16 v23, v49, v23
	v_add_nc_u32_e32 v27, 56, v43
	s_delay_alu instid0(VALU_DEP_3) | instskip(NEXT) | instid1(VALU_DEP_1)
	v_pk_min_f16 v22, v28, v22
	v_pk_min_f16 v28, v22, v23
	v_add_co_u32 v22, vcc_lo, v24, v50
	v_add_co_ci_u32_e32 v23, vcc_lo, v25, v51, vcc_lo
	s_delay_alu instid0(VALU_DEP_3) | instskip(SKIP_1) | instid1(VALU_DEP_2)
	v_lshrrev_b32_e32 v24, 16, v28
	v_mov_b32_e32 v25, 0
	v_min3_f16 v26, v26, v28, v24
	v_mov_b32_e32 v24, 0
	v_mad_i64_i32 v[20:21], null, v27, s8, 0
	global_store_b16 v[22:23], v26, off
	v_lshlrev_b64 v[20:21], 1, v[20:21]
	s_delay_alu instid0(VALU_DEP_1) | instskip(NEXT) | instid1(VALU_DEP_2)
	v_add_co_u32 v20, vcc_lo, s4, v20
	v_add_co_ci_u32_e32 v21, vcc_lo, s5, v21, vcc_lo
	s_and_b32 vcc_lo, exec_lo, s0
	s_cbranch_vccnz .LBB214_72
; %bb.71:
	s_delay_alu instid0(VALU_DEP_2) | instskip(NEXT) | instid1(VALU_DEP_2)
	v_add_co_u32 v22, vcc_lo, v20, v36
	v_add_co_ci_u32_e32 v23, vcc_lo, v21, v37, vcc_lo
	flat_load_u16 v22, v[22:23]
	s_waitcnt vmcnt(0) lgkmcnt(0)
	v_mul_f16_e32 v25, s9, v22
.LBB214_72:
	v_pk_add_f16 v26, v34, v16
	v_pk_max_f16 v28, v83, v83
	v_mad_i64_i32 v[22:23], null, v27, s3, 0
	v_pk_add_f16 v27, v35, v17
	s_delay_alu instid0(VALU_DEP_3) | instskip(NEXT) | instid1(VALU_DEP_3)
	v_pk_min_f16 v26, v28, v26
	v_lshlrev_b64 v[22:23], 1, v[22:23]
	s_delay_alu instid0(VALU_DEP_2) | instskip(NEXT) | instid1(VALU_DEP_2)
	v_pk_min_f16 v26, v26, v27
	v_add_co_u32 v22, vcc_lo, s1, v22
	s_delay_alu instid0(VALU_DEP_2) | instskip(NEXT) | instid1(VALU_DEP_4)
	v_lshrrev_b32_e32 v27, 16, v26
	v_add_co_ci_u32_e32 v23, vcc_lo, s6, v23, vcc_lo
	s_delay_alu instid0(VALU_DEP_2) | instskip(NEXT) | instid1(VALU_DEP_4)
	v_min3_f16 v27, v25, v26, v27
	v_add_co_u32 v25, vcc_lo, v22, v36
	s_delay_alu instid0(VALU_DEP_3)
	v_add_co_ci_u32_e32 v26, vcc_lo, v23, v37, vcc_lo
	s_and_b32 vcc_lo, exec_lo, s0
	global_store_b16 v[25:26], v27, off
	s_cbranch_vccnz .LBB214_74
; %bb.73:
	v_add_co_u32 v24, vcc_lo, v20, v52
	v_add_co_ci_u32_e32 v25, vcc_lo, v21, v53, vcc_lo
	flat_load_u16 v24, v[24:25]
	s_waitcnt vmcnt(0) lgkmcnt(0)
	v_mul_f16_e32 v24, s9, v24
.LBB214_74:
	v_pk_add_f16 v25, v0, v16
	v_pk_max_f16 v26, v82, v82
	v_pk_add_f16 v27, v1, v17
	s_delay_alu instid0(VALU_DEP_2) | instskip(SKIP_1) | instid1(VALU_DEP_2)
	v_pk_min_f16 v25, v26, v25
	v_add_co_u32 v26, vcc_lo, v22, v52
	v_pk_min_f16 v25, v25, v27
	v_add_co_ci_u32_e32 v27, vcc_lo, v23, v53, vcc_lo
	s_and_b32 vcc_lo, exec_lo, s0
	s_delay_alu instid0(VALU_DEP_2) | instskip(NEXT) | instid1(VALU_DEP_1)
	v_lshrrev_b32_e32 v28, 16, v25
	v_min3_f16 v28, v24, v25, v28
	v_dual_mov_b32 v24, 0 :: v_dual_mov_b32 v25, 0
	global_store_b16 v[26:27], v28, off
	s_cbranch_vccnz .LBB214_76
; %bb.75:
	v_add_co_u32 v25, vcc_lo, v20, v38
	v_add_co_ci_u32_e32 v26, vcc_lo, v21, v39, vcc_lo
	flat_load_u16 v25, v[25:26]
	s_waitcnt vmcnt(0) lgkmcnt(0)
	v_mul_f16_e32 v25, s9, v25
.LBB214_76:
	v_pk_add_f16 v26, v2, v16
	v_pk_max_f16 v27, v81, v81
	v_pk_add_f16 v28, v3, v17
	s_delay_alu instid0(VALU_DEP_2) | instskip(NEXT) | instid1(VALU_DEP_1)
	v_pk_min_f16 v26, v27, v26
	v_pk_min_f16 v26, v26, v28
	s_delay_alu instid0(VALU_DEP_1) | instskip(NEXT) | instid1(VALU_DEP_1)
	v_lshrrev_b32_e32 v27, 16, v26
	v_min3_f16 v27, v25, v26, v27
	v_add_co_u32 v25, vcc_lo, v22, v38
	v_add_co_ci_u32_e32 v26, vcc_lo, v23, v39, vcc_lo
	s_and_b32 vcc_lo, exec_lo, s0
	global_store_b16 v[25:26], v27, off
	s_cbranch_vccnz .LBB214_78
; %bb.77:
	v_add_co_u32 v20, vcc_lo, v20, v50
	v_add_co_ci_u32_e32 v21, vcc_lo, v21, v51, vcc_lo
	flat_load_u16 v20, v[20:21]
	s_waitcnt vmcnt(0) lgkmcnt(0)
	v_mul_f16_e32 v24, s9, v20
.LBB214_78:
	v_add_nc_u32_e32 v20, 64, v43
	v_pk_add_f16 v16, v48, v16
	v_pk_max_f16 v21, v80, v80
	v_pk_add_f16 v17, v49, v17
	s_delay_alu instid0(VALU_DEP_4) | instskip(NEXT) | instid1(VALU_DEP_3)
	v_mad_i64_i32 v[25:26], null, v20, s8, 0
	v_pk_min_f16 v16, v21, v16
	s_delay_alu instid0(VALU_DEP_1) | instskip(NEXT) | instid1(VALU_DEP_3)
	v_pk_min_f16 v21, v16, v17
	v_lshlrev_b64 v[16:17], 1, v[25:26]
	v_add_co_u32 v25, vcc_lo, v22, v50
	v_add_co_ci_u32_e32 v26, vcc_lo, v23, v51, vcc_lo
	v_mov_b32_e32 v23, 0
	v_lshrrev_b32_e32 v22, 16, v21
	v_add_co_u32 v16, vcc_lo, s4, v16
	v_add_co_ci_u32_e32 v17, vcc_lo, s5, v17, vcc_lo
	s_delay_alu instid0(VALU_DEP_3)
	v_min3_f16 v21, v24, v21, v22
	v_mov_b32_e32 v22, 0
	s_and_b32 vcc_lo, exec_lo, s0
	global_store_b16 v[25:26], v21, off
	s_cbranch_vccnz .LBB214_80
; %bb.79:
	v_add_co_u32 v23, vcc_lo, v16, v36
	v_add_co_ci_u32_e32 v24, vcc_lo, v17, v37, vcc_lo
	flat_load_u16 v21, v[23:24]
	s_waitcnt vmcnt(0) lgkmcnt(0)
	v_mul_f16_e32 v23, s9, v21
.LBB214_80:
	v_pk_add_f16 v21, v34, v18
	v_pk_max_f16 v26, v79, v79
	v_mad_i64_i32 v[24:25], null, v20, s3, 0
	v_pk_add_f16 v20, v35, v19
	s_delay_alu instid0(VALU_DEP_3) | instskip(NEXT) | instid1(VALU_DEP_1)
	v_pk_min_f16 v21, v26, v21
	v_pk_min_f16 v26, v21, v20
	s_delay_alu instid0(VALU_DEP_4) | instskip(NEXT) | instid1(VALU_DEP_2)
	v_lshlrev_b64 v[20:21], 1, v[24:25]
	v_lshrrev_b32_e32 v24, 16, v26
	s_delay_alu instid0(VALU_DEP_2) | instskip(NEXT) | instid1(VALU_DEP_3)
	v_add_co_u32 v20, vcc_lo, s1, v20
	v_add_co_ci_u32_e32 v21, vcc_lo, s6, v21, vcc_lo
	s_delay_alu instid0(VALU_DEP_3) | instskip(NEXT) | instid1(VALU_DEP_3)
	v_min3_f16 v25, v23, v26, v24
	v_add_co_u32 v23, vcc_lo, v20, v36
	s_delay_alu instid0(VALU_DEP_3)
	v_add_co_ci_u32_e32 v24, vcc_lo, v21, v37, vcc_lo
	s_and_b32 vcc_lo, exec_lo, s0
	global_store_b16 v[23:24], v25, off
	s_cbranch_vccnz .LBB214_82
; %bb.81:
	v_add_co_u32 v22, vcc_lo, v16, v52
	v_add_co_ci_u32_e32 v23, vcc_lo, v17, v53, vcc_lo
	flat_load_u16 v22, v[22:23]
	s_waitcnt vmcnt(0) lgkmcnt(0)
	v_mul_f16_e32 v22, s9, v22
.LBB214_82:
	v_pk_add_f16 v23, v0, v18
	v_pk_max_f16 v24, v171, v171
	v_pk_add_f16 v25, v1, v19
	s_delay_alu instid0(VALU_DEP_2) | instskip(SKIP_1) | instid1(VALU_DEP_2)
	v_pk_min_f16 v23, v24, v23
	v_add_co_u32 v24, vcc_lo, v20, v52
	v_pk_min_f16 v23, v23, v25
	v_add_co_ci_u32_e32 v25, vcc_lo, v21, v53, vcc_lo
	s_and_b32 vcc_lo, exec_lo, s0
	s_delay_alu instid0(VALU_DEP_2) | instskip(NEXT) | instid1(VALU_DEP_1)
	v_lshrrev_b32_e32 v26, 16, v23
	v_min3_f16 v26, v22, v23, v26
	v_dual_mov_b32 v22, 0 :: v_dual_mov_b32 v23, 0
	global_store_b16 v[24:25], v26, off
	s_cbranch_vccnz .LBB214_84
; %bb.83:
	v_add_co_u32 v23, vcc_lo, v16, v38
	v_add_co_ci_u32_e32 v24, vcc_lo, v17, v39, vcc_lo
	flat_load_u16 v23, v[23:24]
	s_waitcnt vmcnt(0) lgkmcnt(0)
	v_mul_f16_e32 v23, s9, v23
.LBB214_84:
	v_pk_add_f16 v24, v2, v18
	v_pk_max_f16 v25, v124, v124
	v_pk_add_f16 v26, v3, v19
	s_delay_alu instid0(VALU_DEP_2) | instskip(NEXT) | instid1(VALU_DEP_1)
	v_pk_min_f16 v24, v25, v24
	v_pk_min_f16 v24, v24, v26
	s_delay_alu instid0(VALU_DEP_1) | instskip(NEXT) | instid1(VALU_DEP_1)
	v_lshrrev_b32_e32 v25, 16, v24
	v_min3_f16 v25, v23, v24, v25
	v_add_co_u32 v23, vcc_lo, v20, v38
	v_add_co_ci_u32_e32 v24, vcc_lo, v21, v39, vcc_lo
	s_and_b32 vcc_lo, exec_lo, s0
	global_store_b16 v[23:24], v25, off
	s_cbranch_vccnz .LBB214_86
; %bb.85:
	v_add_co_u32 v16, vcc_lo, v16, v50
	v_add_co_ci_u32_e32 v17, vcc_lo, v17, v51, vcc_lo
	flat_load_u16 v16, v[16:17]
	s_waitcnt vmcnt(0) lgkmcnt(0)
	v_mul_f16_e32 v22, s9, v16
.LBB214_86:
	v_pk_add_f16 v18, v48, v18
	v_pk_max_f16 v24, v123, v123
	v_pk_add_f16 v19, v49, v19
	v_add_nc_u32_e32 v23, 0x48, v43
	s_delay_alu instid0(VALU_DEP_3) | instskip(NEXT) | instid1(VALU_DEP_1)
	v_pk_min_f16 v18, v24, v18
	v_pk_min_f16 v24, v18, v19
	v_add_co_u32 v18, vcc_lo, v20, v50
	v_add_co_ci_u32_e32 v19, vcc_lo, v21, v51, vcc_lo
	s_delay_alu instid0(VALU_DEP_3) | instskip(SKIP_1) | instid1(VALU_DEP_2)
	v_lshrrev_b32_e32 v20, 16, v24
	v_mov_b32_e32 v21, 0
	v_min3_f16 v22, v22, v24, v20
	v_mov_b32_e32 v20, 0
	v_mad_i64_i32 v[16:17], null, v23, s8, 0
	global_store_b16 v[18:19], v22, off
	v_lshlrev_b64 v[16:17], 1, v[16:17]
	s_delay_alu instid0(VALU_DEP_1) | instskip(NEXT) | instid1(VALU_DEP_2)
	v_add_co_u32 v16, vcc_lo, s4, v16
	v_add_co_ci_u32_e32 v17, vcc_lo, s5, v17, vcc_lo
	s_and_b32 vcc_lo, exec_lo, s0
	s_cbranch_vccnz .LBB214_88
; %bb.87:
	s_delay_alu instid0(VALU_DEP_2) | instskip(NEXT) | instid1(VALU_DEP_2)
	v_add_co_u32 v18, vcc_lo, v16, v36
	v_add_co_ci_u32_e32 v19, vcc_lo, v17, v37, vcc_lo
	flat_load_u16 v18, v[18:19]
	s_waitcnt vmcnt(0) lgkmcnt(0)
	v_mul_f16_e32 v21, s9, v18
.LBB214_88:
	v_pk_add_f16 v22, v34, v12
	v_pk_max_f16 v24, v120, v120
	v_mad_i64_i32 v[18:19], null, v23, s3, 0
	v_pk_add_f16 v23, v35, v13
	s_delay_alu instid0(VALU_DEP_3) | instskip(NEXT) | instid1(VALU_DEP_3)
	v_pk_min_f16 v22, v24, v22
	v_lshlrev_b64 v[18:19], 1, v[18:19]
	s_delay_alu instid0(VALU_DEP_2) | instskip(NEXT) | instid1(VALU_DEP_2)
	v_pk_min_f16 v22, v22, v23
	v_add_co_u32 v18, vcc_lo, s1, v18
	s_delay_alu instid0(VALU_DEP_2) | instskip(NEXT) | instid1(VALU_DEP_4)
	v_lshrrev_b32_e32 v23, 16, v22
	v_add_co_ci_u32_e32 v19, vcc_lo, s6, v19, vcc_lo
	s_delay_alu instid0(VALU_DEP_2) | instskip(NEXT) | instid1(VALU_DEP_4)
	v_min3_f16 v23, v21, v22, v23
	v_add_co_u32 v21, vcc_lo, v18, v36
	s_delay_alu instid0(VALU_DEP_3)
	v_add_co_ci_u32_e32 v22, vcc_lo, v19, v37, vcc_lo
	s_and_b32 vcc_lo, exec_lo, s0
	global_store_b16 v[21:22], v23, off
	s_cbranch_vccnz .LBB214_90
; %bb.89:
	v_add_co_u32 v20, vcc_lo, v16, v52
	v_add_co_ci_u32_e32 v21, vcc_lo, v17, v53, vcc_lo
	flat_load_u16 v20, v[20:21]
	s_waitcnt vmcnt(0) lgkmcnt(0)
	v_mul_f16_e32 v20, s9, v20
.LBB214_90:
	v_pk_add_f16 v21, v0, v12
	v_pk_max_f16 v22, v72, v72
	v_pk_add_f16 v23, v1, v13
	s_delay_alu instid0(VALU_DEP_2) | instskip(SKIP_1) | instid1(VALU_DEP_2)
	v_pk_min_f16 v21, v22, v21
	v_add_co_u32 v22, vcc_lo, v18, v52
	v_pk_min_f16 v21, v21, v23
	v_add_co_ci_u32_e32 v23, vcc_lo, v19, v53, vcc_lo
	s_and_b32 vcc_lo, exec_lo, s0
	s_delay_alu instid0(VALU_DEP_2) | instskip(NEXT) | instid1(VALU_DEP_1)
	v_lshrrev_b32_e32 v24, 16, v21
	v_min3_f16 v24, v20, v21, v24
	v_dual_mov_b32 v20, 0 :: v_dual_mov_b32 v21, 0
	global_store_b16 v[22:23], v24, off
	s_cbranch_vccnz .LBB214_92
; %bb.91:
	v_add_co_u32 v21, vcc_lo, v16, v38
	v_add_co_ci_u32_e32 v22, vcc_lo, v17, v39, vcc_lo
	flat_load_u16 v21, v[21:22]
	s_waitcnt vmcnt(0) lgkmcnt(0)
	v_mul_f16_e32 v21, s9, v21
.LBB214_92:
	v_pk_add_f16 v22, v2, v12
	v_pk_max_f16 v23, v90, v90
	v_pk_add_f16 v24, v3, v13
	s_delay_alu instid0(VALU_DEP_2) | instskip(NEXT) | instid1(VALU_DEP_1)
	v_pk_min_f16 v22, v23, v22
	v_pk_min_f16 v22, v22, v24
	s_delay_alu instid0(VALU_DEP_1) | instskip(NEXT) | instid1(VALU_DEP_1)
	v_lshrrev_b32_e32 v23, 16, v22
	v_min3_f16 v23, v21, v22, v23
	v_add_co_u32 v21, vcc_lo, v18, v38
	v_add_co_ci_u32_e32 v22, vcc_lo, v19, v39, vcc_lo
	s_and_b32 vcc_lo, exec_lo, s0
	global_store_b16 v[21:22], v23, off
	s_cbranch_vccnz .LBB214_94
; %bb.93:
	v_add_co_u32 v16, vcc_lo, v16, v50
	v_add_co_ci_u32_e32 v17, vcc_lo, v17, v51, vcc_lo
	flat_load_u16 v16, v[16:17]
	s_waitcnt vmcnt(0) lgkmcnt(0)
	v_mul_f16_e32 v20, s9, v16
.LBB214_94:
	v_add_nc_u32_e32 v16, 0x50, v43
	v_pk_add_f16 v12, v48, v12
	v_pk_max_f16 v17, v71, v71
	v_pk_add_f16 v13, v49, v13
	s_delay_alu instid0(VALU_DEP_4) | instskip(NEXT) | instid1(VALU_DEP_3)
	v_mad_i64_i32 v[21:22], null, v16, s8, 0
	v_pk_min_f16 v12, v17, v12
	s_delay_alu instid0(VALU_DEP_1) | instskip(NEXT) | instid1(VALU_DEP_3)
	v_pk_min_f16 v17, v12, v13
	v_lshlrev_b64 v[12:13], 1, v[21:22]
	v_add_co_u32 v21, vcc_lo, v18, v50
	v_add_co_ci_u32_e32 v22, vcc_lo, v19, v51, vcc_lo
	v_mov_b32_e32 v19, 0
	v_lshrrev_b32_e32 v18, 16, v17
	v_add_co_u32 v12, vcc_lo, s4, v12
	v_add_co_ci_u32_e32 v13, vcc_lo, s5, v13, vcc_lo
	s_delay_alu instid0(VALU_DEP_3)
	v_min3_f16 v17, v20, v17, v18
	v_mov_b32_e32 v18, 0
	s_and_b32 vcc_lo, exec_lo, s0
	global_store_b16 v[21:22], v17, off
	s_cbranch_vccnz .LBB214_96
; %bb.95:
	v_add_co_u32 v19, vcc_lo, v12, v36
	v_add_co_ci_u32_e32 v20, vcc_lo, v13, v37, vcc_lo
	flat_load_u16 v17, v[19:20]
	s_waitcnt vmcnt(0) lgkmcnt(0)
	v_mul_f16_e32 v19, s9, v17
.LBB214_96:
	v_pk_add_f16 v17, v34, v14
	v_pk_max_f16 v22, v70, v70
	v_mad_i64_i32 v[20:21], null, v16, s3, 0
	v_pk_add_f16 v16, v35, v15
	s_delay_alu instid0(VALU_DEP_3) | instskip(NEXT) | instid1(VALU_DEP_1)
	v_pk_min_f16 v17, v22, v17
	v_pk_min_f16 v22, v17, v16
	s_delay_alu instid0(VALU_DEP_4) | instskip(NEXT) | instid1(VALU_DEP_2)
	v_lshlrev_b64 v[16:17], 1, v[20:21]
	v_lshrrev_b32_e32 v20, 16, v22
	s_delay_alu instid0(VALU_DEP_2) | instskip(NEXT) | instid1(VALU_DEP_3)
	v_add_co_u32 v16, vcc_lo, s1, v16
	v_add_co_ci_u32_e32 v17, vcc_lo, s6, v17, vcc_lo
	s_delay_alu instid0(VALU_DEP_3) | instskip(NEXT) | instid1(VALU_DEP_3)
	v_min3_f16 v21, v19, v22, v20
	v_add_co_u32 v19, vcc_lo, v16, v36
	s_delay_alu instid0(VALU_DEP_3)
	v_add_co_ci_u32_e32 v20, vcc_lo, v17, v37, vcc_lo
	s_and_b32 vcc_lo, exec_lo, s0
	global_store_b16 v[19:20], v21, off
	s_cbranch_vccnz .LBB214_98
; %bb.97:
	v_add_co_u32 v18, vcc_lo, v12, v52
	v_add_co_ci_u32_e32 v19, vcc_lo, v13, v53, vcc_lo
	flat_load_u16 v18, v[18:19]
	s_waitcnt vmcnt(0) lgkmcnt(0)
	v_mul_f16_e32 v18, s9, v18
.LBB214_98:
	v_pk_add_f16 v19, v0, v14
	v_pk_max_f16 v20, v69, v69
	v_pk_add_f16 v21, v1, v15
	s_delay_alu instid0(VALU_DEP_2) | instskip(SKIP_1) | instid1(VALU_DEP_2)
	v_pk_min_f16 v19, v20, v19
	v_add_co_u32 v20, vcc_lo, v16, v52
	v_pk_min_f16 v19, v19, v21
	v_add_co_ci_u32_e32 v21, vcc_lo, v17, v53, vcc_lo
	s_and_b32 vcc_lo, exec_lo, s0
	s_delay_alu instid0(VALU_DEP_2) | instskip(NEXT) | instid1(VALU_DEP_1)
	v_lshrrev_b32_e32 v22, 16, v19
	v_min3_f16 v22, v18, v19, v22
	v_dual_mov_b32 v18, 0 :: v_dual_mov_b32 v19, 0
	global_store_b16 v[20:21], v22, off
	s_cbranch_vccnz .LBB214_100
; %bb.99:
	v_add_co_u32 v19, vcc_lo, v12, v38
	v_add_co_ci_u32_e32 v20, vcc_lo, v13, v39, vcc_lo
	flat_load_u16 v19, v[19:20]
	s_waitcnt vmcnt(0) lgkmcnt(0)
	v_mul_f16_e32 v19, s9, v19
.LBB214_100:
	v_pk_add_f16 v20, v2, v14
	v_pk_max_f16 v21, v68, v68
	v_pk_add_f16 v22, v3, v15
	s_delay_alu instid0(VALU_DEP_2) | instskip(NEXT) | instid1(VALU_DEP_1)
	v_pk_min_f16 v20, v21, v20
	v_pk_min_f16 v20, v20, v22
	s_delay_alu instid0(VALU_DEP_1) | instskip(NEXT) | instid1(VALU_DEP_1)
	v_lshrrev_b32_e32 v21, 16, v20
	v_min3_f16 v21, v19, v20, v21
	v_add_co_u32 v19, vcc_lo, v16, v38
	v_add_co_ci_u32_e32 v20, vcc_lo, v17, v39, vcc_lo
	s_and_b32 vcc_lo, exec_lo, s0
	global_store_b16 v[19:20], v21, off
	s_cbranch_vccnz .LBB214_102
; %bb.101:
	v_add_co_u32 v12, vcc_lo, v12, v50
	v_add_co_ci_u32_e32 v13, vcc_lo, v13, v51, vcc_lo
	flat_load_u16 v12, v[12:13]
	s_waitcnt vmcnt(0) lgkmcnt(0)
	v_mul_f16_e32 v18, s9, v12
.LBB214_102:
	v_pk_add_f16 v14, v48, v14
	v_pk_max_f16 v20, v67, v67
	v_pk_add_f16 v15, v49, v15
	v_add_nc_u32_e32 v19, 0x58, v43
	s_delay_alu instid0(VALU_DEP_3) | instskip(NEXT) | instid1(VALU_DEP_1)
	v_pk_min_f16 v14, v20, v14
	v_pk_min_f16 v20, v14, v15
	v_add_co_u32 v14, vcc_lo, v16, v50
	v_add_co_ci_u32_e32 v15, vcc_lo, v17, v51, vcc_lo
	s_delay_alu instid0(VALU_DEP_3) | instskip(SKIP_1) | instid1(VALU_DEP_2)
	v_lshrrev_b32_e32 v16, 16, v20
	v_mov_b32_e32 v17, 0
	v_min3_f16 v18, v18, v20, v16
	v_mov_b32_e32 v16, 0
	v_mad_i64_i32 v[12:13], null, v19, s8, 0
	global_store_b16 v[14:15], v18, off
	v_lshlrev_b64 v[12:13], 1, v[12:13]
	s_delay_alu instid0(VALU_DEP_1) | instskip(NEXT) | instid1(VALU_DEP_2)
	v_add_co_u32 v12, vcc_lo, s4, v12
	v_add_co_ci_u32_e32 v13, vcc_lo, s5, v13, vcc_lo
	s_and_b32 vcc_lo, exec_lo, s0
	s_cbranch_vccnz .LBB214_104
; %bb.103:
	s_delay_alu instid0(VALU_DEP_2) | instskip(NEXT) | instid1(VALU_DEP_2)
	v_add_co_u32 v14, vcc_lo, v12, v36
	v_add_co_ci_u32_e32 v15, vcc_lo, v13, v37, vcc_lo
	flat_load_u16 v14, v[14:15]
	s_waitcnt vmcnt(0) lgkmcnt(0)
	v_mul_f16_e32 v17, s9, v14
.LBB214_104:
	v_pk_add_f16 v18, v34, v8
	v_pk_max_f16 v20, v61, v61
	v_mad_i64_i32 v[14:15], null, v19, s3, 0
	v_pk_add_f16 v19, v35, v9
	s_delay_alu instid0(VALU_DEP_3) | instskip(NEXT) | instid1(VALU_DEP_3)
	v_pk_min_f16 v18, v20, v18
	v_lshlrev_b64 v[14:15], 1, v[14:15]
	s_delay_alu instid0(VALU_DEP_2) | instskip(NEXT) | instid1(VALU_DEP_2)
	v_pk_min_f16 v18, v18, v19
	v_add_co_u32 v14, vcc_lo, s1, v14
	s_delay_alu instid0(VALU_DEP_2) | instskip(NEXT) | instid1(VALU_DEP_4)
	v_lshrrev_b32_e32 v19, 16, v18
	v_add_co_ci_u32_e32 v15, vcc_lo, s6, v15, vcc_lo
	s_delay_alu instid0(VALU_DEP_2) | instskip(NEXT) | instid1(VALU_DEP_4)
	v_min3_f16 v19, v17, v18, v19
	v_add_co_u32 v17, vcc_lo, v14, v36
	s_delay_alu instid0(VALU_DEP_3)
	v_add_co_ci_u32_e32 v18, vcc_lo, v15, v37, vcc_lo
	s_and_b32 vcc_lo, exec_lo, s0
	global_store_b16 v[17:18], v19, off
	s_cbranch_vccnz .LBB214_106
; %bb.105:
	v_add_co_u32 v16, vcc_lo, v12, v52
	v_add_co_ci_u32_e32 v17, vcc_lo, v13, v53, vcc_lo
	flat_load_u16 v16, v[16:17]
	s_waitcnt vmcnt(0) lgkmcnt(0)
	v_mul_f16_e32 v16, s9, v16
.LBB214_106:
	v_pk_add_f16 v17, v0, v8
	v_pk_max_f16 v18, v45, v45
	v_pk_add_f16 v19, v1, v9
	s_delay_alu instid0(VALU_DEP_2) | instskip(SKIP_1) | instid1(VALU_DEP_2)
	v_pk_min_f16 v17, v18, v17
	v_add_co_u32 v18, vcc_lo, v14, v52
	v_pk_min_f16 v17, v17, v19
	v_add_co_ci_u32_e32 v19, vcc_lo, v15, v53, vcc_lo
	s_and_b32 vcc_lo, exec_lo, s0
	s_delay_alu instid0(VALU_DEP_2) | instskip(NEXT) | instid1(VALU_DEP_1)
	v_lshrrev_b32_e32 v20, 16, v17
	v_min3_f16 v20, v16, v17, v20
	v_dual_mov_b32 v16, 0 :: v_dual_mov_b32 v17, 0
	global_store_b16 v[18:19], v20, off
	s_cbranch_vccnz .LBB214_108
; %bb.107:
	v_add_co_u32 v17, vcc_lo, v12, v38
	v_add_co_ci_u32_e32 v18, vcc_lo, v13, v39, vcc_lo
	flat_load_u16 v17, v[17:18]
	s_waitcnt vmcnt(0) lgkmcnt(0)
	v_mul_f16_e32 v17, s9, v17
.LBB214_108:
	v_pk_add_f16 v18, v2, v8
	v_pk_max_f16 v19, v64, v64
	v_pk_add_f16 v20, v3, v9
	s_delay_alu instid0(VALU_DEP_2) | instskip(NEXT) | instid1(VALU_DEP_1)
	v_pk_min_f16 v18, v19, v18
	v_pk_min_f16 v18, v18, v20
	s_delay_alu instid0(VALU_DEP_1) | instskip(NEXT) | instid1(VALU_DEP_1)
	v_lshrrev_b32_e32 v19, 16, v18
	v_min3_f16 v19, v17, v18, v19
	v_add_co_u32 v17, vcc_lo, v14, v38
	v_add_co_ci_u32_e32 v18, vcc_lo, v15, v39, vcc_lo
	s_and_b32 vcc_lo, exec_lo, s0
	global_store_b16 v[17:18], v19, off
	s_cbranch_vccnz .LBB214_110
; %bb.109:
	v_add_co_u32 v12, vcc_lo, v12, v50
	v_add_co_ci_u32_e32 v13, vcc_lo, v13, v51, vcc_lo
	flat_load_u16 v12, v[12:13]
	s_waitcnt vmcnt(0) lgkmcnt(0)
	v_mul_f16_e32 v16, s9, v12
.LBB214_110:
	v_add_nc_u32_e32 v12, 0x60, v43
	v_pk_add_f16 v8, v48, v8
	v_pk_max_f16 v13, v42, v42
	v_pk_add_f16 v9, v49, v9
	s_delay_alu instid0(VALU_DEP_4) | instskip(NEXT) | instid1(VALU_DEP_3)
	v_mad_i64_i32 v[17:18], null, v12, s8, 0
	v_pk_min_f16 v8, v13, v8
	s_delay_alu instid0(VALU_DEP_1) | instskip(NEXT) | instid1(VALU_DEP_3)
	v_pk_min_f16 v13, v8, v9
	v_lshlrev_b64 v[8:9], 1, v[17:18]
	v_add_co_u32 v17, vcc_lo, v14, v50
	v_add_co_ci_u32_e32 v18, vcc_lo, v15, v51, vcc_lo
	v_mov_b32_e32 v15, 0
	v_lshrrev_b32_e32 v14, 16, v13
	v_add_co_u32 v8, vcc_lo, s4, v8
	v_add_co_ci_u32_e32 v9, vcc_lo, s5, v9, vcc_lo
	s_delay_alu instid0(VALU_DEP_3)
	v_min3_f16 v13, v16, v13, v14
	v_mov_b32_e32 v14, 0
	s_and_b32 vcc_lo, exec_lo, s0
	global_store_b16 v[17:18], v13, off
	s_cbranch_vccnz .LBB214_112
; %bb.111:
	v_add_co_u32 v15, vcc_lo, v8, v36
	v_add_co_ci_u32_e32 v16, vcc_lo, v9, v37, vcc_lo
	flat_load_u16 v13, v[15:16]
	s_waitcnt vmcnt(0) lgkmcnt(0)
	v_mul_f16_e32 v15, s9, v13
.LBB214_112:
	v_pk_add_f16 v13, v34, v10
	v_pk_max_f16 v18, v41, v41
	v_mad_i64_i32 v[16:17], null, v12, s3, 0
	v_pk_add_f16 v12, v35, v11
	s_delay_alu instid0(VALU_DEP_3) | instskip(NEXT) | instid1(VALU_DEP_1)
	v_pk_min_f16 v13, v18, v13
	v_pk_min_f16 v18, v13, v12
	s_delay_alu instid0(VALU_DEP_4) | instskip(NEXT) | instid1(VALU_DEP_2)
	v_lshlrev_b64 v[12:13], 1, v[16:17]
	v_lshrrev_b32_e32 v16, 16, v18
	s_delay_alu instid0(VALU_DEP_2) | instskip(NEXT) | instid1(VALU_DEP_3)
	v_add_co_u32 v12, vcc_lo, s1, v12
	v_add_co_ci_u32_e32 v13, vcc_lo, s6, v13, vcc_lo
	s_delay_alu instid0(VALU_DEP_3) | instskip(NEXT) | instid1(VALU_DEP_3)
	v_min3_f16 v17, v15, v18, v16
	v_add_co_u32 v15, vcc_lo, v12, v36
	s_delay_alu instid0(VALU_DEP_3)
	v_add_co_ci_u32_e32 v16, vcc_lo, v13, v37, vcc_lo
	s_and_b32 vcc_lo, exec_lo, s0
	global_store_b16 v[15:16], v17, off
	s_cbranch_vccnz .LBB214_114
; %bb.113:
	v_add_co_u32 v14, vcc_lo, v8, v52
	v_add_co_ci_u32_e32 v15, vcc_lo, v9, v53, vcc_lo
	flat_load_u16 v14, v[14:15]
	s_waitcnt vmcnt(0) lgkmcnt(0)
	v_mul_f16_e32 v14, s9, v14
.LBB214_114:
	v_pk_add_f16 v15, v0, v10
	v_pk_max_f16 v16, v44, v44
	v_pk_add_f16 v17, v1, v11
	s_delay_alu instid0(VALU_DEP_2) | instskip(SKIP_1) | instid1(VALU_DEP_2)
	v_pk_min_f16 v15, v16, v15
	v_add_co_u32 v16, vcc_lo, v12, v52
	v_pk_min_f16 v15, v15, v17
	v_add_co_ci_u32_e32 v17, vcc_lo, v13, v53, vcc_lo
	s_and_b32 vcc_lo, exec_lo, s0
	s_delay_alu instid0(VALU_DEP_2) | instskip(NEXT) | instid1(VALU_DEP_1)
	v_lshrrev_b32_e32 v18, 16, v15
	v_min3_f16 v18, v14, v15, v18
	v_dual_mov_b32 v14, 0 :: v_dual_mov_b32 v15, 0
	global_store_b16 v[16:17], v18, off
	s_cbranch_vccnz .LBB214_116
; %bb.115:
	v_add_co_u32 v15, vcc_lo, v8, v38
	v_add_co_ci_u32_e32 v16, vcc_lo, v9, v39, vcc_lo
	flat_load_u16 v15, v[15:16]
	s_waitcnt vmcnt(0) lgkmcnt(0)
	v_mul_f16_e32 v15, s9, v15
.LBB214_116:
	v_pk_add_f16 v16, v2, v10
	v_pk_max_f16 v17, v60, v60
	v_pk_add_f16 v18, v3, v11
	s_delay_alu instid0(VALU_DEP_2) | instskip(NEXT) | instid1(VALU_DEP_1)
	v_pk_min_f16 v16, v17, v16
	v_pk_min_f16 v16, v16, v18
	s_delay_alu instid0(VALU_DEP_1) | instskip(NEXT) | instid1(VALU_DEP_1)
	v_lshrrev_b32_e32 v17, 16, v16
	v_min3_f16 v17, v15, v16, v17
	v_add_co_u32 v15, vcc_lo, v12, v38
	v_add_co_ci_u32_e32 v16, vcc_lo, v13, v39, vcc_lo
	s_and_b32 vcc_lo, exec_lo, s0
	global_store_b16 v[15:16], v17, off
	s_cbranch_vccnz .LBB214_118
; %bb.117:
	v_add_co_u32 v8, vcc_lo, v8, v50
	v_add_co_ci_u32_e32 v9, vcc_lo, v9, v51, vcc_lo
	flat_load_u16 v8, v[8:9]
	s_waitcnt vmcnt(0) lgkmcnt(0)
	v_mul_f16_e32 v14, s9, v8
.LBB214_118:
	v_pk_add_f16 v10, v48, v10
	v_pk_max_f16 v16, v59, v59
	v_pk_add_f16 v11, v49, v11
	v_add_nc_u32_e32 v15, 0x68, v43
	s_delay_alu instid0(VALU_DEP_3) | instskip(NEXT) | instid1(VALU_DEP_1)
	v_pk_min_f16 v10, v16, v10
	v_pk_min_f16 v16, v10, v11
	v_add_co_u32 v10, vcc_lo, v12, v50
	v_add_co_ci_u32_e32 v11, vcc_lo, v13, v51, vcc_lo
	s_delay_alu instid0(VALU_DEP_3) | instskip(SKIP_1) | instid1(VALU_DEP_2)
	v_lshrrev_b32_e32 v12, 16, v16
	v_mov_b32_e32 v13, 0
	v_min3_f16 v14, v14, v16, v12
	v_mov_b32_e32 v12, 0
	v_mad_i64_i32 v[8:9], null, v15, s8, 0
	global_store_b16 v[10:11], v14, off
	v_lshlrev_b64 v[8:9], 1, v[8:9]
	s_delay_alu instid0(VALU_DEP_1) | instskip(NEXT) | instid1(VALU_DEP_2)
	v_add_co_u32 v8, vcc_lo, s4, v8
	v_add_co_ci_u32_e32 v9, vcc_lo, s5, v9, vcc_lo
	s_and_b32 vcc_lo, exec_lo, s0
	s_cbranch_vccnz .LBB214_120
; %bb.119:
	s_delay_alu instid0(VALU_DEP_2) | instskip(NEXT) | instid1(VALU_DEP_2)
	v_add_co_u32 v10, vcc_lo, v8, v36
	v_add_co_ci_u32_e32 v11, vcc_lo, v9, v37, vcc_lo
	flat_load_u16 v10, v[10:11]
	s_waitcnt vmcnt(0) lgkmcnt(0)
	v_mul_f16_e32 v13, s9, v10
.LBB214_120:
	v_pk_add_f16 v14, v34, v4
	v_pk_max_f16 v16, v58, v58
	v_mad_i64_i32 v[10:11], null, v15, s3, 0
	v_pk_add_f16 v15, v35, v5
	s_delay_alu instid0(VALU_DEP_3) | instskip(NEXT) | instid1(VALU_DEP_3)
	v_pk_min_f16 v14, v16, v14
	v_lshlrev_b64 v[10:11], 1, v[10:11]
	s_delay_alu instid0(VALU_DEP_2) | instskip(NEXT) | instid1(VALU_DEP_2)
	v_pk_min_f16 v14, v14, v15
	v_add_co_u32 v10, vcc_lo, s1, v10
	s_delay_alu instid0(VALU_DEP_2) | instskip(NEXT) | instid1(VALU_DEP_4)
	v_lshrrev_b32_e32 v15, 16, v14
	v_add_co_ci_u32_e32 v11, vcc_lo, s6, v11, vcc_lo
	s_delay_alu instid0(VALU_DEP_2) | instskip(NEXT) | instid1(VALU_DEP_4)
	v_min3_f16 v15, v13, v14, v15
	v_add_co_u32 v13, vcc_lo, v10, v36
	s_delay_alu instid0(VALU_DEP_3)
	v_add_co_ci_u32_e32 v14, vcc_lo, v11, v37, vcc_lo
	s_and_b32 vcc_lo, exec_lo, s0
	global_store_b16 v[13:14], v15, off
	s_cbranch_vccnz .LBB214_122
; %bb.121:
	v_add_co_u32 v12, vcc_lo, v8, v52
	v_add_co_ci_u32_e32 v13, vcc_lo, v9, v53, vcc_lo
	flat_load_u16 v12, v[12:13]
	s_waitcnt vmcnt(0) lgkmcnt(0)
	v_mul_f16_e32 v12, s9, v12
.LBB214_122:
	v_pk_add_f16 v13, v0, v4
	v_pk_max_f16 v14, v57, v57
	v_pk_add_f16 v15, v1, v5
	s_delay_alu instid0(VALU_DEP_2) | instskip(SKIP_1) | instid1(VALU_DEP_2)
	v_pk_min_f16 v13, v14, v13
	v_add_co_u32 v14, vcc_lo, v10, v52
	v_pk_min_f16 v13, v13, v15
	v_add_co_ci_u32_e32 v15, vcc_lo, v11, v53, vcc_lo
	s_and_b32 vcc_lo, exec_lo, s0
	s_delay_alu instid0(VALU_DEP_2) | instskip(NEXT) | instid1(VALU_DEP_1)
	v_lshrrev_b32_e32 v16, 16, v13
	v_min3_f16 v16, v12, v13, v16
	v_dual_mov_b32 v12, 0 :: v_dual_mov_b32 v13, 0
	global_store_b16 v[14:15], v16, off
	s_cbranch_vccnz .LBB214_124
; %bb.123:
	v_add_co_u32 v13, vcc_lo, v8, v38
	v_add_co_ci_u32_e32 v14, vcc_lo, v9, v39, vcc_lo
	flat_load_u16 v13, v[13:14]
	s_waitcnt vmcnt(0) lgkmcnt(0)
	v_mul_f16_e32 v13, s9, v13
.LBB214_124:
	v_pk_add_f16 v14, v2, v4
	v_pk_max_f16 v15, v56, v56
	v_pk_add_f16 v16, v3, v5
	s_delay_alu instid0(VALU_DEP_2) | instskip(NEXT) | instid1(VALU_DEP_1)
	v_pk_min_f16 v14, v15, v14
	v_pk_min_f16 v14, v14, v16
	s_delay_alu instid0(VALU_DEP_1) | instskip(NEXT) | instid1(VALU_DEP_1)
	v_lshrrev_b32_e32 v15, 16, v14
	v_min3_f16 v15, v13, v14, v15
	v_add_co_u32 v13, vcc_lo, v10, v38
	v_add_co_ci_u32_e32 v14, vcc_lo, v11, v39, vcc_lo
	s_and_b32 vcc_lo, exec_lo, s0
	global_store_b16 v[13:14], v15, off
	s_cbranch_vccnz .LBB214_126
; %bb.125:
	v_add_co_u32 v8, vcc_lo, v8, v50
	v_add_co_ci_u32_e32 v9, vcc_lo, v9, v51, vcc_lo
	flat_load_u16 v8, v[8:9]
	s_waitcnt vmcnt(0) lgkmcnt(0)
	v_mul_f16_e32 v12, s9, v8
.LBB214_126:
	v_add_nc_u32_e32 v8, 0x70, v43
	v_pk_add_f16 v4, v48, v4
	v_pk_max_f16 v9, v55, v55
	v_pk_add_f16 v5, v49, v5
	s_delay_alu instid0(VALU_DEP_4) | instskip(NEXT) | instid1(VALU_DEP_3)
	v_mad_i64_i32 v[13:14], null, v8, s8, 0
	v_pk_min_f16 v4, v9, v4
	s_delay_alu instid0(VALU_DEP_1) | instskip(NEXT) | instid1(VALU_DEP_3)
	v_pk_min_f16 v9, v4, v5
	v_lshlrev_b64 v[4:5], 1, v[13:14]
	v_add_co_u32 v13, vcc_lo, v10, v50
	v_add_co_ci_u32_e32 v14, vcc_lo, v11, v51, vcc_lo
	v_mov_b32_e32 v11, 0
	v_lshrrev_b32_e32 v10, 16, v9
	v_add_co_u32 v4, vcc_lo, s4, v4
	v_add_co_ci_u32_e32 v5, vcc_lo, s5, v5, vcc_lo
	s_delay_alu instid0(VALU_DEP_3)
	v_min3_f16 v9, v12, v9, v10
	v_mov_b32_e32 v10, 0
	s_and_b32 vcc_lo, exec_lo, s0
	global_store_b16 v[13:14], v9, off
	s_cbranch_vccnz .LBB214_128
; %bb.127:
	v_add_co_u32 v11, vcc_lo, v4, v36
	v_add_co_ci_u32_e32 v12, vcc_lo, v5, v37, vcc_lo
	flat_load_u16 v9, v[11:12]
	s_waitcnt vmcnt(0) lgkmcnt(0)
	v_mul_f16_e32 v11, s9, v9
.LBB214_128:
	v_pk_add_f16 v9, v34, v6
	v_pk_max_f16 v14, v54, v54
	v_mad_i64_i32 v[12:13], null, v8, s3, 0
	v_pk_add_f16 v8, v35, v7
	s_delay_alu instid0(VALU_DEP_3) | instskip(NEXT) | instid1(VALU_DEP_1)
	v_pk_min_f16 v9, v14, v9
	v_pk_min_f16 v14, v9, v8
	s_delay_alu instid0(VALU_DEP_4) | instskip(NEXT) | instid1(VALU_DEP_2)
	v_lshlrev_b64 v[8:9], 1, v[12:13]
	v_lshrrev_b32_e32 v12, 16, v14
	s_delay_alu instid0(VALU_DEP_2) | instskip(NEXT) | instid1(VALU_DEP_3)
	v_add_co_u32 v8, vcc_lo, s1, v8
	v_add_co_ci_u32_e32 v9, vcc_lo, s6, v9, vcc_lo
	s_delay_alu instid0(VALU_DEP_3) | instskip(NEXT) | instid1(VALU_DEP_3)
	v_min3_f16 v13, v11, v14, v12
	v_add_co_u32 v11, vcc_lo, v8, v36
	s_delay_alu instid0(VALU_DEP_3)
	v_add_co_ci_u32_e32 v12, vcc_lo, v9, v37, vcc_lo
	s_and_b32 vcc_lo, exec_lo, s0
	global_store_b16 v[11:12], v13, off
	s_cbranch_vccnz .LBB214_130
; %bb.129:
	v_add_co_u32 v10, vcc_lo, v4, v52
	v_add_co_ci_u32_e32 v11, vcc_lo, v5, v53, vcc_lo
	flat_load_u16 v10, v[10:11]
	s_waitcnt vmcnt(0) lgkmcnt(0)
	v_mul_f16_e32 v10, s9, v10
.LBB214_130:
	v_pk_add_f16 v11, v0, v6
	v_pk_max_f16 v12, v172, v172
	v_pk_add_f16 v13, v1, v7
	s_delay_alu instid0(VALU_DEP_2) | instskip(SKIP_1) | instid1(VALU_DEP_2)
	v_pk_min_f16 v11, v12, v11
	v_add_co_u32 v12, vcc_lo, v8, v52
	v_pk_min_f16 v11, v11, v13
	v_add_co_ci_u32_e32 v13, vcc_lo, v9, v53, vcc_lo
	s_and_b32 vcc_lo, exec_lo, s0
	s_delay_alu instid0(VALU_DEP_2) | instskip(NEXT) | instid1(VALU_DEP_1)
	v_lshrrev_b32_e32 v14, 16, v11
	v_min3_f16 v14, v10, v11, v14
	v_dual_mov_b32 v10, 0 :: v_dual_mov_b32 v11, 0
	global_store_b16 v[12:13], v14, off
	s_cbranch_vccnz .LBB214_132
; %bb.131:
	v_add_co_u32 v11, vcc_lo, v4, v38
	v_add_co_ci_u32_e32 v12, vcc_lo, v5, v39, vcc_lo
	flat_load_u16 v11, v[11:12]
	s_waitcnt vmcnt(0) lgkmcnt(0)
	v_mul_f16_e32 v11, s9, v11
.LBB214_132:
	v_pk_add_f16 v12, v2, v6
	v_pk_max_f16 v13, v173, v173
	v_pk_add_f16 v14, v3, v7
	s_delay_alu instid0(VALU_DEP_2) | instskip(NEXT) | instid1(VALU_DEP_1)
	v_pk_min_f16 v12, v13, v12
	v_pk_min_f16 v12, v12, v14
	s_delay_alu instid0(VALU_DEP_1) | instskip(NEXT) | instid1(VALU_DEP_1)
	v_lshrrev_b32_e32 v13, 16, v12
	v_min3_f16 v13, v11, v12, v13
	v_add_co_u32 v11, vcc_lo, v8, v38
	v_add_co_ci_u32_e32 v12, vcc_lo, v9, v39, vcc_lo
	s_and_b32 vcc_lo, exec_lo, s0
	global_store_b16 v[11:12], v13, off
	s_cbranch_vccnz .LBB214_134
; %bb.133:
	v_add_co_u32 v4, vcc_lo, v4, v50
	v_add_co_ci_u32_e32 v5, vcc_lo, v5, v51, vcc_lo
	flat_load_u16 v4, v[4:5]
	s_waitcnt vmcnt(0) lgkmcnt(0)
	v_mul_f16_e32 v10, s9, v4
.LBB214_134:
	v_pk_add_f16 v6, v48, v6
	v_pk_max_f16 v12, v174, v174
	v_pk_add_f16 v7, v49, v7
	v_add_nc_u32_e32 v11, 0x78, v43
	s_delay_alu instid0(VALU_DEP_3) | instskip(NEXT) | instid1(VALU_DEP_1)
	v_pk_min_f16 v6, v12, v6
	v_pk_min_f16 v12, v6, v7
	v_add_co_u32 v6, vcc_lo, v8, v50
	v_add_co_ci_u32_e32 v7, vcc_lo, v9, v51, vcc_lo
	s_delay_alu instid0(VALU_DEP_3) | instskip(SKIP_1) | instid1(VALU_DEP_2)
	v_lshrrev_b32_e32 v8, 16, v12
	v_mov_b32_e32 v9, 0
	v_min3_f16 v10, v10, v12, v8
	v_mov_b32_e32 v8, 0
	v_mad_i64_i32 v[4:5], null, v11, s8, 0
	global_store_b16 v[6:7], v10, off
	v_lshlrev_b64 v[4:5], 1, v[4:5]
	s_delay_alu instid0(VALU_DEP_1) | instskip(NEXT) | instid1(VALU_DEP_2)
	v_add_co_u32 v4, vcc_lo, s4, v4
	v_add_co_ci_u32_e32 v5, vcc_lo, s5, v5, vcc_lo
	s_and_b32 vcc_lo, exec_lo, s0
	s_cbranch_vccnz .LBB214_136
; %bb.135:
	s_delay_alu instid0(VALU_DEP_2) | instskip(NEXT) | instid1(VALU_DEP_2)
	v_add_co_u32 v6, vcc_lo, v4, v36
	v_add_co_ci_u32_e32 v7, vcc_lo, v5, v37, vcc_lo
	flat_load_u16 v6, v[6:7]
	s_waitcnt vmcnt(0) lgkmcnt(0)
	v_mul_f16_e32 v9, s9, v6
.LBB214_136:
	v_pk_add_f16 v10, v34, v32
	v_pk_max_f16 v12, v175, v175
	v_mad_i64_i32 v[6:7], null, v11, s3, 0
	v_pk_add_f16 v11, v35, v33
	s_delay_alu instid0(VALU_DEP_3) | instskip(NEXT) | instid1(VALU_DEP_3)
	v_pk_min_f16 v10, v12, v10
	v_lshlrev_b64 v[6:7], 1, v[6:7]
	s_delay_alu instid0(VALU_DEP_2) | instskip(NEXT) | instid1(VALU_DEP_2)
	v_pk_min_f16 v10, v10, v11
	v_add_co_u32 v6, vcc_lo, s1, v6
	s_delay_alu instid0(VALU_DEP_2) | instskip(NEXT) | instid1(VALU_DEP_4)
	v_lshrrev_b32_e32 v11, 16, v10
	v_add_co_ci_u32_e32 v7, vcc_lo, s6, v7, vcc_lo
	s_delay_alu instid0(VALU_DEP_2) | instskip(NEXT) | instid1(VALU_DEP_4)
	v_min3_f16 v11, v9, v10, v11
	v_add_co_u32 v9, vcc_lo, v6, v36
	s_delay_alu instid0(VALU_DEP_3)
	v_add_co_ci_u32_e32 v10, vcc_lo, v7, v37, vcc_lo
	s_and_b32 vcc_lo, exec_lo, s0
	global_store_b16 v[9:10], v11, off
	s_cbranch_vccnz .LBB214_138
; %bb.137:
	v_add_co_u32 v8, vcc_lo, v4, v52
	v_add_co_ci_u32_e32 v9, vcc_lo, v5, v53, vcc_lo
	flat_load_u16 v8, v[8:9]
	s_waitcnt vmcnt(0) lgkmcnt(0)
	v_mul_f16_e32 v8, s9, v8
.LBB214_138:
	v_pk_add_f16 v0, v0, v32
	v_pk_max_f16 v9, v176, v176
	v_pk_add_f16 v2, v2, v32
	v_pk_max_f16 v10, v181, v181
	v_pk_add_f16 v1, v1, v33
	v_pk_add_f16 v3, v3, v33
	v_pk_min_f16 v0, v9, v0
	s_delay_alu instid0(VALU_DEP_4) | instskip(NEXT) | instid1(VALU_DEP_2)
	v_pk_min_f16 v2, v10, v2
	v_pk_min_f16 v0, v0, v1
	s_delay_alu instid0(VALU_DEP_2) | instskip(NEXT) | instid1(VALU_DEP_2)
	v_pk_min_f16 v1, v2, v3
	v_lshrrev_b32_e32 v2, 16, v0
	s_delay_alu instid0(VALU_DEP_2) | instskip(NEXT) | instid1(VALU_DEP_2)
	v_lshrrev_b32_e32 v3, 16, v1
	v_min3_f16 v8, v8, v0, v2
	s_delay_alu instid0(VALU_DEP_2) | instskip(SKIP_2) | instid1(VALU_DEP_3)
	v_min_f16_e32 v0, v1, v3
	v_add_co_u32 v1, vcc_lo, v6, v52
	v_add_co_ci_u32_e32 v2, vcc_lo, v7, v53, vcc_lo
	v_max_f16_e32 v0, v0, v0
	s_mov_b32 vcc_lo, s2
	global_store_b16 v[1:2], v8, off
	s_cbranch_vccz .LBB214_141
; %bb.139:
	v_add_co_u32 v1, vcc_lo, v6, v38
	v_min_f16_e32 v3, 0, v0
	v_add_co_ci_u32_e32 v2, vcc_lo, v7, v39, vcc_lo
	s_mov_b32 s0, 0
	global_store_b16 v[1:2], v3, off
	s_cbranch_execz .LBB214_142
; %bb.140:
	v_mov_b32_e32 v0, s0
	s_branch .LBB214_143
.LBB214_141:
	s_mov_b32 s0, -1
.LBB214_142:
	v_add_co_u32 v1, vcc_lo, v4, v38
	v_add_co_ci_u32_e32 v2, vcc_lo, v5, v39, vcc_lo
	flat_load_u16 v1, v[1:2]
	s_waitcnt vmcnt(0) lgkmcnt(0)
	v_mul_f16_e32 v3, s9, v1
	v_add_co_u32 v1, vcc_lo, v6, v38
	v_add_co_ci_u32_e32 v2, vcc_lo, v7, v39, vcc_lo
	s_delay_alu instid0(VALU_DEP_3)
	v_min_f16_e32 v0, v3, v0
	v_add_co_u32 v3, vcc_lo, v4, v50
	v_add_co_ci_u32_e32 v4, vcc_lo, v5, v51, vcc_lo
	global_store_b16 v[1:2], v0, off
	flat_load_u16 v0, v[3:4]
	s_waitcnt vmcnt(0) lgkmcnt(0)
	v_mul_f16_e32 v0, s9, v0
.LBB214_143:
	v_pk_add_f16 v1, v48, v32
	v_pk_max_f16 v2, v182, v182
	v_pk_add_f16 v3, v49, v33
	s_delay_alu instid0(VALU_DEP_2) | instskip(NEXT) | instid1(VALU_DEP_1)
	v_pk_min_f16 v1, v2, v1
	v_pk_min_f16 v1, v1, v3
	s_delay_alu instid0(VALU_DEP_1) | instskip(NEXT) | instid1(VALU_DEP_1)
	v_lshrrev_b32_e32 v2, 16, v1
	v_min3_f16 v2, v0, v1, v2
	v_add_co_u32 v0, vcc_lo, v6, v50
	v_add_co_ci_u32_e32 v1, vcc_lo, v7, v51, vcc_lo
	global_store_b16 v[0:1], v2, off
	s_nop 0
	s_sendmsg sendmsg(MSG_DEALLOC_VGPRS)
	s_endpgm
	.section	.rodata,"a",@progbits
	.p2align	6, 0x0
	.amdhsa_kernel _ZN12_GLOBAL__N_120geam_min_plus_kernelIDF16_Dv2_DF16_S1_Li32ELi8ELi128ELi128ELi4ELi4ELi64ELi4ELi64ELc84ELc78ELb1ELb0ELb1EDF16_KPKDF16_KPDF16_EEviiiT16_PT17_ilS9_ilS7_S9_ilPT18_ili26rocblas_geam_ex_operation_
		.amdhsa_group_segment_fixed_size 4096
		.amdhsa_private_segment_fixed_size 376
		.amdhsa_kernarg_size 128
		.amdhsa_user_sgpr_count 14
		.amdhsa_user_sgpr_dispatch_ptr 0
		.amdhsa_user_sgpr_queue_ptr 0
		.amdhsa_user_sgpr_kernarg_segment_ptr 1
		.amdhsa_user_sgpr_dispatch_id 0
		.amdhsa_user_sgpr_private_segment_size 0
		.amdhsa_wavefront_size32 1
		.amdhsa_uses_dynamic_stack 0
		.amdhsa_enable_private_segment 1
		.amdhsa_system_sgpr_workgroup_id_x 1
		.amdhsa_system_sgpr_workgroup_id_y 0
		.amdhsa_system_sgpr_workgroup_id_z 1
		.amdhsa_system_sgpr_workgroup_info 0
		.amdhsa_system_vgpr_workitem_id 1
		.amdhsa_next_free_vgpr 256
		.amdhsa_next_free_sgpr 22
		.amdhsa_reserve_vcc 1
		.amdhsa_float_round_mode_32 0
		.amdhsa_float_round_mode_16_64 0
		.amdhsa_float_denorm_mode_32 3
		.amdhsa_float_denorm_mode_16_64 3
		.amdhsa_dx10_clamp 1
		.amdhsa_ieee_mode 1
		.amdhsa_fp16_overflow 0
		.amdhsa_workgroup_processor_mode 1
		.amdhsa_memory_ordered 1
		.amdhsa_forward_progress 0
		.amdhsa_shared_vgpr_count 0
		.amdhsa_exception_fp_ieee_invalid_op 0
		.amdhsa_exception_fp_denorm_src 0
		.amdhsa_exception_fp_ieee_div_zero 0
		.amdhsa_exception_fp_ieee_overflow 0
		.amdhsa_exception_fp_ieee_underflow 0
		.amdhsa_exception_fp_ieee_inexact 0
		.amdhsa_exception_int_div_zero 0
	.end_amdhsa_kernel
	.section	.text._ZN12_GLOBAL__N_120geam_min_plus_kernelIDF16_Dv2_DF16_S1_Li32ELi8ELi128ELi128ELi4ELi4ELi64ELi4ELi64ELc84ELc78ELb1ELb0ELb1EDF16_KPKDF16_KPDF16_EEviiiT16_PT17_ilS9_ilS7_S9_ilPT18_ili26rocblas_geam_ex_operation_,"axG",@progbits,_ZN12_GLOBAL__N_120geam_min_plus_kernelIDF16_Dv2_DF16_S1_Li32ELi8ELi128ELi128ELi4ELi4ELi64ELi4ELi64ELc84ELc78ELb1ELb0ELb1EDF16_KPKDF16_KPDF16_EEviiiT16_PT17_ilS9_ilS7_S9_ilPT18_ili26rocblas_geam_ex_operation_,comdat
.Lfunc_end214:
	.size	_ZN12_GLOBAL__N_120geam_min_plus_kernelIDF16_Dv2_DF16_S1_Li32ELi8ELi128ELi128ELi4ELi4ELi64ELi4ELi64ELc84ELc78ELb1ELb0ELb1EDF16_KPKDF16_KPDF16_EEviiiT16_PT17_ilS9_ilS7_S9_ilPT18_ili26rocblas_geam_ex_operation_, .Lfunc_end214-_ZN12_GLOBAL__N_120geam_min_plus_kernelIDF16_Dv2_DF16_S1_Li32ELi8ELi128ELi128ELi4ELi4ELi64ELi4ELi64ELc84ELc78ELb1ELb0ELb1EDF16_KPKDF16_KPDF16_EEviiiT16_PT17_ilS9_ilS7_S9_ilPT18_ili26rocblas_geam_ex_operation_
                                        ; -- End function
	.section	.AMDGPU.csdata,"",@progbits
; Kernel info:
; codeLenInByte = 19916
; NumSgprs: 24
; NumVgprs: 256
; ScratchSize: 376
; MemoryBound: 0
; FloatMode: 240
; IeeeMode: 1
; LDSByteSize: 4096 bytes/workgroup (compile time only)
; SGPRBlocks: 2
; VGPRBlocks: 31
; NumSGPRsForWavesPerEU: 24
; NumVGPRsForWavesPerEU: 256
; Occupancy: 5
; WaveLimiterHint : 1
; COMPUTE_PGM_RSRC2:SCRATCH_EN: 1
; COMPUTE_PGM_RSRC2:USER_SGPR: 14
; COMPUTE_PGM_RSRC2:TRAP_HANDLER: 0
; COMPUTE_PGM_RSRC2:TGID_X_EN: 1
; COMPUTE_PGM_RSRC2:TGID_Y_EN: 0
; COMPUTE_PGM_RSRC2:TGID_Z_EN: 1
; COMPUTE_PGM_RSRC2:TIDIG_COMP_CNT: 1
	.section	.text._ZN12_GLOBAL__N_120geam_min_plus_kernelIDF16_Dv2_DF16_S1_Li32ELi8ELi128ELi128ELi4ELi4ELi64ELi4ELi64ELc84ELc78ELb0ELb0ELb1EDF16_KPKDF16_KPDF16_EEviiiT16_PT17_ilS9_ilS7_S9_ilPT18_ili26rocblas_geam_ex_operation_,"axG",@progbits,_ZN12_GLOBAL__N_120geam_min_plus_kernelIDF16_Dv2_DF16_S1_Li32ELi8ELi128ELi128ELi4ELi4ELi64ELi4ELi64ELc84ELc78ELb0ELb0ELb1EDF16_KPKDF16_KPDF16_EEviiiT16_PT17_ilS9_ilS7_S9_ilPT18_ili26rocblas_geam_ex_operation_,comdat
	.globl	_ZN12_GLOBAL__N_120geam_min_plus_kernelIDF16_Dv2_DF16_S1_Li32ELi8ELi128ELi128ELi4ELi4ELi64ELi4ELi64ELc84ELc78ELb0ELb0ELb1EDF16_KPKDF16_KPDF16_EEviiiT16_PT17_ilS9_ilS7_S9_ilPT18_ili26rocblas_geam_ex_operation_ ; -- Begin function _ZN12_GLOBAL__N_120geam_min_plus_kernelIDF16_Dv2_DF16_S1_Li32ELi8ELi128ELi128ELi4ELi4ELi64ELi4ELi64ELc84ELc78ELb0ELb0ELb1EDF16_KPKDF16_KPDF16_EEviiiT16_PT17_ilS9_ilS7_S9_ilPT18_ili26rocblas_geam_ex_operation_
	.p2align	8
	.type	_ZN12_GLOBAL__N_120geam_min_plus_kernelIDF16_Dv2_DF16_S1_Li32ELi8ELi128ELi128ELi4ELi4ELi64ELi4ELi64ELc84ELc78ELb0ELb0ELb1EDF16_KPKDF16_KPDF16_EEviiiT16_PT17_ilS9_ilS7_S9_ilPT18_ili26rocblas_geam_ex_operation_,@function
_ZN12_GLOBAL__N_120geam_min_plus_kernelIDF16_Dv2_DF16_S1_Li32ELi8ELi128ELi128ELi4ELi4ELi64ELi4ELi64ELc84ELc78ELb0ELb0ELb1EDF16_KPKDF16_KPDF16_EEviiiT16_PT17_ilS9_ilS7_S9_ilPT18_ili26rocblas_geam_ex_operation_: ; @_ZN12_GLOBAL__N_120geam_min_plus_kernelIDF16_Dv2_DF16_S1_Li32ELi8ELi128ELi128ELi4ELi4ELi64ELi4ELi64ELc84ELc78ELb0ELb0ELb1EDF16_KPKDF16_KPDF16_EEviiiT16_PT17_ilS9_ilS7_S9_ilPT18_ili26rocblas_geam_ex_operation_
; %bb.0:
	s_clause 0x1
	s_load_b64 s[10:11], s[0:1], 0x8
	s_load_b128 s[4:7], s[0:1], 0x20
	s_mov_b32 s18, s15
	s_mov_b32 s19, 0
	s_waitcnt lgkmcnt(0)
	v_cmp_eq_f16_e64 s2, s11, 0
	s_delay_alu instid0(VALU_DEP_1)
	s_and_b32 vcc_lo, exec_lo, s2
	s_cbranch_vccnz .LBB215_3
; %bb.1:
	s_load_b64 s[8:9], s[0:1], 0x10
	s_lshl_b64 s[12:13], s[18:19], 3
	s_waitcnt lgkmcnt(0)
	s_add_u32 s8, s8, s12
	s_addc_u32 s9, s9, s13
	s_lshl_b64 s[4:5], s[4:5], 1
	s_load_b64 s[8:9], s[8:9], 0x0
	s_waitcnt lgkmcnt(0)
	s_add_u32 s12, s8, s4
	s_addc_u32 s13, s9, s5
	s_and_not1_b32 vcc_lo, exec_lo, s2
	s_cbranch_vccnz .LBB215_4
.LBB215_2:
	s_mov_b64 s[16:17], 0
	s_and_not1_b32 vcc_lo, exec_lo, s19
	s_cbranch_vccz .LBB215_5
	s_branch .LBB215_6
.LBB215_3:
	s_mov_b64 s[12:13], 0
	s_and_not1_b32 vcc_lo, exec_lo, s2
	s_cbranch_vccz .LBB215_2
.LBB215_4:
	s_mov_b32 s19, -1
                                        ; implicit-def: $sgpr16_sgpr17
.LBB215_5:
	s_mov_b32 s19, 0
	s_load_b64 s[4:5], s[0:1], 0x38
	s_lshl_b64 s[2:3], s[18:19], 3
	s_delay_alu instid0(SALU_CYCLE_1) | instskip(SKIP_4) | instid1(SALU_CYCLE_1)
	s_add_u32 s2, s6, s2
	s_addc_u32 s3, s7, s3
	s_load_b64 s[2:3], s[2:3], 0x0
	s_waitcnt lgkmcnt(0)
	s_lshl_b64 s[4:5], s[4:5], 1
	s_add_u32 s16, s2, s4
	s_addc_u32 s17, s3, s5
.LBB215_6:
	s_clause 0x1
	s_load_b32 s15, s[0:1], 0x40
	s_load_b128 s[4:7], s[0:1], 0x58
	v_cmp_neq_f16_e64 s20, s11, 0
	s_waitcnt lgkmcnt(0)
	v_cmp_eq_f16_e64 s2, s15, 0
	s_delay_alu instid0(VALU_DEP_1) | instskip(NEXT) | instid1(SALU_CYCLE_1)
	s_and_b32 s2, exec_lo, s2
	s_mov_b32 vcc_lo, s2
	s_cbranch_vccnz .LBB215_8
; %bb.7:
	s_load_b64 s[8:9], s[0:1], 0x48
	s_lshl_b64 s[22:23], s[18:19], 3
	s_waitcnt lgkmcnt(0)
	s_add_u32 s8, s8, s22
	s_addc_u32 s9, s9, s23
	s_lshl_b64 s[4:5], s[4:5], 1
	s_load_b64 s[8:9], s[8:9], 0x0
	s_waitcnt lgkmcnt(0)
	s_add_u32 s8, s8, s4
	s_addc_u32 s9, s9, s5
	s_branch .LBB215_9
.LBB215_8:
	s_mov_b64 s[8:9], 0
.LBB215_9:
	s_load_b32 s3, s[0:1], 0x0
	s_lshl_b64 s[4:5], s[18:19], 3
	s_load_b32 s19, s[0:1], 0x18
	s_add_u32 s4, s6, s4
	s_addc_u32 s5, s7, s5
	v_and_b32_e32 v40, 0x3ff, v0
	v_bfe_u32 v41, v0, 10, 10
	s_delay_alu instid0(VALU_DEP_2) | instskip(NEXT) | instid1(VALU_DEP_2)
	v_and_b32_e32 v2, 3, v40
	v_lshl_add_u32 v0, v41, 5, v40
	s_delay_alu instid0(VALU_DEP_2) | instskip(NEXT) | instid1(VALU_DEP_2)
	v_lshlrev_b32_e32 v44, 1, v2
	v_lshrrev_b32_e32 v8, 2, v0
	s_waitcnt lgkmcnt(0)
	s_add_i32 s3, s3, -1
	s_delay_alu instid0(SALU_CYCLE_1) | instskip(NEXT) | instid1(SALU_CYCLE_1)
	s_ashr_i32 s6, s3, 31
	s_lshr_b32 s6, s6, 25
	s_delay_alu instid0(SALU_CYCLE_1) | instskip(NEXT) | instid1(SALU_CYCLE_1)
	s_add_i32 s3, s3, s6
	s_ashr_i32 s3, s3, 7
	s_delay_alu instid0(SALU_CYCLE_1) | instskip(SKIP_2) | instid1(VALU_DEP_1)
	s_add_i32 s7, s3, 1
	s_not_b32 s3, s3
	v_cvt_f32_u32_e32 v1, s7
	v_rcp_iflag_f32_e32 v1, v1
	s_waitcnt_depctr 0xfff
	v_mul_f32_e32 v1, 0x4f7ffffe, v1
	s_delay_alu instid0(VALU_DEP_1) | instskip(NEXT) | instid1(VALU_DEP_1)
	v_cvt_u32_f32_e32 v1, v1
	v_readfirstlane_b32 s6, v1
	v_cndmask_b32_e64 v1, 0, 1, s20
	s_delay_alu instid0(VALU_DEP_2) | instskip(NEXT) | instid1(SALU_CYCLE_1)
	s_mul_i32 s3, s3, s6
	s_mul_hi_u32 s3, s6, s3
	s_delay_alu instid0(SALU_CYCLE_1) | instskip(NEXT) | instid1(SALU_CYCLE_1)
	s_add_i32 s6, s6, s3
	s_mul_hi_u32 s3, s14, s6
	s_delay_alu instid0(SALU_CYCLE_1) | instskip(SKIP_2) | instid1(SALU_CYCLE_1)
	s_mul_i32 s6, s3, s7
	s_add_i32 s18, s3, 1
	s_sub_i32 s6, s14, s6
	s_sub_i32 s21, s6, s7
	s_cmp_ge_u32 s6, s7
	s_cselect_b32 s3, s18, s3
	s_cselect_b32 s6, s21, s6
	s_add_i32 s18, s3, 1
	s_cmp_ge_u32 s6, s7
	s_cselect_b32 s6, s18, s3
	s_and_not1_b32 vcc_lo, exec_lo, s20
	s_mul_i32 s3, s6, s7
	s_delay_alu instid0(SALU_CYCLE_1) | instskip(NEXT) | instid1(SALU_CYCLE_1)
	s_sub_i32 s3, s14, s3
	s_lshl_b32 s14, s3, 7
	v_cmp_ne_u32_e64 s3, 1, v1
	v_add_nc_u32_e32 v0, s14, v8
	s_delay_alu instid0(VALU_DEP_1)
	v_add_nc_u32_e32 v1, 64, v0
	s_cbranch_vccnz .LBB215_11
; %bb.10:
	v_mad_i64_i32 v[2:3], null, v0, s19, 0
	s_delay_alu instid0(VALU_DEP_2) | instskip(SKIP_1) | instid1(VALU_DEP_1)
	v_mad_i64_i32 v[4:5], null, v1, s19, 0
	v_add_co_u32 v6, s7, s12, v44
	v_add_co_ci_u32_e64 v7, null, s13, 0, s7
	s_delay_alu instid0(VALU_DEP_4) | instskip(NEXT) | instid1(VALU_DEP_4)
	v_lshlrev_b64 v[2:3], 1, v[2:3]
	v_lshlrev_b64 v[4:5], 1, v[4:5]
	s_delay_alu instid0(VALU_DEP_2) | instskip(NEXT) | instid1(VALU_DEP_3)
	v_add_co_u32 v2, vcc_lo, v6, v2
	v_add_co_ci_u32_e32 v3, vcc_lo, v7, v3, vcc_lo
	s_delay_alu instid0(VALU_DEP_3) | instskip(NEXT) | instid1(VALU_DEP_4)
	v_add_co_u32 v4, vcc_lo, v6, v4
	v_add_co_ci_u32_e32 v5, vcc_lo, v7, v5, vcc_lo
	s_clause 0x1
	flat_load_u16 v2, v[2:3]
	flat_load_u16 v3, v[4:5]
	s_waitcnt vmcnt(1) lgkmcnt(1)
	v_mul_f16_e32 v9, s11, v2
	s_waitcnt vmcnt(0) lgkmcnt(0)
	v_mul_f16_e32 v10, s11, v3
	s_branch .LBB215_12
.LBB215_11:
	v_dual_mov_b32 v9, 0 :: v_dual_mov_b32 v10, 0
.LBB215_12:
	s_load_b32 s21, s[0:1], 0x30
	s_lshl_b32 s18, s6, 7
	s_and_b32 vcc_lo, exec_lo, s3
	v_add_nc_u32_e32 v2, s18, v8
	s_delay_alu instid0(VALU_DEP_1)
	v_add_nc_u32_e32 v3, 64, v2
	s_cbranch_vccnz .LBB215_16
; %bb.13:
	s_waitcnt lgkmcnt(0)
	v_mad_i64_i32 v[4:5], null, v2, s21, 0
	s_delay_alu instid0(VALU_DEP_2) | instskip(SKIP_1) | instid1(VALU_DEP_1)
	v_mad_i64_i32 v[6:7], null, v3, s21, 0
	v_add_co_u32 v11, s6, s16, v44
	v_add_co_ci_u32_e64 v12, null, s17, 0, s6
	s_delay_alu instid0(VALU_DEP_4) | instskip(NEXT) | instid1(VALU_DEP_4)
	v_lshlrev_b64 v[4:5], 1, v[4:5]
	v_lshlrev_b64 v[6:7], 1, v[6:7]
	s_delay_alu instid0(VALU_DEP_2) | instskip(NEXT) | instid1(VALU_DEP_3)
	v_add_co_u32 v4, vcc_lo, v11, v4
	v_add_co_ci_u32_e32 v5, vcc_lo, v12, v5, vcc_lo
	s_delay_alu instid0(VALU_DEP_3) | instskip(NEXT) | instid1(VALU_DEP_4)
	v_add_co_u32 v6, vcc_lo, v11, v6
	v_add_co_ci_u32_e32 v7, vcc_lo, v12, v7, vcc_lo
	s_clause 0x1
	flat_load_u16 v4, v[4:5]
	flat_load_u16 v5, v[6:7]
	s_waitcnt vmcnt(1) lgkmcnt(1)
	v_mul_f16_e32 v11, s11, v4
	s_waitcnt vmcnt(0) lgkmcnt(0)
	v_mul_f16_e32 v12, s11, v5
	s_and_b32 vcc_lo, exec_lo, s3
	s_cbranch_vccnz .LBB215_17
.LBB215_14:
	v_mad_i64_i32 v[4:5], null, v0, s19, 0
	v_mad_i64_i32 v[6:7], null, v1, s19, 0
	v_add_co_u32 v13, s6, s12, v44
	s_delay_alu instid0(VALU_DEP_1) | instskip(NEXT) | instid1(VALU_DEP_4)
	v_add_co_ci_u32_e64 v14, null, s13, 0, s6
	v_lshlrev_b64 v[4:5], 1, v[4:5]
	s_delay_alu instid0(VALU_DEP_4) | instskip(NEXT) | instid1(VALU_DEP_2)
	v_lshlrev_b64 v[6:7], 1, v[6:7]
	v_add_co_u32 v4, vcc_lo, v13, v4
	s_delay_alu instid0(VALU_DEP_3) | instskip(NEXT) | instid1(VALU_DEP_3)
	v_add_co_ci_u32_e32 v5, vcc_lo, v14, v5, vcc_lo
	v_add_co_u32 v6, vcc_lo, v13, v6
	s_delay_alu instid0(VALU_DEP_4)
	v_add_co_ci_u32_e32 v7, vcc_lo, v14, v7, vcc_lo
	s_clause 0x1
	flat_load_u16 v4, v[4:5] offset:8
	flat_load_u16 v5, v[6:7] offset:8
	s_waitcnt vmcnt(1) lgkmcnt(0)
	v_mul_f16_e32 v4, s11, v4
	s_waitcnt vmcnt(0)
	v_mul_f16_e32 v5, s11, v5
	s_and_b32 vcc_lo, exec_lo, s3
	s_cbranch_vccnz .LBB215_18
.LBB215_15:
	s_waitcnt lgkmcnt(0)
	v_mad_i64_i32 v[6:7], null, v2, s21, 0
	v_mad_i64_i32 v[13:14], null, v3, s21, 0
	v_add_co_u32 v15, s6, s16, v44
	s_delay_alu instid0(VALU_DEP_1) | instskip(NEXT) | instid1(VALU_DEP_4)
	v_add_co_ci_u32_e64 v16, null, s17, 0, s6
	v_lshlrev_b64 v[6:7], 1, v[6:7]
	s_delay_alu instid0(VALU_DEP_4) | instskip(NEXT) | instid1(VALU_DEP_2)
	v_lshlrev_b64 v[13:14], 1, v[13:14]
	v_add_co_u32 v6, vcc_lo, v15, v6
	s_delay_alu instid0(VALU_DEP_3) | instskip(NEXT) | instid1(VALU_DEP_3)
	v_add_co_ci_u32_e32 v7, vcc_lo, v16, v7, vcc_lo
	v_add_co_u32 v13, vcc_lo, v15, v13
	s_delay_alu instid0(VALU_DEP_4)
	v_add_co_ci_u32_e32 v14, vcc_lo, v16, v14, vcc_lo
	s_clause 0x1
	flat_load_u16 v6, v[6:7] offset:8
	flat_load_u16 v7, v[13:14] offset:8
	s_waitcnt vmcnt(1) lgkmcnt(1)
	v_mul_f16_e32 v6, s11, v6
	s_waitcnt vmcnt(0) lgkmcnt(0)
	v_mul_f16_e32 v7, s11, v7
	s_branch .LBB215_19
.LBB215_16:
	v_dual_mov_b32 v11, 0 :: v_dual_mov_b32 v12, 0
	s_and_b32 vcc_lo, exec_lo, s3
	s_cbranch_vccz .LBB215_14
.LBB215_17:
	v_dual_mov_b32 v4, 0 :: v_dual_mov_b32 v5, 0
	s_and_b32 vcc_lo, exec_lo, s3
	s_cbranch_vccz .LBB215_15
.LBB215_18:
	v_dual_mov_b32 v6, 0 :: v_dual_mov_b32 v7, 0
.LBB215_19:
	v_lshlrev_b32_e32 v42, 3, v41
	v_lshl_or_b32 v45, v8, 3, v44
	v_lshlrev_b32_e32 v43, 3, v40
	s_load_b64 s[6:7], s[4:5], 0x0
	s_cmp_lt_i32 s10, 9
	v_add_nc_u32_e32 v50, 0x800, v42
	ds_store_b16 v45, v9
	ds_store_b16 v45, v10 offset:512
	ds_store_b16 v45, v11 offset:2048
	;; [unrolled: 1-line block ×3, first 2 shown]
	s_waitcnt lgkmcnt(0)
	s_barrier
	buffer_gl0_inv
	ds_load_2addr_b64 v[8:11], v43 offset1:32
	ds_load_2addr_b64 v[12:15], v50 offset1:8
	ds_load_2addr_b64 v[16:19], v43 offset0:64 offset1:96
	ds_load_2addr_b64 v[20:23], v50 offset0:16 offset1:24
	ds_load_2addr_b64 v[24:27], v50 offset0:32 offset1:40
	ds_load_2addr_b64 v[28:31], v50 offset0:48 offset1:56
	ds_load_2addr_b64 v[32:35], v50 offset0:64 offset1:72
	ds_load_2addr_b64 v[36:39], v50 offset0:80 offset1:88
	ds_load_2addr_b64 v[46:49], v50 offset0:96 offset1:104
	s_waitcnt lgkmcnt(7)
	v_pk_add_f16 v51, v8, v12
	v_pk_add_f16 v52, v10, v12
	s_waitcnt lgkmcnt(6)
	v_pk_add_f16 v53, v16, v12
	v_pk_add_f16 v12, v18, v12
	;; [unrolled: 1-line block ×6, first 2 shown]
	s_waitcnt lgkmcnt(5)
	v_pk_add_f16 v57, v8, v20
	v_pk_min_f16 v12, 0x7c00, v12 op_sel_hi:[0,1]
	v_pk_add_f16 v80, v9, v13
	v_pk_add_f16 v81, v11, v13
	;; [unrolled: 1-line block ×5, first 2 shown]
	v_pk_min_f16 v14, 0x7c00, v14 op_sel_hi:[0,1]
	v_pk_min_f16 v57, 0x7c00, v57 op_sel_hi:[0,1]
	v_pk_add_f16 v59, v16, v20
	v_pk_add_f16 v20, v18, v20
	;; [unrolled: 1-line block ×6, first 2 shown]
	v_pk_min_f16 v120, v12, v13
	v_pk_add_f16 v12, v9, v21
	v_pk_min_f16 v58, 0x7c00, v58 op_sel_hi:[0,1]
	v_pk_add_f16 v60, v8, v22
	v_pk_add_f16 v61, v10, v22
	;; [unrolled: 1-line block ×3, first 2 shown]
	v_pk_min_f16 v59, 0x7c00, v59 op_sel_hi:[0,1]
	v_pk_min_f16 v20, 0x7c00, v20 op_sel_hi:[0,1]
	v_pk_add_f16 v13, v11, v21
	v_pk_min_f16 v105, v14, v15
	v_pk_add_f16 v14, v17, v21
	v_pk_min_f16 v104, v57, v12
	v_pk_add_f16 v12, v19, v21
	v_pk_min_f16 v60, 0x7c00, v60 op_sel_hi:[0,1]
	v_pk_min_f16 v61, 0x7c00, v61 op_sel_hi:[0,1]
	;; [unrolled: 1-line block ×3, first 2 shown]
	v_pk_add_f16 v22, v18, v22
	s_waitcnt lgkmcnt(4)
	v_pk_add_f16 v63, v8, v24
	v_pk_add_f16 v64, v10, v24
	;; [unrolled: 1-line block ×3, first 2 shown]
	v_pk_min_f16 v103, v58, v13
	v_pk_add_f16 v13, v9, v23
	v_pk_min_f16 v102, v59, v14
	v_pk_add_f16 v14, v11, v23
	;; [unrolled: 2-line block ×3, first 2 shown]
	v_pk_min_f16 v22, 0x7c00, v22 op_sel_hi:[0,1]
	v_pk_min_f16 v63, 0x7c00, v63 op_sel_hi:[0,1]
	;; [unrolled: 1-line block ×4, first 2 shown]
	v_pk_add_f16 v66, v8, v26
	v_pk_add_f16 v67, v10, v26
	;; [unrolled: 1-line block ×4, first 2 shown]
	v_pk_min_f16 v100, v60, v13
	v_pk_min_f16 v99, v61, v14
	v_pk_min_f16 v98, v62, v12
	v_pk_add_f16 v12, v19, v23
	v_pk_add_f16 v13, v9, v25
	;; [unrolled: 1-line block ×4, first 2 shown]
	s_waitcnt lgkmcnt(3)
	v_pk_add_f16 v69, v8, v28
	v_pk_min_f16 v66, 0x7c00, v66 op_sel_hi:[0,1]
	v_pk_min_f16 v67, 0x7c00, v67 op_sel_hi:[0,1]
	;; [unrolled: 1-line block ×4, first 2 shown]
	v_pk_add_f16 v70, v10, v28
	v_pk_add_f16 v71, v16, v28
	;; [unrolled: 1-line block ×4, first 2 shown]
	v_pk_min_f16 v97, v22, v12
	v_pk_min_f16 v96, v63, v13
	;; [unrolled: 1-line block ×4, first 2 shown]
	v_pk_add_f16 v12, v9, v27
	v_pk_add_f16 v13, v11, v27
	;; [unrolled: 1-line block ×4, first 2 shown]
	v_pk_min_f16 v55, 0x7c00, v55 op_sel_hi:[0,1]
	v_pk_min_f16 v56, 0x7c00, v56 op_sel_hi:[0,1]
	v_pk_add_f16 v24, v18, v24
	v_pk_min_f16 v69, 0x7c00, v69 op_sel_hi:[0,1]
	v_pk_add_f16 v73, v10, v30
	v_pk_min_f16 v70, 0x7c00, v70 op_sel_hi:[0,1]
	v_pk_min_f16 v71, 0x7c00, v71 op_sel_hi:[0,1]
	;; [unrolled: 1-line block ×4, first 2 shown]
	v_pk_add_f16 v22, v9, v29
	v_pk_min_f16 v92, v66, v12
	v_pk_min_f16 v91, v67, v13
	;; [unrolled: 1-line block ×4, first 2 shown]
	v_pk_add_f16 v12, v11, v29
	v_pk_add_f16 v13, v17, v29
	;; [unrolled: 1-line block ×4, first 2 shown]
	v_pk_min_f16 v53, 0x7c00, v53 op_sel_hi:[0,1]
	v_pk_min_f16 v24, 0x7c00, v24 op_sel_hi:[0,1]
	;; [unrolled: 1-line block ×3, first 2 shown]
	v_pk_add_f16 v74, v16, v30
	v_pk_add_f16 v30, v18, v30
	v_pk_min_f16 v107, v55, v84
	v_pk_min_f16 v106, v56, v85
	v_pk_add_f16 v23, v19, v25
	v_pk_min_f16 v88, v69, v22
	v_pk_add_f16 v22, v11, v31
	v_pk_min_f16 v87, v70, v12
	v_pk_min_f16 v86, v71, v13
	;; [unrolled: 1-line block ×4, first 2 shown]
	ds_load_2addr_b64 v[12:15], v50 offset0:112 offset1:120
	v_pk_min_f16 v52, 0x7c00, v52 op_sel_hi:[0,1]
	v_pk_min_f16 v54, 0x7c00, v54 op_sel_hi:[0,1]
	s_waitcnt lgkmcnt(3)
	v_pk_add_f16 v75, v8, v32
	v_pk_add_f16 v76, v10, v32
	;; [unrolled: 1-line block ×8, first 2 shown]
	s_waitcnt lgkmcnt(2)
	v_pk_add_f16 v109, v8, v36
	v_pk_min_f16 v121, v53, v82
	v_pk_add_f16 v20, v16, v38
	v_pk_min_f16 v93, v24, v23
	v_pk_min_f16 v82, v73, v22
	v_pk_add_f16 v22, v17, v31
	v_pk_add_f16 v23, v19, v31
	v_pk_min_f16 v50, 0x7c00, v74 op_sel_hi:[0,1]
	v_pk_min_f16 v30, 0x7c00, v30 op_sel_hi:[0,1]
	;; [unrolled: 1-line block ×3, first 2 shown]
	v_pk_min_f16 v122, v52, v81
	v_pk_min_f16 v115, v54, v83
	v_pk_add_f16 v21, v18, v38
	v_pk_add_f16 v24, v9, v33
	;; [unrolled: 1-line block ×11, first 2 shown]
	v_pk_min_f16 v59, 0x7c00, v75 op_sel_hi:[0,1]
	v_pk_min_f16 v60, 0x7c00, v76 op_sel_hi:[0,1]
	;; [unrolled: 1-line block ×6, first 2 shown]
	v_pk_min_f16 v83, v50, v22
	s_waitcnt lgkmcnt(1)
	v_pk_add_f16 v22, v8, v46
	v_pk_min_f16 v81, v30, v23
	v_pk_add_f16 v23, v10, v46
	v_pk_min_f16 v20, 0x7c00, v20 op_sel_hi:[0,1]
	v_pk_min_f16 v123, v51, v80
	v_pk_add_f16 v56, v9, v39
	v_pk_add_f16 v57, v11, v39
	v_pk_add_f16 v39, v19, v39
	v_pk_min_f16 v62, 0x7c00, v78 op_sel_hi:[0,1]
	v_pk_min_f16 v63, 0x7c00, v79 op_sel_hi:[0,1]
	;; [unrolled: 1-line block ×3, first 2 shown]
	v_pk_min_f16 v80, v59, v24
	v_pk_add_f16 v24, v16, v46
	v_pk_min_f16 v21, 0x7c00, v21 op_sel_hi:[0,1]
	v_pk_min_f16 v22, 0x7c00, v22 op_sel_hi:[0,1]
	;; [unrolled: 1-line block ×3, first 2 shown]
	v_pk_min_f16 v78, v60, v25
	v_pk_add_f16 v25, v18, v46
	v_pk_min_f16 v77, v61, v26
	v_pk_add_f16 v26, v8, v48
	;; [unrolled: 2-line block ×3, first 2 shown]
	v_pk_min_f16 v72, v34, v33
	v_pk_min_f16 v71, v65, v35
	v_pk_add_f16 v33, v9, v47
	v_pk_min_f16 v65, v20, v58
	v_pk_add_f16 v20, v11, v47
	v_pk_add_f16 v51, v10, v36
	;; [unrolled: 1-line block ×6, first 2 shown]
	v_pk_min_f16 v24, 0x7c00, v24 op_sel_hi:[0,1]
	v_pk_min_f16 v75, v62, v28
	v_pk_add_f16 v28, v16, v48
	v_pk_min_f16 v74, v63, v29
	v_pk_add_f16 v29, v18, v48
	v_pk_min_f16 v25, 0x7c00, v25 op_sel_hi:[0,1]
	v_pk_min_f16 v26, 0x7c00, v26 op_sel_hi:[0,1]
	;; [unrolled: 1-line block ×3, first 2 shown]
	v_pk_min_f16 v73, v64, v31
	s_waitcnt lgkmcnt(0)
	v_pk_add_f16 v30, v8, v12
	v_pk_add_f16 v31, v10, v12
	;; [unrolled: 1-line block ×6, first 2 shown]
	v_pk_min_f16 v64, v21, v39
	v_pk_min_f16 v63, v22, v33
	v_pk_add_f16 v21, v17, v47
	v_pk_add_f16 v22, v19, v47
	;; [unrolled: 1-line block ×3, first 2 shown]
	v_pk_min_f16 v62, v23, v20
	v_pk_add_f16 v14, v18, v14
	v_pk_add_f16 v18, v9, v49
	;; [unrolled: 1-line block ×6, first 2 shown]
	v_pk_min_f16 v51, 0x7c00, v51 op_sel_hi:[0,1]
	v_pk_min_f16 v52, 0x7c00, v52 op_sel_hi:[0,1]
	;; [unrolled: 1-line block ×12, first 2 shown]
	v_pk_min_f16 v61, v24, v21
	v_pk_min_f16 v60, v25, v22
	v_pk_min_f16 v10, 0x7c00, v10 op_sel_hi:[0,1]
	v_pk_min_f16 v16, 0x7c00, v16 op_sel_hi:[0,1]
	;; [unrolled: 1-line block ×3, first 2 shown]
	v_pk_min_f16 v59, v26, v18
	v_pk_min_f16 v58, v27, v20
	v_pk_add_f16 v18, v17, v49
	v_pk_add_f16 v20, v19, v49
	;; [unrolled: 1-line block ×10, first 2 shown]
	v_pk_min_f16 v70, v51, v38
	v_pk_min_f16 v69, v52, v55
	;; [unrolled: 1-line block ×15, first 2 shown]
	ds_store_b16 v45, v4 offset:1024
	ds_store_b16 v45, v5 offset:1536
	;; [unrolled: 1-line block ×4, first 2 shown]
	s_waitcnt lgkmcnt(0)
	s_barrier
	buffer_gl0_inv
	s_cbranch_scc1 .LBB215_33
; %bb.20:
	v_mad_i64_i32 v[4:5], null, s21, v3, 0
	v_mad_i64_i32 v[6:7], null, s21, v2, 0
	;; [unrolled: 1-line block ×3, first 2 shown]
	v_add_nc_u32_e32 v46, 0x800, v45
	v_add_nc_u32_e32 v47, 0x800, v42
	v_lshlrev_b64 v[2:3], 1, v[4:5]
	v_mad_i64_i32 v[4:5], null, s19, v1, 0
	v_lshlrev_b64 v[6:7], 1, v[6:7]
	v_add_nc_u32_e32 v79, 0x400, v45
	v_add_nc_u32_e32 v108, 0xc00, v45
	v_add_co_u32 v111, vcc_lo, s16, v2
	v_add_co_ci_u32_e32 v112, vcc_lo, s17, v3, vcc_lo
	v_lshlrev_b64 v[0:1], 1, v[4:5]
	v_add_co_u32 v113, vcc_lo, s16, v6
	v_lshlrev_b64 v[2:3], 1, v[8:9]
	v_add_co_ci_u32_e32 v114, vcc_lo, s17, v7, vcc_lo
	s_delay_alu instid0(VALU_DEP_4) | instskip(SKIP_1) | instid1(VALU_DEP_4)
	v_add_co_u32 v116, vcc_lo, s12, v0
	v_add_co_ci_u32_e32 v117, vcc_lo, s13, v1, vcc_lo
	v_add_co_u32 v118, vcc_lo, s12, v2
	v_lshl_add_u32 v109, v40, 3, 0x400
	v_lshl_add_u32 v110, v41, 3, 0xc00
	v_add_co_ci_u32_e32 v119, vcc_lo, s13, v3, vcc_lo
	s_add_i32 s5, s10, -8
	s_mov_b32 s10, 0
	s_and_b32 s4, exec_lo, s20
	s_branch .LBB215_23
.LBB215_21:                             ;   in Loop: Header=BB215_23 Depth=1
	v_add_co_u32 v0, vcc_lo, v113, v44
	v_add_co_ci_u32_e32 v1, vcc_lo, 0, v114, vcc_lo
	v_add_co_u32 v75, vcc_lo, v111, v44
	v_add_co_ci_u32_e32 v76, vcc_lo, 0, v112, vcc_lo
	flat_load_u16 v0, v[0:1] offset:24
	flat_load_u16 v1, v[75:76] offset:24
	s_waitcnt vmcnt(1) lgkmcnt(1)
	v_mul_f16_e32 v0, s11, v0
	s_waitcnt vmcnt(0) lgkmcnt(0)
	v_mul_f16_e32 v1, s11, v1
.LBB215_22:                             ;   in Loop: Header=BB215_23 Depth=1
	ds_load_2addr_b64 v[126:129], v43 offset1:32
	ds_load_2addr_b64 v[75:78], v47 offset1:8
	ds_load_2addr_b64 v[130:133], v43 offset0:64 offset1:96
	ds_load_2addr_b64 v[80:83], v47 offset0:16 offset1:24
	;; [unrolled: 1-line block ×8, first 2 shown]
	v_pk_max_f16 v11, v73, v73
	v_pk_max_f16 v73, v74, v74
	;; [unrolled: 1-line block ×11, first 2 shown]
	s_waitcnt lgkmcnt(8)
	v_pk_add_f16 v74, v126, v75
	v_pk_add_f16 v88, v128, v75
	s_waitcnt lgkmcnt(7)
	v_pk_add_f16 v89, v130, v75
	v_pk_add_f16 v75, v132, v75
	;; [unrolled: 1-line block ×3, first 2 shown]
	v_pk_min_f16 v11, v11, v74
	v_pk_add_f16 v74, v132, v77
	v_pk_add_f16 v91, v128, v77
	;; [unrolled: 1-line block ×3, first 2 shown]
	v_pk_min_f16 v69, v69, v75
	s_waitcnt lgkmcnt(6)
	v_pk_add_f16 v75, v128, v80
	v_pk_min_f16 v66, v66, v74
	v_pk_add_f16 v74, v126, v80
	v_pk_add_f16 v77, v130, v80
	;; [unrolled: 1-line block ×3, first 2 shown]
	v_pk_min_f16 v67, v67, v75
	v_pk_add_f16 v75, v130, v82
	v_pk_min_f16 v60, v60, v74
	v_pk_min_f16 v65, v65, v77
	;; [unrolled: 1-line block ×3, first 2 shown]
	v_pk_add_f16 v74, v128, v82
	v_pk_add_f16 v77, v132, v82
	s_waitcnt lgkmcnt(5)
	v_pk_add_f16 v80, v126, v84
	v_pk_max_f16 v59, v59, v59
	v_pk_min_f16 v63, v63, v75
	v_pk_min_f16 v55, v55, v74
	;; [unrolled: 1-line block ×3, first 2 shown]
	v_pk_add_f16 v74, v130, v84
	v_pk_min_f16 v59, v59, v80
	v_pk_max_f16 v50, v50, v50
	v_pk_add_f16 v75, v132, v84
	v_pk_max_f16 v58, v58, v58
	v_pk_add_f16 v77, v126, v86
	;; [unrolled: 2-line block ×3, first 2 shown]
	v_pk_max_f16 v54, v54, v54
	v_pk_min_f16 v50, v50, v74
	v_pk_min_f16 v58, v58, v75
	;; [unrolled: 1-line block ×3, first 2 shown]
	v_pk_add_f16 v74, v132, v86
	v_pk_min_f16 v54, v54, v80
	v_pk_max_f16 v37, v37, v37
	s_waitcnt lgkmcnt(4)
	v_pk_add_f16 v75, v126, v134
	v_pk_max_f16 v53, v53, v53
	v_pk_add_f16 v77, v128, v134
	v_pk_max_f16 v51, v51, v51
	;; [unrolled: 2-line block ×3, first 2 shown]
	v_pk_min_f16 v37, v37, v74
	v_pk_min_f16 v53, v53, v75
	;; [unrolled: 1-line block ×3, first 2 shown]
	v_pk_add_f16 v74, v126, v136
	v_pk_min_f16 v49, v49, v80
	v_pk_max_f16 v32, v32, v32
	v_pk_add_f16 v75, v128, v136
	v_pk_max_f16 v48, v48, v48
	v_pk_add_f16 v77, v130, v136
	;; [unrolled: 2-line block ×3, first 2 shown]
	v_pk_max_f16 v36, v36, v36
	v_pk_min_f16 v32, v32, v74
	v_pk_min_f16 v48, v48, v75
	;; [unrolled: 1-line block ×3, first 2 shown]
	s_waitcnt lgkmcnt(3)
	v_pk_add_f16 v74, v128, v138
	v_pk_min_f16 v36, v36, v80
	v_pk_max_f16 v27, v27, v27
	v_pk_add_f16 v75, v130, v138
	v_pk_max_f16 v35, v35, v35
	v_pk_add_f16 v77, v132, v138
	;; [unrolled: 2-line block ×3, first 2 shown]
	v_pk_max_f16 v31, v31, v31
	v_pk_min_f16 v27, v27, v74
	v_pk_min_f16 v35, v35, v75
	;; [unrolled: 1-line block ×3, first 2 shown]
	v_pk_add_f16 v74, v130, v140
	v_pk_min_f16 v31, v31, v80
	v_pk_max_f16 v22, v22, v22
	v_pk_add_f16 v75, v132, v140
	v_pk_max_f16 v30, v30, v30
	s_waitcnt lgkmcnt(2)
	v_pk_add_f16 v77, v126, v142
	v_pk_max_f16 v28, v28, v28
	v_pk_add_f16 v80, v128, v142
	v_pk_max_f16 v26, v26, v26
	v_pk_max_f16 v71, v71, v71
	v_pk_min_f16 v22, v22, v74
	v_pk_min_f16 v30, v30, v75
	;; [unrolled: 1-line block ×4, first 2 shown]
	v_pk_add_f16 v74, v132, v142
	v_pk_max_f16 v17, v17, v17
	v_pk_add_f16 v75, v126, v144
	v_pk_max_f16 v25, v25, v25
	v_pk_add_f16 v77, v128, v144
	v_pk_max_f16 v23, v23, v23
	v_pk_add_f16 v80, v130, v144
	v_pk_max_f16 v21, v21, v21
	v_pk_min_f16 v71, v71, v88
	v_pk_add_f16 v88, v126, v82
	v_pk_add_f16 v82, v128, v84
	v_pk_max_f16 v57, v57, v57
	v_pk_min_f16 v17, v17, v74
	v_pk_min_f16 v25, v25, v75
	v_pk_min_f16 v23, v23, v77
	v_pk_min_f16 v21, v21, v80
	s_waitcnt lgkmcnt(1)
	v_pk_add_f16 v74, v126, v146
	v_pk_max_f16 v12, v12, v12
	v_pk_add_f16 v75, v128, v146
	v_pk_max_f16 v20, v20, v20
	;; [unrolled: 2-line block ×4, first 2 shown]
	v_pk_min_f16 v57, v57, v82
	v_pk_add_f16 v82, v130, v86
	v_pk_max_f16 v52, v52, v52
	v_pk_min_f16 v12, v12, v74
	v_pk_min_f16 v20, v20, v75
	;; [unrolled: 1-line block ×4, first 2 shown]
	v_pk_add_f16 v74, v128, v148
	v_pk_max_f16 v6, v6, v6
	v_pk_add_f16 v75, v130, v148
	v_pk_max_f16 v15, v15, v15
	;; [unrolled: 2-line block ×3, first 2 shown]
	s_waitcnt lgkmcnt(0)
	v_pk_add_f16 v80, v126, v150
	v_pk_max_f16 v10, v10, v10
	v_pk_max_f16 v70, v70, v70
	v_pk_min_f16 v52, v52, v82
	v_pk_add_f16 v82, v132, v134
	v_pk_max_f16 v39, v39, v39
	v_pk_min_f16 v6, v6, v74
	v_pk_min_f16 v15, v15, v75
	;; [unrolled: 1-line block ×4, first 2 shown]
	v_pk_add_f16 v74, v130, v150
	v_pk_max_f16 v4, v4, v4
	v_pk_add_f16 v75, v132, v150
	v_pk_max_f16 v9, v9, v9
	v_pk_add_f16 v77, v126, v152
	v_pk_max_f16 v7, v7, v7
	v_pk_add_f16 v80, v128, v152
	v_pk_max_f16 v5, v5, v5
	v_pk_max_f16 v72, v72, v72
	v_pk_min_f16 v70, v70, v89
	v_pk_max_f16 v68, v68, v68
	v_pk_min_f16 v39, v39, v82
	v_pk_add_f16 v82, v126, v138
	v_pk_max_f16 v34, v34, v34
	v_pk_min_f16 v4, v4, v74
	v_pk_min_f16 v9, v9, v75
	;; [unrolled: 1-line block ×4, first 2 shown]
	v_pk_add_f16 v74, v132, v152
	v_pk_max_f16 v2, v2, v2
	v_pk_add_f16 v75, v127, v76
	v_pk_add_f16 v77, v129, v76
	;; [unrolled: 1-line block ×4, first 2 shown]
	v_pk_min_f16 v73, v73, v90
	v_pk_min_f16 v72, v72, v91
	;; [unrolled: 1-line block ×3, first 2 shown]
	v_pk_max_f16 v62, v62, v62
	v_pk_min_f16 v34, v34, v82
	v_pk_add_f16 v82, v128, v140
	v_pk_max_f16 v29, v29, v29
	v_pk_min_f16 v2, v2, v74
	v_pk_min_f16 v123, v11, v75
	v_pk_min_f16 v122, v71, v77
	v_pk_min_f16 v121, v70, v80
	v_pk_min_f16 v120, v69, v76
	v_pk_add_f16 v11, v127, v78
	v_pk_add_f16 v69, v129, v78
	;; [unrolled: 1-line block ×5, first 2 shown]
	v_pk_min_f16 v62, v62, v88
	v_pk_min_f16 v29, v29, v82
	v_pk_add_f16 v82, v130, v142
	v_pk_max_f16 v24, v24, v24
	v_pk_min_f16 v115, v73, v11
	v_pk_min_f16 v107, v72, v69
	v_pk_min_f16 v106, v68, v70
	v_pk_min_f16 v105, v66, v71
	v_pk_min_f16 v104, v60, v74
	v_pk_add_f16 v11, v129, v81
	v_pk_add_f16 v60, v131, v81
	v_pk_add_f16 v66, v133, v81
	v_pk_add_f16 v68, v127, v83
	v_pk_add_f16 v69, v129, v83
	v_pk_min_f16 v24, v24, v82
	v_pk_add_f16 v82, v132, v144
	v_pk_max_f16 v19, v19, v19
	v_pk_min_f16 v103, v67, v11
	v_pk_min_f16 v102, v65, v60
	v_pk_min_f16 v101, v64, v66
	v_pk_min_f16 v100, v62, v68
	v_pk_min_f16 v99, v55, v69
	v_pk_add_f16 v11, v131, v83
	v_pk_add_f16 v55, v133, v83
	v_pk_add_f16 v60, v127, v85
	v_pk_add_f16 v62, v129, v85
	v_pk_add_f16 v64, v131, v85
	;; [unrolled: 13-line block ×5, first 2 shown]
	v_pk_min_f16 v3, v3, v82
	v_pk_min_f16 v82, v48, v11
	v_pk_min_f16 v83, v38, v32
	v_pk_min_f16 v81, v36, v37
	v_pk_min_f16 v80, v34, v39
	v_pk_min_f16 v78, v27, v49
	v_pk_add_f16 v11, v131, v139
	v_pk_add_f16 v27, v133, v139
	v_pk_add_f16 v32, v127, v141
	v_pk_add_f16 v34, v129, v141
	v_pk_add_f16 v36, v131, v141
	v_pk_min_f16 v77, v35, v11
	v_pk_min_f16 v76, v33, v27
	v_pk_min_f16 v75, v31, v32
	v_pk_min_f16 v74, v29, v34
	v_pk_min_f16 v73, v22, v36
	v_pk_add_f16 v11, v133, v141
	v_pk_add_f16 v22, v127, v143
	v_pk_add_f16 v27, v129, v143
	v_pk_add_f16 v29, v131, v143
	v_pk_add_f16 v31, v133, v143
	v_pk_min_f16 v72, v30, v11
	v_pk_min_f16 v71, v28, v22
	v_pk_min_f16 v70, v26, v27
	v_pk_min_f16 v69, v24, v29
	v_pk_min_f16 v68, v17, v31
	;; [unrolled: 10-line block ×3, first 2 shown]
	v_pk_add_f16 v11, v129, v147
	v_pk_add_f16 v12, v131, v147
	;; [unrolled: 1-line block ×5, first 2 shown]
	v_add_co_u32 v111, vcc_lo, v111, 16
	v_pk_min_f16 v62, v20, v11
	v_pk_min_f16 v61, v18, v12
	;; [unrolled: 1-line block ×5, first 2 shown]
	v_pk_add_f16 v6, v131, v149
	v_pk_add_f16 v11, v133, v149
	;; [unrolled: 1-line block ×5, first 2 shown]
	v_add_co_ci_u32_e32 v112, vcc_lo, 0, v112, vcc_lo
	v_add_co_u32 v113, vcc_lo, v113, 16
	v_add_co_ci_u32_e32 v114, vcc_lo, 0, v114, vcc_lo
	v_pk_min_f16 v57, v15, v6
	v_pk_min_f16 v56, v13, v11
	;; [unrolled: 1-line block ×5, first 2 shown]
	v_pk_add_f16 v4, v133, v151
	v_pk_add_f16 v6, v127, v153
	;; [unrolled: 1-line block ×5, first 2 shown]
	v_add_co_u32 v116, vcc_lo, v116, 16
	v_add_co_ci_u32_e32 v117, vcc_lo, 0, v117, vcc_lo
	v_add_co_u32 v118, vcc_lo, v118, 16
	v_pk_min_f16 v52, v9, v4
	v_pk_min_f16 v51, v7, v6
	;; [unrolled: 1-line block ×5, first 2 shown]
	v_add_co_ci_u32_e32 v119, vcc_lo, 0, v119, vcc_lo
	s_add_i32 s10, s10, 8
	ds_store_b16 v79, v124
	ds_store_b16 v79, v125 offset:512
	ds_store_b16 v108, v0
	ds_store_b16 v108, v1 offset:512
	s_cmp_ge_i32 s10, s5
	s_waitcnt lgkmcnt(0)
	s_barrier
	buffer_gl0_inv
	s_cbranch_scc1 .LBB215_33
.LBB215_23:                             ; =>This Inner Loop Header: Depth=1
	s_and_b32 vcc_lo, exec_lo, s3
	s_cbranch_vccnz .LBB215_26
; %bb.24:                               ;   in Loop: Header=BB215_23 Depth=1
	v_add_co_u32 v0, vcc_lo, v118, v44
	v_add_co_ci_u32_e32 v1, vcc_lo, 0, v119, vcc_lo
	v_add_co_u32 v2, vcc_lo, v116, v44
	v_add_co_ci_u32_e32 v3, vcc_lo, 0, v117, vcc_lo
	flat_load_u16 v0, v[0:1] offset:16
	flat_load_u16 v1, v[2:3] offset:16
	s_waitcnt vmcnt(1) lgkmcnt(1)
	v_mul_f16_e32 v124, s11, v0
	s_waitcnt vmcnt(0) lgkmcnt(0)
	v_mul_f16_e32 v125, s11, v1
	s_and_b32 vcc_lo, exec_lo, s3
	s_cbranch_vccnz .LBB215_27
.LBB215_25:                             ;   in Loop: Header=BB215_23 Depth=1
	v_add_co_u32 v0, vcc_lo, v113, v44
	v_add_co_ci_u32_e32 v1, vcc_lo, 0, v114, vcc_lo
	v_add_co_u32 v2, vcc_lo, v111, v44
	v_add_co_ci_u32_e32 v3, vcc_lo, 0, v112, vcc_lo
	flat_load_u16 v0, v[0:1] offset:16
	flat_load_u16 v1, v[2:3] offset:16
	s_waitcnt vmcnt(1) lgkmcnt(1)
	v_mul_f16_e32 v126, s11, v0
	s_waitcnt vmcnt(0) lgkmcnt(0)
	v_mul_f16_e32 v127, s11, v1
	s_branch .LBB215_28
.LBB215_26:                             ;   in Loop: Header=BB215_23 Depth=1
	v_dual_mov_b32 v124, 0 :: v_dual_mov_b32 v125, 0
	s_and_b32 vcc_lo, exec_lo, s3
	s_cbranch_vccz .LBB215_25
.LBB215_27:                             ;   in Loop: Header=BB215_23 Depth=1
	v_dual_mov_b32 v126, 0 :: v_dual_mov_b32 v127, 0
.LBB215_28:                             ;   in Loop: Header=BB215_23 Depth=1
	ds_load_2addr_b64 v[4:7], v109 offset1:32
	ds_load_2addr_b64 v[0:3], v109 offset0:64 offset1:96
	ds_load_2addr_b64 v[36:39], v110 offset1:8
	ds_load_2addr_b64 v[32:35], v110 offset0:16 offset1:24
	ds_load_2addr_b64 v[28:31], v110 offset0:32 offset1:40
	;; [unrolled: 1-line block ×7, first 2 shown]
	s_mov_b32 vcc_lo, s4
	ds_store_b16 v45, v124
	ds_store_b16 v45, v125 offset:512
	ds_store_b16 v46, v126
	ds_store_b16 v46, v127 offset:512
	s_waitcnt lgkmcnt(0)
	s_barrier
	buffer_gl0_inv
	s_cbranch_vccz .LBB215_30
; %bb.29:                               ;   in Loop: Header=BB215_23 Depth=1
	v_add_co_u32 v124, vcc_lo, v118, v44
	v_add_co_ci_u32_e32 v125, vcc_lo, 0, v119, vcc_lo
	v_add_co_u32 v126, vcc_lo, v116, v44
	v_add_co_ci_u32_e32 v127, vcc_lo, 0, v117, vcc_lo
	flat_load_u16 v124, v[124:125] offset:24
	flat_load_u16 v125, v[126:127] offset:24
	s_waitcnt vmcnt(1) lgkmcnt(1)
	v_mul_f16_e32 v124, s11, v124
	s_waitcnt vmcnt(0) lgkmcnt(0)
	v_mul_f16_e32 v125, s11, v125
	s_branch .LBB215_31
.LBB215_30:                             ;   in Loop: Header=BB215_23 Depth=1
	v_dual_mov_b32 v124, 0 :: v_dual_mov_b32 v125, 0
.LBB215_31:                             ;   in Loop: Header=BB215_23 Depth=1
	v_pk_add_f16 v126, v4, v36
	v_pk_max_f16 v123, v123, v123
	v_pk_add_f16 v127, v6, v36
	v_pk_max_f16 v122, v122, v122
	;; [unrolled: 2-line block ×3, first 2 shown]
	v_pk_min_f16 v123, v123, v126
	v_pk_add_f16 v36, v2, v36
	v_pk_min_f16 v122, v122, v127
	v_pk_max_f16 v120, v120, v120
	v_pk_min_f16 v121, v121, v128
	v_pk_add_f16 v126, v4, v38
	v_pk_max_f16 v115, v115, v115
	v_pk_add_f16 v127, v6, v38
	v_pk_add_f16 v128, v0, v38
	;; [unrolled: 1-line block ×3, first 2 shown]
	v_pk_max_f16 v105, v105, v105
	v_pk_max_f16 v107, v107, v107
	v_pk_min_f16 v36, v120, v36
	v_pk_min_f16 v115, v115, v126
	v_pk_max_f16 v104, v104, v104
	v_pk_min_f16 v38, v105, v38
	v_pk_add_f16 v105, v4, v32
	v_pk_add_f16 v120, v6, v32
	v_pk_add_f16 v126, v0, v32
	v_pk_add_f16 v32, v2, v32
	v_pk_max_f16 v101, v101, v101
	v_pk_min_f16 v107, v107, v127
	v_pk_max_f16 v103, v103, v103
	v_pk_max_f16 v102, v102, v102
	v_pk_add_f16 v127, v4, v34
	v_pk_min_f16 v104, v104, v105
	v_pk_min_f16 v32, v101, v32
	v_pk_add_f16 v101, v6, v34
	v_pk_max_f16 v99, v99, v99
	v_pk_add_f16 v105, v0, v34
	v_pk_add_f16 v34, v2, v34
	v_pk_max_f16 v97, v97, v97
	v_pk_min_f16 v103, v103, v120
	v_pk_min_f16 v102, v102, v126
	v_pk_max_f16 v98, v98, v98
	v_pk_add_f16 v120, v4, v28
	v_pk_max_f16 v96, v96, v96
	v_pk_add_f16 v126, v6, v28
	v_pk_min_f16 v99, v99, v101
	v_pk_min_f16 v34, v97, v34
	v_pk_add_f16 v97, v0, v28
	v_pk_max_f16 v94, v94, v94
	v_pk_add_f16 v28, v2, v28
	v_pk_max_f16 v93, v93, v93
	;; [unrolled: 2-line block ×3, first 2 shown]
	v_pk_min_f16 v98, v98, v105
	v_pk_min_f16 v96, v96, v120
	v_pk_add_f16 v105, v6, v30
	v_pk_add_f16 v120, v0, v30
	v_pk_min_f16 v94, v94, v97
	v_pk_min_f16 v28, v93, v28
	;; [unrolled: 1-line block ×3, first 2 shown]
	v_pk_add_f16 v30, v2, v30
	v_pk_max_f16 v89, v89, v89
	v_pk_add_f16 v93, v4, v24
	v_pk_max_f16 v88, v88, v88
	v_pk_add_f16 v97, v6, v24
	v_pk_add_f16 v101, v0, v24
	;; [unrolled: 1-line block ×3, first 2 shown]
	v_pk_max_f16 v85, v85, v85
	v_pk_max_f16 v87, v87, v87
	v_pk_min_f16 v30, v89, v30
	v_pk_min_f16 v88, v88, v93
	v_pk_max_f16 v84, v84, v84
	v_pk_min_f16 v24, v85, v24
	v_pk_add_f16 v85, v4, v26
	v_pk_add_f16 v89, v6, v26
	v_pk_max_f16 v82, v82, v82
	v_pk_add_f16 v93, v0, v26
	v_pk_max_f16 v83, v83, v83
	;; [unrolled: 2-line block ×3, first 2 shown]
	v_pk_min_f16 v87, v87, v97
	v_pk_add_f16 v97, v4, v20
	v_pk_min_f16 v84, v84, v85
	v_pk_min_f16 v82, v82, v89
	;; [unrolled: 1-line block ×4, first 2 shown]
	v_pk_add_f16 v81, v6, v20
	v_pk_add_f16 v85, v0, v20
	v_pk_max_f16 v77, v77, v77
	v_pk_add_f16 v20, v2, v20
	v_pk_max_f16 v76, v76, v76
	;; [unrolled: 2-line block ×4, first 2 shown]
	v_pk_max_f16 v80, v80, v80
	v_pk_max_f16 v78, v78, v78
	v_pk_min_f16 v77, v77, v85
	v_pk_min_f16 v20, v76, v20
	;; [unrolled: 1-line block ×4, first 2 shown]
	v_pk_add_f16 v74, v0, v22
	v_pk_add_f16 v22, v2, v22
	v_pk_max_f16 v72, v72, v72
	v_pk_add_f16 v85, v6, v16
	v_pk_max_f16 v70, v70, v70
	;; [unrolled: 2-line block ×3, first 2 shown]
	v_pk_max_f16 v90, v90, v90
	v_pk_min_f16 v80, v80, v97
	v_pk_min_f16 v78, v78, v81
	v_pk_add_f16 v81, v4, v16
	v_pk_min_f16 v97, v72, v22
	v_pk_min_f16 v85, v70, v85
	;; [unrolled: 1-line block ×3, first 2 shown]
	v_pk_add_f16 v16, v2, v16
	v_pk_max_f16 v22, v68, v68
	v_pk_add_f16 v68, v4, v18
	v_pk_add_f16 v69, v6, v18
	;; [unrolled: 1-line block ×3, first 2 shown]
	v_pk_max_f16 v65, v65, v65
	v_pk_add_f16 v18, v2, v18
	v_pk_max_f16 v64, v64, v64
	v_pk_max_f16 v95, v95, v95
	;; [unrolled: 1-line block ×3, first 2 shown]
	v_pk_min_f16 v90, v90, v120
	v_pk_max_f16 v66, v66, v66
	v_pk_min_f16 v16, v22, v16
	v_pk_min_f16 v120, v65, v70
	;; [unrolled: 1-line block ×3, first 2 shown]
	v_pk_add_f16 v22, v4, v12
	v_pk_max_f16 v63, v63, v63
	v_pk_add_f16 v64, v6, v12
	v_pk_add_f16 v65, v0, v12
	;; [unrolled: 1-line block ×3, first 2 shown]
	v_pk_max_f16 v60, v60, v60
	v_pk_min_f16 v95, v95, v126
	v_pk_min_f16 v91, v91, v105
	;; [unrolled: 1-line block ×3, first 2 shown]
	v_pk_add_f16 v66, v4, v14
	v_pk_max_f16 v59, v59, v59
	v_pk_min_f16 v126, v63, v22
	v_pk_min_f16 v129, v60, v12
	v_pk_add_f16 v12, v6, v14
	v_pk_max_f16 v22, v58, v58
	v_pk_min_f16 v130, v59, v66
	v_pk_add_f16 v59, v4, v8
	v_pk_add_f16 v60, v6, v8
	v_pk_max_f16 v106, v106, v106
	v_pk_min_f16 v131, v22, v12
	v_pk_add_f16 v12, v0, v8
	v_pk_add_f16 v8, v2, v8
	v_pk_max_f16 v22, v52, v52
	v_pk_max_f16 v71, v71, v71
	v_pk_add_f16 v58, v0, v14
	v_pk_add_f16 v14, v2, v14
	v_pk_max_f16 v56, v56, v56
	v_pk_add_f16 v4, v4, v10
	v_pk_max_f16 v51, v51, v51
	;; [unrolled: 2-line block ×3, first 2 shown]
	v_pk_min_f16 v137, v22, v8
	v_pk_add_f16 v8, v7, v37
	v_pk_min_f16 v106, v106, v128
	v_pk_max_f16 v86, v86, v86
	v_pk_max_f16 v73, v73, v73
	v_pk_min_f16 v81, v71, v81
	v_pk_max_f16 v67, v67, v67
	v_pk_min_f16 v133, v56, v14
	v_pk_max_f16 v14, v53, v53
	v_pk_add_f16 v0, v0, v10
	v_pk_min_f16 v138, v51, v4
	v_pk_min_f16 v139, v50, v6
	v_pk_add_f16 v2, v2, v10
	v_pk_max_f16 v4, v48, v48
	v_pk_add_f16 v6, v5, v37
	v_pk_add_f16 v10, v1, v37
	v_pk_min_f16 v71, v122, v8
	v_pk_add_f16 v8, v1, v39
	v_pk_max_f16 v100, v100, v100
	v_pk_min_f16 v86, v86, v101
	v_pk_min_f16 v93, v73, v74
	;; [unrolled: 1-line block ×3, first 2 shown]
	v_pk_max_f16 v62, v62, v62
	v_pk_min_f16 v136, v14, v12
	v_pk_add_f16 v12, v3, v37
	v_pk_min_f16 v2, v4, v2
	v_pk_min_f16 v73, v123, v6
	;; [unrolled: 1-line block ×3, first 2 shown]
	v_pk_add_f16 v4, v5, v39
	v_pk_add_f16 v6, v7, v39
	;; [unrolled: 1-line block ×3, first 2 shown]
	v_pk_min_f16 v68, v106, v8
	v_pk_add_f16 v8, v3, v33
	v_pk_min_f16 v100, v100, v127
	v_pk_max_f16 v61, v61, v61
	v_pk_min_f16 v127, v62, v64
	v_pk_max_f16 v55, v55, v55
	v_pk_max_f16 v54, v54, v54
	v_pk_min_f16 v69, v36, v12
	v_pk_add_f16 v12, v5, v33
	v_pk_min_f16 v74, v115, v4
	v_pk_min_f16 v72, v107, v6
	;; [unrolled: 1-line block ×3, first 2 shown]
	v_pk_add_f16 v4, v7, v33
	v_pk_add_f16 v6, v1, v33
	;; [unrolled: 1-line block ×3, first 2 shown]
	v_pk_min_f16 v64, v32, v8
	v_pk_add_f16 v8, v5, v29
	v_pk_min_f16 v128, v61, v65
	v_pk_max_f16 v57, v57, v57
	v_pk_min_f16 v134, v55, v59
	v_pk_min_f16 v135, v54, v60
	;; [unrolled: 1-line block ×3, first 2 shown]
	v_pk_add_f16 v12, v7, v35
	v_pk_min_f16 v67, v103, v4
	v_pk_min_f16 v65, v102, v6
	;; [unrolled: 1-line block ×3, first 2 shown]
	v_pk_add_f16 v4, v1, v35
	v_pk_add_f16 v6, v3, v35
	;; [unrolled: 1-line block ×3, first 2 shown]
	v_pk_min_f16 v59, v96, v8
	v_pk_add_f16 v8, v7, v31
	v_pk_min_f16 v132, v57, v58
	v_pk_max_f16 v49, v49, v49
	v_pk_min_f16 v55, v99, v12
	v_pk_add_f16 v12, v1, v29
	v_pk_min_f16 v63, v98, v4
	v_pk_min_f16 v61, v34, v6
	;; [unrolled: 1-line block ×3, first 2 shown]
	v_pk_add_f16 v4, v3, v29
	v_pk_add_f16 v6, v5, v31
	;; [unrolled: 1-line block ×3, first 2 shown]
	v_pk_min_f16 v54, v91, v8
	v_pk_add_f16 v8, v1, v25
	v_pk_min_f16 v0, v49, v0
	v_pk_min_f16 v50, v94, v12
	v_pk_add_f16 v12, v3, v31
	v_pk_min_f16 v58, v28, v4
	v_pk_min_f16 v56, v92, v6
	v_pk_min_f16 v52, v90, v10
	v_pk_add_f16 v4, v5, v25
	v_pk_add_f16 v6, v7, v25
	v_pk_add_f16 v10, v3, v25
	v_pk_min_f16 v49, v86, v8
	v_pk_add_f16 v8, v3, v27
	v_pk_min_f16 v37, v30, v12
	v_pk_add_f16 v12, v5, v27
	v_pk_min_f16 v53, v88, v4
	v_pk_min_f16 v51, v87, v6
	v_pk_min_f16 v39, v24, v10
	v_pk_add_f16 v4, v7, v27
	v_pk_add_f16 v6, v1, v27
	v_pk_add_f16 v10, v5, v21
	v_pk_min_f16 v36, v26, v8
	v_pk_add_f16 v8, v5, v23
	;; [unrolled: 10-line block ×5, first 2 shown]
	v_pk_min_f16 v17, v16, v12
	v_pk_add_f16 v12, v5, v13
	v_pk_min_f16 v25, v101, v4
	v_pk_min_f16 v23, v105, v6
	;; [unrolled: 1-line block ×3, first 2 shown]
	v_pk_add_f16 v4, v7, v13
	v_pk_add_f16 v6, v1, v13
	;; [unrolled: 1-line block ×4, first 2 shown]
	v_pk_min_f16 v16, v129, v8
	v_pk_add_f16 v8, v3, v15
	v_pk_add_f16 v75, v7, v9
	v_pk_min_f16 v20, v127, v4
	v_pk_min_f16 v18, v128, v6
	;; [unrolled: 1-line block ×4, first 2 shown]
	v_pk_add_f16 v4, v1, v15
	v_pk_add_f16 v10, v5, v9
	;; [unrolled: 1-line block ×3, first 2 shown]
	v_pk_min_f16 v13, v133, v8
	v_pk_min_f16 v8, v135, v75
	v_pk_add_f16 v9, v3, v9
	v_pk_add_f16 v5, v5, v11
	;; [unrolled: 1-line block ×5, first 2 shown]
	v_pk_min_f16 v12, v126, v12
	v_pk_min_f16 v15, v132, v4
	;; [unrolled: 1-line block ×9, first 2 shown]
	s_and_b32 vcc_lo, exec_lo, s3
	s_cbranch_vccz .LBB215_21
; %bb.32:                               ;   in Loop: Header=BB215_23 Depth=1
	v_dual_mov_b32 v0, 0 :: v_dual_mov_b32 v1, 0
	s_branch .LBB215_22
.LBB215_33:
	s_load_b32 s4, s[0:1], 0x50
	v_add_nc_u32_e32 v79, s18, v41
	v_dual_mov_b32 v41, 0 :: v_dual_add_nc_u32 v44, s14, v40
	v_mov_b32_e32 v40, 0
	ds_load_b64 v[36:37], v43 offset:1024
	ds_load_b64 v[46:47], v42 offset:3072
	v_ashrrev_i32_e32 v45, 31, v44
	v_cmp_neq_f16_e64 s10, s15, 0
	s_delay_alu instid0(VALU_DEP_2) | instskip(NEXT) | instid1(VALU_DEP_2)
	v_lshlrev_b64 v[38:39], 1, v[44:45]
	s_and_b32 vcc_lo, exec_lo, s10
	s_waitcnt lgkmcnt(0)
	v_mad_i64_i32 v[0:1], null, v79, s4, 0
	s_delay_alu instid0(VALU_DEP_1) | instskip(NEXT) | instid1(VALU_DEP_1)
	v_lshlrev_b64 v[0:1], 1, v[0:1]
	v_add_co_u32 v108, s3, s8, v0
	s_delay_alu instid0(VALU_DEP_1)
	v_add_co_ci_u32_e64 v109, s3, s9, v1, s3
	s_cbranch_vccz .LBB215_35
; %bb.34:
	s_delay_alu instid0(VALU_DEP_2) | instskip(NEXT) | instid1(VALU_DEP_2)
	v_add_co_u32 v0, vcc_lo, v108, v38
	v_add_co_ci_u32_e32 v1, vcc_lo, v109, v39, vcc_lo
	flat_load_u16 v0, v[0:1]
	s_waitcnt vmcnt(0) lgkmcnt(0)
	v_mul_f16_e32 v41, s15, v0
.LBB215_35:
	s_clause 0x1
	s_load_b32 s3, s[0:1], 0x68
	s_load_b64 s[12:13], s[0:1], 0x70
	v_add_nc_u32_e32 v4, 0x800, v42
	v_pk_add_f16 v5, v36, v46
	v_pk_max_f16 v6, v123, v123
	ds_load_2addr_b64 v[0:3], v43 offset0:160 offset1:192
	ds_load_b64 v[32:33], v43 offset:1792
	ds_load_b64 v[34:35], v42 offset:4032
	v_pk_add_f16 v43, v37, v47
	ds_load_2addr_b64 v[28:31], v4 offset0:136 offset1:144
	ds_load_2addr_b64 v[24:27], v4 offset0:152 offset1:160
	;; [unrolled: 1-line block ×3, first 2 shown]
	v_pk_min_f16 v112, v6, v5
	ds_load_2addr_b64 v[16:19], v4 offset0:184 offset1:192
	ds_load_2addr_b64 v[12:15], v4 offset0:200 offset1:208
	;; [unrolled: 1-line block ×4, first 2 shown]
	v_cndmask_b32_e64 v45, 0, 1, s10
	v_add_nc_u32_e32 v42, 32, v44
	v_pk_min_f16 v112, v112, v43
	s_delay_alu instid0(VALU_DEP_3) | instskip(NEXT) | instid1(VALU_DEP_3)
	v_cmp_ne_u32_e64 s0, 1, v45
	v_ashrrev_i32_e32 v43, 31, v42
	s_delay_alu instid0(VALU_DEP_3)
	v_lshrrev_b32_e32 v45, 16, v112
	s_waitcnt lgkmcnt(0)
	v_mad_i64_i32 v[110:111], null, v79, s3, 0
	s_lshl_b64 s[12:13], s[12:13], 1
	v_lshlrev_b64 v[42:43], 1, v[42:43]
	s_add_u32 s1, s6, s12
	s_addc_u32 s5, s7, s13
	v_min3_f16 v41, v41, v112, v45
	s_delay_alu instid0(VALU_DEP_3) | instskip(NEXT) | instid1(VALU_DEP_1)
	v_lshlrev_b64 v[110:111], 1, v[110:111]
	v_add_co_u32 v110, vcc_lo, s1, v110
	s_delay_alu instid0(VALU_DEP_2) | instskip(NEXT) | instid1(VALU_DEP_2)
	v_add_co_ci_u32_e32 v111, vcc_lo, s5, v111, vcc_lo
	v_add_co_u32 v112, vcc_lo, v110, v38
	s_delay_alu instid0(VALU_DEP_2)
	v_add_co_ci_u32_e32 v113, vcc_lo, v111, v39, vcc_lo
	s_and_not1_b32 vcc_lo, exec_lo, s10
	global_store_b16 v[112:113], v41, off
	s_cbranch_vccnz .LBB215_37
; %bb.36:
	v_add_co_u32 v40, vcc_lo, v108, v42
	v_add_co_ci_u32_e32 v41, vcc_lo, v109, v43, vcc_lo
	flat_load_u16 v40, v[40:41]
	s_waitcnt vmcnt(0) lgkmcnt(0)
	v_mul_f16_e32 v40, s15, v40
.LBB215_37:
	v_pk_add_f16 v41, v0, v46
	v_pk_max_f16 v45, v122, v122
	v_pk_add_f16 v112, v1, v47
	v_add_nc_u32_e32 v113, 64, v44
	v_add_co_u32 v116, vcc_lo, v110, v42
	s_delay_alu instid0(VALU_DEP_4) | instskip(SKIP_2) | instid1(VALU_DEP_2)
	v_pk_min_f16 v41, v45, v41
	v_add_co_ci_u32_e32 v117, vcc_lo, v111, v43, vcc_lo
	s_and_b32 vcc_lo, exec_lo, s0
	v_pk_min_f16 v41, v41, v112
	v_mov_b32_e32 v112, 0
	v_ashrrev_i32_e32 v114, 31, v113
	s_delay_alu instid0(VALU_DEP_3) | instskip(NEXT) | instid1(VALU_DEP_1)
	v_lshrrev_b32_e32 v45, 16, v41
	v_min3_f16 v118, v40, v41, v45
	s_delay_alu instid0(VALU_DEP_3)
	v_lshlrev_b64 v[40:41], 1, v[113:114]
	v_mov_b32_e32 v45, 0
	global_store_b16 v[116:117], v118, off
	s_cbranch_vccnz .LBB215_39
; %bb.38:
	v_add_co_u32 v113, vcc_lo, v108, v40
	v_add_co_ci_u32_e32 v114, vcc_lo, v109, v41, vcc_lo
	flat_load_u16 v45, v[113:114]
	s_waitcnt vmcnt(0) lgkmcnt(0)
	v_mul_f16_e32 v45, s15, v45
.LBB215_39:
	v_pk_add_f16 v113, v2, v46
	v_pk_max_f16 v114, v121, v121
	v_pk_add_f16 v116, v3, v47
	s_delay_alu instid0(VALU_DEP_2) | instskip(SKIP_1) | instid1(VALU_DEP_2)
	v_pk_min_f16 v114, v114, v113
	v_add_nc_u32_e32 v113, 0x60, v44
	v_pk_min_f16 v44, v114, v116
	s_delay_alu instid0(VALU_DEP_2) | instskip(SKIP_2) | instid1(VALU_DEP_4)
	v_ashrrev_i32_e32 v114, 31, v113
	v_add_co_u32 v116, vcc_lo, v110, v40
	v_add_co_ci_u32_e32 v117, vcc_lo, v111, v41, vcc_lo
	v_lshrrev_b32_e32 v118, 16, v44
	s_and_b32 vcc_lo, exec_lo, s0
	s_delay_alu instid0(VALU_DEP_1)
	v_min3_f16 v118, v45, v44, v118
	v_lshlrev_b64 v[44:45], 1, v[113:114]
	global_store_b16 v[116:117], v118, off
	s_cbranch_vccnz .LBB215_41
; %bb.40:
	v_add_co_u32 v108, vcc_lo, v108, v44
	v_add_co_ci_u32_e32 v109, vcc_lo, v109, v45, vcc_lo
	flat_load_u16 v108, v[108:109]
	s_waitcnt vmcnt(0) lgkmcnt(0)
	v_mul_f16_e32 v112, s15, v108
.LBB215_41:
	v_add_nc_u32_e32 v108, 8, v79
	v_pk_add_f16 v46, v32, v46
	v_pk_max_f16 v109, v120, v120
	v_pk_add_f16 v47, v33, v47
	s_delay_alu instid0(VALU_DEP_4) | instskip(NEXT) | instid1(VALU_DEP_3)
	v_mad_i64_i32 v[113:114], null, v108, s4, 0
	v_pk_min_f16 v46, v109, v46
	s_delay_alu instid0(VALU_DEP_1) | instskip(NEXT) | instid1(VALU_DEP_3)
	v_pk_min_f16 v109, v46, v47
	v_lshlrev_b64 v[46:47], 1, v[113:114]
	v_add_co_u32 v113, vcc_lo, v110, v44
	v_add_co_ci_u32_e32 v114, vcc_lo, v111, v45, vcc_lo
	v_mov_b32_e32 v111, 0
	v_lshrrev_b32_e32 v110, 16, v109
	v_add_co_u32 v46, vcc_lo, s8, v46
	v_add_co_ci_u32_e32 v47, vcc_lo, s9, v47, vcc_lo
	s_delay_alu instid0(VALU_DEP_3)
	v_min3_f16 v109, v112, v109, v110
	v_mov_b32_e32 v110, 0
	s_and_b32 vcc_lo, exec_lo, s0
	global_store_b16 v[113:114], v109, off
	s_cbranch_vccnz .LBB215_43
; %bb.42:
	v_add_co_u32 v111, vcc_lo, v46, v38
	v_add_co_ci_u32_e32 v112, vcc_lo, v47, v39, vcc_lo
	flat_load_u16 v109, v[111:112]
	s_waitcnt vmcnt(0) lgkmcnt(0)
	v_mul_f16_e32 v111, s15, v109
.LBB215_43:
	v_pk_add_f16 v109, v36, v28
	v_pk_max_f16 v114, v115, v115
	v_mad_i64_i32 v[112:113], null, v108, s3, 0
	v_pk_add_f16 v108, v37, v29
	s_delay_alu instid0(VALU_DEP_3) | instskip(NEXT) | instid1(VALU_DEP_1)
	v_pk_min_f16 v109, v114, v109
	v_pk_min_f16 v114, v109, v108
	s_delay_alu instid0(VALU_DEP_4) | instskip(NEXT) | instid1(VALU_DEP_2)
	v_lshlrev_b64 v[108:109], 1, v[112:113]
	v_lshrrev_b32_e32 v112, 16, v114
	s_delay_alu instid0(VALU_DEP_2) | instskip(NEXT) | instid1(VALU_DEP_3)
	v_add_co_u32 v108, vcc_lo, s1, v108
	v_add_co_ci_u32_e32 v109, vcc_lo, s5, v109, vcc_lo
	s_delay_alu instid0(VALU_DEP_3) | instskip(NEXT) | instid1(VALU_DEP_3)
	v_min3_f16 v113, v111, v114, v112
	v_add_co_u32 v111, vcc_lo, v108, v38
	s_delay_alu instid0(VALU_DEP_3)
	v_add_co_ci_u32_e32 v112, vcc_lo, v109, v39, vcc_lo
	s_and_b32 vcc_lo, exec_lo, s0
	global_store_b16 v[111:112], v113, off
	s_cbranch_vccnz .LBB215_45
; %bb.44:
	v_add_co_u32 v110, vcc_lo, v46, v42
	v_add_co_ci_u32_e32 v111, vcc_lo, v47, v43, vcc_lo
	flat_load_u16 v110, v[110:111]
	s_waitcnt vmcnt(0) lgkmcnt(0)
	v_mul_f16_e32 v110, s15, v110
.LBB215_45:
	v_pk_add_f16 v111, v0, v28
	v_pk_max_f16 v107, v107, v107
	v_pk_add_f16 v112, v1, v29
	s_delay_alu instid0(VALU_DEP_2) | instskip(SKIP_1) | instid1(VALU_DEP_2)
	v_pk_min_f16 v107, v107, v111
	v_add_co_u32 v111, vcc_lo, v108, v42
	v_pk_min_f16 v107, v107, v112
	v_add_co_ci_u32_e32 v112, vcc_lo, v109, v43, vcc_lo
	s_and_b32 vcc_lo, exec_lo, s0
	s_delay_alu instid0(VALU_DEP_2) | instskip(NEXT) | instid1(VALU_DEP_1)
	v_lshrrev_b32_e32 v113, 16, v107
	v_min3_f16 v113, v110, v107, v113
	v_dual_mov_b32 v107, 0 :: v_dual_mov_b32 v110, 0
	global_store_b16 v[111:112], v113, off
	s_cbranch_vccnz .LBB215_47
; %bb.46:
	v_add_co_u32 v110, vcc_lo, v46, v40
	v_add_co_ci_u32_e32 v111, vcc_lo, v47, v41, vcc_lo
	flat_load_u16 v110, v[110:111]
	s_waitcnt vmcnt(0) lgkmcnt(0)
	v_mul_f16_e32 v110, s15, v110
.LBB215_47:
	v_pk_add_f16 v111, v2, v28
	v_pk_max_f16 v106, v106, v106
	v_pk_add_f16 v112, v3, v29
	s_delay_alu instid0(VALU_DEP_2) | instskip(NEXT) | instid1(VALU_DEP_1)
	v_pk_min_f16 v106, v106, v111
	v_pk_min_f16 v106, v106, v112
	s_delay_alu instid0(VALU_DEP_1) | instskip(NEXT) | instid1(VALU_DEP_1)
	v_lshrrev_b32_e32 v111, 16, v106
	v_min3_f16 v106, v110, v106, v111
	v_add_co_u32 v110, vcc_lo, v108, v40
	v_add_co_ci_u32_e32 v111, vcc_lo, v109, v41, vcc_lo
	s_and_b32 vcc_lo, exec_lo, s0
	global_store_b16 v[110:111], v106, off
	s_cbranch_vccnz .LBB215_49
; %bb.48:
	v_add_co_u32 v46, vcc_lo, v46, v44
	v_add_co_ci_u32_e32 v47, vcc_lo, v47, v45, vcc_lo
	flat_load_u16 v46, v[46:47]
	s_waitcnt vmcnt(0) lgkmcnt(0)
	v_mul_f16_e32 v107, s15, v46
.LBB215_49:
	v_add_nc_u32_e32 v46, 16, v79
	v_pk_add_f16 v28, v32, v28
	v_pk_max_f16 v47, v105, v105
	v_pk_add_f16 v29, v33, v29
	v_add_co_u32 v108, vcc_lo, v108, v44
	v_mad_i64_i32 v[105:106], null, v46, s4, 0
	s_delay_alu instid0(VALU_DEP_4) | instskip(SKIP_1) | instid1(VALU_DEP_2)
	v_pk_min_f16 v28, v47, v28
	v_add_co_ci_u32_e32 v109, vcc_lo, v109, v45, vcc_lo
	v_pk_min_f16 v47, v28, v29
	s_delay_alu instid0(VALU_DEP_4) | instskip(SKIP_1) | instid1(VALU_DEP_3)
	v_lshlrev_b64 v[28:29], 1, v[105:106]
	v_mov_b32_e32 v106, 0
	v_lshrrev_b32_e32 v105, 16, v47
	s_delay_alu instid0(VALU_DEP_3) | instskip(NEXT) | instid1(VALU_DEP_4)
	v_add_co_u32 v28, vcc_lo, s8, v28
	v_add_co_ci_u32_e32 v29, vcc_lo, s9, v29, vcc_lo
	s_delay_alu instid0(VALU_DEP_3)
	v_min3_f16 v47, v107, v47, v105
	v_mov_b32_e32 v105, 0
	s_and_b32 vcc_lo, exec_lo, s0
	global_store_b16 v[108:109], v47, off
	s_cbranch_vccnz .LBB215_51
; %bb.50:
	v_add_co_u32 v106, vcc_lo, v28, v38
	v_add_co_ci_u32_e32 v107, vcc_lo, v29, v39, vcc_lo
	flat_load_u16 v47, v[106:107]
	s_waitcnt vmcnt(0) lgkmcnt(0)
	v_mul_f16_e32 v106, s15, v47
.LBB215_51:
	v_pk_add_f16 v47, v36, v30
	v_pk_max_f16 v104, v104, v104
	v_mad_i64_i32 v[107:108], null, v46, s3, 0
	v_pk_add_f16 v46, v37, v31
	s_delay_alu instid0(VALU_DEP_3) | instskip(NEXT) | instid1(VALU_DEP_1)
	v_pk_min_f16 v47, v104, v47
	v_pk_min_f16 v104, v47, v46
	s_delay_alu instid0(VALU_DEP_4) | instskip(NEXT) | instid1(VALU_DEP_2)
	v_lshlrev_b64 v[46:47], 1, v[107:108]
	v_lshrrev_b32_e32 v107, 16, v104
	s_delay_alu instid0(VALU_DEP_2) | instskip(NEXT) | instid1(VALU_DEP_3)
	v_add_co_u32 v46, vcc_lo, s1, v46
	v_add_co_ci_u32_e32 v47, vcc_lo, s5, v47, vcc_lo
	s_delay_alu instid0(VALU_DEP_3) | instskip(NEXT) | instid1(VALU_DEP_3)
	v_min3_f16 v104, v106, v104, v107
	v_add_co_u32 v106, vcc_lo, v46, v38
	s_delay_alu instid0(VALU_DEP_3)
	v_add_co_ci_u32_e32 v107, vcc_lo, v47, v39, vcc_lo
	s_and_b32 vcc_lo, exec_lo, s0
	global_store_b16 v[106:107], v104, off
	s_cbranch_vccnz .LBB215_53
; %bb.52:
	v_add_co_u32 v104, vcc_lo, v28, v42
	v_add_co_ci_u32_e32 v105, vcc_lo, v29, v43, vcc_lo
	flat_load_u16 v104, v[104:105]
	s_waitcnt vmcnt(0) lgkmcnt(0)
	v_mul_f16_e32 v105, s15, v104
.LBB215_53:
	v_pk_add_f16 v104, v0, v30
	v_pk_max_f16 v103, v103, v103
	v_pk_add_f16 v106, v1, v31
	s_delay_alu instid0(VALU_DEP_2) | instskip(NEXT) | instid1(VALU_DEP_1)
	v_pk_min_f16 v103, v103, v104
	v_pk_min_f16 v103, v103, v106
	v_add_co_u32 v106, vcc_lo, v46, v42
	v_add_co_ci_u32_e32 v107, vcc_lo, v47, v43, vcc_lo
	s_delay_alu instid0(VALU_DEP_3) | instskip(SKIP_1) | instid1(VALU_DEP_1)
	v_lshrrev_b32_e32 v104, 16, v103
	s_and_b32 vcc_lo, exec_lo, s0
	v_min3_f16 v105, v105, v103, v104
	v_dual_mov_b32 v103, 0 :: v_dual_mov_b32 v104, 0
	global_store_b16 v[106:107], v105, off
	s_cbranch_vccnz .LBB215_55
; %bb.54:
	v_add_co_u32 v104, vcc_lo, v28, v40
	v_add_co_ci_u32_e32 v105, vcc_lo, v29, v41, vcc_lo
	flat_load_u16 v104, v[104:105]
	s_waitcnt vmcnt(0) lgkmcnt(0)
	v_mul_f16_e32 v104, s15, v104
.LBB215_55:
	v_pk_add_f16 v105, v2, v30
	v_pk_max_f16 v102, v102, v102
	v_pk_add_f16 v106, v3, v31
	s_delay_alu instid0(VALU_DEP_2) | instskip(NEXT) | instid1(VALU_DEP_1)
	v_pk_min_f16 v102, v102, v105
	v_pk_min_f16 v102, v102, v106
	s_delay_alu instid0(VALU_DEP_1) | instskip(NEXT) | instid1(VALU_DEP_1)
	v_lshrrev_b32_e32 v105, 16, v102
	v_min3_f16 v102, v104, v102, v105
	v_add_co_u32 v104, vcc_lo, v46, v40
	v_add_co_ci_u32_e32 v105, vcc_lo, v47, v41, vcc_lo
	s_and_b32 vcc_lo, exec_lo, s0
	global_store_b16 v[104:105], v102, off
	s_cbranch_vccnz .LBB215_57
; %bb.56:
	v_add_co_u32 v28, vcc_lo, v28, v44
	v_add_co_ci_u32_e32 v29, vcc_lo, v29, v45, vcc_lo
	flat_load_u16 v28, v[28:29]
	s_waitcnt vmcnt(0) lgkmcnt(0)
	v_mul_f16_e32 v103, s15, v28
.LBB215_57:
	v_pk_add_f16 v30, v32, v30
	v_pk_max_f16 v101, v101, v101
	v_pk_add_f16 v31, v33, v31
	v_add_nc_u32_e32 v102, 24, v79
	s_delay_alu instid0(VALU_DEP_3) | instskip(NEXT) | instid1(VALU_DEP_1)
	v_pk_min_f16 v30, v101, v30
	v_pk_min_f16 v101, v30, v31
	v_add_co_u32 v30, vcc_lo, v46, v44
	v_add_co_ci_u32_e32 v31, vcc_lo, v47, v45, vcc_lo
	v_mov_b32_e32 v47, 0
	v_mad_i64_i32 v[28:29], null, v102, s4, 0
	v_lshrrev_b32_e32 v46, 16, v101
	s_delay_alu instid0(VALU_DEP_1) | instskip(NEXT) | instid1(VALU_DEP_3)
	v_min3_f16 v101, v103, v101, v46
	v_lshlrev_b64 v[28:29], 1, v[28:29]
	v_mov_b32_e32 v46, 0
	global_store_b16 v[30:31], v101, off
	v_add_co_u32 v28, vcc_lo, s8, v28
	v_add_co_ci_u32_e32 v29, vcc_lo, s9, v29, vcc_lo
	s_and_b32 vcc_lo, exec_lo, s0
	s_cbranch_vccnz .LBB215_59
; %bb.58:
	s_delay_alu instid0(VALU_DEP_2) | instskip(NEXT) | instid1(VALU_DEP_2)
	v_add_co_u32 v30, vcc_lo, v28, v38
	v_add_co_ci_u32_e32 v31, vcc_lo, v29, v39, vcc_lo
	flat_load_u16 v30, v[30:31]
	s_waitcnt vmcnt(0) lgkmcnt(0)
	v_mul_f16_e32 v47, s15, v30
.LBB215_59:
	v_pk_add_f16 v101, v36, v24
	v_pk_max_f16 v100, v100, v100
	v_mad_i64_i32 v[30:31], null, v102, s3, 0
	v_pk_add_f16 v102, v37, v25
	s_delay_alu instid0(VALU_DEP_3) | instskip(NEXT) | instid1(VALU_DEP_3)
	v_pk_min_f16 v100, v100, v101
	v_lshlrev_b64 v[30:31], 1, v[30:31]
	s_delay_alu instid0(VALU_DEP_2) | instskip(NEXT) | instid1(VALU_DEP_2)
	v_pk_min_f16 v100, v100, v102
	v_add_co_u32 v30, vcc_lo, s1, v30
	s_delay_alu instid0(VALU_DEP_2) | instskip(NEXT) | instid1(VALU_DEP_4)
	v_lshrrev_b32_e32 v101, 16, v100
	v_add_co_ci_u32_e32 v31, vcc_lo, s5, v31, vcc_lo
	s_delay_alu instid0(VALU_DEP_2) | instskip(NEXT) | instid1(VALU_DEP_4)
	v_min3_f16 v47, v47, v100, v101
	v_add_co_u32 v100, vcc_lo, v30, v38
	s_delay_alu instid0(VALU_DEP_3)
	v_add_co_ci_u32_e32 v101, vcc_lo, v31, v39, vcc_lo
	s_and_b32 vcc_lo, exec_lo, s0
	global_store_b16 v[100:101], v47, off
	s_cbranch_vccnz .LBB215_61
; %bb.60:
	v_add_co_u32 v46, vcc_lo, v28, v42
	v_add_co_ci_u32_e32 v47, vcc_lo, v29, v43, vcc_lo
	flat_load_u16 v46, v[46:47]
	s_waitcnt vmcnt(0) lgkmcnt(0)
	v_mul_f16_e32 v46, s15, v46
.LBB215_61:
	v_pk_add_f16 v47, v0, v24
	v_pk_max_f16 v99, v99, v99
	v_pk_add_f16 v100, v1, v25
	s_delay_alu instid0(VALU_DEP_2) | instskip(SKIP_1) | instid1(VALU_DEP_2)
	v_pk_min_f16 v47, v99, v47
	v_add_co_u32 v99, vcc_lo, v30, v42
	v_pk_min_f16 v47, v47, v100
	v_add_co_ci_u32_e32 v100, vcc_lo, v31, v43, vcc_lo
	s_and_b32 vcc_lo, exec_lo, s0
	s_delay_alu instid0(VALU_DEP_2) | instskip(NEXT) | instid1(VALU_DEP_1)
	v_lshrrev_b32_e32 v101, 16, v47
	v_min3_f16 v101, v46, v47, v101
	v_dual_mov_b32 v46, 0 :: v_dual_mov_b32 v47, 0
	global_store_b16 v[99:100], v101, off
	s_cbranch_vccnz .LBB215_63
; %bb.62:
	v_add_co_u32 v99, vcc_lo, v28, v40
	v_add_co_ci_u32_e32 v100, vcc_lo, v29, v41, vcc_lo
	flat_load_u16 v47, v[99:100]
	s_waitcnt vmcnt(0) lgkmcnt(0)
	v_mul_f16_e32 v47, s15, v47
.LBB215_63:
	v_pk_add_f16 v99, v2, v24
	v_pk_max_f16 v98, v98, v98
	v_pk_add_f16 v100, v3, v25
	s_delay_alu instid0(VALU_DEP_2) | instskip(NEXT) | instid1(VALU_DEP_1)
	v_pk_min_f16 v98, v98, v99
	v_pk_min_f16 v98, v98, v100
	s_delay_alu instid0(VALU_DEP_1) | instskip(NEXT) | instid1(VALU_DEP_1)
	v_lshrrev_b32_e32 v99, 16, v98
	v_min3_f16 v47, v47, v98, v99
	v_add_co_u32 v98, vcc_lo, v30, v40
	v_add_co_ci_u32_e32 v99, vcc_lo, v31, v41, vcc_lo
	s_and_b32 vcc_lo, exec_lo, s0
	global_store_b16 v[98:99], v47, off
	s_cbranch_vccnz .LBB215_65
; %bb.64:
	v_add_co_u32 v28, vcc_lo, v28, v44
	v_add_co_ci_u32_e32 v29, vcc_lo, v29, v45, vcc_lo
	flat_load_u16 v28, v[28:29]
	s_waitcnt vmcnt(0) lgkmcnt(0)
	v_mul_f16_e32 v46, s15, v28
.LBB215_65:
	v_add_nc_u32_e32 v28, 32, v79
	v_pk_add_f16 v24, v32, v24
	v_pk_max_f16 v29, v97, v97
	v_pk_add_f16 v25, v33, v25
	s_delay_alu instid0(VALU_DEP_4) | instskip(NEXT) | instid1(VALU_DEP_3)
	v_mad_i64_i32 v[97:98], null, v28, s4, 0
	v_pk_min_f16 v24, v29, v24
	s_delay_alu instid0(VALU_DEP_1) | instskip(NEXT) | instid1(VALU_DEP_3)
	v_pk_min_f16 v29, v24, v25
	v_lshlrev_b64 v[24:25], 1, v[97:98]
	v_add_co_u32 v97, vcc_lo, v30, v44
	v_add_co_ci_u32_e32 v98, vcc_lo, v31, v45, vcc_lo
	v_mov_b32_e32 v31, 0
	v_lshrrev_b32_e32 v30, 16, v29
	v_add_co_u32 v24, vcc_lo, s8, v24
	v_add_co_ci_u32_e32 v25, vcc_lo, s9, v25, vcc_lo
	s_delay_alu instid0(VALU_DEP_3)
	v_min3_f16 v29, v46, v29, v30
	v_mov_b32_e32 v30, 0
	s_and_b32 vcc_lo, exec_lo, s0
	global_store_b16 v[97:98], v29, off
	s_cbranch_vccnz .LBB215_67
; %bb.66:
	v_add_co_u32 v46, vcc_lo, v24, v38
	v_add_co_ci_u32_e32 v47, vcc_lo, v25, v39, vcc_lo
	flat_load_u16 v29, v[46:47]
	s_waitcnt vmcnt(0) lgkmcnt(0)
	v_mul_f16_e32 v31, s15, v29
.LBB215_67:
	v_pk_add_f16 v29, v36, v26
	v_pk_max_f16 v96, v96, v96
	v_mad_i64_i32 v[46:47], null, v28, s3, 0
	v_pk_add_f16 v28, v37, v27
	s_delay_alu instid0(VALU_DEP_3) | instskip(NEXT) | instid1(VALU_DEP_1)
	v_pk_min_f16 v29, v96, v29
	v_pk_min_f16 v96, v29, v28
	s_delay_alu instid0(VALU_DEP_4) | instskip(NEXT) | instid1(VALU_DEP_2)
	v_lshlrev_b64 v[28:29], 1, v[46:47]
	v_lshrrev_b32_e32 v46, 16, v96
	s_delay_alu instid0(VALU_DEP_2) | instskip(NEXT) | instid1(VALU_DEP_3)
	v_add_co_u32 v28, vcc_lo, s1, v28
	v_add_co_ci_u32_e32 v29, vcc_lo, s5, v29, vcc_lo
	s_delay_alu instid0(VALU_DEP_3) | instskip(NEXT) | instid1(VALU_DEP_3)
	v_min3_f16 v31, v31, v96, v46
	v_add_co_u32 v46, vcc_lo, v28, v38
	s_delay_alu instid0(VALU_DEP_3)
	v_add_co_ci_u32_e32 v47, vcc_lo, v29, v39, vcc_lo
	s_and_b32 vcc_lo, exec_lo, s0
	global_store_b16 v[46:47], v31, off
	s_cbranch_vccnz .LBB215_69
; %bb.68:
	v_add_co_u32 v30, vcc_lo, v24, v42
	v_add_co_ci_u32_e32 v31, vcc_lo, v25, v43, vcc_lo
	flat_load_u16 v30, v[30:31]
	s_waitcnt vmcnt(0) lgkmcnt(0)
	v_mul_f16_e32 v30, s15, v30
.LBB215_69:
	v_pk_add_f16 v31, v0, v26
	v_pk_max_f16 v46, v95, v95
	v_pk_add_f16 v47, v1, v27
	s_delay_alu instid0(VALU_DEP_2) | instskip(SKIP_1) | instid1(VALU_DEP_2)
	v_pk_min_f16 v31, v46, v31
	v_add_co_u32 v46, vcc_lo, v28, v42
	v_pk_min_f16 v31, v31, v47
	v_add_co_ci_u32_e32 v47, vcc_lo, v29, v43, vcc_lo
	s_and_b32 vcc_lo, exec_lo, s0
	s_delay_alu instid0(VALU_DEP_2) | instskip(NEXT) | instid1(VALU_DEP_1)
	v_lshrrev_b32_e32 v95, 16, v31
	v_min3_f16 v95, v30, v31, v95
	v_dual_mov_b32 v30, 0 :: v_dual_mov_b32 v31, 0
	global_store_b16 v[46:47], v95, off
	s_cbranch_vccnz .LBB215_71
; %bb.70:
	v_add_co_u32 v46, vcc_lo, v24, v40
	v_add_co_ci_u32_e32 v47, vcc_lo, v25, v41, vcc_lo
	flat_load_u16 v31, v[46:47]
	s_waitcnt vmcnt(0) lgkmcnt(0)
	v_mul_f16_e32 v31, s15, v31
.LBB215_71:
	v_pk_add_f16 v46, v2, v26
	v_pk_max_f16 v47, v94, v94
	v_pk_add_f16 v94, v3, v27
	s_delay_alu instid0(VALU_DEP_2) | instskip(NEXT) | instid1(VALU_DEP_1)
	v_pk_min_f16 v46, v47, v46
	v_pk_min_f16 v46, v46, v94
	s_delay_alu instid0(VALU_DEP_1) | instskip(NEXT) | instid1(VALU_DEP_1)
	v_lshrrev_b32_e32 v47, 16, v46
	v_min3_f16 v31, v31, v46, v47
	v_add_co_u32 v46, vcc_lo, v28, v40
	v_add_co_ci_u32_e32 v47, vcc_lo, v29, v41, vcc_lo
	s_and_b32 vcc_lo, exec_lo, s0
	global_store_b16 v[46:47], v31, off
	s_cbranch_vccnz .LBB215_73
; %bb.72:
	v_add_co_u32 v24, vcc_lo, v24, v44
	v_add_co_ci_u32_e32 v25, vcc_lo, v25, v45, vcc_lo
	flat_load_u16 v24, v[24:25]
	s_waitcnt vmcnt(0) lgkmcnt(0)
	v_mul_f16_e32 v30, s15, v24
.LBB215_73:
	v_pk_add_f16 v26, v32, v26
	v_pk_max_f16 v46, v93, v93
	v_pk_add_f16 v27, v33, v27
	v_add_nc_u32_e32 v31, 40, v79
	s_delay_alu instid0(VALU_DEP_3) | instskip(NEXT) | instid1(VALU_DEP_1)
	v_pk_min_f16 v26, v46, v26
	v_pk_min_f16 v46, v26, v27
	v_add_co_u32 v26, vcc_lo, v28, v44
	v_add_co_ci_u32_e32 v27, vcc_lo, v29, v45, vcc_lo
	s_delay_alu instid0(VALU_DEP_3) | instskip(SKIP_1) | instid1(VALU_DEP_2)
	v_lshrrev_b32_e32 v28, 16, v46
	v_mov_b32_e32 v29, 0
	v_min3_f16 v30, v30, v46, v28
	v_mov_b32_e32 v28, 0
	v_mad_i64_i32 v[24:25], null, v31, s4, 0
	global_store_b16 v[26:27], v30, off
	v_lshlrev_b64 v[24:25], 1, v[24:25]
	s_delay_alu instid0(VALU_DEP_1) | instskip(NEXT) | instid1(VALU_DEP_2)
	v_add_co_u32 v24, vcc_lo, s8, v24
	v_add_co_ci_u32_e32 v25, vcc_lo, s9, v25, vcc_lo
	s_and_b32 vcc_lo, exec_lo, s0
	s_cbranch_vccnz .LBB215_75
; %bb.74:
	s_delay_alu instid0(VALU_DEP_2) | instskip(NEXT) | instid1(VALU_DEP_2)
	v_add_co_u32 v26, vcc_lo, v24, v38
	v_add_co_ci_u32_e32 v27, vcc_lo, v25, v39, vcc_lo
	flat_load_u16 v26, v[26:27]
	s_waitcnt vmcnt(0) lgkmcnt(0)
	v_mul_f16_e32 v29, s15, v26
.LBB215_75:
	v_pk_add_f16 v30, v36, v20
	v_pk_max_f16 v46, v92, v92
	v_mad_i64_i32 v[26:27], null, v31, s3, 0
	v_pk_add_f16 v31, v37, v21
	s_delay_alu instid0(VALU_DEP_3) | instskip(NEXT) | instid1(VALU_DEP_3)
	v_pk_min_f16 v30, v46, v30
	v_lshlrev_b64 v[26:27], 1, v[26:27]
	s_delay_alu instid0(VALU_DEP_2) | instskip(NEXT) | instid1(VALU_DEP_2)
	v_pk_min_f16 v30, v30, v31
	v_add_co_u32 v26, vcc_lo, s1, v26
	s_delay_alu instid0(VALU_DEP_2) | instskip(NEXT) | instid1(VALU_DEP_4)
	v_lshrrev_b32_e32 v31, 16, v30
	v_add_co_ci_u32_e32 v27, vcc_lo, s5, v27, vcc_lo
	s_delay_alu instid0(VALU_DEP_2) | instskip(NEXT) | instid1(VALU_DEP_4)
	v_min3_f16 v31, v29, v30, v31
	v_add_co_u32 v29, vcc_lo, v26, v38
	s_delay_alu instid0(VALU_DEP_3)
	v_add_co_ci_u32_e32 v30, vcc_lo, v27, v39, vcc_lo
	s_and_b32 vcc_lo, exec_lo, s0
	global_store_b16 v[29:30], v31, off
	s_cbranch_vccnz .LBB215_77
; %bb.76:
	v_add_co_u32 v28, vcc_lo, v24, v42
	v_add_co_ci_u32_e32 v29, vcc_lo, v25, v43, vcc_lo
	flat_load_u16 v28, v[28:29]
	s_waitcnt vmcnt(0) lgkmcnt(0)
	v_mul_f16_e32 v28, s15, v28
.LBB215_77:
	v_pk_add_f16 v29, v0, v20
	v_pk_max_f16 v30, v91, v91
	v_pk_add_f16 v31, v1, v21
	s_delay_alu instid0(VALU_DEP_2) | instskip(SKIP_1) | instid1(VALU_DEP_2)
	v_pk_min_f16 v29, v30, v29
	v_add_co_u32 v30, vcc_lo, v26, v42
	v_pk_min_f16 v29, v29, v31
	v_add_co_ci_u32_e32 v31, vcc_lo, v27, v43, vcc_lo
	s_and_b32 vcc_lo, exec_lo, s0
	s_delay_alu instid0(VALU_DEP_2) | instskip(NEXT) | instid1(VALU_DEP_1)
	v_lshrrev_b32_e32 v46, 16, v29
	v_min3_f16 v46, v28, v29, v46
	v_dual_mov_b32 v28, 0 :: v_dual_mov_b32 v29, 0
	global_store_b16 v[30:31], v46, off
	s_cbranch_vccnz .LBB215_79
; %bb.78:
	v_add_co_u32 v29, vcc_lo, v24, v40
	v_add_co_ci_u32_e32 v30, vcc_lo, v25, v41, vcc_lo
	flat_load_u16 v29, v[29:30]
	s_waitcnt vmcnt(0) lgkmcnt(0)
	v_mul_f16_e32 v29, s15, v29
.LBB215_79:
	v_pk_add_f16 v30, v2, v20
	v_pk_max_f16 v31, v90, v90
	v_pk_add_f16 v46, v3, v21
	s_delay_alu instid0(VALU_DEP_2) | instskip(NEXT) | instid1(VALU_DEP_1)
	v_pk_min_f16 v30, v31, v30
	v_pk_min_f16 v30, v30, v46
	s_delay_alu instid0(VALU_DEP_1) | instskip(NEXT) | instid1(VALU_DEP_1)
	v_lshrrev_b32_e32 v31, 16, v30
	v_min3_f16 v31, v29, v30, v31
	v_add_co_u32 v29, vcc_lo, v26, v40
	v_add_co_ci_u32_e32 v30, vcc_lo, v27, v41, vcc_lo
	s_and_b32 vcc_lo, exec_lo, s0
	global_store_b16 v[29:30], v31, off
	s_cbranch_vccnz .LBB215_81
; %bb.80:
	v_add_co_u32 v24, vcc_lo, v24, v44
	v_add_co_ci_u32_e32 v25, vcc_lo, v25, v45, vcc_lo
	flat_load_u16 v24, v[24:25]
	s_waitcnt vmcnt(0) lgkmcnt(0)
	v_mul_f16_e32 v28, s15, v24
.LBB215_81:
	v_add_nc_u32_e32 v24, 48, v79
	v_pk_add_f16 v20, v32, v20
	v_pk_max_f16 v25, v89, v89
	v_pk_add_f16 v21, v33, v21
	s_delay_alu instid0(VALU_DEP_4) | instskip(NEXT) | instid1(VALU_DEP_3)
	v_mad_i64_i32 v[29:30], null, v24, s4, 0
	v_pk_min_f16 v20, v25, v20
	s_delay_alu instid0(VALU_DEP_1) | instskip(NEXT) | instid1(VALU_DEP_3)
	v_pk_min_f16 v25, v20, v21
	v_lshlrev_b64 v[20:21], 1, v[29:30]
	v_add_co_u32 v29, vcc_lo, v26, v44
	v_add_co_ci_u32_e32 v30, vcc_lo, v27, v45, vcc_lo
	v_mov_b32_e32 v27, 0
	v_lshrrev_b32_e32 v26, 16, v25
	v_add_co_u32 v20, vcc_lo, s8, v20
	v_add_co_ci_u32_e32 v21, vcc_lo, s9, v21, vcc_lo
	s_delay_alu instid0(VALU_DEP_3)
	v_min3_f16 v25, v28, v25, v26
	v_mov_b32_e32 v26, 0
	s_and_b32 vcc_lo, exec_lo, s0
	global_store_b16 v[29:30], v25, off
	s_cbranch_vccnz .LBB215_83
; %bb.82:
	v_add_co_u32 v27, vcc_lo, v20, v38
	v_add_co_ci_u32_e32 v28, vcc_lo, v21, v39, vcc_lo
	flat_load_u16 v25, v[27:28]
	s_waitcnt vmcnt(0) lgkmcnt(0)
	v_mul_f16_e32 v27, s15, v25
.LBB215_83:
	v_pk_add_f16 v25, v36, v22
	v_pk_max_f16 v30, v88, v88
	v_mad_i64_i32 v[28:29], null, v24, s3, 0
	v_pk_add_f16 v24, v37, v23
	s_delay_alu instid0(VALU_DEP_3) | instskip(NEXT) | instid1(VALU_DEP_1)
	v_pk_min_f16 v25, v30, v25
	v_pk_min_f16 v30, v25, v24
	s_delay_alu instid0(VALU_DEP_4) | instskip(NEXT) | instid1(VALU_DEP_2)
	v_lshlrev_b64 v[24:25], 1, v[28:29]
	v_lshrrev_b32_e32 v28, 16, v30
	s_delay_alu instid0(VALU_DEP_2) | instskip(NEXT) | instid1(VALU_DEP_3)
	v_add_co_u32 v24, vcc_lo, s1, v24
	v_add_co_ci_u32_e32 v25, vcc_lo, s5, v25, vcc_lo
	s_delay_alu instid0(VALU_DEP_3) | instskip(NEXT) | instid1(VALU_DEP_3)
	v_min3_f16 v29, v27, v30, v28
	v_add_co_u32 v27, vcc_lo, v24, v38
	s_delay_alu instid0(VALU_DEP_3)
	v_add_co_ci_u32_e32 v28, vcc_lo, v25, v39, vcc_lo
	s_and_b32 vcc_lo, exec_lo, s0
	global_store_b16 v[27:28], v29, off
	s_cbranch_vccnz .LBB215_85
; %bb.84:
	v_add_co_u32 v26, vcc_lo, v20, v42
	v_add_co_ci_u32_e32 v27, vcc_lo, v21, v43, vcc_lo
	flat_load_u16 v26, v[26:27]
	s_waitcnt vmcnt(0) lgkmcnt(0)
	v_mul_f16_e32 v26, s15, v26
.LBB215_85:
	v_pk_add_f16 v27, v0, v22
	v_pk_max_f16 v28, v87, v87
	v_pk_add_f16 v29, v1, v23
	s_delay_alu instid0(VALU_DEP_2) | instskip(SKIP_1) | instid1(VALU_DEP_2)
	v_pk_min_f16 v27, v28, v27
	v_add_co_u32 v28, vcc_lo, v24, v42
	v_pk_min_f16 v27, v27, v29
	v_add_co_ci_u32_e32 v29, vcc_lo, v25, v43, vcc_lo
	s_and_b32 vcc_lo, exec_lo, s0
	s_delay_alu instid0(VALU_DEP_2) | instskip(NEXT) | instid1(VALU_DEP_1)
	v_lshrrev_b32_e32 v30, 16, v27
	v_min3_f16 v30, v26, v27, v30
	v_dual_mov_b32 v26, 0 :: v_dual_mov_b32 v27, 0
	global_store_b16 v[28:29], v30, off
	s_cbranch_vccnz .LBB215_87
; %bb.86:
	v_add_co_u32 v27, vcc_lo, v20, v40
	v_add_co_ci_u32_e32 v28, vcc_lo, v21, v41, vcc_lo
	flat_load_u16 v27, v[27:28]
	s_waitcnt vmcnt(0) lgkmcnt(0)
	v_mul_f16_e32 v27, s15, v27
.LBB215_87:
	v_pk_add_f16 v28, v2, v22
	v_pk_max_f16 v29, v86, v86
	v_pk_add_f16 v30, v3, v23
	s_delay_alu instid0(VALU_DEP_2) | instskip(NEXT) | instid1(VALU_DEP_1)
	v_pk_min_f16 v28, v29, v28
	v_pk_min_f16 v28, v28, v30
	s_delay_alu instid0(VALU_DEP_1) | instskip(NEXT) | instid1(VALU_DEP_1)
	v_lshrrev_b32_e32 v29, 16, v28
	v_min3_f16 v29, v27, v28, v29
	v_add_co_u32 v27, vcc_lo, v24, v40
	v_add_co_ci_u32_e32 v28, vcc_lo, v25, v41, vcc_lo
	s_and_b32 vcc_lo, exec_lo, s0
	global_store_b16 v[27:28], v29, off
	s_cbranch_vccnz .LBB215_89
; %bb.88:
	v_add_co_u32 v20, vcc_lo, v20, v44
	v_add_co_ci_u32_e32 v21, vcc_lo, v21, v45, vcc_lo
	flat_load_u16 v20, v[20:21]
	s_waitcnt vmcnt(0) lgkmcnt(0)
	v_mul_f16_e32 v26, s15, v20
.LBB215_89:
	v_pk_add_f16 v22, v32, v22
	v_pk_max_f16 v28, v85, v85
	v_pk_add_f16 v23, v33, v23
	v_add_nc_u32_e32 v27, 56, v79
	s_delay_alu instid0(VALU_DEP_3) | instskip(NEXT) | instid1(VALU_DEP_1)
	v_pk_min_f16 v22, v28, v22
	v_pk_min_f16 v28, v22, v23
	v_add_co_u32 v22, vcc_lo, v24, v44
	v_add_co_ci_u32_e32 v23, vcc_lo, v25, v45, vcc_lo
	s_delay_alu instid0(VALU_DEP_3) | instskip(SKIP_1) | instid1(VALU_DEP_2)
	v_lshrrev_b32_e32 v24, 16, v28
	v_mov_b32_e32 v25, 0
	v_min3_f16 v26, v26, v28, v24
	v_mov_b32_e32 v24, 0
	v_mad_i64_i32 v[20:21], null, v27, s4, 0
	global_store_b16 v[22:23], v26, off
	v_lshlrev_b64 v[20:21], 1, v[20:21]
	s_delay_alu instid0(VALU_DEP_1) | instskip(NEXT) | instid1(VALU_DEP_2)
	v_add_co_u32 v20, vcc_lo, s8, v20
	v_add_co_ci_u32_e32 v21, vcc_lo, s9, v21, vcc_lo
	s_and_b32 vcc_lo, exec_lo, s0
	s_cbranch_vccnz .LBB215_91
; %bb.90:
	s_delay_alu instid0(VALU_DEP_2) | instskip(NEXT) | instid1(VALU_DEP_2)
	v_add_co_u32 v22, vcc_lo, v20, v38
	v_add_co_ci_u32_e32 v23, vcc_lo, v21, v39, vcc_lo
	flat_load_u16 v22, v[22:23]
	s_waitcnt vmcnt(0) lgkmcnt(0)
	v_mul_f16_e32 v25, s15, v22
.LBB215_91:
	v_pk_add_f16 v26, v36, v16
	v_pk_max_f16 v28, v84, v84
	v_mad_i64_i32 v[22:23], null, v27, s3, 0
	v_pk_add_f16 v27, v37, v17
	s_delay_alu instid0(VALU_DEP_3) | instskip(NEXT) | instid1(VALU_DEP_3)
	v_pk_min_f16 v26, v28, v26
	v_lshlrev_b64 v[22:23], 1, v[22:23]
	s_delay_alu instid0(VALU_DEP_2) | instskip(NEXT) | instid1(VALU_DEP_2)
	v_pk_min_f16 v26, v26, v27
	v_add_co_u32 v22, vcc_lo, s1, v22
	s_delay_alu instid0(VALU_DEP_2) | instskip(NEXT) | instid1(VALU_DEP_4)
	v_lshrrev_b32_e32 v27, 16, v26
	v_add_co_ci_u32_e32 v23, vcc_lo, s5, v23, vcc_lo
	s_delay_alu instid0(VALU_DEP_2) | instskip(NEXT) | instid1(VALU_DEP_4)
	v_min3_f16 v27, v25, v26, v27
	v_add_co_u32 v25, vcc_lo, v22, v38
	s_delay_alu instid0(VALU_DEP_3)
	v_add_co_ci_u32_e32 v26, vcc_lo, v23, v39, vcc_lo
	s_and_b32 vcc_lo, exec_lo, s0
	global_store_b16 v[25:26], v27, off
	s_cbranch_vccnz .LBB215_93
; %bb.92:
	v_add_co_u32 v24, vcc_lo, v20, v42
	v_add_co_ci_u32_e32 v25, vcc_lo, v21, v43, vcc_lo
	flat_load_u16 v24, v[24:25]
	s_waitcnt vmcnt(0) lgkmcnt(0)
	v_mul_f16_e32 v24, s15, v24
.LBB215_93:
	v_pk_add_f16 v25, v0, v16
	v_pk_max_f16 v26, v82, v82
	v_pk_add_f16 v27, v1, v17
	s_delay_alu instid0(VALU_DEP_2) | instskip(SKIP_1) | instid1(VALU_DEP_2)
	v_pk_min_f16 v25, v26, v25
	v_add_co_u32 v26, vcc_lo, v22, v42
	v_pk_min_f16 v25, v25, v27
	v_add_co_ci_u32_e32 v27, vcc_lo, v23, v43, vcc_lo
	s_and_b32 vcc_lo, exec_lo, s0
	s_delay_alu instid0(VALU_DEP_2) | instskip(NEXT) | instid1(VALU_DEP_1)
	v_lshrrev_b32_e32 v28, 16, v25
	v_min3_f16 v28, v24, v25, v28
	v_dual_mov_b32 v24, 0 :: v_dual_mov_b32 v25, 0
	global_store_b16 v[26:27], v28, off
	s_cbranch_vccnz .LBB215_95
; %bb.94:
	v_add_co_u32 v25, vcc_lo, v20, v40
	v_add_co_ci_u32_e32 v26, vcc_lo, v21, v41, vcc_lo
	flat_load_u16 v25, v[25:26]
	s_waitcnt vmcnt(0) lgkmcnt(0)
	v_mul_f16_e32 v25, s15, v25
.LBB215_95:
	v_pk_add_f16 v26, v2, v16
	v_pk_max_f16 v27, v83, v83
	v_pk_add_f16 v28, v3, v17
	s_delay_alu instid0(VALU_DEP_2) | instskip(NEXT) | instid1(VALU_DEP_1)
	v_pk_min_f16 v26, v27, v26
	v_pk_min_f16 v26, v26, v28
	s_delay_alu instid0(VALU_DEP_1) | instskip(NEXT) | instid1(VALU_DEP_1)
	v_lshrrev_b32_e32 v27, 16, v26
	v_min3_f16 v27, v25, v26, v27
	v_add_co_u32 v25, vcc_lo, v22, v40
	v_add_co_ci_u32_e32 v26, vcc_lo, v23, v41, vcc_lo
	s_and_b32 vcc_lo, exec_lo, s0
	global_store_b16 v[25:26], v27, off
	s_cbranch_vccnz .LBB215_97
; %bb.96:
	v_add_co_u32 v20, vcc_lo, v20, v44
	v_add_co_ci_u32_e32 v21, vcc_lo, v21, v45, vcc_lo
	flat_load_u16 v20, v[20:21]
	s_waitcnt vmcnt(0) lgkmcnt(0)
	v_mul_f16_e32 v24, s15, v20
.LBB215_97:
	v_add_nc_u32_e32 v20, 64, v79
	v_pk_add_f16 v16, v32, v16
	v_pk_max_f16 v21, v81, v81
	v_pk_add_f16 v17, v33, v17
	s_delay_alu instid0(VALU_DEP_4) | instskip(NEXT) | instid1(VALU_DEP_3)
	v_mad_i64_i32 v[25:26], null, v20, s4, 0
	v_pk_min_f16 v16, v21, v16
	s_delay_alu instid0(VALU_DEP_1) | instskip(NEXT) | instid1(VALU_DEP_3)
	v_pk_min_f16 v21, v16, v17
	v_lshlrev_b64 v[16:17], 1, v[25:26]
	v_add_co_u32 v25, vcc_lo, v22, v44
	v_add_co_ci_u32_e32 v26, vcc_lo, v23, v45, vcc_lo
	v_mov_b32_e32 v23, 0
	v_lshrrev_b32_e32 v22, 16, v21
	v_add_co_u32 v16, vcc_lo, s8, v16
	v_add_co_ci_u32_e32 v17, vcc_lo, s9, v17, vcc_lo
	s_delay_alu instid0(VALU_DEP_3)
	v_min3_f16 v21, v24, v21, v22
	v_mov_b32_e32 v22, 0
	s_and_b32 vcc_lo, exec_lo, s0
	global_store_b16 v[25:26], v21, off
	s_cbranch_vccnz .LBB215_99
; %bb.98:
	v_add_co_u32 v23, vcc_lo, v16, v38
	v_add_co_ci_u32_e32 v24, vcc_lo, v17, v39, vcc_lo
	flat_load_u16 v21, v[23:24]
	s_waitcnt vmcnt(0) lgkmcnt(0)
	v_mul_f16_e32 v23, s15, v21
.LBB215_99:
	v_pk_add_f16 v21, v36, v18
	v_pk_max_f16 v26, v80, v80
	v_mad_i64_i32 v[24:25], null, v20, s3, 0
	v_pk_add_f16 v20, v37, v19
	s_delay_alu instid0(VALU_DEP_3) | instskip(NEXT) | instid1(VALU_DEP_1)
	v_pk_min_f16 v21, v26, v21
	v_pk_min_f16 v26, v21, v20
	s_delay_alu instid0(VALU_DEP_4) | instskip(NEXT) | instid1(VALU_DEP_2)
	v_lshlrev_b64 v[20:21], 1, v[24:25]
	v_lshrrev_b32_e32 v24, 16, v26
	s_delay_alu instid0(VALU_DEP_2) | instskip(NEXT) | instid1(VALU_DEP_3)
	v_add_co_u32 v20, vcc_lo, s1, v20
	v_add_co_ci_u32_e32 v21, vcc_lo, s5, v21, vcc_lo
	s_delay_alu instid0(VALU_DEP_3) | instskip(NEXT) | instid1(VALU_DEP_3)
	v_min3_f16 v25, v23, v26, v24
	v_add_co_u32 v23, vcc_lo, v20, v38
	s_delay_alu instid0(VALU_DEP_3)
	v_add_co_ci_u32_e32 v24, vcc_lo, v21, v39, vcc_lo
	s_and_b32 vcc_lo, exec_lo, s0
	global_store_b16 v[23:24], v25, off
	s_cbranch_vccnz .LBB215_101
; %bb.100:
	v_add_co_u32 v22, vcc_lo, v16, v42
	v_add_co_ci_u32_e32 v23, vcc_lo, v17, v43, vcc_lo
	flat_load_u16 v22, v[22:23]
	s_waitcnt vmcnt(0) lgkmcnt(0)
	v_mul_f16_e32 v22, s15, v22
.LBB215_101:
	v_pk_add_f16 v23, v0, v18
	v_pk_max_f16 v24, v78, v78
	v_pk_add_f16 v25, v1, v19
	s_delay_alu instid0(VALU_DEP_2) | instskip(SKIP_1) | instid1(VALU_DEP_2)
	v_pk_min_f16 v23, v24, v23
	v_add_co_u32 v24, vcc_lo, v20, v42
	v_pk_min_f16 v23, v23, v25
	v_add_co_ci_u32_e32 v25, vcc_lo, v21, v43, vcc_lo
	s_and_b32 vcc_lo, exec_lo, s0
	s_delay_alu instid0(VALU_DEP_2) | instskip(NEXT) | instid1(VALU_DEP_1)
	v_lshrrev_b32_e32 v26, 16, v23
	v_min3_f16 v26, v22, v23, v26
	v_dual_mov_b32 v22, 0 :: v_dual_mov_b32 v23, 0
	global_store_b16 v[24:25], v26, off
	s_cbranch_vccnz .LBB215_103
; %bb.102:
	v_add_co_u32 v23, vcc_lo, v16, v40
	v_add_co_ci_u32_e32 v24, vcc_lo, v17, v41, vcc_lo
	flat_load_u16 v23, v[23:24]
	s_waitcnt vmcnt(0) lgkmcnt(0)
	v_mul_f16_e32 v23, s15, v23
.LBB215_103:
	v_pk_add_f16 v24, v2, v18
	v_pk_max_f16 v25, v77, v77
	v_pk_add_f16 v26, v3, v19
	s_delay_alu instid0(VALU_DEP_2) | instskip(NEXT) | instid1(VALU_DEP_1)
	v_pk_min_f16 v24, v25, v24
	v_pk_min_f16 v24, v24, v26
	s_delay_alu instid0(VALU_DEP_1) | instskip(NEXT) | instid1(VALU_DEP_1)
	v_lshrrev_b32_e32 v25, 16, v24
	v_min3_f16 v25, v23, v24, v25
	v_add_co_u32 v23, vcc_lo, v20, v40
	v_add_co_ci_u32_e32 v24, vcc_lo, v21, v41, vcc_lo
	s_and_b32 vcc_lo, exec_lo, s0
	global_store_b16 v[23:24], v25, off
	s_cbranch_vccnz .LBB215_105
; %bb.104:
	v_add_co_u32 v16, vcc_lo, v16, v44
	v_add_co_ci_u32_e32 v17, vcc_lo, v17, v45, vcc_lo
	flat_load_u16 v16, v[16:17]
	s_waitcnt vmcnt(0) lgkmcnt(0)
	v_mul_f16_e32 v22, s15, v16
.LBB215_105:
	v_pk_add_f16 v18, v32, v18
	v_pk_max_f16 v24, v76, v76
	v_pk_add_f16 v19, v33, v19
	v_add_nc_u32_e32 v23, 0x48, v79
	s_delay_alu instid0(VALU_DEP_3) | instskip(NEXT) | instid1(VALU_DEP_1)
	v_pk_min_f16 v18, v24, v18
	v_pk_min_f16 v24, v18, v19
	v_add_co_u32 v18, vcc_lo, v20, v44
	v_add_co_ci_u32_e32 v19, vcc_lo, v21, v45, vcc_lo
	s_delay_alu instid0(VALU_DEP_3) | instskip(SKIP_1) | instid1(VALU_DEP_2)
	v_lshrrev_b32_e32 v20, 16, v24
	v_mov_b32_e32 v21, 0
	v_min3_f16 v22, v22, v24, v20
	v_mov_b32_e32 v20, 0
	v_mad_i64_i32 v[16:17], null, v23, s4, 0
	global_store_b16 v[18:19], v22, off
	v_lshlrev_b64 v[16:17], 1, v[16:17]
	s_delay_alu instid0(VALU_DEP_1) | instskip(NEXT) | instid1(VALU_DEP_2)
	v_add_co_u32 v16, vcc_lo, s8, v16
	v_add_co_ci_u32_e32 v17, vcc_lo, s9, v17, vcc_lo
	s_and_b32 vcc_lo, exec_lo, s0
	s_cbranch_vccnz .LBB215_107
; %bb.106:
	s_delay_alu instid0(VALU_DEP_2) | instskip(NEXT) | instid1(VALU_DEP_2)
	v_add_co_u32 v18, vcc_lo, v16, v38
	v_add_co_ci_u32_e32 v19, vcc_lo, v17, v39, vcc_lo
	flat_load_u16 v18, v[18:19]
	s_waitcnt vmcnt(0) lgkmcnt(0)
	v_mul_f16_e32 v21, s15, v18
.LBB215_107:
	v_pk_add_f16 v22, v36, v12
	v_pk_max_f16 v24, v75, v75
	v_mad_i64_i32 v[18:19], null, v23, s3, 0
	v_pk_add_f16 v23, v37, v13
	s_delay_alu instid0(VALU_DEP_3) | instskip(NEXT) | instid1(VALU_DEP_3)
	v_pk_min_f16 v22, v24, v22
	v_lshlrev_b64 v[18:19], 1, v[18:19]
	s_delay_alu instid0(VALU_DEP_2) | instskip(NEXT) | instid1(VALU_DEP_2)
	v_pk_min_f16 v22, v22, v23
	v_add_co_u32 v18, vcc_lo, s1, v18
	s_delay_alu instid0(VALU_DEP_2) | instskip(NEXT) | instid1(VALU_DEP_4)
	v_lshrrev_b32_e32 v23, 16, v22
	v_add_co_ci_u32_e32 v19, vcc_lo, s5, v19, vcc_lo
	s_delay_alu instid0(VALU_DEP_2) | instskip(NEXT) | instid1(VALU_DEP_4)
	v_min3_f16 v23, v21, v22, v23
	v_add_co_u32 v21, vcc_lo, v18, v38
	s_delay_alu instid0(VALU_DEP_3)
	v_add_co_ci_u32_e32 v22, vcc_lo, v19, v39, vcc_lo
	s_and_b32 vcc_lo, exec_lo, s0
	global_store_b16 v[21:22], v23, off
	s_cbranch_vccnz .LBB215_109
; %bb.108:
	v_add_co_u32 v20, vcc_lo, v16, v42
	v_add_co_ci_u32_e32 v21, vcc_lo, v17, v43, vcc_lo
	flat_load_u16 v20, v[20:21]
	s_waitcnt vmcnt(0) lgkmcnt(0)
	v_mul_f16_e32 v20, s15, v20
.LBB215_109:
	v_pk_add_f16 v21, v0, v12
	v_pk_max_f16 v22, v74, v74
	v_pk_add_f16 v23, v1, v13
	s_delay_alu instid0(VALU_DEP_2) | instskip(SKIP_1) | instid1(VALU_DEP_2)
	v_pk_min_f16 v21, v22, v21
	v_add_co_u32 v22, vcc_lo, v18, v42
	v_pk_min_f16 v21, v21, v23
	v_add_co_ci_u32_e32 v23, vcc_lo, v19, v43, vcc_lo
	s_and_b32 vcc_lo, exec_lo, s0
	s_delay_alu instid0(VALU_DEP_2) | instskip(NEXT) | instid1(VALU_DEP_1)
	v_lshrrev_b32_e32 v24, 16, v21
	v_min3_f16 v24, v20, v21, v24
	v_dual_mov_b32 v20, 0 :: v_dual_mov_b32 v21, 0
	global_store_b16 v[22:23], v24, off
	s_cbranch_vccnz .LBB215_111
; %bb.110:
	v_add_co_u32 v21, vcc_lo, v16, v40
	v_add_co_ci_u32_e32 v22, vcc_lo, v17, v41, vcc_lo
	flat_load_u16 v21, v[21:22]
	s_waitcnt vmcnt(0) lgkmcnt(0)
	v_mul_f16_e32 v21, s15, v21
.LBB215_111:
	v_pk_add_f16 v22, v2, v12
	v_pk_max_f16 v23, v73, v73
	v_pk_add_f16 v24, v3, v13
	s_delay_alu instid0(VALU_DEP_2) | instskip(NEXT) | instid1(VALU_DEP_1)
	v_pk_min_f16 v22, v23, v22
	v_pk_min_f16 v22, v22, v24
	s_delay_alu instid0(VALU_DEP_1) | instskip(NEXT) | instid1(VALU_DEP_1)
	v_lshrrev_b32_e32 v23, 16, v22
	v_min3_f16 v23, v21, v22, v23
	v_add_co_u32 v21, vcc_lo, v18, v40
	v_add_co_ci_u32_e32 v22, vcc_lo, v19, v41, vcc_lo
	s_and_b32 vcc_lo, exec_lo, s0
	global_store_b16 v[21:22], v23, off
	s_cbranch_vccnz .LBB215_113
; %bb.112:
	v_add_co_u32 v16, vcc_lo, v16, v44
	v_add_co_ci_u32_e32 v17, vcc_lo, v17, v45, vcc_lo
	flat_load_u16 v16, v[16:17]
	s_waitcnt vmcnt(0) lgkmcnt(0)
	v_mul_f16_e32 v20, s15, v16
.LBB215_113:
	v_add_nc_u32_e32 v16, 0x50, v79
	v_pk_add_f16 v12, v32, v12
	v_pk_max_f16 v17, v72, v72
	v_pk_add_f16 v13, v33, v13
	s_delay_alu instid0(VALU_DEP_4) | instskip(NEXT) | instid1(VALU_DEP_3)
	v_mad_i64_i32 v[21:22], null, v16, s4, 0
	v_pk_min_f16 v12, v17, v12
	s_delay_alu instid0(VALU_DEP_1) | instskip(NEXT) | instid1(VALU_DEP_3)
	v_pk_min_f16 v17, v12, v13
	v_lshlrev_b64 v[12:13], 1, v[21:22]
	v_add_co_u32 v21, vcc_lo, v18, v44
	v_add_co_ci_u32_e32 v22, vcc_lo, v19, v45, vcc_lo
	v_mov_b32_e32 v19, 0
	v_lshrrev_b32_e32 v18, 16, v17
	v_add_co_u32 v12, vcc_lo, s8, v12
	v_add_co_ci_u32_e32 v13, vcc_lo, s9, v13, vcc_lo
	s_delay_alu instid0(VALU_DEP_3)
	v_min3_f16 v17, v20, v17, v18
	v_mov_b32_e32 v18, 0
	s_and_b32 vcc_lo, exec_lo, s0
	global_store_b16 v[21:22], v17, off
	s_cbranch_vccnz .LBB215_115
; %bb.114:
	v_add_co_u32 v19, vcc_lo, v12, v38
	v_add_co_ci_u32_e32 v20, vcc_lo, v13, v39, vcc_lo
	flat_load_u16 v17, v[19:20]
	s_waitcnt vmcnt(0) lgkmcnt(0)
	v_mul_f16_e32 v19, s15, v17
.LBB215_115:
	v_pk_add_f16 v17, v36, v14
	v_pk_max_f16 v22, v71, v71
	v_mad_i64_i32 v[20:21], null, v16, s3, 0
	v_pk_add_f16 v16, v37, v15
	s_delay_alu instid0(VALU_DEP_3) | instskip(NEXT) | instid1(VALU_DEP_1)
	v_pk_min_f16 v17, v22, v17
	v_pk_min_f16 v22, v17, v16
	s_delay_alu instid0(VALU_DEP_4) | instskip(NEXT) | instid1(VALU_DEP_2)
	v_lshlrev_b64 v[16:17], 1, v[20:21]
	v_lshrrev_b32_e32 v20, 16, v22
	s_delay_alu instid0(VALU_DEP_2) | instskip(NEXT) | instid1(VALU_DEP_3)
	v_add_co_u32 v16, vcc_lo, s1, v16
	v_add_co_ci_u32_e32 v17, vcc_lo, s5, v17, vcc_lo
	s_delay_alu instid0(VALU_DEP_3) | instskip(NEXT) | instid1(VALU_DEP_3)
	v_min3_f16 v21, v19, v22, v20
	v_add_co_u32 v19, vcc_lo, v16, v38
	s_delay_alu instid0(VALU_DEP_3)
	v_add_co_ci_u32_e32 v20, vcc_lo, v17, v39, vcc_lo
	s_and_b32 vcc_lo, exec_lo, s0
	global_store_b16 v[19:20], v21, off
	s_cbranch_vccnz .LBB215_117
; %bb.116:
	v_add_co_u32 v18, vcc_lo, v12, v42
	v_add_co_ci_u32_e32 v19, vcc_lo, v13, v43, vcc_lo
	flat_load_u16 v18, v[18:19]
	s_waitcnt vmcnt(0) lgkmcnt(0)
	v_mul_f16_e32 v18, s15, v18
.LBB215_117:
	v_pk_add_f16 v19, v0, v14
	v_pk_max_f16 v20, v70, v70
	v_pk_add_f16 v21, v1, v15
	s_delay_alu instid0(VALU_DEP_2) | instskip(SKIP_1) | instid1(VALU_DEP_2)
	v_pk_min_f16 v19, v20, v19
	v_add_co_u32 v20, vcc_lo, v16, v42
	v_pk_min_f16 v19, v19, v21
	v_add_co_ci_u32_e32 v21, vcc_lo, v17, v43, vcc_lo
	s_and_b32 vcc_lo, exec_lo, s0
	s_delay_alu instid0(VALU_DEP_2) | instskip(NEXT) | instid1(VALU_DEP_1)
	v_lshrrev_b32_e32 v22, 16, v19
	v_min3_f16 v22, v18, v19, v22
	v_dual_mov_b32 v18, 0 :: v_dual_mov_b32 v19, 0
	global_store_b16 v[20:21], v22, off
	s_cbranch_vccnz .LBB215_119
; %bb.118:
	v_add_co_u32 v19, vcc_lo, v12, v40
	v_add_co_ci_u32_e32 v20, vcc_lo, v13, v41, vcc_lo
	flat_load_u16 v19, v[19:20]
	s_waitcnt vmcnt(0) lgkmcnt(0)
	v_mul_f16_e32 v19, s15, v19
.LBB215_119:
	v_pk_add_f16 v20, v2, v14
	v_pk_max_f16 v21, v69, v69
	v_pk_add_f16 v22, v3, v15
	s_delay_alu instid0(VALU_DEP_2) | instskip(NEXT) | instid1(VALU_DEP_1)
	v_pk_min_f16 v20, v21, v20
	v_pk_min_f16 v20, v20, v22
	s_delay_alu instid0(VALU_DEP_1) | instskip(NEXT) | instid1(VALU_DEP_1)
	v_lshrrev_b32_e32 v21, 16, v20
	v_min3_f16 v21, v19, v20, v21
	v_add_co_u32 v19, vcc_lo, v16, v40
	v_add_co_ci_u32_e32 v20, vcc_lo, v17, v41, vcc_lo
	s_and_b32 vcc_lo, exec_lo, s0
	global_store_b16 v[19:20], v21, off
	s_cbranch_vccnz .LBB215_121
; %bb.120:
	v_add_co_u32 v12, vcc_lo, v12, v44
	v_add_co_ci_u32_e32 v13, vcc_lo, v13, v45, vcc_lo
	flat_load_u16 v12, v[12:13]
	s_waitcnt vmcnt(0) lgkmcnt(0)
	v_mul_f16_e32 v18, s15, v12
.LBB215_121:
	v_pk_add_f16 v14, v32, v14
	v_pk_max_f16 v20, v68, v68
	v_pk_add_f16 v15, v33, v15
	v_add_nc_u32_e32 v19, 0x58, v79
	s_delay_alu instid0(VALU_DEP_3) | instskip(NEXT) | instid1(VALU_DEP_1)
	v_pk_min_f16 v14, v20, v14
	v_pk_min_f16 v20, v14, v15
	v_add_co_u32 v14, vcc_lo, v16, v44
	v_add_co_ci_u32_e32 v15, vcc_lo, v17, v45, vcc_lo
	s_delay_alu instid0(VALU_DEP_3) | instskip(SKIP_1) | instid1(VALU_DEP_2)
	v_lshrrev_b32_e32 v16, 16, v20
	v_mov_b32_e32 v17, 0
	v_min3_f16 v18, v18, v20, v16
	v_mov_b32_e32 v16, 0
	v_mad_i64_i32 v[12:13], null, v19, s4, 0
	global_store_b16 v[14:15], v18, off
	v_lshlrev_b64 v[12:13], 1, v[12:13]
	s_delay_alu instid0(VALU_DEP_1) | instskip(NEXT) | instid1(VALU_DEP_2)
	v_add_co_u32 v12, vcc_lo, s8, v12
	v_add_co_ci_u32_e32 v13, vcc_lo, s9, v13, vcc_lo
	s_and_b32 vcc_lo, exec_lo, s0
	s_cbranch_vccnz .LBB215_123
; %bb.122:
	s_delay_alu instid0(VALU_DEP_2) | instskip(NEXT) | instid1(VALU_DEP_2)
	v_add_co_u32 v14, vcc_lo, v12, v38
	v_add_co_ci_u32_e32 v15, vcc_lo, v13, v39, vcc_lo
	flat_load_u16 v14, v[14:15]
	s_waitcnt vmcnt(0) lgkmcnt(0)
	v_mul_f16_e32 v17, s15, v14
.LBB215_123:
	v_pk_add_f16 v18, v36, v8
	v_pk_max_f16 v20, v67, v67
	v_mad_i64_i32 v[14:15], null, v19, s3, 0
	v_pk_add_f16 v19, v37, v9
	s_delay_alu instid0(VALU_DEP_3) | instskip(NEXT) | instid1(VALU_DEP_3)
	v_pk_min_f16 v18, v20, v18
	v_lshlrev_b64 v[14:15], 1, v[14:15]
	s_delay_alu instid0(VALU_DEP_2) | instskip(NEXT) | instid1(VALU_DEP_2)
	v_pk_min_f16 v18, v18, v19
	v_add_co_u32 v14, vcc_lo, s1, v14
	s_delay_alu instid0(VALU_DEP_2) | instskip(NEXT) | instid1(VALU_DEP_4)
	v_lshrrev_b32_e32 v19, 16, v18
	v_add_co_ci_u32_e32 v15, vcc_lo, s5, v15, vcc_lo
	s_delay_alu instid0(VALU_DEP_2) | instskip(NEXT) | instid1(VALU_DEP_4)
	v_min3_f16 v19, v17, v18, v19
	v_add_co_u32 v17, vcc_lo, v14, v38
	s_delay_alu instid0(VALU_DEP_3)
	v_add_co_ci_u32_e32 v18, vcc_lo, v15, v39, vcc_lo
	s_and_b32 vcc_lo, exec_lo, s0
	global_store_b16 v[17:18], v19, off
	s_cbranch_vccnz .LBB215_125
; %bb.124:
	v_add_co_u32 v16, vcc_lo, v12, v42
	v_add_co_ci_u32_e32 v17, vcc_lo, v13, v43, vcc_lo
	flat_load_u16 v16, v[16:17]
	s_waitcnt vmcnt(0) lgkmcnt(0)
	v_mul_f16_e32 v16, s15, v16
.LBB215_125:
	v_pk_add_f16 v17, v0, v8
	v_pk_max_f16 v18, v66, v66
	v_pk_add_f16 v19, v1, v9
	s_delay_alu instid0(VALU_DEP_2) | instskip(SKIP_1) | instid1(VALU_DEP_2)
	v_pk_min_f16 v17, v18, v17
	v_add_co_u32 v18, vcc_lo, v14, v42
	v_pk_min_f16 v17, v17, v19
	v_add_co_ci_u32_e32 v19, vcc_lo, v15, v43, vcc_lo
	s_and_b32 vcc_lo, exec_lo, s0
	s_delay_alu instid0(VALU_DEP_2) | instskip(NEXT) | instid1(VALU_DEP_1)
	v_lshrrev_b32_e32 v20, 16, v17
	v_min3_f16 v20, v16, v17, v20
	v_dual_mov_b32 v16, 0 :: v_dual_mov_b32 v17, 0
	global_store_b16 v[18:19], v20, off
	s_cbranch_vccnz .LBB215_127
; %bb.126:
	v_add_co_u32 v17, vcc_lo, v12, v40
	v_add_co_ci_u32_e32 v18, vcc_lo, v13, v41, vcc_lo
	flat_load_u16 v17, v[17:18]
	s_waitcnt vmcnt(0) lgkmcnt(0)
	v_mul_f16_e32 v17, s15, v17
.LBB215_127:
	v_pk_add_f16 v18, v2, v8
	v_pk_max_f16 v19, v65, v65
	v_pk_add_f16 v20, v3, v9
	s_delay_alu instid0(VALU_DEP_2) | instskip(NEXT) | instid1(VALU_DEP_1)
	v_pk_min_f16 v18, v19, v18
	v_pk_min_f16 v18, v18, v20
	s_delay_alu instid0(VALU_DEP_1) | instskip(NEXT) | instid1(VALU_DEP_1)
	v_lshrrev_b32_e32 v19, 16, v18
	v_min3_f16 v19, v17, v18, v19
	v_add_co_u32 v17, vcc_lo, v14, v40
	v_add_co_ci_u32_e32 v18, vcc_lo, v15, v41, vcc_lo
	s_and_b32 vcc_lo, exec_lo, s0
	global_store_b16 v[17:18], v19, off
	s_cbranch_vccnz .LBB215_129
; %bb.128:
	v_add_co_u32 v12, vcc_lo, v12, v44
	v_add_co_ci_u32_e32 v13, vcc_lo, v13, v45, vcc_lo
	flat_load_u16 v12, v[12:13]
	s_waitcnt vmcnt(0) lgkmcnt(0)
	v_mul_f16_e32 v16, s15, v12
.LBB215_129:
	v_add_nc_u32_e32 v12, 0x60, v79
	v_pk_add_f16 v8, v32, v8
	v_pk_max_f16 v13, v64, v64
	v_pk_add_f16 v9, v33, v9
	s_delay_alu instid0(VALU_DEP_4) | instskip(NEXT) | instid1(VALU_DEP_3)
	v_mad_i64_i32 v[17:18], null, v12, s4, 0
	v_pk_min_f16 v8, v13, v8
	s_delay_alu instid0(VALU_DEP_1) | instskip(NEXT) | instid1(VALU_DEP_3)
	v_pk_min_f16 v13, v8, v9
	v_lshlrev_b64 v[8:9], 1, v[17:18]
	v_add_co_u32 v17, vcc_lo, v14, v44
	v_add_co_ci_u32_e32 v18, vcc_lo, v15, v45, vcc_lo
	v_mov_b32_e32 v15, 0
	v_lshrrev_b32_e32 v14, 16, v13
	v_add_co_u32 v8, vcc_lo, s8, v8
	v_add_co_ci_u32_e32 v9, vcc_lo, s9, v9, vcc_lo
	s_delay_alu instid0(VALU_DEP_3)
	v_min3_f16 v13, v16, v13, v14
	v_mov_b32_e32 v14, 0
	s_and_b32 vcc_lo, exec_lo, s0
	global_store_b16 v[17:18], v13, off
	s_cbranch_vccnz .LBB215_131
; %bb.130:
	v_add_co_u32 v15, vcc_lo, v8, v38
	v_add_co_ci_u32_e32 v16, vcc_lo, v9, v39, vcc_lo
	flat_load_u16 v13, v[15:16]
	s_waitcnt vmcnt(0) lgkmcnt(0)
	v_mul_f16_e32 v15, s15, v13
.LBB215_131:
	v_pk_add_f16 v13, v36, v10
	v_pk_max_f16 v18, v63, v63
	v_mad_i64_i32 v[16:17], null, v12, s3, 0
	v_pk_add_f16 v12, v37, v11
	s_delay_alu instid0(VALU_DEP_3) | instskip(NEXT) | instid1(VALU_DEP_1)
	v_pk_min_f16 v13, v18, v13
	v_pk_min_f16 v18, v13, v12
	s_delay_alu instid0(VALU_DEP_4) | instskip(NEXT) | instid1(VALU_DEP_2)
	v_lshlrev_b64 v[12:13], 1, v[16:17]
	v_lshrrev_b32_e32 v16, 16, v18
	s_delay_alu instid0(VALU_DEP_2) | instskip(NEXT) | instid1(VALU_DEP_3)
	v_add_co_u32 v12, vcc_lo, s1, v12
	v_add_co_ci_u32_e32 v13, vcc_lo, s5, v13, vcc_lo
	s_delay_alu instid0(VALU_DEP_3) | instskip(NEXT) | instid1(VALU_DEP_3)
	v_min3_f16 v17, v15, v18, v16
	v_add_co_u32 v15, vcc_lo, v12, v38
	s_delay_alu instid0(VALU_DEP_3)
	v_add_co_ci_u32_e32 v16, vcc_lo, v13, v39, vcc_lo
	s_and_b32 vcc_lo, exec_lo, s0
	global_store_b16 v[15:16], v17, off
	s_cbranch_vccnz .LBB215_133
; %bb.132:
	v_add_co_u32 v14, vcc_lo, v8, v42
	v_add_co_ci_u32_e32 v15, vcc_lo, v9, v43, vcc_lo
	flat_load_u16 v14, v[14:15]
	s_waitcnt vmcnt(0) lgkmcnt(0)
	v_mul_f16_e32 v14, s15, v14
.LBB215_133:
	v_pk_add_f16 v15, v0, v10
	v_pk_max_f16 v16, v62, v62
	v_pk_add_f16 v17, v1, v11
	s_delay_alu instid0(VALU_DEP_2) | instskip(SKIP_1) | instid1(VALU_DEP_2)
	v_pk_min_f16 v15, v16, v15
	v_add_co_u32 v16, vcc_lo, v12, v42
	v_pk_min_f16 v15, v15, v17
	v_add_co_ci_u32_e32 v17, vcc_lo, v13, v43, vcc_lo
	s_and_b32 vcc_lo, exec_lo, s0
	s_delay_alu instid0(VALU_DEP_2) | instskip(NEXT) | instid1(VALU_DEP_1)
	v_lshrrev_b32_e32 v18, 16, v15
	v_min3_f16 v18, v14, v15, v18
	v_dual_mov_b32 v14, 0 :: v_dual_mov_b32 v15, 0
	global_store_b16 v[16:17], v18, off
	s_cbranch_vccnz .LBB215_135
; %bb.134:
	v_add_co_u32 v15, vcc_lo, v8, v40
	v_add_co_ci_u32_e32 v16, vcc_lo, v9, v41, vcc_lo
	flat_load_u16 v15, v[15:16]
	s_waitcnt vmcnt(0) lgkmcnt(0)
	v_mul_f16_e32 v15, s15, v15
.LBB215_135:
	v_pk_add_f16 v16, v2, v10
	v_pk_max_f16 v17, v61, v61
	v_pk_add_f16 v18, v3, v11
	s_delay_alu instid0(VALU_DEP_2) | instskip(NEXT) | instid1(VALU_DEP_1)
	v_pk_min_f16 v16, v17, v16
	v_pk_min_f16 v16, v16, v18
	s_delay_alu instid0(VALU_DEP_1) | instskip(NEXT) | instid1(VALU_DEP_1)
	v_lshrrev_b32_e32 v17, 16, v16
	v_min3_f16 v17, v15, v16, v17
	v_add_co_u32 v15, vcc_lo, v12, v40
	v_add_co_ci_u32_e32 v16, vcc_lo, v13, v41, vcc_lo
	s_and_b32 vcc_lo, exec_lo, s0
	global_store_b16 v[15:16], v17, off
	s_cbranch_vccnz .LBB215_137
; %bb.136:
	v_add_co_u32 v8, vcc_lo, v8, v44
	v_add_co_ci_u32_e32 v9, vcc_lo, v9, v45, vcc_lo
	flat_load_u16 v8, v[8:9]
	s_waitcnt vmcnt(0) lgkmcnt(0)
	v_mul_f16_e32 v14, s15, v8
.LBB215_137:
	v_pk_add_f16 v10, v32, v10
	v_pk_max_f16 v16, v60, v60
	v_pk_add_f16 v11, v33, v11
	v_add_nc_u32_e32 v15, 0x68, v79
	s_delay_alu instid0(VALU_DEP_3) | instskip(NEXT) | instid1(VALU_DEP_1)
	v_pk_min_f16 v10, v16, v10
	v_pk_min_f16 v16, v10, v11
	v_add_co_u32 v10, vcc_lo, v12, v44
	v_add_co_ci_u32_e32 v11, vcc_lo, v13, v45, vcc_lo
	s_delay_alu instid0(VALU_DEP_3) | instskip(SKIP_1) | instid1(VALU_DEP_2)
	v_lshrrev_b32_e32 v12, 16, v16
	v_mov_b32_e32 v13, 0
	v_min3_f16 v14, v14, v16, v12
	v_mov_b32_e32 v12, 0
	v_mad_i64_i32 v[8:9], null, v15, s4, 0
	global_store_b16 v[10:11], v14, off
	v_lshlrev_b64 v[8:9], 1, v[8:9]
	s_delay_alu instid0(VALU_DEP_1) | instskip(NEXT) | instid1(VALU_DEP_2)
	v_add_co_u32 v8, vcc_lo, s8, v8
	v_add_co_ci_u32_e32 v9, vcc_lo, s9, v9, vcc_lo
	s_and_b32 vcc_lo, exec_lo, s0
	s_cbranch_vccnz .LBB215_139
; %bb.138:
	s_delay_alu instid0(VALU_DEP_2) | instskip(NEXT) | instid1(VALU_DEP_2)
	v_add_co_u32 v10, vcc_lo, v8, v38
	v_add_co_ci_u32_e32 v11, vcc_lo, v9, v39, vcc_lo
	flat_load_u16 v10, v[10:11]
	s_waitcnt vmcnt(0) lgkmcnt(0)
	v_mul_f16_e32 v13, s15, v10
.LBB215_139:
	v_pk_add_f16 v14, v36, v4
	v_pk_max_f16 v16, v59, v59
	v_mad_i64_i32 v[10:11], null, v15, s3, 0
	v_pk_add_f16 v15, v37, v5
	s_delay_alu instid0(VALU_DEP_3) | instskip(NEXT) | instid1(VALU_DEP_3)
	v_pk_min_f16 v14, v16, v14
	v_lshlrev_b64 v[10:11], 1, v[10:11]
	s_delay_alu instid0(VALU_DEP_2) | instskip(NEXT) | instid1(VALU_DEP_2)
	v_pk_min_f16 v14, v14, v15
	v_add_co_u32 v10, vcc_lo, s1, v10
	s_delay_alu instid0(VALU_DEP_2) | instskip(NEXT) | instid1(VALU_DEP_4)
	v_lshrrev_b32_e32 v15, 16, v14
	v_add_co_ci_u32_e32 v11, vcc_lo, s5, v11, vcc_lo
	s_delay_alu instid0(VALU_DEP_2) | instskip(NEXT) | instid1(VALU_DEP_4)
	v_min3_f16 v15, v13, v14, v15
	v_add_co_u32 v13, vcc_lo, v10, v38
	s_delay_alu instid0(VALU_DEP_3)
	v_add_co_ci_u32_e32 v14, vcc_lo, v11, v39, vcc_lo
	s_and_b32 vcc_lo, exec_lo, s0
	global_store_b16 v[13:14], v15, off
	s_cbranch_vccnz .LBB215_141
; %bb.140:
	v_add_co_u32 v12, vcc_lo, v8, v42
	v_add_co_ci_u32_e32 v13, vcc_lo, v9, v43, vcc_lo
	flat_load_u16 v12, v[12:13]
	s_waitcnt vmcnt(0) lgkmcnt(0)
	v_mul_f16_e32 v12, s15, v12
.LBB215_141:
	v_pk_add_f16 v13, v0, v4
	v_pk_max_f16 v14, v58, v58
	v_pk_add_f16 v15, v1, v5
	s_delay_alu instid0(VALU_DEP_2) | instskip(SKIP_1) | instid1(VALU_DEP_2)
	v_pk_min_f16 v13, v14, v13
	v_add_co_u32 v14, vcc_lo, v10, v42
	v_pk_min_f16 v13, v13, v15
	v_add_co_ci_u32_e32 v15, vcc_lo, v11, v43, vcc_lo
	s_and_b32 vcc_lo, exec_lo, s0
	s_delay_alu instid0(VALU_DEP_2) | instskip(NEXT) | instid1(VALU_DEP_1)
	v_lshrrev_b32_e32 v16, 16, v13
	v_min3_f16 v16, v12, v13, v16
	v_dual_mov_b32 v12, 0 :: v_dual_mov_b32 v13, 0
	global_store_b16 v[14:15], v16, off
	s_cbranch_vccnz .LBB215_143
; %bb.142:
	v_add_co_u32 v13, vcc_lo, v8, v40
	v_add_co_ci_u32_e32 v14, vcc_lo, v9, v41, vcc_lo
	flat_load_u16 v13, v[13:14]
	s_waitcnt vmcnt(0) lgkmcnt(0)
	v_mul_f16_e32 v13, s15, v13
.LBB215_143:
	v_pk_add_f16 v14, v2, v4
	v_pk_max_f16 v15, v57, v57
	v_pk_add_f16 v16, v3, v5
	s_delay_alu instid0(VALU_DEP_2) | instskip(NEXT) | instid1(VALU_DEP_1)
	v_pk_min_f16 v14, v15, v14
	v_pk_min_f16 v14, v14, v16
	s_delay_alu instid0(VALU_DEP_1) | instskip(NEXT) | instid1(VALU_DEP_1)
	v_lshrrev_b32_e32 v15, 16, v14
	v_min3_f16 v15, v13, v14, v15
	v_add_co_u32 v13, vcc_lo, v10, v40
	v_add_co_ci_u32_e32 v14, vcc_lo, v11, v41, vcc_lo
	s_and_b32 vcc_lo, exec_lo, s0
	global_store_b16 v[13:14], v15, off
	s_cbranch_vccnz .LBB215_145
; %bb.144:
	v_add_co_u32 v8, vcc_lo, v8, v44
	v_add_co_ci_u32_e32 v9, vcc_lo, v9, v45, vcc_lo
	flat_load_u16 v8, v[8:9]
	s_waitcnt vmcnt(0) lgkmcnt(0)
	v_mul_f16_e32 v12, s15, v8
.LBB215_145:
	v_add_nc_u32_e32 v8, 0x70, v79
	v_pk_add_f16 v4, v32, v4
	v_pk_max_f16 v9, v56, v56
	v_pk_add_f16 v5, v33, v5
	s_delay_alu instid0(VALU_DEP_4) | instskip(NEXT) | instid1(VALU_DEP_3)
	v_mad_i64_i32 v[13:14], null, v8, s4, 0
	v_pk_min_f16 v4, v9, v4
	s_delay_alu instid0(VALU_DEP_1) | instskip(NEXT) | instid1(VALU_DEP_3)
	v_pk_min_f16 v9, v4, v5
	v_lshlrev_b64 v[4:5], 1, v[13:14]
	v_add_co_u32 v13, vcc_lo, v10, v44
	v_add_co_ci_u32_e32 v14, vcc_lo, v11, v45, vcc_lo
	v_mov_b32_e32 v11, 0
	v_lshrrev_b32_e32 v10, 16, v9
	v_add_co_u32 v4, vcc_lo, s8, v4
	v_add_co_ci_u32_e32 v5, vcc_lo, s9, v5, vcc_lo
	s_delay_alu instid0(VALU_DEP_3)
	v_min3_f16 v9, v12, v9, v10
	v_mov_b32_e32 v10, 0
	s_and_b32 vcc_lo, exec_lo, s0
	global_store_b16 v[13:14], v9, off
	s_cbranch_vccnz .LBB215_147
; %bb.146:
	v_add_co_u32 v11, vcc_lo, v4, v38
	v_add_co_ci_u32_e32 v12, vcc_lo, v5, v39, vcc_lo
	flat_load_u16 v9, v[11:12]
	s_waitcnt vmcnt(0) lgkmcnt(0)
	v_mul_f16_e32 v11, s15, v9
.LBB215_147:
	v_pk_add_f16 v9, v36, v6
	v_pk_max_f16 v14, v55, v55
	v_mad_i64_i32 v[12:13], null, v8, s3, 0
	v_pk_add_f16 v8, v37, v7
	s_delay_alu instid0(VALU_DEP_3) | instskip(NEXT) | instid1(VALU_DEP_1)
	v_pk_min_f16 v9, v14, v9
	v_pk_min_f16 v14, v9, v8
	s_delay_alu instid0(VALU_DEP_4) | instskip(NEXT) | instid1(VALU_DEP_2)
	v_lshlrev_b64 v[8:9], 1, v[12:13]
	v_lshrrev_b32_e32 v12, 16, v14
	s_delay_alu instid0(VALU_DEP_2) | instskip(NEXT) | instid1(VALU_DEP_3)
	v_add_co_u32 v8, vcc_lo, s1, v8
	v_add_co_ci_u32_e32 v9, vcc_lo, s5, v9, vcc_lo
	s_delay_alu instid0(VALU_DEP_3) | instskip(NEXT) | instid1(VALU_DEP_3)
	v_min3_f16 v13, v11, v14, v12
	v_add_co_u32 v11, vcc_lo, v8, v38
	s_delay_alu instid0(VALU_DEP_3)
	v_add_co_ci_u32_e32 v12, vcc_lo, v9, v39, vcc_lo
	s_and_b32 vcc_lo, exec_lo, s0
	global_store_b16 v[11:12], v13, off
	s_cbranch_vccnz .LBB215_149
; %bb.148:
	v_add_co_u32 v10, vcc_lo, v4, v42
	v_add_co_ci_u32_e32 v11, vcc_lo, v5, v43, vcc_lo
	flat_load_u16 v10, v[10:11]
	s_waitcnt vmcnt(0) lgkmcnt(0)
	v_mul_f16_e32 v10, s15, v10
.LBB215_149:
	v_pk_add_f16 v11, v0, v6
	v_pk_max_f16 v12, v54, v54
	v_pk_add_f16 v13, v1, v7
	s_delay_alu instid0(VALU_DEP_2) | instskip(SKIP_1) | instid1(VALU_DEP_2)
	v_pk_min_f16 v11, v12, v11
	v_add_co_u32 v12, vcc_lo, v8, v42
	v_pk_min_f16 v11, v11, v13
	v_add_co_ci_u32_e32 v13, vcc_lo, v9, v43, vcc_lo
	s_and_b32 vcc_lo, exec_lo, s0
	s_delay_alu instid0(VALU_DEP_2) | instskip(NEXT) | instid1(VALU_DEP_1)
	v_lshrrev_b32_e32 v14, 16, v11
	v_min3_f16 v14, v10, v11, v14
	v_dual_mov_b32 v10, 0 :: v_dual_mov_b32 v11, 0
	global_store_b16 v[12:13], v14, off
	s_cbranch_vccnz .LBB215_151
; %bb.150:
	v_add_co_u32 v11, vcc_lo, v4, v40
	v_add_co_ci_u32_e32 v12, vcc_lo, v5, v41, vcc_lo
	flat_load_u16 v11, v[11:12]
	s_waitcnt vmcnt(0) lgkmcnt(0)
	v_mul_f16_e32 v11, s15, v11
.LBB215_151:
	v_pk_add_f16 v12, v2, v6
	v_pk_max_f16 v13, v53, v53
	v_pk_add_f16 v14, v3, v7
	s_delay_alu instid0(VALU_DEP_2) | instskip(NEXT) | instid1(VALU_DEP_1)
	v_pk_min_f16 v12, v13, v12
	v_pk_min_f16 v12, v12, v14
	s_delay_alu instid0(VALU_DEP_1) | instskip(NEXT) | instid1(VALU_DEP_1)
	v_lshrrev_b32_e32 v13, 16, v12
	v_min3_f16 v13, v11, v12, v13
	v_add_co_u32 v11, vcc_lo, v8, v40
	v_add_co_ci_u32_e32 v12, vcc_lo, v9, v41, vcc_lo
	s_and_b32 vcc_lo, exec_lo, s0
	global_store_b16 v[11:12], v13, off
	s_cbranch_vccnz .LBB215_153
; %bb.152:
	v_add_co_u32 v4, vcc_lo, v4, v44
	v_add_co_ci_u32_e32 v5, vcc_lo, v5, v45, vcc_lo
	flat_load_u16 v4, v[4:5]
	s_waitcnt vmcnt(0) lgkmcnt(0)
	v_mul_f16_e32 v10, s15, v4
.LBB215_153:
	v_pk_add_f16 v6, v32, v6
	v_pk_max_f16 v12, v52, v52
	v_pk_add_f16 v7, v33, v7
	v_add_nc_u32_e32 v11, 0x78, v79
	s_delay_alu instid0(VALU_DEP_3) | instskip(NEXT) | instid1(VALU_DEP_1)
	v_pk_min_f16 v6, v12, v6
	v_pk_min_f16 v12, v6, v7
	v_add_co_u32 v6, vcc_lo, v8, v44
	v_add_co_ci_u32_e32 v7, vcc_lo, v9, v45, vcc_lo
	s_delay_alu instid0(VALU_DEP_3) | instskip(SKIP_1) | instid1(VALU_DEP_2)
	v_lshrrev_b32_e32 v8, 16, v12
	v_mov_b32_e32 v9, 0
	v_min3_f16 v10, v10, v12, v8
	v_mov_b32_e32 v8, 0
	v_mad_i64_i32 v[4:5], null, v11, s4, 0
	global_store_b16 v[6:7], v10, off
	v_lshlrev_b64 v[4:5], 1, v[4:5]
	s_delay_alu instid0(VALU_DEP_1) | instskip(NEXT) | instid1(VALU_DEP_2)
	v_add_co_u32 v4, vcc_lo, s8, v4
	v_add_co_ci_u32_e32 v5, vcc_lo, s9, v5, vcc_lo
	s_and_b32 vcc_lo, exec_lo, s0
	s_cbranch_vccnz .LBB215_155
; %bb.154:
	s_delay_alu instid0(VALU_DEP_2) | instskip(NEXT) | instid1(VALU_DEP_2)
	v_add_co_u32 v6, vcc_lo, v4, v38
	v_add_co_ci_u32_e32 v7, vcc_lo, v5, v39, vcc_lo
	flat_load_u16 v6, v[6:7]
	s_waitcnt vmcnt(0) lgkmcnt(0)
	v_mul_f16_e32 v9, s15, v6
.LBB215_155:
	v_pk_add_f16 v10, v36, v34
	v_pk_max_f16 v12, v51, v51
	v_mad_i64_i32 v[6:7], null, v11, s3, 0
	v_pk_add_f16 v11, v37, v35
	s_delay_alu instid0(VALU_DEP_3) | instskip(NEXT) | instid1(VALU_DEP_3)
	v_pk_min_f16 v10, v12, v10
	v_lshlrev_b64 v[6:7], 1, v[6:7]
	s_delay_alu instid0(VALU_DEP_2) | instskip(NEXT) | instid1(VALU_DEP_2)
	v_pk_min_f16 v10, v10, v11
	v_add_co_u32 v6, vcc_lo, s1, v6
	s_delay_alu instid0(VALU_DEP_2) | instskip(NEXT) | instid1(VALU_DEP_4)
	v_lshrrev_b32_e32 v11, 16, v10
	v_add_co_ci_u32_e32 v7, vcc_lo, s5, v7, vcc_lo
	s_delay_alu instid0(VALU_DEP_2) | instskip(NEXT) | instid1(VALU_DEP_4)
	v_min3_f16 v11, v9, v10, v11
	v_add_co_u32 v9, vcc_lo, v6, v38
	s_delay_alu instid0(VALU_DEP_3)
	v_add_co_ci_u32_e32 v10, vcc_lo, v7, v39, vcc_lo
	s_and_b32 vcc_lo, exec_lo, s0
	global_store_b16 v[9:10], v11, off
	s_cbranch_vccnz .LBB215_157
; %bb.156:
	v_add_co_u32 v8, vcc_lo, v4, v42
	v_add_co_ci_u32_e32 v9, vcc_lo, v5, v43, vcc_lo
	flat_load_u16 v8, v[8:9]
	s_waitcnt vmcnt(0) lgkmcnt(0)
	v_mul_f16_e32 v8, s15, v8
.LBB215_157:
	v_pk_add_f16 v0, v0, v34
	v_pk_max_f16 v9, v50, v50
	v_pk_add_f16 v2, v2, v34
	v_pk_max_f16 v10, v49, v49
	v_pk_add_f16 v1, v1, v35
	v_pk_add_f16 v3, v3, v35
	v_pk_min_f16 v0, v9, v0
	s_delay_alu instid0(VALU_DEP_4) | instskip(NEXT) | instid1(VALU_DEP_2)
	v_pk_min_f16 v2, v10, v2
	v_pk_min_f16 v0, v0, v1
	s_delay_alu instid0(VALU_DEP_2) | instskip(NEXT) | instid1(VALU_DEP_2)
	v_pk_min_f16 v1, v2, v3
	v_lshrrev_b32_e32 v2, 16, v0
	s_delay_alu instid0(VALU_DEP_2) | instskip(NEXT) | instid1(VALU_DEP_2)
	v_lshrrev_b32_e32 v3, 16, v1
	v_min3_f16 v8, v8, v0, v2
	s_delay_alu instid0(VALU_DEP_2) | instskip(SKIP_2) | instid1(VALU_DEP_3)
	v_min_f16_e32 v0, v1, v3
	v_add_co_u32 v1, vcc_lo, v6, v42
	v_add_co_ci_u32_e32 v2, vcc_lo, v7, v43, vcc_lo
	v_max_f16_e32 v0, v0, v0
	s_mov_b32 vcc_lo, s2
	global_store_b16 v[1:2], v8, off
	s_cbranch_vccz .LBB215_160
; %bb.158:
	v_add_co_u32 v1, vcc_lo, v6, v40
	v_min_f16_e32 v3, 0, v0
	v_add_co_ci_u32_e32 v2, vcc_lo, v7, v41, vcc_lo
	s_mov_b32 s0, 0
	global_store_b16 v[1:2], v3, off
	s_cbranch_execz .LBB215_161
; %bb.159:
	v_mov_b32_e32 v0, s0
	s_branch .LBB215_162
.LBB215_160:
	s_mov_b32 s0, -1
.LBB215_161:
	v_add_co_u32 v1, vcc_lo, v4, v40
	v_add_co_ci_u32_e32 v2, vcc_lo, v5, v41, vcc_lo
	flat_load_u16 v1, v[1:2]
	s_waitcnt vmcnt(0) lgkmcnt(0)
	v_mul_f16_e32 v3, s15, v1
	v_add_co_u32 v1, vcc_lo, v6, v40
	v_add_co_ci_u32_e32 v2, vcc_lo, v7, v41, vcc_lo
	s_delay_alu instid0(VALU_DEP_3)
	v_min_f16_e32 v0, v3, v0
	v_add_co_u32 v3, vcc_lo, v4, v44
	v_add_co_ci_u32_e32 v4, vcc_lo, v5, v45, vcc_lo
	global_store_b16 v[1:2], v0, off
	flat_load_u16 v0, v[3:4]
	s_waitcnt vmcnt(0) lgkmcnt(0)
	v_mul_f16_e32 v0, s15, v0
.LBB215_162:
	v_pk_add_f16 v1, v32, v34
	v_pk_max_f16 v2, v48, v48
	v_pk_add_f16 v3, v33, v35
	s_delay_alu instid0(VALU_DEP_2) | instskip(NEXT) | instid1(VALU_DEP_1)
	v_pk_min_f16 v1, v2, v1
	v_pk_min_f16 v1, v1, v3
	s_delay_alu instid0(VALU_DEP_1) | instskip(NEXT) | instid1(VALU_DEP_1)
	v_lshrrev_b32_e32 v2, 16, v1
	v_min3_f16 v2, v0, v1, v2
	v_add_co_u32 v0, vcc_lo, v6, v44
	v_add_co_ci_u32_e32 v1, vcc_lo, v7, v45, vcc_lo
	global_store_b16 v[0:1], v2, off
	s_nop 0
	s_sendmsg sendmsg(MSG_DEALLOC_VGPRS)
	s_endpgm
	.section	.rodata,"a",@progbits
	.p2align	6, 0x0
	.amdhsa_kernel _ZN12_GLOBAL__N_120geam_min_plus_kernelIDF16_Dv2_DF16_S1_Li32ELi8ELi128ELi128ELi4ELi4ELi64ELi4ELi64ELc84ELc78ELb0ELb0ELb1EDF16_KPKDF16_KPDF16_EEviiiT16_PT17_ilS9_ilS7_S9_ilPT18_ili26rocblas_geam_ex_operation_
		.amdhsa_group_segment_fixed_size 4096
		.amdhsa_private_segment_fixed_size 0
		.amdhsa_kernarg_size 128
		.amdhsa_user_sgpr_count 14
		.amdhsa_user_sgpr_dispatch_ptr 0
		.amdhsa_user_sgpr_queue_ptr 0
		.amdhsa_user_sgpr_kernarg_segment_ptr 1
		.amdhsa_user_sgpr_dispatch_id 0
		.amdhsa_user_sgpr_private_segment_size 0
		.amdhsa_wavefront_size32 1
		.amdhsa_uses_dynamic_stack 0
		.amdhsa_enable_private_segment 0
		.amdhsa_system_sgpr_workgroup_id_x 1
		.amdhsa_system_sgpr_workgroup_id_y 0
		.amdhsa_system_sgpr_workgroup_id_z 1
		.amdhsa_system_sgpr_workgroup_info 0
		.amdhsa_system_vgpr_workitem_id 1
		.amdhsa_next_free_vgpr 154
		.amdhsa_next_free_sgpr 24
		.amdhsa_reserve_vcc 1
		.amdhsa_float_round_mode_32 0
		.amdhsa_float_round_mode_16_64 0
		.amdhsa_float_denorm_mode_32 3
		.amdhsa_float_denorm_mode_16_64 3
		.amdhsa_dx10_clamp 1
		.amdhsa_ieee_mode 1
		.amdhsa_fp16_overflow 0
		.amdhsa_workgroup_processor_mode 1
		.amdhsa_memory_ordered 1
		.amdhsa_forward_progress 0
		.amdhsa_shared_vgpr_count 0
		.amdhsa_exception_fp_ieee_invalid_op 0
		.amdhsa_exception_fp_denorm_src 0
		.amdhsa_exception_fp_ieee_div_zero 0
		.amdhsa_exception_fp_ieee_overflow 0
		.amdhsa_exception_fp_ieee_underflow 0
		.amdhsa_exception_fp_ieee_inexact 0
		.amdhsa_exception_int_div_zero 0
	.end_amdhsa_kernel
	.section	.text._ZN12_GLOBAL__N_120geam_min_plus_kernelIDF16_Dv2_DF16_S1_Li32ELi8ELi128ELi128ELi4ELi4ELi64ELi4ELi64ELc84ELc78ELb0ELb0ELb1EDF16_KPKDF16_KPDF16_EEviiiT16_PT17_ilS9_ilS7_S9_ilPT18_ili26rocblas_geam_ex_operation_,"axG",@progbits,_ZN12_GLOBAL__N_120geam_min_plus_kernelIDF16_Dv2_DF16_S1_Li32ELi8ELi128ELi128ELi4ELi4ELi64ELi4ELi64ELc84ELc78ELb0ELb0ELb1EDF16_KPKDF16_KPDF16_EEviiiT16_PT17_ilS9_ilS7_S9_ilPT18_ili26rocblas_geam_ex_operation_,comdat
.Lfunc_end215:
	.size	_ZN12_GLOBAL__N_120geam_min_plus_kernelIDF16_Dv2_DF16_S1_Li32ELi8ELi128ELi128ELi4ELi4ELi64ELi4ELi64ELc84ELc78ELb0ELb0ELb1EDF16_KPKDF16_KPDF16_EEviiiT16_PT17_ilS9_ilS7_S9_ilPT18_ili26rocblas_geam_ex_operation_, .Lfunc_end215-_ZN12_GLOBAL__N_120geam_min_plus_kernelIDF16_Dv2_DF16_S1_Li32ELi8ELi128ELi128ELi4ELi4ELi64ELi4ELi64ELc84ELc78ELb0ELb0ELb1EDF16_KPKDF16_KPDF16_EEviiiT16_PT17_ilS9_ilS7_S9_ilPT18_ili26rocblas_geam_ex_operation_
                                        ; -- End function
	.section	.AMDGPU.csdata,"",@progbits
; Kernel info:
; codeLenInByte = 18972
; NumSgprs: 26
; NumVgprs: 154
; ScratchSize: 0
; MemoryBound: 0
; FloatMode: 240
; IeeeMode: 1
; LDSByteSize: 4096 bytes/workgroup (compile time only)
; SGPRBlocks: 3
; VGPRBlocks: 19
; NumSGPRsForWavesPerEU: 26
; NumVGPRsForWavesPerEU: 154
; Occupancy: 9
; WaveLimiterHint : 1
; COMPUTE_PGM_RSRC2:SCRATCH_EN: 0
; COMPUTE_PGM_RSRC2:USER_SGPR: 14
; COMPUTE_PGM_RSRC2:TRAP_HANDLER: 0
; COMPUTE_PGM_RSRC2:TGID_X_EN: 1
; COMPUTE_PGM_RSRC2:TGID_Y_EN: 0
; COMPUTE_PGM_RSRC2:TGID_Z_EN: 1
; COMPUTE_PGM_RSRC2:TIDIG_COMP_CNT: 1
	.section	.text._ZN12_GLOBAL__N_120geam_min_plus_kernelIDF16_Dv2_DF16_S1_Li32ELi8ELi128ELi128ELi4ELi4ELi64ELi4ELi64ELc84ELc78ELb0ELb1ELb1EPKDF16_KS3_KPDF16_EEviiiT16_PT17_ilS9_ilS7_S9_ilPT18_ili26rocblas_geam_ex_operation_,"axG",@progbits,_ZN12_GLOBAL__N_120geam_min_plus_kernelIDF16_Dv2_DF16_S1_Li32ELi8ELi128ELi128ELi4ELi4ELi64ELi4ELi64ELc84ELc78ELb0ELb1ELb1EPKDF16_KS3_KPDF16_EEviiiT16_PT17_ilS9_ilS7_S9_ilPT18_ili26rocblas_geam_ex_operation_,comdat
	.globl	_ZN12_GLOBAL__N_120geam_min_plus_kernelIDF16_Dv2_DF16_S1_Li32ELi8ELi128ELi128ELi4ELi4ELi64ELi4ELi64ELc84ELc78ELb0ELb1ELb1EPKDF16_KS3_KPDF16_EEviiiT16_PT17_ilS9_ilS7_S9_ilPT18_ili26rocblas_geam_ex_operation_ ; -- Begin function _ZN12_GLOBAL__N_120geam_min_plus_kernelIDF16_Dv2_DF16_S1_Li32ELi8ELi128ELi128ELi4ELi4ELi64ELi4ELi64ELc84ELc78ELb0ELb1ELb1EPKDF16_KS3_KPDF16_EEviiiT16_PT17_ilS9_ilS7_S9_ilPT18_ili26rocblas_geam_ex_operation_
	.p2align	8
	.type	_ZN12_GLOBAL__N_120geam_min_plus_kernelIDF16_Dv2_DF16_S1_Li32ELi8ELi128ELi128ELi4ELi4ELi64ELi4ELi64ELc84ELc78ELb0ELb1ELb1EPKDF16_KS3_KPDF16_EEviiiT16_PT17_ilS9_ilS7_S9_ilPT18_ili26rocblas_geam_ex_operation_,@function
_ZN12_GLOBAL__N_120geam_min_plus_kernelIDF16_Dv2_DF16_S1_Li32ELi8ELi128ELi128ELi4ELi4ELi64ELi4ELi64ELc84ELc78ELb0ELb1ELb1EPKDF16_KS3_KPDF16_EEviiiT16_PT17_ilS9_ilS7_S9_ilPT18_ili26rocblas_geam_ex_operation_: ; @_ZN12_GLOBAL__N_120geam_min_plus_kernelIDF16_Dv2_DF16_S1_Li32ELi8ELi128ELi128ELi4ELi4ELi64ELi4ELi64ELc84ELc78ELb0ELb1ELb1EPKDF16_KS3_KPDF16_EEviiiT16_PT17_ilS9_ilS7_S9_ilPT18_ili26rocblas_geam_ex_operation_
; %bb.0:
	s_clause 0x1
	s_load_b128 s[16:19], s[0:1], 0x10
	s_load_b128 s[4:7], s[0:1], 0x40
	s_mov_b32 s12, s15
	s_mov_b32 s13, 0
	v_mov_b32_e32 v1, 0
	s_lshl_b64 s[2:3], s[12:13], 1
	s_load_b128 s[8:11], s[0:1], 0x28
	s_mov_b64 s[20:21], 0
	s_mov_b64 s[22:23], 0
	s_waitcnt lgkmcnt(0)
	s_add_u32 s16, s16, s2
	s_addc_u32 s17, s17, s3
	s_add_u32 s2, s6, s2
	global_load_u16 v95, v1, s[16:17]
	s_addc_u32 s3, s7, s3
	global_load_u16 v50, v1, s[2:3]
	s_load_b64 s[16:17], s[0:1], 0x50
	s_waitcnt vmcnt(1)
	v_cmp_eq_f16_e32 vcc_lo, 0, v95
	v_cmp_neq_f16_e64 s2, 0, v95
	s_cbranch_vccnz .LBB216_2
; %bb.1:
	s_lshl_b64 s[6:7], s[12:13], 3
	s_delay_alu instid0(SALU_CYCLE_1)
	s_add_u32 s6, s18, s6
	s_addc_u32 s7, s19, s7
	s_lshl_b64 s[8:9], s[8:9], 1
	s_load_b64 s[6:7], s[6:7], 0x0
	s_waitcnt lgkmcnt(0)
	s_add_u32 s22, s6, s8
	s_addc_u32 s23, s7, s9
.LBB216_2:
	s_delay_alu instid0(VALU_DEP_1)
	s_and_not1_b32 vcc_lo, exec_lo, s2
	s_cbranch_vccnz .LBB216_4
; %bb.3:
	s_lshl_b64 s[2:3], s[12:13], 3
	s_delay_alu instid0(SALU_CYCLE_1)
	s_add_u32 s2, s10, s2
	s_addc_u32 s3, s11, s3
	s_lshl_b64 s[4:5], s[4:5], 1
	s_load_b64 s[2:3], s[2:3], 0x0
	s_waitcnt lgkmcnt(0)
	s_add_u32 s20, s2, s4
	s_addc_u32 s21, s3, s5
.LBB216_4:
	s_load_b128 s[4:7], s[0:1], 0x60
	s_waitcnt vmcnt(0)
	v_cmp_eq_f16_e32 vcc_lo, 0, v50
	v_cmp_neq_f16_e64 s2, 0, v50
	s_cbranch_vccnz .LBB216_6
; %bb.5:
	s_lshl_b64 s[8:9], s[12:13], 3
	s_waitcnt lgkmcnt(0)
	s_add_u32 s8, s16, s8
	s_addc_u32 s9, s17, s9
	s_lshl_b64 s[4:5], s[4:5], 1
	s_load_b64 s[8:9], s[8:9], 0x0
	s_waitcnt lgkmcnt(0)
	s_add_u32 s10, s8, s4
	s_addc_u32 s11, s9, s5
	s_branch .LBB216_7
.LBB216_6:
	s_mov_b64 s[10:11], 0
.LBB216_7:
	s_waitcnt lgkmcnt(0)
	s_load_b128 s[16:19], s[0:1], 0x0
	s_lshl_b64 s[4:5], s[12:13], 3
	v_and_b32_e32 v91, 0x3ff, v0
	s_add_u32 s8, s6, s4
	s_addc_u32 s9, s7, s5
	v_bfe_u32 v92, v0, 10, 10
	s_waitcnt lgkmcnt(0)
	s_load_b32 s19, s[0:1], 0x20
	v_cmp_eq_f16_e32 vcc_lo, 0, v95
	v_and_b32_e32 v98, 3, v91
	s_add_i32 s5, s16, -1
	s_delay_alu instid0(SALU_CYCLE_1) | instskip(NEXT) | instid1(SALU_CYCLE_1)
	s_ashr_i32 s3, s5, 31
	s_lshr_b32 s3, s3, 25
	s_delay_alu instid0(SALU_CYCLE_1) | instskip(NEXT) | instid1(SALU_CYCLE_1)
	s_add_i32 s3, s5, s3
	s_ashr_i32 s3, s3, 7
	s_delay_alu instid0(SALU_CYCLE_1) | instskip(SKIP_2) | instid1(VALU_DEP_1)
	s_add_i32 s4, s3, 1
	s_not_b32 s3, s3
	v_cvt_f32_u32_e32 v1, s4
	v_rcp_iflag_f32_e32 v1, v1
	s_waitcnt_depctr 0xfff
	v_mul_f32_e32 v1, 0x4f7ffffe, v1
	s_delay_alu instid0(VALU_DEP_1) | instskip(NEXT) | instid1(VALU_DEP_1)
	v_cvt_u32_f32_e32 v1, v1
	v_readfirstlane_b32 s6, v1
	v_lshl_add_u32 v1, v92, 5, v91
	s_delay_alu instid0(VALU_DEP_2) | instskip(NEXT) | instid1(VALU_DEP_1)
	s_mul_i32 s3, s3, s6
	v_lshrrev_b32_e32 v8, 2, v1
	s_mul_hi_u32 s3, s6, s3
	s_delay_alu instid0(SALU_CYCLE_1) | instskip(NEXT) | instid1(SALU_CYCLE_1)
	s_add_i32 s6, s6, s3
	s_mul_hi_u32 s3, s14, s6
	s_delay_alu instid0(SALU_CYCLE_1) | instskip(SKIP_2) | instid1(SALU_CYCLE_1)
	s_mul_i32 s6, s3, s4
	s_add_i32 s7, s3, 1
	s_sub_i32 s6, s14, s6
	s_sub_i32 s12, s6, s4
	s_cmp_ge_u32 s6, s4
	s_cselect_b32 s3, s7, s3
	s_cselect_b32 s6, s12, s6
	s_add_i32 s7, s3, 1
	s_cmp_ge_u32 s6, s4
	s_load_b64 s[12:13], s[8:9], 0x0
	s_cselect_b32 s6, s7, s3
	s_add_i32 s15, s18, -1
	s_mul_i32 s3, s6, s4
	v_min_i32_e32 v0, s15, v98
	s_sub_i32 s3, s14, s3
	v_cmp_le_i32_e64 s7, s18, v98
	s_lshl_b32 s9, s3, 7
	s_delay_alu instid0(VALU_DEP_2) | instskip(SKIP_1) | instid1(VALU_DEP_2)
	v_ashrrev_i32_e32 v1, 31, v0
	v_add_nc_u32_e32 v2, s9, v8
	v_lshlrev_b64 v[0:1], 1, v[0:1]
	s_delay_alu instid0(VALU_DEP_2) | instskip(NEXT) | instid1(VALU_DEP_2)
	v_cmp_le_i32_e64 s3, s16, v2
	v_add_co_u32 v4, s4, s22, v0
	s_delay_alu instid0(VALU_DEP_1) | instskip(NEXT) | instid1(VALU_DEP_3)
	v_add_co_ci_u32_e64 v5, s4, s23, v1, s4
	s_or_b32 s4, s7, s3
	s_delay_alu instid0(SALU_CYCLE_1) | instskip(SKIP_1) | instid1(SALU_CYCLE_1)
	v_cndmask_b32_e64 v9, 0, 0x7c00, s4
	s_or_b32 s4, vcc_lo, s4
	s_xor_b32 s4, s4, -1
	s_delay_alu instid0(SALU_CYCLE_1)
	s_and_saveexec_b32 s8, s4
	s_cbranch_execz .LBB216_9
; %bb.8:
	s_waitcnt lgkmcnt(0)
	v_mad_i64_i32 v[6:7], null, v2, s19, 0
	s_delay_alu instid0(VALU_DEP_1) | instskip(NEXT) | instid1(VALU_DEP_1)
	v_lshlrev_b64 v[6:7], 1, v[6:7]
	v_add_co_u32 v6, s4, v4, v6
	s_delay_alu instid0(VALU_DEP_1)
	v_add_co_ci_u32_e64 v7, s4, v5, v7, s4
	flat_load_u16 v3, v[6:7]
	s_waitcnt vmcnt(0) lgkmcnt(0)
	v_mul_f16_e32 v9, v95, v3
.LBB216_9:
	s_or_b32 exec_lo, exec_lo, s8
	v_add_nc_u32_e32 v3, 64, v2
	s_delay_alu instid0(VALU_DEP_1) | instskip(SKIP_1) | instid1(VALU_DEP_2)
	v_cmp_le_i32_e64 s4, s16, v3
	v_min_i32_e32 v3, s5, v3
	s_or_b32 s5, s7, s4
	s_delay_alu instid0(SALU_CYCLE_1) | instskip(SKIP_1) | instid1(SALU_CYCLE_1)
	v_cndmask_b32_e64 v10, 0, 0x7c00, s5
	s_or_b32 s5, vcc_lo, s5
	s_xor_b32 s5, s5, -1
	s_delay_alu instid0(SALU_CYCLE_1)
	s_and_saveexec_b32 s8, s5
	s_cbranch_execz .LBB216_11
; %bb.10:
	s_waitcnt lgkmcnt(0)
	v_mad_i64_i32 v[6:7], null, v3, s19, 0
	s_delay_alu instid0(VALU_DEP_1) | instskip(NEXT) | instid1(VALU_DEP_1)
	v_lshlrev_b64 v[6:7], 1, v[6:7]
	v_add_co_u32 v4, s5, v4, v6
	s_delay_alu instid0(VALU_DEP_1)
	v_add_co_ci_u32_e64 v5, s5, v5, v7, s5
	flat_load_u16 v4, v[4:5]
	s_waitcnt vmcnt(0) lgkmcnt(0)
	v_mul_f16_e32 v10, v95, v4
.LBB216_11:
	s_or_b32 exec_lo, exec_lo, s8
	s_load_b32 s24, s[0:1], 0x38
	s_lshl_b32 s14, s6, 7
	v_add_co_u32 v0, s6, s20, v0
	v_add_nc_u32_e32 v4, s14, v8
	v_add_co_ci_u32_e64 v1, s6, s21, v1, s6
	s_delay_alu instid0(VALU_DEP_2) | instskip(NEXT) | instid1(VALU_DEP_1)
	v_cmp_le_i32_e64 s5, s17, v4
	s_or_b32 s6, s7, s5
	s_delay_alu instid0(SALU_CYCLE_1) | instskip(SKIP_1) | instid1(SALU_CYCLE_1)
	v_cndmask_b32_e64 v11, 0, 0x7c00, s6
	s_or_b32 s6, vcc_lo, s6
	s_xor_b32 s6, s6, -1
	s_delay_alu instid0(SALU_CYCLE_1)
	s_and_saveexec_b32 s8, s6
	s_cbranch_execz .LBB216_13
; %bb.12:
	s_waitcnt lgkmcnt(0)
	v_mad_i64_i32 v[5:6], null, v4, s24, 0
	s_delay_alu instid0(VALU_DEP_1) | instskip(NEXT) | instid1(VALU_DEP_1)
	v_lshlrev_b64 v[5:6], 1, v[5:6]
	v_add_co_u32 v5, s6, v0, v5
	s_delay_alu instid0(VALU_DEP_1)
	v_add_co_ci_u32_e64 v6, s6, v1, v6, s6
	flat_load_u16 v5, v[5:6]
	s_waitcnt vmcnt(0) lgkmcnt(0)
	v_mul_f16_e32 v11, v95, v5
.LBB216_13:
	s_or_b32 exec_lo, exec_lo, s8
	v_add_nc_u32_e32 v5, 64, v4
	s_add_i32 s8, s17, -1
	s_delay_alu instid0(VALU_DEP_1) | instskip(SKIP_1) | instid1(VALU_DEP_2)
	v_cmp_le_i32_e64 s6, s17, v5
	v_min_i32_e32 v5, s8, v5
	s_or_b32 s7, s7, s6
	s_delay_alu instid0(SALU_CYCLE_1) | instskip(SKIP_1) | instid1(SALU_CYCLE_1)
	v_cndmask_b32_e64 v12, 0, 0x7c00, s7
	s_or_b32 s7, vcc_lo, s7
	s_xor_b32 s7, s7, -1
	s_delay_alu instid0(SALU_CYCLE_1)
	s_and_saveexec_b32 s8, s7
	s_cbranch_execz .LBB216_15
; %bb.14:
	s_waitcnt lgkmcnt(0)
	v_mad_i64_i32 v[6:7], null, v5, s24, 0
	s_delay_alu instid0(VALU_DEP_1) | instskip(NEXT) | instid1(VALU_DEP_1)
	v_lshlrev_b64 v[6:7], 1, v[6:7]
	v_add_co_u32 v0, s7, v0, v6
	s_delay_alu instid0(VALU_DEP_1)
	v_add_co_ci_u32_e64 v1, s7, v1, v7, s7
	flat_load_u16 v0, v[0:1]
	s_waitcnt vmcnt(0) lgkmcnt(0)
	v_mul_f16_e32 v12, v95, v0
.LBB216_15:
	s_or_b32 exec_lo, exec_lo, s8
	v_or_b32_e32 v6, 4, v98
	s_delay_alu instid0(VALU_DEP_1) | instskip(SKIP_1) | instid1(VALU_DEP_2)
	v_min_i32_e32 v0, s15, v6
	v_cmp_le_i32_e64 s7, s18, v6
	v_ashrrev_i32_e32 v1, 31, v0
	s_delay_alu instid0(VALU_DEP_1) | instskip(NEXT) | instid1(VALU_DEP_1)
	v_lshlrev_b64 v[0:1], 1, v[0:1]
	v_add_co_u32 v13, s8, s22, v0
	s_delay_alu instid0(VALU_DEP_1) | instskip(SKIP_1) | instid1(SALU_CYCLE_1)
	v_add_co_ci_u32_e64 v14, s8, s23, v1, s8
	s_or_b32 s8, s7, s3
	v_cndmask_b32_e64 v6, 0, 0x7c00, s8
	s_or_b32 s8, vcc_lo, s8
	s_delay_alu instid0(SALU_CYCLE_1) | instskip(NEXT) | instid1(SALU_CYCLE_1)
	s_xor_b32 s8, s8, -1
	s_and_saveexec_b32 s25, s8
	s_cbranch_execz .LBB216_17
; %bb.16:
	s_waitcnt lgkmcnt(0)
	v_mad_i64_i32 v[6:7], null, v2, s19, 0
	s_delay_alu instid0(VALU_DEP_1) | instskip(NEXT) | instid1(VALU_DEP_1)
	v_lshlrev_b64 v[6:7], 1, v[6:7]
	v_add_co_u32 v6, s8, v13, v6
	s_delay_alu instid0(VALU_DEP_1)
	v_add_co_ci_u32_e64 v7, s8, v14, v7, s8
	flat_load_u16 v6, v[6:7]
	s_waitcnt vmcnt(0) lgkmcnt(0)
	v_mul_f16_e32 v6, v95, v6
.LBB216_17:
	s_or_b32 exec_lo, exec_lo, s25
	s_or_b32 s8, s7, s4
	s_delay_alu instid0(SALU_CYCLE_1) | instskip(SKIP_1) | instid1(SALU_CYCLE_1)
	v_cndmask_b32_e64 v7, 0, 0x7c00, s8
	s_or_b32 s8, vcc_lo, s8
	s_xor_b32 s8, s8, -1
	s_delay_alu instid0(SALU_CYCLE_1)
	s_and_saveexec_b32 s25, s8
	s_cbranch_execz .LBB216_19
; %bb.18:
	s_waitcnt lgkmcnt(0)
	v_mad_i64_i32 v[15:16], null, v3, s19, 0
	s_delay_alu instid0(VALU_DEP_1) | instskip(NEXT) | instid1(VALU_DEP_1)
	v_lshlrev_b64 v[15:16], 1, v[15:16]
	v_add_co_u32 v13, s8, v13, v15
	s_delay_alu instid0(VALU_DEP_1)
	v_add_co_ci_u32_e64 v14, s8, v14, v16, s8
	flat_load_u16 v7, v[13:14]
	s_waitcnt vmcnt(0) lgkmcnt(0)
	v_mul_f16_e32 v7, v95, v7
.LBB216_19:
	s_or_b32 exec_lo, exec_lo, s25
	v_add_co_u32 v13, s8, s20, v0
	s_delay_alu instid0(VALU_DEP_1) | instskip(SKIP_1) | instid1(SALU_CYCLE_1)
	v_add_co_ci_u32_e64 v14, s8, s21, v1, s8
	s_or_b32 s8, s7, s5
	v_cndmask_b32_e64 v0, 0, 0x7c00, s8
	s_or_b32 s8, vcc_lo, s8
	s_delay_alu instid0(SALU_CYCLE_1) | instskip(NEXT) | instid1(SALU_CYCLE_1)
	s_xor_b32 s8, s8, -1
	s_and_saveexec_b32 s25, s8
	s_cbranch_execz .LBB216_21
; %bb.20:
	s_waitcnt lgkmcnt(0)
	v_mad_i64_i32 v[0:1], null, v4, s24, 0
	s_delay_alu instid0(VALU_DEP_1) | instskip(NEXT) | instid1(VALU_DEP_1)
	v_lshlrev_b64 v[0:1], 1, v[0:1]
	v_add_co_u32 v0, s8, v13, v0
	s_delay_alu instid0(VALU_DEP_1)
	v_add_co_ci_u32_e64 v1, s8, v14, v1, s8
	flat_load_u16 v0, v[0:1]
	s_waitcnt vmcnt(0) lgkmcnt(0)
	v_mul_f16_e32 v0, v95, v0
.LBB216_21:
	s_or_b32 exec_lo, exec_lo, s25
	s_or_b32 s7, s7, s6
	s_delay_alu instid0(SALU_CYCLE_1) | instskip(SKIP_1) | instid1(SALU_CYCLE_1)
	v_cndmask_b32_e64 v1, 0, 0x7c00, s7
	s_or_b32 s7, vcc_lo, s7
	s_xor_b32 s7, s7, -1
	s_delay_alu instid0(SALU_CYCLE_1)
	s_and_saveexec_b32 s8, s7
	s_cbranch_execz .LBB216_23
; %bb.22:
	s_waitcnt lgkmcnt(0)
	v_mad_i64_i32 v[15:16], null, v5, s24, 0
	s_delay_alu instid0(VALU_DEP_1) | instskip(NEXT) | instid1(VALU_DEP_1)
	v_lshlrev_b64 v[15:16], 1, v[15:16]
	v_add_co_u32 v13, s7, v13, v15
	s_delay_alu instid0(VALU_DEP_1)
	v_add_co_ci_u32_e64 v14, s7, v14, v16, s7
	flat_load_u16 v1, v[13:14]
	s_waitcnt vmcnt(0) lgkmcnt(0)
	v_mul_f16_e32 v1, v95, v1
.LBB216_23:
	s_or_b32 exec_lo, exec_lo, s8
	v_lshlrev_b32_e32 v13, 1, v98
	v_lshlrev_b32_e32 v102, 3, v92
	v_lshlrev_b32_e32 v101, 3, v91
	s_cmp_lt_i32 s18, 9
	s_delay_alu instid0(VALU_DEP_3) | instskip(NEXT) | instid1(VALU_DEP_3)
	v_lshl_or_b32 v108, v8, 3, v13
	v_add_nc_u32_e32 v44, 0x800, v102
	ds_store_b16 v108, v9
	ds_store_b16 v108, v10 offset:512
	ds_store_b16 v108, v11 offset:2048
	;; [unrolled: 1-line block ×3, first 2 shown]
	s_waitcnt lgkmcnt(0)
	s_barrier
	buffer_gl0_inv
	ds_load_2addr_b64 v[8:11], v101 offset1:32
	ds_load_2addr_b64 v[12:15], v44 offset1:8
	ds_load_2addr_b64 v[16:19], v101 offset0:64 offset1:96
	ds_load_2addr_b64 v[20:23], v44 offset0:16 offset1:24
	;; [unrolled: 1-line block ×7, first 2 shown]
	s_waitcnt lgkmcnt(7)
	v_pk_add_f16 v45, v8, v12
	v_pk_add_f16 v46, v10, v12
	s_waitcnt lgkmcnt(6)
	v_pk_add_f16 v47, v16, v12
	v_pk_add_f16 v12, v18, v12
	;; [unrolled: 1-line block ×6, first 2 shown]
	s_waitcnt lgkmcnt(5)
	v_pk_add_f16 v52, v8, v20
	v_pk_min_f16 v12, 0x7c00, v12 op_sel_hi:[0,1]
	v_pk_add_f16 v75, v9, v13
	v_pk_add_f16 v76, v11, v13
	;; [unrolled: 1-line block ×5, first 2 shown]
	v_pk_min_f16 v14, 0x7c00, v14 op_sel_hi:[0,1]
	v_pk_min_f16 v52, 0x7c00, v52 op_sel_hi:[0,1]
	v_pk_add_f16 v54, v16, v20
	v_pk_add_f16 v20, v18, v20
	;; [unrolled: 1-line block ×6, first 2 shown]
	v_pk_min_f16 v124, v12, v13
	v_pk_add_f16 v12, v9, v21
	v_pk_min_f16 v53, 0x7c00, v53 op_sel_hi:[0,1]
	v_pk_add_f16 v55, v8, v22
	v_pk_add_f16 v56, v10, v22
	;; [unrolled: 1-line block ×3, first 2 shown]
	v_pk_min_f16 v54, 0x7c00, v54 op_sel_hi:[0,1]
	v_pk_min_f16 v20, 0x7c00, v20 op_sel_hi:[0,1]
	v_pk_add_f16 v13, v11, v21
	v_pk_min_f16 v114, v14, v15
	v_pk_add_f16 v14, v17, v21
	v_pk_min_f16 v113, v52, v12
	v_pk_add_f16 v12, v19, v21
	v_pk_min_f16 v55, 0x7c00, v55 op_sel_hi:[0,1]
	v_pk_min_f16 v56, 0x7c00, v56 op_sel_hi:[0,1]
	v_pk_min_f16 v57, 0x7c00, v57 op_sel_hi:[0,1]
	v_pk_add_f16 v22, v18, v22
	s_waitcnt lgkmcnt(4)
	v_pk_add_f16 v58, v8, v24
	v_pk_add_f16 v59, v10, v24
	;; [unrolled: 1-line block ×3, first 2 shown]
	v_pk_min_f16 v112, v53, v13
	v_pk_add_f16 v13, v9, v23
	v_pk_min_f16 v111, v54, v14
	v_pk_add_f16 v14, v11, v23
	;; [unrolled: 2-line block ×3, first 2 shown]
	v_pk_min_f16 v22, 0x7c00, v22 op_sel_hi:[0,1]
	v_pk_min_f16 v58, 0x7c00, v58 op_sel_hi:[0,1]
	;; [unrolled: 1-line block ×4, first 2 shown]
	v_pk_add_f16 v61, v8, v26
	v_pk_add_f16 v62, v10, v26
	v_pk_add_f16 v63, v16, v26
	v_pk_add_f16 v26, v18, v26
	v_pk_min_f16 v109, v55, v13
	v_pk_min_f16 v107, v56, v14
	;; [unrolled: 1-line block ×3, first 2 shown]
	v_pk_add_f16 v12, v19, v23
	v_pk_add_f16 v13, v9, v25
	;; [unrolled: 1-line block ×4, first 2 shown]
	s_waitcnt lgkmcnt(3)
	v_pk_add_f16 v64, v8, v28
	v_pk_min_f16 v61, 0x7c00, v61 op_sel_hi:[0,1]
	v_pk_min_f16 v62, 0x7c00, v62 op_sel_hi:[0,1]
	;; [unrolled: 1-line block ×4, first 2 shown]
	v_pk_add_f16 v65, v10, v28
	v_pk_add_f16 v66, v16, v28
	;; [unrolled: 1-line block ×4, first 2 shown]
	v_pk_min_f16 v105, v22, v12
	v_pk_min_f16 v104, v58, v13
	;; [unrolled: 1-line block ×4, first 2 shown]
	v_pk_add_f16 v12, v9, v27
	v_pk_add_f16 v13, v11, v27
	;; [unrolled: 1-line block ×5, first 2 shown]
	v_pk_min_f16 v64, 0x7c00, v64 op_sel_hi:[0,1]
	v_pk_add_f16 v68, v10, v30
	v_pk_min_f16 v65, 0x7c00, v65 op_sel_hi:[0,1]
	v_pk_min_f16 v66, 0x7c00, v66 op_sel_hi:[0,1]
	v_pk_min_f16 v28, 0x7c00, v28 op_sel_hi:[0,1]
	v_pk_min_f16 v67, 0x7c00, v67 op_sel_hi:[0,1]
	v_pk_add_f16 v22, v9, v29
	v_pk_min_f16 v97, v61, v12
	v_pk_min_f16 v96, v62, v13
	;; [unrolled: 1-line block ×4, first 2 shown]
	v_pk_add_f16 v12, v11, v29
	v_pk_add_f16 v13, v17, v29
	;; [unrolled: 1-line block ×4, first 2 shown]
	v_pk_min_f16 v24, 0x7c00, v24 op_sel_hi:[0,1]
	v_pk_min_f16 v68, 0x7c00, v68 op_sel_hi:[0,1]
	v_pk_add_f16 v69, v16, v30
	v_pk_add_f16 v30, v18, v30
	;; [unrolled: 1-line block ×3, first 2 shown]
	v_pk_min_f16 v90, v64, v22
	v_pk_add_f16 v22, v11, v31
	v_pk_min_f16 v89, v65, v12
	v_pk_min_f16 v88, v66, v13
	;; [unrolled: 1-line block ×4, first 2 shown]
	ds_load_2addr_b64 v[12:15], v44 offset0:112 offset1:120
	s_waitcnt lgkmcnt(3)
	v_pk_add_f16 v70, v8, v32
	v_pk_add_f16 v71, v10, v32
	;; [unrolled: 1-line block ×8, first 2 shown]
	s_waitcnt lgkmcnt(2)
	v_pk_add_f16 v20, v16, v38
	v_pk_min_f16 v99, v24, v23
	v_pk_min_f16 v84, v68, v22
	v_pk_add_f16 v22, v17, v31
	v_pk_add_f16 v23, v19, v31
	v_pk_min_f16 v44, 0x7c00, v69 op_sel_hi:[0,1]
	v_pk_min_f16 v30, 0x7c00, v30 op_sel_hi:[0,1]
	;; [unrolled: 1-line block ×5, first 2 shown]
	v_pk_add_f16 v82, v8, v36
	v_pk_add_f16 v21, v18, v38
	;; [unrolled: 1-line block ×8, first 2 shown]
	v_pk_min_f16 v54, 0x7c00, v70 op_sel_hi:[0,1]
	v_pk_min_f16 v55, 0x7c00, v71 op_sel_hi:[0,1]
	;; [unrolled: 1-line block ×5, first 2 shown]
	v_pk_min_f16 v85, v44, v22
	s_waitcnt lgkmcnt(1)
	v_pk_add_f16 v22, v8, v40
	v_pk_min_f16 v83, v30, v23
	v_pk_add_f16 v23, v10, v40
	v_pk_min_f16 v20, 0x7c00, v20 op_sel_hi:[0,1]
	v_pk_min_f16 v46, 0x7c00, v46 op_sel_hi:[0,1]
	;; [unrolled: 1-line block ×4, first 2 shown]
	v_pk_min_f16 v127, v45, v75
	v_pk_min_f16 v116, v49, v79
	;; [unrolled: 1-line block ×3, first 2 shown]
	v_pk_add_f16 v28, v9, v35
	v_pk_add_f16 v29, v11, v35
	;; [unrolled: 1-line block ×6, first 2 shown]
	v_pk_min_f16 v57, 0x7c00, v73 op_sel_hi:[0,1]
	v_pk_min_f16 v58, 0x7c00, v74 op_sel_hi:[0,1]
	;; [unrolled: 1-line block ×4, first 2 shown]
	v_pk_min_f16 v82, v54, v24
	v_pk_add_f16 v24, v16, v40
	v_pk_min_f16 v21, 0x7c00, v21 op_sel_hi:[0,1]
	v_pk_min_f16 v22, 0x7c00, v22 op_sel_hi:[0,1]
	;; [unrolled: 1-line block ×3, first 2 shown]
	v_pk_min_f16 v81, v55, v25
	v_pk_add_f16 v25, v18, v40
	v_pk_min_f16 v80, v56, v26
	v_pk_add_f16 v26, v8, v42
	;; [unrolled: 2-line block ×5, first 2 shown]
	v_pk_add_f16 v45, v10, v36
	v_pk_min_f16 v126, v46, v76
	v_pk_add_f16 v46, v16, v36
	v_pk_min_f16 v125, v47, v77
	v_pk_add_f16 v36, v18, v36
	v_pk_add_f16 v47, v8, v38
	v_pk_min_f16 v117, v48, v78
	v_pk_add_f16 v48, v10, v38
	v_pk_min_f16 v24, 0x7c00, v24 op_sel_hi:[0,1]
	v_pk_min_f16 v78, v57, v28
	v_pk_add_f16 v28, v16, v42
	v_pk_min_f16 v77, v58, v29
	v_pk_add_f16 v29, v18, v42
	v_pk_min_f16 v25, 0x7c00, v25 op_sel_hi:[0,1]
	v_pk_min_f16 v26, 0x7c00, v26 op_sel_hi:[0,1]
	;; [unrolled: 1-line block ×3, first 2 shown]
	v_pk_min_f16 v76, v59, v31
	s_waitcnt lgkmcnt(0)
	v_pk_add_f16 v30, v8, v12
	v_pk_add_f16 v31, v10, v12
	;; [unrolled: 1-line block ×6, first 2 shown]
	v_pk_min_f16 v67, v21, v39
	v_pk_min_f16 v66, v22, v33
	v_pk_add_f16 v21, v17, v41
	v_pk_add_f16 v22, v19, v41
	;; [unrolled: 1-line block ×3, first 2 shown]
	v_pk_min_f16 v65, v23, v20
	v_pk_add_f16 v14, v18, v14
	v_pk_add_f16 v18, v9, v43
	;; [unrolled: 1-line block ×7, first 2 shown]
	v_pk_min_f16 v45, 0x7c00, v45 op_sel_hi:[0,1]
	v_pk_min_f16 v46, 0x7c00, v46 op_sel_hi:[0,1]
	v_pk_min_f16 v36, 0x7c00, v36 op_sel_hi:[0,1]
	v_pk_min_f16 v47, 0x7c00, v47 op_sel_hi:[0,1]
	v_pk_min_f16 v48, 0x7c00, v48 op_sel_hi:[0,1]
	v_pk_min_f16 v28, 0x7c00, v28 op_sel_hi:[0,1]
	v_pk_min_f16 v29, 0x7c00, v29 op_sel_hi:[0,1]
	v_pk_min_f16 v30, 0x7c00, v30 op_sel_hi:[0,1]
	v_pk_min_f16 v31, 0x7c00, v31 op_sel_hi:[0,1]
	v_pk_min_f16 v32, 0x7c00, v32 op_sel_hi:[0,1]
	v_pk_min_f16 v12, 0x7c00, v12 op_sel_hi:[0,1]
	v_pk_min_f16 v8, 0x7c00, v8 op_sel_hi:[0,1]
	v_pk_min_f16 v64, v24, v21
	v_pk_min_f16 v63, v25, v22
	v_pk_min_f16 v10, 0x7c00, v10 op_sel_hi:[0,1]
	v_pk_min_f16 v16, 0x7c00, v16 op_sel_hi:[0,1]
	;; [unrolled: 1-line block ×3, first 2 shown]
	v_pk_min_f16 v62, v26, v18
	v_pk_min_f16 v61, v27, v20
	v_pk_add_f16 v18, v17, v43
	v_pk_add_f16 v20, v19, v43
	v_pk_add_f16 v21, v9, v13
	v_pk_add_f16 v22, v11, v13
	v_pk_add_f16 v23, v17, v13
	v_pk_add_f16 v13, v19, v13
	v_pk_add_f16 v9, v9, v15
	v_pk_add_f16 v11, v11, v15
	v_pk_add_f16 v17, v17, v15
	v_pk_add_f16 v15, v19, v15
	v_pk_min_f16 v74, v60, v35
	v_pk_min_f16 v73, v45, v38
	;; [unrolled: 1-line block ×16, first 2 shown]
	ds_store_b16 v108, v6 offset:1024
	ds_store_b16 v108, v7 offset:1536
	;; [unrolled: 1-line block ×4, first 2 shown]
	s_waitcnt lgkmcnt(0)
	s_barrier
	buffer_gl0_inv
	s_cbranch_scc1 .LBB216_42
; %bb.24:
	v_mad_i64_i32 v[0:1], null, v2, s19, 0
	v_mad_i64_i32 v[6:7], null, v3, s19, 0
	;; [unrolled: 1-line block ×4, first 2 shown]
	s_delay_alu instid0(VALU_DEP_4)
	v_lshlrev_b64 v[40:41], 1, v[0:1]
	v_add_nc_u32_e32 v118, 0x800, v108
	v_lshlrev_b64 v[42:43], 1, v[6:7]
	v_add_nc_u32_e32 v119, 0x800, v102
	;; [unrolled: 2-line block ×4, first 2 shown]
	v_lshl_add_u32 v122, v91, 3, 0x400
	v_lshl_add_u32 v123, v92, 3, 0xc00
	s_add_i32 s19, s18, -8
	s_mov_b32 s24, 0
	s_branch .LBB216_26
.LBB216_25:                             ;   in Loop: Header=BB216_26 Depth=1
	s_or_b32 exec_lo, exec_lo, s8
	ds_load_2addr_b64 v[130:133], v101 offset1:32
	ds_load_2addr_b64 v[78:81], v119 offset1:8
	ds_load_2addr_b64 v[134:137], v101 offset0:64 offset1:96
	ds_load_2addr_b64 v[82:85], v119 offset0:16 offset1:24
	;; [unrolled: 1-line block ×8, first 2 shown]
	v_pk_max_f16 v9, v76, v76
	v_pk_max_f16 v11, v74, v74
	;; [unrolled: 1-line block ×11, first 2 shown]
	s_waitcnt lgkmcnt(8)
	v_pk_add_f16 v75, v130, v78
	v_pk_add_f16 v76, v132, v78
	s_waitcnt lgkmcnt(7)
	v_pk_add_f16 v77, v134, v78
	v_pk_add_f16 v78, v136, v78
	v_pk_max_f16 v58, v58, v58
	v_pk_min_f16 v9, v9, v75
	v_pk_add_f16 v75, v136, v80
	v_pk_min_f16 v11, v11, v76
	v_pk_min_f16 v49, v49, v77
	;; [unrolled: 1-line block ×3, first 2 shown]
	s_waitcnt lgkmcnt(6)
	v_pk_add_f16 v76, v132, v82
	v_pk_min_f16 v69, v69, v75
	v_pk_add_f16 v75, v130, v82
	v_pk_add_f16 v77, v134, v82
	;; [unrolled: 1-line block ×3, first 2 shown]
	v_pk_min_f16 v70, v70, v76
	v_pk_add_f16 v76, v134, v84
	v_pk_min_f16 v63, v63, v75
	v_pk_min_f16 v68, v68, v77
	v_pk_min_f16 v67, v67, v78
	v_pk_add_f16 v75, v132, v84
	v_pk_max_f16 v66, v66, v66
	v_pk_add_f16 v77, v136, v84
	v_pk_max_f16 v64, v64, v64
	s_waitcnt lgkmcnt(5)
	v_pk_add_f16 v78, v130, v86
	v_pk_max_f16 v62, v62, v62
	v_pk_min_f16 v58, v58, v75
	v_pk_min_f16 v66, v66, v76
	;; [unrolled: 1-line block ×3, first 2 shown]
	v_pk_add_f16 v75, v134, v86
	v_pk_min_f16 v62, v62, v78
	v_pk_max_f16 v53, v53, v53
	v_pk_add_f16 v76, v136, v86
	v_pk_max_f16 v61, v61, v61
	v_pk_add_f16 v77, v130, v88
	;; [unrolled: 2-line block ×3, first 2 shown]
	v_pk_max_f16 v57, v57, v57
	v_pk_min_f16 v53, v53, v75
	v_pk_min_f16 v61, v61, v76
	;; [unrolled: 1-line block ×3, first 2 shown]
	v_pk_add_f16 v75, v136, v88
	v_pk_min_f16 v57, v57, v78
	v_pk_max_f16 v37, v37, v37
	s_waitcnt lgkmcnt(4)
	v_pk_add_f16 v76, v130, v138
	v_pk_max_f16 v56, v56, v56
	v_pk_add_f16 v77, v132, v138
	v_pk_max_f16 v54, v54, v54
	;; [unrolled: 2-line block ×3, first 2 shown]
	v_pk_min_f16 v37, v37, v75
	v_pk_min_f16 v56, v56, v76
	;; [unrolled: 1-line block ×3, first 2 shown]
	v_pk_add_f16 v75, v130, v140
	v_pk_min_f16 v52, v52, v78
	v_pk_max_f16 v32, v32, v32
	v_pk_add_f16 v76, v132, v140
	v_pk_max_f16 v51, v51, v51
	v_pk_add_f16 v77, v134, v140
	;; [unrolled: 2-line block ×3, first 2 shown]
	v_pk_max_f16 v36, v36, v36
	v_pk_min_f16 v32, v32, v75
	v_pk_min_f16 v51, v51, v76
	;; [unrolled: 1-line block ×3, first 2 shown]
	s_waitcnt lgkmcnt(3)
	v_pk_add_f16 v75, v132, v142
	v_pk_min_f16 v36, v36, v78
	v_pk_max_f16 v27, v27, v27
	v_pk_add_f16 v76, v134, v142
	v_pk_max_f16 v35, v35, v35
	v_pk_add_f16 v77, v136, v142
	;; [unrolled: 2-line block ×3, first 2 shown]
	v_pk_max_f16 v31, v31, v31
	v_pk_min_f16 v27, v27, v75
	v_pk_min_f16 v35, v35, v76
	;; [unrolled: 1-line block ×3, first 2 shown]
	v_pk_add_f16 v75, v134, v144
	v_pk_min_f16 v31, v31, v78
	v_pk_max_f16 v22, v22, v22
	v_pk_add_f16 v76, v136, v144
	v_pk_max_f16 v30, v30, v30
	s_waitcnt lgkmcnt(2)
	v_pk_add_f16 v77, v130, v146
	v_pk_max_f16 v28, v28, v28
	v_pk_add_f16 v78, v132, v146
	v_pk_max_f16 v26, v26, v26
	v_pk_min_f16 v22, v22, v75
	v_pk_min_f16 v30, v30, v76
	;; [unrolled: 1-line block ×3, first 2 shown]
	v_pk_add_f16 v75, v136, v146
	v_pk_min_f16 v26, v26, v78
	v_pk_max_f16 v17, v17, v17
	v_pk_add_f16 v76, v130, v148
	v_pk_max_f16 v25, v25, v25
	v_pk_add_f16 v77, v132, v148
	;; [unrolled: 2-line block ×4, first 2 shown]
	v_pk_add_f16 v93, v132, v80
	v_pk_add_f16 v94, v134, v80
	;; [unrolled: 1-line block ×3, first 2 shown]
	v_pk_max_f16 v65, v65, v65
	v_pk_min_f16 v17, v17, v75
	v_pk_min_f16 v25, v25, v76
	;; [unrolled: 1-line block ×4, first 2 shown]
	s_waitcnt lgkmcnt(1)
	v_pk_add_f16 v75, v130, v150
	v_pk_max_f16 v12, v12, v12
	v_pk_add_f16 v76, v132, v150
	v_pk_max_f16 v20, v20, v20
	;; [unrolled: 2-line block ×4, first 2 shown]
	v_pk_min_f16 v65, v65, v80
	v_pk_add_f16 v80, v132, v86
	v_pk_max_f16 v60, v60, v60
	v_pk_min_f16 v12, v12, v75
	v_pk_min_f16 v20, v20, v76
	;; [unrolled: 1-line block ×4, first 2 shown]
	v_pk_add_f16 v75, v132, v152
	v_pk_max_f16 v6, v6, v6
	v_pk_add_f16 v76, v134, v152
	v_pk_max_f16 v15, v15, v15
	;; [unrolled: 2-line block ×3, first 2 shown]
	s_waitcnt lgkmcnt(0)
	v_pk_add_f16 v78, v130, v154
	v_pk_max_f16 v10, v10, v10
	v_pk_min_f16 v60, v60, v80
	v_pk_add_f16 v80, v134, v88
	v_pk_max_f16 v55, v55, v55
	v_pk_min_f16 v6, v6, v75
	v_pk_min_f16 v15, v15, v76
	;; [unrolled: 1-line block ×4, first 2 shown]
	v_pk_add_f16 v75, v134, v154
	v_pk_max_f16 v2, v2, v2
	v_pk_add_f16 v76, v136, v154
	v_pk_max_f16 v7, v7, v7
	;; [unrolled: 2-line block ×4, first 2 shown]
	v_pk_max_f16 v71, v71, v71
	v_pk_min_f16 v55, v55, v80
	v_pk_add_f16 v80, v136, v138
	v_pk_max_f16 v39, v39, v39
	v_pk_min_f16 v2, v2, v75
	v_pk_min_f16 v7, v7, v76
	;; [unrolled: 1-line block ×4, first 2 shown]
	v_pk_add_f16 v75, v136, v156
	v_pk_max_f16 v1, v1, v1
	v_pk_add_f16 v76, v131, v79
	v_pk_add_f16 v77, v133, v79
	;; [unrolled: 1-line block ×4, first 2 shown]
	v_pk_min_f16 v73, v73, v90
	v_pk_min_f16 v74, v74, v93
	;; [unrolled: 1-line block ×4, first 2 shown]
	v_pk_add_f16 v80, v130, v142
	v_pk_max_f16 v34, v34, v34
	v_pk_min_f16 v1, v1, v75
	v_pk_min_f16 v127, v9, v76
	v_pk_min_f16 v126, v11, v77
	v_pk_min_f16 v125, v49, v78
	v_pk_min_f16 v124, v72, v79
	v_pk_add_f16 v9, v131, v81
	v_pk_add_f16 v11, v133, v81
	v_pk_add_f16 v49, v135, v81
	v_pk_add_f16 v72, v137, v81
	v_pk_add_f16 v75, v131, v83
	v_pk_min_f16 v34, v34, v80
	v_pk_add_f16 v80, v132, v144
	v_pk_max_f16 v29, v29, v29
	v_pk_min_f16 v117, v73, v9
	v_pk_min_f16 v116, v74, v11
	v_pk_min_f16 v115, v71, v49
	v_pk_min_f16 v114, v69, v72
	v_pk_min_f16 v113, v63, v75
	v_pk_add_f16 v9, v133, v83
	v_pk_add_f16 v11, v135, v83
	v_pk_add_f16 v49, v137, v83
	v_pk_add_f16 v63, v131, v85
	v_pk_add_f16 v69, v133, v85
	v_pk_min_f16 v29, v29, v80
	;; [unrolled: 13-line block ×7, first 2 shown]
	v_pk_min_f16 v80, v35, v9
	v_pk_min_f16 v79, v33, v11
	v_pk_min_f16 v78, v31, v27
	v_pk_min_f16 v77, v29, v32
	v_pk_min_f16 v76, v22, v34
	v_pk_add_f16 v9, v137, v145
	v_pk_add_f16 v11, v131, v147
	v_pk_add_f16 v22, v133, v147
	v_pk_add_f16 v27, v135, v147
	v_pk_add_f16 v29, v137, v147
	v_pk_min_f16 v75, v30, v9
	v_pk_min_f16 v74, v28, v11
	v_pk_min_f16 v73, v26, v22
	v_pk_min_f16 v72, v24, v27
	v_pk_min_f16 v71, v17, v29
	v_pk_add_f16 v9, v131, v149
	v_pk_add_f16 v11, v133, v149
	v_pk_add_f16 v17, v135, v149
	v_pk_add_f16 v22, v137, v149
	v_pk_add_f16 v24, v131, v151
	;; [unrolled: 10-line block ×5, first 2 shown]
	v_pk_min_f16 v55, v7, v2
	v_pk_min_f16 v54, v5, v6
	;; [unrolled: 1-line block ×5, first 2 shown]
	s_add_i32 s24, s24, 8
	ds_store_b16 v120, v128
	ds_store_b16 v120, v129 offset:512
	ds_store_b16 v121, v48
	ds_store_b16 v121, v0 offset:512
	s_cmp_ge_i32 s24, s19
	s_waitcnt lgkmcnt(0)
	s_barrier
	buffer_gl0_inv
	s_cbranch_scc1 .LBB216_42
.LBB216_26:                             ; =>This Inner Loop Header: Depth=1
	v_add_nc_u32_e32 v2, s24, v98
	s_delay_alu instid0(VALU_DEP_1) | instskip(NEXT) | instid1(VALU_DEP_1)
	v_add_nc_u32_e32 v3, 8, v2
	v_min_i32_e32 v0, s15, v3
	v_cmp_le_i32_e64 s7, s18, v3
	s_delay_alu instid0(VALU_DEP_2) | instskip(NEXT) | instid1(VALU_DEP_1)
	v_ashrrev_i32_e32 v1, 31, v0
	v_lshlrev_b64 v[0:1], 1, v[0:1]
	s_delay_alu instid0(VALU_DEP_1) | instskip(NEXT) | instid1(VALU_DEP_1)
	v_add_co_u32 v3, s8, s22, v0
	v_add_co_ci_u32_e64 v4, s8, s23, v1, s8
	s_or_b32 s8, s3, s7
	s_delay_alu instid0(SALU_CYCLE_1) | instskip(SKIP_1) | instid1(SALU_CYCLE_1)
	v_cndmask_b32_e64 v128, 0, 0x7c00, s8
	s_or_b32 s8, vcc_lo, s8
	s_xor_b32 s8, s8, -1
	s_delay_alu instid0(SALU_CYCLE_1)
	s_and_saveexec_b32 s25, s8
	s_cbranch_execz .LBB216_28
; %bb.27:                               ;   in Loop: Header=BB216_26 Depth=1
	v_add_co_u32 v5, s8, v3, v40
	s_delay_alu instid0(VALU_DEP_1)
	v_add_co_ci_u32_e64 v6, s8, v4, v41, s8
	flat_load_u16 v5, v[5:6]
	s_waitcnt vmcnt(0) lgkmcnt(0)
	v_mul_f16_e64 v128, v95, v5
.LBB216_28:                             ;   in Loop: Header=BB216_26 Depth=1
	s_or_b32 exec_lo, exec_lo, s25
	s_or_b32 s8, s4, s7
	s_delay_alu instid0(SALU_CYCLE_1) | instskip(SKIP_1) | instid1(SALU_CYCLE_1)
	v_cndmask_b32_e64 v129, 0, 0x7c00, s8
	s_or_b32 s8, vcc_lo, s8
	s_xor_b32 s8, s8, -1
	s_delay_alu instid0(SALU_CYCLE_1)
	s_and_saveexec_b32 s25, s8
	s_cbranch_execz .LBB216_30
; %bb.29:                               ;   in Loop: Header=BB216_26 Depth=1
	v_add_co_u32 v3, s8, v3, v42
	s_delay_alu instid0(VALU_DEP_1)
	v_add_co_ci_u32_e64 v4, s8, v4, v43, s8
	flat_load_u16 v3, v[3:4]
	s_waitcnt vmcnt(0) lgkmcnt(0)
	v_mul_f16_e64 v129, v95, v3
.LBB216_30:                             ;   in Loop: Header=BB216_26 Depth=1
	s_or_b32 exec_lo, exec_lo, s25
	v_add_co_u32 v0, s8, s20, v0
	s_delay_alu instid0(VALU_DEP_1) | instskip(SKIP_1) | instid1(SALU_CYCLE_1)
	v_add_co_ci_u32_e64 v1, s8, s21, v1, s8
	s_or_b32 s8, s5, s7
	v_cndmask_b32_e64 v130, 0, 0x7c00, s8
	s_or_b32 s8, vcc_lo, s8
	s_delay_alu instid0(SALU_CYCLE_1) | instskip(NEXT) | instid1(SALU_CYCLE_1)
	s_xor_b32 s8, s8, -1
	s_and_saveexec_b32 s25, s8
	s_cbranch_execz .LBB216_32
; %bb.31:                               ;   in Loop: Header=BB216_26 Depth=1
	v_add_co_u32 v3, s8, v0, v44
	s_delay_alu instid0(VALU_DEP_1)
	v_add_co_ci_u32_e64 v4, s8, v1, v45, s8
	flat_load_u16 v3, v[3:4]
	s_waitcnt vmcnt(0) lgkmcnt(0)
	v_mul_f16_e64 v130, v95, v3
.LBB216_32:                             ;   in Loop: Header=BB216_26 Depth=1
	s_or_b32 exec_lo, exec_lo, s25
	s_or_b32 s7, s6, s7
	s_delay_alu instid0(SALU_CYCLE_1) | instskip(SKIP_1) | instid1(SALU_CYCLE_1)
	v_cndmask_b32_e64 v131, 0, 0x7c00, s7
	s_or_b32 s7, vcc_lo, s7
	s_xor_b32 s7, s7, -1
	s_delay_alu instid0(SALU_CYCLE_1)
	s_and_saveexec_b32 s8, s7
	s_cbranch_execz .LBB216_34
; %bb.33:                               ;   in Loop: Header=BB216_26 Depth=1
	v_add_co_u32 v0, s7, v0, v46
	s_delay_alu instid0(VALU_DEP_1)
	v_add_co_ci_u32_e64 v1, s7, v1, v47, s7
	flat_load_u16 v0, v[0:1]
	s_waitcnt vmcnt(0) lgkmcnt(0)
	v_mul_f16_e64 v131, v95, v0
.LBB216_34:                             ;   in Loop: Header=BB216_26 Depth=1
	s_or_b32 exec_lo, exec_lo, s8
	v_add_nc_u32_e32 v132, 12, v2
	ds_load_2addr_b64 v[4:7], v122 offset1:32
	ds_load_2addr_b64 v[0:3], v122 offset0:64 offset1:96
	ds_load_2addr_b64 v[36:39], v123 offset1:8
	ds_load_2addr_b64 v[32:35], v123 offset0:16 offset1:24
	ds_load_2addr_b64 v[28:31], v123 offset0:32 offset1:40
	;; [unrolled: 1-line block ×7, first 2 shown]
	ds_store_b16 v108, v128
	ds_store_b16 v108, v129 offset:512
	ds_store_b16 v118, v130
	ds_store_b16 v118, v131 offset:512
	v_min_i32_e32 v48, s15, v132
	v_cmp_le_i32_e64 s7, s18, v132
	s_waitcnt lgkmcnt(0)
	s_barrier
	buffer_gl0_inv
	v_ashrrev_i32_e32 v49, 31, v48
	s_delay_alu instid0(VALU_DEP_1) | instskip(NEXT) | instid1(VALU_DEP_1)
	v_lshlrev_b64 v[48:49], 1, v[48:49]
	v_add_co_u32 v130, s8, s22, v48
	s_delay_alu instid0(VALU_DEP_1) | instskip(SKIP_1) | instid1(SALU_CYCLE_1)
	v_add_co_ci_u32_e64 v131, s8, s23, v49, s8
	s_or_b32 s8, s3, s7
	v_cndmask_b32_e64 v128, 0, 0x7c00, s8
	s_or_b32 s8, vcc_lo, s8
	s_delay_alu instid0(SALU_CYCLE_1) | instskip(NEXT) | instid1(SALU_CYCLE_1)
	s_xor_b32 s8, s8, -1
	s_and_saveexec_b32 s25, s8
	s_delay_alu instid0(SALU_CYCLE_1)
	s_xor_b32 s25, exec_lo, s25
	s_cbranch_execz .LBB216_36
; %bb.35:                               ;   in Loop: Header=BB216_26 Depth=1
	v_add_co_u32 v128, s8, v130, v40
	s_delay_alu instid0(VALU_DEP_1)
	v_add_co_ci_u32_e64 v129, s8, v131, v41, s8
	flat_load_u16 v128, v[128:129]
	s_waitcnt vmcnt(0) lgkmcnt(0)
	v_mul_f16_e64 v128, v95, v128
.LBB216_36:                             ;   in Loop: Header=BB216_26 Depth=1
	s_or_b32 exec_lo, exec_lo, s25
	s_or_b32 s8, s4, s7
	s_delay_alu instid0(SALU_CYCLE_1) | instskip(SKIP_1) | instid1(SALU_CYCLE_1)
	v_cndmask_b32_e64 v129, 0, 0x7c00, s8
	s_or_b32 s8, vcc_lo, s8
	s_xor_b32 s8, s8, -1
	s_delay_alu instid0(SALU_CYCLE_1)
	s_and_saveexec_b32 s25, s8
	s_cbranch_execz .LBB216_38
; %bb.37:                               ;   in Loop: Header=BB216_26 Depth=1
	v_add_co_u32 v129, s8, v130, v42
	s_delay_alu instid0(VALU_DEP_1)
	v_add_co_ci_u32_e64 v130, s8, v131, v43, s8
	flat_load_u16 v129, v[129:130]
	s_waitcnt vmcnt(0) lgkmcnt(0)
	v_mul_f16_e64 v129, v95, v129
.LBB216_38:                             ;   in Loop: Header=BB216_26 Depth=1
	s_or_b32 exec_lo, exec_lo, s25
	v_add_co_u32 v130, s8, s20, v48
	s_delay_alu instid0(VALU_DEP_1) | instskip(SKIP_1) | instid1(SALU_CYCLE_1)
	v_add_co_ci_u32_e64 v49, s8, s21, v49, s8
	s_or_b32 s8, s5, s7
	v_cndmask_b32_e64 v48, 0, 0x7c00, s8
	s_or_b32 s8, vcc_lo, s8
	s_delay_alu instid0(SALU_CYCLE_1) | instskip(NEXT) | instid1(SALU_CYCLE_1)
	s_xor_b32 s8, s8, -1
	s_and_saveexec_b32 s25, s8
	s_cbranch_execz .LBB216_40
; %bb.39:                               ;   in Loop: Header=BB216_26 Depth=1
	v_add_co_u32 v131, s8, v130, v44
	s_delay_alu instid0(VALU_DEP_1)
	v_add_co_ci_u32_e64 v132, s8, v49, v45, s8
	flat_load_u16 v48, v[131:132]
	s_waitcnt vmcnt(0) lgkmcnt(0)
	v_mul_f16_e32 v48, v95, v48
.LBB216_40:                             ;   in Loop: Header=BB216_26 Depth=1
	s_or_b32 exec_lo, exec_lo, s25
	v_pk_add_f16 v131, v4, v36
	v_pk_max_f16 v127, v127, v127
	v_pk_add_f16 v132, v6, v36
	v_pk_max_f16 v126, v126, v126
	;; [unrolled: 2-line block ×3, first 2 shown]
	v_pk_min_f16 v127, v127, v131
	v_pk_add_f16 v36, v2, v36
	v_pk_min_f16 v126, v126, v132
	v_pk_max_f16 v124, v124, v124
	v_pk_min_f16 v125, v125, v133
	v_pk_add_f16 v131, v4, v38
	v_pk_max_f16 v117, v117, v117
	v_pk_add_f16 v132, v6, v38
	v_pk_add_f16 v133, v0, v38
	;; [unrolled: 1-line block ×3, first 2 shown]
	v_pk_max_f16 v114, v114, v114
	v_pk_max_f16 v116, v116, v116
	v_pk_min_f16 v36, v124, v36
	v_pk_min_f16 v117, v117, v131
	v_pk_max_f16 v113, v113, v113
	v_pk_min_f16 v38, v114, v38
	v_pk_add_f16 v114, v4, v32
	v_pk_add_f16 v124, v6, v32
	;; [unrolled: 1-line block ×4, first 2 shown]
	v_pk_max_f16 v110, v110, v110
	v_pk_min_f16 v116, v116, v132
	v_pk_max_f16 v112, v112, v112
	v_pk_max_f16 v111, v111, v111
	v_pk_add_f16 v132, v4, v34
	v_pk_min_f16 v113, v113, v114
	v_pk_min_f16 v32, v110, v32
	v_pk_add_f16 v110, v6, v34
	v_pk_max_f16 v107, v107, v107
	v_pk_add_f16 v114, v0, v34
	v_pk_add_f16 v34, v2, v34
	v_pk_max_f16 v105, v105, v105
	v_pk_min_f16 v112, v112, v124
	v_pk_min_f16 v111, v111, v131
	v_pk_max_f16 v106, v106, v106
	v_pk_add_f16 v124, v4, v28
	v_pk_max_f16 v104, v104, v104
	v_pk_add_f16 v131, v6, v28
	v_pk_min_f16 v107, v107, v110
	v_pk_min_f16 v34, v105, v34
	v_pk_add_f16 v105, v0, v28
	v_pk_max_f16 v100, v100, v100
	v_pk_add_f16 v28, v2, v28
	v_pk_max_f16 v99, v99, v99
	;; [unrolled: 2-line block ×3, first 2 shown]
	v_pk_min_f16 v106, v106, v114
	v_pk_min_f16 v104, v104, v124
	v_pk_add_f16 v114, v6, v30
	v_pk_add_f16 v124, v0, v30
	v_pk_min_f16 v100, v100, v105
	v_pk_min_f16 v28, v99, v28
	v_pk_min_f16 v97, v97, v110
	v_pk_add_f16 v30, v2, v30
	v_pk_max_f16 v93, v93, v93
	v_pk_add_f16 v99, v4, v24
	v_pk_max_f16 v90, v90, v90
	v_pk_add_f16 v105, v6, v24
	v_pk_add_f16 v110, v0, v24
	;; [unrolled: 1-line block ×3, first 2 shown]
	v_pk_max_f16 v87, v87, v87
	v_pk_max_f16 v89, v89, v89
	v_pk_min_f16 v30, v93, v30
	v_pk_min_f16 v90, v90, v99
	v_pk_max_f16 v86, v86, v86
	v_pk_min_f16 v24, v87, v24
	v_pk_add_f16 v87, v4, v26
	v_pk_add_f16 v93, v6, v26
	v_pk_max_f16 v84, v84, v84
	v_pk_add_f16 v99, v0, v26
	v_pk_max_f16 v85, v85, v85
	v_pk_add_f16 v26, v2, v26
	v_pk_max_f16 v83, v83, v83
	v_pk_min_f16 v89, v89, v105
	v_pk_add_f16 v105, v4, v20
	v_pk_min_f16 v86, v86, v87
	v_pk_min_f16 v84, v84, v93
	;; [unrolled: 1-line block ×4, first 2 shown]
	v_pk_add_f16 v83, v6, v20
	v_pk_add_f16 v87, v0, v20
	v_pk_max_f16 v80, v80, v80
	v_pk_add_f16 v20, v2, v20
	v_pk_max_f16 v79, v79, v79
	;; [unrolled: 2-line block ×4, first 2 shown]
	v_pk_max_f16 v82, v82, v82
	v_pk_max_f16 v81, v81, v81
	v_pk_min_f16 v80, v80, v87
	v_pk_min_f16 v20, v79, v20
	;; [unrolled: 1-line block ×4, first 2 shown]
	v_pk_add_f16 v77, v0, v22
	v_pk_add_f16 v22, v2, v22
	v_pk_max_f16 v75, v75, v75
	v_pk_add_f16 v87, v6, v16
	v_pk_max_f16 v73, v73, v73
	;; [unrolled: 2-line block ×3, first 2 shown]
	v_pk_max_f16 v94, v94, v94
	v_pk_min_f16 v82, v82, v105
	v_pk_min_f16 v81, v81, v83
	v_pk_add_f16 v83, v4, v16
	v_pk_min_f16 v105, v75, v22
	v_pk_min_f16 v87, v73, v87
	;; [unrolled: 1-line block ×3, first 2 shown]
	v_pk_add_f16 v16, v2, v16
	v_pk_max_f16 v22, v71, v71
	v_pk_add_f16 v71, v4, v18
	v_pk_add_f16 v72, v6, v18
	v_pk_add_f16 v73, v0, v18
	v_pk_max_f16 v68, v68, v68
	v_pk_add_f16 v18, v2, v18
	v_pk_max_f16 v67, v67, v67
	v_pk_max_f16 v103, v103, v103
	;; [unrolled: 1-line block ×3, first 2 shown]
	v_pk_min_f16 v94, v94, v124
	v_pk_max_f16 v69, v69, v69
	v_pk_min_f16 v16, v22, v16
	v_pk_min_f16 v124, v68, v73
	;; [unrolled: 1-line block ×3, first 2 shown]
	v_pk_add_f16 v22, v4, v12
	v_pk_max_f16 v66, v66, v66
	v_pk_add_f16 v67, v6, v12
	v_pk_add_f16 v68, v0, v12
	;; [unrolled: 1-line block ×3, first 2 shown]
	v_pk_max_f16 v63, v63, v63
	v_pk_min_f16 v103, v103, v131
	v_pk_min_f16 v96, v96, v114
	;; [unrolled: 1-line block ×3, first 2 shown]
	v_pk_add_f16 v69, v4, v14
	v_pk_max_f16 v62, v62, v62
	v_pk_min_f16 v131, v66, v22
	v_pk_min_f16 v134, v63, v12
	v_pk_add_f16 v12, v6, v14
	v_pk_max_f16 v22, v61, v61
	v_pk_min_f16 v135, v62, v69
	v_pk_add_f16 v62, v4, v8
	v_pk_add_f16 v63, v6, v8
	v_pk_max_f16 v115, v115, v115
	v_pk_min_f16 v136, v22, v12
	v_pk_add_f16 v12, v0, v8
	v_pk_add_f16 v8, v2, v8
	v_pk_max_f16 v22, v55, v55
	v_pk_max_f16 v76, v76, v76
	v_pk_add_f16 v61, v0, v14
	v_pk_add_f16 v14, v2, v14
	v_pk_max_f16 v59, v59, v59
	v_pk_add_f16 v6, v6, v10
	v_pk_max_f16 v53, v53, v53
	v_pk_min_f16 v142, v22, v8
	v_pk_add_f16 v8, v5, v37
	v_pk_min_f16 v115, v115, v133
	v_pk_max_f16 v88, v88, v88
	v_pk_max_f16 v74, v74, v74
	v_pk_min_f16 v99, v76, v77
	v_pk_max_f16 v70, v70, v70
	v_pk_min_f16 v138, v59, v14
	v_pk_max_f16 v14, v56, v56
	v_pk_add_f16 v4, v4, v10
	v_pk_add_f16 v0, v0, v10
	v_pk_min_f16 v143, v53, v6
	v_pk_add_f16 v2, v2, v10
	v_pk_max_f16 v6, v51, v51
	v_pk_add_f16 v10, v7, v37
	v_pk_min_f16 v76, v127, v8
	v_pk_add_f16 v8, v1, v39
	v_pk_max_f16 v109, v109, v109
	v_pk_min_f16 v88, v88, v110
	v_pk_min_f16 v83, v74, v83
	;; [unrolled: 1-line block ×3, first 2 shown]
	v_pk_max_f16 v65, v65, v65
	v_pk_min_f16 v141, v14, v12
	v_pk_add_f16 v12, v1, v37
	v_pk_min_f16 v144, v6, v2
	v_pk_min_f16 v74, v126, v10
	v_pk_add_f16 v2, v5, v39
	v_pk_add_f16 v6, v7, v39
	;; [unrolled: 1-line block ×3, first 2 shown]
	v_pk_min_f16 v71, v115, v8
	v_pk_add_f16 v8, v3, v33
	v_pk_min_f16 v109, v109, v132
	v_pk_max_f16 v64, v64, v64
	v_pk_min_f16 v132, v65, v67
	v_pk_max_f16 v58, v58, v58
	v_pk_max_f16 v57, v57, v57
	v_pk_min_f16 v73, v125, v12
	v_pk_add_f16 v12, v5, v33
	v_pk_min_f16 v77, v117, v2
	v_pk_min_f16 v75, v116, v6
	;; [unrolled: 1-line block ×3, first 2 shown]
	v_pk_add_f16 v2, v7, v33
	v_pk_add_f16 v6, v1, v33
	;; [unrolled: 1-line block ×3, first 2 shown]
	v_pk_min_f16 v67, v32, v8
	v_pk_add_f16 v8, v5, v29
	v_pk_min_f16 v133, v64, v68
	v_pk_max_f16 v60, v60, v60
	v_pk_min_f16 v139, v58, v62
	v_pk_min_f16 v140, v57, v63
	;; [unrolled: 1-line block ×3, first 2 shown]
	v_pk_add_f16 v12, v7, v35
	v_pk_min_f16 v70, v112, v2
	v_pk_min_f16 v68, v111, v6
	;; [unrolled: 1-line block ×3, first 2 shown]
	v_pk_add_f16 v2, v1, v35
	v_pk_add_f16 v6, v3, v35
	;; [unrolled: 1-line block ×3, first 2 shown]
	v_pk_min_f16 v62, v104, v8
	v_pk_add_f16 v8, v7, v31
	v_pk_min_f16 v137, v60, v61
	v_pk_max_f16 v52, v52, v52
	v_pk_min_f16 v58, v107, v12
	v_pk_add_f16 v12, v1, v29
	v_pk_min_f16 v66, v106, v2
	v_pk_min_f16 v64, v34, v6
	v_pk_min_f16 v60, v103, v10
	v_pk_add_f16 v2, v3, v29
	v_pk_add_f16 v6, v5, v31
	;; [unrolled: 1-line block ×3, first 2 shown]
	v_pk_min_f16 v57, v96, v8
	v_pk_add_f16 v8, v1, v25
	v_pk_max_f16 v54, v54, v54
	v_pk_min_f16 v0, v52, v0
	v_pk_add_f16 v14, v3, v37
	v_pk_min_f16 v53, v100, v12
	v_pk_add_f16 v12, v3, v31
	v_pk_min_f16 v61, v28, v2
	v_pk_min_f16 v59, v97, v6
	;; [unrolled: 1-line block ×3, first 2 shown]
	v_pk_add_f16 v2, v5, v25
	v_pk_add_f16 v6, v7, v25
	;; [unrolled: 1-line block ×3, first 2 shown]
	v_pk_min_f16 v52, v88, v8
	v_pk_add_f16 v8, v3, v27
	v_pk_min_f16 v4, v54, v4
	v_pk_min_f16 v72, v36, v14
	;; [unrolled: 1-line block ×3, first 2 shown]
	v_pk_add_f16 v12, v5, v27
	v_pk_min_f16 v56, v90, v2
	v_pk_min_f16 v54, v89, v6
	v_pk_min_f16 v39, v24, v10
	v_pk_add_f16 v2, v7, v27
	v_pk_add_f16 v6, v1, v27
	v_pk_add_f16 v10, v5, v21
	v_pk_min_f16 v36, v26, v8
	v_pk_add_f16 v8, v5, v23
	v_pk_min_f16 v32, v86, v12
	v_pk_add_f16 v12, v7, v21
	v_pk_min_f16 v51, v84, v2
	v_pk_min_f16 v38, v85, v6
	v_pk_min_f16 v34, v82, v10
	v_pk_add_f16 v2, v1, v21
	v_pk_add_f16 v6, v3, v21
	v_pk_add_f16 v10, v7, v23
	v_pk_min_f16 v31, v78, v8
	v_pk_add_f16 v8, v7, v17
	v_pk_min_f16 v27, v81, v12
	;; [unrolled: 10-line block ×4, first 2 shown]
	v_pk_add_f16 v12, v5, v13
	v_pk_min_f16 v25, v110, v2
	v_pk_min_f16 v23, v114, v6
	;; [unrolled: 1-line block ×3, first 2 shown]
	v_pk_add_f16 v2, v7, v13
	v_pk_add_f16 v6, v1, v13
	;; [unrolled: 1-line block ×4, first 2 shown]
	v_pk_min_f16 v16, v134, v8
	v_pk_add_f16 v8, v3, v15
	v_pk_add_f16 v78, v7, v9
	v_pk_min_f16 v20, v132, v2
	v_pk_min_f16 v18, v133, v6
	;; [unrolled: 1-line block ×4, first 2 shown]
	v_pk_add_f16 v2, v1, v15
	v_pk_add_f16 v10, v5, v9
	;; [unrolled: 1-line block ×3, first 2 shown]
	v_pk_min_f16 v13, v138, v8
	v_pk_min_f16 v8, v140, v78
	v_pk_add_f16 v9, v3, v9
	v_pk_add_f16 v5, v5, v11
	;; [unrolled: 1-line block ×5, first 2 shown]
	s_or_b32 s7, s6, s7
	v_pk_min_f16 v12, v131, v12
	v_pk_min_f16 v15, v137, v2
	;; [unrolled: 1-line block ×9, first 2 shown]
	v_cndmask_b32_e64 v0, 0, 0x7c00, s7
	s_or_b32 s7, vcc_lo, s7
	s_delay_alu instid0(SALU_CYCLE_1) | instskip(NEXT) | instid1(SALU_CYCLE_1)
	s_xor_b32 s7, s7, -1
	s_and_saveexec_b32 s8, s7
	s_cbranch_execz .LBB216_25
; %bb.41:                               ;   in Loop: Header=BB216_26 Depth=1
	v_add_co_u32 v78, s7, v130, v46
	s_delay_alu instid0(VALU_DEP_1)
	v_add_co_ci_u32_e64 v79, s7, v49, v47, s7
	flat_load_u16 v0, v[78:79]
	s_waitcnt vmcnt(0) lgkmcnt(0)
	v_mul_f16_e32 v0, v95, v0
	s_branch .LBB216_25
.LBB216_42:
	s_clause 0x2
	s_load_b32 s6, s[0:1], 0x58
	s_load_b32 s5, s[0:1], 0x70
	s_load_b64 s[18:19], s[0:1], 0x78
	v_add_nc_u32_e32 v4, 0x800, v102
	v_add_nc_u32_e32 v49, s14, v92
	ds_load_2addr_b64 v[8:11], v101 offset0:128 offset1:160
	ds_load_2addr_b64 v[0:3], v101 offset0:192 offset1:224
	v_add_nc_u32_e32 v40, s9, v91
	ds_load_2addr_b64 v[36:39], v4 offset0:128 offset1:136
	ds_load_2addr_b64 v[32:35], v4 offset0:144 offset1:152
	;; [unrolled: 1-line block ×8, first 2 shown]
	v_cmp_gt_i32_e64 s4, s17, v49
	v_cmp_gt_i32_e64 s0, s16, v40
	v_ashrrev_i32_e32 v41, 31, v40
	v_cndmask_b32_e64 v48, 0, 1, s2
	s_waitcnt lgkmcnt(0)
	v_mad_i64_i32 v[42:43], null, v49, s6, 0
	v_mad_i64_i32 v[44:45], null, v49, s5, 0
	s_lshl_b64 s[8:9], s[18:19], 1
	s_delay_alu instid0(SALU_CYCLE_1) | instskip(SKIP_1) | instid1(VALU_DEP_2)
	s_add_u32 s7, s12, s8
	s_addc_u32 s8, s13, s9
	v_lshlrev_b64 v[42:43], 1, v[42:43]
	s_and_b32 s1, s0, s4
	s_delay_alu instid0(VALU_DEP_2) | instskip(NEXT) | instid1(VALU_DEP_2)
	v_lshlrev_b64 v[44:45], 1, v[44:45]
	v_add_co_u32 v95, vcc_lo, s10, v42
	s_delay_alu instid0(VALU_DEP_3) | instskip(NEXT) | instid1(VALU_DEP_3)
	v_add_co_ci_u32_e32 v98, vcc_lo, s11, v43, vcc_lo
	v_add_co_u32 v91, vcc_lo, s7, v44
	s_delay_alu instid0(VALU_DEP_4) | instskip(SKIP_1) | instid1(SALU_CYCLE_1)
	v_add_co_ci_u32_e32 v92, vcc_lo, s8, v45, vcc_lo
	s_and_saveexec_b32 s3, s1
	s_xor_b32 s1, exec_lo, s3
	s_cbranch_execz .LBB216_47
; %bb.43:
	s_and_not1_b32 vcc_lo, exec_lo, s2
	s_cbranch_vccnz .LBB216_45
; %bb.44:
	v_lshlrev_b64 v[42:43], 1, v[40:41]
	s_delay_alu instid0(VALU_DEP_1) | instskip(NEXT) | instid1(VALU_DEP_2)
	v_add_co_u32 v42, vcc_lo, v95, v42
	v_add_co_ci_u32_e32 v43, vcc_lo, v98, v43, vcc_lo
	flat_load_u16 v42, v[42:43]
	s_waitcnt vmcnt(0) lgkmcnt(0)
	v_mul_f16_e32 v42, v50, v42
	s_branch .LBB216_46
.LBB216_45:
	v_mov_b32_e32 v42, 0
.LBB216_46:
	v_pk_add_f16 v43, v8, v36
	v_pk_max_f16 v44, v127, v127
	v_pk_add_f16 v45, v9, v37
	s_delay_alu instid0(VALU_DEP_2) | instskip(NEXT) | instid1(VALU_DEP_1)
	v_pk_min_f16 v43, v44, v43
	v_pk_min_f16 v45, v43, v45
	v_lshlrev_b64 v[43:44], 1, v[40:41]
	s_delay_alu instid0(VALU_DEP_2) | instskip(NEXT) | instid1(VALU_DEP_1)
	v_lshrrev_b32_e32 v46, 16, v45
	v_min3_f16 v45, v42, v45, v46
	s_delay_alu instid0(VALU_DEP_3) | instskip(NEXT) | instid1(VALU_DEP_4)
	v_add_co_u32 v42, vcc_lo, v91, v43
	v_add_co_ci_u32_e32 v43, vcc_lo, v92, v44, vcc_lo
	global_store_b16 v[42:43], v45, off
.LBB216_47:
	s_or_b32 exec_lo, exec_lo, s1
	v_add_nc_u32_e32 v42, 32, v40
	s_delay_alu instid0(VALU_DEP_1) | instskip(SKIP_1) | instid1(VALU_DEP_2)
	v_cmp_gt_i32_e64 s1, s16, v42
	v_ashrrev_i32_e32 v43, 31, v42
	s_and_b32 s3, s1, s4
	s_delay_alu instid0(SALU_CYCLE_1)
	s_and_saveexec_b32 s2, s3
	s_cbranch_execz .LBB216_52
; %bb.48:
	v_cmp_ne_u32_e32 vcc_lo, 1, v48
	s_cbranch_vccnz .LBB216_50
; %bb.49:
	v_lshlrev_b64 v[44:45], 1, v[42:43]
	s_delay_alu instid0(VALU_DEP_1) | instskip(NEXT) | instid1(VALU_DEP_2)
	v_add_co_u32 v44, vcc_lo, v95, v44
	v_add_co_ci_u32_e32 v45, vcc_lo, v98, v45, vcc_lo
	flat_load_u16 v44, v[44:45]
	s_waitcnt vmcnt(0) lgkmcnt(0)
	v_mul_f16_e32 v44, v50, v44
	s_branch .LBB216_51
.LBB216_50:
	v_mov_b32_e32 v44, 0
.LBB216_51:
	v_pk_add_f16 v45, v10, v36
	v_pk_max_f16 v46, v126, v126
	v_pk_add_f16 v47, v11, v37
	s_delay_alu instid0(VALU_DEP_2) | instskip(NEXT) | instid1(VALU_DEP_1)
	v_pk_min_f16 v45, v46, v45
	v_pk_min_f16 v47, v45, v47
	v_lshlrev_b64 v[45:46], 1, v[42:43]
	s_delay_alu instid0(VALU_DEP_2) | instskip(NEXT) | instid1(VALU_DEP_1)
	v_lshrrev_b32_e32 v101, 16, v47
	v_min3_f16 v47, v44, v47, v101
	s_delay_alu instid0(VALU_DEP_3) | instskip(NEXT) | instid1(VALU_DEP_4)
	v_add_co_u32 v44, vcc_lo, v91, v45
	v_add_co_ci_u32_e32 v45, vcc_lo, v92, v46, vcc_lo
	global_store_b16 v[44:45], v47, off
.LBB216_52:
	s_or_b32 exec_lo, exec_lo, s2
	v_add_nc_u32_e32 v44, 64, v40
	s_delay_alu instid0(VALU_DEP_1) | instskip(SKIP_1) | instid1(VALU_DEP_2)
	v_cmp_gt_i32_e64 s2, s16, v44
	v_ashrrev_i32_e32 v45, 31, v44
	s_and_b32 s9, s2, s4
	s_delay_alu instid0(SALU_CYCLE_1)
	s_and_saveexec_b32 s3, s9
	s_cbranch_execz .LBB216_57
; %bb.53:
	v_cmp_ne_u32_e32 vcc_lo, 1, v48
	s_cbranch_vccnz .LBB216_55
; %bb.54:
	v_lshlrev_b64 v[46:47], 1, v[44:45]
	s_delay_alu instid0(VALU_DEP_1) | instskip(NEXT) | instid1(VALU_DEP_2)
	v_add_co_u32 v46, vcc_lo, v95, v46
	v_add_co_ci_u32_e32 v47, vcc_lo, v98, v47, vcc_lo
	flat_load_u16 v46, v[46:47]
	s_waitcnt vmcnt(0) lgkmcnt(0)
	v_mul_f16_e32 v46, v50, v46
	s_branch .LBB216_56
.LBB216_55:
	v_mov_b32_e32 v46, 0
.LBB216_56:
	v_pk_add_f16 v47, v0, v36
	v_pk_max_f16 v101, v125, v125
	v_pk_add_f16 v102, v1, v37
	s_delay_alu instid0(VALU_DEP_2) | instskip(NEXT) | instid1(VALU_DEP_1)
	v_pk_min_f16 v47, v101, v47
	v_pk_min_f16 v47, v47, v102
	v_lshlrev_b64 v[101:102], 1, v[44:45]
	s_delay_alu instid0(VALU_DEP_2) | instskip(NEXT) | instid1(VALU_DEP_1)
	v_lshrrev_b32_e32 v108, 16, v47
	v_min3_f16 v108, v46, v47, v108
	s_delay_alu instid0(VALU_DEP_3) | instskip(NEXT) | instid1(VALU_DEP_4)
	v_add_co_u32 v46, vcc_lo, v91, v101
	v_add_co_ci_u32_e32 v47, vcc_lo, v92, v102, vcc_lo
	global_store_b16 v[46:47], v108, off
.LBB216_57:
	s_or_b32 exec_lo, exec_lo, s3
	v_add_nc_u32_e32 v46, 0x60, v40
	s_delay_alu instid0(VALU_DEP_1) | instskip(SKIP_1) | instid1(VALU_DEP_2)
	v_cmp_gt_i32_e64 s3, s16, v46
	v_ashrrev_i32_e32 v47, 31, v46
	s_and_b32 s9, s3, s4
	s_delay_alu instid0(SALU_CYCLE_1)
	s_and_saveexec_b32 s4, s9
	s_cbranch_execz .LBB216_62
; %bb.58:
	v_cmp_ne_u32_e32 vcc_lo, 1, v48
	s_cbranch_vccnz .LBB216_60
; %bb.59:
	v_lshlrev_b64 v[101:102], 1, v[46:47]
	s_delay_alu instid0(VALU_DEP_1) | instskip(NEXT) | instid1(VALU_DEP_2)
	v_add_co_u32 v101, vcc_lo, v95, v101
	v_add_co_ci_u32_e32 v102, vcc_lo, v98, v102, vcc_lo
	flat_load_u16 v95, v[101:102]
	s_waitcnt vmcnt(0) lgkmcnt(0)
	v_mul_f16_e32 v95, v50, v95
	s_branch .LBB216_61
.LBB216_60:
	v_mov_b32_e32 v95, 0
.LBB216_61:
	v_pk_add_f16 v36, v2, v36
	v_pk_max_f16 v98, v124, v124
	v_pk_add_f16 v37, v3, v37
	s_delay_alu instid0(VALU_DEP_2) | instskip(NEXT) | instid1(VALU_DEP_1)
	v_pk_min_f16 v36, v98, v36
	v_pk_min_f16 v98, v36, v37
	v_lshlrev_b64 v[36:37], 1, v[46:47]
	s_delay_alu instid0(VALU_DEP_2) | instskip(NEXT) | instid1(VALU_DEP_2)
	v_lshrrev_b32_e32 v101, 16, v98
	v_add_co_u32 v36, vcc_lo, v91, v36
	s_delay_alu instid0(VALU_DEP_3) | instskip(NEXT) | instid1(VALU_DEP_3)
	v_add_co_ci_u32_e32 v37, vcc_lo, v92, v37, vcc_lo
	v_min3_f16 v95, v95, v98, v101
	global_store_b16 v[36:37], v95, off
.LBB216_62:
	s_or_b32 exec_lo, exec_lo, s4
	v_add_nc_u32_e32 v95, 8, v49
	s_delay_alu instid0(VALU_DEP_1) | instskip(SKIP_2) | instid1(VALU_DEP_3)
	v_mad_i64_i32 v[36:37], null, v95, s6, 0
	v_mad_i64_i32 v[91:92], null, v95, s5, 0
	v_cmp_gt_i32_e64 s4, s17, v95
	v_lshlrev_b64 v[36:37], 1, v[36:37]
	s_delay_alu instid0(VALU_DEP_2) | instskip(NEXT) | instid1(VALU_DEP_3)
	s_and_b32 s12, s0, s4
	v_lshlrev_b64 v[101:102], 1, v[91:92]
	s_delay_alu instid0(VALU_DEP_2) | instskip(NEXT) | instid1(VALU_DEP_3)
	v_add_co_u32 v91, vcc_lo, s10, v36
	v_add_co_ci_u32_e32 v92, vcc_lo, s11, v37, vcc_lo
	s_delay_alu instid0(VALU_DEP_3) | instskip(NEXT) | instid1(VALU_DEP_4)
	v_add_co_u32 v36, vcc_lo, s7, v101
	v_add_co_ci_u32_e32 v37, vcc_lo, s8, v102, vcc_lo
	s_and_saveexec_b32 s9, s12
	s_cbranch_execnz .LBB216_66
; %bb.63:
	s_or_b32 exec_lo, exec_lo, s9
	s_and_b32 s12, s1, s4
	s_delay_alu instid0(SALU_CYCLE_1)
	s_and_saveexec_b32 s9, s12
	s_cbranch_execnz .LBB216_70
.LBB216_64:
	s_or_b32 exec_lo, exec_lo, s9
	s_and_b32 s12, s2, s4
	s_delay_alu instid0(SALU_CYCLE_1)
	s_and_saveexec_b32 s9, s12
	s_cbranch_execnz .LBB216_74
.LBB216_65:
	s_or_b32 exec_lo, exec_lo, s9
	s_and_b32 s9, s3, s4
	s_delay_alu instid0(SALU_CYCLE_1)
	s_and_saveexec_b32 s4, s9
	s_cbranch_execnz .LBB216_78
	s_branch .LBB216_82
.LBB216_66:
	v_cmp_ne_u32_e32 vcc_lo, 1, v48
	s_cbranch_vccnz .LBB216_68
; %bb.67:
	v_lshlrev_b64 v[101:102], 1, v[40:41]
	s_delay_alu instid0(VALU_DEP_1) | instskip(NEXT) | instid1(VALU_DEP_2)
	v_add_co_u32 v101, vcc_lo, v91, v101
	v_add_co_ci_u32_e32 v102, vcc_lo, v92, v102, vcc_lo
	flat_load_u16 v95, v[101:102]
	s_waitcnt vmcnt(0) lgkmcnt(0)
	v_mul_f16_e32 v95, v50, v95
	s_branch .LBB216_69
.LBB216_68:
	v_mov_b32_e32 v95, 0
.LBB216_69:
	v_pk_add_f16 v98, v8, v38
	v_pk_max_f16 v101, v117, v117
	v_pk_add_f16 v102, v9, v39
	s_delay_alu instid0(VALU_DEP_2) | instskip(NEXT) | instid1(VALU_DEP_1)
	v_pk_min_f16 v98, v101, v98
	v_pk_min_f16 v98, v98, v102
	v_lshlrev_b64 v[101:102], 1, v[40:41]
	s_delay_alu instid0(VALU_DEP_2) | instskip(NEXT) | instid1(VALU_DEP_2)
	v_lshrrev_b32_e32 v108, 16, v98
	v_add_co_u32 v101, vcc_lo, v36, v101
	s_delay_alu instid0(VALU_DEP_3) | instskip(NEXT) | instid1(VALU_DEP_3)
	v_add_co_ci_u32_e32 v102, vcc_lo, v37, v102, vcc_lo
	v_min3_f16 v95, v95, v98, v108
	global_store_b16 v[101:102], v95, off
	s_or_b32 exec_lo, exec_lo, s9
	s_and_b32 s12, s1, s4
	s_delay_alu instid0(SALU_CYCLE_1)
	s_and_saveexec_b32 s9, s12
	s_cbranch_execz .LBB216_64
.LBB216_70:
	v_cmp_ne_u32_e32 vcc_lo, 1, v48
	s_cbranch_vccnz .LBB216_72
; %bb.71:
	v_lshlrev_b64 v[101:102], 1, v[42:43]
	s_delay_alu instid0(VALU_DEP_1) | instskip(NEXT) | instid1(VALU_DEP_2)
	v_add_co_u32 v101, vcc_lo, v91, v101
	v_add_co_ci_u32_e32 v102, vcc_lo, v92, v102, vcc_lo
	flat_load_u16 v95, v[101:102]
	s_waitcnt vmcnt(0) lgkmcnt(0)
	v_mul_f16_e32 v95, v50, v95
	s_branch .LBB216_73
.LBB216_72:
	v_mov_b32_e32 v95, 0
.LBB216_73:
	v_pk_add_f16 v98, v10, v38
	v_pk_max_f16 v101, v116, v116
	v_pk_add_f16 v102, v11, v39
	s_delay_alu instid0(VALU_DEP_2) | instskip(NEXT) | instid1(VALU_DEP_1)
	v_pk_min_f16 v98, v101, v98
	v_pk_min_f16 v98, v98, v102
	v_lshlrev_b64 v[101:102], 1, v[42:43]
	s_delay_alu instid0(VALU_DEP_2) | instskip(NEXT) | instid1(VALU_DEP_2)
	v_lshrrev_b32_e32 v108, 16, v98
	v_add_co_u32 v101, vcc_lo, v36, v101
	s_delay_alu instid0(VALU_DEP_3) | instskip(NEXT) | instid1(VALU_DEP_3)
	v_add_co_ci_u32_e32 v102, vcc_lo, v37, v102, vcc_lo
	v_min3_f16 v95, v95, v98, v108
	global_store_b16 v[101:102], v95, off
	s_or_b32 exec_lo, exec_lo, s9
	s_and_b32 s12, s2, s4
	s_delay_alu instid0(SALU_CYCLE_1)
	s_and_saveexec_b32 s9, s12
	s_cbranch_execz .LBB216_65
.LBB216_74:
	v_cmp_ne_u32_e32 vcc_lo, 1, v48
	s_cbranch_vccnz .LBB216_76
; %bb.75:
	v_lshlrev_b64 v[101:102], 1, v[44:45]
	s_delay_alu instid0(VALU_DEP_1) | instskip(NEXT) | instid1(VALU_DEP_2)
	v_add_co_u32 v101, vcc_lo, v91, v101
	v_add_co_ci_u32_e32 v102, vcc_lo, v92, v102, vcc_lo
	flat_load_u16 v95, v[101:102]
	s_waitcnt vmcnt(0) lgkmcnt(0)
	v_mul_f16_e32 v95, v50, v95
	s_branch .LBB216_77
.LBB216_76:
	v_mov_b32_e32 v95, 0
.LBB216_77:
	v_pk_add_f16 v98, v0, v38
	v_pk_max_f16 v101, v115, v115
	v_pk_add_f16 v102, v1, v39
	s_delay_alu instid0(VALU_DEP_2) | instskip(NEXT) | instid1(VALU_DEP_1)
	v_pk_min_f16 v98, v101, v98
	v_pk_min_f16 v98, v98, v102
	v_lshlrev_b64 v[101:102], 1, v[44:45]
	s_delay_alu instid0(VALU_DEP_2) | instskip(NEXT) | instid1(VALU_DEP_2)
	v_lshrrev_b32_e32 v108, 16, v98
	v_add_co_u32 v101, vcc_lo, v36, v101
	s_delay_alu instid0(VALU_DEP_3) | instskip(NEXT) | instid1(VALU_DEP_3)
	v_add_co_ci_u32_e32 v102, vcc_lo, v37, v102, vcc_lo
	v_min3_f16 v95, v95, v98, v108
	global_store_b16 v[101:102], v95, off
	s_or_b32 exec_lo, exec_lo, s9
	s_and_b32 s9, s3, s4
	s_delay_alu instid0(SALU_CYCLE_1)
	s_and_saveexec_b32 s4, s9
	s_cbranch_execz .LBB216_82
.LBB216_78:
	v_cmp_ne_u32_e32 vcc_lo, 1, v48
	s_cbranch_vccnz .LBB216_80
; %bb.79:
	v_lshlrev_b64 v[101:102], 1, v[46:47]
	s_delay_alu instid0(VALU_DEP_1) | instskip(NEXT) | instid1(VALU_DEP_2)
	v_add_co_u32 v91, vcc_lo, v91, v101
	v_add_co_ci_u32_e32 v92, vcc_lo, v92, v102, vcc_lo
	flat_load_u16 v91, v[91:92]
	s_waitcnt vmcnt(0) lgkmcnt(0)
	v_mul_f16_e32 v91, v50, v91
	s_branch .LBB216_81
.LBB216_80:
	v_mov_b32_e32 v91, 0
.LBB216_81:
	v_pk_add_f16 v38, v2, v38
	v_pk_max_f16 v92, v114, v114
	v_pk_add_f16 v39, v3, v39
	s_delay_alu instid0(VALU_DEP_2) | instskip(NEXT) | instid1(VALU_DEP_1)
	v_pk_min_f16 v38, v92, v38
	v_pk_min_f16 v92, v38, v39
	v_lshlrev_b64 v[38:39], 1, v[46:47]
	s_delay_alu instid0(VALU_DEP_2) | instskip(NEXT) | instid1(VALU_DEP_2)
	v_lshrrev_b32_e32 v95, 16, v92
	v_add_co_u32 v36, vcc_lo, v36, v38
	s_delay_alu instid0(VALU_DEP_3) | instskip(NEXT) | instid1(VALU_DEP_3)
	v_add_co_ci_u32_e32 v37, vcc_lo, v37, v39, vcc_lo
	v_min3_f16 v91, v91, v92, v95
	global_store_b16 v[36:37], v91, off
.LBB216_82:
	s_or_b32 exec_lo, exec_lo, s4
	v_add_nc_u32_e32 v91, 16, v49
	s_delay_alu instid0(VALU_DEP_1) | instskip(SKIP_2) | instid1(VALU_DEP_3)
	v_mad_i64_i32 v[36:37], null, v91, s6, 0
	v_mad_i64_i32 v[38:39], null, v91, s5, 0
	v_cmp_gt_i32_e64 s4, s17, v91
	v_lshlrev_b64 v[36:37], 1, v[36:37]
	s_delay_alu instid0(VALU_DEP_2) | instskip(NEXT) | instid1(VALU_DEP_3)
	s_and_b32 s12, s0, s4
	v_lshlrev_b64 v[91:92], 1, v[38:39]
	s_delay_alu instid0(VALU_DEP_2) | instskip(NEXT) | instid1(VALU_DEP_3)
	v_add_co_u32 v38, vcc_lo, s10, v36
	v_add_co_ci_u32_e32 v39, vcc_lo, s11, v37, vcc_lo
	s_delay_alu instid0(VALU_DEP_3) | instskip(NEXT) | instid1(VALU_DEP_4)
	v_add_co_u32 v36, vcc_lo, s7, v91
	v_add_co_ci_u32_e32 v37, vcc_lo, s8, v92, vcc_lo
	s_and_saveexec_b32 s9, s12
	s_cbranch_execnz .LBB216_86
; %bb.83:
	s_or_b32 exec_lo, exec_lo, s9
	s_and_b32 s12, s1, s4
	s_delay_alu instid0(SALU_CYCLE_1)
	s_and_saveexec_b32 s9, s12
	s_cbranch_execnz .LBB216_90
.LBB216_84:
	s_or_b32 exec_lo, exec_lo, s9
	s_and_b32 s12, s2, s4
	s_delay_alu instid0(SALU_CYCLE_1)
	s_and_saveexec_b32 s9, s12
	s_cbranch_execnz .LBB216_94
.LBB216_85:
	s_or_b32 exec_lo, exec_lo, s9
	s_and_b32 s9, s3, s4
	s_delay_alu instid0(SALU_CYCLE_1)
	s_and_saveexec_b32 s4, s9
	s_cbranch_execnz .LBB216_98
	s_branch .LBB216_102
.LBB216_86:
	v_cmp_ne_u32_e32 vcc_lo, 1, v48
	s_cbranch_vccnz .LBB216_88
; %bb.87:
	v_lshlrev_b64 v[91:92], 1, v[40:41]
	s_delay_alu instid0(VALU_DEP_1) | instskip(NEXT) | instid1(VALU_DEP_2)
	v_add_co_u32 v91, vcc_lo, v38, v91
	v_add_co_ci_u32_e32 v92, vcc_lo, v39, v92, vcc_lo
	flat_load_u16 v91, v[91:92]
	s_waitcnt vmcnt(0) lgkmcnt(0)
	v_mul_f16_e32 v91, v50, v91
	s_branch .LBB216_89
.LBB216_88:
	v_mov_b32_e32 v91, 0
.LBB216_89:
	v_pk_add_f16 v92, v8, v32
	v_pk_max_f16 v95, v113, v113
	v_pk_add_f16 v98, v9, v33
	v_lshlrev_b64 v[101:102], 1, v[40:41]
	s_delay_alu instid0(VALU_DEP_3) | instskip(NEXT) | instid1(VALU_DEP_1)
	v_pk_min_f16 v92, v95, v92
	v_pk_min_f16 v92, v92, v98
	s_delay_alu instid0(VALU_DEP_1) | instskip(NEXT) | instid1(VALU_DEP_1)
	v_lshrrev_b32_e32 v95, 16, v92
	v_min3_f16 v95, v91, v92, v95
	v_add_co_u32 v91, vcc_lo, v36, v101
	v_add_co_ci_u32_e32 v92, vcc_lo, v37, v102, vcc_lo
	global_store_b16 v[91:92], v95, off
	s_or_b32 exec_lo, exec_lo, s9
	s_and_b32 s12, s1, s4
	s_delay_alu instid0(SALU_CYCLE_1)
	s_and_saveexec_b32 s9, s12
	s_cbranch_execz .LBB216_84
.LBB216_90:
	v_cmp_ne_u32_e32 vcc_lo, 1, v48
	s_cbranch_vccnz .LBB216_92
; %bb.91:
	v_lshlrev_b64 v[91:92], 1, v[42:43]
	s_delay_alu instid0(VALU_DEP_1) | instskip(NEXT) | instid1(VALU_DEP_2)
	v_add_co_u32 v91, vcc_lo, v38, v91
	v_add_co_ci_u32_e32 v92, vcc_lo, v39, v92, vcc_lo
	flat_load_u16 v91, v[91:92]
	s_waitcnt vmcnt(0) lgkmcnt(0)
	v_mul_f16_e32 v91, v50, v91
	s_branch .LBB216_93
.LBB216_92:
	v_mov_b32_e32 v91, 0
.LBB216_93:
	v_pk_add_f16 v92, v10, v32
	v_pk_max_f16 v95, v112, v112
	v_pk_add_f16 v98, v11, v33
	v_lshlrev_b64 v[101:102], 1, v[42:43]
	s_delay_alu instid0(VALU_DEP_3) | instskip(NEXT) | instid1(VALU_DEP_1)
	v_pk_min_f16 v92, v95, v92
	v_pk_min_f16 v92, v92, v98
	s_delay_alu instid0(VALU_DEP_1) | instskip(NEXT) | instid1(VALU_DEP_1)
	v_lshrrev_b32_e32 v95, 16, v92
	v_min3_f16 v95, v91, v92, v95
	v_add_co_u32 v91, vcc_lo, v36, v101
	v_add_co_ci_u32_e32 v92, vcc_lo, v37, v102, vcc_lo
	global_store_b16 v[91:92], v95, off
	s_or_b32 exec_lo, exec_lo, s9
	s_and_b32 s12, s2, s4
	s_delay_alu instid0(SALU_CYCLE_1)
	s_and_saveexec_b32 s9, s12
	s_cbranch_execz .LBB216_85
.LBB216_94:
	v_cmp_ne_u32_e32 vcc_lo, 1, v48
	s_cbranch_vccnz .LBB216_96
; %bb.95:
	v_lshlrev_b64 v[91:92], 1, v[44:45]
	s_delay_alu instid0(VALU_DEP_1) | instskip(NEXT) | instid1(VALU_DEP_2)
	v_add_co_u32 v91, vcc_lo, v38, v91
	v_add_co_ci_u32_e32 v92, vcc_lo, v39, v92, vcc_lo
	flat_load_u16 v91, v[91:92]
	s_waitcnt vmcnt(0) lgkmcnt(0)
	v_mul_f16_e32 v91, v50, v91
	s_branch .LBB216_97
.LBB216_96:
	v_mov_b32_e32 v91, 0
.LBB216_97:
	v_pk_add_f16 v92, v0, v32
	v_pk_max_f16 v95, v111, v111
	v_pk_add_f16 v98, v1, v33
	v_lshlrev_b64 v[101:102], 1, v[44:45]
	s_delay_alu instid0(VALU_DEP_3) | instskip(NEXT) | instid1(VALU_DEP_1)
	v_pk_min_f16 v92, v95, v92
	v_pk_min_f16 v92, v92, v98
	s_delay_alu instid0(VALU_DEP_1) | instskip(NEXT) | instid1(VALU_DEP_1)
	v_lshrrev_b32_e32 v95, 16, v92
	v_min3_f16 v95, v91, v92, v95
	v_add_co_u32 v91, vcc_lo, v36, v101
	v_add_co_ci_u32_e32 v92, vcc_lo, v37, v102, vcc_lo
	global_store_b16 v[91:92], v95, off
	s_or_b32 exec_lo, exec_lo, s9
	s_and_b32 s9, s3, s4
	s_delay_alu instid0(SALU_CYCLE_1)
	s_and_saveexec_b32 s4, s9
	s_cbranch_execz .LBB216_102
.LBB216_98:
	v_cmp_ne_u32_e32 vcc_lo, 1, v48
	s_cbranch_vccnz .LBB216_100
; %bb.99:
	v_lshlrev_b64 v[91:92], 1, v[46:47]
	s_delay_alu instid0(VALU_DEP_1) | instskip(NEXT) | instid1(VALU_DEP_2)
	v_add_co_u32 v38, vcc_lo, v38, v91
	v_add_co_ci_u32_e32 v39, vcc_lo, v39, v92, vcc_lo
	flat_load_u16 v38, v[38:39]
	s_waitcnt vmcnt(0) lgkmcnt(0)
	v_mul_f16_e32 v38, v50, v38
	s_branch .LBB216_101
.LBB216_100:
	v_mov_b32_e32 v38, 0
.LBB216_101:
	v_pk_add_f16 v32, v2, v32
	v_pk_max_f16 v39, v110, v110
	v_pk_add_f16 v33, v3, v33
	s_delay_alu instid0(VALU_DEP_2) | instskip(NEXT) | instid1(VALU_DEP_1)
	v_pk_min_f16 v32, v39, v32
	v_pk_min_f16 v39, v32, v33
	v_lshlrev_b64 v[32:33], 1, v[46:47]
	s_delay_alu instid0(VALU_DEP_2) | instskip(NEXT) | instid1(VALU_DEP_2)
	v_lshrrev_b32_e32 v91, 16, v39
	v_add_co_u32 v32, vcc_lo, v36, v32
	s_delay_alu instid0(VALU_DEP_3) | instskip(NEXT) | instid1(VALU_DEP_3)
	v_add_co_ci_u32_e32 v33, vcc_lo, v37, v33, vcc_lo
	v_min3_f16 v38, v38, v39, v91
	global_store_b16 v[32:33], v38, off
.LBB216_102:
	s_or_b32 exec_lo, exec_lo, s4
	v_add_nc_u32_e32 v38, 24, v49
	s_delay_alu instid0(VALU_DEP_1) | instskip(SKIP_2) | instid1(VALU_DEP_3)
	v_mad_i64_i32 v[32:33], null, v38, s6, 0
	v_mad_i64_i32 v[36:37], null, v38, s5, 0
	v_cmp_gt_i32_e64 s4, s17, v38
	v_lshlrev_b64 v[32:33], 1, v[32:33]
	s_delay_alu instid0(VALU_DEP_2) | instskip(NEXT) | instid1(VALU_DEP_3)
	s_and_b32 s12, s0, s4
	v_lshlrev_b64 v[38:39], 1, v[36:37]
	s_delay_alu instid0(VALU_DEP_2) | instskip(NEXT) | instid1(VALU_DEP_3)
	v_add_co_u32 v36, vcc_lo, s10, v32
	v_add_co_ci_u32_e32 v37, vcc_lo, s11, v33, vcc_lo
	s_delay_alu instid0(VALU_DEP_3) | instskip(NEXT) | instid1(VALU_DEP_4)
	v_add_co_u32 v32, vcc_lo, s7, v38
	v_add_co_ci_u32_e32 v33, vcc_lo, s8, v39, vcc_lo
	s_and_saveexec_b32 s9, s12
	s_cbranch_execnz .LBB216_106
; %bb.103:
	s_or_b32 exec_lo, exec_lo, s9
	s_and_b32 s12, s1, s4
	s_delay_alu instid0(SALU_CYCLE_1)
	s_and_saveexec_b32 s9, s12
	s_cbranch_execnz .LBB216_110
.LBB216_104:
	s_or_b32 exec_lo, exec_lo, s9
	s_and_b32 s12, s2, s4
	s_delay_alu instid0(SALU_CYCLE_1)
	s_and_saveexec_b32 s9, s12
	s_cbranch_execnz .LBB216_114
.LBB216_105:
	s_or_b32 exec_lo, exec_lo, s9
	s_and_b32 s9, s3, s4
	s_delay_alu instid0(SALU_CYCLE_1)
	s_and_saveexec_b32 s4, s9
	s_cbranch_execnz .LBB216_118
	s_branch .LBB216_122
.LBB216_106:
	v_cmp_ne_u32_e32 vcc_lo, 1, v48
	s_cbranch_vccnz .LBB216_108
; %bb.107:
	v_lshlrev_b64 v[38:39], 1, v[40:41]
	s_delay_alu instid0(VALU_DEP_1) | instskip(NEXT) | instid1(VALU_DEP_2)
	v_add_co_u32 v38, vcc_lo, v36, v38
	v_add_co_ci_u32_e32 v39, vcc_lo, v37, v39, vcc_lo
	flat_load_u16 v38, v[38:39]
	s_waitcnt vmcnt(0) lgkmcnt(0)
	v_mul_f16_e32 v38, v50, v38
	s_branch .LBB216_109
.LBB216_108:
	v_mov_b32_e32 v38, 0
.LBB216_109:
	v_pk_add_f16 v39, v8, v34
	v_pk_max_f16 v91, v109, v109
	v_pk_add_f16 v92, v9, v35
	s_delay_alu instid0(VALU_DEP_2) | instskip(NEXT) | instid1(VALU_DEP_1)
	v_pk_min_f16 v39, v91, v39
	v_pk_min_f16 v39, v39, v92
	v_lshlrev_b64 v[91:92], 1, v[40:41]
	s_delay_alu instid0(VALU_DEP_2) | instskip(NEXT) | instid1(VALU_DEP_1)
	v_lshrrev_b32_e32 v95, 16, v39
	v_min3_f16 v95, v38, v39, v95
	s_delay_alu instid0(VALU_DEP_3) | instskip(NEXT) | instid1(VALU_DEP_4)
	v_add_co_u32 v38, vcc_lo, v32, v91
	v_add_co_ci_u32_e32 v39, vcc_lo, v33, v92, vcc_lo
	global_store_b16 v[38:39], v95, off
	s_or_b32 exec_lo, exec_lo, s9
	s_and_b32 s12, s1, s4
	s_delay_alu instid0(SALU_CYCLE_1)
	s_and_saveexec_b32 s9, s12
	s_cbranch_execz .LBB216_104
.LBB216_110:
	v_cmp_ne_u32_e32 vcc_lo, 1, v48
	s_cbranch_vccnz .LBB216_112
; %bb.111:
	v_lshlrev_b64 v[38:39], 1, v[42:43]
	s_delay_alu instid0(VALU_DEP_1) | instskip(NEXT) | instid1(VALU_DEP_2)
	v_add_co_u32 v38, vcc_lo, v36, v38
	v_add_co_ci_u32_e32 v39, vcc_lo, v37, v39, vcc_lo
	flat_load_u16 v38, v[38:39]
	s_waitcnt vmcnt(0) lgkmcnt(0)
	v_mul_f16_e32 v38, v50, v38
	s_branch .LBB216_113
.LBB216_112:
	v_mov_b32_e32 v38, 0
.LBB216_113:
	v_pk_add_f16 v39, v10, v34
	v_pk_max_f16 v91, v107, v107
	v_pk_add_f16 v92, v11, v35
	s_delay_alu instid0(VALU_DEP_2) | instskip(NEXT) | instid1(VALU_DEP_1)
	v_pk_min_f16 v39, v91, v39
	v_pk_min_f16 v39, v39, v92
	v_lshlrev_b64 v[91:92], 1, v[42:43]
	s_delay_alu instid0(VALU_DEP_2) | instskip(NEXT) | instid1(VALU_DEP_1)
	v_lshrrev_b32_e32 v95, 16, v39
	v_min3_f16 v95, v38, v39, v95
	s_delay_alu instid0(VALU_DEP_3) | instskip(NEXT) | instid1(VALU_DEP_4)
	v_add_co_u32 v38, vcc_lo, v32, v91
	v_add_co_ci_u32_e32 v39, vcc_lo, v33, v92, vcc_lo
	global_store_b16 v[38:39], v95, off
	s_or_b32 exec_lo, exec_lo, s9
	s_and_b32 s12, s2, s4
	s_delay_alu instid0(SALU_CYCLE_1)
	s_and_saveexec_b32 s9, s12
	s_cbranch_execz .LBB216_105
.LBB216_114:
	v_cmp_ne_u32_e32 vcc_lo, 1, v48
	s_cbranch_vccnz .LBB216_116
; %bb.115:
	v_lshlrev_b64 v[38:39], 1, v[44:45]
	s_delay_alu instid0(VALU_DEP_1) | instskip(NEXT) | instid1(VALU_DEP_2)
	v_add_co_u32 v38, vcc_lo, v36, v38
	v_add_co_ci_u32_e32 v39, vcc_lo, v37, v39, vcc_lo
	flat_load_u16 v38, v[38:39]
	s_waitcnt vmcnt(0) lgkmcnt(0)
	v_mul_f16_e32 v38, v50, v38
	s_branch .LBB216_117
.LBB216_116:
	v_mov_b32_e32 v38, 0
.LBB216_117:
	v_pk_add_f16 v39, v0, v34
	v_pk_max_f16 v91, v106, v106
	v_pk_add_f16 v92, v1, v35
	s_delay_alu instid0(VALU_DEP_2) | instskip(NEXT) | instid1(VALU_DEP_1)
	v_pk_min_f16 v39, v91, v39
	v_pk_min_f16 v39, v39, v92
	v_lshlrev_b64 v[91:92], 1, v[44:45]
	s_delay_alu instid0(VALU_DEP_2) | instskip(NEXT) | instid1(VALU_DEP_1)
	v_lshrrev_b32_e32 v95, 16, v39
	v_min3_f16 v95, v38, v39, v95
	s_delay_alu instid0(VALU_DEP_3) | instskip(NEXT) | instid1(VALU_DEP_4)
	v_add_co_u32 v38, vcc_lo, v32, v91
	v_add_co_ci_u32_e32 v39, vcc_lo, v33, v92, vcc_lo
	global_store_b16 v[38:39], v95, off
	s_or_b32 exec_lo, exec_lo, s9
	s_and_b32 s9, s3, s4
	s_delay_alu instid0(SALU_CYCLE_1)
	s_and_saveexec_b32 s4, s9
	s_cbranch_execz .LBB216_122
.LBB216_118:
	v_cmp_ne_u32_e32 vcc_lo, 1, v48
	s_cbranch_vccnz .LBB216_120
; %bb.119:
	v_lshlrev_b64 v[38:39], 1, v[46:47]
	s_delay_alu instid0(VALU_DEP_1) | instskip(NEXT) | instid1(VALU_DEP_2)
	v_add_co_u32 v36, vcc_lo, v36, v38
	v_add_co_ci_u32_e32 v37, vcc_lo, v37, v39, vcc_lo
	flat_load_u16 v36, v[36:37]
	s_waitcnt vmcnt(0) lgkmcnt(0)
	v_mul_f16_e32 v36, v50, v36
	s_branch .LBB216_121
.LBB216_120:
	v_mov_b32_e32 v36, 0
.LBB216_121:
	v_pk_add_f16 v34, v2, v34
	v_pk_max_f16 v37, v105, v105
	v_pk_add_f16 v35, v3, v35
	s_delay_alu instid0(VALU_DEP_2) | instskip(NEXT) | instid1(VALU_DEP_1)
	v_pk_min_f16 v34, v37, v34
	v_pk_min_f16 v37, v34, v35
	v_lshlrev_b64 v[34:35], 1, v[46:47]
	s_delay_alu instid0(VALU_DEP_2) | instskip(NEXT) | instid1(VALU_DEP_2)
	v_lshrrev_b32_e32 v38, 16, v37
	v_add_co_u32 v32, vcc_lo, v32, v34
	s_delay_alu instid0(VALU_DEP_3) | instskip(NEXT) | instid1(VALU_DEP_3)
	v_add_co_ci_u32_e32 v33, vcc_lo, v33, v35, vcc_lo
	v_min3_f16 v36, v36, v37, v38
	global_store_b16 v[32:33], v36, off
.LBB216_122:
	s_or_b32 exec_lo, exec_lo, s4
	v_add_nc_u32_e32 v36, 32, v49
	s_delay_alu instid0(VALU_DEP_1) | instskip(SKIP_2) | instid1(VALU_DEP_3)
	v_mad_i64_i32 v[32:33], null, v36, s6, 0
	v_mad_i64_i32 v[34:35], null, v36, s5, 0
	v_cmp_gt_i32_e64 s4, s17, v36
	v_lshlrev_b64 v[32:33], 1, v[32:33]
	s_delay_alu instid0(VALU_DEP_2) | instskip(NEXT) | instid1(VALU_DEP_3)
	s_and_b32 s12, s0, s4
	v_lshlrev_b64 v[36:37], 1, v[34:35]
	s_delay_alu instid0(VALU_DEP_2) | instskip(NEXT) | instid1(VALU_DEP_3)
	v_add_co_u32 v34, vcc_lo, s10, v32
	v_add_co_ci_u32_e32 v35, vcc_lo, s11, v33, vcc_lo
	s_delay_alu instid0(VALU_DEP_3) | instskip(NEXT) | instid1(VALU_DEP_4)
	v_add_co_u32 v32, vcc_lo, s7, v36
	v_add_co_ci_u32_e32 v33, vcc_lo, s8, v37, vcc_lo
	s_and_saveexec_b32 s9, s12
	s_cbranch_execnz .LBB216_126
; %bb.123:
	s_or_b32 exec_lo, exec_lo, s9
	s_and_b32 s12, s1, s4
	s_delay_alu instid0(SALU_CYCLE_1)
	s_and_saveexec_b32 s9, s12
	s_cbranch_execnz .LBB216_130
.LBB216_124:
	s_or_b32 exec_lo, exec_lo, s9
	s_and_b32 s12, s2, s4
	s_delay_alu instid0(SALU_CYCLE_1)
	s_and_saveexec_b32 s9, s12
	s_cbranch_execnz .LBB216_134
.LBB216_125:
	s_or_b32 exec_lo, exec_lo, s9
	s_and_b32 s9, s3, s4
	s_delay_alu instid0(SALU_CYCLE_1)
	s_and_saveexec_b32 s4, s9
	s_cbranch_execnz .LBB216_138
	s_branch .LBB216_142
.LBB216_126:
	v_cmp_ne_u32_e32 vcc_lo, 1, v48
	s_cbranch_vccnz .LBB216_128
; %bb.127:
	v_lshlrev_b64 v[36:37], 1, v[40:41]
	s_delay_alu instid0(VALU_DEP_1) | instskip(NEXT) | instid1(VALU_DEP_2)
	v_add_co_u32 v36, vcc_lo, v34, v36
	v_add_co_ci_u32_e32 v37, vcc_lo, v35, v37, vcc_lo
	flat_load_u16 v36, v[36:37]
	s_waitcnt vmcnt(0) lgkmcnt(0)
	v_mul_f16_e32 v36, v50, v36
	s_branch .LBB216_129
.LBB216_128:
	v_mov_b32_e32 v36, 0
.LBB216_129:
	v_pk_add_f16 v37, v8, v28
	v_pk_max_f16 v38, v104, v104
	v_pk_add_f16 v39, v9, v29
	s_delay_alu instid0(VALU_DEP_2) | instskip(NEXT) | instid1(VALU_DEP_1)
	v_pk_min_f16 v37, v38, v37
	v_pk_min_f16 v39, v37, v39
	v_lshlrev_b64 v[37:38], 1, v[40:41]
	s_delay_alu instid0(VALU_DEP_2) | instskip(NEXT) | instid1(VALU_DEP_1)
	v_lshrrev_b32_e32 v91, 16, v39
	v_min3_f16 v39, v36, v39, v91
	s_delay_alu instid0(VALU_DEP_3) | instskip(NEXT) | instid1(VALU_DEP_4)
	v_add_co_u32 v36, vcc_lo, v32, v37
	v_add_co_ci_u32_e32 v37, vcc_lo, v33, v38, vcc_lo
	global_store_b16 v[36:37], v39, off
	s_or_b32 exec_lo, exec_lo, s9
	s_and_b32 s12, s1, s4
	s_delay_alu instid0(SALU_CYCLE_1)
	s_and_saveexec_b32 s9, s12
	s_cbranch_execz .LBB216_124
.LBB216_130:
	v_cmp_ne_u32_e32 vcc_lo, 1, v48
	s_cbranch_vccnz .LBB216_132
; %bb.131:
	v_lshlrev_b64 v[36:37], 1, v[42:43]
	s_delay_alu instid0(VALU_DEP_1) | instskip(NEXT) | instid1(VALU_DEP_2)
	v_add_co_u32 v36, vcc_lo, v34, v36
	v_add_co_ci_u32_e32 v37, vcc_lo, v35, v37, vcc_lo
	flat_load_u16 v36, v[36:37]
	s_waitcnt vmcnt(0) lgkmcnt(0)
	v_mul_f16_e32 v36, v50, v36
	s_branch .LBB216_133
.LBB216_132:
	v_mov_b32_e32 v36, 0
.LBB216_133:
	v_pk_add_f16 v37, v10, v28
	v_pk_max_f16 v38, v103, v103
	v_pk_add_f16 v39, v11, v29
	s_delay_alu instid0(VALU_DEP_2) | instskip(NEXT) | instid1(VALU_DEP_1)
	v_pk_min_f16 v37, v38, v37
	v_pk_min_f16 v39, v37, v39
	v_lshlrev_b64 v[37:38], 1, v[42:43]
	s_delay_alu instid0(VALU_DEP_2) | instskip(NEXT) | instid1(VALU_DEP_1)
	v_lshrrev_b32_e32 v91, 16, v39
	v_min3_f16 v39, v36, v39, v91
	s_delay_alu instid0(VALU_DEP_3) | instskip(NEXT) | instid1(VALU_DEP_4)
	v_add_co_u32 v36, vcc_lo, v32, v37
	v_add_co_ci_u32_e32 v37, vcc_lo, v33, v38, vcc_lo
	global_store_b16 v[36:37], v39, off
	s_or_b32 exec_lo, exec_lo, s9
	s_and_b32 s12, s2, s4
	s_delay_alu instid0(SALU_CYCLE_1)
	s_and_saveexec_b32 s9, s12
	s_cbranch_execz .LBB216_125
.LBB216_134:
	v_cmp_ne_u32_e32 vcc_lo, 1, v48
	s_cbranch_vccnz .LBB216_136
; %bb.135:
	v_lshlrev_b64 v[36:37], 1, v[44:45]
	s_delay_alu instid0(VALU_DEP_1) | instskip(NEXT) | instid1(VALU_DEP_2)
	v_add_co_u32 v36, vcc_lo, v34, v36
	v_add_co_ci_u32_e32 v37, vcc_lo, v35, v37, vcc_lo
	flat_load_u16 v36, v[36:37]
	s_waitcnt vmcnt(0) lgkmcnt(0)
	v_mul_f16_e32 v36, v50, v36
	s_branch .LBB216_137
.LBB216_136:
	v_mov_b32_e32 v36, 0
.LBB216_137:
	v_pk_add_f16 v37, v0, v28
	v_pk_max_f16 v38, v100, v100
	v_pk_add_f16 v39, v1, v29
	s_delay_alu instid0(VALU_DEP_2) | instskip(NEXT) | instid1(VALU_DEP_1)
	v_pk_min_f16 v37, v38, v37
	v_pk_min_f16 v39, v37, v39
	v_lshlrev_b64 v[37:38], 1, v[44:45]
	s_delay_alu instid0(VALU_DEP_2) | instskip(NEXT) | instid1(VALU_DEP_1)
	v_lshrrev_b32_e32 v91, 16, v39
	v_min3_f16 v39, v36, v39, v91
	s_delay_alu instid0(VALU_DEP_3) | instskip(NEXT) | instid1(VALU_DEP_4)
	v_add_co_u32 v36, vcc_lo, v32, v37
	v_add_co_ci_u32_e32 v37, vcc_lo, v33, v38, vcc_lo
	global_store_b16 v[36:37], v39, off
	s_or_b32 exec_lo, exec_lo, s9
	s_and_b32 s9, s3, s4
	s_delay_alu instid0(SALU_CYCLE_1)
	s_and_saveexec_b32 s4, s9
	s_cbranch_execz .LBB216_142
.LBB216_138:
	v_cmp_ne_u32_e32 vcc_lo, 1, v48
	s_cbranch_vccnz .LBB216_140
; %bb.139:
	v_lshlrev_b64 v[36:37], 1, v[46:47]
	s_delay_alu instid0(VALU_DEP_1) | instskip(NEXT) | instid1(VALU_DEP_2)
	v_add_co_u32 v34, vcc_lo, v34, v36
	v_add_co_ci_u32_e32 v35, vcc_lo, v35, v37, vcc_lo
	flat_load_u16 v34, v[34:35]
	s_waitcnt vmcnt(0) lgkmcnt(0)
	v_mul_f16_e32 v34, v50, v34
	s_branch .LBB216_141
.LBB216_140:
	v_mov_b32_e32 v34, 0
.LBB216_141:
	v_pk_add_f16 v28, v2, v28
	v_pk_max_f16 v35, v99, v99
	v_pk_add_f16 v29, v3, v29
	s_delay_alu instid0(VALU_DEP_2) | instskip(NEXT) | instid1(VALU_DEP_1)
	v_pk_min_f16 v28, v35, v28
	v_pk_min_f16 v35, v28, v29
	v_lshlrev_b64 v[28:29], 1, v[46:47]
	s_delay_alu instid0(VALU_DEP_2) | instskip(NEXT) | instid1(VALU_DEP_2)
	v_lshrrev_b32_e32 v36, 16, v35
	v_add_co_u32 v28, vcc_lo, v32, v28
	s_delay_alu instid0(VALU_DEP_3) | instskip(NEXT) | instid1(VALU_DEP_3)
	v_add_co_ci_u32_e32 v29, vcc_lo, v33, v29, vcc_lo
	v_min3_f16 v34, v34, v35, v36
	global_store_b16 v[28:29], v34, off
.LBB216_142:
	s_or_b32 exec_lo, exec_lo, s4
	v_add_nc_u32_e32 v34, 40, v49
	s_delay_alu instid0(VALU_DEP_1) | instskip(SKIP_2) | instid1(VALU_DEP_3)
	v_mad_i64_i32 v[28:29], null, v34, s6, 0
	v_mad_i64_i32 v[32:33], null, v34, s5, 0
	v_cmp_gt_i32_e64 s4, s17, v34
	v_lshlrev_b64 v[28:29], 1, v[28:29]
	s_delay_alu instid0(VALU_DEP_2) | instskip(NEXT) | instid1(VALU_DEP_3)
	s_and_b32 s12, s0, s4
	v_lshlrev_b64 v[34:35], 1, v[32:33]
	s_delay_alu instid0(VALU_DEP_2) | instskip(NEXT) | instid1(VALU_DEP_3)
	v_add_co_u32 v32, vcc_lo, s10, v28
	v_add_co_ci_u32_e32 v33, vcc_lo, s11, v29, vcc_lo
	s_delay_alu instid0(VALU_DEP_3) | instskip(NEXT) | instid1(VALU_DEP_4)
	v_add_co_u32 v28, vcc_lo, s7, v34
	v_add_co_ci_u32_e32 v29, vcc_lo, s8, v35, vcc_lo
	s_and_saveexec_b32 s9, s12
	s_cbranch_execnz .LBB216_146
; %bb.143:
	s_or_b32 exec_lo, exec_lo, s9
	s_and_b32 s12, s1, s4
	s_delay_alu instid0(SALU_CYCLE_1)
	s_and_saveexec_b32 s9, s12
	s_cbranch_execnz .LBB216_150
.LBB216_144:
	s_or_b32 exec_lo, exec_lo, s9
	s_and_b32 s12, s2, s4
	s_delay_alu instid0(SALU_CYCLE_1)
	s_and_saveexec_b32 s9, s12
	s_cbranch_execnz .LBB216_154
.LBB216_145:
	s_or_b32 exec_lo, exec_lo, s9
	s_and_b32 s9, s3, s4
	s_delay_alu instid0(SALU_CYCLE_1)
	s_and_saveexec_b32 s4, s9
	s_cbranch_execnz .LBB216_158
	s_branch .LBB216_162
.LBB216_146:
	v_cmp_ne_u32_e32 vcc_lo, 1, v48
	s_cbranch_vccnz .LBB216_148
; %bb.147:
	v_lshlrev_b64 v[34:35], 1, v[40:41]
	s_delay_alu instid0(VALU_DEP_1) | instskip(NEXT) | instid1(VALU_DEP_2)
	v_add_co_u32 v34, vcc_lo, v32, v34
	v_add_co_ci_u32_e32 v35, vcc_lo, v33, v35, vcc_lo
	flat_load_u16 v34, v[34:35]
	s_waitcnt vmcnt(0) lgkmcnt(0)
	v_mul_f16_e32 v34, v50, v34
	s_branch .LBB216_149
.LBB216_148:
	v_mov_b32_e32 v34, 0
.LBB216_149:
	v_pk_add_f16 v35, v8, v30
	v_pk_max_f16 v36, v97, v97
	v_pk_add_f16 v37, v9, v31
	s_delay_alu instid0(VALU_DEP_2) | instskip(NEXT) | instid1(VALU_DEP_1)
	v_pk_min_f16 v35, v36, v35
	v_pk_min_f16 v37, v35, v37
	v_lshlrev_b64 v[35:36], 1, v[40:41]
	s_delay_alu instid0(VALU_DEP_2) | instskip(NEXT) | instid1(VALU_DEP_1)
	v_lshrrev_b32_e32 v38, 16, v37
	v_min3_f16 v37, v34, v37, v38
	s_delay_alu instid0(VALU_DEP_3) | instskip(NEXT) | instid1(VALU_DEP_4)
	v_add_co_u32 v34, vcc_lo, v28, v35
	v_add_co_ci_u32_e32 v35, vcc_lo, v29, v36, vcc_lo
	global_store_b16 v[34:35], v37, off
	s_or_b32 exec_lo, exec_lo, s9
	s_and_b32 s12, s1, s4
	s_delay_alu instid0(SALU_CYCLE_1)
	s_and_saveexec_b32 s9, s12
	s_cbranch_execz .LBB216_144
.LBB216_150:
	v_cmp_ne_u32_e32 vcc_lo, 1, v48
	s_cbranch_vccnz .LBB216_152
; %bb.151:
	v_lshlrev_b64 v[34:35], 1, v[42:43]
	s_delay_alu instid0(VALU_DEP_1) | instskip(NEXT) | instid1(VALU_DEP_2)
	v_add_co_u32 v34, vcc_lo, v32, v34
	v_add_co_ci_u32_e32 v35, vcc_lo, v33, v35, vcc_lo
	flat_load_u16 v34, v[34:35]
	s_waitcnt vmcnt(0) lgkmcnt(0)
	v_mul_f16_e32 v34, v50, v34
	s_branch .LBB216_153
.LBB216_152:
	v_mov_b32_e32 v34, 0
.LBB216_153:
	v_pk_add_f16 v35, v10, v30
	v_pk_max_f16 v36, v96, v96
	v_pk_add_f16 v37, v11, v31
	s_delay_alu instid0(VALU_DEP_2) | instskip(NEXT) | instid1(VALU_DEP_1)
	v_pk_min_f16 v35, v36, v35
	v_pk_min_f16 v37, v35, v37
	v_lshlrev_b64 v[35:36], 1, v[42:43]
	s_delay_alu instid0(VALU_DEP_2) | instskip(NEXT) | instid1(VALU_DEP_1)
	v_lshrrev_b32_e32 v38, 16, v37
	v_min3_f16 v37, v34, v37, v38
	s_delay_alu instid0(VALU_DEP_3) | instskip(NEXT) | instid1(VALU_DEP_4)
	v_add_co_u32 v34, vcc_lo, v28, v35
	v_add_co_ci_u32_e32 v35, vcc_lo, v29, v36, vcc_lo
	global_store_b16 v[34:35], v37, off
	s_or_b32 exec_lo, exec_lo, s9
	s_and_b32 s12, s2, s4
	s_delay_alu instid0(SALU_CYCLE_1)
	s_and_saveexec_b32 s9, s12
	s_cbranch_execz .LBB216_145
.LBB216_154:
	v_cmp_ne_u32_e32 vcc_lo, 1, v48
	s_cbranch_vccnz .LBB216_156
; %bb.155:
	v_lshlrev_b64 v[34:35], 1, v[44:45]
	s_delay_alu instid0(VALU_DEP_1) | instskip(NEXT) | instid1(VALU_DEP_2)
	v_add_co_u32 v34, vcc_lo, v32, v34
	v_add_co_ci_u32_e32 v35, vcc_lo, v33, v35, vcc_lo
	flat_load_u16 v34, v[34:35]
	s_waitcnt vmcnt(0) lgkmcnt(0)
	v_mul_f16_e32 v34, v50, v34
	s_branch .LBB216_157
.LBB216_156:
	v_mov_b32_e32 v34, 0
.LBB216_157:
	v_pk_add_f16 v35, v0, v30
	v_pk_max_f16 v36, v94, v94
	v_pk_add_f16 v37, v1, v31
	s_delay_alu instid0(VALU_DEP_2) | instskip(NEXT) | instid1(VALU_DEP_1)
	v_pk_min_f16 v35, v36, v35
	v_pk_min_f16 v37, v35, v37
	v_lshlrev_b64 v[35:36], 1, v[44:45]
	s_delay_alu instid0(VALU_DEP_2) | instskip(NEXT) | instid1(VALU_DEP_1)
	v_lshrrev_b32_e32 v38, 16, v37
	v_min3_f16 v37, v34, v37, v38
	s_delay_alu instid0(VALU_DEP_3) | instskip(NEXT) | instid1(VALU_DEP_4)
	v_add_co_u32 v34, vcc_lo, v28, v35
	v_add_co_ci_u32_e32 v35, vcc_lo, v29, v36, vcc_lo
	global_store_b16 v[34:35], v37, off
	s_or_b32 exec_lo, exec_lo, s9
	s_and_b32 s9, s3, s4
	s_delay_alu instid0(SALU_CYCLE_1)
	s_and_saveexec_b32 s4, s9
	s_cbranch_execz .LBB216_162
.LBB216_158:
	v_cmp_ne_u32_e32 vcc_lo, 1, v48
	s_cbranch_vccnz .LBB216_160
; %bb.159:
	v_lshlrev_b64 v[34:35], 1, v[46:47]
	s_delay_alu instid0(VALU_DEP_1) | instskip(NEXT) | instid1(VALU_DEP_2)
	v_add_co_u32 v32, vcc_lo, v32, v34
	v_add_co_ci_u32_e32 v33, vcc_lo, v33, v35, vcc_lo
	flat_load_u16 v32, v[32:33]
	s_waitcnt vmcnt(0) lgkmcnt(0)
	v_mul_f16_e32 v32, v50, v32
	s_branch .LBB216_161
.LBB216_160:
	v_mov_b32_e32 v32, 0
.LBB216_161:
	v_pk_add_f16 v30, v2, v30
	v_pk_max_f16 v33, v93, v93
	v_pk_add_f16 v31, v3, v31
	s_delay_alu instid0(VALU_DEP_2) | instskip(NEXT) | instid1(VALU_DEP_1)
	v_pk_min_f16 v30, v33, v30
	v_pk_min_f16 v33, v30, v31
	v_lshlrev_b64 v[30:31], 1, v[46:47]
	s_delay_alu instid0(VALU_DEP_2) | instskip(NEXT) | instid1(VALU_DEP_2)
	v_lshrrev_b32_e32 v34, 16, v33
	v_add_co_u32 v28, vcc_lo, v28, v30
	s_delay_alu instid0(VALU_DEP_3) | instskip(NEXT) | instid1(VALU_DEP_3)
	v_add_co_ci_u32_e32 v29, vcc_lo, v29, v31, vcc_lo
	v_min3_f16 v32, v32, v33, v34
	global_store_b16 v[28:29], v32, off
.LBB216_162:
	s_or_b32 exec_lo, exec_lo, s4
	v_add_nc_u32_e32 v32, 48, v49
	s_delay_alu instid0(VALU_DEP_1) | instskip(SKIP_2) | instid1(VALU_DEP_3)
	v_mad_i64_i32 v[28:29], null, v32, s6, 0
	v_mad_i64_i32 v[30:31], null, v32, s5, 0
	v_cmp_gt_i32_e64 s4, s17, v32
	v_lshlrev_b64 v[28:29], 1, v[28:29]
	s_delay_alu instid0(VALU_DEP_2) | instskip(NEXT) | instid1(VALU_DEP_3)
	s_and_b32 s12, s0, s4
	v_lshlrev_b64 v[32:33], 1, v[30:31]
	s_delay_alu instid0(VALU_DEP_2) | instskip(NEXT) | instid1(VALU_DEP_3)
	v_add_co_u32 v30, vcc_lo, s10, v28
	v_add_co_ci_u32_e32 v31, vcc_lo, s11, v29, vcc_lo
	s_delay_alu instid0(VALU_DEP_3) | instskip(NEXT) | instid1(VALU_DEP_4)
	v_add_co_u32 v28, vcc_lo, s7, v32
	v_add_co_ci_u32_e32 v29, vcc_lo, s8, v33, vcc_lo
	s_and_saveexec_b32 s9, s12
	s_cbranch_execnz .LBB216_166
; %bb.163:
	s_or_b32 exec_lo, exec_lo, s9
	s_and_b32 s12, s1, s4
	s_delay_alu instid0(SALU_CYCLE_1)
	s_and_saveexec_b32 s9, s12
	s_cbranch_execnz .LBB216_170
.LBB216_164:
	s_or_b32 exec_lo, exec_lo, s9
	s_and_b32 s12, s2, s4
	s_delay_alu instid0(SALU_CYCLE_1)
	s_and_saveexec_b32 s9, s12
	s_cbranch_execnz .LBB216_174
.LBB216_165:
	s_or_b32 exec_lo, exec_lo, s9
	s_and_b32 s9, s3, s4
	s_delay_alu instid0(SALU_CYCLE_1)
	s_and_saveexec_b32 s4, s9
	s_cbranch_execnz .LBB216_178
	s_branch .LBB216_182
.LBB216_166:
	v_cmp_ne_u32_e32 vcc_lo, 1, v48
	s_cbranch_vccnz .LBB216_168
; %bb.167:
	v_lshlrev_b64 v[32:33], 1, v[40:41]
	s_delay_alu instid0(VALU_DEP_1) | instskip(NEXT) | instid1(VALU_DEP_2)
	v_add_co_u32 v32, vcc_lo, v30, v32
	v_add_co_ci_u32_e32 v33, vcc_lo, v31, v33, vcc_lo
	flat_load_u16 v32, v[32:33]
	s_waitcnt vmcnt(0) lgkmcnt(0)
	v_mul_f16_e32 v32, v50, v32
	s_branch .LBB216_169
.LBB216_168:
	v_mov_b32_e32 v32, 0
.LBB216_169:
	v_pk_add_f16 v33, v8, v24
	v_pk_max_f16 v34, v90, v90
	v_pk_add_f16 v35, v9, v25
	s_delay_alu instid0(VALU_DEP_2) | instskip(NEXT) | instid1(VALU_DEP_1)
	v_pk_min_f16 v33, v34, v33
	v_pk_min_f16 v35, v33, v35
	v_lshlrev_b64 v[33:34], 1, v[40:41]
	s_delay_alu instid0(VALU_DEP_2) | instskip(NEXT) | instid1(VALU_DEP_1)
	v_lshrrev_b32_e32 v36, 16, v35
	v_min3_f16 v35, v32, v35, v36
	s_delay_alu instid0(VALU_DEP_3) | instskip(NEXT) | instid1(VALU_DEP_4)
	v_add_co_u32 v32, vcc_lo, v28, v33
	v_add_co_ci_u32_e32 v33, vcc_lo, v29, v34, vcc_lo
	global_store_b16 v[32:33], v35, off
	s_or_b32 exec_lo, exec_lo, s9
	s_and_b32 s12, s1, s4
	s_delay_alu instid0(SALU_CYCLE_1)
	s_and_saveexec_b32 s9, s12
	s_cbranch_execz .LBB216_164
.LBB216_170:
	v_cmp_ne_u32_e32 vcc_lo, 1, v48
	s_cbranch_vccnz .LBB216_172
; %bb.171:
	v_lshlrev_b64 v[32:33], 1, v[42:43]
	s_delay_alu instid0(VALU_DEP_1) | instskip(NEXT) | instid1(VALU_DEP_2)
	v_add_co_u32 v32, vcc_lo, v30, v32
	v_add_co_ci_u32_e32 v33, vcc_lo, v31, v33, vcc_lo
	flat_load_u16 v32, v[32:33]
	s_waitcnt vmcnt(0) lgkmcnt(0)
	v_mul_f16_e32 v32, v50, v32
	s_branch .LBB216_173
.LBB216_172:
	v_mov_b32_e32 v32, 0
.LBB216_173:
	v_pk_add_f16 v33, v10, v24
	v_pk_max_f16 v34, v89, v89
	v_pk_add_f16 v35, v11, v25
	s_delay_alu instid0(VALU_DEP_2) | instskip(NEXT) | instid1(VALU_DEP_1)
	v_pk_min_f16 v33, v34, v33
	v_pk_min_f16 v35, v33, v35
	v_lshlrev_b64 v[33:34], 1, v[42:43]
	s_delay_alu instid0(VALU_DEP_2) | instskip(NEXT) | instid1(VALU_DEP_1)
	v_lshrrev_b32_e32 v36, 16, v35
	v_min3_f16 v35, v32, v35, v36
	s_delay_alu instid0(VALU_DEP_3) | instskip(NEXT) | instid1(VALU_DEP_4)
	v_add_co_u32 v32, vcc_lo, v28, v33
	v_add_co_ci_u32_e32 v33, vcc_lo, v29, v34, vcc_lo
	global_store_b16 v[32:33], v35, off
	s_or_b32 exec_lo, exec_lo, s9
	s_and_b32 s12, s2, s4
	s_delay_alu instid0(SALU_CYCLE_1)
	s_and_saveexec_b32 s9, s12
	s_cbranch_execz .LBB216_165
.LBB216_174:
	v_cmp_ne_u32_e32 vcc_lo, 1, v48
	s_cbranch_vccnz .LBB216_176
; %bb.175:
	v_lshlrev_b64 v[32:33], 1, v[44:45]
	s_delay_alu instid0(VALU_DEP_1) | instskip(NEXT) | instid1(VALU_DEP_2)
	v_add_co_u32 v32, vcc_lo, v30, v32
	v_add_co_ci_u32_e32 v33, vcc_lo, v31, v33, vcc_lo
	flat_load_u16 v32, v[32:33]
	s_waitcnt vmcnt(0) lgkmcnt(0)
	v_mul_f16_e32 v32, v50, v32
	s_branch .LBB216_177
.LBB216_176:
	v_mov_b32_e32 v32, 0
.LBB216_177:
	v_pk_add_f16 v33, v0, v24
	v_pk_max_f16 v34, v88, v88
	v_pk_add_f16 v35, v1, v25
	s_delay_alu instid0(VALU_DEP_2) | instskip(NEXT) | instid1(VALU_DEP_1)
	v_pk_min_f16 v33, v34, v33
	v_pk_min_f16 v35, v33, v35
	v_lshlrev_b64 v[33:34], 1, v[44:45]
	s_delay_alu instid0(VALU_DEP_2) | instskip(NEXT) | instid1(VALU_DEP_1)
	v_lshrrev_b32_e32 v36, 16, v35
	v_min3_f16 v35, v32, v35, v36
	s_delay_alu instid0(VALU_DEP_3) | instskip(NEXT) | instid1(VALU_DEP_4)
	v_add_co_u32 v32, vcc_lo, v28, v33
	v_add_co_ci_u32_e32 v33, vcc_lo, v29, v34, vcc_lo
	global_store_b16 v[32:33], v35, off
	s_or_b32 exec_lo, exec_lo, s9
	s_and_b32 s9, s3, s4
	s_delay_alu instid0(SALU_CYCLE_1)
	s_and_saveexec_b32 s4, s9
	s_cbranch_execz .LBB216_182
.LBB216_178:
	v_cmp_ne_u32_e32 vcc_lo, 1, v48
	s_cbranch_vccnz .LBB216_180
; %bb.179:
	v_lshlrev_b64 v[32:33], 1, v[46:47]
	s_delay_alu instid0(VALU_DEP_1) | instskip(NEXT) | instid1(VALU_DEP_2)
	v_add_co_u32 v30, vcc_lo, v30, v32
	v_add_co_ci_u32_e32 v31, vcc_lo, v31, v33, vcc_lo
	flat_load_u16 v30, v[30:31]
	s_waitcnt vmcnt(0) lgkmcnt(0)
	v_mul_f16_e32 v30, v50, v30
	s_branch .LBB216_181
.LBB216_180:
	v_mov_b32_e32 v30, 0
.LBB216_181:
	v_pk_add_f16 v24, v2, v24
	v_pk_max_f16 v31, v87, v87
	v_pk_add_f16 v25, v3, v25
	s_delay_alu instid0(VALU_DEP_2) | instskip(NEXT) | instid1(VALU_DEP_1)
	v_pk_min_f16 v24, v31, v24
	v_pk_min_f16 v31, v24, v25
	v_lshlrev_b64 v[24:25], 1, v[46:47]
	s_delay_alu instid0(VALU_DEP_2) | instskip(NEXT) | instid1(VALU_DEP_2)
	v_lshrrev_b32_e32 v32, 16, v31
	v_add_co_u32 v24, vcc_lo, v28, v24
	s_delay_alu instid0(VALU_DEP_3) | instskip(NEXT) | instid1(VALU_DEP_3)
	v_add_co_ci_u32_e32 v25, vcc_lo, v29, v25, vcc_lo
	v_min3_f16 v30, v30, v31, v32
	global_store_b16 v[24:25], v30, off
.LBB216_182:
	s_or_b32 exec_lo, exec_lo, s4
	v_add_nc_u32_e32 v30, 56, v49
	s_delay_alu instid0(VALU_DEP_1) | instskip(SKIP_2) | instid1(VALU_DEP_3)
	v_mad_i64_i32 v[24:25], null, v30, s6, 0
	v_mad_i64_i32 v[28:29], null, v30, s5, 0
	v_cmp_gt_i32_e64 s4, s17, v30
	v_lshlrev_b64 v[24:25], 1, v[24:25]
	s_delay_alu instid0(VALU_DEP_2) | instskip(NEXT) | instid1(VALU_DEP_3)
	s_and_b32 s12, s0, s4
	v_lshlrev_b64 v[30:31], 1, v[28:29]
	s_delay_alu instid0(VALU_DEP_2) | instskip(NEXT) | instid1(VALU_DEP_3)
	v_add_co_u32 v28, vcc_lo, s10, v24
	v_add_co_ci_u32_e32 v29, vcc_lo, s11, v25, vcc_lo
	s_delay_alu instid0(VALU_DEP_3) | instskip(NEXT) | instid1(VALU_DEP_4)
	v_add_co_u32 v24, vcc_lo, s7, v30
	v_add_co_ci_u32_e32 v25, vcc_lo, s8, v31, vcc_lo
	s_and_saveexec_b32 s9, s12
	s_cbranch_execnz .LBB216_186
; %bb.183:
	s_or_b32 exec_lo, exec_lo, s9
	s_and_b32 s12, s1, s4
	s_delay_alu instid0(SALU_CYCLE_1)
	s_and_saveexec_b32 s9, s12
	s_cbranch_execnz .LBB216_190
.LBB216_184:
	s_or_b32 exec_lo, exec_lo, s9
	s_and_b32 s12, s2, s4
	s_delay_alu instid0(SALU_CYCLE_1)
	s_and_saveexec_b32 s9, s12
	s_cbranch_execnz .LBB216_194
.LBB216_185:
	s_or_b32 exec_lo, exec_lo, s9
	s_and_b32 s9, s3, s4
	s_delay_alu instid0(SALU_CYCLE_1)
	s_and_saveexec_b32 s4, s9
	s_cbranch_execnz .LBB216_198
	s_branch .LBB216_202
.LBB216_186:
	v_cmp_ne_u32_e32 vcc_lo, 1, v48
	s_cbranch_vccnz .LBB216_188
; %bb.187:
	v_lshlrev_b64 v[30:31], 1, v[40:41]
	s_delay_alu instid0(VALU_DEP_1) | instskip(NEXT) | instid1(VALU_DEP_2)
	v_add_co_u32 v30, vcc_lo, v28, v30
	v_add_co_ci_u32_e32 v31, vcc_lo, v29, v31, vcc_lo
	flat_load_u16 v30, v[30:31]
	s_waitcnt vmcnt(0) lgkmcnt(0)
	v_mul_f16_e32 v30, v50, v30
	s_branch .LBB216_189
.LBB216_188:
	v_mov_b32_e32 v30, 0
.LBB216_189:
	v_pk_add_f16 v31, v8, v26
	v_pk_max_f16 v32, v86, v86
	v_pk_add_f16 v33, v9, v27
	s_delay_alu instid0(VALU_DEP_2) | instskip(NEXT) | instid1(VALU_DEP_1)
	v_pk_min_f16 v31, v32, v31
	v_pk_min_f16 v33, v31, v33
	v_lshlrev_b64 v[31:32], 1, v[40:41]
	s_delay_alu instid0(VALU_DEP_2) | instskip(NEXT) | instid1(VALU_DEP_1)
	v_lshrrev_b32_e32 v34, 16, v33
	v_min3_f16 v33, v30, v33, v34
	s_delay_alu instid0(VALU_DEP_3) | instskip(NEXT) | instid1(VALU_DEP_4)
	v_add_co_u32 v30, vcc_lo, v24, v31
	v_add_co_ci_u32_e32 v31, vcc_lo, v25, v32, vcc_lo
	global_store_b16 v[30:31], v33, off
	s_or_b32 exec_lo, exec_lo, s9
	s_and_b32 s12, s1, s4
	s_delay_alu instid0(SALU_CYCLE_1)
	s_and_saveexec_b32 s9, s12
	s_cbranch_execz .LBB216_184
.LBB216_190:
	v_cmp_ne_u32_e32 vcc_lo, 1, v48
	s_cbranch_vccnz .LBB216_192
; %bb.191:
	v_lshlrev_b64 v[30:31], 1, v[42:43]
	s_delay_alu instid0(VALU_DEP_1) | instskip(NEXT) | instid1(VALU_DEP_2)
	v_add_co_u32 v30, vcc_lo, v28, v30
	v_add_co_ci_u32_e32 v31, vcc_lo, v29, v31, vcc_lo
	flat_load_u16 v30, v[30:31]
	s_waitcnt vmcnt(0) lgkmcnt(0)
	v_mul_f16_e32 v30, v50, v30
	s_branch .LBB216_193
.LBB216_192:
	v_mov_b32_e32 v30, 0
.LBB216_193:
	v_pk_add_f16 v31, v10, v26
	v_pk_max_f16 v32, v84, v84
	v_pk_add_f16 v33, v11, v27
	s_delay_alu instid0(VALU_DEP_2) | instskip(NEXT) | instid1(VALU_DEP_1)
	v_pk_min_f16 v31, v32, v31
	v_pk_min_f16 v33, v31, v33
	v_lshlrev_b64 v[31:32], 1, v[42:43]
	s_delay_alu instid0(VALU_DEP_2) | instskip(NEXT) | instid1(VALU_DEP_1)
	v_lshrrev_b32_e32 v34, 16, v33
	v_min3_f16 v33, v30, v33, v34
	s_delay_alu instid0(VALU_DEP_3) | instskip(NEXT) | instid1(VALU_DEP_4)
	v_add_co_u32 v30, vcc_lo, v24, v31
	v_add_co_ci_u32_e32 v31, vcc_lo, v25, v32, vcc_lo
	global_store_b16 v[30:31], v33, off
	s_or_b32 exec_lo, exec_lo, s9
	s_and_b32 s12, s2, s4
	s_delay_alu instid0(SALU_CYCLE_1)
	s_and_saveexec_b32 s9, s12
	s_cbranch_execz .LBB216_185
.LBB216_194:
	v_cmp_ne_u32_e32 vcc_lo, 1, v48
	s_cbranch_vccnz .LBB216_196
; %bb.195:
	v_lshlrev_b64 v[30:31], 1, v[44:45]
	s_delay_alu instid0(VALU_DEP_1) | instskip(NEXT) | instid1(VALU_DEP_2)
	v_add_co_u32 v30, vcc_lo, v28, v30
	v_add_co_ci_u32_e32 v31, vcc_lo, v29, v31, vcc_lo
	flat_load_u16 v30, v[30:31]
	s_waitcnt vmcnt(0) lgkmcnt(0)
	v_mul_f16_e32 v30, v50, v30
	s_branch .LBB216_197
.LBB216_196:
	v_mov_b32_e32 v30, 0
.LBB216_197:
	v_pk_add_f16 v31, v0, v26
	v_pk_max_f16 v32, v85, v85
	v_pk_add_f16 v33, v1, v27
	s_delay_alu instid0(VALU_DEP_2) | instskip(NEXT) | instid1(VALU_DEP_1)
	v_pk_min_f16 v31, v32, v31
	v_pk_min_f16 v33, v31, v33
	v_lshlrev_b64 v[31:32], 1, v[44:45]
	s_delay_alu instid0(VALU_DEP_2) | instskip(NEXT) | instid1(VALU_DEP_1)
	v_lshrrev_b32_e32 v34, 16, v33
	v_min3_f16 v33, v30, v33, v34
	s_delay_alu instid0(VALU_DEP_3) | instskip(NEXT) | instid1(VALU_DEP_4)
	v_add_co_u32 v30, vcc_lo, v24, v31
	v_add_co_ci_u32_e32 v31, vcc_lo, v25, v32, vcc_lo
	global_store_b16 v[30:31], v33, off
	s_or_b32 exec_lo, exec_lo, s9
	s_and_b32 s9, s3, s4
	s_delay_alu instid0(SALU_CYCLE_1)
	s_and_saveexec_b32 s4, s9
	s_cbranch_execz .LBB216_202
.LBB216_198:
	v_cmp_ne_u32_e32 vcc_lo, 1, v48
	s_cbranch_vccnz .LBB216_200
; %bb.199:
	v_lshlrev_b64 v[30:31], 1, v[46:47]
	s_delay_alu instid0(VALU_DEP_1) | instskip(NEXT) | instid1(VALU_DEP_2)
	v_add_co_u32 v28, vcc_lo, v28, v30
	v_add_co_ci_u32_e32 v29, vcc_lo, v29, v31, vcc_lo
	flat_load_u16 v28, v[28:29]
	s_waitcnt vmcnt(0) lgkmcnt(0)
	v_mul_f16_e32 v28, v50, v28
	s_branch .LBB216_201
.LBB216_200:
	v_mov_b32_e32 v28, 0
.LBB216_201:
	v_pk_add_f16 v26, v2, v26
	v_pk_max_f16 v29, v83, v83
	v_pk_add_f16 v27, v3, v27
	s_delay_alu instid0(VALU_DEP_2) | instskip(NEXT) | instid1(VALU_DEP_1)
	v_pk_min_f16 v26, v29, v26
	v_pk_min_f16 v29, v26, v27
	v_lshlrev_b64 v[26:27], 1, v[46:47]
	s_delay_alu instid0(VALU_DEP_2) | instskip(NEXT) | instid1(VALU_DEP_2)
	v_lshrrev_b32_e32 v30, 16, v29
	v_add_co_u32 v24, vcc_lo, v24, v26
	s_delay_alu instid0(VALU_DEP_3) | instskip(NEXT) | instid1(VALU_DEP_3)
	v_add_co_ci_u32_e32 v25, vcc_lo, v25, v27, vcc_lo
	v_min3_f16 v28, v28, v29, v30
	global_store_b16 v[24:25], v28, off
.LBB216_202:
	s_or_b32 exec_lo, exec_lo, s4
	v_add_nc_u32_e32 v28, 64, v49
	s_delay_alu instid0(VALU_DEP_1) | instskip(SKIP_2) | instid1(VALU_DEP_3)
	v_mad_i64_i32 v[24:25], null, v28, s6, 0
	v_mad_i64_i32 v[26:27], null, v28, s5, 0
	v_cmp_gt_i32_e64 s4, s17, v28
	v_lshlrev_b64 v[24:25], 1, v[24:25]
	s_delay_alu instid0(VALU_DEP_2) | instskip(NEXT) | instid1(VALU_DEP_3)
	s_and_b32 s12, s0, s4
	v_lshlrev_b64 v[28:29], 1, v[26:27]
	s_delay_alu instid0(VALU_DEP_2) | instskip(NEXT) | instid1(VALU_DEP_3)
	v_add_co_u32 v26, vcc_lo, s10, v24
	v_add_co_ci_u32_e32 v27, vcc_lo, s11, v25, vcc_lo
	s_delay_alu instid0(VALU_DEP_3) | instskip(NEXT) | instid1(VALU_DEP_4)
	v_add_co_u32 v24, vcc_lo, s7, v28
	v_add_co_ci_u32_e32 v25, vcc_lo, s8, v29, vcc_lo
	s_and_saveexec_b32 s9, s12
	s_cbranch_execnz .LBB216_206
; %bb.203:
	s_or_b32 exec_lo, exec_lo, s9
	s_and_b32 s12, s1, s4
	s_delay_alu instid0(SALU_CYCLE_1)
	s_and_saveexec_b32 s9, s12
	s_cbranch_execnz .LBB216_210
.LBB216_204:
	s_or_b32 exec_lo, exec_lo, s9
	s_and_b32 s12, s2, s4
	s_delay_alu instid0(SALU_CYCLE_1)
	s_and_saveexec_b32 s9, s12
	s_cbranch_execnz .LBB216_214
.LBB216_205:
	s_or_b32 exec_lo, exec_lo, s9
	s_and_b32 s9, s3, s4
	s_delay_alu instid0(SALU_CYCLE_1)
	s_and_saveexec_b32 s4, s9
	s_cbranch_execnz .LBB216_218
	s_branch .LBB216_222
.LBB216_206:
	v_cmp_ne_u32_e32 vcc_lo, 1, v48
	s_cbranch_vccnz .LBB216_208
; %bb.207:
	v_lshlrev_b64 v[28:29], 1, v[40:41]
	s_delay_alu instid0(VALU_DEP_1) | instskip(NEXT) | instid1(VALU_DEP_2)
	v_add_co_u32 v28, vcc_lo, v26, v28
	v_add_co_ci_u32_e32 v29, vcc_lo, v27, v29, vcc_lo
	flat_load_u16 v28, v[28:29]
	s_waitcnt vmcnt(0) lgkmcnt(0)
	v_mul_f16_e32 v28, v50, v28
	s_branch .LBB216_209
.LBB216_208:
	v_mov_b32_e32 v28, 0
.LBB216_209:
	v_pk_add_f16 v29, v8, v20
	v_pk_max_f16 v30, v82, v82
	v_pk_add_f16 v31, v9, v21
	s_delay_alu instid0(VALU_DEP_2) | instskip(NEXT) | instid1(VALU_DEP_1)
	v_pk_min_f16 v29, v30, v29
	v_pk_min_f16 v31, v29, v31
	v_lshlrev_b64 v[29:30], 1, v[40:41]
	s_delay_alu instid0(VALU_DEP_2) | instskip(NEXT) | instid1(VALU_DEP_1)
	v_lshrrev_b32_e32 v32, 16, v31
	v_min3_f16 v31, v28, v31, v32
	s_delay_alu instid0(VALU_DEP_3) | instskip(NEXT) | instid1(VALU_DEP_4)
	v_add_co_u32 v28, vcc_lo, v24, v29
	v_add_co_ci_u32_e32 v29, vcc_lo, v25, v30, vcc_lo
	global_store_b16 v[28:29], v31, off
	s_or_b32 exec_lo, exec_lo, s9
	s_and_b32 s12, s1, s4
	s_delay_alu instid0(SALU_CYCLE_1)
	s_and_saveexec_b32 s9, s12
	s_cbranch_execz .LBB216_204
.LBB216_210:
	v_cmp_ne_u32_e32 vcc_lo, 1, v48
	s_cbranch_vccnz .LBB216_212
; %bb.211:
	v_lshlrev_b64 v[28:29], 1, v[42:43]
	s_delay_alu instid0(VALU_DEP_1) | instskip(NEXT) | instid1(VALU_DEP_2)
	v_add_co_u32 v28, vcc_lo, v26, v28
	v_add_co_ci_u32_e32 v29, vcc_lo, v27, v29, vcc_lo
	flat_load_u16 v28, v[28:29]
	s_waitcnt vmcnt(0) lgkmcnt(0)
	v_mul_f16_e32 v28, v50, v28
	s_branch .LBB216_213
.LBB216_212:
	v_mov_b32_e32 v28, 0
.LBB216_213:
	v_pk_add_f16 v29, v10, v20
	v_pk_max_f16 v30, v81, v81
	v_pk_add_f16 v31, v11, v21
	s_delay_alu instid0(VALU_DEP_2) | instskip(NEXT) | instid1(VALU_DEP_1)
	v_pk_min_f16 v29, v30, v29
	v_pk_min_f16 v31, v29, v31
	v_lshlrev_b64 v[29:30], 1, v[42:43]
	s_delay_alu instid0(VALU_DEP_2) | instskip(NEXT) | instid1(VALU_DEP_1)
	v_lshrrev_b32_e32 v32, 16, v31
	v_min3_f16 v31, v28, v31, v32
	s_delay_alu instid0(VALU_DEP_3) | instskip(NEXT) | instid1(VALU_DEP_4)
	v_add_co_u32 v28, vcc_lo, v24, v29
	v_add_co_ci_u32_e32 v29, vcc_lo, v25, v30, vcc_lo
	global_store_b16 v[28:29], v31, off
	s_or_b32 exec_lo, exec_lo, s9
	s_and_b32 s12, s2, s4
	s_delay_alu instid0(SALU_CYCLE_1)
	s_and_saveexec_b32 s9, s12
	s_cbranch_execz .LBB216_205
.LBB216_214:
	v_cmp_ne_u32_e32 vcc_lo, 1, v48
	s_cbranch_vccnz .LBB216_216
; %bb.215:
	v_lshlrev_b64 v[28:29], 1, v[44:45]
	s_delay_alu instid0(VALU_DEP_1) | instskip(NEXT) | instid1(VALU_DEP_2)
	v_add_co_u32 v28, vcc_lo, v26, v28
	v_add_co_ci_u32_e32 v29, vcc_lo, v27, v29, vcc_lo
	flat_load_u16 v28, v[28:29]
	s_waitcnt vmcnt(0) lgkmcnt(0)
	v_mul_f16_e32 v28, v50, v28
	s_branch .LBB216_217
.LBB216_216:
	v_mov_b32_e32 v28, 0
.LBB216_217:
	v_pk_add_f16 v29, v0, v20
	v_pk_max_f16 v30, v80, v80
	v_pk_add_f16 v31, v1, v21
	s_delay_alu instid0(VALU_DEP_2) | instskip(NEXT) | instid1(VALU_DEP_1)
	v_pk_min_f16 v29, v30, v29
	v_pk_min_f16 v31, v29, v31
	v_lshlrev_b64 v[29:30], 1, v[44:45]
	s_delay_alu instid0(VALU_DEP_2) | instskip(NEXT) | instid1(VALU_DEP_1)
	v_lshrrev_b32_e32 v32, 16, v31
	v_min3_f16 v31, v28, v31, v32
	s_delay_alu instid0(VALU_DEP_3) | instskip(NEXT) | instid1(VALU_DEP_4)
	v_add_co_u32 v28, vcc_lo, v24, v29
	v_add_co_ci_u32_e32 v29, vcc_lo, v25, v30, vcc_lo
	global_store_b16 v[28:29], v31, off
	s_or_b32 exec_lo, exec_lo, s9
	s_and_b32 s9, s3, s4
	s_delay_alu instid0(SALU_CYCLE_1)
	s_and_saveexec_b32 s4, s9
	s_cbranch_execz .LBB216_222
.LBB216_218:
	v_cmp_ne_u32_e32 vcc_lo, 1, v48
	s_cbranch_vccnz .LBB216_220
; %bb.219:
	v_lshlrev_b64 v[28:29], 1, v[46:47]
	s_delay_alu instid0(VALU_DEP_1) | instskip(NEXT) | instid1(VALU_DEP_2)
	v_add_co_u32 v26, vcc_lo, v26, v28
	v_add_co_ci_u32_e32 v27, vcc_lo, v27, v29, vcc_lo
	flat_load_u16 v26, v[26:27]
	s_waitcnt vmcnt(0) lgkmcnt(0)
	v_mul_f16_e32 v26, v50, v26
	s_branch .LBB216_221
.LBB216_220:
	v_mov_b32_e32 v26, 0
.LBB216_221:
	v_pk_add_f16 v20, v2, v20
	v_pk_max_f16 v27, v79, v79
	v_pk_add_f16 v21, v3, v21
	s_delay_alu instid0(VALU_DEP_2) | instskip(NEXT) | instid1(VALU_DEP_1)
	v_pk_min_f16 v20, v27, v20
	v_pk_min_f16 v27, v20, v21
	v_lshlrev_b64 v[20:21], 1, v[46:47]
	s_delay_alu instid0(VALU_DEP_2) | instskip(NEXT) | instid1(VALU_DEP_2)
	v_lshrrev_b32_e32 v28, 16, v27
	v_add_co_u32 v20, vcc_lo, v24, v20
	s_delay_alu instid0(VALU_DEP_3) | instskip(NEXT) | instid1(VALU_DEP_3)
	v_add_co_ci_u32_e32 v21, vcc_lo, v25, v21, vcc_lo
	v_min3_f16 v26, v26, v27, v28
	global_store_b16 v[20:21], v26, off
.LBB216_222:
	s_or_b32 exec_lo, exec_lo, s4
	v_add_nc_u32_e32 v26, 0x48, v49
	s_delay_alu instid0(VALU_DEP_1) | instskip(SKIP_2) | instid1(VALU_DEP_3)
	v_mad_i64_i32 v[20:21], null, v26, s6, 0
	v_mad_i64_i32 v[24:25], null, v26, s5, 0
	v_cmp_gt_i32_e64 s4, s17, v26
	v_lshlrev_b64 v[20:21], 1, v[20:21]
	s_delay_alu instid0(VALU_DEP_2) | instskip(NEXT) | instid1(VALU_DEP_3)
	s_and_b32 s12, s0, s4
	v_lshlrev_b64 v[26:27], 1, v[24:25]
	s_delay_alu instid0(VALU_DEP_2) | instskip(NEXT) | instid1(VALU_DEP_3)
	v_add_co_u32 v24, vcc_lo, s10, v20
	v_add_co_ci_u32_e32 v25, vcc_lo, s11, v21, vcc_lo
	s_delay_alu instid0(VALU_DEP_3) | instskip(NEXT) | instid1(VALU_DEP_4)
	v_add_co_u32 v20, vcc_lo, s7, v26
	v_add_co_ci_u32_e32 v21, vcc_lo, s8, v27, vcc_lo
	s_and_saveexec_b32 s9, s12
	s_cbranch_execnz .LBB216_226
; %bb.223:
	s_or_b32 exec_lo, exec_lo, s9
	s_and_b32 s12, s1, s4
	s_delay_alu instid0(SALU_CYCLE_1)
	s_and_saveexec_b32 s9, s12
	s_cbranch_execnz .LBB216_230
.LBB216_224:
	s_or_b32 exec_lo, exec_lo, s9
	s_and_b32 s12, s2, s4
	s_delay_alu instid0(SALU_CYCLE_1)
	s_and_saveexec_b32 s9, s12
	s_cbranch_execnz .LBB216_234
.LBB216_225:
	s_or_b32 exec_lo, exec_lo, s9
	s_and_b32 s9, s3, s4
	s_delay_alu instid0(SALU_CYCLE_1)
	s_and_saveexec_b32 s4, s9
	s_cbranch_execnz .LBB216_238
	s_branch .LBB216_242
.LBB216_226:
	v_cmp_ne_u32_e32 vcc_lo, 1, v48
	s_cbranch_vccnz .LBB216_228
; %bb.227:
	v_lshlrev_b64 v[26:27], 1, v[40:41]
	s_delay_alu instid0(VALU_DEP_1) | instskip(NEXT) | instid1(VALU_DEP_2)
	v_add_co_u32 v26, vcc_lo, v24, v26
	v_add_co_ci_u32_e32 v27, vcc_lo, v25, v27, vcc_lo
	flat_load_u16 v26, v[26:27]
	s_waitcnt vmcnt(0) lgkmcnt(0)
	v_mul_f16_e32 v26, v50, v26
	s_branch .LBB216_229
.LBB216_228:
	v_mov_b32_e32 v26, 0
.LBB216_229:
	v_pk_add_f16 v27, v8, v22
	v_pk_max_f16 v28, v78, v78
	v_pk_add_f16 v29, v9, v23
	s_delay_alu instid0(VALU_DEP_2) | instskip(NEXT) | instid1(VALU_DEP_1)
	v_pk_min_f16 v27, v28, v27
	v_pk_min_f16 v29, v27, v29
	v_lshlrev_b64 v[27:28], 1, v[40:41]
	s_delay_alu instid0(VALU_DEP_2) | instskip(NEXT) | instid1(VALU_DEP_1)
	v_lshrrev_b32_e32 v30, 16, v29
	v_min3_f16 v29, v26, v29, v30
	s_delay_alu instid0(VALU_DEP_3) | instskip(NEXT) | instid1(VALU_DEP_4)
	v_add_co_u32 v26, vcc_lo, v20, v27
	v_add_co_ci_u32_e32 v27, vcc_lo, v21, v28, vcc_lo
	global_store_b16 v[26:27], v29, off
	s_or_b32 exec_lo, exec_lo, s9
	s_and_b32 s12, s1, s4
	s_delay_alu instid0(SALU_CYCLE_1)
	s_and_saveexec_b32 s9, s12
	s_cbranch_execz .LBB216_224
.LBB216_230:
	v_cmp_ne_u32_e32 vcc_lo, 1, v48
	s_cbranch_vccnz .LBB216_232
; %bb.231:
	v_lshlrev_b64 v[26:27], 1, v[42:43]
	s_delay_alu instid0(VALU_DEP_1) | instskip(NEXT) | instid1(VALU_DEP_2)
	v_add_co_u32 v26, vcc_lo, v24, v26
	v_add_co_ci_u32_e32 v27, vcc_lo, v25, v27, vcc_lo
	flat_load_u16 v26, v[26:27]
	s_waitcnt vmcnt(0) lgkmcnt(0)
	v_mul_f16_e32 v26, v50, v26
	s_branch .LBB216_233
.LBB216_232:
	v_mov_b32_e32 v26, 0
.LBB216_233:
	v_pk_add_f16 v27, v10, v22
	v_pk_max_f16 v28, v77, v77
	v_pk_add_f16 v29, v11, v23
	s_delay_alu instid0(VALU_DEP_2) | instskip(NEXT) | instid1(VALU_DEP_1)
	v_pk_min_f16 v27, v28, v27
	v_pk_min_f16 v29, v27, v29
	v_lshlrev_b64 v[27:28], 1, v[42:43]
	s_delay_alu instid0(VALU_DEP_2) | instskip(NEXT) | instid1(VALU_DEP_1)
	v_lshrrev_b32_e32 v30, 16, v29
	v_min3_f16 v29, v26, v29, v30
	s_delay_alu instid0(VALU_DEP_3) | instskip(NEXT) | instid1(VALU_DEP_4)
	v_add_co_u32 v26, vcc_lo, v20, v27
	v_add_co_ci_u32_e32 v27, vcc_lo, v21, v28, vcc_lo
	global_store_b16 v[26:27], v29, off
	s_or_b32 exec_lo, exec_lo, s9
	s_and_b32 s12, s2, s4
	s_delay_alu instid0(SALU_CYCLE_1)
	s_and_saveexec_b32 s9, s12
	s_cbranch_execz .LBB216_225
.LBB216_234:
	v_cmp_ne_u32_e32 vcc_lo, 1, v48
	s_cbranch_vccnz .LBB216_236
; %bb.235:
	v_lshlrev_b64 v[26:27], 1, v[44:45]
	s_delay_alu instid0(VALU_DEP_1) | instskip(NEXT) | instid1(VALU_DEP_2)
	v_add_co_u32 v26, vcc_lo, v24, v26
	v_add_co_ci_u32_e32 v27, vcc_lo, v25, v27, vcc_lo
	flat_load_u16 v26, v[26:27]
	s_waitcnt vmcnt(0) lgkmcnt(0)
	v_mul_f16_e32 v26, v50, v26
	s_branch .LBB216_237
.LBB216_236:
	v_mov_b32_e32 v26, 0
.LBB216_237:
	v_pk_add_f16 v27, v0, v22
	v_pk_max_f16 v28, v76, v76
	v_pk_add_f16 v29, v1, v23
	s_delay_alu instid0(VALU_DEP_2) | instskip(NEXT) | instid1(VALU_DEP_1)
	v_pk_min_f16 v27, v28, v27
	v_pk_min_f16 v29, v27, v29
	v_lshlrev_b64 v[27:28], 1, v[44:45]
	s_delay_alu instid0(VALU_DEP_2) | instskip(NEXT) | instid1(VALU_DEP_1)
	v_lshrrev_b32_e32 v30, 16, v29
	v_min3_f16 v29, v26, v29, v30
	s_delay_alu instid0(VALU_DEP_3) | instskip(NEXT) | instid1(VALU_DEP_4)
	v_add_co_u32 v26, vcc_lo, v20, v27
	v_add_co_ci_u32_e32 v27, vcc_lo, v21, v28, vcc_lo
	global_store_b16 v[26:27], v29, off
	s_or_b32 exec_lo, exec_lo, s9
	s_and_b32 s9, s3, s4
	s_delay_alu instid0(SALU_CYCLE_1)
	s_and_saveexec_b32 s4, s9
	s_cbranch_execz .LBB216_242
.LBB216_238:
	v_cmp_ne_u32_e32 vcc_lo, 1, v48
	s_cbranch_vccnz .LBB216_240
; %bb.239:
	v_lshlrev_b64 v[26:27], 1, v[46:47]
	s_delay_alu instid0(VALU_DEP_1) | instskip(NEXT) | instid1(VALU_DEP_2)
	v_add_co_u32 v24, vcc_lo, v24, v26
	v_add_co_ci_u32_e32 v25, vcc_lo, v25, v27, vcc_lo
	flat_load_u16 v24, v[24:25]
	s_waitcnt vmcnt(0) lgkmcnt(0)
	v_mul_f16_e32 v24, v50, v24
	s_branch .LBB216_241
.LBB216_240:
	v_mov_b32_e32 v24, 0
.LBB216_241:
	v_pk_add_f16 v22, v2, v22
	v_pk_max_f16 v25, v75, v75
	v_pk_add_f16 v23, v3, v23
	s_delay_alu instid0(VALU_DEP_2) | instskip(NEXT) | instid1(VALU_DEP_1)
	v_pk_min_f16 v22, v25, v22
	v_pk_min_f16 v25, v22, v23
	v_lshlrev_b64 v[22:23], 1, v[46:47]
	s_delay_alu instid0(VALU_DEP_2) | instskip(NEXT) | instid1(VALU_DEP_2)
	v_lshrrev_b32_e32 v26, 16, v25
	v_add_co_u32 v20, vcc_lo, v20, v22
	s_delay_alu instid0(VALU_DEP_3) | instskip(NEXT) | instid1(VALU_DEP_3)
	v_add_co_ci_u32_e32 v21, vcc_lo, v21, v23, vcc_lo
	v_min3_f16 v24, v24, v25, v26
	global_store_b16 v[20:21], v24, off
.LBB216_242:
	s_or_b32 exec_lo, exec_lo, s4
	v_add_nc_u32_e32 v24, 0x50, v49
	s_delay_alu instid0(VALU_DEP_1) | instskip(SKIP_2) | instid1(VALU_DEP_3)
	v_mad_i64_i32 v[20:21], null, v24, s6, 0
	v_mad_i64_i32 v[22:23], null, v24, s5, 0
	v_cmp_gt_i32_e64 s4, s17, v24
	v_lshlrev_b64 v[20:21], 1, v[20:21]
	s_delay_alu instid0(VALU_DEP_2) | instskip(NEXT) | instid1(VALU_DEP_3)
	s_and_b32 s12, s0, s4
	v_lshlrev_b64 v[24:25], 1, v[22:23]
	s_delay_alu instid0(VALU_DEP_2) | instskip(NEXT) | instid1(VALU_DEP_3)
	v_add_co_u32 v22, vcc_lo, s10, v20
	v_add_co_ci_u32_e32 v23, vcc_lo, s11, v21, vcc_lo
	s_delay_alu instid0(VALU_DEP_3) | instskip(NEXT) | instid1(VALU_DEP_4)
	v_add_co_u32 v20, vcc_lo, s7, v24
	v_add_co_ci_u32_e32 v21, vcc_lo, s8, v25, vcc_lo
	s_and_saveexec_b32 s9, s12
	s_cbranch_execnz .LBB216_246
; %bb.243:
	s_or_b32 exec_lo, exec_lo, s9
	s_and_b32 s12, s1, s4
	s_delay_alu instid0(SALU_CYCLE_1)
	s_and_saveexec_b32 s9, s12
	s_cbranch_execnz .LBB216_250
.LBB216_244:
	s_or_b32 exec_lo, exec_lo, s9
	s_and_b32 s12, s2, s4
	s_delay_alu instid0(SALU_CYCLE_1)
	s_and_saveexec_b32 s9, s12
	s_cbranch_execnz .LBB216_254
.LBB216_245:
	s_or_b32 exec_lo, exec_lo, s9
	s_and_b32 s9, s3, s4
	s_delay_alu instid0(SALU_CYCLE_1)
	s_and_saveexec_b32 s4, s9
	s_cbranch_execnz .LBB216_258
	s_branch .LBB216_262
.LBB216_246:
	v_cmp_ne_u32_e32 vcc_lo, 1, v48
	s_cbranch_vccnz .LBB216_248
; %bb.247:
	v_lshlrev_b64 v[24:25], 1, v[40:41]
	s_delay_alu instid0(VALU_DEP_1) | instskip(NEXT) | instid1(VALU_DEP_2)
	v_add_co_u32 v24, vcc_lo, v22, v24
	v_add_co_ci_u32_e32 v25, vcc_lo, v23, v25, vcc_lo
	flat_load_u16 v24, v[24:25]
	s_waitcnt vmcnt(0) lgkmcnt(0)
	v_mul_f16_e32 v24, v50, v24
	s_branch .LBB216_249
.LBB216_248:
	v_mov_b32_e32 v24, 0
.LBB216_249:
	v_pk_add_f16 v25, v8, v16
	v_pk_max_f16 v26, v74, v74
	v_pk_add_f16 v27, v9, v17
	s_delay_alu instid0(VALU_DEP_2) | instskip(NEXT) | instid1(VALU_DEP_1)
	v_pk_min_f16 v25, v26, v25
	v_pk_min_f16 v27, v25, v27
	v_lshlrev_b64 v[25:26], 1, v[40:41]
	s_delay_alu instid0(VALU_DEP_2) | instskip(NEXT) | instid1(VALU_DEP_1)
	v_lshrrev_b32_e32 v28, 16, v27
	v_min3_f16 v27, v24, v27, v28
	s_delay_alu instid0(VALU_DEP_3) | instskip(NEXT) | instid1(VALU_DEP_4)
	v_add_co_u32 v24, vcc_lo, v20, v25
	v_add_co_ci_u32_e32 v25, vcc_lo, v21, v26, vcc_lo
	global_store_b16 v[24:25], v27, off
	s_or_b32 exec_lo, exec_lo, s9
	s_and_b32 s12, s1, s4
	s_delay_alu instid0(SALU_CYCLE_1)
	s_and_saveexec_b32 s9, s12
	s_cbranch_execz .LBB216_244
.LBB216_250:
	v_cmp_ne_u32_e32 vcc_lo, 1, v48
	s_cbranch_vccnz .LBB216_252
; %bb.251:
	v_lshlrev_b64 v[24:25], 1, v[42:43]
	s_delay_alu instid0(VALU_DEP_1) | instskip(NEXT) | instid1(VALU_DEP_2)
	v_add_co_u32 v24, vcc_lo, v22, v24
	v_add_co_ci_u32_e32 v25, vcc_lo, v23, v25, vcc_lo
	flat_load_u16 v24, v[24:25]
	s_waitcnt vmcnt(0) lgkmcnt(0)
	v_mul_f16_e32 v24, v50, v24
	s_branch .LBB216_253
.LBB216_252:
	v_mov_b32_e32 v24, 0
.LBB216_253:
	v_pk_add_f16 v25, v10, v16
	v_pk_max_f16 v26, v73, v73
	v_pk_add_f16 v27, v11, v17
	s_delay_alu instid0(VALU_DEP_2) | instskip(NEXT) | instid1(VALU_DEP_1)
	v_pk_min_f16 v25, v26, v25
	v_pk_min_f16 v27, v25, v27
	v_lshlrev_b64 v[25:26], 1, v[42:43]
	s_delay_alu instid0(VALU_DEP_2) | instskip(NEXT) | instid1(VALU_DEP_1)
	v_lshrrev_b32_e32 v28, 16, v27
	v_min3_f16 v27, v24, v27, v28
	s_delay_alu instid0(VALU_DEP_3) | instskip(NEXT) | instid1(VALU_DEP_4)
	v_add_co_u32 v24, vcc_lo, v20, v25
	v_add_co_ci_u32_e32 v25, vcc_lo, v21, v26, vcc_lo
	global_store_b16 v[24:25], v27, off
	s_or_b32 exec_lo, exec_lo, s9
	s_and_b32 s12, s2, s4
	s_delay_alu instid0(SALU_CYCLE_1)
	s_and_saveexec_b32 s9, s12
	s_cbranch_execz .LBB216_245
.LBB216_254:
	v_cmp_ne_u32_e32 vcc_lo, 1, v48
	s_cbranch_vccnz .LBB216_256
; %bb.255:
	v_lshlrev_b64 v[24:25], 1, v[44:45]
	s_delay_alu instid0(VALU_DEP_1) | instskip(NEXT) | instid1(VALU_DEP_2)
	v_add_co_u32 v24, vcc_lo, v22, v24
	v_add_co_ci_u32_e32 v25, vcc_lo, v23, v25, vcc_lo
	flat_load_u16 v24, v[24:25]
	s_waitcnt vmcnt(0) lgkmcnt(0)
	v_mul_f16_e32 v24, v50, v24
	s_branch .LBB216_257
.LBB216_256:
	v_mov_b32_e32 v24, 0
.LBB216_257:
	v_pk_add_f16 v25, v0, v16
	v_pk_max_f16 v26, v72, v72
	v_pk_add_f16 v27, v1, v17
	s_delay_alu instid0(VALU_DEP_2) | instskip(NEXT) | instid1(VALU_DEP_1)
	v_pk_min_f16 v25, v26, v25
	v_pk_min_f16 v27, v25, v27
	v_lshlrev_b64 v[25:26], 1, v[44:45]
	s_delay_alu instid0(VALU_DEP_2) | instskip(NEXT) | instid1(VALU_DEP_1)
	v_lshrrev_b32_e32 v28, 16, v27
	v_min3_f16 v27, v24, v27, v28
	s_delay_alu instid0(VALU_DEP_3) | instskip(NEXT) | instid1(VALU_DEP_4)
	v_add_co_u32 v24, vcc_lo, v20, v25
	v_add_co_ci_u32_e32 v25, vcc_lo, v21, v26, vcc_lo
	global_store_b16 v[24:25], v27, off
	s_or_b32 exec_lo, exec_lo, s9
	s_and_b32 s9, s3, s4
	s_delay_alu instid0(SALU_CYCLE_1)
	s_and_saveexec_b32 s4, s9
	s_cbranch_execz .LBB216_262
.LBB216_258:
	v_cmp_ne_u32_e32 vcc_lo, 1, v48
	s_cbranch_vccnz .LBB216_260
; %bb.259:
	v_lshlrev_b64 v[24:25], 1, v[46:47]
	s_delay_alu instid0(VALU_DEP_1) | instskip(NEXT) | instid1(VALU_DEP_2)
	v_add_co_u32 v22, vcc_lo, v22, v24
	v_add_co_ci_u32_e32 v23, vcc_lo, v23, v25, vcc_lo
	flat_load_u16 v22, v[22:23]
	s_waitcnt vmcnt(0) lgkmcnt(0)
	v_mul_f16_e32 v22, v50, v22
	s_branch .LBB216_261
.LBB216_260:
	v_mov_b32_e32 v22, 0
.LBB216_261:
	v_pk_add_f16 v16, v2, v16
	v_pk_max_f16 v23, v71, v71
	v_pk_add_f16 v17, v3, v17
	s_delay_alu instid0(VALU_DEP_2) | instskip(NEXT) | instid1(VALU_DEP_1)
	v_pk_min_f16 v16, v23, v16
	v_pk_min_f16 v23, v16, v17
	v_lshlrev_b64 v[16:17], 1, v[46:47]
	s_delay_alu instid0(VALU_DEP_2) | instskip(NEXT) | instid1(VALU_DEP_2)
	v_lshrrev_b32_e32 v24, 16, v23
	v_add_co_u32 v16, vcc_lo, v20, v16
	s_delay_alu instid0(VALU_DEP_3) | instskip(NEXT) | instid1(VALU_DEP_3)
	v_add_co_ci_u32_e32 v17, vcc_lo, v21, v17, vcc_lo
	v_min3_f16 v22, v22, v23, v24
	global_store_b16 v[16:17], v22, off
.LBB216_262:
	s_or_b32 exec_lo, exec_lo, s4
	v_add_nc_u32_e32 v22, 0x58, v49
	s_delay_alu instid0(VALU_DEP_1) | instskip(SKIP_2) | instid1(VALU_DEP_3)
	v_mad_i64_i32 v[16:17], null, v22, s6, 0
	v_mad_i64_i32 v[20:21], null, v22, s5, 0
	v_cmp_gt_i32_e64 s4, s17, v22
	v_lshlrev_b64 v[16:17], 1, v[16:17]
	s_delay_alu instid0(VALU_DEP_2) | instskip(NEXT) | instid1(VALU_DEP_3)
	s_and_b32 s12, s0, s4
	v_lshlrev_b64 v[22:23], 1, v[20:21]
	s_delay_alu instid0(VALU_DEP_2) | instskip(NEXT) | instid1(VALU_DEP_3)
	v_add_co_u32 v20, vcc_lo, s10, v16
	v_add_co_ci_u32_e32 v21, vcc_lo, s11, v17, vcc_lo
	s_delay_alu instid0(VALU_DEP_3) | instskip(NEXT) | instid1(VALU_DEP_4)
	v_add_co_u32 v16, vcc_lo, s7, v22
	v_add_co_ci_u32_e32 v17, vcc_lo, s8, v23, vcc_lo
	s_and_saveexec_b32 s9, s12
	s_cbranch_execnz .LBB216_266
; %bb.263:
	s_or_b32 exec_lo, exec_lo, s9
	s_and_b32 s12, s1, s4
	s_delay_alu instid0(SALU_CYCLE_1)
	s_and_saveexec_b32 s9, s12
	s_cbranch_execnz .LBB216_270
.LBB216_264:
	s_or_b32 exec_lo, exec_lo, s9
	s_and_b32 s12, s2, s4
	s_delay_alu instid0(SALU_CYCLE_1)
	s_and_saveexec_b32 s9, s12
	s_cbranch_execnz .LBB216_274
.LBB216_265:
	s_or_b32 exec_lo, exec_lo, s9
	s_and_b32 s9, s3, s4
	s_delay_alu instid0(SALU_CYCLE_1)
	s_and_saveexec_b32 s4, s9
	s_cbranch_execnz .LBB216_278
	s_branch .LBB216_282
.LBB216_266:
	v_cmp_ne_u32_e32 vcc_lo, 1, v48
	s_cbranch_vccnz .LBB216_268
; %bb.267:
	v_lshlrev_b64 v[22:23], 1, v[40:41]
	s_delay_alu instid0(VALU_DEP_1) | instskip(NEXT) | instid1(VALU_DEP_2)
	v_add_co_u32 v22, vcc_lo, v20, v22
	v_add_co_ci_u32_e32 v23, vcc_lo, v21, v23, vcc_lo
	flat_load_u16 v22, v[22:23]
	s_waitcnt vmcnt(0) lgkmcnt(0)
	v_mul_f16_e32 v22, v50, v22
	s_branch .LBB216_269
.LBB216_268:
	v_mov_b32_e32 v22, 0
.LBB216_269:
	v_pk_add_f16 v23, v8, v18
	v_pk_max_f16 v24, v70, v70
	v_pk_add_f16 v25, v9, v19
	s_delay_alu instid0(VALU_DEP_2) | instskip(NEXT) | instid1(VALU_DEP_1)
	v_pk_min_f16 v23, v24, v23
	v_pk_min_f16 v25, v23, v25
	v_lshlrev_b64 v[23:24], 1, v[40:41]
	s_delay_alu instid0(VALU_DEP_2) | instskip(NEXT) | instid1(VALU_DEP_1)
	v_lshrrev_b32_e32 v26, 16, v25
	v_min3_f16 v25, v22, v25, v26
	s_delay_alu instid0(VALU_DEP_3) | instskip(NEXT) | instid1(VALU_DEP_4)
	v_add_co_u32 v22, vcc_lo, v16, v23
	v_add_co_ci_u32_e32 v23, vcc_lo, v17, v24, vcc_lo
	global_store_b16 v[22:23], v25, off
	s_or_b32 exec_lo, exec_lo, s9
	s_and_b32 s12, s1, s4
	s_delay_alu instid0(SALU_CYCLE_1)
	s_and_saveexec_b32 s9, s12
	s_cbranch_execz .LBB216_264
.LBB216_270:
	v_cmp_ne_u32_e32 vcc_lo, 1, v48
	s_cbranch_vccnz .LBB216_272
; %bb.271:
	v_lshlrev_b64 v[22:23], 1, v[42:43]
	s_delay_alu instid0(VALU_DEP_1) | instskip(NEXT) | instid1(VALU_DEP_2)
	v_add_co_u32 v22, vcc_lo, v20, v22
	v_add_co_ci_u32_e32 v23, vcc_lo, v21, v23, vcc_lo
	flat_load_u16 v22, v[22:23]
	s_waitcnt vmcnt(0) lgkmcnt(0)
	v_mul_f16_e32 v22, v50, v22
	s_branch .LBB216_273
.LBB216_272:
	v_mov_b32_e32 v22, 0
.LBB216_273:
	v_pk_add_f16 v23, v10, v18
	v_pk_max_f16 v24, v69, v69
	v_pk_add_f16 v25, v11, v19
	s_delay_alu instid0(VALU_DEP_2) | instskip(NEXT) | instid1(VALU_DEP_1)
	v_pk_min_f16 v23, v24, v23
	v_pk_min_f16 v25, v23, v25
	v_lshlrev_b64 v[23:24], 1, v[42:43]
	s_delay_alu instid0(VALU_DEP_2) | instskip(NEXT) | instid1(VALU_DEP_1)
	v_lshrrev_b32_e32 v26, 16, v25
	v_min3_f16 v25, v22, v25, v26
	s_delay_alu instid0(VALU_DEP_3) | instskip(NEXT) | instid1(VALU_DEP_4)
	v_add_co_u32 v22, vcc_lo, v16, v23
	v_add_co_ci_u32_e32 v23, vcc_lo, v17, v24, vcc_lo
	global_store_b16 v[22:23], v25, off
	s_or_b32 exec_lo, exec_lo, s9
	s_and_b32 s12, s2, s4
	s_delay_alu instid0(SALU_CYCLE_1)
	s_and_saveexec_b32 s9, s12
	s_cbranch_execz .LBB216_265
.LBB216_274:
	v_cmp_ne_u32_e32 vcc_lo, 1, v48
	s_cbranch_vccnz .LBB216_276
; %bb.275:
	v_lshlrev_b64 v[22:23], 1, v[44:45]
	s_delay_alu instid0(VALU_DEP_1) | instskip(NEXT) | instid1(VALU_DEP_2)
	v_add_co_u32 v22, vcc_lo, v20, v22
	v_add_co_ci_u32_e32 v23, vcc_lo, v21, v23, vcc_lo
	flat_load_u16 v22, v[22:23]
	s_waitcnt vmcnt(0) lgkmcnt(0)
	v_mul_f16_e32 v22, v50, v22
	s_branch .LBB216_277
.LBB216_276:
	v_mov_b32_e32 v22, 0
.LBB216_277:
	v_pk_add_f16 v23, v0, v18
	v_pk_max_f16 v24, v68, v68
	v_pk_add_f16 v25, v1, v19
	s_delay_alu instid0(VALU_DEP_2) | instskip(NEXT) | instid1(VALU_DEP_1)
	v_pk_min_f16 v23, v24, v23
	v_pk_min_f16 v25, v23, v25
	v_lshlrev_b64 v[23:24], 1, v[44:45]
	s_delay_alu instid0(VALU_DEP_2) | instskip(NEXT) | instid1(VALU_DEP_1)
	v_lshrrev_b32_e32 v26, 16, v25
	v_min3_f16 v25, v22, v25, v26
	s_delay_alu instid0(VALU_DEP_3) | instskip(NEXT) | instid1(VALU_DEP_4)
	v_add_co_u32 v22, vcc_lo, v16, v23
	v_add_co_ci_u32_e32 v23, vcc_lo, v17, v24, vcc_lo
	global_store_b16 v[22:23], v25, off
	s_or_b32 exec_lo, exec_lo, s9
	s_and_b32 s9, s3, s4
	s_delay_alu instid0(SALU_CYCLE_1)
	s_and_saveexec_b32 s4, s9
	s_cbranch_execz .LBB216_282
.LBB216_278:
	v_cmp_ne_u32_e32 vcc_lo, 1, v48
	s_cbranch_vccnz .LBB216_280
; %bb.279:
	v_lshlrev_b64 v[22:23], 1, v[46:47]
	s_delay_alu instid0(VALU_DEP_1) | instskip(NEXT) | instid1(VALU_DEP_2)
	v_add_co_u32 v20, vcc_lo, v20, v22
	v_add_co_ci_u32_e32 v21, vcc_lo, v21, v23, vcc_lo
	flat_load_u16 v20, v[20:21]
	s_waitcnt vmcnt(0) lgkmcnt(0)
	v_mul_f16_e32 v20, v50, v20
	s_branch .LBB216_281
.LBB216_280:
	v_mov_b32_e32 v20, 0
.LBB216_281:
	v_pk_add_f16 v18, v2, v18
	v_pk_max_f16 v21, v67, v67
	v_pk_add_f16 v19, v3, v19
	s_delay_alu instid0(VALU_DEP_2) | instskip(NEXT) | instid1(VALU_DEP_1)
	v_pk_min_f16 v18, v21, v18
	v_pk_min_f16 v21, v18, v19
	v_lshlrev_b64 v[18:19], 1, v[46:47]
	s_delay_alu instid0(VALU_DEP_2) | instskip(NEXT) | instid1(VALU_DEP_2)
	v_lshrrev_b32_e32 v22, 16, v21
	v_add_co_u32 v16, vcc_lo, v16, v18
	s_delay_alu instid0(VALU_DEP_3) | instskip(NEXT) | instid1(VALU_DEP_3)
	v_add_co_ci_u32_e32 v17, vcc_lo, v17, v19, vcc_lo
	v_min3_f16 v20, v20, v21, v22
	global_store_b16 v[16:17], v20, off
.LBB216_282:
	s_or_b32 exec_lo, exec_lo, s4
	v_add_nc_u32_e32 v20, 0x60, v49
	s_delay_alu instid0(VALU_DEP_1) | instskip(SKIP_2) | instid1(VALU_DEP_3)
	v_mad_i64_i32 v[16:17], null, v20, s6, 0
	v_mad_i64_i32 v[18:19], null, v20, s5, 0
	v_cmp_gt_i32_e64 s4, s17, v20
	v_lshlrev_b64 v[16:17], 1, v[16:17]
	s_delay_alu instid0(VALU_DEP_2) | instskip(NEXT) | instid1(VALU_DEP_3)
	s_and_b32 s12, s0, s4
	v_lshlrev_b64 v[20:21], 1, v[18:19]
	s_delay_alu instid0(VALU_DEP_2) | instskip(NEXT) | instid1(VALU_DEP_3)
	v_add_co_u32 v18, vcc_lo, s10, v16
	v_add_co_ci_u32_e32 v19, vcc_lo, s11, v17, vcc_lo
	s_delay_alu instid0(VALU_DEP_3) | instskip(NEXT) | instid1(VALU_DEP_4)
	v_add_co_u32 v16, vcc_lo, s7, v20
	v_add_co_ci_u32_e32 v17, vcc_lo, s8, v21, vcc_lo
	s_and_saveexec_b32 s9, s12
	s_cbranch_execnz .LBB216_286
; %bb.283:
	s_or_b32 exec_lo, exec_lo, s9
	s_and_b32 s12, s1, s4
	s_delay_alu instid0(SALU_CYCLE_1)
	s_and_saveexec_b32 s9, s12
	s_cbranch_execnz .LBB216_290
.LBB216_284:
	s_or_b32 exec_lo, exec_lo, s9
	s_and_b32 s12, s2, s4
	s_delay_alu instid0(SALU_CYCLE_1)
	s_and_saveexec_b32 s9, s12
	s_cbranch_execnz .LBB216_294
.LBB216_285:
	s_or_b32 exec_lo, exec_lo, s9
	s_and_b32 s9, s3, s4
	s_delay_alu instid0(SALU_CYCLE_1)
	s_and_saveexec_b32 s4, s9
	s_cbranch_execnz .LBB216_298
	s_branch .LBB216_302
.LBB216_286:
	v_cmp_ne_u32_e32 vcc_lo, 1, v48
	s_cbranch_vccnz .LBB216_288
; %bb.287:
	v_lshlrev_b64 v[20:21], 1, v[40:41]
	s_delay_alu instid0(VALU_DEP_1) | instskip(NEXT) | instid1(VALU_DEP_2)
	v_add_co_u32 v20, vcc_lo, v18, v20
	v_add_co_ci_u32_e32 v21, vcc_lo, v19, v21, vcc_lo
	flat_load_u16 v20, v[20:21]
	s_waitcnt vmcnt(0) lgkmcnt(0)
	v_mul_f16_e32 v20, v50, v20
	s_branch .LBB216_289
.LBB216_288:
	v_mov_b32_e32 v20, 0
.LBB216_289:
	v_pk_add_f16 v21, v8, v12
	v_pk_max_f16 v22, v66, v66
	v_pk_add_f16 v23, v9, v13
	s_delay_alu instid0(VALU_DEP_2) | instskip(NEXT) | instid1(VALU_DEP_1)
	v_pk_min_f16 v21, v22, v21
	v_pk_min_f16 v23, v21, v23
	v_lshlrev_b64 v[21:22], 1, v[40:41]
	s_delay_alu instid0(VALU_DEP_2) | instskip(NEXT) | instid1(VALU_DEP_1)
	v_lshrrev_b32_e32 v24, 16, v23
	v_min3_f16 v23, v20, v23, v24
	s_delay_alu instid0(VALU_DEP_3) | instskip(NEXT) | instid1(VALU_DEP_4)
	v_add_co_u32 v20, vcc_lo, v16, v21
	v_add_co_ci_u32_e32 v21, vcc_lo, v17, v22, vcc_lo
	global_store_b16 v[20:21], v23, off
	s_or_b32 exec_lo, exec_lo, s9
	s_and_b32 s12, s1, s4
	s_delay_alu instid0(SALU_CYCLE_1)
	s_and_saveexec_b32 s9, s12
	s_cbranch_execz .LBB216_284
.LBB216_290:
	v_cmp_ne_u32_e32 vcc_lo, 1, v48
	s_cbranch_vccnz .LBB216_292
; %bb.291:
	v_lshlrev_b64 v[20:21], 1, v[42:43]
	s_delay_alu instid0(VALU_DEP_1) | instskip(NEXT) | instid1(VALU_DEP_2)
	v_add_co_u32 v20, vcc_lo, v18, v20
	v_add_co_ci_u32_e32 v21, vcc_lo, v19, v21, vcc_lo
	flat_load_u16 v20, v[20:21]
	s_waitcnt vmcnt(0) lgkmcnt(0)
	v_mul_f16_e32 v20, v50, v20
	s_branch .LBB216_293
.LBB216_292:
	v_mov_b32_e32 v20, 0
.LBB216_293:
	v_pk_add_f16 v21, v10, v12
	v_pk_max_f16 v22, v65, v65
	v_pk_add_f16 v23, v11, v13
	s_delay_alu instid0(VALU_DEP_2) | instskip(NEXT) | instid1(VALU_DEP_1)
	v_pk_min_f16 v21, v22, v21
	v_pk_min_f16 v23, v21, v23
	v_lshlrev_b64 v[21:22], 1, v[42:43]
	s_delay_alu instid0(VALU_DEP_2) | instskip(NEXT) | instid1(VALU_DEP_1)
	v_lshrrev_b32_e32 v24, 16, v23
	v_min3_f16 v23, v20, v23, v24
	s_delay_alu instid0(VALU_DEP_3) | instskip(NEXT) | instid1(VALU_DEP_4)
	v_add_co_u32 v20, vcc_lo, v16, v21
	v_add_co_ci_u32_e32 v21, vcc_lo, v17, v22, vcc_lo
	global_store_b16 v[20:21], v23, off
	s_or_b32 exec_lo, exec_lo, s9
	s_and_b32 s12, s2, s4
	s_delay_alu instid0(SALU_CYCLE_1)
	s_and_saveexec_b32 s9, s12
	s_cbranch_execz .LBB216_285
.LBB216_294:
	v_cmp_ne_u32_e32 vcc_lo, 1, v48
	s_cbranch_vccnz .LBB216_296
; %bb.295:
	v_lshlrev_b64 v[20:21], 1, v[44:45]
	s_delay_alu instid0(VALU_DEP_1) | instskip(NEXT) | instid1(VALU_DEP_2)
	v_add_co_u32 v20, vcc_lo, v18, v20
	v_add_co_ci_u32_e32 v21, vcc_lo, v19, v21, vcc_lo
	flat_load_u16 v20, v[20:21]
	s_waitcnt vmcnt(0) lgkmcnt(0)
	v_mul_f16_e32 v20, v50, v20
	s_branch .LBB216_297
.LBB216_296:
	v_mov_b32_e32 v20, 0
.LBB216_297:
	v_pk_add_f16 v21, v0, v12
	v_pk_max_f16 v22, v64, v64
	v_pk_add_f16 v23, v1, v13
	s_delay_alu instid0(VALU_DEP_2) | instskip(NEXT) | instid1(VALU_DEP_1)
	v_pk_min_f16 v21, v22, v21
	v_pk_min_f16 v23, v21, v23
	v_lshlrev_b64 v[21:22], 1, v[44:45]
	s_delay_alu instid0(VALU_DEP_2) | instskip(NEXT) | instid1(VALU_DEP_1)
	v_lshrrev_b32_e32 v24, 16, v23
	v_min3_f16 v23, v20, v23, v24
	s_delay_alu instid0(VALU_DEP_3) | instskip(NEXT) | instid1(VALU_DEP_4)
	v_add_co_u32 v20, vcc_lo, v16, v21
	v_add_co_ci_u32_e32 v21, vcc_lo, v17, v22, vcc_lo
	global_store_b16 v[20:21], v23, off
	s_or_b32 exec_lo, exec_lo, s9
	s_and_b32 s9, s3, s4
	s_delay_alu instid0(SALU_CYCLE_1)
	s_and_saveexec_b32 s4, s9
	s_cbranch_execz .LBB216_302
.LBB216_298:
	v_cmp_ne_u32_e32 vcc_lo, 1, v48
	s_cbranch_vccnz .LBB216_300
; %bb.299:
	v_lshlrev_b64 v[20:21], 1, v[46:47]
	s_delay_alu instid0(VALU_DEP_1) | instskip(NEXT) | instid1(VALU_DEP_2)
	v_add_co_u32 v18, vcc_lo, v18, v20
	v_add_co_ci_u32_e32 v19, vcc_lo, v19, v21, vcc_lo
	flat_load_u16 v18, v[18:19]
	s_waitcnt vmcnt(0) lgkmcnt(0)
	v_mul_f16_e32 v18, v50, v18
	s_branch .LBB216_301
.LBB216_300:
	v_mov_b32_e32 v18, 0
.LBB216_301:
	v_pk_add_f16 v12, v2, v12
	v_pk_max_f16 v19, v63, v63
	v_pk_add_f16 v13, v3, v13
	s_delay_alu instid0(VALU_DEP_2) | instskip(NEXT) | instid1(VALU_DEP_1)
	v_pk_min_f16 v12, v19, v12
	v_pk_min_f16 v19, v12, v13
	v_lshlrev_b64 v[12:13], 1, v[46:47]
	s_delay_alu instid0(VALU_DEP_2) | instskip(NEXT) | instid1(VALU_DEP_2)
	v_lshrrev_b32_e32 v20, 16, v19
	v_add_co_u32 v12, vcc_lo, v16, v12
	s_delay_alu instid0(VALU_DEP_3) | instskip(NEXT) | instid1(VALU_DEP_3)
	v_add_co_ci_u32_e32 v13, vcc_lo, v17, v13, vcc_lo
	v_min3_f16 v18, v18, v19, v20
	global_store_b16 v[12:13], v18, off
.LBB216_302:
	s_or_b32 exec_lo, exec_lo, s4
	v_add_nc_u32_e32 v18, 0x68, v49
	s_delay_alu instid0(VALU_DEP_1) | instskip(SKIP_2) | instid1(VALU_DEP_3)
	v_mad_i64_i32 v[12:13], null, v18, s6, 0
	v_mad_i64_i32 v[16:17], null, v18, s5, 0
	v_cmp_gt_i32_e64 s4, s17, v18
	v_lshlrev_b64 v[12:13], 1, v[12:13]
	s_delay_alu instid0(VALU_DEP_2) | instskip(NEXT) | instid1(VALU_DEP_3)
	s_and_b32 s12, s0, s4
	v_lshlrev_b64 v[18:19], 1, v[16:17]
	s_delay_alu instid0(VALU_DEP_2) | instskip(NEXT) | instid1(VALU_DEP_3)
	v_add_co_u32 v16, vcc_lo, s10, v12
	v_add_co_ci_u32_e32 v17, vcc_lo, s11, v13, vcc_lo
	s_delay_alu instid0(VALU_DEP_3) | instskip(NEXT) | instid1(VALU_DEP_4)
	v_add_co_u32 v12, vcc_lo, s7, v18
	v_add_co_ci_u32_e32 v13, vcc_lo, s8, v19, vcc_lo
	s_and_saveexec_b32 s9, s12
	s_cbranch_execnz .LBB216_306
; %bb.303:
	s_or_b32 exec_lo, exec_lo, s9
	s_and_b32 s12, s1, s4
	s_delay_alu instid0(SALU_CYCLE_1)
	s_and_saveexec_b32 s9, s12
	s_cbranch_execnz .LBB216_310
.LBB216_304:
	s_or_b32 exec_lo, exec_lo, s9
	s_and_b32 s12, s2, s4
	s_delay_alu instid0(SALU_CYCLE_1)
	s_and_saveexec_b32 s9, s12
	s_cbranch_execnz .LBB216_314
.LBB216_305:
	s_or_b32 exec_lo, exec_lo, s9
	s_and_b32 s9, s3, s4
	s_delay_alu instid0(SALU_CYCLE_1)
	s_and_saveexec_b32 s4, s9
	s_cbranch_execnz .LBB216_318
	s_branch .LBB216_322
.LBB216_306:
	v_cmp_ne_u32_e32 vcc_lo, 1, v48
	s_cbranch_vccnz .LBB216_308
; %bb.307:
	v_lshlrev_b64 v[18:19], 1, v[40:41]
	s_delay_alu instid0(VALU_DEP_1) | instskip(NEXT) | instid1(VALU_DEP_2)
	v_add_co_u32 v18, vcc_lo, v16, v18
	v_add_co_ci_u32_e32 v19, vcc_lo, v17, v19, vcc_lo
	flat_load_u16 v18, v[18:19]
	s_waitcnt vmcnt(0) lgkmcnt(0)
	v_mul_f16_e32 v18, v50, v18
	s_branch .LBB216_309
.LBB216_308:
	v_mov_b32_e32 v18, 0
.LBB216_309:
	v_pk_add_f16 v19, v8, v14
	v_pk_max_f16 v20, v62, v62
	v_pk_add_f16 v21, v9, v15
	s_delay_alu instid0(VALU_DEP_2) | instskip(NEXT) | instid1(VALU_DEP_1)
	v_pk_min_f16 v19, v20, v19
	v_pk_min_f16 v21, v19, v21
	v_lshlrev_b64 v[19:20], 1, v[40:41]
	s_delay_alu instid0(VALU_DEP_2) | instskip(NEXT) | instid1(VALU_DEP_1)
	v_lshrrev_b32_e32 v22, 16, v21
	v_min3_f16 v21, v18, v21, v22
	s_delay_alu instid0(VALU_DEP_3) | instskip(NEXT) | instid1(VALU_DEP_4)
	v_add_co_u32 v18, vcc_lo, v12, v19
	v_add_co_ci_u32_e32 v19, vcc_lo, v13, v20, vcc_lo
	global_store_b16 v[18:19], v21, off
	s_or_b32 exec_lo, exec_lo, s9
	s_and_b32 s12, s1, s4
	s_delay_alu instid0(SALU_CYCLE_1)
	s_and_saveexec_b32 s9, s12
	s_cbranch_execz .LBB216_304
.LBB216_310:
	v_cmp_ne_u32_e32 vcc_lo, 1, v48
	s_cbranch_vccnz .LBB216_312
; %bb.311:
	v_lshlrev_b64 v[18:19], 1, v[42:43]
	s_delay_alu instid0(VALU_DEP_1) | instskip(NEXT) | instid1(VALU_DEP_2)
	v_add_co_u32 v18, vcc_lo, v16, v18
	v_add_co_ci_u32_e32 v19, vcc_lo, v17, v19, vcc_lo
	flat_load_u16 v18, v[18:19]
	s_waitcnt vmcnt(0) lgkmcnt(0)
	v_mul_f16_e32 v18, v50, v18
	s_branch .LBB216_313
.LBB216_312:
	v_mov_b32_e32 v18, 0
.LBB216_313:
	v_pk_add_f16 v19, v10, v14
	v_pk_max_f16 v20, v61, v61
	v_pk_add_f16 v21, v11, v15
	s_delay_alu instid0(VALU_DEP_2) | instskip(NEXT) | instid1(VALU_DEP_1)
	v_pk_min_f16 v19, v20, v19
	v_pk_min_f16 v21, v19, v21
	v_lshlrev_b64 v[19:20], 1, v[42:43]
	s_delay_alu instid0(VALU_DEP_2) | instskip(NEXT) | instid1(VALU_DEP_1)
	v_lshrrev_b32_e32 v22, 16, v21
	v_min3_f16 v21, v18, v21, v22
	s_delay_alu instid0(VALU_DEP_3) | instskip(NEXT) | instid1(VALU_DEP_4)
	v_add_co_u32 v18, vcc_lo, v12, v19
	v_add_co_ci_u32_e32 v19, vcc_lo, v13, v20, vcc_lo
	global_store_b16 v[18:19], v21, off
	s_or_b32 exec_lo, exec_lo, s9
	s_and_b32 s12, s2, s4
	s_delay_alu instid0(SALU_CYCLE_1)
	s_and_saveexec_b32 s9, s12
	s_cbranch_execz .LBB216_305
.LBB216_314:
	v_cmp_ne_u32_e32 vcc_lo, 1, v48
	s_cbranch_vccnz .LBB216_316
; %bb.315:
	v_lshlrev_b64 v[18:19], 1, v[44:45]
	s_delay_alu instid0(VALU_DEP_1) | instskip(NEXT) | instid1(VALU_DEP_2)
	v_add_co_u32 v18, vcc_lo, v16, v18
	v_add_co_ci_u32_e32 v19, vcc_lo, v17, v19, vcc_lo
	flat_load_u16 v18, v[18:19]
	s_waitcnt vmcnt(0) lgkmcnt(0)
	v_mul_f16_e32 v18, v50, v18
	s_branch .LBB216_317
.LBB216_316:
	v_mov_b32_e32 v18, 0
.LBB216_317:
	v_pk_add_f16 v19, v0, v14
	v_pk_max_f16 v20, v60, v60
	v_pk_add_f16 v21, v1, v15
	s_delay_alu instid0(VALU_DEP_2) | instskip(NEXT) | instid1(VALU_DEP_1)
	v_pk_min_f16 v19, v20, v19
	v_pk_min_f16 v21, v19, v21
	v_lshlrev_b64 v[19:20], 1, v[44:45]
	s_delay_alu instid0(VALU_DEP_2) | instskip(NEXT) | instid1(VALU_DEP_1)
	v_lshrrev_b32_e32 v22, 16, v21
	v_min3_f16 v21, v18, v21, v22
	s_delay_alu instid0(VALU_DEP_3) | instskip(NEXT) | instid1(VALU_DEP_4)
	v_add_co_u32 v18, vcc_lo, v12, v19
	v_add_co_ci_u32_e32 v19, vcc_lo, v13, v20, vcc_lo
	global_store_b16 v[18:19], v21, off
	s_or_b32 exec_lo, exec_lo, s9
	s_and_b32 s9, s3, s4
	s_delay_alu instid0(SALU_CYCLE_1)
	s_and_saveexec_b32 s4, s9
	s_cbranch_execz .LBB216_322
.LBB216_318:
	v_cmp_ne_u32_e32 vcc_lo, 1, v48
	s_cbranch_vccnz .LBB216_320
; %bb.319:
	v_lshlrev_b64 v[18:19], 1, v[46:47]
	s_delay_alu instid0(VALU_DEP_1) | instskip(NEXT) | instid1(VALU_DEP_2)
	v_add_co_u32 v16, vcc_lo, v16, v18
	v_add_co_ci_u32_e32 v17, vcc_lo, v17, v19, vcc_lo
	flat_load_u16 v16, v[16:17]
	s_waitcnt vmcnt(0) lgkmcnt(0)
	v_mul_f16_e32 v16, v50, v16
	s_branch .LBB216_321
.LBB216_320:
	v_mov_b32_e32 v16, 0
.LBB216_321:
	v_pk_add_f16 v14, v2, v14
	v_pk_max_f16 v17, v59, v59
	v_pk_add_f16 v15, v3, v15
	s_delay_alu instid0(VALU_DEP_2) | instskip(NEXT) | instid1(VALU_DEP_1)
	v_pk_min_f16 v14, v17, v14
	v_pk_min_f16 v17, v14, v15
	v_lshlrev_b64 v[14:15], 1, v[46:47]
	s_delay_alu instid0(VALU_DEP_2) | instskip(NEXT) | instid1(VALU_DEP_2)
	v_lshrrev_b32_e32 v18, 16, v17
	v_add_co_u32 v12, vcc_lo, v12, v14
	s_delay_alu instid0(VALU_DEP_3) | instskip(NEXT) | instid1(VALU_DEP_3)
	v_add_co_ci_u32_e32 v13, vcc_lo, v13, v15, vcc_lo
	v_min3_f16 v16, v16, v17, v18
	global_store_b16 v[12:13], v16, off
.LBB216_322:
	s_or_b32 exec_lo, exec_lo, s4
	v_add_nc_u32_e32 v16, 0x70, v49
	s_delay_alu instid0(VALU_DEP_1) | instskip(SKIP_2) | instid1(VALU_DEP_3)
	v_mad_i64_i32 v[12:13], null, v16, s6, 0
	v_mad_i64_i32 v[14:15], null, v16, s5, 0
	v_cmp_gt_i32_e64 s4, s17, v16
	v_lshlrev_b64 v[12:13], 1, v[12:13]
	s_delay_alu instid0(VALU_DEP_2) | instskip(NEXT) | instid1(VALU_DEP_3)
	s_and_b32 s12, s0, s4
	v_lshlrev_b64 v[16:17], 1, v[14:15]
	s_delay_alu instid0(VALU_DEP_2) | instskip(NEXT) | instid1(VALU_DEP_3)
	v_add_co_u32 v14, vcc_lo, s10, v12
	v_add_co_ci_u32_e32 v15, vcc_lo, s11, v13, vcc_lo
	s_delay_alu instid0(VALU_DEP_3) | instskip(NEXT) | instid1(VALU_DEP_4)
	v_add_co_u32 v12, vcc_lo, s7, v16
	v_add_co_ci_u32_e32 v13, vcc_lo, s8, v17, vcc_lo
	s_and_saveexec_b32 s9, s12
	s_cbranch_execnz .LBB216_326
; %bb.323:
	s_or_b32 exec_lo, exec_lo, s9
	s_and_b32 s12, s1, s4
	s_delay_alu instid0(SALU_CYCLE_1)
	s_and_saveexec_b32 s9, s12
	s_cbranch_execnz .LBB216_330
.LBB216_324:
	s_or_b32 exec_lo, exec_lo, s9
	s_and_b32 s12, s2, s4
	s_delay_alu instid0(SALU_CYCLE_1)
	s_and_saveexec_b32 s9, s12
	s_cbranch_execnz .LBB216_334
.LBB216_325:
	s_or_b32 exec_lo, exec_lo, s9
	s_and_b32 s9, s3, s4
	s_delay_alu instid0(SALU_CYCLE_1)
	s_and_saveexec_b32 s4, s9
	s_cbranch_execnz .LBB216_338
	s_branch .LBB216_342
.LBB216_326:
	v_cmp_ne_u32_e32 vcc_lo, 1, v48
	s_cbranch_vccnz .LBB216_328
; %bb.327:
	v_lshlrev_b64 v[16:17], 1, v[40:41]
	s_delay_alu instid0(VALU_DEP_1) | instskip(NEXT) | instid1(VALU_DEP_2)
	v_add_co_u32 v16, vcc_lo, v14, v16
	v_add_co_ci_u32_e32 v17, vcc_lo, v15, v17, vcc_lo
	flat_load_u16 v16, v[16:17]
	s_waitcnt vmcnt(0) lgkmcnt(0)
	v_mul_f16_e32 v16, v50, v16
	s_branch .LBB216_329
.LBB216_328:
	v_mov_b32_e32 v16, 0
.LBB216_329:
	v_pk_add_f16 v17, v8, v4
	v_pk_max_f16 v18, v58, v58
	v_pk_add_f16 v19, v9, v5
	s_delay_alu instid0(VALU_DEP_2) | instskip(NEXT) | instid1(VALU_DEP_1)
	v_pk_min_f16 v17, v18, v17
	v_pk_min_f16 v19, v17, v19
	v_lshlrev_b64 v[17:18], 1, v[40:41]
	s_delay_alu instid0(VALU_DEP_2) | instskip(NEXT) | instid1(VALU_DEP_1)
	v_lshrrev_b32_e32 v20, 16, v19
	v_min3_f16 v19, v16, v19, v20
	s_delay_alu instid0(VALU_DEP_3) | instskip(NEXT) | instid1(VALU_DEP_4)
	v_add_co_u32 v16, vcc_lo, v12, v17
	v_add_co_ci_u32_e32 v17, vcc_lo, v13, v18, vcc_lo
	global_store_b16 v[16:17], v19, off
	s_or_b32 exec_lo, exec_lo, s9
	s_and_b32 s12, s1, s4
	s_delay_alu instid0(SALU_CYCLE_1)
	s_and_saveexec_b32 s9, s12
	s_cbranch_execz .LBB216_324
.LBB216_330:
	v_cmp_ne_u32_e32 vcc_lo, 1, v48
	s_cbranch_vccnz .LBB216_332
; %bb.331:
	v_lshlrev_b64 v[16:17], 1, v[42:43]
	s_delay_alu instid0(VALU_DEP_1) | instskip(NEXT) | instid1(VALU_DEP_2)
	v_add_co_u32 v16, vcc_lo, v14, v16
	v_add_co_ci_u32_e32 v17, vcc_lo, v15, v17, vcc_lo
	flat_load_u16 v16, v[16:17]
	s_waitcnt vmcnt(0) lgkmcnt(0)
	v_mul_f16_e32 v16, v50, v16
	s_branch .LBB216_333
.LBB216_332:
	v_mov_b32_e32 v16, 0
.LBB216_333:
	v_pk_add_f16 v17, v10, v4
	v_pk_max_f16 v18, v57, v57
	v_pk_add_f16 v19, v11, v5
	s_delay_alu instid0(VALU_DEP_2) | instskip(NEXT) | instid1(VALU_DEP_1)
	v_pk_min_f16 v17, v18, v17
	v_pk_min_f16 v19, v17, v19
	v_lshlrev_b64 v[17:18], 1, v[42:43]
	s_delay_alu instid0(VALU_DEP_2) | instskip(NEXT) | instid1(VALU_DEP_1)
	v_lshrrev_b32_e32 v20, 16, v19
	v_min3_f16 v19, v16, v19, v20
	s_delay_alu instid0(VALU_DEP_3) | instskip(NEXT) | instid1(VALU_DEP_4)
	v_add_co_u32 v16, vcc_lo, v12, v17
	v_add_co_ci_u32_e32 v17, vcc_lo, v13, v18, vcc_lo
	global_store_b16 v[16:17], v19, off
	s_or_b32 exec_lo, exec_lo, s9
	s_and_b32 s12, s2, s4
	s_delay_alu instid0(SALU_CYCLE_1)
	s_and_saveexec_b32 s9, s12
	s_cbranch_execz .LBB216_325
.LBB216_334:
	v_cmp_ne_u32_e32 vcc_lo, 1, v48
	s_cbranch_vccnz .LBB216_336
; %bb.335:
	v_lshlrev_b64 v[16:17], 1, v[44:45]
	s_delay_alu instid0(VALU_DEP_1) | instskip(NEXT) | instid1(VALU_DEP_2)
	v_add_co_u32 v16, vcc_lo, v14, v16
	v_add_co_ci_u32_e32 v17, vcc_lo, v15, v17, vcc_lo
	flat_load_u16 v16, v[16:17]
	s_waitcnt vmcnt(0) lgkmcnt(0)
	v_mul_f16_e32 v16, v50, v16
	s_branch .LBB216_337
.LBB216_336:
	v_mov_b32_e32 v16, 0
.LBB216_337:
	v_pk_add_f16 v17, v0, v4
	v_pk_max_f16 v18, v56, v56
	v_pk_add_f16 v19, v1, v5
	s_delay_alu instid0(VALU_DEP_2) | instskip(NEXT) | instid1(VALU_DEP_1)
	v_pk_min_f16 v17, v18, v17
	v_pk_min_f16 v19, v17, v19
	v_lshlrev_b64 v[17:18], 1, v[44:45]
	s_delay_alu instid0(VALU_DEP_2) | instskip(NEXT) | instid1(VALU_DEP_1)
	v_lshrrev_b32_e32 v20, 16, v19
	v_min3_f16 v19, v16, v19, v20
	s_delay_alu instid0(VALU_DEP_3) | instskip(NEXT) | instid1(VALU_DEP_4)
	v_add_co_u32 v16, vcc_lo, v12, v17
	v_add_co_ci_u32_e32 v17, vcc_lo, v13, v18, vcc_lo
	global_store_b16 v[16:17], v19, off
	s_or_b32 exec_lo, exec_lo, s9
	s_and_b32 s9, s3, s4
	s_delay_alu instid0(SALU_CYCLE_1)
	s_and_saveexec_b32 s4, s9
	s_cbranch_execz .LBB216_342
.LBB216_338:
	v_cmp_ne_u32_e32 vcc_lo, 1, v48
	s_cbranch_vccnz .LBB216_340
; %bb.339:
	v_lshlrev_b64 v[16:17], 1, v[46:47]
	s_delay_alu instid0(VALU_DEP_1) | instskip(NEXT) | instid1(VALU_DEP_2)
	v_add_co_u32 v14, vcc_lo, v14, v16
	v_add_co_ci_u32_e32 v15, vcc_lo, v15, v17, vcc_lo
	flat_load_u16 v14, v[14:15]
	s_waitcnt vmcnt(0) lgkmcnt(0)
	v_mul_f16_e32 v14, v50, v14
	s_branch .LBB216_341
.LBB216_340:
	v_mov_b32_e32 v14, 0
.LBB216_341:
	v_pk_add_f16 v4, v2, v4
	v_pk_max_f16 v15, v55, v55
	v_pk_add_f16 v5, v3, v5
	s_delay_alu instid0(VALU_DEP_2) | instskip(NEXT) | instid1(VALU_DEP_1)
	v_pk_min_f16 v4, v15, v4
	v_pk_min_f16 v15, v4, v5
	v_lshlrev_b64 v[4:5], 1, v[46:47]
	s_delay_alu instid0(VALU_DEP_2) | instskip(NEXT) | instid1(VALU_DEP_2)
	v_lshrrev_b32_e32 v16, 16, v15
	v_add_co_u32 v4, vcc_lo, v12, v4
	s_delay_alu instid0(VALU_DEP_3) | instskip(NEXT) | instid1(VALU_DEP_3)
	v_add_co_ci_u32_e32 v5, vcc_lo, v13, v5, vcc_lo
	v_min3_f16 v14, v14, v15, v16
	global_store_b16 v[4:5], v14, off
.LBB216_342:
	s_or_b32 exec_lo, exec_lo, s4
	v_add_nc_u32_e32 v14, 0x78, v49
	s_delay_alu instid0(VALU_DEP_1) | instskip(SKIP_2) | instid1(VALU_DEP_3)
	v_mad_i64_i32 v[4:5], null, v14, s6, 0
	v_mad_i64_i32 v[12:13], null, v14, s5, 0
	v_cmp_gt_i32_e64 s4, s17, v14
	v_lshlrev_b64 v[4:5], 1, v[4:5]
	s_delay_alu instid0(VALU_DEP_2) | instskip(NEXT) | instid1(VALU_DEP_3)
	s_and_b32 s5, s0, s4
	v_lshlrev_b64 v[12:13], 1, v[12:13]
	s_delay_alu instid0(VALU_DEP_2) | instskip(NEXT) | instid1(VALU_DEP_3)
	v_add_co_u32 v14, vcc_lo, s10, v4
	v_add_co_ci_u32_e32 v15, vcc_lo, s11, v5, vcc_lo
	s_delay_alu instid0(VALU_DEP_3) | instskip(NEXT) | instid1(VALU_DEP_4)
	v_add_co_u32 v12, vcc_lo, s7, v12
	v_add_co_ci_u32_e32 v13, vcc_lo, s8, v13, vcc_lo
	s_and_saveexec_b32 s0, s5
	s_cbranch_execnz .LBB216_347
; %bb.343:
	s_or_b32 exec_lo, exec_lo, s0
	s_and_b32 s1, s1, s4
	s_delay_alu instid0(SALU_CYCLE_1)
	s_and_saveexec_b32 s0, s1
	s_cbranch_execnz .LBB216_351
.LBB216_344:
	s_or_b32 exec_lo, exec_lo, s0
	s_and_b32 s1, s2, s4
	s_delay_alu instid0(SALU_CYCLE_1)
	s_and_saveexec_b32 s0, s1
	s_cbranch_execnz .LBB216_355
.LBB216_345:
	s_or_b32 exec_lo, exec_lo, s0
	s_and_b32 s0, s3, s4
	s_delay_alu instid0(SALU_CYCLE_1)
	s_and_saveexec_b32 s1, s0
	s_cbranch_execnz .LBB216_359
.LBB216_346:
	s_nop 0
	s_sendmsg sendmsg(MSG_DEALLOC_VGPRS)
	s_endpgm
.LBB216_347:
	v_cmp_ne_u32_e32 vcc_lo, 1, v48
	v_lshlrev_b64 v[4:5], 1, v[40:41]
	s_cbranch_vccnz .LBB216_349
; %bb.348:
	s_delay_alu instid0(VALU_DEP_1) | instskip(NEXT) | instid1(VALU_DEP_2)
	v_add_co_u32 v16, vcc_lo, v14, v4
	v_add_co_ci_u32_e32 v17, vcc_lo, v15, v5, vcc_lo
	flat_load_u16 v16, v[16:17]
	s_waitcnt vmcnt(0) lgkmcnt(0)
	v_mul_f16_e32 v16, v50, v16
	s_branch .LBB216_350
.LBB216_349:
	v_mov_b32_e32 v16, 0
.LBB216_350:
	v_pk_add_f16 v8, v8, v6
	v_pk_max_f16 v17, v54, v54
	v_pk_add_f16 v9, v9, v7
	v_add_co_u32 v4, vcc_lo, v12, v4
	v_add_co_ci_u32_e32 v5, vcc_lo, v13, v5, vcc_lo
	s_delay_alu instid0(VALU_DEP_4) | instskip(NEXT) | instid1(VALU_DEP_1)
	v_pk_min_f16 v8, v17, v8
	v_pk_min_f16 v8, v8, v9
	s_delay_alu instid0(VALU_DEP_1) | instskip(NEXT) | instid1(VALU_DEP_1)
	v_lshrrev_b32_e32 v9, 16, v8
	v_min3_f16 v8, v16, v8, v9
	global_store_b16 v[4:5], v8, off
	s_or_b32 exec_lo, exec_lo, s0
	s_and_b32 s1, s1, s4
	s_delay_alu instid0(SALU_CYCLE_1)
	s_and_saveexec_b32 s0, s1
	s_cbranch_execz .LBB216_344
.LBB216_351:
	v_cmp_ne_u32_e32 vcc_lo, 1, v48
	v_lshlrev_b64 v[4:5], 1, v[42:43]
	s_cbranch_vccnz .LBB216_353
; %bb.352:
	s_delay_alu instid0(VALU_DEP_1) | instskip(NEXT) | instid1(VALU_DEP_2)
	v_add_co_u32 v8, vcc_lo, v14, v4
	v_add_co_ci_u32_e32 v9, vcc_lo, v15, v5, vcc_lo
	flat_load_u16 v8, v[8:9]
	s_waitcnt vmcnt(0) lgkmcnt(0)
	v_mul_f16_e32 v8, v50, v8
	s_branch .LBB216_354
.LBB216_353:
	v_mov_b32_e32 v8, 0
.LBB216_354:
	v_pk_add_f16 v9, v10, v6
	v_pk_max_f16 v10, v53, v53
	v_pk_add_f16 v11, v11, v7
	v_add_co_u32 v4, vcc_lo, v12, v4
	v_add_co_ci_u32_e32 v5, vcc_lo, v13, v5, vcc_lo
	s_delay_alu instid0(VALU_DEP_4) | instskip(NEXT) | instid1(VALU_DEP_1)
	v_pk_min_f16 v9, v10, v9
	v_pk_min_f16 v9, v9, v11
	s_delay_alu instid0(VALU_DEP_1) | instskip(NEXT) | instid1(VALU_DEP_1)
	v_lshrrev_b32_e32 v10, 16, v9
	v_min3_f16 v8, v8, v9, v10
	global_store_b16 v[4:5], v8, off
	s_or_b32 exec_lo, exec_lo, s0
	s_and_b32 s1, s2, s4
	s_delay_alu instid0(SALU_CYCLE_1)
	s_and_saveexec_b32 s0, s1
	s_cbranch_execz .LBB216_345
.LBB216_355:
	v_cmp_ne_u32_e32 vcc_lo, 1, v48
	v_lshlrev_b64 v[4:5], 1, v[44:45]
	s_cbranch_vccnz .LBB216_357
; %bb.356:
	s_delay_alu instid0(VALU_DEP_1) | instskip(NEXT) | instid1(VALU_DEP_2)
	v_add_co_u32 v8, vcc_lo, v14, v4
	v_add_co_ci_u32_e32 v9, vcc_lo, v15, v5, vcc_lo
	flat_load_u16 v8, v[8:9]
	s_waitcnt vmcnt(0) lgkmcnt(0)
	v_mul_f16_e32 v8, v50, v8
	s_branch .LBB216_358
.LBB216_357:
	v_mov_b32_e32 v8, 0
.LBB216_358:
	v_pk_add_f16 v0, v0, v6
	v_pk_max_f16 v9, v52, v52
	v_pk_add_f16 v1, v1, v7
	s_delay_alu instid0(VALU_DEP_2) | instskip(NEXT) | instid1(VALU_DEP_1)
	v_pk_min_f16 v0, v9, v0
	v_pk_min_f16 v0, v0, v1
	s_delay_alu instid0(VALU_DEP_1) | instskip(NEXT) | instid1(VALU_DEP_1)
	v_lshrrev_b32_e32 v1, 16, v0
	v_min3_f16 v8, v8, v0, v1
	v_add_co_u32 v0, vcc_lo, v12, v4
	v_add_co_ci_u32_e32 v1, vcc_lo, v13, v5, vcc_lo
	global_store_b16 v[0:1], v8, off
	s_or_b32 exec_lo, exec_lo, s0
	s_and_b32 s0, s3, s4
	s_delay_alu instid0(SALU_CYCLE_1)
	s_and_saveexec_b32 s1, s0
	s_cbranch_execz .LBB216_346
.LBB216_359:
	v_cmp_ne_u32_e32 vcc_lo, 1, v48
	v_lshlrev_b64 v[0:1], 1, v[46:47]
	s_cbranch_vccnz .LBB216_361
; %bb.360:
	s_delay_alu instid0(VALU_DEP_1) | instskip(NEXT) | instid1(VALU_DEP_2)
	v_add_co_u32 v4, vcc_lo, v14, v0
	v_add_co_ci_u32_e32 v5, vcc_lo, v15, v1, vcc_lo
	flat_load_u16 v4, v[4:5]
	s_waitcnt vmcnt(0) lgkmcnt(0)
	v_mul_f16_e32 v4, v50, v4
	s_branch .LBB216_362
.LBB216_361:
	v_mov_b32_e32 v4, 0
.LBB216_362:
	v_pk_add_f16 v2, v2, v6
	v_pk_max_f16 v5, v51, v51
	v_pk_add_f16 v3, v3, v7
	v_add_co_u32 v0, vcc_lo, v12, v0
	v_add_co_ci_u32_e32 v1, vcc_lo, v13, v1, vcc_lo
	s_delay_alu instid0(VALU_DEP_4) | instskip(NEXT) | instid1(VALU_DEP_1)
	v_pk_min_f16 v2, v5, v2
	v_pk_min_f16 v2, v2, v3
	s_delay_alu instid0(VALU_DEP_1) | instskip(NEXT) | instid1(VALU_DEP_1)
	v_lshrrev_b32_e32 v3, 16, v2
	v_min3_f16 v2, v4, v2, v3
	global_store_b16 v[0:1], v2, off
	s_nop 0
	s_sendmsg sendmsg(MSG_DEALLOC_VGPRS)
	s_endpgm
	.section	.rodata,"a",@progbits
	.p2align	6, 0x0
	.amdhsa_kernel _ZN12_GLOBAL__N_120geam_min_plus_kernelIDF16_Dv2_DF16_S1_Li32ELi8ELi128ELi128ELi4ELi4ELi64ELi4ELi64ELc84ELc78ELb0ELb1ELb1EPKDF16_KS3_KPDF16_EEviiiT16_PT17_ilS9_ilS7_S9_ilPT18_ili26rocblas_geam_ex_operation_
		.amdhsa_group_segment_fixed_size 4096
		.amdhsa_private_segment_fixed_size 0
		.amdhsa_kernarg_size 136
		.amdhsa_user_sgpr_count 14
		.amdhsa_user_sgpr_dispatch_ptr 0
		.amdhsa_user_sgpr_queue_ptr 0
		.amdhsa_user_sgpr_kernarg_segment_ptr 1
		.amdhsa_user_sgpr_dispatch_id 0
		.amdhsa_user_sgpr_private_segment_size 0
		.amdhsa_wavefront_size32 1
		.amdhsa_uses_dynamic_stack 0
		.amdhsa_enable_private_segment 0
		.amdhsa_system_sgpr_workgroup_id_x 1
		.amdhsa_system_sgpr_workgroup_id_y 0
		.amdhsa_system_sgpr_workgroup_id_z 1
		.amdhsa_system_sgpr_workgroup_info 0
		.amdhsa_system_vgpr_workitem_id 1
		.amdhsa_next_free_vgpr 158
		.amdhsa_next_free_sgpr 26
		.amdhsa_reserve_vcc 1
		.amdhsa_float_round_mode_32 0
		.amdhsa_float_round_mode_16_64 0
		.amdhsa_float_denorm_mode_32 3
		.amdhsa_float_denorm_mode_16_64 3
		.amdhsa_dx10_clamp 1
		.amdhsa_ieee_mode 1
		.amdhsa_fp16_overflow 0
		.amdhsa_workgroup_processor_mode 1
		.amdhsa_memory_ordered 1
		.amdhsa_forward_progress 0
		.amdhsa_shared_vgpr_count 0
		.amdhsa_exception_fp_ieee_invalid_op 0
		.amdhsa_exception_fp_denorm_src 0
		.amdhsa_exception_fp_ieee_div_zero 0
		.amdhsa_exception_fp_ieee_overflow 0
		.amdhsa_exception_fp_ieee_underflow 0
		.amdhsa_exception_fp_ieee_inexact 0
		.amdhsa_exception_int_div_zero 0
	.end_amdhsa_kernel
	.section	.text._ZN12_GLOBAL__N_120geam_min_plus_kernelIDF16_Dv2_DF16_S1_Li32ELi8ELi128ELi128ELi4ELi4ELi64ELi4ELi64ELc84ELc78ELb0ELb1ELb1EPKDF16_KS3_KPDF16_EEviiiT16_PT17_ilS9_ilS7_S9_ilPT18_ili26rocblas_geam_ex_operation_,"axG",@progbits,_ZN12_GLOBAL__N_120geam_min_plus_kernelIDF16_Dv2_DF16_S1_Li32ELi8ELi128ELi128ELi4ELi4ELi64ELi4ELi64ELc84ELc78ELb0ELb1ELb1EPKDF16_KS3_KPDF16_EEviiiT16_PT17_ilS9_ilS7_S9_ilPT18_ili26rocblas_geam_ex_operation_,comdat
.Lfunc_end216:
	.size	_ZN12_GLOBAL__N_120geam_min_plus_kernelIDF16_Dv2_DF16_S1_Li32ELi8ELi128ELi128ELi4ELi4ELi64ELi4ELi64ELc84ELc78ELb0ELb1ELb1EPKDF16_KS3_KPDF16_EEviiiT16_PT17_ilS9_ilS7_S9_ilPT18_ili26rocblas_geam_ex_operation_, .Lfunc_end216-_ZN12_GLOBAL__N_120geam_min_plus_kernelIDF16_Dv2_DF16_S1_Li32ELi8ELi128ELi128ELi4ELi4ELi64ELi4ELi64ELc84ELc78ELb0ELb1ELb1EPKDF16_KS3_KPDF16_EEviiiT16_PT17_ilS9_ilS7_S9_ilPT18_ili26rocblas_geam_ex_operation_
                                        ; -- End function
	.section	.AMDGPU.csdata,"",@progbits
; Kernel info:
; codeLenInByte = 23700
; NumSgprs: 28
; NumVgprs: 158
; ScratchSize: 0
; MemoryBound: 0
; FloatMode: 240
; IeeeMode: 1
; LDSByteSize: 4096 bytes/workgroup (compile time only)
; SGPRBlocks: 3
; VGPRBlocks: 19
; NumSGPRsForWavesPerEU: 28
; NumVGPRsForWavesPerEU: 158
; Occupancy: 9
; WaveLimiterHint : 1
; COMPUTE_PGM_RSRC2:SCRATCH_EN: 0
; COMPUTE_PGM_RSRC2:USER_SGPR: 14
; COMPUTE_PGM_RSRC2:TRAP_HANDLER: 0
; COMPUTE_PGM_RSRC2:TGID_X_EN: 1
; COMPUTE_PGM_RSRC2:TGID_Y_EN: 0
; COMPUTE_PGM_RSRC2:TGID_Z_EN: 1
; COMPUTE_PGM_RSRC2:TIDIG_COMP_CNT: 1
	.section	.text._ZN12_GLOBAL__N_120geam_min_plus_kernelIDF16_Dv2_DF16_S1_Li32ELi8ELi128ELi128ELi4ELi4ELi64ELi4ELi64ELc84ELc78ELb1ELb1ELb1EDF16_KPKDF16_KPDF16_EEviiiT16_PT17_ilS9_ilS7_S9_ilPT18_ili26rocblas_geam_ex_operation_,"axG",@progbits,_ZN12_GLOBAL__N_120geam_min_plus_kernelIDF16_Dv2_DF16_S1_Li32ELi8ELi128ELi128ELi4ELi4ELi64ELi4ELi64ELc84ELc78ELb1ELb1ELb1EDF16_KPKDF16_KPDF16_EEviiiT16_PT17_ilS9_ilS7_S9_ilPT18_ili26rocblas_geam_ex_operation_,comdat
	.globl	_ZN12_GLOBAL__N_120geam_min_plus_kernelIDF16_Dv2_DF16_S1_Li32ELi8ELi128ELi128ELi4ELi4ELi64ELi4ELi64ELc84ELc78ELb1ELb1ELb1EDF16_KPKDF16_KPDF16_EEviiiT16_PT17_ilS9_ilS7_S9_ilPT18_ili26rocblas_geam_ex_operation_ ; -- Begin function _ZN12_GLOBAL__N_120geam_min_plus_kernelIDF16_Dv2_DF16_S1_Li32ELi8ELi128ELi128ELi4ELi4ELi64ELi4ELi64ELc84ELc78ELb1ELb1ELb1EDF16_KPKDF16_KPDF16_EEviiiT16_PT17_ilS9_ilS7_S9_ilPT18_ili26rocblas_geam_ex_operation_
	.p2align	8
	.type	_ZN12_GLOBAL__N_120geam_min_plus_kernelIDF16_Dv2_DF16_S1_Li32ELi8ELi128ELi128ELi4ELi4ELi64ELi4ELi64ELc84ELc78ELb1ELb1ELb1EDF16_KPKDF16_KPDF16_EEviiiT16_PT17_ilS9_ilS7_S9_ilPT18_ili26rocblas_geam_ex_operation_,@function
_ZN12_GLOBAL__N_120geam_min_plus_kernelIDF16_Dv2_DF16_S1_Li32ELi8ELi128ELi128ELi4ELi4ELi64ELi4ELi64ELc84ELc78ELb1ELb1ELb1EDF16_KPKDF16_KPDF16_EEviiiT16_PT17_ilS9_ilS7_S9_ilPT18_ili26rocblas_geam_ex_operation_: ; @_ZN12_GLOBAL__N_120geam_min_plus_kernelIDF16_Dv2_DF16_S1_Li32ELi8ELi128ELi128ELi4ELi4ELi64ELi4ELi64ELc84ELc78ELb1ELb1ELb1EDF16_KPKDF16_KPDF16_EEviiiT16_PT17_ilS9_ilS7_S9_ilPT18_ili26rocblas_geam_ex_operation_
; %bb.0:
	s_clause 0x1
	s_load_b128 s[8:11], s[0:1], 0x0
	s_load_b128 s[4:7], s[0:1], 0x20
	s_mov_b32 s2, s15
	s_mov_b32 s3, 0
	s_waitcnt lgkmcnt(0)
	v_cmp_eq_f16_e64 s11, s11, 0
	s_delay_alu instid0(VALU_DEP_1)
	s_and_b32 vcc_lo, exec_lo, s11
	s_cbranch_vccnz .LBB217_3
; %bb.1:
	s_load_b64 s[12:13], s[0:1], 0x10
	s_lshl_b64 s[16:17], s[2:3], 3
	s_waitcnt lgkmcnt(0)
	s_add_u32 s12, s12, s16
	s_addc_u32 s13, s13, s17
	s_lshl_b64 s[4:5], s[4:5], 1
	s_load_b64 s[12:13], s[12:13], 0x0
	s_waitcnt lgkmcnt(0)
	s_add_u32 s18, s12, s4
	s_addc_u32 s19, s13, s5
	s_and_not1_b32 vcc_lo, exec_lo, s11
	s_cbranch_vccnz .LBB217_4
.LBB217_2:
	s_mov_b64 s[20:21], 0
	s_and_not1_b32 vcc_lo, exec_lo, s3
	s_cbranch_vccz .LBB217_5
	s_branch .LBB217_6
.LBB217_3:
	s_mov_b64 s[18:19], 0
	s_and_not1_b32 vcc_lo, exec_lo, s11
	s_cbranch_vccz .LBB217_2
.LBB217_4:
	s_mov_b32 s3, -1
                                        ; implicit-def: $sgpr20_sgpr21
.LBB217_5:
	s_mov_b32 s3, 0
	s_load_b64 s[12:13], s[0:1], 0x38
	s_lshl_b64 s[4:5], s[2:3], 3
	s_delay_alu instid0(SALU_CYCLE_1) | instskip(SKIP_4) | instid1(SALU_CYCLE_1)
	s_add_u32 s4, s6, s4
	s_addc_u32 s5, s7, s5
	s_load_b64 s[4:5], s[4:5], 0x0
	s_waitcnt lgkmcnt(0)
	s_lshl_b64 s[6:7], s[12:13], 1
	s_add_u32 s20, s4, s6
	s_addc_u32 s21, s5, s7
.LBB217_6:
	s_clause 0x1
	s_load_b32 s11, s[0:1], 0x40
	s_load_b128 s[4:7], s[0:1], 0x58
	s_waitcnt lgkmcnt(0)
	v_cmp_eq_f16_e64 s12, s11, 0
	v_cmp_neq_f16_e64 s15, s11, 0
	s_delay_alu instid0(VALU_DEP_2)
	s_and_b32 vcc_lo, exec_lo, s12
	s_cbranch_vccnz .LBB217_8
; %bb.7:
	s_load_b64 s[12:13], s[0:1], 0x48
	s_lshl_b64 s[16:17], s[2:3], 3
	s_waitcnt lgkmcnt(0)
	s_add_u32 s12, s12, s16
	s_addc_u32 s13, s13, s17
	s_lshl_b64 s[4:5], s[4:5], 1
	s_load_b64 s[12:13], s[12:13], 0x0
	s_waitcnt lgkmcnt(0)
	s_add_u32 s12, s12, s4
	s_addc_u32 s13, s13, s5
	s_branch .LBB217_9
.LBB217_8:
	s_mov_b64 s[12:13], 0
.LBB217_9:
	s_lshl_b64 s[2:3], s[2:3], 3
	v_and_b32_e32 v40, 0x3ff, v0
	s_add_u32 s2, s6, s2
	s_addc_u32 s3, s7, s3
	s_add_i32 s4, s8, -1
	v_bfe_u32 v41, v0, 10, 10
	s_ashr_i32 s5, s4, 31
	s_load_b32 s22, s[0:1], 0x18
	s_lshr_b32 s5, s5, 25
	v_and_b32_e32 v42, 3, v40
	s_add_i32 s4, s4, s5
	v_lshl_add_u32 v0, v41, 5, v40
	s_ashr_i32 s4, s4, 7
	v_mov_b32_e32 v10, 0x7c00
	s_add_i32 s5, s4, 1
	s_not_b32 s4, s4
	v_cvt_f32_u32_e32 v1, s5
	v_lshrrev_b32_e32 v8, 2, v0
	v_lshlrev_b32_e32 v43, 1, v42
	v_mov_b32_e32 v9, 0x7c00
	s_delay_alu instid0(VALU_DEP_4) | instskip(SKIP_2) | instid1(VALU_DEP_1)
	v_rcp_iflag_f32_e32 v1, v1
	s_waitcnt_depctr 0xfff
	v_mul_f32_e32 v1, 0x4f7ffffe, v1
	v_cvt_u32_f32_e32 v1, v1
	s_delay_alu instid0(VALU_DEP_1) | instskip(NEXT) | instid1(VALU_DEP_1)
	v_readfirstlane_b32 s6, v1
	s_mul_i32 s4, s4, s6
	s_delay_alu instid0(SALU_CYCLE_1) | instskip(NEXT) | instid1(SALU_CYCLE_1)
	s_mul_hi_u32 s4, s6, s4
	s_add_i32 s6, s6, s4
	s_delay_alu instid0(SALU_CYCLE_1) | instskip(NEXT) | instid1(SALU_CYCLE_1)
	s_mul_hi_u32 s4, s14, s6
	s_mul_i32 s6, s4, s5
	s_add_i32 s7, s4, 1
	s_sub_i32 s6, s14, s6
	s_delay_alu instid0(SALU_CYCLE_1)
	s_sub_i32 s16, s6, s5
	s_cmp_ge_u32 s6, s5
	s_cselect_b32 s4, s7, s4
	s_cselect_b32 s6, s16, s6
	s_add_i32 s7, s4, 1
	s_cmp_ge_u32 s6, s5
	s_load_b64 s[16:17], s[2:3], 0x0
	s_cselect_b32 s4, s7, s4
	s_delay_alu instid0(SALU_CYCLE_1) | instskip(SKIP_2) | instid1(SALU_CYCLE_1)
	s_mul_i32 s2, s4, s5
	v_cmp_le_i32_e64 s5, s10, v42
	s_sub_i32 s2, s14, s2
	s_lshl_b32 s7, s2, 7
	v_add_co_u32 v6, s2, s18, v43
	v_add_nc_u32_e32 v0, s7, v8
	v_add_co_ci_u32_e64 v7, null, s19, 0, s2
	s_delay_alu instid0(VALU_DEP_2) | instskip(SKIP_1) | instid1(SALU_CYCLE_1)
	v_cmp_le_i32_e32 vcc_lo, s8, v0
	s_or_b32 s2, s5, vcc_lo
	s_xor_b32 s2, s2, -1
	s_delay_alu instid0(SALU_CYCLE_1)
	s_and_saveexec_b32 s3, s2
	s_cbranch_execz .LBB217_11
; %bb.10:
	s_waitcnt lgkmcnt(0)
	v_mad_i64_i32 v[1:2], null, v0, s22, 0
	s_delay_alu instid0(VALU_DEP_1) | instskip(NEXT) | instid1(VALU_DEP_1)
	v_lshlrev_b64 v[1:2], 1, v[1:2]
	v_add_co_u32 v1, s2, v6, v1
	s_delay_alu instid0(VALU_DEP_1)
	v_add_co_ci_u32_e64 v2, s2, v7, v2, s2
	flat_load_u16 v10, v[1:2]
.LBB217_11:
	s_or_b32 exec_lo, exec_lo, s3
	v_add_nc_u32_e32 v1, 64, v0
	s_delay_alu instid0(VALU_DEP_1) | instskip(NEXT) | instid1(VALU_DEP_1)
	v_cmp_le_i32_e64 s2, s8, v1
	s_or_b32 s3, s5, s2
	s_delay_alu instid0(SALU_CYCLE_1) | instskip(NEXT) | instid1(SALU_CYCLE_1)
	s_xor_b32 s3, s3, -1
	s_and_saveexec_b32 s6, s3
	s_cbranch_execz .LBB217_13
; %bb.12:
	s_waitcnt lgkmcnt(0)
	v_mad_i64_i32 v[2:3], null, v1, s22, 0
	s_delay_alu instid0(VALU_DEP_1) | instskip(NEXT) | instid1(VALU_DEP_1)
	v_lshlrev_b64 v[2:3], 1, v[2:3]
	v_add_co_u32 v2, s3, v6, v2
	s_delay_alu instid0(VALU_DEP_1)
	v_add_co_ci_u32_e64 v3, s3, v7, v3, s3
	flat_load_u16 v9, v[2:3]
.LBB217_13:
	s_or_b32 exec_lo, exec_lo, s6
	s_load_b32 s23, s[0:1], 0x30
	s_lshl_b32 s14, s4, 7
	s_delay_alu instid0(SALU_CYCLE_1) | instskip(SKIP_1) | instid1(VALU_DEP_1)
	v_dual_mov_b32 v11, 0x7c00 :: v_dual_add_nc_u32 v2, s14, v8
	v_add_co_u32 v13, s4, s20, v43
	v_add_co_ci_u32_e64 v14, null, s21, 0, s4
	s_delay_alu instid0(VALU_DEP_3) | instskip(SKIP_1) | instid1(VALU_DEP_2)
	v_cmp_le_i32_e64 s3, s9, v2
	v_mov_b32_e32 v12, 0x7c00
	s_or_b32 s4, s5, s3
	s_delay_alu instid0(SALU_CYCLE_1) | instskip(NEXT) | instid1(SALU_CYCLE_1)
	s_xor_b32 s4, s4, -1
	s_and_saveexec_b32 s6, s4
	s_cbranch_execz .LBB217_15
; %bb.14:
	s_waitcnt lgkmcnt(0)
	v_mad_i64_i32 v[3:4], null, v2, s23, 0
	s_delay_alu instid0(VALU_DEP_1) | instskip(NEXT) | instid1(VALU_DEP_1)
	v_lshlrev_b64 v[3:4], 1, v[3:4]
	v_add_co_u32 v3, s4, v13, v3
	s_delay_alu instid0(VALU_DEP_1)
	v_add_co_ci_u32_e64 v4, s4, v14, v4, s4
	flat_load_u16 v12, v[3:4]
.LBB217_15:
	s_or_b32 exec_lo, exec_lo, s6
	v_add_nc_u32_e32 v3, 64, v2
	s_delay_alu instid0(VALU_DEP_1) | instskip(NEXT) | instid1(VALU_DEP_1)
	v_cmp_le_i32_e64 s4, s9, v3
	s_or_b32 s5, s5, s4
	s_delay_alu instid0(SALU_CYCLE_1) | instskip(NEXT) | instid1(SALU_CYCLE_1)
	s_xor_b32 s5, s5, -1
	s_and_saveexec_b32 s6, s5
	s_cbranch_execz .LBB217_17
; %bb.16:
	s_waitcnt lgkmcnt(0)
	v_mad_i64_i32 v[4:5], null, v3, s23, 0
	s_delay_alu instid0(VALU_DEP_1) | instskip(NEXT) | instid1(VALU_DEP_1)
	v_lshlrev_b64 v[4:5], 1, v[4:5]
	v_add_co_u32 v4, s5, v13, v4
	s_delay_alu instid0(VALU_DEP_1)
	v_add_co_ci_u32_e64 v5, s5, v14, v5, s5
	flat_load_u16 v11, v[4:5]
.LBB217_17:
	s_or_b32 exec_lo, exec_lo, s6
	v_or_b32_e32 v4, 4, v42
	v_mov_b32_e32 v5, 0x7c00
	s_delay_alu instid0(VALU_DEP_2) | instskip(SKIP_1) | instid1(VALU_DEP_2)
	v_cmp_le_i32_e64 s5, s10, v4
	v_mov_b32_e32 v4, 0x7c00
	s_or_b32 s6, s5, vcc_lo
	s_delay_alu instid0(SALU_CYCLE_1) | instskip(NEXT) | instid1(SALU_CYCLE_1)
	s_xor_b32 s6, s6, -1
	s_and_saveexec_b32 s24, s6
	s_cbranch_execz .LBB217_19
; %bb.18:
	s_waitcnt lgkmcnt(0)
	v_mad_i64_i32 v[15:16], null, v0, s22, 0
	s_delay_alu instid0(VALU_DEP_1) | instskip(NEXT) | instid1(VALU_DEP_1)
	v_lshlrev_b64 v[15:16], 1, v[15:16]
	v_add_co_u32 v15, s6, v6, v15
	s_delay_alu instid0(VALU_DEP_1)
	v_add_co_ci_u32_e64 v16, s6, v7, v16, s6
	flat_load_u16 v5, v[15:16] offset:8
.LBB217_19:
	s_or_b32 exec_lo, exec_lo, s24
	s_or_b32 s6, s5, s2
	s_delay_alu instid0(SALU_CYCLE_1) | instskip(NEXT) | instid1(SALU_CYCLE_1)
	s_xor_b32 s6, s6, -1
	s_and_saveexec_b32 s24, s6
	s_cbranch_execz .LBB217_21
; %bb.20:
	s_waitcnt lgkmcnt(0)
	v_mad_i64_i32 v[15:16], null, v1, s22, 0
	s_delay_alu instid0(VALU_DEP_1) | instskip(NEXT) | instid1(VALU_DEP_1)
	v_lshlrev_b64 v[15:16], 1, v[15:16]
	v_add_co_u32 v6, s6, v6, v15
	s_delay_alu instid0(VALU_DEP_1)
	v_add_co_ci_u32_e64 v7, s6, v7, v16, s6
	flat_load_u16 v4, v[6:7] offset:8
.LBB217_21:
	s_or_b32 exec_lo, exec_lo, s24
	v_dual_mov_b32 v6, 0x7c00 :: v_dual_mov_b32 v7, 0x7c00
	s_or_b32 s6, s5, s3
	s_delay_alu instid0(SALU_CYCLE_1) | instskip(NEXT) | instid1(SALU_CYCLE_1)
	s_xor_b32 s6, s6, -1
	s_and_saveexec_b32 s24, s6
	s_cbranch_execz .LBB217_23
; %bb.22:
	s_waitcnt lgkmcnt(0)
	v_mad_i64_i32 v[15:16], null, v2, s23, 0
	s_delay_alu instid0(VALU_DEP_1) | instskip(NEXT) | instid1(VALU_DEP_1)
	v_lshlrev_b64 v[15:16], 1, v[15:16]
	v_add_co_u32 v15, s6, v13, v15
	s_delay_alu instid0(VALU_DEP_1)
	v_add_co_ci_u32_e64 v16, s6, v14, v16, s6
	flat_load_u16 v7, v[15:16] offset:8
.LBB217_23:
	s_or_b32 exec_lo, exec_lo, s24
	s_or_b32 s5, s5, s4
	s_delay_alu instid0(SALU_CYCLE_1) | instskip(NEXT) | instid1(SALU_CYCLE_1)
	s_xor_b32 s5, s5, -1
	s_and_saveexec_b32 s6, s5
	s_cbranch_execz .LBB217_25
; %bb.24:
	s_waitcnt lgkmcnt(0)
	v_mad_i64_i32 v[15:16], null, v3, s23, 0
	s_delay_alu instid0(VALU_DEP_1) | instskip(NEXT) | instid1(VALU_DEP_1)
	v_lshlrev_b64 v[15:16], 1, v[15:16]
	v_add_co_u32 v13, s5, v13, v15
	s_delay_alu instid0(VALU_DEP_1)
	v_add_co_ci_u32_e64 v14, s5, v14, v16, s5
	flat_load_u16 v6, v[13:14] offset:8
.LBB217_25:
	s_or_b32 exec_lo, exec_lo, s6
	v_lshlrev_b32_e32 v44, 3, v41
	v_lshl_or_b32 v46, v8, 3, v43
	v_lshlrev_b32_e32 v45, 3, v40
	s_cmp_lt_i32 s10, 9
	s_waitcnt vmcnt(0) lgkmcnt(0)
	ds_store_b16 v46, v10
	ds_store_b16 v46, v9 offset:512
	ds_store_b16 v46, v12 offset:2048
	;; [unrolled: 1-line block ×3, first 2 shown]
	v_add_nc_u32_e32 v51, 0x800, v44
	s_waitcnt lgkmcnt(0)
	s_barrier
	buffer_gl0_inv
	ds_load_2addr_b64 v[8:11], v45 offset1:32
	ds_load_2addr_b64 v[12:15], v51 offset1:8
	ds_load_2addr_b64 v[16:19], v45 offset0:64 offset1:96
	ds_load_2addr_b64 v[20:23], v51 offset0:16 offset1:24
	;; [unrolled: 1-line block ×7, first 2 shown]
	s_waitcnt lgkmcnt(7)
	v_pk_add_f16 v52, v8, v12
	v_pk_add_f16 v53, v10, v12
	s_waitcnt lgkmcnt(6)
	v_pk_add_f16 v54, v16, v12
	v_pk_add_f16 v12, v18, v12
	;; [unrolled: 1-line block ×6, first 2 shown]
	s_waitcnt lgkmcnt(5)
	v_pk_add_f16 v58, v8, v20
	v_pk_min_f16 v12, 0x7c00, v12 op_sel_hi:[0,1]
	v_pk_add_f16 v81, v9, v13
	v_pk_add_f16 v82, v11, v13
	;; [unrolled: 1-line block ×5, first 2 shown]
	v_pk_min_f16 v14, 0x7c00, v14 op_sel_hi:[0,1]
	v_pk_min_f16 v58, 0x7c00, v58 op_sel_hi:[0,1]
	v_pk_add_f16 v60, v16, v20
	v_pk_add_f16 v20, v18, v20
	;; [unrolled: 1-line block ×6, first 2 shown]
	v_pk_min_f16 v113, v12, v13
	v_pk_add_f16 v12, v9, v21
	v_pk_min_f16 v59, 0x7c00, v59 op_sel_hi:[0,1]
	v_pk_add_f16 v61, v8, v22
	v_pk_add_f16 v62, v10, v22
	;; [unrolled: 1-line block ×3, first 2 shown]
	v_pk_min_f16 v60, 0x7c00, v60 op_sel_hi:[0,1]
	v_pk_min_f16 v20, 0x7c00, v20 op_sel_hi:[0,1]
	v_pk_add_f16 v13, v11, v21
	v_pk_min_f16 v106, v14, v15
	v_pk_add_f16 v14, v17, v21
	v_pk_min_f16 v105, v58, v12
	v_pk_add_f16 v12, v19, v21
	v_pk_min_f16 v61, 0x7c00, v61 op_sel_hi:[0,1]
	v_pk_min_f16 v62, 0x7c00, v62 op_sel_hi:[0,1]
	;; [unrolled: 1-line block ×3, first 2 shown]
	v_pk_add_f16 v22, v18, v22
	s_waitcnt lgkmcnt(4)
	v_pk_add_f16 v64, v8, v24
	v_pk_add_f16 v65, v10, v24
	;; [unrolled: 1-line block ×3, first 2 shown]
	v_pk_min_f16 v104, v59, v13
	v_pk_add_f16 v13, v9, v23
	v_pk_min_f16 v103, v60, v14
	v_pk_add_f16 v14, v11, v23
	;; [unrolled: 2-line block ×3, first 2 shown]
	v_pk_min_f16 v22, 0x7c00, v22 op_sel_hi:[0,1]
	v_pk_min_f16 v64, 0x7c00, v64 op_sel_hi:[0,1]
	;; [unrolled: 1-line block ×4, first 2 shown]
	v_pk_add_f16 v67, v8, v26
	v_pk_add_f16 v68, v10, v26
	;; [unrolled: 1-line block ×4, first 2 shown]
	v_pk_min_f16 v101, v61, v13
	v_pk_min_f16 v100, v62, v14
	;; [unrolled: 1-line block ×3, first 2 shown]
	v_pk_add_f16 v12, v19, v23
	v_pk_add_f16 v13, v9, v25
	;; [unrolled: 1-line block ×4, first 2 shown]
	s_waitcnt lgkmcnt(3)
	v_pk_add_f16 v70, v8, v28
	v_pk_min_f16 v67, 0x7c00, v67 op_sel_hi:[0,1]
	v_pk_min_f16 v68, 0x7c00, v68 op_sel_hi:[0,1]
	;; [unrolled: 1-line block ×4, first 2 shown]
	v_pk_add_f16 v71, v10, v28
	v_pk_add_f16 v72, v16, v28
	;; [unrolled: 1-line block ×4, first 2 shown]
	v_pk_min_f16 v98, v22, v12
	v_pk_min_f16 v97, v64, v13
	;; [unrolled: 1-line block ×4, first 2 shown]
	v_pk_add_f16 v12, v9, v27
	v_pk_add_f16 v13, v11, v27
	;; [unrolled: 1-line block ×4, first 2 shown]
	v_pk_min_f16 v56, 0x7c00, v56 op_sel_hi:[0,1]
	v_pk_min_f16 v57, 0x7c00, v57 op_sel_hi:[0,1]
	v_pk_add_f16 v24, v18, v24
	v_pk_min_f16 v70, 0x7c00, v70 op_sel_hi:[0,1]
	v_pk_add_f16 v74, v10, v30
	v_pk_min_f16 v71, 0x7c00, v71 op_sel_hi:[0,1]
	v_pk_min_f16 v72, 0x7c00, v72 op_sel_hi:[0,1]
	;; [unrolled: 1-line block ×4, first 2 shown]
	v_pk_add_f16 v22, v9, v29
	v_pk_min_f16 v93, v67, v12
	v_pk_min_f16 v92, v68, v13
	;; [unrolled: 1-line block ×4, first 2 shown]
	v_pk_add_f16 v12, v11, v29
	v_pk_add_f16 v13, v17, v29
	;; [unrolled: 1-line block ×4, first 2 shown]
	v_pk_min_f16 v54, 0x7c00, v54 op_sel_hi:[0,1]
	v_pk_min_f16 v24, 0x7c00, v24 op_sel_hi:[0,1]
	;; [unrolled: 1-line block ×3, first 2 shown]
	v_pk_add_f16 v75, v16, v30
	v_pk_add_f16 v30, v18, v30
	v_pk_min_f16 v108, v56, v85
	v_pk_min_f16 v107, v57, v86
	v_pk_add_f16 v23, v19, v25
	v_pk_min_f16 v89, v70, v22
	v_pk_add_f16 v22, v11, v31
	v_pk_min_f16 v88, v71, v12
	v_pk_min_f16 v87, v72, v13
	;; [unrolled: 1-line block ×4, first 2 shown]
	ds_load_2addr_b64 v[12:15], v51 offset0:112 offset1:120
	v_pk_min_f16 v53, 0x7c00, v53 op_sel_hi:[0,1]
	v_pk_min_f16 v55, 0x7c00, v55 op_sel_hi:[0,1]
	s_waitcnt lgkmcnt(3)
	v_pk_add_f16 v76, v8, v32
	v_pk_add_f16 v77, v10, v32
	;; [unrolled: 1-line block ×8, first 2 shown]
	v_pk_min_f16 v122, v54, v83
	s_waitcnt lgkmcnt(2)
	v_pk_add_f16 v20, v16, v38
	v_pk_min_f16 v94, v24, v23
	v_pk_min_f16 v83, v74, v22
	v_pk_add_f16 v22, v17, v31
	v_pk_add_f16 v23, v19, v31
	v_pk_min_f16 v51, 0x7c00, v75 op_sel_hi:[0,1]
	v_pk_min_f16 v30, 0x7c00, v30 op_sel_hi:[0,1]
	;; [unrolled: 1-line block ×3, first 2 shown]
	v_pk_min_f16 v123, v53, v82
	v_pk_min_f16 v109, v55, v84
	v_pk_add_f16 v21, v18, v38
	v_pk_add_f16 v24, v9, v33
	v_pk_add_f16 v25, v11, v33
	v_pk_add_f16 v26, v17, v33
	v_pk_add_f16 v27, v19, v33
	v_pk_add_f16 v31, v17, v35
	v_pk_add_f16 v33, v19, v35
	v_pk_add_f16 v59, v17, v39
	v_pk_min_f16 v60, 0x7c00, v76 op_sel_hi:[0,1]
	v_pk_min_f16 v61, 0x7c00, v77 op_sel_hi:[0,1]
	;; [unrolled: 1-line block ×6, first 2 shown]
	v_pk_min_f16 v84, v51, v22
	s_waitcnt lgkmcnt(1)
	v_pk_add_f16 v22, v8, v47
	v_pk_min_f16 v82, v30, v23
	v_pk_add_f16 v23, v10, v47
	v_pk_min_f16 v20, 0x7c00, v20 op_sel_hi:[0,1]
	v_pk_add_f16 v111, v8, v36
	v_pk_min_f16 v124, v52, v81
	v_pk_add_f16 v55, v10, v38
	v_pk_add_f16 v28, v9, v35
	;; [unrolled: 1-line block ×6, first 2 shown]
	v_pk_min_f16 v63, 0x7c00, v79 op_sel_hi:[0,1]
	v_pk_min_f16 v64, 0x7c00, v80 op_sel_hi:[0,1]
	v_pk_min_f16 v81, v60, v24
	v_pk_add_f16 v24, v16, v47
	v_pk_min_f16 v21, 0x7c00, v21 op_sel_hi:[0,1]
	v_pk_min_f16 v22, 0x7c00, v22 op_sel_hi:[0,1]
	;; [unrolled: 1-line block ×3, first 2 shown]
	v_pk_min_f16 v80, v61, v25
	v_pk_add_f16 v25, v18, v47
	v_pk_min_f16 v79, v62, v26
	v_pk_add_f16 v26, v8, v49
	;; [unrolled: 2-line block ×3, first 2 shown]
	v_pk_min_f16 v75, v65, v31
	v_pk_min_f16 v74, v34, v33
	v_pk_add_f16 v33, v9, v48
	v_pk_min_f16 v65, v20, v59
	v_pk_add_f16 v20, v11, v48
	v_pk_add_f16 v52, v10, v36
	;; [unrolled: 1-line block ×6, first 2 shown]
	v_pk_min_f16 v66, 0x7c00, v111 op_sel_hi:[0,1]
	v_pk_min_f16 v55, 0x7c00, v55 op_sel_hi:[0,1]
	;; [unrolled: 1-line block ×3, first 2 shown]
	v_pk_min_f16 v77, v63, v28
	v_pk_add_f16 v28, v16, v49
	v_pk_min_f16 v76, v64, v29
	v_pk_add_f16 v29, v18, v49
	v_pk_min_f16 v25, 0x7c00, v25 op_sel_hi:[0,1]
	v_pk_min_f16 v26, 0x7c00, v26 op_sel_hi:[0,1]
	;; [unrolled: 1-line block ×3, first 2 shown]
	s_waitcnt lgkmcnt(0)
	v_pk_add_f16 v30, v8, v12
	v_pk_add_f16 v31, v10, v12
	;; [unrolled: 1-line block ×6, first 2 shown]
	v_pk_min_f16 v64, v21, v39
	v_pk_min_f16 v63, v22, v33
	v_pk_add_f16 v21, v17, v48
	v_pk_add_f16 v22, v19, v48
	;; [unrolled: 1-line block ×3, first 2 shown]
	v_pk_min_f16 v62, v23, v20
	v_pk_add_f16 v14, v18, v14
	v_pk_add_f16 v18, v9, v50
	;; [unrolled: 1-line block ×6, first 2 shown]
	v_pk_min_f16 v52, 0x7c00, v52 op_sel_hi:[0,1]
	v_pk_min_f16 v53, 0x7c00, v53 op_sel_hi:[0,1]
	;; [unrolled: 1-line block ×6, first 2 shown]
	v_pk_min_f16 v72, v66, v35
	v_pk_min_f16 v30, 0x7c00, v30 op_sel_hi:[0,1]
	v_pk_min_f16 v31, 0x7c00, v31 op_sel_hi:[0,1]
	;; [unrolled: 1-line block ×5, first 2 shown]
	v_pk_min_f16 v66, v55, v58
	v_pk_min_f16 v61, v24, v21
	;; [unrolled: 1-line block ×3, first 2 shown]
	v_pk_min_f16 v10, 0x7c00, v10 op_sel_hi:[0,1]
	v_pk_min_f16 v16, 0x7c00, v16 op_sel_hi:[0,1]
	;; [unrolled: 1-line block ×3, first 2 shown]
	v_pk_min_f16 v59, v26, v18
	v_pk_min_f16 v58, v27, v20
	v_pk_add_f16 v18, v17, v50
	v_pk_add_f16 v20, v19, v50
	;; [unrolled: 1-line block ×10, first 2 shown]
	v_pk_min_f16 v71, v52, v38
	v_pk_min_f16 v69, v53, v56
	;; [unrolled: 1-line block ×14, first 2 shown]
	ds_store_b16 v46, v5 offset:1024
	ds_store_b16 v46, v4 offset:1536
	ds_store_b16 v46, v7 offset:3072
	ds_store_b16 v46, v6 offset:3584
	s_waitcnt lgkmcnt(0)
	s_barrier
	buffer_gl0_inv
	s_cbranch_scc1 .LBB217_44
; %bb.26:
	v_mad_i64_i32 v[4:5], null, v0, s22, 0
	v_mad_i64_i32 v[6:7], null, v1, s22, 0
	;; [unrolled: 1-line block ×3, first 2 shown]
	v_add_nc_u32_e32 v47, 0x800, v46
	v_add_nc_u32_e32 v70, 0x800, v44
	v_lshlrev_b64 v[0:1], 1, v[4:5]
	v_mad_i64_i32 v[4:5], null, s23, v2, 0
	v_lshlrev_b64 v[6:7], 1, v[6:7]
	v_lshlrev_b64 v[2:3], 1, v[8:9]
	v_add_nc_u32_e32 v73, 0x400, v46
	v_add_co_u32 v114, s5, s18, v0
	s_delay_alu instid0(VALU_DEP_1) | instskip(SKIP_2) | instid1(VALU_DEP_1)
	v_add_co_ci_u32_e64 v115, s5, s19, v1, s5
	v_lshlrev_b64 v[0:1], 1, v[4:5]
	v_add_co_u32 v116, s5, s18, v6
	v_add_co_ci_u32_e64 v117, s5, s19, v7, s5
	v_add_nc_u32_e32 v110, 0xc00, v46
	s_delay_alu instid0(VALU_DEP_4) | instskip(NEXT) | instid1(VALU_DEP_1)
	v_add_co_u32 v118, s5, s20, v0
	v_add_co_ci_u32_e64 v119, s5, s21, v1, s5
	v_add_co_u32 v120, s5, s20, v2
	v_lshl_add_u32 v111, v40, 3, 0x400
	v_lshl_add_u32 v112, v41, 3, 0xc00
	v_add_co_ci_u32_e64 v121, s5, s21, v3, s5
	s_add_i32 s18, s10, -8
	s_mov_b32 s19, 0
	s_branch .LBB217_28
.LBB217_27:                             ;   in Loop: Header=BB217_28 Depth=1
	s_or_b32 exec_lo, exec_lo, s6
	ds_load_2addr_b64 v[129:132], v45 offset1:32
	ds_load_2addr_b64 v[77:80], v70 offset1:8
	ds_load_2addr_b64 v[133:136], v45 offset0:64 offset1:96
	ds_load_2addr_b64 v[81:84], v70 offset0:16 offset1:24
	;; [unrolled: 1-line block ×8, first 2 shown]
	v_pk_max_f16 v9, v75, v75
	v_pk_max_f16 v11, v72, v72
	;; [unrolled: 1-line block ×11, first 2 shown]
	s_waitcnt lgkmcnt(8)
	v_pk_add_f16 v74, v129, v77
	v_pk_add_f16 v75, v131, v77
	s_waitcnt lgkmcnt(7)
	v_pk_add_f16 v76, v133, v77
	v_pk_add_f16 v77, v135, v77
	v_pk_max_f16 v55, v55, v55
	v_pk_min_f16 v9, v9, v74
	v_pk_add_f16 v74, v135, v79
	v_pk_min_f16 v11, v11, v75
	v_pk_min_f16 v15, v15, v76
	;; [unrolled: 1-line block ×3, first 2 shown]
	s_waitcnt lgkmcnt(6)
	v_pk_add_f16 v75, v131, v81
	v_pk_min_f16 v66, v66, v74
	v_pk_add_f16 v74, v129, v81
	v_pk_add_f16 v76, v133, v81
	v_pk_add_f16 v77, v135, v81
	v_pk_min_f16 v67, v67, v75
	v_pk_add_f16 v75, v133, v83
	v_pk_min_f16 v60, v60, v74
	v_pk_min_f16 v65, v65, v76
	;; [unrolled: 1-line block ×3, first 2 shown]
	v_pk_add_f16 v74, v131, v83
	v_pk_max_f16 v63, v63, v63
	v_pk_add_f16 v76, v135, v83
	v_pk_max_f16 v61, v61, v61
	s_waitcnt lgkmcnt(5)
	v_pk_add_f16 v77, v129, v85
	v_pk_max_f16 v59, v59, v59
	v_pk_min_f16 v55, v55, v74
	v_pk_min_f16 v63, v63, v75
	;; [unrolled: 1-line block ×3, first 2 shown]
	v_pk_add_f16 v74, v133, v85
	v_pk_min_f16 v59, v59, v77
	v_pk_max_f16 v50, v50, v50
	v_pk_add_f16 v75, v135, v85
	v_pk_max_f16 v58, v58, v58
	v_pk_add_f16 v76, v129, v87
	;; [unrolled: 2-line block ×3, first 2 shown]
	v_pk_max_f16 v54, v54, v54
	v_pk_min_f16 v50, v50, v74
	v_pk_min_f16 v58, v58, v75
	;; [unrolled: 1-line block ×3, first 2 shown]
	v_pk_add_f16 v74, v135, v87
	v_pk_min_f16 v54, v54, v77
	v_pk_max_f16 v37, v37, v37
	s_waitcnt lgkmcnt(4)
	v_pk_add_f16 v75, v129, v137
	v_pk_max_f16 v53, v53, v53
	v_pk_add_f16 v76, v131, v137
	v_pk_max_f16 v51, v51, v51
	;; [unrolled: 2-line block ×3, first 2 shown]
	v_pk_min_f16 v37, v37, v74
	v_pk_min_f16 v53, v53, v75
	;; [unrolled: 1-line block ×3, first 2 shown]
	v_pk_add_f16 v74, v129, v139
	v_pk_min_f16 v49, v49, v77
	v_pk_max_f16 v32, v32, v32
	v_pk_add_f16 v75, v131, v139
	v_pk_max_f16 v48, v48, v48
	v_pk_add_f16 v76, v133, v139
	;; [unrolled: 2-line block ×3, first 2 shown]
	v_pk_max_f16 v36, v36, v36
	v_pk_min_f16 v32, v32, v74
	v_pk_min_f16 v48, v48, v75
	;; [unrolled: 1-line block ×3, first 2 shown]
	s_waitcnt lgkmcnt(3)
	v_pk_add_f16 v74, v131, v141
	v_pk_min_f16 v36, v36, v77
	v_pk_max_f16 v27, v27, v27
	v_pk_add_f16 v75, v133, v141
	v_pk_max_f16 v35, v35, v35
	v_pk_add_f16 v76, v135, v141
	;; [unrolled: 2-line block ×3, first 2 shown]
	v_pk_max_f16 v31, v31, v31
	v_pk_min_f16 v27, v27, v74
	v_pk_min_f16 v35, v35, v75
	;; [unrolled: 1-line block ×3, first 2 shown]
	v_pk_add_f16 v74, v133, v143
	v_pk_min_f16 v31, v31, v77
	v_pk_max_f16 v22, v22, v22
	v_pk_add_f16 v75, v135, v143
	v_pk_max_f16 v30, v30, v30
	s_waitcnt lgkmcnt(2)
	v_pk_add_f16 v76, v129, v145
	v_pk_max_f16 v28, v28, v28
	v_pk_add_f16 v77, v131, v145
	v_pk_max_f16 v26, v26, v26
	v_pk_min_f16 v22, v22, v74
	v_pk_min_f16 v30, v30, v75
	;; [unrolled: 1-line block ×3, first 2 shown]
	v_pk_add_f16 v74, v135, v145
	v_pk_min_f16 v26, v26, v77
	v_pk_max_f16 v17, v17, v17
	v_pk_add_f16 v75, v129, v147
	v_pk_max_f16 v25, v25, v25
	v_pk_add_f16 v76, v131, v147
	;; [unrolled: 2-line block ×4, first 2 shown]
	v_pk_add_f16 v90, v131, v79
	v_pk_add_f16 v91, v133, v79
	;; [unrolled: 1-line block ×3, first 2 shown]
	v_pk_max_f16 v62, v62, v62
	v_pk_min_f16 v17, v17, v74
	v_pk_min_f16 v25, v25, v75
	;; [unrolled: 1-line block ×4, first 2 shown]
	s_waitcnt lgkmcnt(1)
	v_pk_add_f16 v74, v129, v149
	v_pk_max_f16 v10, v10, v10
	v_pk_add_f16 v75, v131, v149
	v_pk_max_f16 v20, v20, v20
	;; [unrolled: 2-line block ×4, first 2 shown]
	v_pk_min_f16 v62, v62, v79
	v_pk_add_f16 v79, v131, v85
	v_pk_max_f16 v57, v57, v57
	v_pk_min_f16 v10, v10, v74
	v_pk_min_f16 v20, v20, v75
	;; [unrolled: 1-line block ×4, first 2 shown]
	v_pk_add_f16 v74, v131, v151
	v_pk_max_f16 v4, v4, v4
	v_pk_add_f16 v75, v133, v151
	v_pk_max_f16 v14, v14, v14
	v_pk_add_f16 v76, v135, v151
	v_pk_max_f16 v12, v12, v12
	s_waitcnt lgkmcnt(0)
	v_pk_add_f16 v77, v129, v153
	v_pk_max_f16 v8, v8, v8
	v_pk_min_f16 v57, v57, v79
	v_pk_add_f16 v79, v133, v87
	v_pk_max_f16 v52, v52, v52
	v_pk_min_f16 v4, v4, v74
	v_pk_min_f16 v14, v14, v75
	;; [unrolled: 1-line block ×4, first 2 shown]
	v_pk_add_f16 v74, v133, v153
	v_pk_max_f16 v2, v2, v2
	v_pk_add_f16 v75, v135, v153
	v_pk_max_f16 v7, v7, v7
	;; [unrolled: 2-line block ×4, first 2 shown]
	v_pk_max_f16 v68, v68, v68
	v_pk_min_f16 v52, v52, v79
	v_pk_add_f16 v79, v135, v137
	v_pk_max_f16 v39, v39, v39
	v_pk_min_f16 v2, v2, v74
	v_pk_min_f16 v7, v7, v75
	;; [unrolled: 1-line block ×4, first 2 shown]
	v_pk_add_f16 v74, v135, v155
	v_pk_max_f16 v0, v0, v0
	v_pk_add_f16 v75, v130, v78
	v_pk_add_f16 v76, v132, v78
	;; [unrolled: 1-line block ×4, first 2 shown]
	v_pk_min_f16 v71, v71, v89
	v_pk_min_f16 v72, v72, v90
	;; [unrolled: 1-line block ×4, first 2 shown]
	v_pk_add_f16 v79, v129, v141
	v_pk_max_f16 v34, v34, v34
	v_pk_min_f16 v0, v0, v74
	v_pk_min_f16 v124, v9, v75
	v_pk_min_f16 v123, v11, v76
	v_pk_min_f16 v122, v15, v77
	v_pk_min_f16 v113, v69, v78
	v_pk_add_f16 v9, v130, v80
	v_pk_add_f16 v11, v132, v80
	v_pk_add_f16 v15, v134, v80
	v_pk_add_f16 v69, v136, v80
	v_pk_add_f16 v74, v130, v82
	v_pk_min_f16 v34, v34, v79
	v_pk_add_f16 v79, v131, v143
	v_pk_max_f16 v29, v29, v29
	v_pk_min_f16 v109, v71, v9
	v_pk_min_f16 v108, v72, v11
	v_pk_min_f16 v107, v68, v15
	v_pk_min_f16 v106, v66, v69
	v_pk_min_f16 v105, v60, v74
	v_pk_add_f16 v9, v132, v82
	v_pk_add_f16 v11, v134, v82
	v_pk_add_f16 v15, v136, v82
	v_pk_add_f16 v60, v130, v84
	v_pk_add_f16 v66, v132, v84
	v_pk_min_f16 v29, v29, v79
	v_pk_add_f16 v79, v133, v145
	v_pk_max_f16 v24, v24, v24
	v_pk_min_f16 v104, v67, v9
	v_pk_min_f16 v103, v65, v11
	v_pk_min_f16 v102, v64, v15
	v_pk_min_f16 v101, v62, v60
	v_pk_min_f16 v100, v55, v66
	v_pk_add_f16 v9, v134, v84
	v_pk_add_f16 v11, v136, v84
	v_pk_add_f16 v15, v130, v86
	v_pk_add_f16 v55, v132, v86
	v_pk_add_f16 v60, v134, v86
	v_pk_min_f16 v24, v24, v79
	v_pk_add_f16 v79, v135, v147
	v_pk_max_f16 v19, v19, v19
	v_pk_min_f16 v99, v63, v9
	v_pk_min_f16 v98, v61, v11
	v_pk_min_f16 v97, v59, v15
	v_pk_min_f16 v96, v57, v55
	v_pk_min_f16 v95, v50, v60
	v_pk_add_f16 v9, v136, v86
	v_pk_add_f16 v11, v130, v88
	v_pk_add_f16 v15, v132, v88
	v_pk_add_f16 v50, v134, v88
	v_pk_add_f16 v55, v136, v88
	v_pk_min_f16 v19, v19, v79
	v_pk_add_f16 v79, v129, v151
	v_pk_max_f16 v13, v13, v13
	v_pk_min_f16 v94, v58, v9
	v_pk_min_f16 v93, v56, v11
	v_pk_min_f16 v92, v54, v15
	v_pk_min_f16 v91, v52, v50
	v_pk_min_f16 v90, v37, v55
	v_pk_add_f16 v9, v130, v138
	v_pk_add_f16 v11, v132, v138
	v_pk_add_f16 v15, v134, v138
	v_pk_add_f16 v37, v136, v138
	v_pk_add_f16 v50, v130, v140
	v_pk_min_f16 v13, v13, v79
	v_pk_add_f16 v79, v131, v153
	v_pk_max_f16 v6, v6, v6
	v_pk_min_f16 v89, v53, v9
	v_pk_min_f16 v88, v51, v11
	v_pk_min_f16 v87, v49, v15
	v_pk_min_f16 v86, v39, v37
	v_pk_min_f16 v85, v32, v50
	v_pk_add_f16 v9, v132, v140
	v_pk_add_f16 v11, v134, v140
	v_pk_add_f16 v15, v136, v140
	v_pk_add_f16 v32, v130, v142
	v_pk_add_f16 v37, v132, v142
	v_pk_min_f16 v6, v6, v79
	v_pk_add_f16 v79, v133, v155
	v_pk_max_f16 v1, v1, v1
	v_pk_min_f16 v83, v48, v9
	v_pk_min_f16 v84, v38, v11
	v_pk_min_f16 v82, v36, v15
	v_pk_min_f16 v81, v34, v32
	v_pk_min_f16 v80, v27, v37
	v_pk_add_f16 v9, v134, v142
	v_pk_add_f16 v11, v136, v142
	v_pk_add_f16 v15, v130, v144
	v_pk_add_f16 v27, v132, v144
	v_pk_add_f16 v32, v134, v144
	v_pk_min_f16 v1, v1, v79
	v_pk_min_f16 v79, v35, v9
	v_pk_min_f16 v78, v33, v11
	v_pk_min_f16 v77, v31, v15
	v_pk_min_f16 v76, v29, v27
	v_pk_min_f16 v75, v22, v32
	v_pk_add_f16 v9, v136, v144
	v_pk_add_f16 v11, v130, v146
	v_pk_add_f16 v15, v132, v146
	v_pk_add_f16 v22, v134, v146
	v_pk_add_f16 v27, v136, v146
	v_pk_min_f16 v74, v30, v9
	v_pk_min_f16 v72, v28, v11
	v_pk_min_f16 v71, v26, v15
	v_pk_min_f16 v69, v24, v22
	v_pk_min_f16 v68, v17, v27
	v_pk_add_f16 v9, v130, v148
	v_pk_add_f16 v11, v132, v148
	v_pk_add_f16 v15, v134, v148
	v_pk_add_f16 v17, v136, v148
	v_pk_add_f16 v22, v130, v150
	;; [unrolled: 10-line block ×3, first 2 shown]
	v_add_co_u32 v116, s5, v116, 16
	v_pk_min_f16 v62, v20, v9
	v_pk_min_f16 v61, v18, v10
	;; [unrolled: 1-line block ×5, first 2 shown]
	v_pk_add_f16 v4, v134, v152
	v_pk_add_f16 v9, v136, v152
	;; [unrolled: 1-line block ×5, first 2 shown]
	v_add_co_ci_u32_e64 v117, s5, 0, v117, s5
	v_add_co_u32 v114, s5, v114, 16
	s_delay_alu instid0(VALU_DEP_1)
	v_add_co_ci_u32_e64 v115, s5, 0, v115, s5
	v_pk_min_f16 v57, v14, v4
	v_pk_min_f16 v56, v12, v9
	;; [unrolled: 1-line block ×5, first 2 shown]
	v_pk_add_f16 v2, v136, v154
	v_pk_add_f16 v4, v130, v156
	;; [unrolled: 1-line block ×5, first 2 shown]
	v_add_co_u32 v118, s5, v118, 16
	s_delay_alu instid0(VALU_DEP_1)
	v_add_co_ci_u32_e64 v119, s5, 0, v119, s5
	v_add_co_u32 v120, s5, v120, 16
	v_pk_min_f16 v52, v7, v2
	v_pk_min_f16 v51, v5, v4
	v_pk_min_f16 v50, v3, v6
	v_pk_min_f16 v49, v1, v8
	v_pk_min_f16 v48, v0, v9
	v_add_co_ci_u32_e64 v121, s5, 0, v121, s5
	s_add_i32 s19, s19, 8
	s_waitcnt vmcnt(0)
	ds_store_b16 v73, v126
	ds_store_b16 v73, v125 offset:512
	ds_store_b16 v110, v128
	ds_store_b16 v110, v127 offset:512
	s_cmp_ge_i32 s19, s18
	s_waitcnt lgkmcnt(0)
	s_barrier
	buffer_gl0_inv
	s_cbranch_scc1 .LBB217_44
.LBB217_28:                             ; =>This Inner Loop Header: Depth=1
	v_dual_mov_b32 v126, 0x7c00 :: v_dual_add_nc_u32 v125, s19, v42
	s_delay_alu instid0(VALU_DEP_1) | instskip(NEXT) | instid1(VALU_DEP_1)
	v_dual_mov_b32 v127, 0x7c00 :: v_dual_add_nc_u32 v0, 8, v125
	v_cmp_le_i32_e64 s5, s10, v0
	s_delay_alu instid0(VALU_DEP_1) | instskip(NEXT) | instid1(SALU_CYCLE_1)
	s_or_b32 s6, vcc_lo, s5
	s_xor_b32 s6, s6, -1
	s_delay_alu instid0(SALU_CYCLE_1)
	s_and_saveexec_b32 s20, s6
	s_cbranch_execz .LBB217_30
; %bb.29:                               ;   in Loop: Header=BB217_28 Depth=1
	v_add_co_u32 v0, s6, v114, v43
	s_delay_alu instid0(VALU_DEP_1)
	v_add_co_ci_u32_e64 v1, s6, 0, v115, s6
	flat_load_u16 v127, v[0:1] offset:16
.LBB217_30:                             ;   in Loop: Header=BB217_28 Depth=1
	s_or_b32 exec_lo, exec_lo, s20
	s_or_b32 s6, s2, s5
	s_delay_alu instid0(SALU_CYCLE_1) | instskip(NEXT) | instid1(SALU_CYCLE_1)
	s_xor_b32 s6, s6, -1
	s_and_saveexec_b32 s20, s6
	s_cbranch_execz .LBB217_32
; %bb.31:                               ;   in Loop: Header=BB217_28 Depth=1
	v_add_co_u32 v0, s6, v116, v43
	s_delay_alu instid0(VALU_DEP_1)
	v_add_co_ci_u32_e64 v1, s6, 0, v117, s6
	flat_load_u16 v126, v[0:1] offset:16
.LBB217_32:                             ;   in Loop: Header=BB217_28 Depth=1
	s_or_b32 exec_lo, exec_lo, s20
	v_dual_mov_b32 v128, 0x7c00 :: v_dual_mov_b32 v129, 0x7c00
	s_or_b32 s6, s3, s5
	s_delay_alu instid0(SALU_CYCLE_1) | instskip(NEXT) | instid1(SALU_CYCLE_1)
	s_xor_b32 s6, s6, -1
	s_and_saveexec_b32 s20, s6
	s_cbranch_execz .LBB217_34
; %bb.33:                               ;   in Loop: Header=BB217_28 Depth=1
	v_add_co_u32 v0, s6, v118, v43
	s_delay_alu instid0(VALU_DEP_1)
	v_add_co_ci_u32_e64 v1, s6, 0, v119, s6
	flat_load_u16 v129, v[0:1] offset:16
.LBB217_34:                             ;   in Loop: Header=BB217_28 Depth=1
	s_or_b32 exec_lo, exec_lo, s20
	s_or_b32 s5, s4, s5
	s_delay_alu instid0(SALU_CYCLE_1) | instskip(NEXT) | instid1(SALU_CYCLE_1)
	s_xor_b32 s5, s5, -1
	s_and_saveexec_b32 s6, s5
	s_cbranch_execz .LBB217_36
; %bb.35:                               ;   in Loop: Header=BB217_28 Depth=1
	v_add_co_u32 v0, s5, v120, v43
	s_delay_alu instid0(VALU_DEP_1)
	v_add_co_ci_u32_e64 v1, s5, 0, v121, s5
	flat_load_u16 v128, v[0:1] offset:16
.LBB217_36:                             ;   in Loop: Header=BB217_28 Depth=1
	s_or_b32 exec_lo, exec_lo, s6
	ds_load_2addr_b64 v[4:7], v111 offset1:32
	ds_load_2addr_b64 v[0:3], v111 offset0:64 offset1:96
	ds_load_2addr_b64 v[36:39], v112 offset1:8
	ds_load_2addr_b64 v[32:35], v112 offset0:16 offset1:24
	ds_load_2addr_b64 v[28:31], v112 offset0:32 offset1:40
	;; [unrolled: 1-line block ×7, first 2 shown]
	v_add_nc_u32_e32 v125, 12, v125
	s_waitcnt vmcnt(0) lgkmcnt(10)
	ds_store_b16 v46, v127
	ds_store_b16 v46, v126 offset:512
	ds_store_b16 v47, v129
	ds_store_b16 v47, v128 offset:512
	v_mov_b32_e32 v126, 0x7c00
	s_waitcnt lgkmcnt(0)
	s_barrier
	v_cmp_le_i32_e64 s5, s10, v125
	v_mov_b32_e32 v125, 0x7c00
	buffer_gl0_inv
	s_or_b32 s6, vcc_lo, s5
	s_delay_alu instid0(SALU_CYCLE_1) | instskip(NEXT) | instid1(SALU_CYCLE_1)
	s_xor_b32 s6, s6, -1
	s_and_saveexec_b32 s20, s6
	s_delay_alu instid0(SALU_CYCLE_1)
	s_xor_b32 s20, exec_lo, s20
	s_cbranch_execz .LBB217_38
; %bb.37:                               ;   in Loop: Header=BB217_28 Depth=1
	v_add_co_u32 v126, s6, v114, v43
	s_delay_alu instid0(VALU_DEP_1)
	v_add_co_ci_u32_e64 v127, s6, 0, v115, s6
	flat_load_u16 v126, v[126:127] offset:24
.LBB217_38:                             ;   in Loop: Header=BB217_28 Depth=1
	s_or_b32 exec_lo, exec_lo, s20
	s_or_b32 s6, s2, s5
	s_delay_alu instid0(SALU_CYCLE_1) | instskip(NEXT) | instid1(SALU_CYCLE_1)
	s_xor_b32 s6, s6, -1
	s_and_saveexec_b32 s20, s6
	s_cbranch_execz .LBB217_40
; %bb.39:                               ;   in Loop: Header=BB217_28 Depth=1
	v_add_co_u32 v127, s6, v116, v43
	s_delay_alu instid0(VALU_DEP_1)
	v_add_co_ci_u32_e64 v128, s6, 0, v117, s6
	flat_load_u16 v125, v[127:128] offset:24
.LBB217_40:                             ;   in Loop: Header=BB217_28 Depth=1
	s_or_b32 exec_lo, exec_lo, s20
	v_dual_mov_b32 v127, 0x7c00 :: v_dual_mov_b32 v128, 0x7c00
	s_or_b32 s6, s3, s5
	s_delay_alu instid0(SALU_CYCLE_1) | instskip(NEXT) | instid1(SALU_CYCLE_1)
	s_xor_b32 s6, s6, -1
	s_and_saveexec_b32 s20, s6
	s_cbranch_execz .LBB217_42
; %bb.41:                               ;   in Loop: Header=BB217_28 Depth=1
	v_add_co_u32 v128, s6, v118, v43
	s_delay_alu instid0(VALU_DEP_1)
	v_add_co_ci_u32_e64 v129, s6, 0, v119, s6
	flat_load_u16 v128, v[128:129] offset:24
.LBB217_42:                             ;   in Loop: Header=BB217_28 Depth=1
	s_or_b32 exec_lo, exec_lo, s20
	v_pk_add_f16 v129, v4, v36
	v_pk_max_f16 v124, v124, v124
	v_pk_add_f16 v130, v6, v36
	v_pk_max_f16 v123, v123, v123
	v_pk_add_f16 v131, v0, v36
	v_pk_max_f16 v122, v122, v122
	v_pk_min_f16 v124, v124, v129
	v_pk_add_f16 v36, v2, v36
	v_pk_min_f16 v123, v123, v130
	v_pk_max_f16 v113, v113, v113
	v_pk_min_f16 v122, v122, v131
	v_pk_add_f16 v129, v4, v38
	v_pk_max_f16 v109, v109, v109
	v_pk_add_f16 v130, v6, v38
	v_pk_add_f16 v131, v0, v38
	;; [unrolled: 1-line block ×3, first 2 shown]
	v_pk_max_f16 v106, v106, v106
	v_pk_max_f16 v108, v108, v108
	v_pk_min_f16 v36, v113, v36
	v_pk_min_f16 v109, v109, v129
	v_pk_max_f16 v105, v105, v105
	v_pk_min_f16 v38, v106, v38
	v_pk_add_f16 v106, v4, v32
	v_pk_add_f16 v113, v6, v32
	;; [unrolled: 1-line block ×4, first 2 shown]
	v_pk_max_f16 v102, v102, v102
	v_pk_min_f16 v108, v108, v130
	v_pk_max_f16 v104, v104, v104
	v_pk_max_f16 v103, v103, v103
	v_pk_add_f16 v130, v4, v34
	v_pk_min_f16 v105, v105, v106
	v_pk_min_f16 v32, v102, v32
	v_pk_add_f16 v102, v6, v34
	v_pk_max_f16 v100, v100, v100
	v_pk_add_f16 v106, v0, v34
	v_pk_add_f16 v34, v2, v34
	v_pk_max_f16 v98, v98, v98
	v_pk_min_f16 v104, v104, v113
	v_pk_min_f16 v103, v103, v129
	v_pk_max_f16 v99, v99, v99
	v_pk_add_f16 v113, v4, v28
	v_pk_max_f16 v97, v97, v97
	v_pk_add_f16 v129, v6, v28
	v_pk_min_f16 v100, v100, v102
	v_pk_min_f16 v34, v98, v34
	v_pk_add_f16 v98, v0, v28
	v_pk_max_f16 v95, v95, v95
	v_pk_add_f16 v28, v2, v28
	v_pk_max_f16 v94, v94, v94
	;; [unrolled: 2-line block ×3, first 2 shown]
	v_pk_min_f16 v99, v99, v106
	v_pk_min_f16 v97, v97, v113
	v_pk_add_f16 v106, v6, v30
	v_pk_add_f16 v113, v0, v30
	v_pk_min_f16 v95, v95, v98
	v_pk_min_f16 v28, v94, v28
	v_pk_min_f16 v93, v93, v102
	v_pk_add_f16 v30, v2, v30
	v_pk_max_f16 v90, v90, v90
	v_pk_add_f16 v94, v4, v24
	v_pk_max_f16 v89, v89, v89
	v_pk_add_f16 v98, v6, v24
	v_pk_add_f16 v102, v0, v24
	;; [unrolled: 1-line block ×3, first 2 shown]
	v_pk_max_f16 v86, v86, v86
	v_pk_max_f16 v88, v88, v88
	v_pk_min_f16 v30, v90, v30
	v_pk_min_f16 v89, v89, v94
	v_pk_max_f16 v85, v85, v85
	v_pk_min_f16 v24, v86, v24
	v_pk_add_f16 v86, v4, v26
	v_pk_add_f16 v90, v6, v26
	v_pk_max_f16 v83, v83, v83
	v_pk_add_f16 v94, v0, v26
	v_pk_max_f16 v84, v84, v84
	;; [unrolled: 2-line block ×3, first 2 shown]
	v_pk_min_f16 v88, v88, v98
	v_pk_add_f16 v98, v4, v20
	v_pk_min_f16 v85, v85, v86
	v_pk_min_f16 v83, v83, v90
	;; [unrolled: 1-line block ×4, first 2 shown]
	v_pk_add_f16 v82, v6, v20
	v_pk_add_f16 v86, v0, v20
	v_pk_max_f16 v79, v79, v79
	v_pk_add_f16 v20, v2, v20
	v_pk_max_f16 v78, v78, v78
	;; [unrolled: 2-line block ×4, first 2 shown]
	v_pk_max_f16 v81, v81, v81
	v_pk_max_f16 v80, v80, v80
	v_pk_min_f16 v79, v79, v86
	v_pk_min_f16 v20, v78, v20
	;; [unrolled: 1-line block ×4, first 2 shown]
	v_pk_add_f16 v76, v0, v22
	v_pk_add_f16 v22, v2, v22
	v_pk_max_f16 v74, v74, v74
	v_pk_add_f16 v86, v6, v16
	v_pk_max_f16 v71, v71, v71
	;; [unrolled: 2-line block ×3, first 2 shown]
	v_pk_max_f16 v92, v92, v92
	v_pk_max_f16 v91, v91, v91
	v_pk_min_f16 v81, v81, v98
	v_pk_min_f16 v80, v80, v82
	v_pk_add_f16 v82, v4, v16
	v_pk_min_f16 v98, v74, v22
	v_pk_min_f16 v86, v71, v86
	;; [unrolled: 1-line block ×3, first 2 shown]
	v_pk_add_f16 v16, v2, v16
	v_pk_max_f16 v22, v68, v68
	v_pk_add_f16 v68, v4, v18
	v_pk_add_f16 v69, v6, v18
	v_pk_max_f16 v66, v66, v66
	v_pk_add_f16 v71, v0, v18
	v_pk_max_f16 v65, v65, v65
	;; [unrolled: 2-line block ×3, first 2 shown]
	v_pk_max_f16 v107, v107, v107
	v_pk_max_f16 v96, v96, v96
	v_pk_min_f16 v92, v92, v106
	v_pk_min_f16 v91, v91, v113
	;; [unrolled: 1-line block ×6, first 2 shown]
	v_pk_add_f16 v22, v4, v12
	v_pk_max_f16 v63, v63, v63
	v_pk_add_f16 v64, v6, v12
	v_pk_add_f16 v65, v0, v12
	v_pk_max_f16 v61, v61, v61
	v_pk_add_f16 v12, v2, v12
	v_pk_max_f16 v60, v60, v60
	v_pk_add_f16 v66, v4, v14
	v_pk_max_f16 v59, v59, v59
	v_pk_min_f16 v107, v107, v131
	v_pk_min_f16 v96, v96, v129
	;; [unrolled: 1-line block ×6, first 2 shown]
	v_pk_add_f16 v22, v6, v14
	v_pk_add_f16 v59, v0, v14
	;; [unrolled: 1-line block ×3, first 2 shown]
	v_pk_max_f16 v56, v56, v56
	v_pk_add_f16 v60, v4, v8
	v_pk_add_f16 v61, v6, v8
	;; [unrolled: 1-line block ×3, first 2 shown]
	v_pk_max_f16 v51, v51, v51
	v_pk_add_f16 v6, v6, v10
	v_pk_max_f16 v50, v50, v50
	v_pk_max_f16 v75, v75, v75
	v_pk_min_f16 v135, v56, v14
	v_pk_add_f16 v14, v0, v8
	v_pk_add_f16 v8, v2, v8
	v_pk_max_f16 v52, v52, v52
	v_pk_min_f16 v140, v51, v4
	v_pk_min_f16 v141, v50, v6
	v_pk_add_f16 v2, v2, v10
	v_pk_max_f16 v4, v48, v48
	v_pk_add_f16 v6, v5, v37
	v_pk_max_f16 v87, v87, v87
	v_pk_max_f16 v72, v72, v72
	v_pk_min_f16 v94, v75, v76
	v_pk_max_f16 v67, v67, v67
	v_pk_min_f16 v139, v52, v8
	v_pk_add_f16 v8, v7, v37
	v_pk_min_f16 v142, v4, v2
	v_pk_min_f16 v75, v124, v6
	v_pk_add_f16 v2, v5, v39
	v_pk_add_f16 v6, v1, v39
	v_pk_max_f16 v101, v101, v101
	v_pk_min_f16 v87, v87, v102
	v_pk_min_f16 v82, v72, v82
	v_pk_min_f16 v102, v67, v68
	v_pk_max_f16 v62, v62, v62
	v_pk_add_f16 v0, v0, v10
	v_pk_add_f16 v10, v1, v37
	v_pk_min_f16 v72, v123, v8
	v_pk_add_f16 v8, v3, v39
	v_pk_min_f16 v76, v109, v2
	v_pk_min_f16 v68, v107, v6
	v_pk_add_f16 v2, v7, v33
	v_pk_add_f16 v6, v3, v33
	v_pk_min_f16 v101, v101, v130
	v_pk_min_f16 v130, v62, v64
	v_pk_max_f16 v57, v57, v57
	v_pk_max_f16 v55, v55, v55
	v_pk_min_f16 v71, v122, v10
	v_pk_add_f16 v4, v7, v39
	v_pk_add_f16 v10, v5, v33
	v_pk_min_f16 v66, v38, v8
	v_pk_add_f16 v8, v5, v35
	v_pk_min_f16 v67, v104, v2
	v_pk_min_f16 v64, v32, v6
	v_pk_add_f16 v2, v1, v35
	v_pk_add_f16 v6, v5, v29
	v_pk_max_f16 v58, v58, v58
	v_pk_max_f16 v54, v54, v54
	v_pk_min_f16 v134, v57, v59
	v_pk_min_f16 v136, v55, v60
	;; [unrolled: 1-line block ×4, first 2 shown]
	v_pk_add_f16 v4, v1, v33
	v_pk_add_f16 v10, v7, v35
	v_pk_min_f16 v62, v101, v8
	v_pk_add_f16 v8, v7, v29
	v_pk_min_f16 v63, v99, v2
	v_pk_min_f16 v59, v97, v6
	v_pk_add_f16 v2, v3, v29
	v_pk_add_f16 v6, v7, v31
	v_pk_min_f16 v133, v58, v22
	v_pk_min_f16 v137, v54, v61
	v_pk_max_f16 v22, v53, v53
	v_pk_max_f16 v49, v49, v49
	v_pk_min_f16 v65, v103, v4
	v_pk_min_f16 v55, v100, v10
	v_pk_add_f16 v4, v3, v35
	v_pk_add_f16 v10, v1, v29
	v_pk_min_f16 v57, v96, v8
	v_pk_add_f16 v8, v1, v31
	v_pk_min_f16 v58, v28, v2
	v_pk_min_f16 v54, v92, v6
	v_pk_add_f16 v2, v5, v25
	v_pk_add_f16 v6, v1, v25
	v_pk_min_f16 v138, v22, v14
	v_pk_min_f16 v0, v49, v0
	v_pk_add_f16 v14, v3, v37
	v_pk_min_f16 v61, v34, v4
	v_pk_min_f16 v50, v95, v10
	v_pk_add_f16 v4, v5, v31
	v_pk_add_f16 v10, v3, v31
	v_pk_min_f16 v52, v91, v8
	v_pk_add_f16 v8, v3, v25
	v_pk_min_f16 v53, v89, v2
	v_pk_min_f16 v49, v87, v6
	v_pk_add_f16 v2, v7, v27
	v_pk_add_f16 v6, v3, v27
	v_pk_min_f16 v69, v36, v14
	v_pk_min_f16 v56, v93, v4
	;; [unrolled: 1-line block ×3, first 2 shown]
	v_pk_add_f16 v4, v7, v25
	v_pk_add_f16 v10, v5, v27
	v_pk_min_f16 v39, v24, v8
	v_pk_add_f16 v8, v5, v21
	v_pk_min_f16 v48, v83, v2
	v_pk_min_f16 v36, v26, v6
	v_pk_add_f16 v2, v1, v21
	v_pk_add_f16 v6, v5, v23
	v_pk_min_f16 v51, v88, v4
	v_pk_min_f16 v32, v85, v10
	v_pk_add_f16 v4, v1, v27
	v_pk_add_f16 v10, v7, v21
	v_pk_min_f16 v34, v81, v8
	v_pk_add_f16 v8, v7, v23
	v_pk_min_f16 v35, v79, v2
	v_pk_min_f16 v31, v77, v6
	v_pk_add_f16 v2, v3, v23
	v_pk_add_f16 v6, v7, v17
	v_pk_min_f16 v38, v84, v4
	v_pk_min_f16 v27, v80, v10
	;; [unrolled: 10-line block ×4, first 2 shown]
	v_pk_add_f16 v4, v7, v19
	v_pk_min_f16 v19, v18, v8
	v_pk_add_f16 v8, v5, v15
	v_pk_add_f16 v14, v7, v15
	v_pk_min_f16 v20, v130, v2
	v_pk_min_f16 v16, v12, v6
	v_pk_add_f16 v2, v1, v15
	v_pk_add_f16 v6, v3, v15
	;; [unrolled: 1-line block ×4, first 2 shown]
	v_pk_min_f16 v23, v106, v4
	v_pk_add_f16 v4, v1, v13
	v_pk_min_f16 v13, v132, v8
	v_pk_add_f16 v8, v5, v9
	v_pk_add_f16 v77, v1, v9
	v_pk_min_f16 v12, v135, v6
	v_pk_min_f16 v6, v137, v15
	v_pk_add_f16 v9, v3, v9
	v_pk_add_f16 v5, v5, v11
	;; [unrolled: 1-line block ×5, first 2 shown]
	v_pk_min_f16 v10, v129, v10
	v_pk_min_f16 v18, v131, v4
	;; [unrolled: 1-line block ×11, first 2 shown]
	s_or_b32 s5, s4, s5
	s_delay_alu instid0(SALU_CYCLE_1) | instskip(NEXT) | instid1(SALU_CYCLE_1)
	s_xor_b32 s5, s5, -1
	s_and_saveexec_b32 s6, s5
	s_cbranch_execz .LBB217_27
; %bb.43:                               ;   in Loop: Header=BB217_28 Depth=1
	v_add_co_u32 v77, s5, v120, v43
	s_delay_alu instid0(VALU_DEP_1)
	v_add_co_ci_u32_e64 v78, s5, 0, v121, s5
	flat_load_u16 v127, v[77:78] offset:24
	s_branch .LBB217_27
.LBB217_44:
	s_clause 0x2
	s_load_b32 s6, s[0:1], 0x50
	s_load_b32 s5, s[0:1], 0x68
	s_load_b64 s[2:3], s[0:1], 0x70
	v_add_nc_u32_e32 v4, 0x800, v44
	v_add_nc_u32_e32 v73, s14, v41
	ds_load_2addr_b64 v[8:11], v45 offset0:128 offset1:160
	ds_load_2addr_b64 v[0:3], v45 offset0:192 offset1:224
	v_add_nc_u32_e32 v40, s7, v40
	ds_load_2addr_b64 v[36:39], v4 offset0:128 offset1:136
	ds_load_2addr_b64 v[32:35], v4 offset0:144 offset1:152
	ds_load_2addr_b64 v[28:31], v4 offset0:160 offset1:168
	ds_load_2addr_b64 v[24:27], v4 offset0:176 offset1:184
	ds_load_2addr_b64 v[20:23], v4 offset0:192 offset1:200
	ds_load_2addr_b64 v[16:19], v4 offset0:208 offset1:216
	ds_load_2addr_b64 v[12:15], v4 offset0:224 offset1:232
	ds_load_2addr_b64 v[4:7], v4 offset0:240 offset1:248
	v_cmp_gt_i32_e64 s4, s9, v73
	v_cmp_gt_i32_e64 s0, s8, v40
	v_ashrrev_i32_e32 v41, 31, v40
	v_cndmask_b32_e64 v70, 0, 1, s15
	s_waitcnt lgkmcnt(0)
	v_mad_i64_i32 v[42:43], null, v73, s6, 0
	v_mad_i64_i32 v[44:45], null, v73, s5, 0
	s_lshl_b64 s[2:3], s[2:3], 1
	s_delay_alu instid0(SALU_CYCLE_1) | instskip(SKIP_1) | instid1(VALU_DEP_2)
	s_add_u32 s7, s16, s2
	s_addc_u32 s10, s17, s3
	v_lshlrev_b64 v[42:43], 1, v[42:43]
	s_and_b32 s1, s0, s4
	s_delay_alu instid0(VALU_DEP_2) | instskip(NEXT) | instid1(VALU_DEP_2)
	v_lshlrev_b64 v[44:45], 1, v[44:45]
	v_add_co_u32 v112, vcc_lo, s12, v42
	s_delay_alu instid0(VALU_DEP_3) | instskip(NEXT) | instid1(VALU_DEP_3)
	v_add_co_ci_u32_e32 v114, vcc_lo, s13, v43, vcc_lo
	v_add_co_u32 v110, vcc_lo, s7, v44
	s_delay_alu instid0(VALU_DEP_4) | instskip(SKIP_1) | instid1(SALU_CYCLE_1)
	v_add_co_ci_u32_e32 v111, vcc_lo, s10, v45, vcc_lo
	s_and_saveexec_b32 s2, s1
	s_xor_b32 s1, exec_lo, s2
	s_cbranch_execz .LBB217_49
; %bb.45:
	s_and_not1_b32 vcc_lo, exec_lo, s15
	s_cbranch_vccnz .LBB217_47
; %bb.46:
	v_lshlrev_b64 v[42:43], 1, v[40:41]
	s_delay_alu instid0(VALU_DEP_1) | instskip(NEXT) | instid1(VALU_DEP_2)
	v_add_co_u32 v42, vcc_lo, v112, v42
	v_add_co_ci_u32_e32 v43, vcc_lo, v114, v43, vcc_lo
	flat_load_u16 v42, v[42:43]
	s_waitcnt vmcnt(0) lgkmcnt(0)
	v_mul_f16_e32 v42, s11, v42
	s_branch .LBB217_48
.LBB217_47:
	v_mov_b32_e32 v42, 0
.LBB217_48:
	v_pk_add_f16 v43, v8, v36
	v_pk_max_f16 v44, v124, v124
	v_pk_add_f16 v45, v9, v37
	s_delay_alu instid0(VALU_DEP_2) | instskip(NEXT) | instid1(VALU_DEP_1)
	v_pk_min_f16 v43, v44, v43
	v_pk_min_f16 v45, v43, v45
	v_lshlrev_b64 v[43:44], 1, v[40:41]
	s_delay_alu instid0(VALU_DEP_2) | instskip(NEXT) | instid1(VALU_DEP_1)
	v_lshrrev_b32_e32 v46, 16, v45
	v_min3_f16 v45, v42, v45, v46
	s_delay_alu instid0(VALU_DEP_3) | instskip(NEXT) | instid1(VALU_DEP_4)
	v_add_co_u32 v42, vcc_lo, v110, v43
	v_add_co_ci_u32_e32 v43, vcc_lo, v111, v44, vcc_lo
	global_store_b16 v[42:43], v45, off
.LBB217_49:
	s_or_b32 exec_lo, exec_lo, s1
	v_add_nc_u32_e32 v42, 32, v40
	s_delay_alu instid0(VALU_DEP_1) | instskip(SKIP_1) | instid1(VALU_DEP_2)
	v_cmp_gt_i32_e64 s1, s8, v42
	v_ashrrev_i32_e32 v43, 31, v42
	s_and_b32 s3, s1, s4
	s_delay_alu instid0(SALU_CYCLE_1)
	s_and_saveexec_b32 s2, s3
	s_cbranch_execz .LBB217_54
; %bb.50:
	v_cmp_ne_u32_e32 vcc_lo, 1, v70
	s_cbranch_vccnz .LBB217_52
; %bb.51:
	v_lshlrev_b64 v[44:45], 1, v[42:43]
	s_delay_alu instid0(VALU_DEP_1) | instskip(NEXT) | instid1(VALU_DEP_2)
	v_add_co_u32 v44, vcc_lo, v112, v44
	v_add_co_ci_u32_e32 v45, vcc_lo, v114, v45, vcc_lo
	flat_load_u16 v44, v[44:45]
	s_waitcnt vmcnt(0) lgkmcnt(0)
	v_mul_f16_e32 v44, s11, v44
	s_branch .LBB217_53
.LBB217_52:
	v_mov_b32_e32 v44, 0
.LBB217_53:
	v_pk_add_f16 v45, v10, v36
	v_pk_max_f16 v46, v123, v123
	v_pk_add_f16 v47, v11, v37
	s_delay_alu instid0(VALU_DEP_2) | instskip(NEXT) | instid1(VALU_DEP_1)
	v_pk_min_f16 v45, v46, v45
	v_pk_min_f16 v47, v45, v47
	v_lshlrev_b64 v[45:46], 1, v[42:43]
	s_delay_alu instid0(VALU_DEP_2) | instskip(NEXT) | instid1(VALU_DEP_1)
	v_lshrrev_b32_e32 v115, 16, v47
	v_min3_f16 v47, v44, v47, v115
	s_delay_alu instid0(VALU_DEP_3) | instskip(NEXT) | instid1(VALU_DEP_4)
	v_add_co_u32 v44, vcc_lo, v110, v45
	v_add_co_ci_u32_e32 v45, vcc_lo, v111, v46, vcc_lo
	global_store_b16 v[44:45], v47, off
.LBB217_54:
	s_or_b32 exec_lo, exec_lo, s2
	v_add_nc_u32_e32 v44, 64, v40
	s_delay_alu instid0(VALU_DEP_1) | instskip(SKIP_1) | instid1(VALU_DEP_2)
	v_cmp_gt_i32_e64 s2, s8, v44
	v_ashrrev_i32_e32 v45, 31, v44
	s_and_b32 s14, s2, s4
	s_delay_alu instid0(SALU_CYCLE_1)
	s_and_saveexec_b32 s3, s14
	s_cbranch_execz .LBB217_59
; %bb.55:
	v_cmp_ne_u32_e32 vcc_lo, 1, v70
	s_cbranch_vccnz .LBB217_57
; %bb.56:
	v_lshlrev_b64 v[46:47], 1, v[44:45]
	s_delay_alu instid0(VALU_DEP_1) | instskip(NEXT) | instid1(VALU_DEP_2)
	v_add_co_u32 v46, vcc_lo, v112, v46
	v_add_co_ci_u32_e32 v47, vcc_lo, v114, v47, vcc_lo
	flat_load_u16 v46, v[46:47]
	s_waitcnt vmcnt(0) lgkmcnt(0)
	v_mul_f16_e32 v46, s11, v46
	s_branch .LBB217_58
.LBB217_57:
	v_mov_b32_e32 v46, 0
.LBB217_58:
	v_pk_add_f16 v47, v0, v36
	v_pk_max_f16 v115, v122, v122
	v_pk_add_f16 v116, v1, v37
	s_delay_alu instid0(VALU_DEP_2) | instskip(NEXT) | instid1(VALU_DEP_1)
	v_pk_min_f16 v47, v115, v47
	v_pk_min_f16 v47, v47, v116
	v_lshlrev_b64 v[115:116], 1, v[44:45]
	s_delay_alu instid0(VALU_DEP_2) | instskip(NEXT) | instid1(VALU_DEP_1)
	v_lshrrev_b32_e32 v117, 16, v47
	v_min3_f16 v117, v46, v47, v117
	s_delay_alu instid0(VALU_DEP_3) | instskip(NEXT) | instid1(VALU_DEP_4)
	v_add_co_u32 v46, vcc_lo, v110, v115
	v_add_co_ci_u32_e32 v47, vcc_lo, v111, v116, vcc_lo
	global_store_b16 v[46:47], v117, off
.LBB217_59:
	s_or_b32 exec_lo, exec_lo, s3
	v_add_nc_u32_e32 v46, 0x60, v40
	s_delay_alu instid0(VALU_DEP_1) | instskip(SKIP_1) | instid1(VALU_DEP_2)
	v_cmp_gt_i32_e64 s3, s8, v46
	v_ashrrev_i32_e32 v47, 31, v46
	s_and_b32 s8, s3, s4
	s_delay_alu instid0(SALU_CYCLE_1)
	s_and_saveexec_b32 s4, s8
	s_cbranch_execz .LBB217_64
; %bb.60:
	v_cmp_ne_u32_e32 vcc_lo, 1, v70
	s_cbranch_vccnz .LBB217_62
; %bb.61:
	v_lshlrev_b64 v[115:116], 1, v[46:47]
	s_delay_alu instid0(VALU_DEP_1) | instskip(NEXT) | instid1(VALU_DEP_2)
	v_add_co_u32 v115, vcc_lo, v112, v115
	v_add_co_ci_u32_e32 v116, vcc_lo, v114, v116, vcc_lo
	flat_load_u16 v112, v[115:116]
	s_waitcnt vmcnt(0) lgkmcnt(0)
	v_mul_f16_e32 v112, s11, v112
	s_branch .LBB217_63
.LBB217_62:
	v_mov_b32_e32 v112, 0
.LBB217_63:
	v_pk_add_f16 v36, v2, v36
	v_pk_max_f16 v113, v113, v113
	v_pk_add_f16 v37, v3, v37
	s_delay_alu instid0(VALU_DEP_2) | instskip(NEXT) | instid1(VALU_DEP_1)
	v_pk_min_f16 v36, v113, v36
	v_pk_min_f16 v113, v36, v37
	v_lshlrev_b64 v[36:37], 1, v[46:47]
	s_delay_alu instid0(VALU_DEP_2) | instskip(NEXT) | instid1(VALU_DEP_2)
	v_lshrrev_b32_e32 v114, 16, v113
	v_add_co_u32 v36, vcc_lo, v110, v36
	s_delay_alu instid0(VALU_DEP_3) | instskip(NEXT) | instid1(VALU_DEP_3)
	v_add_co_ci_u32_e32 v37, vcc_lo, v111, v37, vcc_lo
	v_min3_f16 v112, v112, v113, v114
	global_store_b16 v[36:37], v112, off
.LBB217_64:
	s_or_b32 exec_lo, exec_lo, s4
	v_add_nc_u32_e32 v112, 8, v73
	s_delay_alu instid0(VALU_DEP_1) | instskip(SKIP_2) | instid1(VALU_DEP_3)
	v_mad_i64_i32 v[36:37], null, v112, s6, 0
	v_mad_i64_i32 v[110:111], null, v112, s5, 0
	v_cmp_gt_i32_e64 s4, s9, v112
	v_lshlrev_b64 v[36:37], 1, v[36:37]
	s_delay_alu instid0(VALU_DEP_2) | instskip(NEXT) | instid1(VALU_DEP_3)
	s_and_b32 s14, s0, s4
	v_lshlrev_b64 v[112:113], 1, v[110:111]
	s_delay_alu instid0(VALU_DEP_2) | instskip(NEXT) | instid1(VALU_DEP_3)
	v_add_co_u32 v110, vcc_lo, s12, v36
	v_add_co_ci_u32_e32 v111, vcc_lo, s13, v37, vcc_lo
	s_delay_alu instid0(VALU_DEP_3) | instskip(NEXT) | instid1(VALU_DEP_4)
	v_add_co_u32 v36, vcc_lo, s7, v112
	v_add_co_ci_u32_e32 v37, vcc_lo, s10, v113, vcc_lo
	s_and_saveexec_b32 s8, s14
	s_cbranch_execnz .LBB217_68
; %bb.65:
	s_or_b32 exec_lo, exec_lo, s8
	s_and_b32 s14, s1, s4
	s_delay_alu instid0(SALU_CYCLE_1)
	s_and_saveexec_b32 s8, s14
	s_cbranch_execnz .LBB217_72
.LBB217_66:
	s_or_b32 exec_lo, exec_lo, s8
	s_and_b32 s14, s2, s4
	s_delay_alu instid0(SALU_CYCLE_1)
	s_and_saveexec_b32 s8, s14
	s_cbranch_execnz .LBB217_76
.LBB217_67:
	s_or_b32 exec_lo, exec_lo, s8
	s_and_b32 s8, s3, s4
	s_delay_alu instid0(SALU_CYCLE_1)
	s_and_saveexec_b32 s4, s8
	s_cbranch_execnz .LBB217_80
	s_branch .LBB217_84
.LBB217_68:
	v_cmp_ne_u32_e32 vcc_lo, 1, v70
	s_cbranch_vccnz .LBB217_70
; %bb.69:
	v_lshlrev_b64 v[112:113], 1, v[40:41]
	s_delay_alu instid0(VALU_DEP_1) | instskip(NEXT) | instid1(VALU_DEP_2)
	v_add_co_u32 v112, vcc_lo, v110, v112
	v_add_co_ci_u32_e32 v113, vcc_lo, v111, v113, vcc_lo
	flat_load_u16 v112, v[112:113]
	s_waitcnt vmcnt(0) lgkmcnt(0)
	v_mul_f16_e32 v112, s11, v112
	s_branch .LBB217_71
.LBB217_70:
	v_mov_b32_e32 v112, 0
.LBB217_71:
	v_pk_add_f16 v113, v8, v38
	v_pk_max_f16 v109, v109, v109
	v_pk_add_f16 v114, v9, v39
	s_delay_alu instid0(VALU_DEP_2) | instskip(NEXT) | instid1(VALU_DEP_1)
	v_pk_min_f16 v109, v109, v113
	v_pk_min_f16 v109, v109, v114
	v_lshlrev_b64 v[113:114], 1, v[40:41]
	s_delay_alu instid0(VALU_DEP_2) | instskip(NEXT) | instid1(VALU_DEP_1)
	v_lshrrev_b32_e32 v115, 16, v109
	v_min3_f16 v109, v112, v109, v115
	s_delay_alu instid0(VALU_DEP_3) | instskip(NEXT) | instid1(VALU_DEP_4)
	v_add_co_u32 v112, vcc_lo, v36, v113
	v_add_co_ci_u32_e32 v113, vcc_lo, v37, v114, vcc_lo
	global_store_b16 v[112:113], v109, off
	s_or_b32 exec_lo, exec_lo, s8
	s_and_b32 s14, s1, s4
	s_delay_alu instid0(SALU_CYCLE_1)
	s_and_saveexec_b32 s8, s14
	s_cbranch_execz .LBB217_66
.LBB217_72:
	v_cmp_ne_u32_e32 vcc_lo, 1, v70
	s_cbranch_vccnz .LBB217_74
; %bb.73:
	v_lshlrev_b64 v[112:113], 1, v[42:43]
	s_delay_alu instid0(VALU_DEP_1) | instskip(NEXT) | instid1(VALU_DEP_2)
	v_add_co_u32 v112, vcc_lo, v110, v112
	v_add_co_ci_u32_e32 v113, vcc_lo, v111, v113, vcc_lo
	flat_load_u16 v109, v[112:113]
	s_waitcnt vmcnt(0) lgkmcnt(0)
	v_mul_f16_e32 v109, s11, v109
	s_branch .LBB217_75
.LBB217_74:
	v_mov_b32_e32 v109, 0
.LBB217_75:
	v_pk_add_f16 v112, v10, v38
	v_pk_max_f16 v108, v108, v108
	v_pk_add_f16 v113, v11, v39
	s_delay_alu instid0(VALU_DEP_2) | instskip(NEXT) | instid1(VALU_DEP_1)
	v_pk_min_f16 v108, v108, v112
	v_pk_min_f16 v108, v108, v113
	v_lshlrev_b64 v[112:113], 1, v[42:43]
	s_delay_alu instid0(VALU_DEP_2) | instskip(NEXT) | instid1(VALU_DEP_1)
	v_lshrrev_b32_e32 v114, 16, v108
	v_min3_f16 v114, v109, v108, v114
	s_delay_alu instid0(VALU_DEP_3) | instskip(NEXT) | instid1(VALU_DEP_4)
	v_add_co_u32 v108, vcc_lo, v36, v112
	v_add_co_ci_u32_e32 v109, vcc_lo, v37, v113, vcc_lo
	global_store_b16 v[108:109], v114, off
	s_or_b32 exec_lo, exec_lo, s8
	s_and_b32 s14, s2, s4
	s_delay_alu instid0(SALU_CYCLE_1)
	s_and_saveexec_b32 s8, s14
	s_cbranch_execz .LBB217_67
.LBB217_76:
	v_cmp_ne_u32_e32 vcc_lo, 1, v70
	s_cbranch_vccnz .LBB217_78
; %bb.77:
	v_lshlrev_b64 v[108:109], 1, v[44:45]
	s_delay_alu instid0(VALU_DEP_1) | instskip(NEXT) | instid1(VALU_DEP_2)
	v_add_co_u32 v108, vcc_lo, v110, v108
	v_add_co_ci_u32_e32 v109, vcc_lo, v111, v109, vcc_lo
	flat_load_u16 v108, v[108:109]
	s_waitcnt vmcnt(0) lgkmcnt(0)
	v_mul_f16_e32 v108, s11, v108
	s_branch .LBB217_79
.LBB217_78:
	v_mov_b32_e32 v108, 0
.LBB217_79:
	v_pk_add_f16 v109, v0, v38
	v_pk_max_f16 v107, v107, v107
	v_pk_add_f16 v112, v1, v39
	s_delay_alu instid0(VALU_DEP_2) | instskip(NEXT) | instid1(VALU_DEP_1)
	v_pk_min_f16 v107, v107, v109
	v_pk_min_f16 v107, v107, v112
	v_lshlrev_b64 v[112:113], 1, v[44:45]
	s_delay_alu instid0(VALU_DEP_2) | instskip(NEXT) | instid1(VALU_DEP_1)
	v_lshrrev_b32_e32 v109, 16, v107
	v_min3_f16 v109, v108, v107, v109
	s_delay_alu instid0(VALU_DEP_3) | instskip(NEXT) | instid1(VALU_DEP_4)
	v_add_co_u32 v107, vcc_lo, v36, v112
	v_add_co_ci_u32_e32 v108, vcc_lo, v37, v113, vcc_lo
	global_store_b16 v[107:108], v109, off
	s_or_b32 exec_lo, exec_lo, s8
	s_and_b32 s8, s3, s4
	s_delay_alu instid0(SALU_CYCLE_1)
	s_and_saveexec_b32 s4, s8
	s_cbranch_execz .LBB217_84
.LBB217_80:
	v_cmp_ne_u32_e32 vcc_lo, 1, v70
	s_cbranch_vccnz .LBB217_82
; %bb.81:
	v_lshlrev_b64 v[107:108], 1, v[46:47]
	s_delay_alu instid0(VALU_DEP_1) | instskip(NEXT) | instid1(VALU_DEP_2)
	v_add_co_u32 v107, vcc_lo, v110, v107
	v_add_co_ci_u32_e32 v108, vcc_lo, v111, v108, vcc_lo
	flat_load_u16 v107, v[107:108]
	s_waitcnt vmcnt(0) lgkmcnt(0)
	v_mul_f16_e32 v107, s11, v107
	s_branch .LBB217_83
.LBB217_82:
	v_mov_b32_e32 v107, 0
.LBB217_83:
	v_pk_add_f16 v38, v2, v38
	v_pk_max_f16 v106, v106, v106
	v_pk_add_f16 v39, v3, v39
	s_delay_alu instid0(VALU_DEP_2) | instskip(NEXT) | instid1(VALU_DEP_1)
	v_pk_min_f16 v38, v106, v38
	v_pk_min_f16 v106, v38, v39
	v_lshlrev_b64 v[38:39], 1, v[46:47]
	s_delay_alu instid0(VALU_DEP_2) | instskip(NEXT) | instid1(VALU_DEP_2)
	v_lshrrev_b32_e32 v108, 16, v106
	v_add_co_u32 v36, vcc_lo, v36, v38
	s_delay_alu instid0(VALU_DEP_3) | instskip(NEXT) | instid1(VALU_DEP_3)
	v_add_co_ci_u32_e32 v37, vcc_lo, v37, v39, vcc_lo
	v_min3_f16 v106, v107, v106, v108
	global_store_b16 v[36:37], v106, off
.LBB217_84:
	s_or_b32 exec_lo, exec_lo, s4
	v_add_nc_u32_e32 v106, 16, v73
	s_delay_alu instid0(VALU_DEP_1) | instskip(SKIP_2) | instid1(VALU_DEP_3)
	v_mad_i64_i32 v[36:37], null, v106, s6, 0
	v_mad_i64_i32 v[38:39], null, v106, s5, 0
	v_cmp_gt_i32_e64 s4, s9, v106
	v_lshlrev_b64 v[36:37], 1, v[36:37]
	s_delay_alu instid0(VALU_DEP_2) | instskip(NEXT) | instid1(VALU_DEP_3)
	s_and_b32 s14, s0, s4
	v_lshlrev_b64 v[106:107], 1, v[38:39]
	s_delay_alu instid0(VALU_DEP_2) | instskip(NEXT) | instid1(VALU_DEP_3)
	v_add_co_u32 v38, vcc_lo, s12, v36
	v_add_co_ci_u32_e32 v39, vcc_lo, s13, v37, vcc_lo
	s_delay_alu instid0(VALU_DEP_3) | instskip(NEXT) | instid1(VALU_DEP_4)
	v_add_co_u32 v36, vcc_lo, s7, v106
	v_add_co_ci_u32_e32 v37, vcc_lo, s10, v107, vcc_lo
	s_and_saveexec_b32 s8, s14
	s_cbranch_execnz .LBB217_88
; %bb.85:
	s_or_b32 exec_lo, exec_lo, s8
	s_and_b32 s14, s1, s4
	s_delay_alu instid0(SALU_CYCLE_1)
	s_and_saveexec_b32 s8, s14
	s_cbranch_execnz .LBB217_92
.LBB217_86:
	s_or_b32 exec_lo, exec_lo, s8
	s_and_b32 s14, s2, s4
	s_delay_alu instid0(SALU_CYCLE_1)
	s_and_saveexec_b32 s8, s14
	s_cbranch_execnz .LBB217_96
.LBB217_87:
	s_or_b32 exec_lo, exec_lo, s8
	s_and_b32 s8, s3, s4
	s_delay_alu instid0(SALU_CYCLE_1)
	s_and_saveexec_b32 s4, s8
	s_cbranch_execnz .LBB217_100
	s_branch .LBB217_104
.LBB217_88:
	v_cmp_ne_u32_e32 vcc_lo, 1, v70
	s_cbranch_vccnz .LBB217_90
; %bb.89:
	v_lshlrev_b64 v[106:107], 1, v[40:41]
	s_delay_alu instid0(VALU_DEP_1) | instskip(NEXT) | instid1(VALU_DEP_2)
	v_add_co_u32 v106, vcc_lo, v38, v106
	v_add_co_ci_u32_e32 v107, vcc_lo, v39, v107, vcc_lo
	flat_load_u16 v106, v[106:107]
	s_waitcnt vmcnt(0) lgkmcnt(0)
	v_mul_f16_e32 v106, s11, v106
	s_branch .LBB217_91
.LBB217_90:
	v_mov_b32_e32 v106, 0
.LBB217_91:
	v_pk_add_f16 v107, v8, v32
	v_pk_max_f16 v105, v105, v105
	v_pk_add_f16 v108, v9, v33
	s_delay_alu instid0(VALU_DEP_2) | instskip(NEXT) | instid1(VALU_DEP_1)
	v_pk_min_f16 v105, v105, v107
	v_pk_min_f16 v105, v105, v108
	v_lshlrev_b64 v[107:108], 1, v[40:41]
	s_delay_alu instid0(VALU_DEP_2) | instskip(NEXT) | instid1(VALU_DEP_1)
	v_lshrrev_b32_e32 v109, 16, v105
	v_min3_f16 v109, v106, v105, v109
	s_delay_alu instid0(VALU_DEP_3) | instskip(NEXT) | instid1(VALU_DEP_4)
	v_add_co_u32 v105, vcc_lo, v36, v107
	v_add_co_ci_u32_e32 v106, vcc_lo, v37, v108, vcc_lo
	global_store_b16 v[105:106], v109, off
	s_or_b32 exec_lo, exec_lo, s8
	s_and_b32 s14, s1, s4
	s_delay_alu instid0(SALU_CYCLE_1)
	s_and_saveexec_b32 s8, s14
	s_cbranch_execz .LBB217_86
.LBB217_92:
	v_cmp_ne_u32_e32 vcc_lo, 1, v70
	s_cbranch_vccnz .LBB217_94
; %bb.93:
	v_lshlrev_b64 v[105:106], 1, v[42:43]
	s_delay_alu instid0(VALU_DEP_1) | instskip(NEXT) | instid1(VALU_DEP_2)
	v_add_co_u32 v105, vcc_lo, v38, v105
	v_add_co_ci_u32_e32 v106, vcc_lo, v39, v106, vcc_lo
	flat_load_u16 v105, v[105:106]
	s_waitcnt vmcnt(0) lgkmcnt(0)
	v_mul_f16_e32 v105, s11, v105
	s_branch .LBB217_95
.LBB217_94:
	v_mov_b32_e32 v105, 0
.LBB217_95:
	v_pk_add_f16 v106, v10, v32
	v_pk_max_f16 v104, v104, v104
	v_pk_add_f16 v107, v11, v33
	s_delay_alu instid0(VALU_DEP_2) | instskip(NEXT) | instid1(VALU_DEP_1)
	v_pk_min_f16 v104, v104, v106
	v_pk_min_f16 v104, v104, v107
	v_lshlrev_b64 v[106:107], 1, v[42:43]
	s_delay_alu instid0(VALU_DEP_2) | instskip(NEXT) | instid1(VALU_DEP_1)
	v_lshrrev_b32_e32 v108, 16, v104
	v_min3_f16 v108, v105, v104, v108
	s_delay_alu instid0(VALU_DEP_3) | instskip(NEXT) | instid1(VALU_DEP_4)
	v_add_co_u32 v104, vcc_lo, v36, v106
	v_add_co_ci_u32_e32 v105, vcc_lo, v37, v107, vcc_lo
	global_store_b16 v[104:105], v108, off
	s_or_b32 exec_lo, exec_lo, s8
	s_and_b32 s14, s2, s4
	s_delay_alu instid0(SALU_CYCLE_1)
	s_and_saveexec_b32 s8, s14
	s_cbranch_execz .LBB217_87
.LBB217_96:
	v_cmp_ne_u32_e32 vcc_lo, 1, v70
	s_cbranch_vccnz .LBB217_98
; %bb.97:
	v_lshlrev_b64 v[104:105], 1, v[44:45]
	s_delay_alu instid0(VALU_DEP_1) | instskip(NEXT) | instid1(VALU_DEP_2)
	v_add_co_u32 v104, vcc_lo, v38, v104
	v_add_co_ci_u32_e32 v105, vcc_lo, v39, v105, vcc_lo
	flat_load_u16 v104, v[104:105]
	s_waitcnt vmcnt(0) lgkmcnt(0)
	v_mul_f16_e32 v104, s11, v104
	s_branch .LBB217_99
.LBB217_98:
	v_mov_b32_e32 v104, 0
.LBB217_99:
	v_pk_add_f16 v105, v0, v32
	v_pk_max_f16 v103, v103, v103
	v_pk_add_f16 v106, v1, v33
	s_delay_alu instid0(VALU_DEP_2) | instskip(NEXT) | instid1(VALU_DEP_1)
	v_pk_min_f16 v103, v103, v105
	v_pk_min_f16 v103, v103, v106
	v_lshlrev_b64 v[105:106], 1, v[44:45]
	s_delay_alu instid0(VALU_DEP_2) | instskip(NEXT) | instid1(VALU_DEP_1)
	v_lshrrev_b32_e32 v107, 16, v103
	v_min3_f16 v107, v104, v103, v107
	s_delay_alu instid0(VALU_DEP_3) | instskip(NEXT) | instid1(VALU_DEP_4)
	v_add_co_u32 v103, vcc_lo, v36, v105
	v_add_co_ci_u32_e32 v104, vcc_lo, v37, v106, vcc_lo
	global_store_b16 v[103:104], v107, off
	s_or_b32 exec_lo, exec_lo, s8
	s_and_b32 s8, s3, s4
	s_delay_alu instid0(SALU_CYCLE_1)
	s_and_saveexec_b32 s4, s8
	s_cbranch_execz .LBB217_104
.LBB217_100:
	v_cmp_ne_u32_e32 vcc_lo, 1, v70
	s_cbranch_vccnz .LBB217_102
; %bb.101:
	v_lshlrev_b64 v[103:104], 1, v[46:47]
	s_delay_alu instid0(VALU_DEP_1) | instskip(NEXT) | instid1(VALU_DEP_2)
	v_add_co_u32 v38, vcc_lo, v38, v103
	v_add_co_ci_u32_e32 v39, vcc_lo, v39, v104, vcc_lo
	flat_load_u16 v38, v[38:39]
	s_waitcnt vmcnt(0) lgkmcnt(0)
	v_mul_f16_e32 v38, s11, v38
	s_branch .LBB217_103
.LBB217_102:
	v_mov_b32_e32 v38, 0
.LBB217_103:
	v_pk_add_f16 v32, v2, v32
	v_pk_max_f16 v39, v102, v102
	v_pk_add_f16 v33, v3, v33
	s_delay_alu instid0(VALU_DEP_2) | instskip(NEXT) | instid1(VALU_DEP_1)
	v_pk_min_f16 v32, v39, v32
	v_pk_min_f16 v39, v32, v33
	v_lshlrev_b64 v[32:33], 1, v[46:47]
	s_delay_alu instid0(VALU_DEP_2) | instskip(NEXT) | instid1(VALU_DEP_2)
	v_lshrrev_b32_e32 v102, 16, v39
	v_add_co_u32 v32, vcc_lo, v36, v32
	s_delay_alu instid0(VALU_DEP_3) | instskip(NEXT) | instid1(VALU_DEP_3)
	v_add_co_ci_u32_e32 v33, vcc_lo, v37, v33, vcc_lo
	v_min3_f16 v38, v38, v39, v102
	global_store_b16 v[32:33], v38, off
.LBB217_104:
	s_or_b32 exec_lo, exec_lo, s4
	v_add_nc_u32_e32 v38, 24, v73
	s_delay_alu instid0(VALU_DEP_1) | instskip(SKIP_2) | instid1(VALU_DEP_3)
	v_mad_i64_i32 v[32:33], null, v38, s6, 0
	v_mad_i64_i32 v[36:37], null, v38, s5, 0
	v_cmp_gt_i32_e64 s4, s9, v38
	v_lshlrev_b64 v[32:33], 1, v[32:33]
	s_delay_alu instid0(VALU_DEP_2) | instskip(NEXT) | instid1(VALU_DEP_3)
	s_and_b32 s14, s0, s4
	v_lshlrev_b64 v[38:39], 1, v[36:37]
	s_delay_alu instid0(VALU_DEP_2) | instskip(NEXT) | instid1(VALU_DEP_3)
	v_add_co_u32 v36, vcc_lo, s12, v32
	v_add_co_ci_u32_e32 v37, vcc_lo, s13, v33, vcc_lo
	s_delay_alu instid0(VALU_DEP_3) | instskip(NEXT) | instid1(VALU_DEP_4)
	v_add_co_u32 v32, vcc_lo, s7, v38
	v_add_co_ci_u32_e32 v33, vcc_lo, s10, v39, vcc_lo
	s_and_saveexec_b32 s8, s14
	s_cbranch_execnz .LBB217_108
; %bb.105:
	s_or_b32 exec_lo, exec_lo, s8
	s_and_b32 s14, s1, s4
	s_delay_alu instid0(SALU_CYCLE_1)
	s_and_saveexec_b32 s8, s14
	s_cbranch_execnz .LBB217_112
.LBB217_106:
	s_or_b32 exec_lo, exec_lo, s8
	s_and_b32 s14, s2, s4
	s_delay_alu instid0(SALU_CYCLE_1)
	s_and_saveexec_b32 s8, s14
	s_cbranch_execnz .LBB217_116
.LBB217_107:
	s_or_b32 exec_lo, exec_lo, s8
	s_and_b32 s8, s3, s4
	s_delay_alu instid0(SALU_CYCLE_1)
	s_and_saveexec_b32 s4, s8
	s_cbranch_execnz .LBB217_120
	s_branch .LBB217_124
.LBB217_108:
	v_cmp_ne_u32_e32 vcc_lo, 1, v70
	s_cbranch_vccnz .LBB217_110
; %bb.109:
	v_lshlrev_b64 v[38:39], 1, v[40:41]
	s_delay_alu instid0(VALU_DEP_1) | instskip(NEXT) | instid1(VALU_DEP_2)
	v_add_co_u32 v38, vcc_lo, v36, v38
	v_add_co_ci_u32_e32 v39, vcc_lo, v37, v39, vcc_lo
	flat_load_u16 v38, v[38:39]
	s_waitcnt vmcnt(0) lgkmcnt(0)
	v_mul_f16_e32 v38, s11, v38
	s_branch .LBB217_111
.LBB217_110:
	v_mov_b32_e32 v38, 0
.LBB217_111:
	v_pk_add_f16 v39, v8, v34
	v_pk_max_f16 v101, v101, v101
	v_pk_add_f16 v102, v9, v35
	s_delay_alu instid0(VALU_DEP_2) | instskip(NEXT) | instid1(VALU_DEP_1)
	v_pk_min_f16 v39, v101, v39
	v_pk_min_f16 v39, v39, v102
	v_lshlrev_b64 v[101:102], 1, v[40:41]
	s_delay_alu instid0(VALU_DEP_2) | instskip(NEXT) | instid1(VALU_DEP_1)
	v_lshrrev_b32_e32 v103, 16, v39
	v_min3_f16 v103, v38, v39, v103
	s_delay_alu instid0(VALU_DEP_3) | instskip(NEXT) | instid1(VALU_DEP_4)
	v_add_co_u32 v38, vcc_lo, v32, v101
	v_add_co_ci_u32_e32 v39, vcc_lo, v33, v102, vcc_lo
	global_store_b16 v[38:39], v103, off
	s_or_b32 exec_lo, exec_lo, s8
	s_and_b32 s14, s1, s4
	s_delay_alu instid0(SALU_CYCLE_1)
	s_and_saveexec_b32 s8, s14
	s_cbranch_execz .LBB217_106
.LBB217_112:
	v_cmp_ne_u32_e32 vcc_lo, 1, v70
	s_cbranch_vccnz .LBB217_114
; %bb.113:
	v_lshlrev_b64 v[38:39], 1, v[42:43]
	s_delay_alu instid0(VALU_DEP_1) | instskip(NEXT) | instid1(VALU_DEP_2)
	v_add_co_u32 v38, vcc_lo, v36, v38
	v_add_co_ci_u32_e32 v39, vcc_lo, v37, v39, vcc_lo
	flat_load_u16 v38, v[38:39]
	s_waitcnt vmcnt(0) lgkmcnt(0)
	v_mul_f16_e32 v38, s11, v38
	s_branch .LBB217_115
.LBB217_114:
	v_mov_b32_e32 v38, 0
.LBB217_115:
	v_pk_add_f16 v39, v10, v34
	v_pk_max_f16 v100, v100, v100
	v_pk_add_f16 v101, v11, v35
	s_delay_alu instid0(VALU_DEP_2) | instskip(NEXT) | instid1(VALU_DEP_1)
	v_pk_min_f16 v39, v100, v39
	v_pk_min_f16 v39, v39, v101
	v_lshlrev_b64 v[100:101], 1, v[42:43]
	s_delay_alu instid0(VALU_DEP_2) | instskip(NEXT) | instid1(VALU_DEP_1)
	v_lshrrev_b32_e32 v102, 16, v39
	v_min3_f16 v102, v38, v39, v102
	s_delay_alu instid0(VALU_DEP_3) | instskip(NEXT) | instid1(VALU_DEP_4)
	v_add_co_u32 v38, vcc_lo, v32, v100
	v_add_co_ci_u32_e32 v39, vcc_lo, v33, v101, vcc_lo
	global_store_b16 v[38:39], v102, off
	s_or_b32 exec_lo, exec_lo, s8
	s_and_b32 s14, s2, s4
	s_delay_alu instid0(SALU_CYCLE_1)
	s_and_saveexec_b32 s8, s14
	s_cbranch_execz .LBB217_107
.LBB217_116:
	v_cmp_ne_u32_e32 vcc_lo, 1, v70
	s_cbranch_vccnz .LBB217_118
; %bb.117:
	v_lshlrev_b64 v[38:39], 1, v[44:45]
	s_delay_alu instid0(VALU_DEP_1) | instskip(NEXT) | instid1(VALU_DEP_2)
	v_add_co_u32 v38, vcc_lo, v36, v38
	v_add_co_ci_u32_e32 v39, vcc_lo, v37, v39, vcc_lo
	flat_load_u16 v38, v[38:39]
	s_waitcnt vmcnt(0) lgkmcnt(0)
	v_mul_f16_e32 v38, s11, v38
	s_branch .LBB217_119
.LBB217_118:
	v_mov_b32_e32 v38, 0
.LBB217_119:
	v_pk_add_f16 v39, v0, v34
	v_pk_max_f16 v99, v99, v99
	v_pk_add_f16 v100, v1, v35
	s_delay_alu instid0(VALU_DEP_2) | instskip(NEXT) | instid1(VALU_DEP_1)
	v_pk_min_f16 v39, v99, v39
	v_pk_min_f16 v39, v39, v100
	v_lshlrev_b64 v[99:100], 1, v[44:45]
	s_delay_alu instid0(VALU_DEP_2) | instskip(NEXT) | instid1(VALU_DEP_1)
	v_lshrrev_b32_e32 v101, 16, v39
	v_min3_f16 v101, v38, v39, v101
	s_delay_alu instid0(VALU_DEP_3) | instskip(NEXT) | instid1(VALU_DEP_4)
	v_add_co_u32 v38, vcc_lo, v32, v99
	v_add_co_ci_u32_e32 v39, vcc_lo, v33, v100, vcc_lo
	global_store_b16 v[38:39], v101, off
	s_or_b32 exec_lo, exec_lo, s8
	s_and_b32 s8, s3, s4
	s_delay_alu instid0(SALU_CYCLE_1)
	s_and_saveexec_b32 s4, s8
	s_cbranch_execz .LBB217_124
.LBB217_120:
	v_cmp_ne_u32_e32 vcc_lo, 1, v70
	s_cbranch_vccnz .LBB217_122
; %bb.121:
	v_lshlrev_b64 v[38:39], 1, v[46:47]
	s_delay_alu instid0(VALU_DEP_1) | instskip(NEXT) | instid1(VALU_DEP_2)
	v_add_co_u32 v36, vcc_lo, v36, v38
	v_add_co_ci_u32_e32 v37, vcc_lo, v37, v39, vcc_lo
	flat_load_u16 v36, v[36:37]
	s_waitcnt vmcnt(0) lgkmcnt(0)
	v_mul_f16_e32 v36, s11, v36
	s_branch .LBB217_123
.LBB217_122:
	v_mov_b32_e32 v36, 0
.LBB217_123:
	v_pk_add_f16 v34, v2, v34
	v_pk_max_f16 v37, v98, v98
	v_pk_add_f16 v35, v3, v35
	s_delay_alu instid0(VALU_DEP_2) | instskip(NEXT) | instid1(VALU_DEP_1)
	v_pk_min_f16 v34, v37, v34
	v_pk_min_f16 v37, v34, v35
	v_lshlrev_b64 v[34:35], 1, v[46:47]
	s_delay_alu instid0(VALU_DEP_2) | instskip(NEXT) | instid1(VALU_DEP_2)
	v_lshrrev_b32_e32 v38, 16, v37
	v_add_co_u32 v32, vcc_lo, v32, v34
	s_delay_alu instid0(VALU_DEP_3) | instskip(NEXT) | instid1(VALU_DEP_3)
	v_add_co_ci_u32_e32 v33, vcc_lo, v33, v35, vcc_lo
	v_min3_f16 v36, v36, v37, v38
	global_store_b16 v[32:33], v36, off
.LBB217_124:
	s_or_b32 exec_lo, exec_lo, s4
	v_add_nc_u32_e32 v36, 32, v73
	s_delay_alu instid0(VALU_DEP_1) | instskip(SKIP_2) | instid1(VALU_DEP_3)
	v_mad_i64_i32 v[32:33], null, v36, s6, 0
	v_mad_i64_i32 v[34:35], null, v36, s5, 0
	v_cmp_gt_i32_e64 s4, s9, v36
	v_lshlrev_b64 v[32:33], 1, v[32:33]
	s_delay_alu instid0(VALU_DEP_2) | instskip(NEXT) | instid1(VALU_DEP_3)
	s_and_b32 s14, s0, s4
	v_lshlrev_b64 v[36:37], 1, v[34:35]
	s_delay_alu instid0(VALU_DEP_2) | instskip(NEXT) | instid1(VALU_DEP_3)
	v_add_co_u32 v34, vcc_lo, s12, v32
	v_add_co_ci_u32_e32 v35, vcc_lo, s13, v33, vcc_lo
	s_delay_alu instid0(VALU_DEP_3) | instskip(NEXT) | instid1(VALU_DEP_4)
	v_add_co_u32 v32, vcc_lo, s7, v36
	v_add_co_ci_u32_e32 v33, vcc_lo, s10, v37, vcc_lo
	s_and_saveexec_b32 s8, s14
	s_cbranch_execnz .LBB217_128
; %bb.125:
	s_or_b32 exec_lo, exec_lo, s8
	s_and_b32 s14, s1, s4
	s_delay_alu instid0(SALU_CYCLE_1)
	s_and_saveexec_b32 s8, s14
	s_cbranch_execnz .LBB217_132
.LBB217_126:
	s_or_b32 exec_lo, exec_lo, s8
	s_and_b32 s14, s2, s4
	s_delay_alu instid0(SALU_CYCLE_1)
	s_and_saveexec_b32 s8, s14
	s_cbranch_execnz .LBB217_136
.LBB217_127:
	s_or_b32 exec_lo, exec_lo, s8
	s_and_b32 s8, s3, s4
	s_delay_alu instid0(SALU_CYCLE_1)
	s_and_saveexec_b32 s4, s8
	s_cbranch_execnz .LBB217_140
	s_branch .LBB217_144
.LBB217_128:
	v_cmp_ne_u32_e32 vcc_lo, 1, v70
	s_cbranch_vccnz .LBB217_130
; %bb.129:
	v_lshlrev_b64 v[36:37], 1, v[40:41]
	s_delay_alu instid0(VALU_DEP_1) | instskip(NEXT) | instid1(VALU_DEP_2)
	v_add_co_u32 v36, vcc_lo, v34, v36
	v_add_co_ci_u32_e32 v37, vcc_lo, v35, v37, vcc_lo
	flat_load_u16 v36, v[36:37]
	s_waitcnt vmcnt(0) lgkmcnt(0)
	v_mul_f16_e32 v36, s11, v36
	s_branch .LBB217_131
.LBB217_130:
	v_mov_b32_e32 v36, 0
.LBB217_131:
	v_pk_add_f16 v37, v8, v28
	v_pk_max_f16 v38, v97, v97
	v_pk_add_f16 v39, v9, v29
	s_delay_alu instid0(VALU_DEP_2) | instskip(NEXT) | instid1(VALU_DEP_1)
	v_pk_min_f16 v37, v38, v37
	v_pk_min_f16 v39, v37, v39
	v_lshlrev_b64 v[37:38], 1, v[40:41]
	s_delay_alu instid0(VALU_DEP_2) | instskip(NEXT) | instid1(VALU_DEP_1)
	v_lshrrev_b32_e32 v97, 16, v39
	v_min3_f16 v39, v36, v39, v97
	s_delay_alu instid0(VALU_DEP_3) | instskip(NEXT) | instid1(VALU_DEP_4)
	v_add_co_u32 v36, vcc_lo, v32, v37
	v_add_co_ci_u32_e32 v37, vcc_lo, v33, v38, vcc_lo
	global_store_b16 v[36:37], v39, off
	s_or_b32 exec_lo, exec_lo, s8
	s_and_b32 s14, s1, s4
	s_delay_alu instid0(SALU_CYCLE_1)
	s_and_saveexec_b32 s8, s14
	s_cbranch_execz .LBB217_126
.LBB217_132:
	v_cmp_ne_u32_e32 vcc_lo, 1, v70
	s_cbranch_vccnz .LBB217_134
; %bb.133:
	v_lshlrev_b64 v[36:37], 1, v[42:43]
	s_delay_alu instid0(VALU_DEP_1) | instskip(NEXT) | instid1(VALU_DEP_2)
	v_add_co_u32 v36, vcc_lo, v34, v36
	v_add_co_ci_u32_e32 v37, vcc_lo, v35, v37, vcc_lo
	flat_load_u16 v36, v[36:37]
	s_waitcnt vmcnt(0) lgkmcnt(0)
	v_mul_f16_e32 v36, s11, v36
	s_branch .LBB217_135
.LBB217_134:
	v_mov_b32_e32 v36, 0
.LBB217_135:
	v_pk_add_f16 v37, v10, v28
	v_pk_max_f16 v38, v96, v96
	v_pk_add_f16 v39, v11, v29
	s_delay_alu instid0(VALU_DEP_2) | instskip(NEXT) | instid1(VALU_DEP_1)
	v_pk_min_f16 v37, v38, v37
	v_pk_min_f16 v39, v37, v39
	v_lshlrev_b64 v[37:38], 1, v[42:43]
	s_delay_alu instid0(VALU_DEP_2) | instskip(NEXT) | instid1(VALU_DEP_1)
	v_lshrrev_b32_e32 v96, 16, v39
	v_min3_f16 v39, v36, v39, v96
	s_delay_alu instid0(VALU_DEP_3) | instskip(NEXT) | instid1(VALU_DEP_4)
	v_add_co_u32 v36, vcc_lo, v32, v37
	v_add_co_ci_u32_e32 v37, vcc_lo, v33, v38, vcc_lo
	global_store_b16 v[36:37], v39, off
	s_or_b32 exec_lo, exec_lo, s8
	s_and_b32 s14, s2, s4
	s_delay_alu instid0(SALU_CYCLE_1)
	s_and_saveexec_b32 s8, s14
	s_cbranch_execz .LBB217_127
.LBB217_136:
	v_cmp_ne_u32_e32 vcc_lo, 1, v70
	s_cbranch_vccnz .LBB217_138
; %bb.137:
	v_lshlrev_b64 v[36:37], 1, v[44:45]
	s_delay_alu instid0(VALU_DEP_1) | instskip(NEXT) | instid1(VALU_DEP_2)
	v_add_co_u32 v36, vcc_lo, v34, v36
	v_add_co_ci_u32_e32 v37, vcc_lo, v35, v37, vcc_lo
	flat_load_u16 v36, v[36:37]
	s_waitcnt vmcnt(0) lgkmcnt(0)
	v_mul_f16_e32 v36, s11, v36
	s_branch .LBB217_139
.LBB217_138:
	v_mov_b32_e32 v36, 0
.LBB217_139:
	v_pk_add_f16 v37, v0, v28
	v_pk_max_f16 v38, v95, v95
	v_pk_add_f16 v39, v1, v29
	s_delay_alu instid0(VALU_DEP_2) | instskip(NEXT) | instid1(VALU_DEP_1)
	v_pk_min_f16 v37, v38, v37
	v_pk_min_f16 v39, v37, v39
	v_lshlrev_b64 v[37:38], 1, v[44:45]
	s_delay_alu instid0(VALU_DEP_2) | instskip(NEXT) | instid1(VALU_DEP_1)
	v_lshrrev_b32_e32 v95, 16, v39
	v_min3_f16 v39, v36, v39, v95
	s_delay_alu instid0(VALU_DEP_3) | instskip(NEXT) | instid1(VALU_DEP_4)
	v_add_co_u32 v36, vcc_lo, v32, v37
	v_add_co_ci_u32_e32 v37, vcc_lo, v33, v38, vcc_lo
	global_store_b16 v[36:37], v39, off
	s_or_b32 exec_lo, exec_lo, s8
	s_and_b32 s8, s3, s4
	s_delay_alu instid0(SALU_CYCLE_1)
	s_and_saveexec_b32 s4, s8
	s_cbranch_execz .LBB217_144
.LBB217_140:
	v_cmp_ne_u32_e32 vcc_lo, 1, v70
	s_cbranch_vccnz .LBB217_142
; %bb.141:
	v_lshlrev_b64 v[36:37], 1, v[46:47]
	s_delay_alu instid0(VALU_DEP_1) | instskip(NEXT) | instid1(VALU_DEP_2)
	v_add_co_u32 v34, vcc_lo, v34, v36
	v_add_co_ci_u32_e32 v35, vcc_lo, v35, v37, vcc_lo
	flat_load_u16 v34, v[34:35]
	s_waitcnt vmcnt(0) lgkmcnt(0)
	v_mul_f16_e32 v34, s11, v34
	s_branch .LBB217_143
.LBB217_142:
	v_mov_b32_e32 v34, 0
.LBB217_143:
	v_pk_add_f16 v28, v2, v28
	v_pk_max_f16 v35, v94, v94
	v_pk_add_f16 v29, v3, v29
	s_delay_alu instid0(VALU_DEP_2) | instskip(NEXT) | instid1(VALU_DEP_1)
	v_pk_min_f16 v28, v35, v28
	v_pk_min_f16 v35, v28, v29
	v_lshlrev_b64 v[28:29], 1, v[46:47]
	s_delay_alu instid0(VALU_DEP_2) | instskip(NEXT) | instid1(VALU_DEP_2)
	v_lshrrev_b32_e32 v36, 16, v35
	v_add_co_u32 v28, vcc_lo, v32, v28
	s_delay_alu instid0(VALU_DEP_3) | instskip(NEXT) | instid1(VALU_DEP_3)
	v_add_co_ci_u32_e32 v29, vcc_lo, v33, v29, vcc_lo
	v_min3_f16 v34, v34, v35, v36
	global_store_b16 v[28:29], v34, off
.LBB217_144:
	s_or_b32 exec_lo, exec_lo, s4
	v_add_nc_u32_e32 v34, 40, v73
	s_delay_alu instid0(VALU_DEP_1) | instskip(SKIP_2) | instid1(VALU_DEP_3)
	v_mad_i64_i32 v[28:29], null, v34, s6, 0
	v_mad_i64_i32 v[32:33], null, v34, s5, 0
	v_cmp_gt_i32_e64 s4, s9, v34
	v_lshlrev_b64 v[28:29], 1, v[28:29]
	s_delay_alu instid0(VALU_DEP_2) | instskip(NEXT) | instid1(VALU_DEP_3)
	s_and_b32 s14, s0, s4
	v_lshlrev_b64 v[34:35], 1, v[32:33]
	s_delay_alu instid0(VALU_DEP_2) | instskip(NEXT) | instid1(VALU_DEP_3)
	v_add_co_u32 v32, vcc_lo, s12, v28
	v_add_co_ci_u32_e32 v33, vcc_lo, s13, v29, vcc_lo
	s_delay_alu instid0(VALU_DEP_3) | instskip(NEXT) | instid1(VALU_DEP_4)
	v_add_co_u32 v28, vcc_lo, s7, v34
	v_add_co_ci_u32_e32 v29, vcc_lo, s10, v35, vcc_lo
	s_and_saveexec_b32 s8, s14
	s_cbranch_execnz .LBB217_148
; %bb.145:
	s_or_b32 exec_lo, exec_lo, s8
	s_and_b32 s14, s1, s4
	s_delay_alu instid0(SALU_CYCLE_1)
	s_and_saveexec_b32 s8, s14
	s_cbranch_execnz .LBB217_152
.LBB217_146:
	s_or_b32 exec_lo, exec_lo, s8
	s_and_b32 s14, s2, s4
	s_delay_alu instid0(SALU_CYCLE_1)
	s_and_saveexec_b32 s8, s14
	s_cbranch_execnz .LBB217_156
.LBB217_147:
	s_or_b32 exec_lo, exec_lo, s8
	s_and_b32 s8, s3, s4
	s_delay_alu instid0(SALU_CYCLE_1)
	s_and_saveexec_b32 s4, s8
	s_cbranch_execnz .LBB217_160
	s_branch .LBB217_164
.LBB217_148:
	v_cmp_ne_u32_e32 vcc_lo, 1, v70
	s_cbranch_vccnz .LBB217_150
; %bb.149:
	v_lshlrev_b64 v[34:35], 1, v[40:41]
	s_delay_alu instid0(VALU_DEP_1) | instskip(NEXT) | instid1(VALU_DEP_2)
	v_add_co_u32 v34, vcc_lo, v32, v34
	v_add_co_ci_u32_e32 v35, vcc_lo, v33, v35, vcc_lo
	flat_load_u16 v34, v[34:35]
	s_waitcnt vmcnt(0) lgkmcnt(0)
	v_mul_f16_e32 v34, s11, v34
	s_branch .LBB217_151
.LBB217_150:
	v_mov_b32_e32 v34, 0
.LBB217_151:
	v_pk_add_f16 v35, v8, v30
	v_pk_max_f16 v36, v93, v93
	v_pk_add_f16 v37, v9, v31
	s_delay_alu instid0(VALU_DEP_2) | instskip(NEXT) | instid1(VALU_DEP_1)
	v_pk_min_f16 v35, v36, v35
	v_pk_min_f16 v37, v35, v37
	v_lshlrev_b64 v[35:36], 1, v[40:41]
	s_delay_alu instid0(VALU_DEP_2) | instskip(NEXT) | instid1(VALU_DEP_1)
	v_lshrrev_b32_e32 v38, 16, v37
	v_min3_f16 v37, v34, v37, v38
	s_delay_alu instid0(VALU_DEP_3) | instskip(NEXT) | instid1(VALU_DEP_4)
	v_add_co_u32 v34, vcc_lo, v28, v35
	v_add_co_ci_u32_e32 v35, vcc_lo, v29, v36, vcc_lo
	global_store_b16 v[34:35], v37, off
	s_or_b32 exec_lo, exec_lo, s8
	s_and_b32 s14, s1, s4
	s_delay_alu instid0(SALU_CYCLE_1)
	s_and_saveexec_b32 s8, s14
	s_cbranch_execz .LBB217_146
.LBB217_152:
	v_cmp_ne_u32_e32 vcc_lo, 1, v70
	s_cbranch_vccnz .LBB217_154
; %bb.153:
	v_lshlrev_b64 v[34:35], 1, v[42:43]
	s_delay_alu instid0(VALU_DEP_1) | instskip(NEXT) | instid1(VALU_DEP_2)
	v_add_co_u32 v34, vcc_lo, v32, v34
	v_add_co_ci_u32_e32 v35, vcc_lo, v33, v35, vcc_lo
	flat_load_u16 v34, v[34:35]
	s_waitcnt vmcnt(0) lgkmcnt(0)
	v_mul_f16_e32 v34, s11, v34
	s_branch .LBB217_155
.LBB217_154:
	v_mov_b32_e32 v34, 0
.LBB217_155:
	v_pk_add_f16 v35, v10, v30
	v_pk_max_f16 v36, v92, v92
	v_pk_add_f16 v37, v11, v31
	s_delay_alu instid0(VALU_DEP_2) | instskip(NEXT) | instid1(VALU_DEP_1)
	v_pk_min_f16 v35, v36, v35
	v_pk_min_f16 v37, v35, v37
	v_lshlrev_b64 v[35:36], 1, v[42:43]
	s_delay_alu instid0(VALU_DEP_2) | instskip(NEXT) | instid1(VALU_DEP_1)
	v_lshrrev_b32_e32 v38, 16, v37
	v_min3_f16 v37, v34, v37, v38
	s_delay_alu instid0(VALU_DEP_3) | instskip(NEXT) | instid1(VALU_DEP_4)
	v_add_co_u32 v34, vcc_lo, v28, v35
	v_add_co_ci_u32_e32 v35, vcc_lo, v29, v36, vcc_lo
	global_store_b16 v[34:35], v37, off
	s_or_b32 exec_lo, exec_lo, s8
	s_and_b32 s14, s2, s4
	s_delay_alu instid0(SALU_CYCLE_1)
	s_and_saveexec_b32 s8, s14
	s_cbranch_execz .LBB217_147
.LBB217_156:
	v_cmp_ne_u32_e32 vcc_lo, 1, v70
	s_cbranch_vccnz .LBB217_158
; %bb.157:
	v_lshlrev_b64 v[34:35], 1, v[44:45]
	s_delay_alu instid0(VALU_DEP_1) | instskip(NEXT) | instid1(VALU_DEP_2)
	v_add_co_u32 v34, vcc_lo, v32, v34
	v_add_co_ci_u32_e32 v35, vcc_lo, v33, v35, vcc_lo
	flat_load_u16 v34, v[34:35]
	s_waitcnt vmcnt(0) lgkmcnt(0)
	v_mul_f16_e32 v34, s11, v34
	s_branch .LBB217_159
.LBB217_158:
	v_mov_b32_e32 v34, 0
.LBB217_159:
	v_pk_add_f16 v35, v0, v30
	v_pk_max_f16 v36, v91, v91
	v_pk_add_f16 v37, v1, v31
	s_delay_alu instid0(VALU_DEP_2) | instskip(NEXT) | instid1(VALU_DEP_1)
	v_pk_min_f16 v35, v36, v35
	v_pk_min_f16 v37, v35, v37
	v_lshlrev_b64 v[35:36], 1, v[44:45]
	s_delay_alu instid0(VALU_DEP_2) | instskip(NEXT) | instid1(VALU_DEP_1)
	v_lshrrev_b32_e32 v38, 16, v37
	v_min3_f16 v37, v34, v37, v38
	s_delay_alu instid0(VALU_DEP_3) | instskip(NEXT) | instid1(VALU_DEP_4)
	v_add_co_u32 v34, vcc_lo, v28, v35
	v_add_co_ci_u32_e32 v35, vcc_lo, v29, v36, vcc_lo
	global_store_b16 v[34:35], v37, off
	s_or_b32 exec_lo, exec_lo, s8
	s_and_b32 s8, s3, s4
	s_delay_alu instid0(SALU_CYCLE_1)
	s_and_saveexec_b32 s4, s8
	s_cbranch_execz .LBB217_164
.LBB217_160:
	v_cmp_ne_u32_e32 vcc_lo, 1, v70
	s_cbranch_vccnz .LBB217_162
; %bb.161:
	v_lshlrev_b64 v[34:35], 1, v[46:47]
	s_delay_alu instid0(VALU_DEP_1) | instskip(NEXT) | instid1(VALU_DEP_2)
	v_add_co_u32 v32, vcc_lo, v32, v34
	v_add_co_ci_u32_e32 v33, vcc_lo, v33, v35, vcc_lo
	flat_load_u16 v32, v[32:33]
	s_waitcnt vmcnt(0) lgkmcnt(0)
	v_mul_f16_e32 v32, s11, v32
	s_branch .LBB217_163
.LBB217_162:
	v_mov_b32_e32 v32, 0
.LBB217_163:
	v_pk_add_f16 v30, v2, v30
	v_pk_max_f16 v33, v90, v90
	v_pk_add_f16 v31, v3, v31
	s_delay_alu instid0(VALU_DEP_2) | instskip(NEXT) | instid1(VALU_DEP_1)
	v_pk_min_f16 v30, v33, v30
	v_pk_min_f16 v33, v30, v31
	v_lshlrev_b64 v[30:31], 1, v[46:47]
	s_delay_alu instid0(VALU_DEP_2) | instskip(NEXT) | instid1(VALU_DEP_2)
	v_lshrrev_b32_e32 v34, 16, v33
	v_add_co_u32 v28, vcc_lo, v28, v30
	s_delay_alu instid0(VALU_DEP_3) | instskip(NEXT) | instid1(VALU_DEP_3)
	v_add_co_ci_u32_e32 v29, vcc_lo, v29, v31, vcc_lo
	v_min3_f16 v32, v32, v33, v34
	global_store_b16 v[28:29], v32, off
.LBB217_164:
	s_or_b32 exec_lo, exec_lo, s4
	v_add_nc_u32_e32 v32, 48, v73
	s_delay_alu instid0(VALU_DEP_1) | instskip(SKIP_2) | instid1(VALU_DEP_3)
	v_mad_i64_i32 v[28:29], null, v32, s6, 0
	v_mad_i64_i32 v[30:31], null, v32, s5, 0
	v_cmp_gt_i32_e64 s4, s9, v32
	v_lshlrev_b64 v[28:29], 1, v[28:29]
	s_delay_alu instid0(VALU_DEP_2) | instskip(NEXT) | instid1(VALU_DEP_3)
	s_and_b32 s14, s0, s4
	v_lshlrev_b64 v[32:33], 1, v[30:31]
	s_delay_alu instid0(VALU_DEP_2) | instskip(NEXT) | instid1(VALU_DEP_3)
	v_add_co_u32 v30, vcc_lo, s12, v28
	v_add_co_ci_u32_e32 v31, vcc_lo, s13, v29, vcc_lo
	s_delay_alu instid0(VALU_DEP_3) | instskip(NEXT) | instid1(VALU_DEP_4)
	v_add_co_u32 v28, vcc_lo, s7, v32
	v_add_co_ci_u32_e32 v29, vcc_lo, s10, v33, vcc_lo
	s_and_saveexec_b32 s8, s14
	s_cbranch_execnz .LBB217_168
; %bb.165:
	s_or_b32 exec_lo, exec_lo, s8
	s_and_b32 s14, s1, s4
	s_delay_alu instid0(SALU_CYCLE_1)
	s_and_saveexec_b32 s8, s14
	s_cbranch_execnz .LBB217_172
.LBB217_166:
	s_or_b32 exec_lo, exec_lo, s8
	s_and_b32 s14, s2, s4
	s_delay_alu instid0(SALU_CYCLE_1)
	s_and_saveexec_b32 s8, s14
	s_cbranch_execnz .LBB217_176
.LBB217_167:
	s_or_b32 exec_lo, exec_lo, s8
	s_and_b32 s8, s3, s4
	s_delay_alu instid0(SALU_CYCLE_1)
	s_and_saveexec_b32 s4, s8
	s_cbranch_execnz .LBB217_180
	s_branch .LBB217_184
.LBB217_168:
	v_cmp_ne_u32_e32 vcc_lo, 1, v70
	s_cbranch_vccnz .LBB217_170
; %bb.169:
	v_lshlrev_b64 v[32:33], 1, v[40:41]
	s_delay_alu instid0(VALU_DEP_1) | instskip(NEXT) | instid1(VALU_DEP_2)
	v_add_co_u32 v32, vcc_lo, v30, v32
	v_add_co_ci_u32_e32 v33, vcc_lo, v31, v33, vcc_lo
	flat_load_u16 v32, v[32:33]
	s_waitcnt vmcnt(0) lgkmcnt(0)
	v_mul_f16_e32 v32, s11, v32
	s_branch .LBB217_171
.LBB217_170:
	v_mov_b32_e32 v32, 0
.LBB217_171:
	v_pk_add_f16 v33, v8, v24
	v_pk_max_f16 v34, v89, v89
	v_pk_add_f16 v35, v9, v25
	s_delay_alu instid0(VALU_DEP_2) | instskip(NEXT) | instid1(VALU_DEP_1)
	v_pk_min_f16 v33, v34, v33
	v_pk_min_f16 v35, v33, v35
	v_lshlrev_b64 v[33:34], 1, v[40:41]
	s_delay_alu instid0(VALU_DEP_2) | instskip(NEXT) | instid1(VALU_DEP_1)
	v_lshrrev_b32_e32 v36, 16, v35
	v_min3_f16 v35, v32, v35, v36
	s_delay_alu instid0(VALU_DEP_3) | instskip(NEXT) | instid1(VALU_DEP_4)
	v_add_co_u32 v32, vcc_lo, v28, v33
	v_add_co_ci_u32_e32 v33, vcc_lo, v29, v34, vcc_lo
	global_store_b16 v[32:33], v35, off
	s_or_b32 exec_lo, exec_lo, s8
	s_and_b32 s14, s1, s4
	s_delay_alu instid0(SALU_CYCLE_1)
	s_and_saveexec_b32 s8, s14
	s_cbranch_execz .LBB217_166
.LBB217_172:
	v_cmp_ne_u32_e32 vcc_lo, 1, v70
	s_cbranch_vccnz .LBB217_174
; %bb.173:
	v_lshlrev_b64 v[32:33], 1, v[42:43]
	s_delay_alu instid0(VALU_DEP_1) | instskip(NEXT) | instid1(VALU_DEP_2)
	v_add_co_u32 v32, vcc_lo, v30, v32
	v_add_co_ci_u32_e32 v33, vcc_lo, v31, v33, vcc_lo
	flat_load_u16 v32, v[32:33]
	s_waitcnt vmcnt(0) lgkmcnt(0)
	v_mul_f16_e32 v32, s11, v32
	s_branch .LBB217_175
.LBB217_174:
	v_mov_b32_e32 v32, 0
.LBB217_175:
	v_pk_add_f16 v33, v10, v24
	v_pk_max_f16 v34, v88, v88
	v_pk_add_f16 v35, v11, v25
	s_delay_alu instid0(VALU_DEP_2) | instskip(NEXT) | instid1(VALU_DEP_1)
	v_pk_min_f16 v33, v34, v33
	v_pk_min_f16 v35, v33, v35
	v_lshlrev_b64 v[33:34], 1, v[42:43]
	s_delay_alu instid0(VALU_DEP_2) | instskip(NEXT) | instid1(VALU_DEP_1)
	v_lshrrev_b32_e32 v36, 16, v35
	v_min3_f16 v35, v32, v35, v36
	s_delay_alu instid0(VALU_DEP_3) | instskip(NEXT) | instid1(VALU_DEP_4)
	v_add_co_u32 v32, vcc_lo, v28, v33
	v_add_co_ci_u32_e32 v33, vcc_lo, v29, v34, vcc_lo
	global_store_b16 v[32:33], v35, off
	s_or_b32 exec_lo, exec_lo, s8
	s_and_b32 s14, s2, s4
	s_delay_alu instid0(SALU_CYCLE_1)
	s_and_saveexec_b32 s8, s14
	s_cbranch_execz .LBB217_167
.LBB217_176:
	v_cmp_ne_u32_e32 vcc_lo, 1, v70
	s_cbranch_vccnz .LBB217_178
; %bb.177:
	v_lshlrev_b64 v[32:33], 1, v[44:45]
	s_delay_alu instid0(VALU_DEP_1) | instskip(NEXT) | instid1(VALU_DEP_2)
	v_add_co_u32 v32, vcc_lo, v30, v32
	v_add_co_ci_u32_e32 v33, vcc_lo, v31, v33, vcc_lo
	flat_load_u16 v32, v[32:33]
	s_waitcnt vmcnt(0) lgkmcnt(0)
	v_mul_f16_e32 v32, s11, v32
	s_branch .LBB217_179
.LBB217_178:
	v_mov_b32_e32 v32, 0
.LBB217_179:
	v_pk_add_f16 v33, v0, v24
	v_pk_max_f16 v34, v87, v87
	v_pk_add_f16 v35, v1, v25
	s_delay_alu instid0(VALU_DEP_2) | instskip(NEXT) | instid1(VALU_DEP_1)
	v_pk_min_f16 v33, v34, v33
	v_pk_min_f16 v35, v33, v35
	v_lshlrev_b64 v[33:34], 1, v[44:45]
	s_delay_alu instid0(VALU_DEP_2) | instskip(NEXT) | instid1(VALU_DEP_1)
	v_lshrrev_b32_e32 v36, 16, v35
	v_min3_f16 v35, v32, v35, v36
	s_delay_alu instid0(VALU_DEP_3) | instskip(NEXT) | instid1(VALU_DEP_4)
	v_add_co_u32 v32, vcc_lo, v28, v33
	v_add_co_ci_u32_e32 v33, vcc_lo, v29, v34, vcc_lo
	global_store_b16 v[32:33], v35, off
	s_or_b32 exec_lo, exec_lo, s8
	s_and_b32 s8, s3, s4
	s_delay_alu instid0(SALU_CYCLE_1)
	s_and_saveexec_b32 s4, s8
	s_cbranch_execz .LBB217_184
.LBB217_180:
	v_cmp_ne_u32_e32 vcc_lo, 1, v70
	s_cbranch_vccnz .LBB217_182
; %bb.181:
	v_lshlrev_b64 v[32:33], 1, v[46:47]
	s_delay_alu instid0(VALU_DEP_1) | instskip(NEXT) | instid1(VALU_DEP_2)
	v_add_co_u32 v30, vcc_lo, v30, v32
	v_add_co_ci_u32_e32 v31, vcc_lo, v31, v33, vcc_lo
	flat_load_u16 v30, v[30:31]
	s_waitcnt vmcnt(0) lgkmcnt(0)
	v_mul_f16_e32 v30, s11, v30
	s_branch .LBB217_183
.LBB217_182:
	v_mov_b32_e32 v30, 0
.LBB217_183:
	v_pk_add_f16 v24, v2, v24
	v_pk_max_f16 v31, v86, v86
	v_pk_add_f16 v25, v3, v25
	s_delay_alu instid0(VALU_DEP_2) | instskip(NEXT) | instid1(VALU_DEP_1)
	v_pk_min_f16 v24, v31, v24
	v_pk_min_f16 v31, v24, v25
	v_lshlrev_b64 v[24:25], 1, v[46:47]
	s_delay_alu instid0(VALU_DEP_2) | instskip(NEXT) | instid1(VALU_DEP_2)
	v_lshrrev_b32_e32 v32, 16, v31
	v_add_co_u32 v24, vcc_lo, v28, v24
	s_delay_alu instid0(VALU_DEP_3) | instskip(NEXT) | instid1(VALU_DEP_3)
	v_add_co_ci_u32_e32 v25, vcc_lo, v29, v25, vcc_lo
	v_min3_f16 v30, v30, v31, v32
	global_store_b16 v[24:25], v30, off
.LBB217_184:
	s_or_b32 exec_lo, exec_lo, s4
	v_add_nc_u32_e32 v30, 56, v73
	s_delay_alu instid0(VALU_DEP_1) | instskip(SKIP_2) | instid1(VALU_DEP_3)
	v_mad_i64_i32 v[24:25], null, v30, s6, 0
	v_mad_i64_i32 v[28:29], null, v30, s5, 0
	v_cmp_gt_i32_e64 s4, s9, v30
	v_lshlrev_b64 v[24:25], 1, v[24:25]
	s_delay_alu instid0(VALU_DEP_2) | instskip(NEXT) | instid1(VALU_DEP_3)
	s_and_b32 s14, s0, s4
	v_lshlrev_b64 v[30:31], 1, v[28:29]
	s_delay_alu instid0(VALU_DEP_2) | instskip(NEXT) | instid1(VALU_DEP_3)
	v_add_co_u32 v28, vcc_lo, s12, v24
	v_add_co_ci_u32_e32 v29, vcc_lo, s13, v25, vcc_lo
	s_delay_alu instid0(VALU_DEP_3) | instskip(NEXT) | instid1(VALU_DEP_4)
	v_add_co_u32 v24, vcc_lo, s7, v30
	v_add_co_ci_u32_e32 v25, vcc_lo, s10, v31, vcc_lo
	s_and_saveexec_b32 s8, s14
	s_cbranch_execnz .LBB217_188
; %bb.185:
	s_or_b32 exec_lo, exec_lo, s8
	s_and_b32 s14, s1, s4
	s_delay_alu instid0(SALU_CYCLE_1)
	s_and_saveexec_b32 s8, s14
	s_cbranch_execnz .LBB217_192
.LBB217_186:
	s_or_b32 exec_lo, exec_lo, s8
	s_and_b32 s14, s2, s4
	s_delay_alu instid0(SALU_CYCLE_1)
	s_and_saveexec_b32 s8, s14
	s_cbranch_execnz .LBB217_196
.LBB217_187:
	s_or_b32 exec_lo, exec_lo, s8
	s_and_b32 s8, s3, s4
	s_delay_alu instid0(SALU_CYCLE_1)
	s_and_saveexec_b32 s4, s8
	s_cbranch_execnz .LBB217_200
	s_branch .LBB217_204
.LBB217_188:
	v_cmp_ne_u32_e32 vcc_lo, 1, v70
	s_cbranch_vccnz .LBB217_190
; %bb.189:
	v_lshlrev_b64 v[30:31], 1, v[40:41]
	s_delay_alu instid0(VALU_DEP_1) | instskip(NEXT) | instid1(VALU_DEP_2)
	v_add_co_u32 v30, vcc_lo, v28, v30
	v_add_co_ci_u32_e32 v31, vcc_lo, v29, v31, vcc_lo
	flat_load_u16 v30, v[30:31]
	s_waitcnt vmcnt(0) lgkmcnt(0)
	v_mul_f16_e32 v30, s11, v30
	s_branch .LBB217_191
.LBB217_190:
	v_mov_b32_e32 v30, 0
.LBB217_191:
	v_pk_add_f16 v31, v8, v26
	v_pk_max_f16 v32, v85, v85
	v_pk_add_f16 v33, v9, v27
	s_delay_alu instid0(VALU_DEP_2) | instskip(NEXT) | instid1(VALU_DEP_1)
	v_pk_min_f16 v31, v32, v31
	v_pk_min_f16 v33, v31, v33
	v_lshlrev_b64 v[31:32], 1, v[40:41]
	s_delay_alu instid0(VALU_DEP_2) | instskip(NEXT) | instid1(VALU_DEP_1)
	v_lshrrev_b32_e32 v34, 16, v33
	v_min3_f16 v33, v30, v33, v34
	s_delay_alu instid0(VALU_DEP_3) | instskip(NEXT) | instid1(VALU_DEP_4)
	v_add_co_u32 v30, vcc_lo, v24, v31
	v_add_co_ci_u32_e32 v31, vcc_lo, v25, v32, vcc_lo
	global_store_b16 v[30:31], v33, off
	s_or_b32 exec_lo, exec_lo, s8
	s_and_b32 s14, s1, s4
	s_delay_alu instid0(SALU_CYCLE_1)
	s_and_saveexec_b32 s8, s14
	s_cbranch_execz .LBB217_186
.LBB217_192:
	v_cmp_ne_u32_e32 vcc_lo, 1, v70
	s_cbranch_vccnz .LBB217_194
; %bb.193:
	v_lshlrev_b64 v[30:31], 1, v[42:43]
	s_delay_alu instid0(VALU_DEP_1) | instskip(NEXT) | instid1(VALU_DEP_2)
	v_add_co_u32 v30, vcc_lo, v28, v30
	v_add_co_ci_u32_e32 v31, vcc_lo, v29, v31, vcc_lo
	flat_load_u16 v30, v[30:31]
	s_waitcnt vmcnt(0) lgkmcnt(0)
	v_mul_f16_e32 v30, s11, v30
	s_branch .LBB217_195
.LBB217_194:
	v_mov_b32_e32 v30, 0
.LBB217_195:
	v_pk_add_f16 v31, v10, v26
	v_pk_max_f16 v32, v83, v83
	v_pk_add_f16 v33, v11, v27
	s_delay_alu instid0(VALU_DEP_2) | instskip(NEXT) | instid1(VALU_DEP_1)
	v_pk_min_f16 v31, v32, v31
	v_pk_min_f16 v33, v31, v33
	v_lshlrev_b64 v[31:32], 1, v[42:43]
	s_delay_alu instid0(VALU_DEP_2) | instskip(NEXT) | instid1(VALU_DEP_1)
	v_lshrrev_b32_e32 v34, 16, v33
	v_min3_f16 v33, v30, v33, v34
	s_delay_alu instid0(VALU_DEP_3) | instskip(NEXT) | instid1(VALU_DEP_4)
	v_add_co_u32 v30, vcc_lo, v24, v31
	v_add_co_ci_u32_e32 v31, vcc_lo, v25, v32, vcc_lo
	global_store_b16 v[30:31], v33, off
	s_or_b32 exec_lo, exec_lo, s8
	s_and_b32 s14, s2, s4
	s_delay_alu instid0(SALU_CYCLE_1)
	s_and_saveexec_b32 s8, s14
	s_cbranch_execz .LBB217_187
.LBB217_196:
	v_cmp_ne_u32_e32 vcc_lo, 1, v70
	s_cbranch_vccnz .LBB217_198
; %bb.197:
	v_lshlrev_b64 v[30:31], 1, v[44:45]
	s_delay_alu instid0(VALU_DEP_1) | instskip(NEXT) | instid1(VALU_DEP_2)
	v_add_co_u32 v30, vcc_lo, v28, v30
	v_add_co_ci_u32_e32 v31, vcc_lo, v29, v31, vcc_lo
	flat_load_u16 v30, v[30:31]
	s_waitcnt vmcnt(0) lgkmcnt(0)
	v_mul_f16_e32 v30, s11, v30
	s_branch .LBB217_199
.LBB217_198:
	v_mov_b32_e32 v30, 0
.LBB217_199:
	v_pk_add_f16 v31, v0, v26
	v_pk_max_f16 v32, v84, v84
	v_pk_add_f16 v33, v1, v27
	s_delay_alu instid0(VALU_DEP_2) | instskip(NEXT) | instid1(VALU_DEP_1)
	v_pk_min_f16 v31, v32, v31
	v_pk_min_f16 v33, v31, v33
	v_lshlrev_b64 v[31:32], 1, v[44:45]
	s_delay_alu instid0(VALU_DEP_2) | instskip(NEXT) | instid1(VALU_DEP_1)
	v_lshrrev_b32_e32 v34, 16, v33
	v_min3_f16 v33, v30, v33, v34
	s_delay_alu instid0(VALU_DEP_3) | instskip(NEXT) | instid1(VALU_DEP_4)
	v_add_co_u32 v30, vcc_lo, v24, v31
	v_add_co_ci_u32_e32 v31, vcc_lo, v25, v32, vcc_lo
	global_store_b16 v[30:31], v33, off
	s_or_b32 exec_lo, exec_lo, s8
	s_and_b32 s8, s3, s4
	s_delay_alu instid0(SALU_CYCLE_1)
	s_and_saveexec_b32 s4, s8
	s_cbranch_execz .LBB217_204
.LBB217_200:
	v_cmp_ne_u32_e32 vcc_lo, 1, v70
	s_cbranch_vccnz .LBB217_202
; %bb.201:
	v_lshlrev_b64 v[30:31], 1, v[46:47]
	s_delay_alu instid0(VALU_DEP_1) | instskip(NEXT) | instid1(VALU_DEP_2)
	v_add_co_u32 v28, vcc_lo, v28, v30
	v_add_co_ci_u32_e32 v29, vcc_lo, v29, v31, vcc_lo
	flat_load_u16 v28, v[28:29]
	s_waitcnt vmcnt(0) lgkmcnt(0)
	v_mul_f16_e32 v28, s11, v28
	s_branch .LBB217_203
.LBB217_202:
	v_mov_b32_e32 v28, 0
.LBB217_203:
	v_pk_add_f16 v26, v2, v26
	v_pk_max_f16 v29, v82, v82
	v_pk_add_f16 v27, v3, v27
	s_delay_alu instid0(VALU_DEP_2) | instskip(NEXT) | instid1(VALU_DEP_1)
	v_pk_min_f16 v26, v29, v26
	v_pk_min_f16 v29, v26, v27
	v_lshlrev_b64 v[26:27], 1, v[46:47]
	s_delay_alu instid0(VALU_DEP_2) | instskip(NEXT) | instid1(VALU_DEP_2)
	v_lshrrev_b32_e32 v30, 16, v29
	v_add_co_u32 v24, vcc_lo, v24, v26
	s_delay_alu instid0(VALU_DEP_3) | instskip(NEXT) | instid1(VALU_DEP_3)
	v_add_co_ci_u32_e32 v25, vcc_lo, v25, v27, vcc_lo
	v_min3_f16 v28, v28, v29, v30
	global_store_b16 v[24:25], v28, off
.LBB217_204:
	s_or_b32 exec_lo, exec_lo, s4
	v_add_nc_u32_e32 v28, 64, v73
	s_delay_alu instid0(VALU_DEP_1) | instskip(SKIP_2) | instid1(VALU_DEP_3)
	v_mad_i64_i32 v[24:25], null, v28, s6, 0
	v_mad_i64_i32 v[26:27], null, v28, s5, 0
	v_cmp_gt_i32_e64 s4, s9, v28
	v_lshlrev_b64 v[24:25], 1, v[24:25]
	s_delay_alu instid0(VALU_DEP_2) | instskip(NEXT) | instid1(VALU_DEP_3)
	s_and_b32 s14, s0, s4
	v_lshlrev_b64 v[28:29], 1, v[26:27]
	s_delay_alu instid0(VALU_DEP_2) | instskip(NEXT) | instid1(VALU_DEP_3)
	v_add_co_u32 v26, vcc_lo, s12, v24
	v_add_co_ci_u32_e32 v27, vcc_lo, s13, v25, vcc_lo
	s_delay_alu instid0(VALU_DEP_3) | instskip(NEXT) | instid1(VALU_DEP_4)
	v_add_co_u32 v24, vcc_lo, s7, v28
	v_add_co_ci_u32_e32 v25, vcc_lo, s10, v29, vcc_lo
	s_and_saveexec_b32 s8, s14
	s_cbranch_execnz .LBB217_208
; %bb.205:
	s_or_b32 exec_lo, exec_lo, s8
	s_and_b32 s14, s1, s4
	s_delay_alu instid0(SALU_CYCLE_1)
	s_and_saveexec_b32 s8, s14
	s_cbranch_execnz .LBB217_212
.LBB217_206:
	s_or_b32 exec_lo, exec_lo, s8
	s_and_b32 s14, s2, s4
	s_delay_alu instid0(SALU_CYCLE_1)
	s_and_saveexec_b32 s8, s14
	s_cbranch_execnz .LBB217_216
.LBB217_207:
	s_or_b32 exec_lo, exec_lo, s8
	s_and_b32 s8, s3, s4
	s_delay_alu instid0(SALU_CYCLE_1)
	s_and_saveexec_b32 s4, s8
	s_cbranch_execnz .LBB217_220
	s_branch .LBB217_224
.LBB217_208:
	v_cmp_ne_u32_e32 vcc_lo, 1, v70
	s_cbranch_vccnz .LBB217_210
; %bb.209:
	v_lshlrev_b64 v[28:29], 1, v[40:41]
	s_delay_alu instid0(VALU_DEP_1) | instskip(NEXT) | instid1(VALU_DEP_2)
	v_add_co_u32 v28, vcc_lo, v26, v28
	v_add_co_ci_u32_e32 v29, vcc_lo, v27, v29, vcc_lo
	flat_load_u16 v28, v[28:29]
	s_waitcnt vmcnt(0) lgkmcnt(0)
	v_mul_f16_e32 v28, s11, v28
	s_branch .LBB217_211
.LBB217_210:
	v_mov_b32_e32 v28, 0
.LBB217_211:
	v_pk_add_f16 v29, v8, v20
	v_pk_max_f16 v30, v81, v81
	v_pk_add_f16 v31, v9, v21
	s_delay_alu instid0(VALU_DEP_2) | instskip(NEXT) | instid1(VALU_DEP_1)
	v_pk_min_f16 v29, v30, v29
	v_pk_min_f16 v31, v29, v31
	v_lshlrev_b64 v[29:30], 1, v[40:41]
	s_delay_alu instid0(VALU_DEP_2) | instskip(NEXT) | instid1(VALU_DEP_1)
	v_lshrrev_b32_e32 v32, 16, v31
	v_min3_f16 v31, v28, v31, v32
	s_delay_alu instid0(VALU_DEP_3) | instskip(NEXT) | instid1(VALU_DEP_4)
	v_add_co_u32 v28, vcc_lo, v24, v29
	v_add_co_ci_u32_e32 v29, vcc_lo, v25, v30, vcc_lo
	global_store_b16 v[28:29], v31, off
	s_or_b32 exec_lo, exec_lo, s8
	s_and_b32 s14, s1, s4
	s_delay_alu instid0(SALU_CYCLE_1)
	s_and_saveexec_b32 s8, s14
	s_cbranch_execz .LBB217_206
.LBB217_212:
	v_cmp_ne_u32_e32 vcc_lo, 1, v70
	s_cbranch_vccnz .LBB217_214
; %bb.213:
	v_lshlrev_b64 v[28:29], 1, v[42:43]
	s_delay_alu instid0(VALU_DEP_1) | instskip(NEXT) | instid1(VALU_DEP_2)
	v_add_co_u32 v28, vcc_lo, v26, v28
	v_add_co_ci_u32_e32 v29, vcc_lo, v27, v29, vcc_lo
	flat_load_u16 v28, v[28:29]
	s_waitcnt vmcnt(0) lgkmcnt(0)
	v_mul_f16_e32 v28, s11, v28
	s_branch .LBB217_215
.LBB217_214:
	v_mov_b32_e32 v28, 0
.LBB217_215:
	v_pk_add_f16 v29, v10, v20
	v_pk_max_f16 v30, v80, v80
	v_pk_add_f16 v31, v11, v21
	s_delay_alu instid0(VALU_DEP_2) | instskip(NEXT) | instid1(VALU_DEP_1)
	v_pk_min_f16 v29, v30, v29
	v_pk_min_f16 v31, v29, v31
	v_lshlrev_b64 v[29:30], 1, v[42:43]
	s_delay_alu instid0(VALU_DEP_2) | instskip(NEXT) | instid1(VALU_DEP_1)
	v_lshrrev_b32_e32 v32, 16, v31
	v_min3_f16 v31, v28, v31, v32
	s_delay_alu instid0(VALU_DEP_3) | instskip(NEXT) | instid1(VALU_DEP_4)
	v_add_co_u32 v28, vcc_lo, v24, v29
	v_add_co_ci_u32_e32 v29, vcc_lo, v25, v30, vcc_lo
	global_store_b16 v[28:29], v31, off
	s_or_b32 exec_lo, exec_lo, s8
	s_and_b32 s14, s2, s4
	s_delay_alu instid0(SALU_CYCLE_1)
	s_and_saveexec_b32 s8, s14
	s_cbranch_execz .LBB217_207
.LBB217_216:
	v_cmp_ne_u32_e32 vcc_lo, 1, v70
	s_cbranch_vccnz .LBB217_218
; %bb.217:
	v_lshlrev_b64 v[28:29], 1, v[44:45]
	s_delay_alu instid0(VALU_DEP_1) | instskip(NEXT) | instid1(VALU_DEP_2)
	v_add_co_u32 v28, vcc_lo, v26, v28
	v_add_co_ci_u32_e32 v29, vcc_lo, v27, v29, vcc_lo
	flat_load_u16 v28, v[28:29]
	s_waitcnt vmcnt(0) lgkmcnt(0)
	v_mul_f16_e32 v28, s11, v28
	s_branch .LBB217_219
.LBB217_218:
	v_mov_b32_e32 v28, 0
.LBB217_219:
	v_pk_add_f16 v29, v0, v20
	v_pk_max_f16 v30, v79, v79
	v_pk_add_f16 v31, v1, v21
	s_delay_alu instid0(VALU_DEP_2) | instskip(NEXT) | instid1(VALU_DEP_1)
	v_pk_min_f16 v29, v30, v29
	v_pk_min_f16 v31, v29, v31
	v_lshlrev_b64 v[29:30], 1, v[44:45]
	s_delay_alu instid0(VALU_DEP_2) | instskip(NEXT) | instid1(VALU_DEP_1)
	v_lshrrev_b32_e32 v32, 16, v31
	v_min3_f16 v31, v28, v31, v32
	s_delay_alu instid0(VALU_DEP_3) | instskip(NEXT) | instid1(VALU_DEP_4)
	v_add_co_u32 v28, vcc_lo, v24, v29
	v_add_co_ci_u32_e32 v29, vcc_lo, v25, v30, vcc_lo
	global_store_b16 v[28:29], v31, off
	s_or_b32 exec_lo, exec_lo, s8
	s_and_b32 s8, s3, s4
	s_delay_alu instid0(SALU_CYCLE_1)
	s_and_saveexec_b32 s4, s8
	s_cbranch_execz .LBB217_224
.LBB217_220:
	v_cmp_ne_u32_e32 vcc_lo, 1, v70
	s_cbranch_vccnz .LBB217_222
; %bb.221:
	v_lshlrev_b64 v[28:29], 1, v[46:47]
	s_delay_alu instid0(VALU_DEP_1) | instskip(NEXT) | instid1(VALU_DEP_2)
	v_add_co_u32 v26, vcc_lo, v26, v28
	v_add_co_ci_u32_e32 v27, vcc_lo, v27, v29, vcc_lo
	flat_load_u16 v26, v[26:27]
	s_waitcnt vmcnt(0) lgkmcnt(0)
	v_mul_f16_e32 v26, s11, v26
	s_branch .LBB217_223
.LBB217_222:
	v_mov_b32_e32 v26, 0
.LBB217_223:
	v_pk_add_f16 v20, v2, v20
	v_pk_max_f16 v27, v78, v78
	v_pk_add_f16 v21, v3, v21
	s_delay_alu instid0(VALU_DEP_2) | instskip(NEXT) | instid1(VALU_DEP_1)
	v_pk_min_f16 v20, v27, v20
	v_pk_min_f16 v27, v20, v21
	v_lshlrev_b64 v[20:21], 1, v[46:47]
	s_delay_alu instid0(VALU_DEP_2) | instskip(NEXT) | instid1(VALU_DEP_2)
	v_lshrrev_b32_e32 v28, 16, v27
	v_add_co_u32 v20, vcc_lo, v24, v20
	s_delay_alu instid0(VALU_DEP_3) | instskip(NEXT) | instid1(VALU_DEP_3)
	v_add_co_ci_u32_e32 v21, vcc_lo, v25, v21, vcc_lo
	v_min3_f16 v26, v26, v27, v28
	global_store_b16 v[20:21], v26, off
.LBB217_224:
	s_or_b32 exec_lo, exec_lo, s4
	v_add_nc_u32_e32 v26, 0x48, v73
	s_delay_alu instid0(VALU_DEP_1) | instskip(SKIP_2) | instid1(VALU_DEP_3)
	v_mad_i64_i32 v[20:21], null, v26, s6, 0
	v_mad_i64_i32 v[24:25], null, v26, s5, 0
	v_cmp_gt_i32_e64 s4, s9, v26
	v_lshlrev_b64 v[20:21], 1, v[20:21]
	s_delay_alu instid0(VALU_DEP_2) | instskip(NEXT) | instid1(VALU_DEP_3)
	s_and_b32 s14, s0, s4
	v_lshlrev_b64 v[26:27], 1, v[24:25]
	s_delay_alu instid0(VALU_DEP_2) | instskip(NEXT) | instid1(VALU_DEP_3)
	v_add_co_u32 v24, vcc_lo, s12, v20
	v_add_co_ci_u32_e32 v25, vcc_lo, s13, v21, vcc_lo
	s_delay_alu instid0(VALU_DEP_3) | instskip(NEXT) | instid1(VALU_DEP_4)
	v_add_co_u32 v20, vcc_lo, s7, v26
	v_add_co_ci_u32_e32 v21, vcc_lo, s10, v27, vcc_lo
	s_and_saveexec_b32 s8, s14
	s_cbranch_execnz .LBB217_228
; %bb.225:
	s_or_b32 exec_lo, exec_lo, s8
	s_and_b32 s14, s1, s4
	s_delay_alu instid0(SALU_CYCLE_1)
	s_and_saveexec_b32 s8, s14
	s_cbranch_execnz .LBB217_232
.LBB217_226:
	s_or_b32 exec_lo, exec_lo, s8
	s_and_b32 s14, s2, s4
	s_delay_alu instid0(SALU_CYCLE_1)
	s_and_saveexec_b32 s8, s14
	s_cbranch_execnz .LBB217_236
.LBB217_227:
	s_or_b32 exec_lo, exec_lo, s8
	s_and_b32 s8, s3, s4
	s_delay_alu instid0(SALU_CYCLE_1)
	s_and_saveexec_b32 s4, s8
	s_cbranch_execnz .LBB217_240
	s_branch .LBB217_244
.LBB217_228:
	v_cmp_ne_u32_e32 vcc_lo, 1, v70
	s_cbranch_vccnz .LBB217_230
; %bb.229:
	v_lshlrev_b64 v[26:27], 1, v[40:41]
	s_delay_alu instid0(VALU_DEP_1) | instskip(NEXT) | instid1(VALU_DEP_2)
	v_add_co_u32 v26, vcc_lo, v24, v26
	v_add_co_ci_u32_e32 v27, vcc_lo, v25, v27, vcc_lo
	flat_load_u16 v26, v[26:27]
	s_waitcnt vmcnt(0) lgkmcnt(0)
	v_mul_f16_e32 v26, s11, v26
	s_branch .LBB217_231
.LBB217_230:
	v_mov_b32_e32 v26, 0
.LBB217_231:
	v_pk_add_f16 v27, v8, v22
	v_pk_max_f16 v28, v77, v77
	v_pk_add_f16 v29, v9, v23
	s_delay_alu instid0(VALU_DEP_2) | instskip(NEXT) | instid1(VALU_DEP_1)
	v_pk_min_f16 v27, v28, v27
	v_pk_min_f16 v29, v27, v29
	v_lshlrev_b64 v[27:28], 1, v[40:41]
	s_delay_alu instid0(VALU_DEP_2) | instskip(NEXT) | instid1(VALU_DEP_1)
	v_lshrrev_b32_e32 v30, 16, v29
	v_min3_f16 v29, v26, v29, v30
	s_delay_alu instid0(VALU_DEP_3) | instskip(NEXT) | instid1(VALU_DEP_4)
	v_add_co_u32 v26, vcc_lo, v20, v27
	v_add_co_ci_u32_e32 v27, vcc_lo, v21, v28, vcc_lo
	global_store_b16 v[26:27], v29, off
	s_or_b32 exec_lo, exec_lo, s8
	s_and_b32 s14, s1, s4
	s_delay_alu instid0(SALU_CYCLE_1)
	s_and_saveexec_b32 s8, s14
	s_cbranch_execz .LBB217_226
.LBB217_232:
	v_cmp_ne_u32_e32 vcc_lo, 1, v70
	s_cbranch_vccnz .LBB217_234
; %bb.233:
	v_lshlrev_b64 v[26:27], 1, v[42:43]
	s_delay_alu instid0(VALU_DEP_1) | instskip(NEXT) | instid1(VALU_DEP_2)
	v_add_co_u32 v26, vcc_lo, v24, v26
	v_add_co_ci_u32_e32 v27, vcc_lo, v25, v27, vcc_lo
	flat_load_u16 v26, v[26:27]
	s_waitcnt vmcnt(0) lgkmcnt(0)
	v_mul_f16_e32 v26, s11, v26
	s_branch .LBB217_235
.LBB217_234:
	v_mov_b32_e32 v26, 0
.LBB217_235:
	v_pk_add_f16 v27, v10, v22
	v_pk_max_f16 v28, v76, v76
	v_pk_add_f16 v29, v11, v23
	s_delay_alu instid0(VALU_DEP_2) | instskip(NEXT) | instid1(VALU_DEP_1)
	v_pk_min_f16 v27, v28, v27
	v_pk_min_f16 v29, v27, v29
	v_lshlrev_b64 v[27:28], 1, v[42:43]
	s_delay_alu instid0(VALU_DEP_2) | instskip(NEXT) | instid1(VALU_DEP_1)
	v_lshrrev_b32_e32 v30, 16, v29
	v_min3_f16 v29, v26, v29, v30
	s_delay_alu instid0(VALU_DEP_3) | instskip(NEXT) | instid1(VALU_DEP_4)
	v_add_co_u32 v26, vcc_lo, v20, v27
	v_add_co_ci_u32_e32 v27, vcc_lo, v21, v28, vcc_lo
	global_store_b16 v[26:27], v29, off
	s_or_b32 exec_lo, exec_lo, s8
	s_and_b32 s14, s2, s4
	s_delay_alu instid0(SALU_CYCLE_1)
	s_and_saveexec_b32 s8, s14
	s_cbranch_execz .LBB217_227
.LBB217_236:
	v_cmp_ne_u32_e32 vcc_lo, 1, v70
	s_cbranch_vccnz .LBB217_238
; %bb.237:
	v_lshlrev_b64 v[26:27], 1, v[44:45]
	s_delay_alu instid0(VALU_DEP_1) | instskip(NEXT) | instid1(VALU_DEP_2)
	v_add_co_u32 v26, vcc_lo, v24, v26
	v_add_co_ci_u32_e32 v27, vcc_lo, v25, v27, vcc_lo
	flat_load_u16 v26, v[26:27]
	s_waitcnt vmcnt(0) lgkmcnt(0)
	v_mul_f16_e32 v26, s11, v26
	s_branch .LBB217_239
.LBB217_238:
	v_mov_b32_e32 v26, 0
.LBB217_239:
	v_pk_add_f16 v27, v0, v22
	v_pk_max_f16 v28, v75, v75
	v_pk_add_f16 v29, v1, v23
	s_delay_alu instid0(VALU_DEP_2) | instskip(NEXT) | instid1(VALU_DEP_1)
	v_pk_min_f16 v27, v28, v27
	v_pk_min_f16 v29, v27, v29
	v_lshlrev_b64 v[27:28], 1, v[44:45]
	s_delay_alu instid0(VALU_DEP_2) | instskip(NEXT) | instid1(VALU_DEP_1)
	v_lshrrev_b32_e32 v30, 16, v29
	v_min3_f16 v29, v26, v29, v30
	s_delay_alu instid0(VALU_DEP_3) | instskip(NEXT) | instid1(VALU_DEP_4)
	v_add_co_u32 v26, vcc_lo, v20, v27
	v_add_co_ci_u32_e32 v27, vcc_lo, v21, v28, vcc_lo
	global_store_b16 v[26:27], v29, off
	s_or_b32 exec_lo, exec_lo, s8
	s_and_b32 s8, s3, s4
	s_delay_alu instid0(SALU_CYCLE_1)
	s_and_saveexec_b32 s4, s8
	s_cbranch_execz .LBB217_244
.LBB217_240:
	v_cmp_ne_u32_e32 vcc_lo, 1, v70
	s_cbranch_vccnz .LBB217_242
; %bb.241:
	v_lshlrev_b64 v[26:27], 1, v[46:47]
	s_delay_alu instid0(VALU_DEP_1) | instskip(NEXT) | instid1(VALU_DEP_2)
	v_add_co_u32 v24, vcc_lo, v24, v26
	v_add_co_ci_u32_e32 v25, vcc_lo, v25, v27, vcc_lo
	flat_load_u16 v24, v[24:25]
	s_waitcnt vmcnt(0) lgkmcnt(0)
	v_mul_f16_e32 v24, s11, v24
	s_branch .LBB217_243
.LBB217_242:
	v_mov_b32_e32 v24, 0
.LBB217_243:
	v_pk_add_f16 v22, v2, v22
	v_pk_max_f16 v25, v74, v74
	v_pk_add_f16 v23, v3, v23
	s_delay_alu instid0(VALU_DEP_2) | instskip(NEXT) | instid1(VALU_DEP_1)
	v_pk_min_f16 v22, v25, v22
	v_pk_min_f16 v25, v22, v23
	v_lshlrev_b64 v[22:23], 1, v[46:47]
	s_delay_alu instid0(VALU_DEP_2) | instskip(NEXT) | instid1(VALU_DEP_2)
	v_lshrrev_b32_e32 v26, 16, v25
	v_add_co_u32 v20, vcc_lo, v20, v22
	s_delay_alu instid0(VALU_DEP_3) | instskip(NEXT) | instid1(VALU_DEP_3)
	v_add_co_ci_u32_e32 v21, vcc_lo, v21, v23, vcc_lo
	v_min3_f16 v24, v24, v25, v26
	global_store_b16 v[20:21], v24, off
.LBB217_244:
	s_or_b32 exec_lo, exec_lo, s4
	v_add_nc_u32_e32 v24, 0x50, v73
	s_delay_alu instid0(VALU_DEP_1) | instskip(SKIP_2) | instid1(VALU_DEP_3)
	v_mad_i64_i32 v[20:21], null, v24, s6, 0
	v_mad_i64_i32 v[22:23], null, v24, s5, 0
	v_cmp_gt_i32_e64 s4, s9, v24
	v_lshlrev_b64 v[20:21], 1, v[20:21]
	s_delay_alu instid0(VALU_DEP_2) | instskip(NEXT) | instid1(VALU_DEP_3)
	s_and_b32 s14, s0, s4
	v_lshlrev_b64 v[24:25], 1, v[22:23]
	s_delay_alu instid0(VALU_DEP_2) | instskip(NEXT) | instid1(VALU_DEP_3)
	v_add_co_u32 v22, vcc_lo, s12, v20
	v_add_co_ci_u32_e32 v23, vcc_lo, s13, v21, vcc_lo
	s_delay_alu instid0(VALU_DEP_3) | instskip(NEXT) | instid1(VALU_DEP_4)
	v_add_co_u32 v20, vcc_lo, s7, v24
	v_add_co_ci_u32_e32 v21, vcc_lo, s10, v25, vcc_lo
	s_and_saveexec_b32 s8, s14
	s_cbranch_execnz .LBB217_248
; %bb.245:
	s_or_b32 exec_lo, exec_lo, s8
	s_and_b32 s14, s1, s4
	s_delay_alu instid0(SALU_CYCLE_1)
	s_and_saveexec_b32 s8, s14
	s_cbranch_execnz .LBB217_252
.LBB217_246:
	s_or_b32 exec_lo, exec_lo, s8
	s_and_b32 s14, s2, s4
	s_delay_alu instid0(SALU_CYCLE_1)
	s_and_saveexec_b32 s8, s14
	s_cbranch_execnz .LBB217_256
.LBB217_247:
	s_or_b32 exec_lo, exec_lo, s8
	s_and_b32 s8, s3, s4
	s_delay_alu instid0(SALU_CYCLE_1)
	s_and_saveexec_b32 s4, s8
	s_cbranch_execnz .LBB217_260
	s_branch .LBB217_264
.LBB217_248:
	v_cmp_ne_u32_e32 vcc_lo, 1, v70
	s_cbranch_vccnz .LBB217_250
; %bb.249:
	v_lshlrev_b64 v[24:25], 1, v[40:41]
	s_delay_alu instid0(VALU_DEP_1) | instskip(NEXT) | instid1(VALU_DEP_2)
	v_add_co_u32 v24, vcc_lo, v22, v24
	v_add_co_ci_u32_e32 v25, vcc_lo, v23, v25, vcc_lo
	flat_load_u16 v24, v[24:25]
	s_waitcnt vmcnt(0) lgkmcnt(0)
	v_mul_f16_e32 v24, s11, v24
	s_branch .LBB217_251
.LBB217_250:
	v_mov_b32_e32 v24, 0
.LBB217_251:
	v_pk_add_f16 v25, v8, v16
	v_pk_max_f16 v26, v72, v72
	v_pk_add_f16 v27, v9, v17
	s_delay_alu instid0(VALU_DEP_2) | instskip(NEXT) | instid1(VALU_DEP_1)
	v_pk_min_f16 v25, v26, v25
	v_pk_min_f16 v27, v25, v27
	v_lshlrev_b64 v[25:26], 1, v[40:41]
	s_delay_alu instid0(VALU_DEP_2) | instskip(NEXT) | instid1(VALU_DEP_1)
	v_lshrrev_b32_e32 v28, 16, v27
	v_min3_f16 v27, v24, v27, v28
	s_delay_alu instid0(VALU_DEP_3) | instskip(NEXT) | instid1(VALU_DEP_4)
	v_add_co_u32 v24, vcc_lo, v20, v25
	v_add_co_ci_u32_e32 v25, vcc_lo, v21, v26, vcc_lo
	global_store_b16 v[24:25], v27, off
	s_or_b32 exec_lo, exec_lo, s8
	s_and_b32 s14, s1, s4
	s_delay_alu instid0(SALU_CYCLE_1)
	s_and_saveexec_b32 s8, s14
	s_cbranch_execz .LBB217_246
.LBB217_252:
	v_cmp_ne_u32_e32 vcc_lo, 1, v70
	s_cbranch_vccnz .LBB217_254
; %bb.253:
	v_lshlrev_b64 v[24:25], 1, v[42:43]
	s_delay_alu instid0(VALU_DEP_1) | instskip(NEXT) | instid1(VALU_DEP_2)
	v_add_co_u32 v24, vcc_lo, v22, v24
	v_add_co_ci_u32_e32 v25, vcc_lo, v23, v25, vcc_lo
	flat_load_u16 v24, v[24:25]
	s_waitcnt vmcnt(0) lgkmcnt(0)
	v_mul_f16_e32 v24, s11, v24
	s_branch .LBB217_255
.LBB217_254:
	v_mov_b32_e32 v24, 0
.LBB217_255:
	v_pk_add_f16 v25, v10, v16
	v_pk_max_f16 v26, v71, v71
	v_pk_add_f16 v27, v11, v17
	s_delay_alu instid0(VALU_DEP_2) | instskip(NEXT) | instid1(VALU_DEP_1)
	v_pk_min_f16 v25, v26, v25
	v_pk_min_f16 v27, v25, v27
	v_lshlrev_b64 v[25:26], 1, v[42:43]
	s_delay_alu instid0(VALU_DEP_2) | instskip(NEXT) | instid1(VALU_DEP_1)
	v_lshrrev_b32_e32 v28, 16, v27
	v_min3_f16 v27, v24, v27, v28
	s_delay_alu instid0(VALU_DEP_3) | instskip(NEXT) | instid1(VALU_DEP_4)
	v_add_co_u32 v24, vcc_lo, v20, v25
	v_add_co_ci_u32_e32 v25, vcc_lo, v21, v26, vcc_lo
	global_store_b16 v[24:25], v27, off
	s_or_b32 exec_lo, exec_lo, s8
	s_and_b32 s14, s2, s4
	s_delay_alu instid0(SALU_CYCLE_1)
	s_and_saveexec_b32 s8, s14
	s_cbranch_execz .LBB217_247
.LBB217_256:
	v_cmp_ne_u32_e32 vcc_lo, 1, v70
	s_cbranch_vccnz .LBB217_258
; %bb.257:
	v_lshlrev_b64 v[24:25], 1, v[44:45]
	s_delay_alu instid0(VALU_DEP_1) | instskip(NEXT) | instid1(VALU_DEP_2)
	v_add_co_u32 v24, vcc_lo, v22, v24
	v_add_co_ci_u32_e32 v25, vcc_lo, v23, v25, vcc_lo
	flat_load_u16 v24, v[24:25]
	s_waitcnt vmcnt(0) lgkmcnt(0)
	v_mul_f16_e32 v24, s11, v24
	s_branch .LBB217_259
.LBB217_258:
	v_mov_b32_e32 v24, 0
.LBB217_259:
	v_pk_add_f16 v25, v0, v16
	v_pk_max_f16 v26, v69, v69
	v_pk_add_f16 v27, v1, v17
	s_delay_alu instid0(VALU_DEP_2) | instskip(NEXT) | instid1(VALU_DEP_1)
	v_pk_min_f16 v25, v26, v25
	v_pk_min_f16 v27, v25, v27
	v_lshlrev_b64 v[25:26], 1, v[44:45]
	s_delay_alu instid0(VALU_DEP_2) | instskip(NEXT) | instid1(VALU_DEP_1)
	v_lshrrev_b32_e32 v28, 16, v27
	v_min3_f16 v27, v24, v27, v28
	s_delay_alu instid0(VALU_DEP_3) | instskip(NEXT) | instid1(VALU_DEP_4)
	v_add_co_u32 v24, vcc_lo, v20, v25
	v_add_co_ci_u32_e32 v25, vcc_lo, v21, v26, vcc_lo
	global_store_b16 v[24:25], v27, off
	s_or_b32 exec_lo, exec_lo, s8
	s_and_b32 s8, s3, s4
	s_delay_alu instid0(SALU_CYCLE_1)
	s_and_saveexec_b32 s4, s8
	s_cbranch_execz .LBB217_264
.LBB217_260:
	v_cmp_ne_u32_e32 vcc_lo, 1, v70
	s_cbranch_vccnz .LBB217_262
; %bb.261:
	v_lshlrev_b64 v[24:25], 1, v[46:47]
	s_delay_alu instid0(VALU_DEP_1) | instskip(NEXT) | instid1(VALU_DEP_2)
	v_add_co_u32 v22, vcc_lo, v22, v24
	v_add_co_ci_u32_e32 v23, vcc_lo, v23, v25, vcc_lo
	flat_load_u16 v22, v[22:23]
	s_waitcnt vmcnt(0) lgkmcnt(0)
	v_mul_f16_e32 v22, s11, v22
	s_branch .LBB217_263
.LBB217_262:
	v_mov_b32_e32 v22, 0
.LBB217_263:
	v_pk_add_f16 v16, v2, v16
	v_pk_max_f16 v23, v68, v68
	v_pk_add_f16 v17, v3, v17
	s_delay_alu instid0(VALU_DEP_2) | instskip(NEXT) | instid1(VALU_DEP_1)
	v_pk_min_f16 v16, v23, v16
	v_pk_min_f16 v23, v16, v17
	v_lshlrev_b64 v[16:17], 1, v[46:47]
	s_delay_alu instid0(VALU_DEP_2) | instskip(NEXT) | instid1(VALU_DEP_2)
	v_lshrrev_b32_e32 v24, 16, v23
	v_add_co_u32 v16, vcc_lo, v20, v16
	s_delay_alu instid0(VALU_DEP_3) | instskip(NEXT) | instid1(VALU_DEP_3)
	v_add_co_ci_u32_e32 v17, vcc_lo, v21, v17, vcc_lo
	v_min3_f16 v22, v22, v23, v24
	global_store_b16 v[16:17], v22, off
.LBB217_264:
	s_or_b32 exec_lo, exec_lo, s4
	v_add_nc_u32_e32 v22, 0x58, v73
	s_delay_alu instid0(VALU_DEP_1) | instskip(SKIP_2) | instid1(VALU_DEP_3)
	v_mad_i64_i32 v[16:17], null, v22, s6, 0
	v_mad_i64_i32 v[20:21], null, v22, s5, 0
	v_cmp_gt_i32_e64 s4, s9, v22
	v_lshlrev_b64 v[16:17], 1, v[16:17]
	s_delay_alu instid0(VALU_DEP_2) | instskip(NEXT) | instid1(VALU_DEP_3)
	s_and_b32 s14, s0, s4
	v_lshlrev_b64 v[22:23], 1, v[20:21]
	s_delay_alu instid0(VALU_DEP_2) | instskip(NEXT) | instid1(VALU_DEP_3)
	v_add_co_u32 v20, vcc_lo, s12, v16
	v_add_co_ci_u32_e32 v21, vcc_lo, s13, v17, vcc_lo
	s_delay_alu instid0(VALU_DEP_3) | instskip(NEXT) | instid1(VALU_DEP_4)
	v_add_co_u32 v16, vcc_lo, s7, v22
	v_add_co_ci_u32_e32 v17, vcc_lo, s10, v23, vcc_lo
	s_and_saveexec_b32 s8, s14
	s_cbranch_execnz .LBB217_268
; %bb.265:
	s_or_b32 exec_lo, exec_lo, s8
	s_and_b32 s14, s1, s4
	s_delay_alu instid0(SALU_CYCLE_1)
	s_and_saveexec_b32 s8, s14
	s_cbranch_execnz .LBB217_272
.LBB217_266:
	s_or_b32 exec_lo, exec_lo, s8
	s_and_b32 s14, s2, s4
	s_delay_alu instid0(SALU_CYCLE_1)
	s_and_saveexec_b32 s8, s14
	s_cbranch_execnz .LBB217_276
.LBB217_267:
	s_or_b32 exec_lo, exec_lo, s8
	s_and_b32 s8, s3, s4
	s_delay_alu instid0(SALU_CYCLE_1)
	s_and_saveexec_b32 s4, s8
	s_cbranch_execnz .LBB217_280
	s_branch .LBB217_284
.LBB217_268:
	v_cmp_ne_u32_e32 vcc_lo, 1, v70
	s_cbranch_vccnz .LBB217_270
; %bb.269:
	v_lshlrev_b64 v[22:23], 1, v[40:41]
	s_delay_alu instid0(VALU_DEP_1) | instskip(NEXT) | instid1(VALU_DEP_2)
	v_add_co_u32 v22, vcc_lo, v20, v22
	v_add_co_ci_u32_e32 v23, vcc_lo, v21, v23, vcc_lo
	flat_load_u16 v22, v[22:23]
	s_waitcnt vmcnt(0) lgkmcnt(0)
	v_mul_f16_e32 v22, s11, v22
	s_branch .LBB217_271
.LBB217_270:
	v_mov_b32_e32 v22, 0
.LBB217_271:
	v_pk_add_f16 v23, v8, v18
	v_pk_max_f16 v24, v67, v67
	v_pk_add_f16 v25, v9, v19
	s_delay_alu instid0(VALU_DEP_2) | instskip(NEXT) | instid1(VALU_DEP_1)
	v_pk_min_f16 v23, v24, v23
	v_pk_min_f16 v25, v23, v25
	v_lshlrev_b64 v[23:24], 1, v[40:41]
	s_delay_alu instid0(VALU_DEP_2) | instskip(NEXT) | instid1(VALU_DEP_1)
	v_lshrrev_b32_e32 v26, 16, v25
	v_min3_f16 v25, v22, v25, v26
	s_delay_alu instid0(VALU_DEP_3) | instskip(NEXT) | instid1(VALU_DEP_4)
	v_add_co_u32 v22, vcc_lo, v16, v23
	v_add_co_ci_u32_e32 v23, vcc_lo, v17, v24, vcc_lo
	global_store_b16 v[22:23], v25, off
	s_or_b32 exec_lo, exec_lo, s8
	s_and_b32 s14, s1, s4
	s_delay_alu instid0(SALU_CYCLE_1)
	s_and_saveexec_b32 s8, s14
	s_cbranch_execz .LBB217_266
.LBB217_272:
	v_cmp_ne_u32_e32 vcc_lo, 1, v70
	s_cbranch_vccnz .LBB217_274
; %bb.273:
	v_lshlrev_b64 v[22:23], 1, v[42:43]
	s_delay_alu instid0(VALU_DEP_1) | instskip(NEXT) | instid1(VALU_DEP_2)
	v_add_co_u32 v22, vcc_lo, v20, v22
	v_add_co_ci_u32_e32 v23, vcc_lo, v21, v23, vcc_lo
	flat_load_u16 v22, v[22:23]
	s_waitcnt vmcnt(0) lgkmcnt(0)
	v_mul_f16_e32 v22, s11, v22
	s_branch .LBB217_275
.LBB217_274:
	v_mov_b32_e32 v22, 0
.LBB217_275:
	v_pk_add_f16 v23, v10, v18
	v_pk_max_f16 v24, v66, v66
	v_pk_add_f16 v25, v11, v19
	s_delay_alu instid0(VALU_DEP_2) | instskip(NEXT) | instid1(VALU_DEP_1)
	v_pk_min_f16 v23, v24, v23
	v_pk_min_f16 v25, v23, v25
	v_lshlrev_b64 v[23:24], 1, v[42:43]
	s_delay_alu instid0(VALU_DEP_2) | instskip(NEXT) | instid1(VALU_DEP_1)
	v_lshrrev_b32_e32 v26, 16, v25
	v_min3_f16 v25, v22, v25, v26
	s_delay_alu instid0(VALU_DEP_3) | instskip(NEXT) | instid1(VALU_DEP_4)
	v_add_co_u32 v22, vcc_lo, v16, v23
	v_add_co_ci_u32_e32 v23, vcc_lo, v17, v24, vcc_lo
	global_store_b16 v[22:23], v25, off
	s_or_b32 exec_lo, exec_lo, s8
	s_and_b32 s14, s2, s4
	s_delay_alu instid0(SALU_CYCLE_1)
	s_and_saveexec_b32 s8, s14
	s_cbranch_execz .LBB217_267
.LBB217_276:
	v_cmp_ne_u32_e32 vcc_lo, 1, v70
	s_cbranch_vccnz .LBB217_278
; %bb.277:
	v_lshlrev_b64 v[22:23], 1, v[44:45]
	s_delay_alu instid0(VALU_DEP_1) | instskip(NEXT) | instid1(VALU_DEP_2)
	v_add_co_u32 v22, vcc_lo, v20, v22
	v_add_co_ci_u32_e32 v23, vcc_lo, v21, v23, vcc_lo
	flat_load_u16 v22, v[22:23]
	s_waitcnt vmcnt(0) lgkmcnt(0)
	v_mul_f16_e32 v22, s11, v22
	s_branch .LBB217_279
.LBB217_278:
	v_mov_b32_e32 v22, 0
.LBB217_279:
	v_pk_add_f16 v23, v0, v18
	v_pk_max_f16 v24, v65, v65
	v_pk_add_f16 v25, v1, v19
	s_delay_alu instid0(VALU_DEP_2) | instskip(NEXT) | instid1(VALU_DEP_1)
	v_pk_min_f16 v23, v24, v23
	v_pk_min_f16 v25, v23, v25
	v_lshlrev_b64 v[23:24], 1, v[44:45]
	s_delay_alu instid0(VALU_DEP_2) | instskip(NEXT) | instid1(VALU_DEP_1)
	v_lshrrev_b32_e32 v26, 16, v25
	v_min3_f16 v25, v22, v25, v26
	s_delay_alu instid0(VALU_DEP_3) | instskip(NEXT) | instid1(VALU_DEP_4)
	v_add_co_u32 v22, vcc_lo, v16, v23
	v_add_co_ci_u32_e32 v23, vcc_lo, v17, v24, vcc_lo
	global_store_b16 v[22:23], v25, off
	s_or_b32 exec_lo, exec_lo, s8
	s_and_b32 s8, s3, s4
	s_delay_alu instid0(SALU_CYCLE_1)
	s_and_saveexec_b32 s4, s8
	s_cbranch_execz .LBB217_284
.LBB217_280:
	v_cmp_ne_u32_e32 vcc_lo, 1, v70
	s_cbranch_vccnz .LBB217_282
; %bb.281:
	v_lshlrev_b64 v[22:23], 1, v[46:47]
	s_delay_alu instid0(VALU_DEP_1) | instskip(NEXT) | instid1(VALU_DEP_2)
	v_add_co_u32 v20, vcc_lo, v20, v22
	v_add_co_ci_u32_e32 v21, vcc_lo, v21, v23, vcc_lo
	flat_load_u16 v20, v[20:21]
	s_waitcnt vmcnt(0) lgkmcnt(0)
	v_mul_f16_e32 v20, s11, v20
	s_branch .LBB217_283
.LBB217_282:
	v_mov_b32_e32 v20, 0
.LBB217_283:
	v_pk_add_f16 v18, v2, v18
	v_pk_max_f16 v21, v64, v64
	v_pk_add_f16 v19, v3, v19
	s_delay_alu instid0(VALU_DEP_2) | instskip(NEXT) | instid1(VALU_DEP_1)
	v_pk_min_f16 v18, v21, v18
	v_pk_min_f16 v21, v18, v19
	v_lshlrev_b64 v[18:19], 1, v[46:47]
	s_delay_alu instid0(VALU_DEP_2) | instskip(NEXT) | instid1(VALU_DEP_2)
	v_lshrrev_b32_e32 v22, 16, v21
	v_add_co_u32 v16, vcc_lo, v16, v18
	s_delay_alu instid0(VALU_DEP_3) | instskip(NEXT) | instid1(VALU_DEP_3)
	v_add_co_ci_u32_e32 v17, vcc_lo, v17, v19, vcc_lo
	v_min3_f16 v20, v20, v21, v22
	global_store_b16 v[16:17], v20, off
.LBB217_284:
	s_or_b32 exec_lo, exec_lo, s4
	v_add_nc_u32_e32 v20, 0x60, v73
	s_delay_alu instid0(VALU_DEP_1) | instskip(SKIP_2) | instid1(VALU_DEP_3)
	v_mad_i64_i32 v[16:17], null, v20, s6, 0
	v_mad_i64_i32 v[18:19], null, v20, s5, 0
	v_cmp_gt_i32_e64 s4, s9, v20
	v_lshlrev_b64 v[16:17], 1, v[16:17]
	s_delay_alu instid0(VALU_DEP_2) | instskip(NEXT) | instid1(VALU_DEP_3)
	s_and_b32 s14, s0, s4
	v_lshlrev_b64 v[20:21], 1, v[18:19]
	s_delay_alu instid0(VALU_DEP_2) | instskip(NEXT) | instid1(VALU_DEP_3)
	v_add_co_u32 v18, vcc_lo, s12, v16
	v_add_co_ci_u32_e32 v19, vcc_lo, s13, v17, vcc_lo
	s_delay_alu instid0(VALU_DEP_3) | instskip(NEXT) | instid1(VALU_DEP_4)
	v_add_co_u32 v16, vcc_lo, s7, v20
	v_add_co_ci_u32_e32 v17, vcc_lo, s10, v21, vcc_lo
	s_and_saveexec_b32 s8, s14
	s_cbranch_execnz .LBB217_288
; %bb.285:
	s_or_b32 exec_lo, exec_lo, s8
	s_and_b32 s14, s1, s4
	s_delay_alu instid0(SALU_CYCLE_1)
	s_and_saveexec_b32 s8, s14
	s_cbranch_execnz .LBB217_292
.LBB217_286:
	s_or_b32 exec_lo, exec_lo, s8
	s_and_b32 s14, s2, s4
	s_delay_alu instid0(SALU_CYCLE_1)
	s_and_saveexec_b32 s8, s14
	s_cbranch_execnz .LBB217_296
.LBB217_287:
	s_or_b32 exec_lo, exec_lo, s8
	s_and_b32 s8, s3, s4
	s_delay_alu instid0(SALU_CYCLE_1)
	s_and_saveexec_b32 s4, s8
	s_cbranch_execnz .LBB217_300
	s_branch .LBB217_304
.LBB217_288:
	v_cmp_ne_u32_e32 vcc_lo, 1, v70
	s_cbranch_vccnz .LBB217_290
; %bb.289:
	v_lshlrev_b64 v[20:21], 1, v[40:41]
	s_delay_alu instid0(VALU_DEP_1) | instskip(NEXT) | instid1(VALU_DEP_2)
	v_add_co_u32 v20, vcc_lo, v18, v20
	v_add_co_ci_u32_e32 v21, vcc_lo, v19, v21, vcc_lo
	flat_load_u16 v20, v[20:21]
	s_waitcnt vmcnt(0) lgkmcnt(0)
	v_mul_f16_e32 v20, s11, v20
	s_branch .LBB217_291
.LBB217_290:
	v_mov_b32_e32 v20, 0
.LBB217_291:
	v_pk_add_f16 v21, v8, v12
	v_pk_max_f16 v22, v63, v63
	v_pk_add_f16 v23, v9, v13
	s_delay_alu instid0(VALU_DEP_2) | instskip(NEXT) | instid1(VALU_DEP_1)
	v_pk_min_f16 v21, v22, v21
	v_pk_min_f16 v23, v21, v23
	v_lshlrev_b64 v[21:22], 1, v[40:41]
	s_delay_alu instid0(VALU_DEP_2) | instskip(NEXT) | instid1(VALU_DEP_1)
	v_lshrrev_b32_e32 v24, 16, v23
	v_min3_f16 v23, v20, v23, v24
	s_delay_alu instid0(VALU_DEP_3) | instskip(NEXT) | instid1(VALU_DEP_4)
	v_add_co_u32 v20, vcc_lo, v16, v21
	v_add_co_ci_u32_e32 v21, vcc_lo, v17, v22, vcc_lo
	global_store_b16 v[20:21], v23, off
	s_or_b32 exec_lo, exec_lo, s8
	s_and_b32 s14, s1, s4
	s_delay_alu instid0(SALU_CYCLE_1)
	s_and_saveexec_b32 s8, s14
	s_cbranch_execz .LBB217_286
.LBB217_292:
	v_cmp_ne_u32_e32 vcc_lo, 1, v70
	s_cbranch_vccnz .LBB217_294
; %bb.293:
	v_lshlrev_b64 v[20:21], 1, v[42:43]
	s_delay_alu instid0(VALU_DEP_1) | instskip(NEXT) | instid1(VALU_DEP_2)
	v_add_co_u32 v20, vcc_lo, v18, v20
	v_add_co_ci_u32_e32 v21, vcc_lo, v19, v21, vcc_lo
	flat_load_u16 v20, v[20:21]
	s_waitcnt vmcnt(0) lgkmcnt(0)
	v_mul_f16_e32 v20, s11, v20
	s_branch .LBB217_295
.LBB217_294:
	v_mov_b32_e32 v20, 0
.LBB217_295:
	v_pk_add_f16 v21, v10, v12
	v_pk_max_f16 v22, v62, v62
	v_pk_add_f16 v23, v11, v13
	s_delay_alu instid0(VALU_DEP_2) | instskip(NEXT) | instid1(VALU_DEP_1)
	v_pk_min_f16 v21, v22, v21
	v_pk_min_f16 v23, v21, v23
	v_lshlrev_b64 v[21:22], 1, v[42:43]
	s_delay_alu instid0(VALU_DEP_2) | instskip(NEXT) | instid1(VALU_DEP_1)
	v_lshrrev_b32_e32 v24, 16, v23
	v_min3_f16 v23, v20, v23, v24
	s_delay_alu instid0(VALU_DEP_3) | instskip(NEXT) | instid1(VALU_DEP_4)
	v_add_co_u32 v20, vcc_lo, v16, v21
	v_add_co_ci_u32_e32 v21, vcc_lo, v17, v22, vcc_lo
	global_store_b16 v[20:21], v23, off
	s_or_b32 exec_lo, exec_lo, s8
	s_and_b32 s14, s2, s4
	s_delay_alu instid0(SALU_CYCLE_1)
	s_and_saveexec_b32 s8, s14
	s_cbranch_execz .LBB217_287
.LBB217_296:
	v_cmp_ne_u32_e32 vcc_lo, 1, v70
	s_cbranch_vccnz .LBB217_298
; %bb.297:
	v_lshlrev_b64 v[20:21], 1, v[44:45]
	s_delay_alu instid0(VALU_DEP_1) | instskip(NEXT) | instid1(VALU_DEP_2)
	v_add_co_u32 v20, vcc_lo, v18, v20
	v_add_co_ci_u32_e32 v21, vcc_lo, v19, v21, vcc_lo
	flat_load_u16 v20, v[20:21]
	s_waitcnt vmcnt(0) lgkmcnt(0)
	v_mul_f16_e32 v20, s11, v20
	s_branch .LBB217_299
.LBB217_298:
	v_mov_b32_e32 v20, 0
.LBB217_299:
	v_pk_add_f16 v21, v0, v12
	v_pk_max_f16 v22, v61, v61
	v_pk_add_f16 v23, v1, v13
	s_delay_alu instid0(VALU_DEP_2) | instskip(NEXT) | instid1(VALU_DEP_1)
	v_pk_min_f16 v21, v22, v21
	v_pk_min_f16 v23, v21, v23
	v_lshlrev_b64 v[21:22], 1, v[44:45]
	s_delay_alu instid0(VALU_DEP_2) | instskip(NEXT) | instid1(VALU_DEP_1)
	v_lshrrev_b32_e32 v24, 16, v23
	v_min3_f16 v23, v20, v23, v24
	s_delay_alu instid0(VALU_DEP_3) | instskip(NEXT) | instid1(VALU_DEP_4)
	v_add_co_u32 v20, vcc_lo, v16, v21
	v_add_co_ci_u32_e32 v21, vcc_lo, v17, v22, vcc_lo
	global_store_b16 v[20:21], v23, off
	s_or_b32 exec_lo, exec_lo, s8
	s_and_b32 s8, s3, s4
	s_delay_alu instid0(SALU_CYCLE_1)
	s_and_saveexec_b32 s4, s8
	s_cbranch_execz .LBB217_304
.LBB217_300:
	v_cmp_ne_u32_e32 vcc_lo, 1, v70
	s_cbranch_vccnz .LBB217_302
; %bb.301:
	v_lshlrev_b64 v[20:21], 1, v[46:47]
	s_delay_alu instid0(VALU_DEP_1) | instskip(NEXT) | instid1(VALU_DEP_2)
	v_add_co_u32 v18, vcc_lo, v18, v20
	v_add_co_ci_u32_e32 v19, vcc_lo, v19, v21, vcc_lo
	flat_load_u16 v18, v[18:19]
	s_waitcnt vmcnt(0) lgkmcnt(0)
	v_mul_f16_e32 v18, s11, v18
	s_branch .LBB217_303
.LBB217_302:
	v_mov_b32_e32 v18, 0
.LBB217_303:
	v_pk_add_f16 v12, v2, v12
	v_pk_max_f16 v19, v60, v60
	v_pk_add_f16 v13, v3, v13
	s_delay_alu instid0(VALU_DEP_2) | instskip(NEXT) | instid1(VALU_DEP_1)
	v_pk_min_f16 v12, v19, v12
	v_pk_min_f16 v19, v12, v13
	v_lshlrev_b64 v[12:13], 1, v[46:47]
	s_delay_alu instid0(VALU_DEP_2) | instskip(NEXT) | instid1(VALU_DEP_2)
	v_lshrrev_b32_e32 v20, 16, v19
	v_add_co_u32 v12, vcc_lo, v16, v12
	s_delay_alu instid0(VALU_DEP_3) | instskip(NEXT) | instid1(VALU_DEP_3)
	v_add_co_ci_u32_e32 v13, vcc_lo, v17, v13, vcc_lo
	v_min3_f16 v18, v18, v19, v20
	global_store_b16 v[12:13], v18, off
.LBB217_304:
	s_or_b32 exec_lo, exec_lo, s4
	v_add_nc_u32_e32 v18, 0x68, v73
	s_delay_alu instid0(VALU_DEP_1) | instskip(SKIP_2) | instid1(VALU_DEP_3)
	v_mad_i64_i32 v[12:13], null, v18, s6, 0
	v_mad_i64_i32 v[16:17], null, v18, s5, 0
	v_cmp_gt_i32_e64 s4, s9, v18
	v_lshlrev_b64 v[12:13], 1, v[12:13]
	s_delay_alu instid0(VALU_DEP_2) | instskip(NEXT) | instid1(VALU_DEP_3)
	s_and_b32 s14, s0, s4
	v_lshlrev_b64 v[18:19], 1, v[16:17]
	s_delay_alu instid0(VALU_DEP_2) | instskip(NEXT) | instid1(VALU_DEP_3)
	v_add_co_u32 v16, vcc_lo, s12, v12
	v_add_co_ci_u32_e32 v17, vcc_lo, s13, v13, vcc_lo
	s_delay_alu instid0(VALU_DEP_3) | instskip(NEXT) | instid1(VALU_DEP_4)
	v_add_co_u32 v12, vcc_lo, s7, v18
	v_add_co_ci_u32_e32 v13, vcc_lo, s10, v19, vcc_lo
	s_and_saveexec_b32 s8, s14
	s_cbranch_execnz .LBB217_308
; %bb.305:
	s_or_b32 exec_lo, exec_lo, s8
	s_and_b32 s14, s1, s4
	s_delay_alu instid0(SALU_CYCLE_1)
	s_and_saveexec_b32 s8, s14
	s_cbranch_execnz .LBB217_312
.LBB217_306:
	s_or_b32 exec_lo, exec_lo, s8
	s_and_b32 s14, s2, s4
	s_delay_alu instid0(SALU_CYCLE_1)
	s_and_saveexec_b32 s8, s14
	s_cbranch_execnz .LBB217_316
.LBB217_307:
	s_or_b32 exec_lo, exec_lo, s8
	s_and_b32 s8, s3, s4
	s_delay_alu instid0(SALU_CYCLE_1)
	s_and_saveexec_b32 s4, s8
	s_cbranch_execnz .LBB217_320
	s_branch .LBB217_324
.LBB217_308:
	v_cmp_ne_u32_e32 vcc_lo, 1, v70
	s_cbranch_vccnz .LBB217_310
; %bb.309:
	v_lshlrev_b64 v[18:19], 1, v[40:41]
	s_delay_alu instid0(VALU_DEP_1) | instskip(NEXT) | instid1(VALU_DEP_2)
	v_add_co_u32 v18, vcc_lo, v16, v18
	v_add_co_ci_u32_e32 v19, vcc_lo, v17, v19, vcc_lo
	flat_load_u16 v18, v[18:19]
	s_waitcnt vmcnt(0) lgkmcnt(0)
	v_mul_f16_e32 v18, s11, v18
	s_branch .LBB217_311
.LBB217_310:
	v_mov_b32_e32 v18, 0
.LBB217_311:
	v_pk_add_f16 v19, v8, v14
	v_pk_max_f16 v20, v59, v59
	v_pk_add_f16 v21, v9, v15
	s_delay_alu instid0(VALU_DEP_2) | instskip(NEXT) | instid1(VALU_DEP_1)
	v_pk_min_f16 v19, v20, v19
	v_pk_min_f16 v21, v19, v21
	v_lshlrev_b64 v[19:20], 1, v[40:41]
	s_delay_alu instid0(VALU_DEP_2) | instskip(NEXT) | instid1(VALU_DEP_1)
	v_lshrrev_b32_e32 v22, 16, v21
	v_min3_f16 v21, v18, v21, v22
	s_delay_alu instid0(VALU_DEP_3) | instskip(NEXT) | instid1(VALU_DEP_4)
	v_add_co_u32 v18, vcc_lo, v12, v19
	v_add_co_ci_u32_e32 v19, vcc_lo, v13, v20, vcc_lo
	global_store_b16 v[18:19], v21, off
	s_or_b32 exec_lo, exec_lo, s8
	s_and_b32 s14, s1, s4
	s_delay_alu instid0(SALU_CYCLE_1)
	s_and_saveexec_b32 s8, s14
	s_cbranch_execz .LBB217_306
.LBB217_312:
	v_cmp_ne_u32_e32 vcc_lo, 1, v70
	s_cbranch_vccnz .LBB217_314
; %bb.313:
	v_lshlrev_b64 v[18:19], 1, v[42:43]
	s_delay_alu instid0(VALU_DEP_1) | instskip(NEXT) | instid1(VALU_DEP_2)
	v_add_co_u32 v18, vcc_lo, v16, v18
	v_add_co_ci_u32_e32 v19, vcc_lo, v17, v19, vcc_lo
	flat_load_u16 v18, v[18:19]
	s_waitcnt vmcnt(0) lgkmcnt(0)
	v_mul_f16_e32 v18, s11, v18
	s_branch .LBB217_315
.LBB217_314:
	v_mov_b32_e32 v18, 0
.LBB217_315:
	v_pk_add_f16 v19, v10, v14
	v_pk_max_f16 v20, v58, v58
	v_pk_add_f16 v21, v11, v15
	s_delay_alu instid0(VALU_DEP_2) | instskip(NEXT) | instid1(VALU_DEP_1)
	v_pk_min_f16 v19, v20, v19
	v_pk_min_f16 v21, v19, v21
	v_lshlrev_b64 v[19:20], 1, v[42:43]
	s_delay_alu instid0(VALU_DEP_2) | instskip(NEXT) | instid1(VALU_DEP_1)
	v_lshrrev_b32_e32 v22, 16, v21
	v_min3_f16 v21, v18, v21, v22
	s_delay_alu instid0(VALU_DEP_3) | instskip(NEXT) | instid1(VALU_DEP_4)
	v_add_co_u32 v18, vcc_lo, v12, v19
	v_add_co_ci_u32_e32 v19, vcc_lo, v13, v20, vcc_lo
	global_store_b16 v[18:19], v21, off
	s_or_b32 exec_lo, exec_lo, s8
	s_and_b32 s14, s2, s4
	s_delay_alu instid0(SALU_CYCLE_1)
	s_and_saveexec_b32 s8, s14
	s_cbranch_execz .LBB217_307
.LBB217_316:
	v_cmp_ne_u32_e32 vcc_lo, 1, v70
	s_cbranch_vccnz .LBB217_318
; %bb.317:
	v_lshlrev_b64 v[18:19], 1, v[44:45]
	s_delay_alu instid0(VALU_DEP_1) | instskip(NEXT) | instid1(VALU_DEP_2)
	v_add_co_u32 v18, vcc_lo, v16, v18
	v_add_co_ci_u32_e32 v19, vcc_lo, v17, v19, vcc_lo
	flat_load_u16 v18, v[18:19]
	s_waitcnt vmcnt(0) lgkmcnt(0)
	v_mul_f16_e32 v18, s11, v18
	s_branch .LBB217_319
.LBB217_318:
	v_mov_b32_e32 v18, 0
.LBB217_319:
	v_pk_add_f16 v19, v0, v14
	v_pk_max_f16 v20, v57, v57
	v_pk_add_f16 v21, v1, v15
	s_delay_alu instid0(VALU_DEP_2) | instskip(NEXT) | instid1(VALU_DEP_1)
	v_pk_min_f16 v19, v20, v19
	v_pk_min_f16 v21, v19, v21
	v_lshlrev_b64 v[19:20], 1, v[44:45]
	s_delay_alu instid0(VALU_DEP_2) | instskip(NEXT) | instid1(VALU_DEP_1)
	v_lshrrev_b32_e32 v22, 16, v21
	v_min3_f16 v21, v18, v21, v22
	s_delay_alu instid0(VALU_DEP_3) | instskip(NEXT) | instid1(VALU_DEP_4)
	v_add_co_u32 v18, vcc_lo, v12, v19
	v_add_co_ci_u32_e32 v19, vcc_lo, v13, v20, vcc_lo
	global_store_b16 v[18:19], v21, off
	s_or_b32 exec_lo, exec_lo, s8
	s_and_b32 s8, s3, s4
	s_delay_alu instid0(SALU_CYCLE_1)
	s_and_saveexec_b32 s4, s8
	s_cbranch_execz .LBB217_324
.LBB217_320:
	v_cmp_ne_u32_e32 vcc_lo, 1, v70
	s_cbranch_vccnz .LBB217_322
; %bb.321:
	v_lshlrev_b64 v[18:19], 1, v[46:47]
	s_delay_alu instid0(VALU_DEP_1) | instskip(NEXT) | instid1(VALU_DEP_2)
	v_add_co_u32 v16, vcc_lo, v16, v18
	v_add_co_ci_u32_e32 v17, vcc_lo, v17, v19, vcc_lo
	flat_load_u16 v16, v[16:17]
	s_waitcnt vmcnt(0) lgkmcnt(0)
	v_mul_f16_e32 v16, s11, v16
	s_branch .LBB217_323
.LBB217_322:
	v_mov_b32_e32 v16, 0
.LBB217_323:
	v_pk_add_f16 v14, v2, v14
	v_pk_max_f16 v17, v56, v56
	v_pk_add_f16 v15, v3, v15
	s_delay_alu instid0(VALU_DEP_2) | instskip(NEXT) | instid1(VALU_DEP_1)
	v_pk_min_f16 v14, v17, v14
	v_pk_min_f16 v17, v14, v15
	v_lshlrev_b64 v[14:15], 1, v[46:47]
	s_delay_alu instid0(VALU_DEP_2) | instskip(NEXT) | instid1(VALU_DEP_2)
	v_lshrrev_b32_e32 v18, 16, v17
	v_add_co_u32 v12, vcc_lo, v12, v14
	s_delay_alu instid0(VALU_DEP_3) | instskip(NEXT) | instid1(VALU_DEP_3)
	v_add_co_ci_u32_e32 v13, vcc_lo, v13, v15, vcc_lo
	v_min3_f16 v16, v16, v17, v18
	global_store_b16 v[12:13], v16, off
.LBB217_324:
	s_or_b32 exec_lo, exec_lo, s4
	v_add_nc_u32_e32 v16, 0x70, v73
	s_delay_alu instid0(VALU_DEP_1) | instskip(SKIP_2) | instid1(VALU_DEP_3)
	v_mad_i64_i32 v[12:13], null, v16, s6, 0
	v_mad_i64_i32 v[14:15], null, v16, s5, 0
	v_cmp_gt_i32_e64 s4, s9, v16
	v_lshlrev_b64 v[12:13], 1, v[12:13]
	s_delay_alu instid0(VALU_DEP_2) | instskip(NEXT) | instid1(VALU_DEP_3)
	s_and_b32 s14, s0, s4
	v_lshlrev_b64 v[16:17], 1, v[14:15]
	s_delay_alu instid0(VALU_DEP_2) | instskip(NEXT) | instid1(VALU_DEP_3)
	v_add_co_u32 v14, vcc_lo, s12, v12
	v_add_co_ci_u32_e32 v15, vcc_lo, s13, v13, vcc_lo
	s_delay_alu instid0(VALU_DEP_3) | instskip(NEXT) | instid1(VALU_DEP_4)
	v_add_co_u32 v12, vcc_lo, s7, v16
	v_add_co_ci_u32_e32 v13, vcc_lo, s10, v17, vcc_lo
	s_and_saveexec_b32 s8, s14
	s_cbranch_execnz .LBB217_328
; %bb.325:
	s_or_b32 exec_lo, exec_lo, s8
	s_and_b32 s14, s1, s4
	s_delay_alu instid0(SALU_CYCLE_1)
	s_and_saveexec_b32 s8, s14
	s_cbranch_execnz .LBB217_332
.LBB217_326:
	s_or_b32 exec_lo, exec_lo, s8
	s_and_b32 s14, s2, s4
	s_delay_alu instid0(SALU_CYCLE_1)
	s_and_saveexec_b32 s8, s14
	s_cbranch_execnz .LBB217_336
.LBB217_327:
	s_or_b32 exec_lo, exec_lo, s8
	s_and_b32 s8, s3, s4
	s_delay_alu instid0(SALU_CYCLE_1)
	s_and_saveexec_b32 s4, s8
	s_cbranch_execnz .LBB217_340
	s_branch .LBB217_344
.LBB217_328:
	v_cmp_ne_u32_e32 vcc_lo, 1, v70
	s_cbranch_vccnz .LBB217_330
; %bb.329:
	v_lshlrev_b64 v[16:17], 1, v[40:41]
	s_delay_alu instid0(VALU_DEP_1) | instskip(NEXT) | instid1(VALU_DEP_2)
	v_add_co_u32 v16, vcc_lo, v14, v16
	v_add_co_ci_u32_e32 v17, vcc_lo, v15, v17, vcc_lo
	flat_load_u16 v16, v[16:17]
	s_waitcnt vmcnt(0) lgkmcnt(0)
	v_mul_f16_e32 v16, s11, v16
	s_branch .LBB217_331
.LBB217_330:
	v_mov_b32_e32 v16, 0
.LBB217_331:
	v_pk_add_f16 v17, v8, v4
	v_pk_max_f16 v18, v55, v55
	v_pk_add_f16 v19, v9, v5
	s_delay_alu instid0(VALU_DEP_2) | instskip(NEXT) | instid1(VALU_DEP_1)
	v_pk_min_f16 v17, v18, v17
	v_pk_min_f16 v19, v17, v19
	v_lshlrev_b64 v[17:18], 1, v[40:41]
	s_delay_alu instid0(VALU_DEP_2) | instskip(NEXT) | instid1(VALU_DEP_1)
	v_lshrrev_b32_e32 v20, 16, v19
	v_min3_f16 v19, v16, v19, v20
	s_delay_alu instid0(VALU_DEP_3) | instskip(NEXT) | instid1(VALU_DEP_4)
	v_add_co_u32 v16, vcc_lo, v12, v17
	v_add_co_ci_u32_e32 v17, vcc_lo, v13, v18, vcc_lo
	global_store_b16 v[16:17], v19, off
	s_or_b32 exec_lo, exec_lo, s8
	s_and_b32 s14, s1, s4
	s_delay_alu instid0(SALU_CYCLE_1)
	s_and_saveexec_b32 s8, s14
	s_cbranch_execz .LBB217_326
.LBB217_332:
	v_cmp_ne_u32_e32 vcc_lo, 1, v70
	s_cbranch_vccnz .LBB217_334
; %bb.333:
	v_lshlrev_b64 v[16:17], 1, v[42:43]
	s_delay_alu instid0(VALU_DEP_1) | instskip(NEXT) | instid1(VALU_DEP_2)
	v_add_co_u32 v16, vcc_lo, v14, v16
	v_add_co_ci_u32_e32 v17, vcc_lo, v15, v17, vcc_lo
	flat_load_u16 v16, v[16:17]
	s_waitcnt vmcnt(0) lgkmcnt(0)
	v_mul_f16_e32 v16, s11, v16
	s_branch .LBB217_335
.LBB217_334:
	v_mov_b32_e32 v16, 0
.LBB217_335:
	v_pk_add_f16 v17, v10, v4
	v_pk_max_f16 v18, v54, v54
	v_pk_add_f16 v19, v11, v5
	s_delay_alu instid0(VALU_DEP_2) | instskip(NEXT) | instid1(VALU_DEP_1)
	v_pk_min_f16 v17, v18, v17
	v_pk_min_f16 v19, v17, v19
	v_lshlrev_b64 v[17:18], 1, v[42:43]
	s_delay_alu instid0(VALU_DEP_2) | instskip(NEXT) | instid1(VALU_DEP_1)
	v_lshrrev_b32_e32 v20, 16, v19
	v_min3_f16 v19, v16, v19, v20
	s_delay_alu instid0(VALU_DEP_3) | instskip(NEXT) | instid1(VALU_DEP_4)
	v_add_co_u32 v16, vcc_lo, v12, v17
	v_add_co_ci_u32_e32 v17, vcc_lo, v13, v18, vcc_lo
	global_store_b16 v[16:17], v19, off
	s_or_b32 exec_lo, exec_lo, s8
	s_and_b32 s14, s2, s4
	s_delay_alu instid0(SALU_CYCLE_1)
	s_and_saveexec_b32 s8, s14
	s_cbranch_execz .LBB217_327
.LBB217_336:
	v_cmp_ne_u32_e32 vcc_lo, 1, v70
	s_cbranch_vccnz .LBB217_338
; %bb.337:
	v_lshlrev_b64 v[16:17], 1, v[44:45]
	s_delay_alu instid0(VALU_DEP_1) | instskip(NEXT) | instid1(VALU_DEP_2)
	v_add_co_u32 v16, vcc_lo, v14, v16
	v_add_co_ci_u32_e32 v17, vcc_lo, v15, v17, vcc_lo
	flat_load_u16 v16, v[16:17]
	s_waitcnt vmcnt(0) lgkmcnt(0)
	v_mul_f16_e32 v16, s11, v16
	s_branch .LBB217_339
.LBB217_338:
	v_mov_b32_e32 v16, 0
.LBB217_339:
	v_pk_add_f16 v17, v0, v4
	v_pk_max_f16 v18, v53, v53
	v_pk_add_f16 v19, v1, v5
	s_delay_alu instid0(VALU_DEP_2) | instskip(NEXT) | instid1(VALU_DEP_1)
	v_pk_min_f16 v17, v18, v17
	v_pk_min_f16 v19, v17, v19
	v_lshlrev_b64 v[17:18], 1, v[44:45]
	s_delay_alu instid0(VALU_DEP_2) | instskip(NEXT) | instid1(VALU_DEP_1)
	v_lshrrev_b32_e32 v20, 16, v19
	v_min3_f16 v19, v16, v19, v20
	s_delay_alu instid0(VALU_DEP_3) | instskip(NEXT) | instid1(VALU_DEP_4)
	v_add_co_u32 v16, vcc_lo, v12, v17
	v_add_co_ci_u32_e32 v17, vcc_lo, v13, v18, vcc_lo
	global_store_b16 v[16:17], v19, off
	s_or_b32 exec_lo, exec_lo, s8
	s_and_b32 s8, s3, s4
	s_delay_alu instid0(SALU_CYCLE_1)
	s_and_saveexec_b32 s4, s8
	s_cbranch_execz .LBB217_344
.LBB217_340:
	v_cmp_ne_u32_e32 vcc_lo, 1, v70
	s_cbranch_vccnz .LBB217_342
; %bb.341:
	v_lshlrev_b64 v[16:17], 1, v[46:47]
	s_delay_alu instid0(VALU_DEP_1) | instskip(NEXT) | instid1(VALU_DEP_2)
	v_add_co_u32 v14, vcc_lo, v14, v16
	v_add_co_ci_u32_e32 v15, vcc_lo, v15, v17, vcc_lo
	flat_load_u16 v14, v[14:15]
	s_waitcnt vmcnt(0) lgkmcnt(0)
	v_mul_f16_e32 v14, s11, v14
	s_branch .LBB217_343
.LBB217_342:
	v_mov_b32_e32 v14, 0
.LBB217_343:
	v_pk_add_f16 v4, v2, v4
	v_pk_max_f16 v15, v52, v52
	v_pk_add_f16 v5, v3, v5
	s_delay_alu instid0(VALU_DEP_2) | instskip(NEXT) | instid1(VALU_DEP_1)
	v_pk_min_f16 v4, v15, v4
	v_pk_min_f16 v15, v4, v5
	v_lshlrev_b64 v[4:5], 1, v[46:47]
	s_delay_alu instid0(VALU_DEP_2) | instskip(NEXT) | instid1(VALU_DEP_2)
	v_lshrrev_b32_e32 v16, 16, v15
	v_add_co_u32 v4, vcc_lo, v12, v4
	s_delay_alu instid0(VALU_DEP_3) | instskip(NEXT) | instid1(VALU_DEP_3)
	v_add_co_ci_u32_e32 v5, vcc_lo, v13, v5, vcc_lo
	v_min3_f16 v14, v14, v15, v16
	global_store_b16 v[4:5], v14, off
.LBB217_344:
	s_or_b32 exec_lo, exec_lo, s4
	v_add_nc_u32_e32 v14, 0x78, v73
	s_delay_alu instid0(VALU_DEP_1) | instskip(SKIP_2) | instid1(VALU_DEP_3)
	v_mad_i64_i32 v[4:5], null, v14, s6, 0
	v_mad_i64_i32 v[12:13], null, v14, s5, 0
	v_cmp_gt_i32_e64 s4, s9, v14
	v_lshlrev_b64 v[4:5], 1, v[4:5]
	s_delay_alu instid0(VALU_DEP_2) | instskip(NEXT) | instid1(VALU_DEP_3)
	s_and_b32 s5, s0, s4
	v_lshlrev_b64 v[12:13], 1, v[12:13]
	s_delay_alu instid0(VALU_DEP_2) | instskip(NEXT) | instid1(VALU_DEP_3)
	v_add_co_u32 v14, vcc_lo, s12, v4
	v_add_co_ci_u32_e32 v15, vcc_lo, s13, v5, vcc_lo
	s_delay_alu instid0(VALU_DEP_3) | instskip(NEXT) | instid1(VALU_DEP_4)
	v_add_co_u32 v12, vcc_lo, s7, v12
	v_add_co_ci_u32_e32 v13, vcc_lo, s10, v13, vcc_lo
	s_and_saveexec_b32 s0, s5
	s_cbranch_execnz .LBB217_349
; %bb.345:
	s_or_b32 exec_lo, exec_lo, s0
	s_and_b32 s1, s1, s4
	s_delay_alu instid0(SALU_CYCLE_1)
	s_and_saveexec_b32 s0, s1
	s_cbranch_execnz .LBB217_353
.LBB217_346:
	s_or_b32 exec_lo, exec_lo, s0
	s_and_b32 s1, s2, s4
	s_delay_alu instid0(SALU_CYCLE_1)
	s_and_saveexec_b32 s0, s1
	s_cbranch_execnz .LBB217_357
.LBB217_347:
	s_or_b32 exec_lo, exec_lo, s0
	s_and_b32 s0, s3, s4
	s_delay_alu instid0(SALU_CYCLE_1)
	s_and_saveexec_b32 s1, s0
	s_cbranch_execnz .LBB217_361
.LBB217_348:
	s_nop 0
	s_sendmsg sendmsg(MSG_DEALLOC_VGPRS)
	s_endpgm
.LBB217_349:
	v_cmp_ne_u32_e32 vcc_lo, 1, v70
	v_lshlrev_b64 v[4:5], 1, v[40:41]
	s_cbranch_vccnz .LBB217_351
; %bb.350:
	s_delay_alu instid0(VALU_DEP_1) | instskip(NEXT) | instid1(VALU_DEP_2)
	v_add_co_u32 v16, vcc_lo, v14, v4
	v_add_co_ci_u32_e32 v17, vcc_lo, v15, v5, vcc_lo
	flat_load_u16 v16, v[16:17]
	s_waitcnt vmcnt(0) lgkmcnt(0)
	v_mul_f16_e32 v16, s11, v16
	s_branch .LBB217_352
.LBB217_351:
	v_mov_b32_e32 v16, 0
.LBB217_352:
	v_pk_add_f16 v8, v8, v6
	v_pk_max_f16 v17, v51, v51
	v_pk_add_f16 v9, v9, v7
	v_add_co_u32 v4, vcc_lo, v12, v4
	v_add_co_ci_u32_e32 v5, vcc_lo, v13, v5, vcc_lo
	s_delay_alu instid0(VALU_DEP_4) | instskip(NEXT) | instid1(VALU_DEP_1)
	v_pk_min_f16 v8, v17, v8
	v_pk_min_f16 v8, v8, v9
	s_delay_alu instid0(VALU_DEP_1) | instskip(NEXT) | instid1(VALU_DEP_1)
	v_lshrrev_b32_e32 v9, 16, v8
	v_min3_f16 v8, v16, v8, v9
	global_store_b16 v[4:5], v8, off
	s_or_b32 exec_lo, exec_lo, s0
	s_and_b32 s1, s1, s4
	s_delay_alu instid0(SALU_CYCLE_1)
	s_and_saveexec_b32 s0, s1
	s_cbranch_execz .LBB217_346
.LBB217_353:
	v_cmp_ne_u32_e32 vcc_lo, 1, v70
	v_lshlrev_b64 v[4:5], 1, v[42:43]
	s_cbranch_vccnz .LBB217_355
; %bb.354:
	s_delay_alu instid0(VALU_DEP_1) | instskip(NEXT) | instid1(VALU_DEP_2)
	v_add_co_u32 v8, vcc_lo, v14, v4
	v_add_co_ci_u32_e32 v9, vcc_lo, v15, v5, vcc_lo
	flat_load_u16 v8, v[8:9]
	s_waitcnt vmcnt(0) lgkmcnt(0)
	v_mul_f16_e32 v8, s11, v8
	s_branch .LBB217_356
.LBB217_355:
	v_mov_b32_e32 v8, 0
.LBB217_356:
	v_pk_add_f16 v9, v10, v6
	v_pk_max_f16 v10, v50, v50
	v_pk_add_f16 v11, v11, v7
	v_add_co_u32 v4, vcc_lo, v12, v4
	v_add_co_ci_u32_e32 v5, vcc_lo, v13, v5, vcc_lo
	s_delay_alu instid0(VALU_DEP_4) | instskip(NEXT) | instid1(VALU_DEP_1)
	v_pk_min_f16 v9, v10, v9
	v_pk_min_f16 v9, v9, v11
	s_delay_alu instid0(VALU_DEP_1) | instskip(NEXT) | instid1(VALU_DEP_1)
	v_lshrrev_b32_e32 v10, 16, v9
	v_min3_f16 v8, v8, v9, v10
	global_store_b16 v[4:5], v8, off
	s_or_b32 exec_lo, exec_lo, s0
	s_and_b32 s1, s2, s4
	s_delay_alu instid0(SALU_CYCLE_1)
	s_and_saveexec_b32 s0, s1
	s_cbranch_execz .LBB217_347
.LBB217_357:
	v_cmp_ne_u32_e32 vcc_lo, 1, v70
	v_lshlrev_b64 v[4:5], 1, v[44:45]
	s_cbranch_vccnz .LBB217_359
; %bb.358:
	s_delay_alu instid0(VALU_DEP_1) | instskip(NEXT) | instid1(VALU_DEP_2)
	v_add_co_u32 v8, vcc_lo, v14, v4
	v_add_co_ci_u32_e32 v9, vcc_lo, v15, v5, vcc_lo
	flat_load_u16 v8, v[8:9]
	s_waitcnt vmcnt(0) lgkmcnt(0)
	v_mul_f16_e32 v8, s11, v8
	s_branch .LBB217_360
.LBB217_359:
	v_mov_b32_e32 v8, 0
.LBB217_360:
	v_pk_add_f16 v0, v0, v6
	v_pk_max_f16 v9, v49, v49
	v_pk_add_f16 v1, v1, v7
	s_delay_alu instid0(VALU_DEP_2) | instskip(NEXT) | instid1(VALU_DEP_1)
	v_pk_min_f16 v0, v9, v0
	v_pk_min_f16 v0, v0, v1
	s_delay_alu instid0(VALU_DEP_1) | instskip(NEXT) | instid1(VALU_DEP_1)
	v_lshrrev_b32_e32 v1, 16, v0
	v_min3_f16 v8, v8, v0, v1
	v_add_co_u32 v0, vcc_lo, v12, v4
	v_add_co_ci_u32_e32 v1, vcc_lo, v13, v5, vcc_lo
	global_store_b16 v[0:1], v8, off
	s_or_b32 exec_lo, exec_lo, s0
	s_and_b32 s0, s3, s4
	s_delay_alu instid0(SALU_CYCLE_1)
	s_and_saveexec_b32 s1, s0
	s_cbranch_execz .LBB217_348
.LBB217_361:
	v_cmp_ne_u32_e32 vcc_lo, 1, v70
	v_lshlrev_b64 v[0:1], 1, v[46:47]
	s_cbranch_vccnz .LBB217_363
; %bb.362:
	s_delay_alu instid0(VALU_DEP_1) | instskip(NEXT) | instid1(VALU_DEP_2)
	v_add_co_u32 v4, vcc_lo, v14, v0
	v_add_co_ci_u32_e32 v5, vcc_lo, v15, v1, vcc_lo
	flat_load_u16 v4, v[4:5]
	s_waitcnt vmcnt(0) lgkmcnt(0)
	v_mul_f16_e32 v4, s11, v4
	s_branch .LBB217_364
.LBB217_363:
	v_mov_b32_e32 v4, 0
.LBB217_364:
	v_pk_add_f16 v2, v2, v6
	v_pk_max_f16 v5, v48, v48
	v_pk_add_f16 v3, v3, v7
	v_add_co_u32 v0, vcc_lo, v12, v0
	v_add_co_ci_u32_e32 v1, vcc_lo, v13, v1, vcc_lo
	s_delay_alu instid0(VALU_DEP_4) | instskip(NEXT) | instid1(VALU_DEP_1)
	v_pk_min_f16 v2, v5, v2
	v_pk_min_f16 v2, v2, v3
	s_delay_alu instid0(VALU_DEP_1) | instskip(NEXT) | instid1(VALU_DEP_1)
	v_lshrrev_b32_e32 v3, 16, v2
	v_min3_f16 v2, v4, v2, v3
	global_store_b16 v[0:1], v2, off
	s_nop 0
	s_sendmsg sendmsg(MSG_DEALLOC_VGPRS)
	s_endpgm
	.section	.rodata,"a",@progbits
	.p2align	6, 0x0
	.amdhsa_kernel _ZN12_GLOBAL__N_120geam_min_plus_kernelIDF16_Dv2_DF16_S1_Li32ELi8ELi128ELi128ELi4ELi4ELi64ELi4ELi64ELc84ELc78ELb1ELb1ELb1EDF16_KPKDF16_KPDF16_EEviiiT16_PT17_ilS9_ilS7_S9_ilPT18_ili26rocblas_geam_ex_operation_
		.amdhsa_group_segment_fixed_size 4096
		.amdhsa_private_segment_fixed_size 0
		.amdhsa_kernarg_size 128
		.amdhsa_user_sgpr_count 14
		.amdhsa_user_sgpr_dispatch_ptr 0
		.amdhsa_user_sgpr_queue_ptr 0
		.amdhsa_user_sgpr_kernarg_segment_ptr 1
		.amdhsa_user_sgpr_dispatch_id 0
		.amdhsa_user_sgpr_private_segment_size 0
		.amdhsa_wavefront_size32 1
		.amdhsa_uses_dynamic_stack 0
		.amdhsa_enable_private_segment 0
		.amdhsa_system_sgpr_workgroup_id_x 1
		.amdhsa_system_sgpr_workgroup_id_y 0
		.amdhsa_system_sgpr_workgroup_id_z 1
		.amdhsa_system_sgpr_workgroup_info 0
		.amdhsa_system_vgpr_workitem_id 1
		.amdhsa_next_free_vgpr 157
		.amdhsa_next_free_sgpr 25
		.amdhsa_reserve_vcc 1
		.amdhsa_float_round_mode_32 0
		.amdhsa_float_round_mode_16_64 0
		.amdhsa_float_denorm_mode_32 3
		.amdhsa_float_denorm_mode_16_64 3
		.amdhsa_dx10_clamp 1
		.amdhsa_ieee_mode 1
		.amdhsa_fp16_overflow 0
		.amdhsa_workgroup_processor_mode 1
		.amdhsa_memory_ordered 1
		.amdhsa_forward_progress 0
		.amdhsa_shared_vgpr_count 0
		.amdhsa_exception_fp_ieee_invalid_op 0
		.amdhsa_exception_fp_denorm_src 0
		.amdhsa_exception_fp_ieee_div_zero 0
		.amdhsa_exception_fp_ieee_overflow 0
		.amdhsa_exception_fp_ieee_underflow 0
		.amdhsa_exception_fp_ieee_inexact 0
		.amdhsa_exception_int_div_zero 0
	.end_amdhsa_kernel
	.section	.text._ZN12_GLOBAL__N_120geam_min_plus_kernelIDF16_Dv2_DF16_S1_Li32ELi8ELi128ELi128ELi4ELi4ELi64ELi4ELi64ELc84ELc78ELb1ELb1ELb1EDF16_KPKDF16_KPDF16_EEviiiT16_PT17_ilS9_ilS7_S9_ilPT18_ili26rocblas_geam_ex_operation_,"axG",@progbits,_ZN12_GLOBAL__N_120geam_min_plus_kernelIDF16_Dv2_DF16_S1_Li32ELi8ELi128ELi128ELi4ELi4ELi64ELi4ELi64ELc84ELc78ELb1ELb1ELb1EDF16_KPKDF16_KPDF16_EEviiiT16_PT17_ilS9_ilS7_S9_ilPT18_ili26rocblas_geam_ex_operation_,comdat
.Lfunc_end217:
	.size	_ZN12_GLOBAL__N_120geam_min_plus_kernelIDF16_Dv2_DF16_S1_Li32ELi8ELi128ELi128ELi4ELi4ELi64ELi4ELi64ELc84ELc78ELb1ELb1ELb1EDF16_KPKDF16_KPDF16_EEviiiT16_PT17_ilS9_ilS7_S9_ilPT18_ili26rocblas_geam_ex_operation_, .Lfunc_end217-_ZN12_GLOBAL__N_120geam_min_plus_kernelIDF16_Dv2_DF16_S1_Li32ELi8ELi128ELi128ELi4ELi4ELi64ELi4ELi64ELc84ELc78ELb1ELb1ELb1EDF16_KPKDF16_KPDF16_EEviiiT16_PT17_ilS9_ilS7_S9_ilPT18_ili26rocblas_geam_ex_operation_
                                        ; -- End function
	.section	.AMDGPU.csdata,"",@progbits
; Kernel info:
; codeLenInByte = 23304
; NumSgprs: 27
; NumVgprs: 157
; ScratchSize: 0
; MemoryBound: 0
; FloatMode: 240
; IeeeMode: 1
; LDSByteSize: 4096 bytes/workgroup (compile time only)
; SGPRBlocks: 3
; VGPRBlocks: 19
; NumSGPRsForWavesPerEU: 27
; NumVGPRsForWavesPerEU: 157
; Occupancy: 9
; WaveLimiterHint : 1
; COMPUTE_PGM_RSRC2:SCRATCH_EN: 0
; COMPUTE_PGM_RSRC2:USER_SGPR: 14
; COMPUTE_PGM_RSRC2:TRAP_HANDLER: 0
; COMPUTE_PGM_RSRC2:TGID_X_EN: 1
; COMPUTE_PGM_RSRC2:TGID_Y_EN: 0
; COMPUTE_PGM_RSRC2:TGID_Z_EN: 1
; COMPUTE_PGM_RSRC2:TIDIG_COMP_CNT: 1
	.section	.text._ZN12_GLOBAL__N_120geam_min_plus_kernelIDF16_Dv2_DF16_S1_Li32ELi8ELi128ELi128ELi4ELi4ELi64ELi4ELi64ELc84ELc78ELb0ELb1ELb1EDF16_KPKDF16_KPDF16_EEviiiT16_PT17_ilS9_ilS7_S9_ilPT18_ili26rocblas_geam_ex_operation_,"axG",@progbits,_ZN12_GLOBAL__N_120geam_min_plus_kernelIDF16_Dv2_DF16_S1_Li32ELi8ELi128ELi128ELi4ELi4ELi64ELi4ELi64ELc84ELc78ELb0ELb1ELb1EDF16_KPKDF16_KPDF16_EEviiiT16_PT17_ilS9_ilS7_S9_ilPT18_ili26rocblas_geam_ex_operation_,comdat
	.globl	_ZN12_GLOBAL__N_120geam_min_plus_kernelIDF16_Dv2_DF16_S1_Li32ELi8ELi128ELi128ELi4ELi4ELi64ELi4ELi64ELc84ELc78ELb0ELb1ELb1EDF16_KPKDF16_KPDF16_EEviiiT16_PT17_ilS9_ilS7_S9_ilPT18_ili26rocblas_geam_ex_operation_ ; -- Begin function _ZN12_GLOBAL__N_120geam_min_plus_kernelIDF16_Dv2_DF16_S1_Li32ELi8ELi128ELi128ELi4ELi4ELi64ELi4ELi64ELc84ELc78ELb0ELb1ELb1EDF16_KPKDF16_KPDF16_EEviiiT16_PT17_ilS9_ilS7_S9_ilPT18_ili26rocblas_geam_ex_operation_
	.p2align	8
	.type	_ZN12_GLOBAL__N_120geam_min_plus_kernelIDF16_Dv2_DF16_S1_Li32ELi8ELi128ELi128ELi4ELi4ELi64ELi4ELi64ELc84ELc78ELb0ELb1ELb1EDF16_KPKDF16_KPDF16_EEviiiT16_PT17_ilS9_ilS7_S9_ilPT18_ili26rocblas_geam_ex_operation_,@function
_ZN12_GLOBAL__N_120geam_min_plus_kernelIDF16_Dv2_DF16_S1_Li32ELi8ELi128ELi128ELi4ELi4ELi64ELi4ELi64ELc84ELc78ELb0ELb1ELb1EDF16_KPKDF16_KPDF16_EEviiiT16_PT17_ilS9_ilS7_S9_ilPT18_ili26rocblas_geam_ex_operation_: ; @_ZN12_GLOBAL__N_120geam_min_plus_kernelIDF16_Dv2_DF16_S1_Li32ELi8ELi128ELi128ELi4ELi4ELi64ELi4ELi64ELc84ELc78ELb0ELb1ELb1EDF16_KPKDF16_KPDF16_EEviiiT16_PT17_ilS9_ilS7_S9_ilPT18_ili26rocblas_geam_ex_operation_
; %bb.0:
	s_clause 0x1
	s_load_b128 s[8:11], s[0:1], 0x0
	s_load_b128 s[4:7], s[0:1], 0x20
	s_mov_b32 s2, s15
	s_mov_b32 s3, 0
	s_waitcnt lgkmcnt(0)
	v_cmp_eq_f16_e64 s12, s11, 0
	s_delay_alu instid0(VALU_DEP_1)
	s_and_b32 vcc_lo, exec_lo, s12
	s_cbranch_vccnz .LBB218_3
; %bb.1:
	s_load_b64 s[16:17], s[0:1], 0x10
	s_lshl_b64 s[18:19], s[2:3], 3
	s_waitcnt lgkmcnt(0)
	s_add_u32 s16, s16, s18
	s_addc_u32 s17, s17, s19
	s_lshl_b64 s[4:5], s[4:5], 1
	s_load_b64 s[16:17], s[16:17], 0x0
	s_waitcnt lgkmcnt(0)
	s_add_u32 s18, s16, s4
	s_addc_u32 s19, s17, s5
	s_and_not1_b32 vcc_lo, exec_lo, s12
	s_cbranch_vccnz .LBB218_4
.LBB218_2:
	s_mov_b64 s[20:21], 0
	s_and_not1_b32 vcc_lo, exec_lo, s3
	s_cbranch_vccz .LBB218_5
	s_branch .LBB218_6
.LBB218_3:
	s_mov_b64 s[18:19], 0
	s_and_not1_b32 vcc_lo, exec_lo, s12
	s_cbranch_vccz .LBB218_2
.LBB218_4:
	s_mov_b32 s3, -1
                                        ; implicit-def: $sgpr20_sgpr21
.LBB218_5:
	s_mov_b32 s3, 0
	s_load_b64 s[12:13], s[0:1], 0x38
	s_lshl_b64 s[4:5], s[2:3], 3
	s_delay_alu instid0(SALU_CYCLE_1) | instskip(SKIP_4) | instid1(SALU_CYCLE_1)
	s_add_u32 s4, s6, s4
	s_addc_u32 s5, s7, s5
	s_load_b64 s[4:5], s[4:5], 0x0
	s_waitcnt lgkmcnt(0)
	s_lshl_b64 s[6:7], s[12:13], 1
	s_add_u32 s20, s4, s6
	s_addc_u32 s21, s5, s7
.LBB218_6:
	s_clause 0x1
	s_load_b32 s15, s[0:1], 0x40
	s_load_b128 s[4:7], s[0:1], 0x58
	s_waitcnt lgkmcnt(0)
	v_cmp_eq_f16_e64 s12, s15, 0
	v_cmp_neq_f16_e64 s22, s15, 0
	s_delay_alu instid0(VALU_DEP_2)
	s_and_b32 vcc_lo, exec_lo, s12
	s_cbranch_vccnz .LBB218_8
; %bb.7:
	s_load_b64 s[12:13], s[0:1], 0x48
	s_lshl_b64 s[16:17], s[2:3], 3
	s_waitcnt lgkmcnt(0)
	s_add_u32 s12, s12, s16
	s_addc_u32 s13, s13, s17
	s_lshl_b64 s[4:5], s[4:5], 1
	s_load_b64 s[12:13], s[12:13], 0x0
	s_waitcnt lgkmcnt(0)
	s_add_u32 s12, s12, s4
	s_addc_u32 s13, s13, s5
	s_branch .LBB218_9
.LBB218_8:
	s_mov_b64 s[12:13], 0
.LBB218_9:
	s_lshl_b64 s[2:3], s[2:3], 3
	v_and_b32_e32 v90, 0x3ff, v0
	s_add_u32 s6, s6, s2
	s_addc_u32 s7, s7, s3
	s_add_i32 s3, s8, -1
	v_bfe_u32 v91, v0, 10, 10
	s_ashr_i32 s2, s3, 31
	s_load_b32 s25, s[0:1], 0x18
	s_lshr_b32 s2, s2, 25
	v_cmp_eq_f16_e64 s24, s11, 0
	s_add_i32 s2, s3, s2
	v_and_b32_e32 v96, 3, v90
	s_ashr_i32 s2, s2, 7
	s_delay_alu instid0(SALU_CYCLE_1) | instskip(SKIP_2) | instid1(VALU_DEP_1)
	s_add_i32 s5, s2, 1
	s_not_b32 s2, s2
	v_cvt_f32_u32_e32 v1, s5
	v_rcp_iflag_f32_e32 v1, v1
	s_waitcnt_depctr 0xfff
	v_mul_f32_e32 v1, 0x4f7ffffe, v1
	s_delay_alu instid0(VALU_DEP_1) | instskip(NEXT) | instid1(VALU_DEP_1)
	v_cvt_u32_f32_e32 v1, v1
	v_readfirstlane_b32 s4, v1
	v_lshl_add_u32 v1, v91, 5, v90
	s_delay_alu instid0(VALU_DEP_2) | instskip(NEXT) | instid1(VALU_DEP_1)
	s_mul_i32 s2, s2, s4
	v_lshrrev_b32_e32 v8, 2, v1
	s_mul_hi_u32 s2, s4, s2
	s_delay_alu instid0(SALU_CYCLE_1) | instskip(NEXT) | instid1(SALU_CYCLE_1)
	s_add_i32 s4, s4, s2
	s_mul_hi_u32 s2, s14, s4
	s_delay_alu instid0(SALU_CYCLE_1) | instskip(SKIP_2) | instid1(SALU_CYCLE_1)
	s_mul_i32 s4, s2, s5
	s_add_i32 s16, s2, 1
	s_sub_i32 s4, s14, s4
	s_sub_i32 s17, s4, s5
	s_cmp_ge_u32 s4, s5
	s_cselect_b32 s2, s16, s2
	s_cselect_b32 s4, s17, s4
	s_add_i32 s16, s2, 1
	s_cmp_ge_u32 s4, s5
	s_cselect_b32 s4, s16, s2
	s_add_i32 s23, s10, -1
	s_mul_i32 s2, s4, s5
	v_min_i32_e32 v0, s23, v96
	s_sub_i32 s2, s14, s2
	s_load_b64 s[16:17], s[6:7], 0x0
	s_lshl_b32 s7, s2, 7
	v_cmp_le_i32_e64 s5, s10, v96
	v_ashrrev_i32_e32 v1, 31, v0
	v_add_nc_u32_e32 v2, s7, v8
	s_delay_alu instid0(VALU_DEP_2) | instskip(NEXT) | instid1(VALU_DEP_2)
	v_lshlrev_b64 v[0:1], 1, v[0:1]
	v_cmp_le_i32_e32 vcc_lo, s8, v2
	s_delay_alu instid0(VALU_DEP_2) | instskip(NEXT) | instid1(VALU_DEP_1)
	v_add_co_u32 v4, s2, s18, v0
	v_add_co_ci_u32_e64 v5, s2, s19, v1, s2
	s_or_b32 s2, s5, vcc_lo
	s_delay_alu instid0(SALU_CYCLE_1) | instskip(SKIP_1) | instid1(SALU_CYCLE_1)
	v_cndmask_b32_e64 v9, 0, 0x7c00, s2
	s_or_b32 s2, s24, s2
	s_xor_b32 s2, s2, -1
	s_delay_alu instid0(SALU_CYCLE_1)
	s_and_saveexec_b32 s6, s2
	s_cbranch_execz .LBB218_11
; %bb.10:
	s_waitcnt lgkmcnt(0)
	v_mad_i64_i32 v[6:7], null, v2, s25, 0
	s_delay_alu instid0(VALU_DEP_1) | instskip(NEXT) | instid1(VALU_DEP_1)
	v_lshlrev_b64 v[6:7], 1, v[6:7]
	v_add_co_u32 v6, s2, v4, v6
	s_delay_alu instid0(VALU_DEP_1)
	v_add_co_ci_u32_e64 v7, s2, v5, v7, s2
	flat_load_u16 v3, v[6:7]
	s_waitcnt vmcnt(0) lgkmcnt(0)
	v_mul_f16_e32 v9, s11, v3
.LBB218_11:
	s_or_b32 exec_lo, exec_lo, s6
	v_add_nc_u32_e32 v3, 64, v2
	s_delay_alu instid0(VALU_DEP_1) | instskip(SKIP_1) | instid1(VALU_DEP_2)
	v_cmp_le_i32_e64 s2, s8, v3
	v_min_i32_e32 v3, s3, v3
	s_or_b32 s3, s5, s2
	s_delay_alu instid0(SALU_CYCLE_1) | instskip(SKIP_1) | instid1(SALU_CYCLE_1)
	v_cndmask_b32_e64 v10, 0, 0x7c00, s3
	s_or_b32 s3, s24, s3
	s_xor_b32 s3, s3, -1
	s_delay_alu instid0(SALU_CYCLE_1)
	s_and_saveexec_b32 s6, s3
	s_cbranch_execz .LBB218_13
; %bb.12:
	s_waitcnt lgkmcnt(0)
	v_mad_i64_i32 v[6:7], null, v3, s25, 0
	s_delay_alu instid0(VALU_DEP_1) | instskip(NEXT) | instid1(VALU_DEP_1)
	v_lshlrev_b64 v[6:7], 1, v[6:7]
	v_add_co_u32 v4, s3, v4, v6
	s_delay_alu instid0(VALU_DEP_1)
	v_add_co_ci_u32_e64 v5, s3, v5, v7, s3
	flat_load_u16 v4, v[4:5]
	s_waitcnt vmcnt(0) lgkmcnt(0)
	v_mul_f16_e32 v10, s11, v4
.LBB218_13:
	s_or_b32 exec_lo, exec_lo, s6
	s_load_b32 s26, s[0:1], 0x30
	s_lshl_b32 s14, s4, 7
	v_add_co_u32 v0, s4, s20, v0
	v_add_nc_u32_e32 v4, s14, v8
	v_add_co_ci_u32_e64 v1, s4, s21, v1, s4
	s_delay_alu instid0(VALU_DEP_2) | instskip(NEXT) | instid1(VALU_DEP_1)
	v_cmp_le_i32_e64 s3, s9, v4
	s_or_b32 s4, s5, s3
	s_delay_alu instid0(SALU_CYCLE_1) | instskip(SKIP_1) | instid1(SALU_CYCLE_1)
	v_cndmask_b32_e64 v11, 0, 0x7c00, s4
	s_or_b32 s4, s24, s4
	s_xor_b32 s4, s4, -1
	s_delay_alu instid0(SALU_CYCLE_1)
	s_and_saveexec_b32 s6, s4
	s_cbranch_execz .LBB218_15
; %bb.14:
	s_waitcnt lgkmcnt(0)
	v_mad_i64_i32 v[5:6], null, v4, s26, 0
	s_delay_alu instid0(VALU_DEP_1) | instskip(NEXT) | instid1(VALU_DEP_1)
	v_lshlrev_b64 v[5:6], 1, v[5:6]
	v_add_co_u32 v5, s4, v0, v5
	s_delay_alu instid0(VALU_DEP_1)
	v_add_co_ci_u32_e64 v6, s4, v1, v6, s4
	flat_load_u16 v5, v[5:6]
	s_waitcnt vmcnt(0) lgkmcnt(0)
	v_mul_f16_e32 v11, s11, v5
.LBB218_15:
	s_or_b32 exec_lo, exec_lo, s6
	v_add_nc_u32_e32 v5, 64, v4
	s_add_i32 s6, s9, -1
	s_delay_alu instid0(VALU_DEP_1) | instskip(SKIP_1) | instid1(VALU_DEP_2)
	v_cmp_le_i32_e64 s4, s9, v5
	v_min_i32_e32 v5, s6, v5
	s_or_b32 s5, s5, s4
	s_delay_alu instid0(SALU_CYCLE_1) | instskip(SKIP_1) | instid1(SALU_CYCLE_1)
	v_cndmask_b32_e64 v12, 0, 0x7c00, s5
	s_or_b32 s5, s24, s5
	s_xor_b32 s5, s5, -1
	s_delay_alu instid0(SALU_CYCLE_1)
	s_and_saveexec_b32 s6, s5
	s_cbranch_execz .LBB218_17
; %bb.16:
	s_waitcnt lgkmcnt(0)
	v_mad_i64_i32 v[6:7], null, v5, s26, 0
	s_delay_alu instid0(VALU_DEP_1) | instskip(NEXT) | instid1(VALU_DEP_1)
	v_lshlrev_b64 v[6:7], 1, v[6:7]
	v_add_co_u32 v0, s5, v0, v6
	s_delay_alu instid0(VALU_DEP_1)
	v_add_co_ci_u32_e64 v1, s5, v1, v7, s5
	flat_load_u16 v0, v[0:1]
	s_waitcnt vmcnt(0) lgkmcnt(0)
	v_mul_f16_e32 v12, s11, v0
.LBB218_17:
	s_or_b32 exec_lo, exec_lo, s6
	v_or_b32_e32 v6, 4, v96
	s_delay_alu instid0(VALU_DEP_1) | instskip(SKIP_1) | instid1(VALU_DEP_2)
	v_min_i32_e32 v0, s23, v6
	v_cmp_le_i32_e64 s5, s10, v6
	v_ashrrev_i32_e32 v1, 31, v0
	s_delay_alu instid0(VALU_DEP_1) | instskip(NEXT) | instid1(VALU_DEP_1)
	v_lshlrev_b64 v[0:1], 1, v[0:1]
	v_add_co_u32 v13, s6, s18, v0
	s_delay_alu instid0(VALU_DEP_1) | instskip(SKIP_1) | instid1(SALU_CYCLE_1)
	v_add_co_ci_u32_e64 v14, s6, s19, v1, s6
	s_or_b32 s6, s5, vcc_lo
	v_cndmask_b32_e64 v6, 0, 0x7c00, s6
	s_or_b32 s6, s24, s6
	s_delay_alu instid0(SALU_CYCLE_1) | instskip(NEXT) | instid1(SALU_CYCLE_1)
	s_xor_b32 s6, s6, -1
	s_and_saveexec_b32 s27, s6
	s_cbranch_execz .LBB218_19
; %bb.18:
	s_waitcnt lgkmcnt(0)
	v_mad_i64_i32 v[6:7], null, v2, s25, 0
	s_delay_alu instid0(VALU_DEP_1) | instskip(NEXT) | instid1(VALU_DEP_1)
	v_lshlrev_b64 v[6:7], 1, v[6:7]
	v_add_co_u32 v6, s6, v13, v6
	s_delay_alu instid0(VALU_DEP_1)
	v_add_co_ci_u32_e64 v7, s6, v14, v7, s6
	flat_load_u16 v6, v[6:7]
	s_waitcnt vmcnt(0) lgkmcnt(0)
	v_mul_f16_e32 v6, s11, v6
.LBB218_19:
	s_or_b32 exec_lo, exec_lo, s27
	s_or_b32 s6, s5, s2
	s_delay_alu instid0(SALU_CYCLE_1) | instskip(SKIP_1) | instid1(SALU_CYCLE_1)
	v_cndmask_b32_e64 v7, 0, 0x7c00, s6
	s_or_b32 s6, s24, s6
	s_xor_b32 s6, s6, -1
	s_delay_alu instid0(SALU_CYCLE_1)
	s_and_saveexec_b32 s27, s6
	s_cbranch_execz .LBB218_21
; %bb.20:
	s_waitcnt lgkmcnt(0)
	v_mad_i64_i32 v[15:16], null, v3, s25, 0
	s_delay_alu instid0(VALU_DEP_1) | instskip(NEXT) | instid1(VALU_DEP_1)
	v_lshlrev_b64 v[15:16], 1, v[15:16]
	v_add_co_u32 v13, s6, v13, v15
	s_delay_alu instid0(VALU_DEP_1)
	v_add_co_ci_u32_e64 v14, s6, v14, v16, s6
	flat_load_u16 v7, v[13:14]
	s_waitcnt vmcnt(0) lgkmcnt(0)
	v_mul_f16_e32 v7, s11, v7
.LBB218_21:
	s_or_b32 exec_lo, exec_lo, s27
	v_add_co_u32 v13, s6, s20, v0
	s_delay_alu instid0(VALU_DEP_1) | instskip(SKIP_1) | instid1(SALU_CYCLE_1)
	v_add_co_ci_u32_e64 v14, s6, s21, v1, s6
	s_or_b32 s6, s5, s3
	v_cndmask_b32_e64 v0, 0, 0x7c00, s6
	s_or_b32 s6, s24, s6
	s_delay_alu instid0(SALU_CYCLE_1) | instskip(NEXT) | instid1(SALU_CYCLE_1)
	s_xor_b32 s6, s6, -1
	s_and_saveexec_b32 s27, s6
	s_cbranch_execz .LBB218_23
; %bb.22:
	s_waitcnt lgkmcnt(0)
	v_mad_i64_i32 v[0:1], null, v4, s26, 0
	s_delay_alu instid0(VALU_DEP_1) | instskip(NEXT) | instid1(VALU_DEP_1)
	v_lshlrev_b64 v[0:1], 1, v[0:1]
	v_add_co_u32 v0, s6, v13, v0
	s_delay_alu instid0(VALU_DEP_1)
	v_add_co_ci_u32_e64 v1, s6, v14, v1, s6
	flat_load_u16 v0, v[0:1]
	s_waitcnt vmcnt(0) lgkmcnt(0)
	v_mul_f16_e32 v0, s11, v0
.LBB218_23:
	s_or_b32 exec_lo, exec_lo, s27
	s_or_b32 s5, s5, s4
	s_delay_alu instid0(SALU_CYCLE_1) | instskip(SKIP_1) | instid1(SALU_CYCLE_1)
	v_cndmask_b32_e64 v1, 0, 0x7c00, s5
	s_or_b32 s5, s24, s5
	s_xor_b32 s5, s5, -1
	s_delay_alu instid0(SALU_CYCLE_1)
	s_and_saveexec_b32 s6, s5
	s_cbranch_execz .LBB218_25
; %bb.24:
	s_waitcnt lgkmcnt(0)
	v_mad_i64_i32 v[15:16], null, v5, s26, 0
	s_delay_alu instid0(VALU_DEP_1) | instskip(NEXT) | instid1(VALU_DEP_1)
	v_lshlrev_b64 v[15:16], 1, v[15:16]
	v_add_co_u32 v13, s5, v13, v15
	s_delay_alu instid0(VALU_DEP_1)
	v_add_co_ci_u32_e64 v14, s5, v14, v16, s5
	flat_load_u16 v1, v[13:14]
	s_waitcnt vmcnt(0) lgkmcnt(0)
	v_mul_f16_e32 v1, s11, v1
.LBB218_25:
	s_or_b32 exec_lo, exec_lo, s6
	v_lshlrev_b32_e32 v13, 1, v96
	v_lshlrev_b32_e32 v100, 3, v91
	;; [unrolled: 1-line block ×3, first 2 shown]
	s_cmp_lt_i32 s10, 9
	s_delay_alu instid0(VALU_DEP_3) | instskip(NEXT) | instid1(VALU_DEP_3)
	v_lshl_or_b32 v106, v8, 3, v13
	v_add_nc_u32_e32 v44, 0x800, v100
	ds_store_b16 v106, v9
	ds_store_b16 v106, v10 offset:512
	ds_store_b16 v106, v11 offset:2048
	;; [unrolled: 1-line block ×3, first 2 shown]
	s_waitcnt lgkmcnt(0)
	s_barrier
	buffer_gl0_inv
	ds_load_2addr_b64 v[8:11], v99 offset1:32
	ds_load_2addr_b64 v[12:15], v44 offset1:8
	ds_load_2addr_b64 v[16:19], v99 offset0:64 offset1:96
	ds_load_2addr_b64 v[20:23], v44 offset0:16 offset1:24
	;; [unrolled: 1-line block ×7, first 2 shown]
	s_waitcnt lgkmcnt(7)
	v_pk_add_f16 v45, v8, v12
	v_pk_add_f16 v46, v10, v12
	s_waitcnt lgkmcnt(6)
	v_pk_add_f16 v47, v16, v12
	v_pk_add_f16 v12, v18, v12
	v_pk_add_f16 v48, v8, v14
	v_pk_add_f16 v49, v10, v14
	v_pk_add_f16 v50, v16, v14
	v_pk_add_f16 v14, v18, v14
	s_waitcnt lgkmcnt(5)
	v_pk_add_f16 v51, v8, v20
	v_pk_min_f16 v12, 0x7c00, v12 op_sel_hi:[0,1]
	v_pk_add_f16 v74, v9, v13
	v_pk_add_f16 v75, v11, v13
	v_pk_add_f16 v76, v17, v13
	v_pk_add_f16 v13, v19, v13
	v_pk_add_f16 v52, v10, v20
	v_pk_min_f16 v14, 0x7c00, v14 op_sel_hi:[0,1]
	v_pk_min_f16 v51, 0x7c00, v51 op_sel_hi:[0,1]
	v_pk_add_f16 v53, v16, v20
	v_pk_add_f16 v20, v18, v20
	;; [unrolled: 1-line block ×6, first 2 shown]
	v_pk_min_f16 v122, v12, v13
	v_pk_add_f16 v12, v9, v21
	v_pk_min_f16 v52, 0x7c00, v52 op_sel_hi:[0,1]
	v_pk_add_f16 v54, v8, v22
	v_pk_add_f16 v55, v10, v22
	;; [unrolled: 1-line block ×3, first 2 shown]
	v_pk_min_f16 v53, 0x7c00, v53 op_sel_hi:[0,1]
	v_pk_min_f16 v20, 0x7c00, v20 op_sel_hi:[0,1]
	v_pk_add_f16 v13, v11, v21
	v_pk_min_f16 v112, v14, v15
	v_pk_add_f16 v14, v17, v21
	v_pk_min_f16 v111, v51, v12
	v_pk_add_f16 v12, v19, v21
	v_pk_min_f16 v54, 0x7c00, v54 op_sel_hi:[0,1]
	v_pk_min_f16 v55, 0x7c00, v55 op_sel_hi:[0,1]
	;; [unrolled: 1-line block ×3, first 2 shown]
	v_pk_add_f16 v22, v18, v22
	s_waitcnt lgkmcnt(4)
	v_pk_add_f16 v57, v8, v24
	v_pk_add_f16 v58, v10, v24
	;; [unrolled: 1-line block ×3, first 2 shown]
	v_pk_min_f16 v110, v52, v13
	v_pk_add_f16 v13, v9, v23
	v_pk_min_f16 v109, v53, v14
	v_pk_add_f16 v14, v11, v23
	;; [unrolled: 2-line block ×3, first 2 shown]
	v_pk_min_f16 v22, 0x7c00, v22 op_sel_hi:[0,1]
	v_pk_min_f16 v57, 0x7c00, v57 op_sel_hi:[0,1]
	;; [unrolled: 1-line block ×4, first 2 shown]
	v_pk_add_f16 v60, v8, v26
	v_pk_add_f16 v61, v10, v26
	;; [unrolled: 1-line block ×4, first 2 shown]
	v_pk_min_f16 v107, v54, v13
	v_pk_min_f16 v105, v55, v14
	;; [unrolled: 1-line block ×3, first 2 shown]
	v_pk_add_f16 v12, v19, v23
	v_pk_add_f16 v13, v9, v25
	;; [unrolled: 1-line block ×4, first 2 shown]
	s_waitcnt lgkmcnt(3)
	v_pk_add_f16 v63, v8, v28
	v_pk_min_f16 v60, 0x7c00, v60 op_sel_hi:[0,1]
	v_pk_min_f16 v61, 0x7c00, v61 op_sel_hi:[0,1]
	;; [unrolled: 1-line block ×4, first 2 shown]
	v_pk_add_f16 v64, v10, v28
	v_pk_add_f16 v65, v16, v28
	v_pk_add_f16 v28, v18, v28
	v_pk_add_f16 v66, v8, v30
	v_pk_min_f16 v103, v22, v12
	v_pk_min_f16 v102, v57, v13
	;; [unrolled: 1-line block ×4, first 2 shown]
	v_pk_add_f16 v12, v9, v27
	v_pk_add_f16 v13, v11, v27
	;; [unrolled: 1-line block ×5, first 2 shown]
	v_pk_min_f16 v63, 0x7c00, v63 op_sel_hi:[0,1]
	v_pk_add_f16 v67, v10, v30
	v_pk_min_f16 v64, 0x7c00, v64 op_sel_hi:[0,1]
	v_pk_min_f16 v65, 0x7c00, v65 op_sel_hi:[0,1]
	;; [unrolled: 1-line block ×4, first 2 shown]
	v_pk_add_f16 v22, v9, v29
	v_pk_min_f16 v95, v60, v12
	v_pk_min_f16 v94, v61, v13
	v_pk_min_f16 v93, v62, v14
	v_pk_min_f16 v92, v26, v15
	v_pk_add_f16 v12, v11, v29
	v_pk_add_f16 v13, v17, v29
	;; [unrolled: 1-line block ×4, first 2 shown]
	v_pk_min_f16 v24, 0x7c00, v24 op_sel_hi:[0,1]
	v_pk_min_f16 v67, 0x7c00, v67 op_sel_hi:[0,1]
	v_pk_add_f16 v68, v16, v30
	v_pk_add_f16 v30, v18, v30
	;; [unrolled: 1-line block ×3, first 2 shown]
	v_pk_min_f16 v89, v63, v22
	v_pk_add_f16 v22, v11, v31
	v_pk_min_f16 v88, v64, v12
	v_pk_min_f16 v87, v65, v13
	;; [unrolled: 1-line block ×4, first 2 shown]
	ds_load_2addr_b64 v[12:15], v44 offset0:112 offset1:120
	s_waitcnt lgkmcnt(3)
	v_pk_add_f16 v69, v8, v32
	v_pk_add_f16 v70, v10, v32
	;; [unrolled: 1-line block ×8, first 2 shown]
	s_waitcnt lgkmcnt(2)
	v_pk_add_f16 v20, v16, v38
	v_pk_min_f16 v97, v24, v23
	v_pk_min_f16 v83, v67, v22
	v_pk_add_f16 v22, v17, v31
	v_pk_add_f16 v23, v19, v31
	v_pk_min_f16 v44, 0x7c00, v68 op_sel_hi:[0,1]
	v_pk_min_f16 v30, 0x7c00, v30 op_sel_hi:[0,1]
	;; [unrolled: 1-line block ×5, first 2 shown]
	v_pk_add_f16 v81, v8, v36
	v_pk_add_f16 v21, v18, v38
	;; [unrolled: 1-line block ×8, first 2 shown]
	v_pk_min_f16 v53, 0x7c00, v69 op_sel_hi:[0,1]
	v_pk_min_f16 v54, 0x7c00, v70 op_sel_hi:[0,1]
	;; [unrolled: 1-line block ×5, first 2 shown]
	v_pk_min_f16 v84, v44, v22
	s_waitcnt lgkmcnt(1)
	v_pk_add_f16 v22, v8, v40
	v_pk_min_f16 v82, v30, v23
	v_pk_add_f16 v23, v10, v40
	v_pk_min_f16 v20, 0x7c00, v20 op_sel_hi:[0,1]
	v_pk_min_f16 v46, 0x7c00, v46 op_sel_hi:[0,1]
	;; [unrolled: 1-line block ×4, first 2 shown]
	v_pk_min_f16 v125, v45, v74
	v_pk_min_f16 v114, v49, v78
	;; [unrolled: 1-line block ×3, first 2 shown]
	v_pk_add_f16 v28, v9, v35
	v_pk_add_f16 v29, v11, v35
	;; [unrolled: 1-line block ×6, first 2 shown]
	v_pk_min_f16 v56, 0x7c00, v72 op_sel_hi:[0,1]
	v_pk_min_f16 v57, 0x7c00, v73 op_sel_hi:[0,1]
	;; [unrolled: 1-line block ×4, first 2 shown]
	v_pk_min_f16 v81, v53, v24
	v_pk_add_f16 v24, v16, v40
	v_pk_min_f16 v21, 0x7c00, v21 op_sel_hi:[0,1]
	v_pk_min_f16 v22, 0x7c00, v22 op_sel_hi:[0,1]
	;; [unrolled: 1-line block ×3, first 2 shown]
	v_pk_min_f16 v80, v54, v25
	v_pk_add_f16 v25, v18, v40
	v_pk_min_f16 v79, v55, v26
	v_pk_add_f16 v26, v8, v42
	;; [unrolled: 2-line block ×5, first 2 shown]
	v_pk_add_f16 v45, v10, v36
	v_pk_min_f16 v124, v46, v75
	v_pk_add_f16 v46, v16, v36
	v_pk_min_f16 v123, v47, v76
	v_pk_add_f16 v36, v18, v36
	v_pk_add_f16 v47, v8, v38
	v_pk_min_f16 v115, v48, v77
	v_pk_add_f16 v48, v10, v38
	v_pk_min_f16 v24, 0x7c00, v24 op_sel_hi:[0,1]
	v_pk_min_f16 v77, v56, v28
	v_pk_add_f16 v28, v16, v42
	v_pk_min_f16 v76, v57, v29
	v_pk_add_f16 v29, v18, v42
	v_pk_min_f16 v25, 0x7c00, v25 op_sel_hi:[0,1]
	v_pk_min_f16 v26, 0x7c00, v26 op_sel_hi:[0,1]
	;; [unrolled: 1-line block ×3, first 2 shown]
	v_pk_min_f16 v75, v58, v31
	s_waitcnt lgkmcnt(0)
	v_pk_add_f16 v30, v8, v12
	v_pk_add_f16 v31, v10, v12
	;; [unrolled: 1-line block ×6, first 2 shown]
	v_pk_min_f16 v66, v21, v39
	v_pk_min_f16 v65, v22, v33
	v_pk_add_f16 v21, v17, v41
	v_pk_add_f16 v22, v19, v41
	v_pk_add_f16 v16, v16, v14
	v_pk_min_f16 v64, v23, v20
	v_pk_add_f16 v14, v18, v14
	v_pk_add_f16 v18, v9, v43
	;; [unrolled: 1-line block ×7, first 2 shown]
	v_pk_min_f16 v45, 0x7c00, v45 op_sel_hi:[0,1]
	v_pk_min_f16 v46, 0x7c00, v46 op_sel_hi:[0,1]
	;; [unrolled: 1-line block ×12, first 2 shown]
	v_pk_min_f16 v63, v24, v21
	v_pk_min_f16 v62, v25, v22
	v_pk_min_f16 v10, 0x7c00, v10 op_sel_hi:[0,1]
	v_pk_min_f16 v16, 0x7c00, v16 op_sel_hi:[0,1]
	;; [unrolled: 1-line block ×3, first 2 shown]
	v_pk_min_f16 v61, v26, v18
	v_pk_min_f16 v60, v27, v20
	v_pk_add_f16 v18, v17, v43
	v_pk_add_f16 v20, v19, v43
	;; [unrolled: 1-line block ×10, first 2 shown]
	v_pk_min_f16 v73, v59, v35
	v_pk_min_f16 v72, v45, v38
	;; [unrolled: 1-line block ×16, first 2 shown]
	ds_store_b16 v106, v6 offset:1024
	ds_store_b16 v106, v7 offset:1536
	;; [unrolled: 1-line block ×4, first 2 shown]
	s_waitcnt lgkmcnt(0)
	s_barrier
	buffer_gl0_inv
	s_cbranch_scc1 .LBB218_44
; %bb.26:
	v_mad_i64_i32 v[0:1], null, v2, s25, 0
	v_mad_i64_i32 v[6:7], null, v3, s25, 0
	;; [unrolled: 1-line block ×4, first 2 shown]
	s_delay_alu instid0(VALU_DEP_4)
	v_lshlrev_b64 v[40:41], 1, v[0:1]
	v_add_nc_u32_e32 v116, 0x800, v106
	v_lshlrev_b64 v[42:43], 1, v[6:7]
	v_add_nc_u32_e32 v117, 0x800, v100
	;; [unrolled: 2-line block ×4, first 2 shown]
	v_lshl_add_u32 v120, v90, 3, 0x400
	v_lshl_add_u32 v121, v91, 3, 0xc00
	s_add_i32 s25, s10, -8
	s_mov_b32 s26, 0
	s_branch .LBB218_28
.LBB218_27:                             ;   in Loop: Header=BB218_28 Depth=1
	s_or_b32 exec_lo, exec_lo, s6
	ds_load_2addr_b64 v[128:131], v99 offset1:32
	ds_load_2addr_b64 v[77:80], v117 offset1:8
	ds_load_2addr_b64 v[132:135], v99 offset0:64 offset1:96
	ds_load_2addr_b64 v[81:84], v117 offset0:16 offset1:24
	ds_load_2addr_b64 v[85:88], v117 offset0:32 offset1:40
	ds_load_2addr_b64 v[136:139], v117 offset0:48 offset1:56
	ds_load_2addr_b64 v[140:143], v117 offset0:64 offset1:72
	ds_load_2addr_b64 v[144:147], v117 offset0:80 offset1:88
	ds_load_2addr_b64 v[148:151], v117 offset0:96 offset1:104
	ds_load_2addr_b64 v[152:155], v117 offset0:112 offset1:120
	v_pk_max_f16 v9, v75, v75
	v_pk_max_f16 v11, v73, v73
	;; [unrolled: 1-line block ×11, first 2 shown]
	s_waitcnt lgkmcnt(8)
	v_pk_add_f16 v74, v128, v77
	v_pk_add_f16 v75, v130, v77
	s_waitcnt lgkmcnt(7)
	v_pk_add_f16 v76, v132, v77
	v_pk_add_f16 v77, v134, v77
	v_pk_max_f16 v57, v57, v57
	v_pk_min_f16 v9, v9, v74
	v_pk_add_f16 v74, v134, v79
	v_pk_min_f16 v11, v11, v75
	v_pk_min_f16 v49, v49, v76
	;; [unrolled: 1-line block ×3, first 2 shown]
	s_waitcnt lgkmcnt(6)
	v_pk_add_f16 v75, v130, v81
	v_pk_min_f16 v68, v68, v74
	v_pk_add_f16 v74, v128, v81
	v_pk_add_f16 v76, v132, v81
	;; [unrolled: 1-line block ×3, first 2 shown]
	v_pk_min_f16 v69, v69, v75
	v_pk_add_f16 v75, v132, v83
	v_pk_min_f16 v62, v62, v74
	v_pk_min_f16 v67, v67, v76
	;; [unrolled: 1-line block ×3, first 2 shown]
	v_pk_add_f16 v74, v130, v83
	v_pk_max_f16 v65, v65, v65
	v_pk_add_f16 v76, v134, v83
	v_pk_max_f16 v63, v63, v63
	s_waitcnt lgkmcnt(5)
	v_pk_add_f16 v77, v128, v85
	v_pk_max_f16 v61, v61, v61
	v_pk_min_f16 v57, v57, v74
	v_pk_min_f16 v65, v65, v75
	;; [unrolled: 1-line block ×3, first 2 shown]
	v_pk_add_f16 v74, v132, v85
	v_pk_min_f16 v61, v61, v77
	v_pk_max_f16 v52, v52, v52
	v_pk_add_f16 v75, v134, v85
	v_pk_max_f16 v60, v60, v60
	v_pk_add_f16 v76, v128, v87
	;; [unrolled: 2-line block ×3, first 2 shown]
	v_pk_max_f16 v56, v56, v56
	v_pk_min_f16 v52, v52, v74
	v_pk_min_f16 v60, v60, v75
	;; [unrolled: 1-line block ×3, first 2 shown]
	v_pk_add_f16 v74, v134, v87
	v_pk_min_f16 v56, v56, v77
	v_pk_max_f16 v37, v37, v37
	s_waitcnt lgkmcnt(4)
	v_pk_add_f16 v75, v128, v136
	v_pk_max_f16 v55, v55, v55
	v_pk_add_f16 v76, v130, v136
	v_pk_max_f16 v53, v53, v53
	;; [unrolled: 2-line block ×3, first 2 shown]
	v_pk_min_f16 v37, v37, v74
	v_pk_min_f16 v55, v55, v75
	;; [unrolled: 1-line block ×3, first 2 shown]
	v_pk_add_f16 v74, v128, v138
	v_pk_min_f16 v51, v51, v77
	v_pk_max_f16 v32, v32, v32
	v_pk_add_f16 v75, v130, v138
	v_pk_max_f16 v50, v50, v50
	v_pk_add_f16 v76, v132, v138
	;; [unrolled: 2-line block ×3, first 2 shown]
	v_pk_max_f16 v36, v36, v36
	v_pk_min_f16 v32, v32, v74
	v_pk_min_f16 v50, v50, v75
	;; [unrolled: 1-line block ×3, first 2 shown]
	s_waitcnt lgkmcnt(3)
	v_pk_add_f16 v74, v130, v140
	v_pk_min_f16 v36, v36, v77
	v_pk_max_f16 v27, v27, v27
	v_pk_add_f16 v75, v132, v140
	v_pk_max_f16 v35, v35, v35
	v_pk_add_f16 v76, v134, v140
	;; [unrolled: 2-line block ×3, first 2 shown]
	v_pk_max_f16 v31, v31, v31
	v_pk_min_f16 v27, v27, v74
	v_pk_min_f16 v35, v35, v75
	;; [unrolled: 1-line block ×3, first 2 shown]
	v_pk_add_f16 v74, v132, v142
	v_pk_min_f16 v31, v31, v77
	v_pk_max_f16 v22, v22, v22
	v_pk_add_f16 v75, v134, v142
	v_pk_max_f16 v30, v30, v30
	s_waitcnt lgkmcnt(2)
	v_pk_add_f16 v76, v128, v144
	v_pk_max_f16 v28, v28, v28
	v_pk_add_f16 v77, v130, v144
	v_pk_max_f16 v26, v26, v26
	v_pk_min_f16 v22, v22, v74
	v_pk_min_f16 v30, v30, v75
	;; [unrolled: 1-line block ×3, first 2 shown]
	v_pk_add_f16 v74, v134, v144
	v_pk_min_f16 v26, v26, v77
	v_pk_max_f16 v17, v17, v17
	v_pk_add_f16 v75, v128, v146
	v_pk_max_f16 v25, v25, v25
	v_pk_add_f16 v76, v130, v146
	;; [unrolled: 2-line block ×4, first 2 shown]
	v_pk_add_f16 v92, v130, v79
	v_pk_add_f16 v93, v132, v79
	;; [unrolled: 1-line block ×3, first 2 shown]
	v_pk_max_f16 v64, v64, v64
	v_pk_min_f16 v17, v17, v74
	v_pk_min_f16 v25, v25, v75
	;; [unrolled: 1-line block ×4, first 2 shown]
	s_waitcnt lgkmcnt(1)
	v_pk_add_f16 v74, v128, v148
	v_pk_max_f16 v12, v12, v12
	v_pk_add_f16 v75, v130, v148
	v_pk_max_f16 v20, v20, v20
	;; [unrolled: 2-line block ×4, first 2 shown]
	v_pk_min_f16 v64, v64, v79
	v_pk_add_f16 v79, v130, v85
	v_pk_max_f16 v59, v59, v59
	v_pk_min_f16 v12, v12, v74
	v_pk_min_f16 v20, v20, v75
	;; [unrolled: 1-line block ×4, first 2 shown]
	v_pk_add_f16 v74, v130, v150
	v_pk_max_f16 v6, v6, v6
	v_pk_add_f16 v75, v132, v150
	v_pk_max_f16 v15, v15, v15
	;; [unrolled: 2-line block ×3, first 2 shown]
	s_waitcnt lgkmcnt(0)
	v_pk_add_f16 v77, v128, v152
	v_pk_max_f16 v10, v10, v10
	v_pk_min_f16 v59, v59, v79
	v_pk_add_f16 v79, v132, v87
	v_pk_max_f16 v54, v54, v54
	v_pk_min_f16 v6, v6, v74
	v_pk_min_f16 v15, v15, v75
	;; [unrolled: 1-line block ×4, first 2 shown]
	v_pk_add_f16 v74, v132, v152
	v_pk_max_f16 v2, v2, v2
	v_pk_add_f16 v75, v134, v152
	v_pk_max_f16 v7, v7, v7
	;; [unrolled: 2-line block ×4, first 2 shown]
	v_pk_max_f16 v70, v70, v70
	v_pk_min_f16 v54, v54, v79
	v_pk_add_f16 v79, v134, v136
	v_pk_max_f16 v39, v39, v39
	v_pk_min_f16 v2, v2, v74
	v_pk_min_f16 v7, v7, v75
	;; [unrolled: 1-line block ×4, first 2 shown]
	v_pk_add_f16 v74, v134, v154
	v_pk_max_f16 v1, v1, v1
	v_pk_add_f16 v75, v129, v78
	v_pk_add_f16 v76, v131, v78
	;; [unrolled: 1-line block ×4, first 2 shown]
	v_pk_min_f16 v72, v72, v89
	v_pk_min_f16 v73, v73, v92
	;; [unrolled: 1-line block ×4, first 2 shown]
	v_pk_add_f16 v79, v128, v140
	v_pk_max_f16 v34, v34, v34
	v_pk_min_f16 v1, v1, v74
	v_pk_min_f16 v125, v9, v75
	v_pk_min_f16 v124, v11, v76
	v_pk_min_f16 v123, v49, v77
	v_pk_min_f16 v122, v71, v78
	v_pk_add_f16 v9, v129, v80
	v_pk_add_f16 v11, v131, v80
	v_pk_add_f16 v49, v133, v80
	v_pk_add_f16 v71, v135, v80
	v_pk_add_f16 v74, v129, v82
	v_pk_min_f16 v34, v34, v79
	v_pk_add_f16 v79, v130, v142
	v_pk_max_f16 v29, v29, v29
	v_pk_min_f16 v115, v72, v9
	v_pk_min_f16 v114, v73, v11
	v_pk_min_f16 v113, v70, v49
	v_pk_min_f16 v112, v68, v71
	v_pk_min_f16 v111, v62, v74
	v_pk_add_f16 v9, v131, v82
	v_pk_add_f16 v11, v133, v82
	v_pk_add_f16 v49, v135, v82
	v_pk_add_f16 v62, v129, v84
	v_pk_add_f16 v68, v131, v84
	v_pk_min_f16 v29, v29, v79
	;; [unrolled: 13-line block ×7, first 2 shown]
	v_pk_min_f16 v79, v35, v9
	v_pk_min_f16 v78, v33, v11
	v_pk_min_f16 v77, v31, v27
	v_pk_min_f16 v76, v29, v32
	v_pk_min_f16 v75, v22, v34
	v_pk_add_f16 v9, v135, v143
	v_pk_add_f16 v11, v129, v145
	v_pk_add_f16 v22, v131, v145
	v_pk_add_f16 v27, v133, v145
	v_pk_add_f16 v29, v135, v145
	v_pk_min_f16 v74, v30, v9
	v_pk_min_f16 v73, v28, v11
	v_pk_min_f16 v72, v26, v22
	v_pk_min_f16 v71, v24, v27
	v_pk_min_f16 v70, v17, v29
	v_pk_add_f16 v9, v129, v147
	v_pk_add_f16 v11, v131, v147
	v_pk_add_f16 v17, v133, v147
	v_pk_add_f16 v22, v135, v147
	v_pk_add_f16 v24, v129, v149
	;; [unrolled: 10-line block ×5, first 2 shown]
	v_pk_min_f16 v54, v7, v2
	v_pk_min_f16 v53, v5, v6
	;; [unrolled: 1-line block ×5, first 2 shown]
	s_add_i32 s26, s26, 8
	ds_store_b16 v118, v126
	ds_store_b16 v118, v127 offset:512
	ds_store_b16 v119, v48
	ds_store_b16 v119, v0 offset:512
	s_cmp_ge_i32 s26, s25
	s_waitcnt lgkmcnt(0)
	s_barrier
	buffer_gl0_inv
	s_cbranch_scc1 .LBB218_44
.LBB218_28:                             ; =>This Inner Loop Header: Depth=1
	v_add_nc_u32_e32 v2, s26, v96
	s_delay_alu instid0(VALU_DEP_1) | instskip(NEXT) | instid1(VALU_DEP_1)
	v_add_nc_u32_e32 v3, 8, v2
	v_min_i32_e32 v0, s23, v3
	v_cmp_le_i32_e64 s5, s10, v3
	s_delay_alu instid0(VALU_DEP_2) | instskip(NEXT) | instid1(VALU_DEP_1)
	v_ashrrev_i32_e32 v1, 31, v0
	v_lshlrev_b64 v[0:1], 1, v[0:1]
	s_delay_alu instid0(VALU_DEP_1) | instskip(NEXT) | instid1(VALU_DEP_1)
	v_add_co_u32 v3, s6, s18, v0
	v_add_co_ci_u32_e64 v4, s6, s19, v1, s6
	s_or_b32 s6, vcc_lo, s5
	s_delay_alu instid0(SALU_CYCLE_1) | instskip(SKIP_1) | instid1(SALU_CYCLE_1)
	v_cndmask_b32_e64 v126, 0, 0x7c00, s6
	s_or_b32 s6, s24, s6
	s_xor_b32 s6, s6, -1
	s_delay_alu instid0(SALU_CYCLE_1)
	s_and_saveexec_b32 s27, s6
	s_cbranch_execz .LBB218_30
; %bb.29:                               ;   in Loop: Header=BB218_28 Depth=1
	v_add_co_u32 v5, s6, v3, v40
	s_delay_alu instid0(VALU_DEP_1)
	v_add_co_ci_u32_e64 v6, s6, v4, v41, s6
	flat_load_u16 v5, v[5:6]
	s_waitcnt vmcnt(0) lgkmcnt(0)
	v_mul_f16_e32 v126, s11, v5
.LBB218_30:                             ;   in Loop: Header=BB218_28 Depth=1
	s_or_b32 exec_lo, exec_lo, s27
	s_or_b32 s6, s2, s5
	s_delay_alu instid0(SALU_CYCLE_1) | instskip(SKIP_1) | instid1(SALU_CYCLE_1)
	v_cndmask_b32_e64 v127, 0, 0x7c00, s6
	s_or_b32 s6, s24, s6
	s_xor_b32 s6, s6, -1
	s_delay_alu instid0(SALU_CYCLE_1)
	s_and_saveexec_b32 s27, s6
	s_cbranch_execz .LBB218_32
; %bb.31:                               ;   in Loop: Header=BB218_28 Depth=1
	v_add_co_u32 v3, s6, v3, v42
	s_delay_alu instid0(VALU_DEP_1)
	v_add_co_ci_u32_e64 v4, s6, v4, v43, s6
	flat_load_u16 v3, v[3:4]
	s_waitcnt vmcnt(0) lgkmcnt(0)
	v_mul_f16_e32 v127, s11, v3
.LBB218_32:                             ;   in Loop: Header=BB218_28 Depth=1
	s_or_b32 exec_lo, exec_lo, s27
	v_add_co_u32 v0, s6, s20, v0
	s_delay_alu instid0(VALU_DEP_1) | instskip(SKIP_1) | instid1(SALU_CYCLE_1)
	v_add_co_ci_u32_e64 v1, s6, s21, v1, s6
	s_or_b32 s6, s3, s5
	v_cndmask_b32_e64 v128, 0, 0x7c00, s6
	s_or_b32 s6, s24, s6
	s_delay_alu instid0(SALU_CYCLE_1) | instskip(NEXT) | instid1(SALU_CYCLE_1)
	s_xor_b32 s6, s6, -1
	s_and_saveexec_b32 s27, s6
	s_cbranch_execz .LBB218_34
; %bb.33:                               ;   in Loop: Header=BB218_28 Depth=1
	v_add_co_u32 v3, s6, v0, v44
	s_delay_alu instid0(VALU_DEP_1)
	v_add_co_ci_u32_e64 v4, s6, v1, v45, s6
	flat_load_u16 v3, v[3:4]
	s_waitcnt vmcnt(0) lgkmcnt(0)
	v_mul_f16_e64 v128, s11, v3
.LBB218_34:                             ;   in Loop: Header=BB218_28 Depth=1
	s_or_b32 exec_lo, exec_lo, s27
	s_or_b32 s5, s4, s5
	s_delay_alu instid0(SALU_CYCLE_1) | instskip(SKIP_1) | instid1(SALU_CYCLE_1)
	v_cndmask_b32_e64 v129, 0, 0x7c00, s5
	s_or_b32 s5, s24, s5
	s_xor_b32 s5, s5, -1
	s_delay_alu instid0(SALU_CYCLE_1)
	s_and_saveexec_b32 s6, s5
	s_cbranch_execz .LBB218_36
; %bb.35:                               ;   in Loop: Header=BB218_28 Depth=1
	v_add_co_u32 v0, s5, v0, v46
	s_delay_alu instid0(VALU_DEP_1)
	v_add_co_ci_u32_e64 v1, s5, v1, v47, s5
	flat_load_u16 v0, v[0:1]
	s_waitcnt vmcnt(0) lgkmcnt(0)
	v_mul_f16_e64 v129, s11, v0
.LBB218_36:                             ;   in Loop: Header=BB218_28 Depth=1
	s_or_b32 exec_lo, exec_lo, s6
	v_add_nc_u32_e32 v130, 12, v2
	ds_load_2addr_b64 v[4:7], v120 offset1:32
	ds_load_2addr_b64 v[0:3], v120 offset0:64 offset1:96
	ds_load_2addr_b64 v[36:39], v121 offset1:8
	ds_load_2addr_b64 v[32:35], v121 offset0:16 offset1:24
	ds_load_2addr_b64 v[28:31], v121 offset0:32 offset1:40
	;; [unrolled: 1-line block ×7, first 2 shown]
	ds_store_b16 v106, v126
	ds_store_b16 v106, v127 offset:512
	ds_store_b16 v116, v128
	ds_store_b16 v116, v129 offset:512
	v_min_i32_e32 v48, s23, v130
	v_cmp_le_i32_e64 s5, s10, v130
	s_waitcnt lgkmcnt(0)
	s_barrier
	buffer_gl0_inv
	v_ashrrev_i32_e32 v49, 31, v48
	s_delay_alu instid0(VALU_DEP_1) | instskip(NEXT) | instid1(VALU_DEP_1)
	v_lshlrev_b64 v[48:49], 1, v[48:49]
	v_add_co_u32 v128, s6, s18, v48
	s_delay_alu instid0(VALU_DEP_1) | instskip(SKIP_1) | instid1(SALU_CYCLE_1)
	v_add_co_ci_u32_e64 v129, s6, s19, v49, s6
	s_or_b32 s6, vcc_lo, s5
	v_cndmask_b32_e64 v126, 0, 0x7c00, s6
	s_or_b32 s6, s24, s6
	s_delay_alu instid0(SALU_CYCLE_1) | instskip(NEXT) | instid1(SALU_CYCLE_1)
	s_xor_b32 s6, s6, -1
	s_and_saveexec_b32 s27, s6
	s_delay_alu instid0(SALU_CYCLE_1)
	s_xor_b32 s27, exec_lo, s27
	s_cbranch_execz .LBB218_38
; %bb.37:                               ;   in Loop: Header=BB218_28 Depth=1
	v_add_co_u32 v126, s6, v128, v40
	s_delay_alu instid0(VALU_DEP_1)
	v_add_co_ci_u32_e64 v127, s6, v129, v41, s6
	flat_load_u16 v126, v[126:127]
	s_waitcnt vmcnt(0) lgkmcnt(0)
	v_mul_f16_e32 v126, s11, v126
.LBB218_38:                             ;   in Loop: Header=BB218_28 Depth=1
	s_or_b32 exec_lo, exec_lo, s27
	s_or_b32 s6, s2, s5
	s_delay_alu instid0(SALU_CYCLE_1) | instskip(SKIP_1) | instid1(SALU_CYCLE_1)
	v_cndmask_b32_e64 v127, 0, 0x7c00, s6
	s_or_b32 s6, s24, s6
	s_xor_b32 s6, s6, -1
	s_delay_alu instid0(SALU_CYCLE_1)
	s_and_saveexec_b32 s27, s6
	s_cbranch_execz .LBB218_40
; %bb.39:                               ;   in Loop: Header=BB218_28 Depth=1
	v_add_co_u32 v127, s6, v128, v42
	s_delay_alu instid0(VALU_DEP_1)
	v_add_co_ci_u32_e64 v128, s6, v129, v43, s6
	flat_load_u16 v127, v[127:128]
	s_waitcnt vmcnt(0) lgkmcnt(0)
	v_mul_f16_e32 v127, s11, v127
.LBB218_40:                             ;   in Loop: Header=BB218_28 Depth=1
	s_or_b32 exec_lo, exec_lo, s27
	v_add_co_u32 v128, s6, s20, v48
	s_delay_alu instid0(VALU_DEP_1) | instskip(SKIP_1) | instid1(SALU_CYCLE_1)
	v_add_co_ci_u32_e64 v49, s6, s21, v49, s6
	s_or_b32 s6, s3, s5
	v_cndmask_b32_e64 v48, 0, 0x7c00, s6
	s_or_b32 s6, s24, s6
	s_delay_alu instid0(SALU_CYCLE_1) | instskip(NEXT) | instid1(SALU_CYCLE_1)
	s_xor_b32 s6, s6, -1
	s_and_saveexec_b32 s27, s6
	s_cbranch_execz .LBB218_42
; %bb.41:                               ;   in Loop: Header=BB218_28 Depth=1
	v_add_co_u32 v129, s6, v128, v44
	s_delay_alu instid0(VALU_DEP_1)
	v_add_co_ci_u32_e64 v130, s6, v49, v45, s6
	flat_load_u16 v48, v[129:130]
	s_waitcnt vmcnt(0) lgkmcnt(0)
	v_mul_f16_e32 v48, s11, v48
.LBB218_42:                             ;   in Loop: Header=BB218_28 Depth=1
	s_or_b32 exec_lo, exec_lo, s27
	v_pk_add_f16 v129, v4, v36
	v_pk_max_f16 v125, v125, v125
	v_pk_add_f16 v130, v6, v36
	v_pk_max_f16 v124, v124, v124
	;; [unrolled: 2-line block ×3, first 2 shown]
	v_pk_min_f16 v125, v125, v129
	v_pk_add_f16 v36, v2, v36
	v_pk_min_f16 v124, v124, v130
	v_pk_max_f16 v122, v122, v122
	v_pk_min_f16 v123, v123, v131
	v_pk_add_f16 v129, v4, v38
	v_pk_max_f16 v115, v115, v115
	v_pk_add_f16 v130, v6, v38
	v_pk_add_f16 v131, v0, v38
	;; [unrolled: 1-line block ×3, first 2 shown]
	v_pk_max_f16 v112, v112, v112
	v_pk_max_f16 v114, v114, v114
	v_pk_min_f16 v36, v122, v36
	v_pk_min_f16 v115, v115, v129
	v_pk_max_f16 v111, v111, v111
	v_pk_min_f16 v38, v112, v38
	v_pk_add_f16 v112, v4, v32
	v_pk_add_f16 v122, v6, v32
	;; [unrolled: 1-line block ×4, first 2 shown]
	v_pk_max_f16 v108, v108, v108
	v_pk_min_f16 v114, v114, v130
	v_pk_max_f16 v110, v110, v110
	v_pk_max_f16 v109, v109, v109
	v_pk_add_f16 v130, v4, v34
	v_pk_min_f16 v111, v111, v112
	v_pk_min_f16 v32, v108, v32
	v_pk_add_f16 v108, v6, v34
	v_pk_max_f16 v105, v105, v105
	v_pk_add_f16 v112, v0, v34
	v_pk_add_f16 v34, v2, v34
	v_pk_max_f16 v103, v103, v103
	v_pk_min_f16 v110, v110, v122
	v_pk_min_f16 v109, v109, v129
	v_pk_max_f16 v104, v104, v104
	v_pk_add_f16 v122, v4, v28
	v_pk_max_f16 v102, v102, v102
	v_pk_add_f16 v129, v6, v28
	v_pk_min_f16 v105, v105, v108
	v_pk_min_f16 v34, v103, v34
	v_pk_add_f16 v103, v0, v28
	v_pk_max_f16 v98, v98, v98
	v_pk_add_f16 v28, v2, v28
	v_pk_max_f16 v97, v97, v97
	;; [unrolled: 2-line block ×3, first 2 shown]
	v_pk_min_f16 v104, v104, v112
	v_pk_min_f16 v102, v102, v122
	v_pk_add_f16 v112, v6, v30
	v_pk_add_f16 v122, v0, v30
	v_pk_min_f16 v98, v98, v103
	v_pk_min_f16 v28, v97, v28
	;; [unrolled: 1-line block ×3, first 2 shown]
	v_pk_add_f16 v30, v2, v30
	v_pk_max_f16 v92, v92, v92
	v_pk_add_f16 v97, v4, v24
	v_pk_max_f16 v89, v89, v89
	v_pk_add_f16 v103, v6, v24
	v_pk_add_f16 v108, v0, v24
	;; [unrolled: 1-line block ×3, first 2 shown]
	v_pk_max_f16 v86, v86, v86
	v_pk_max_f16 v88, v88, v88
	v_pk_min_f16 v30, v92, v30
	v_pk_min_f16 v89, v89, v97
	v_pk_max_f16 v85, v85, v85
	v_pk_min_f16 v24, v86, v24
	v_pk_add_f16 v86, v4, v26
	v_pk_add_f16 v92, v6, v26
	v_pk_max_f16 v83, v83, v83
	v_pk_add_f16 v97, v0, v26
	v_pk_max_f16 v84, v84, v84
	;; [unrolled: 2-line block ×3, first 2 shown]
	v_pk_min_f16 v88, v88, v103
	v_pk_add_f16 v103, v4, v20
	v_pk_min_f16 v85, v85, v86
	v_pk_min_f16 v83, v83, v92
	;; [unrolled: 1-line block ×4, first 2 shown]
	v_pk_add_f16 v82, v6, v20
	v_pk_add_f16 v86, v0, v20
	v_pk_max_f16 v79, v79, v79
	v_pk_add_f16 v20, v2, v20
	v_pk_max_f16 v78, v78, v78
	;; [unrolled: 2-line block ×4, first 2 shown]
	v_pk_max_f16 v81, v81, v81
	v_pk_max_f16 v80, v80, v80
	v_pk_min_f16 v79, v79, v86
	v_pk_min_f16 v20, v78, v20
	;; [unrolled: 1-line block ×4, first 2 shown]
	v_pk_add_f16 v76, v0, v22
	v_pk_add_f16 v22, v2, v22
	v_pk_max_f16 v74, v74, v74
	v_pk_add_f16 v86, v6, v16
	v_pk_max_f16 v72, v72, v72
	;; [unrolled: 2-line block ×3, first 2 shown]
	v_pk_max_f16 v93, v93, v93
	v_pk_min_f16 v81, v81, v103
	v_pk_min_f16 v80, v80, v82
	v_pk_add_f16 v82, v4, v16
	v_pk_min_f16 v103, v74, v22
	v_pk_min_f16 v86, v72, v86
	;; [unrolled: 1-line block ×3, first 2 shown]
	v_pk_add_f16 v16, v2, v16
	v_pk_max_f16 v22, v70, v70
	v_pk_add_f16 v70, v4, v18
	v_pk_add_f16 v71, v6, v18
	;; [unrolled: 1-line block ×3, first 2 shown]
	v_pk_max_f16 v67, v67, v67
	v_pk_add_f16 v18, v2, v18
	v_pk_max_f16 v66, v66, v66
	v_pk_max_f16 v101, v101, v101
	;; [unrolled: 1-line block ×3, first 2 shown]
	v_pk_min_f16 v93, v93, v122
	v_pk_max_f16 v68, v68, v68
	v_pk_min_f16 v16, v22, v16
	v_pk_min_f16 v122, v67, v72
	;; [unrolled: 1-line block ×3, first 2 shown]
	v_pk_add_f16 v22, v4, v12
	v_pk_max_f16 v65, v65, v65
	v_pk_add_f16 v66, v6, v12
	v_pk_add_f16 v67, v0, v12
	;; [unrolled: 1-line block ×3, first 2 shown]
	v_pk_max_f16 v62, v62, v62
	v_pk_min_f16 v101, v101, v129
	v_pk_min_f16 v94, v94, v112
	;; [unrolled: 1-line block ×3, first 2 shown]
	v_pk_add_f16 v68, v4, v14
	v_pk_max_f16 v61, v61, v61
	v_pk_min_f16 v129, v65, v22
	v_pk_min_f16 v132, v62, v12
	v_pk_add_f16 v12, v6, v14
	v_pk_max_f16 v22, v60, v60
	v_pk_min_f16 v133, v61, v68
	v_pk_add_f16 v61, v4, v8
	v_pk_add_f16 v62, v6, v8
	v_pk_max_f16 v113, v113, v113
	v_pk_min_f16 v134, v22, v12
	v_pk_add_f16 v12, v0, v8
	v_pk_add_f16 v8, v2, v8
	v_pk_max_f16 v22, v54, v54
	v_pk_max_f16 v75, v75, v75
	v_pk_add_f16 v60, v0, v14
	v_pk_add_f16 v14, v2, v14
	v_pk_max_f16 v58, v58, v58
	v_pk_add_f16 v6, v6, v10
	v_pk_max_f16 v52, v52, v52
	v_pk_min_f16 v140, v22, v8
	v_pk_add_f16 v8, v5, v37
	v_pk_min_f16 v113, v113, v131
	v_pk_max_f16 v87, v87, v87
	v_pk_max_f16 v73, v73, v73
	v_pk_min_f16 v97, v75, v76
	v_pk_max_f16 v69, v69, v69
	v_pk_min_f16 v136, v58, v14
	v_pk_max_f16 v14, v55, v55
	v_pk_add_f16 v4, v4, v10
	v_pk_add_f16 v0, v0, v10
	v_pk_min_f16 v141, v52, v6
	v_pk_add_f16 v2, v2, v10
	v_pk_max_f16 v6, v50, v50
	v_pk_add_f16 v10, v7, v37
	v_pk_min_f16 v75, v125, v8
	v_pk_add_f16 v8, v1, v39
	v_pk_max_f16 v107, v107, v107
	v_pk_min_f16 v87, v87, v108
	v_pk_min_f16 v82, v73, v82
	;; [unrolled: 1-line block ×3, first 2 shown]
	v_pk_max_f16 v64, v64, v64
	v_pk_min_f16 v139, v14, v12
	v_pk_add_f16 v12, v1, v37
	v_pk_min_f16 v142, v6, v2
	v_pk_min_f16 v73, v124, v10
	v_pk_add_f16 v2, v5, v39
	v_pk_add_f16 v6, v7, v39
	;; [unrolled: 1-line block ×3, first 2 shown]
	v_pk_min_f16 v70, v113, v8
	v_pk_add_f16 v8, v3, v33
	v_pk_min_f16 v107, v107, v130
	v_pk_max_f16 v63, v63, v63
	v_pk_min_f16 v130, v64, v66
	v_pk_max_f16 v57, v57, v57
	v_pk_max_f16 v56, v56, v56
	v_pk_min_f16 v72, v123, v12
	v_pk_add_f16 v12, v5, v33
	v_pk_min_f16 v76, v115, v2
	v_pk_min_f16 v74, v114, v6
	;; [unrolled: 1-line block ×3, first 2 shown]
	v_pk_add_f16 v2, v7, v33
	v_pk_add_f16 v6, v1, v33
	;; [unrolled: 1-line block ×3, first 2 shown]
	v_pk_min_f16 v66, v32, v8
	v_pk_add_f16 v8, v5, v29
	v_pk_min_f16 v131, v63, v67
	v_pk_max_f16 v59, v59, v59
	v_pk_min_f16 v137, v57, v61
	v_pk_min_f16 v138, v56, v62
	;; [unrolled: 1-line block ×3, first 2 shown]
	v_pk_add_f16 v12, v7, v35
	v_pk_min_f16 v69, v110, v2
	v_pk_min_f16 v67, v109, v6
	v_pk_min_f16 v64, v107, v10
	v_pk_add_f16 v2, v1, v35
	v_pk_add_f16 v6, v3, v35
	;; [unrolled: 1-line block ×3, first 2 shown]
	v_pk_min_f16 v61, v102, v8
	v_pk_add_f16 v8, v7, v31
	v_pk_min_f16 v135, v59, v60
	v_pk_max_f16 v51, v51, v51
	v_pk_min_f16 v57, v105, v12
	v_pk_add_f16 v12, v1, v29
	v_pk_min_f16 v65, v104, v2
	v_pk_min_f16 v63, v34, v6
	;; [unrolled: 1-line block ×3, first 2 shown]
	v_pk_add_f16 v2, v3, v29
	v_pk_add_f16 v6, v5, v31
	;; [unrolled: 1-line block ×3, first 2 shown]
	v_pk_min_f16 v56, v94, v8
	v_pk_add_f16 v8, v1, v25
	v_pk_max_f16 v53, v53, v53
	v_pk_min_f16 v0, v51, v0
	v_pk_add_f16 v14, v3, v37
	v_pk_min_f16 v52, v98, v12
	v_pk_add_f16 v12, v3, v31
	v_pk_min_f16 v60, v28, v2
	v_pk_min_f16 v58, v95, v6
	;; [unrolled: 1-line block ×3, first 2 shown]
	v_pk_add_f16 v2, v5, v25
	v_pk_add_f16 v6, v7, v25
	;; [unrolled: 1-line block ×3, first 2 shown]
	v_pk_min_f16 v51, v87, v8
	v_pk_add_f16 v8, v3, v27
	v_pk_min_f16 v4, v53, v4
	v_pk_min_f16 v71, v36, v14
	;; [unrolled: 1-line block ×3, first 2 shown]
	v_pk_add_f16 v12, v5, v27
	v_pk_min_f16 v55, v89, v2
	v_pk_min_f16 v53, v88, v6
	v_pk_min_f16 v39, v24, v10
	v_pk_add_f16 v2, v7, v27
	v_pk_add_f16 v6, v1, v27
	v_pk_add_f16 v10, v5, v21
	v_pk_min_f16 v36, v26, v8
	v_pk_add_f16 v8, v5, v23
	v_pk_min_f16 v32, v85, v12
	v_pk_add_f16 v12, v7, v21
	v_pk_min_f16 v50, v83, v2
	v_pk_min_f16 v38, v84, v6
	v_pk_min_f16 v34, v81, v10
	v_pk_add_f16 v2, v1, v21
	v_pk_add_f16 v6, v3, v21
	v_pk_add_f16 v10, v7, v23
	v_pk_min_f16 v31, v77, v8
	v_pk_add_f16 v8, v7, v17
	v_pk_min_f16 v27, v80, v12
	;; [unrolled: 10-line block ×4, first 2 shown]
	v_pk_add_f16 v12, v5, v13
	v_pk_min_f16 v25, v108, v2
	v_pk_min_f16 v23, v112, v6
	;; [unrolled: 1-line block ×3, first 2 shown]
	v_pk_add_f16 v2, v7, v13
	v_pk_add_f16 v6, v1, v13
	;; [unrolled: 1-line block ×4, first 2 shown]
	v_pk_min_f16 v16, v132, v8
	v_pk_add_f16 v8, v3, v15
	v_pk_add_f16 v77, v7, v9
	v_pk_min_f16 v20, v130, v2
	v_pk_min_f16 v18, v131, v6
	;; [unrolled: 1-line block ×4, first 2 shown]
	v_pk_add_f16 v2, v1, v15
	v_pk_add_f16 v10, v5, v9
	;; [unrolled: 1-line block ×3, first 2 shown]
	v_pk_min_f16 v13, v136, v8
	v_pk_min_f16 v8, v138, v77
	v_pk_add_f16 v9, v3, v9
	v_pk_add_f16 v5, v5, v11
	;; [unrolled: 1-line block ×5, first 2 shown]
	s_or_b32 s5, s4, s5
	v_pk_min_f16 v12, v129, v12
	v_pk_min_f16 v15, v135, v2
	;; [unrolled: 1-line block ×9, first 2 shown]
	v_cndmask_b32_e64 v0, 0, 0x7c00, s5
	s_or_b32 s5, s24, s5
	s_delay_alu instid0(SALU_CYCLE_1) | instskip(NEXT) | instid1(SALU_CYCLE_1)
	s_xor_b32 s5, s5, -1
	s_and_saveexec_b32 s6, s5
	s_cbranch_execz .LBB218_27
; %bb.43:                               ;   in Loop: Header=BB218_28 Depth=1
	v_add_co_u32 v77, s5, v128, v46
	s_delay_alu instid0(VALU_DEP_1)
	v_add_co_ci_u32_e64 v78, s5, v49, v47, s5
	flat_load_u16 v0, v[77:78]
	s_waitcnt vmcnt(0) lgkmcnt(0)
	v_mul_f16_e32 v0, s11, v0
	s_branch .LBB218_27
.LBB218_44:
	s_clause 0x2
	s_load_b32 s6, s[0:1], 0x50
	s_load_b32 s5, s[0:1], 0x68
	s_load_b64 s[2:3], s[0:1], 0x70
	v_add_nc_u32_e32 v4, 0x800, v100
	v_add_nc_u32_e32 v49, s14, v91
	ds_load_2addr_b64 v[8:11], v99 offset0:128 offset1:160
	ds_load_2addr_b64 v[0:3], v99 offset0:192 offset1:224
	v_add_nc_u32_e32 v40, s7, v90
	ds_load_2addr_b64 v[36:39], v4 offset0:128 offset1:136
	ds_load_2addr_b64 v[32:35], v4 offset0:144 offset1:152
	;; [unrolled: 1-line block ×8, first 2 shown]
	v_cmp_gt_i32_e64 s4, s9, v49
	v_cmp_gt_i32_e64 s0, s8, v40
	v_ashrrev_i32_e32 v41, 31, v40
	v_cndmask_b32_e64 v48, 0, 1, s22
	s_waitcnt lgkmcnt(0)
	v_mad_i64_i32 v[42:43], null, v49, s6, 0
	v_mad_i64_i32 v[44:45], null, v49, s5, 0
	s_lshl_b64 s[2:3], s[2:3], 1
	s_delay_alu instid0(SALU_CYCLE_1) | instskip(SKIP_1) | instid1(VALU_DEP_2)
	s_add_u32 s7, s16, s2
	s_addc_u32 s10, s17, s3
	v_lshlrev_b64 v[42:43], 1, v[42:43]
	s_and_b32 s1, s0, s4
	s_delay_alu instid0(VALU_DEP_2) | instskip(NEXT) | instid1(VALU_DEP_2)
	v_lshlrev_b64 v[44:45], 1, v[44:45]
	v_add_co_u32 v96, vcc_lo, s12, v42
	s_delay_alu instid0(VALU_DEP_3) | instskip(NEXT) | instid1(VALU_DEP_3)
	v_add_co_ci_u32_e32 v99, vcc_lo, s13, v43, vcc_lo
	v_add_co_u32 v90, vcc_lo, s7, v44
	s_delay_alu instid0(VALU_DEP_4) | instskip(SKIP_1) | instid1(SALU_CYCLE_1)
	v_add_co_ci_u32_e32 v91, vcc_lo, s10, v45, vcc_lo
	s_and_saveexec_b32 s2, s1
	s_xor_b32 s1, exec_lo, s2
	s_cbranch_execz .LBB218_49
; %bb.45:
	s_and_not1_b32 vcc_lo, exec_lo, s22
	s_cbranch_vccnz .LBB218_47
; %bb.46:
	v_lshlrev_b64 v[42:43], 1, v[40:41]
	s_delay_alu instid0(VALU_DEP_1) | instskip(NEXT) | instid1(VALU_DEP_2)
	v_add_co_u32 v42, vcc_lo, v96, v42
	v_add_co_ci_u32_e32 v43, vcc_lo, v99, v43, vcc_lo
	flat_load_u16 v42, v[42:43]
	s_waitcnt vmcnt(0) lgkmcnt(0)
	v_mul_f16_e32 v42, s15, v42
	s_branch .LBB218_48
.LBB218_47:
	v_mov_b32_e32 v42, 0
.LBB218_48:
	v_pk_add_f16 v43, v8, v36
	v_pk_max_f16 v44, v125, v125
	v_pk_add_f16 v45, v9, v37
	s_delay_alu instid0(VALU_DEP_2) | instskip(NEXT) | instid1(VALU_DEP_1)
	v_pk_min_f16 v43, v44, v43
	v_pk_min_f16 v45, v43, v45
	v_lshlrev_b64 v[43:44], 1, v[40:41]
	s_delay_alu instid0(VALU_DEP_2) | instskip(NEXT) | instid1(VALU_DEP_1)
	v_lshrrev_b32_e32 v46, 16, v45
	v_min3_f16 v45, v42, v45, v46
	s_delay_alu instid0(VALU_DEP_3) | instskip(NEXT) | instid1(VALU_DEP_4)
	v_add_co_u32 v42, vcc_lo, v90, v43
	v_add_co_ci_u32_e32 v43, vcc_lo, v91, v44, vcc_lo
	global_store_b16 v[42:43], v45, off
.LBB218_49:
	s_or_b32 exec_lo, exec_lo, s1
	v_add_nc_u32_e32 v42, 32, v40
	s_delay_alu instid0(VALU_DEP_1) | instskip(SKIP_1) | instid1(VALU_DEP_2)
	v_cmp_gt_i32_e64 s1, s8, v42
	v_ashrrev_i32_e32 v43, 31, v42
	s_and_b32 s3, s1, s4
	s_delay_alu instid0(SALU_CYCLE_1)
	s_and_saveexec_b32 s2, s3
	s_cbranch_execz .LBB218_54
; %bb.50:
	v_cmp_ne_u32_e32 vcc_lo, 1, v48
	s_cbranch_vccnz .LBB218_52
; %bb.51:
	v_lshlrev_b64 v[44:45], 1, v[42:43]
	s_delay_alu instid0(VALU_DEP_1) | instskip(NEXT) | instid1(VALU_DEP_2)
	v_add_co_u32 v44, vcc_lo, v96, v44
	v_add_co_ci_u32_e32 v45, vcc_lo, v99, v45, vcc_lo
	flat_load_u16 v44, v[44:45]
	s_waitcnt vmcnt(0) lgkmcnt(0)
	v_mul_f16_e32 v44, s15, v44
	s_branch .LBB218_53
.LBB218_52:
	v_mov_b32_e32 v44, 0
.LBB218_53:
	v_pk_add_f16 v45, v10, v36
	v_pk_max_f16 v46, v124, v124
	v_pk_add_f16 v47, v11, v37
	s_delay_alu instid0(VALU_DEP_2) | instskip(NEXT) | instid1(VALU_DEP_1)
	v_pk_min_f16 v45, v46, v45
	v_pk_min_f16 v47, v45, v47
	v_lshlrev_b64 v[45:46], 1, v[42:43]
	s_delay_alu instid0(VALU_DEP_2) | instskip(NEXT) | instid1(VALU_DEP_1)
	v_lshrrev_b32_e32 v100, 16, v47
	v_min3_f16 v47, v44, v47, v100
	s_delay_alu instid0(VALU_DEP_3) | instskip(NEXT) | instid1(VALU_DEP_4)
	v_add_co_u32 v44, vcc_lo, v90, v45
	v_add_co_ci_u32_e32 v45, vcc_lo, v91, v46, vcc_lo
	global_store_b16 v[44:45], v47, off
.LBB218_54:
	s_or_b32 exec_lo, exec_lo, s2
	v_add_nc_u32_e32 v44, 64, v40
	s_delay_alu instid0(VALU_DEP_1) | instskip(SKIP_1) | instid1(VALU_DEP_2)
	v_cmp_gt_i32_e64 s2, s8, v44
	v_ashrrev_i32_e32 v45, 31, v44
	s_and_b32 s11, s2, s4
	s_delay_alu instid0(SALU_CYCLE_1)
	s_and_saveexec_b32 s3, s11
	s_cbranch_execz .LBB218_59
; %bb.55:
	v_cmp_ne_u32_e32 vcc_lo, 1, v48
	s_cbranch_vccnz .LBB218_57
; %bb.56:
	v_lshlrev_b64 v[46:47], 1, v[44:45]
	s_delay_alu instid0(VALU_DEP_1) | instskip(NEXT) | instid1(VALU_DEP_2)
	v_add_co_u32 v46, vcc_lo, v96, v46
	v_add_co_ci_u32_e32 v47, vcc_lo, v99, v47, vcc_lo
	flat_load_u16 v46, v[46:47]
	s_waitcnt vmcnt(0) lgkmcnt(0)
	v_mul_f16_e32 v46, s15, v46
	s_branch .LBB218_58
.LBB218_57:
	v_mov_b32_e32 v46, 0
.LBB218_58:
	v_pk_add_f16 v47, v0, v36
	v_pk_max_f16 v100, v123, v123
	v_pk_add_f16 v106, v1, v37
	v_lshlrev_b64 v[116:117], 1, v[44:45]
	s_delay_alu instid0(VALU_DEP_3) | instskip(NEXT) | instid1(VALU_DEP_1)
	v_pk_min_f16 v47, v100, v47
	v_pk_min_f16 v47, v47, v106
	s_delay_alu instid0(VALU_DEP_1) | instskip(NEXT) | instid1(VALU_DEP_1)
	v_lshrrev_b32_e32 v100, 16, v47
	v_min3_f16 v100, v46, v47, v100
	v_add_co_u32 v46, vcc_lo, v90, v116
	v_add_co_ci_u32_e32 v47, vcc_lo, v91, v117, vcc_lo
	global_store_b16 v[46:47], v100, off
.LBB218_59:
	s_or_b32 exec_lo, exec_lo, s3
	v_add_nc_u32_e32 v46, 0x60, v40
	s_delay_alu instid0(VALU_DEP_1) | instskip(SKIP_1) | instid1(VALU_DEP_2)
	v_cmp_gt_i32_e64 s3, s8, v46
	v_ashrrev_i32_e32 v47, 31, v46
	s_and_b32 s8, s3, s4
	s_delay_alu instid0(SALU_CYCLE_1)
	s_and_saveexec_b32 s4, s8
	s_cbranch_execz .LBB218_64
; %bb.60:
	v_cmp_ne_u32_e32 vcc_lo, 1, v48
	s_cbranch_vccnz .LBB218_62
; %bb.61:
	v_lshlrev_b64 v[116:117], 1, v[46:47]
	s_delay_alu instid0(VALU_DEP_1) | instskip(NEXT) | instid1(VALU_DEP_2)
	v_add_co_u32 v116, vcc_lo, v96, v116
	v_add_co_ci_u32_e32 v117, vcc_lo, v99, v117, vcc_lo
	flat_load_u16 v96, v[116:117]
	s_waitcnt vmcnt(0) lgkmcnt(0)
	v_mul_f16_e32 v96, s15, v96
	s_branch .LBB218_63
.LBB218_62:
	v_mov_b32_e32 v96, 0
.LBB218_63:
	v_pk_add_f16 v36, v2, v36
	v_pk_max_f16 v99, v122, v122
	v_pk_add_f16 v37, v3, v37
	s_delay_alu instid0(VALU_DEP_2) | instskip(NEXT) | instid1(VALU_DEP_1)
	v_pk_min_f16 v36, v99, v36
	v_pk_min_f16 v99, v36, v37
	v_lshlrev_b64 v[36:37], 1, v[46:47]
	s_delay_alu instid0(VALU_DEP_2) | instskip(NEXT) | instid1(VALU_DEP_2)
	v_lshrrev_b32_e32 v100, 16, v99
	v_add_co_u32 v36, vcc_lo, v90, v36
	s_delay_alu instid0(VALU_DEP_3) | instskip(NEXT) | instid1(VALU_DEP_3)
	v_add_co_ci_u32_e32 v37, vcc_lo, v91, v37, vcc_lo
	v_min3_f16 v96, v96, v99, v100
	global_store_b16 v[36:37], v96, off
.LBB218_64:
	s_or_b32 exec_lo, exec_lo, s4
	v_add_nc_u32_e32 v96, 8, v49
	s_delay_alu instid0(VALU_DEP_1) | instskip(SKIP_2) | instid1(VALU_DEP_3)
	v_mad_i64_i32 v[36:37], null, v96, s6, 0
	v_mad_i64_i32 v[90:91], null, v96, s5, 0
	v_cmp_gt_i32_e64 s4, s9, v96
	v_lshlrev_b64 v[36:37], 1, v[36:37]
	s_delay_alu instid0(VALU_DEP_2) | instskip(NEXT) | instid1(VALU_DEP_3)
	s_and_b32 s11, s0, s4
	v_lshlrev_b64 v[99:100], 1, v[90:91]
	s_delay_alu instid0(VALU_DEP_2) | instskip(NEXT) | instid1(VALU_DEP_3)
	v_add_co_u32 v90, vcc_lo, s12, v36
	v_add_co_ci_u32_e32 v91, vcc_lo, s13, v37, vcc_lo
	s_delay_alu instid0(VALU_DEP_3) | instskip(NEXT) | instid1(VALU_DEP_4)
	v_add_co_u32 v36, vcc_lo, s7, v99
	v_add_co_ci_u32_e32 v37, vcc_lo, s10, v100, vcc_lo
	s_and_saveexec_b32 s8, s11
	s_cbranch_execnz .LBB218_68
; %bb.65:
	s_or_b32 exec_lo, exec_lo, s8
	s_and_b32 s11, s1, s4
	s_delay_alu instid0(SALU_CYCLE_1)
	s_and_saveexec_b32 s8, s11
	s_cbranch_execnz .LBB218_72
.LBB218_66:
	s_or_b32 exec_lo, exec_lo, s8
	s_and_b32 s11, s2, s4
	s_delay_alu instid0(SALU_CYCLE_1)
	s_and_saveexec_b32 s8, s11
	s_cbranch_execnz .LBB218_76
.LBB218_67:
	s_or_b32 exec_lo, exec_lo, s8
	s_and_b32 s8, s3, s4
	s_delay_alu instid0(SALU_CYCLE_1)
	s_and_saveexec_b32 s4, s8
	s_cbranch_execnz .LBB218_80
	s_branch .LBB218_84
.LBB218_68:
	v_cmp_ne_u32_e32 vcc_lo, 1, v48
	s_cbranch_vccnz .LBB218_70
; %bb.69:
	v_lshlrev_b64 v[99:100], 1, v[40:41]
	s_delay_alu instid0(VALU_DEP_1) | instskip(NEXT) | instid1(VALU_DEP_2)
	v_add_co_u32 v99, vcc_lo, v90, v99
	v_add_co_ci_u32_e32 v100, vcc_lo, v91, v100, vcc_lo
	flat_load_u16 v96, v[99:100]
	s_waitcnt vmcnt(0) lgkmcnt(0)
	v_mul_f16_e32 v96, s15, v96
	s_branch .LBB218_71
.LBB218_70:
	v_mov_b32_e32 v96, 0
.LBB218_71:
	v_pk_add_f16 v99, v8, v38
	v_pk_max_f16 v100, v115, v115
	v_pk_add_f16 v106, v9, v39
	s_delay_alu instid0(VALU_DEP_2) | instskip(NEXT) | instid1(VALU_DEP_1)
	v_pk_min_f16 v99, v100, v99
	v_pk_min_f16 v106, v99, v106
	v_lshlrev_b64 v[99:100], 1, v[40:41]
	s_delay_alu instid0(VALU_DEP_2) | instskip(NEXT) | instid1(VALU_DEP_2)
	v_lshrrev_b32_e32 v115, 16, v106
	v_add_co_u32 v99, vcc_lo, v36, v99
	s_delay_alu instid0(VALU_DEP_3) | instskip(NEXT) | instid1(VALU_DEP_3)
	v_add_co_ci_u32_e32 v100, vcc_lo, v37, v100, vcc_lo
	v_min3_f16 v96, v96, v106, v115
	global_store_b16 v[99:100], v96, off
	s_or_b32 exec_lo, exec_lo, s8
	s_and_b32 s11, s1, s4
	s_delay_alu instid0(SALU_CYCLE_1)
	s_and_saveexec_b32 s8, s11
	s_cbranch_execz .LBB218_66
.LBB218_72:
	v_cmp_ne_u32_e32 vcc_lo, 1, v48
	s_cbranch_vccnz .LBB218_74
; %bb.73:
	v_lshlrev_b64 v[99:100], 1, v[42:43]
	s_delay_alu instid0(VALU_DEP_1) | instskip(NEXT) | instid1(VALU_DEP_2)
	v_add_co_u32 v99, vcc_lo, v90, v99
	v_add_co_ci_u32_e32 v100, vcc_lo, v91, v100, vcc_lo
	flat_load_u16 v96, v[99:100]
	s_waitcnt vmcnt(0) lgkmcnt(0)
	v_mul_f16_e32 v96, s15, v96
	s_branch .LBB218_75
.LBB218_74:
	v_mov_b32_e32 v96, 0
.LBB218_75:
	v_pk_add_f16 v99, v10, v38
	v_pk_max_f16 v100, v114, v114
	v_pk_add_f16 v106, v11, v39
	s_delay_alu instid0(VALU_DEP_2) | instskip(NEXT) | instid1(VALU_DEP_1)
	v_pk_min_f16 v99, v100, v99
	v_pk_min_f16 v106, v99, v106
	v_lshlrev_b64 v[99:100], 1, v[42:43]
	s_delay_alu instid0(VALU_DEP_2) | instskip(NEXT) | instid1(VALU_DEP_2)
	v_lshrrev_b32_e32 v114, 16, v106
	v_add_co_u32 v99, vcc_lo, v36, v99
	s_delay_alu instid0(VALU_DEP_3) | instskip(NEXT) | instid1(VALU_DEP_3)
	v_add_co_ci_u32_e32 v100, vcc_lo, v37, v100, vcc_lo
	v_min3_f16 v96, v96, v106, v114
	global_store_b16 v[99:100], v96, off
	s_or_b32 exec_lo, exec_lo, s8
	s_and_b32 s11, s2, s4
	s_delay_alu instid0(SALU_CYCLE_1)
	s_and_saveexec_b32 s8, s11
	s_cbranch_execz .LBB218_67
.LBB218_76:
	v_cmp_ne_u32_e32 vcc_lo, 1, v48
	s_cbranch_vccnz .LBB218_78
; %bb.77:
	v_lshlrev_b64 v[99:100], 1, v[44:45]
	s_delay_alu instid0(VALU_DEP_1) | instskip(NEXT) | instid1(VALU_DEP_2)
	v_add_co_u32 v99, vcc_lo, v90, v99
	v_add_co_ci_u32_e32 v100, vcc_lo, v91, v100, vcc_lo
	flat_load_u16 v96, v[99:100]
	s_waitcnt vmcnt(0) lgkmcnt(0)
	v_mul_f16_e32 v96, s15, v96
	s_branch .LBB218_79
.LBB218_78:
	v_mov_b32_e32 v96, 0
.LBB218_79:
	v_pk_add_f16 v99, v0, v38
	v_pk_max_f16 v100, v113, v113
	v_pk_add_f16 v106, v1, v39
	s_delay_alu instid0(VALU_DEP_2) | instskip(NEXT) | instid1(VALU_DEP_1)
	v_pk_min_f16 v99, v100, v99
	v_pk_min_f16 v106, v99, v106
	v_lshlrev_b64 v[99:100], 1, v[44:45]
	s_delay_alu instid0(VALU_DEP_2) | instskip(NEXT) | instid1(VALU_DEP_2)
	v_lshrrev_b32_e32 v113, 16, v106
	v_add_co_u32 v99, vcc_lo, v36, v99
	s_delay_alu instid0(VALU_DEP_3) | instskip(NEXT) | instid1(VALU_DEP_3)
	v_add_co_ci_u32_e32 v100, vcc_lo, v37, v100, vcc_lo
	v_min3_f16 v96, v96, v106, v113
	global_store_b16 v[99:100], v96, off
	s_or_b32 exec_lo, exec_lo, s8
	s_and_b32 s8, s3, s4
	s_delay_alu instid0(SALU_CYCLE_1)
	s_and_saveexec_b32 s4, s8
	s_cbranch_execz .LBB218_84
.LBB218_80:
	v_cmp_ne_u32_e32 vcc_lo, 1, v48
	s_cbranch_vccnz .LBB218_82
; %bb.81:
	v_lshlrev_b64 v[99:100], 1, v[46:47]
	s_delay_alu instid0(VALU_DEP_1) | instskip(NEXT) | instid1(VALU_DEP_2)
	v_add_co_u32 v90, vcc_lo, v90, v99
	v_add_co_ci_u32_e32 v91, vcc_lo, v91, v100, vcc_lo
	flat_load_u16 v90, v[90:91]
	s_waitcnt vmcnt(0) lgkmcnt(0)
	v_mul_f16_e32 v90, s15, v90
	s_branch .LBB218_83
.LBB218_82:
	v_mov_b32_e32 v90, 0
.LBB218_83:
	v_pk_add_f16 v38, v2, v38
	v_pk_max_f16 v91, v112, v112
	v_pk_add_f16 v39, v3, v39
	s_delay_alu instid0(VALU_DEP_2) | instskip(NEXT) | instid1(VALU_DEP_1)
	v_pk_min_f16 v38, v91, v38
	v_pk_min_f16 v91, v38, v39
	v_lshlrev_b64 v[38:39], 1, v[46:47]
	s_delay_alu instid0(VALU_DEP_2) | instskip(NEXT) | instid1(VALU_DEP_2)
	v_lshrrev_b32_e32 v96, 16, v91
	v_add_co_u32 v36, vcc_lo, v36, v38
	s_delay_alu instid0(VALU_DEP_3) | instskip(NEXT) | instid1(VALU_DEP_3)
	v_add_co_ci_u32_e32 v37, vcc_lo, v37, v39, vcc_lo
	v_min3_f16 v90, v90, v91, v96
	global_store_b16 v[36:37], v90, off
.LBB218_84:
	s_or_b32 exec_lo, exec_lo, s4
	v_add_nc_u32_e32 v90, 16, v49
	s_delay_alu instid0(VALU_DEP_1) | instskip(SKIP_2) | instid1(VALU_DEP_3)
	v_mad_i64_i32 v[36:37], null, v90, s6, 0
	v_mad_i64_i32 v[38:39], null, v90, s5, 0
	v_cmp_gt_i32_e64 s4, s9, v90
	v_lshlrev_b64 v[36:37], 1, v[36:37]
	s_delay_alu instid0(VALU_DEP_2) | instskip(NEXT) | instid1(VALU_DEP_3)
	s_and_b32 s11, s0, s4
	v_lshlrev_b64 v[90:91], 1, v[38:39]
	s_delay_alu instid0(VALU_DEP_2) | instskip(NEXT) | instid1(VALU_DEP_3)
	v_add_co_u32 v38, vcc_lo, s12, v36
	v_add_co_ci_u32_e32 v39, vcc_lo, s13, v37, vcc_lo
	s_delay_alu instid0(VALU_DEP_3) | instskip(NEXT) | instid1(VALU_DEP_4)
	v_add_co_u32 v36, vcc_lo, s7, v90
	v_add_co_ci_u32_e32 v37, vcc_lo, s10, v91, vcc_lo
	s_and_saveexec_b32 s8, s11
	s_cbranch_execnz .LBB218_88
; %bb.85:
	s_or_b32 exec_lo, exec_lo, s8
	s_and_b32 s11, s1, s4
	s_delay_alu instid0(SALU_CYCLE_1)
	s_and_saveexec_b32 s8, s11
	s_cbranch_execnz .LBB218_92
.LBB218_86:
	s_or_b32 exec_lo, exec_lo, s8
	s_and_b32 s11, s2, s4
	s_delay_alu instid0(SALU_CYCLE_1)
	s_and_saveexec_b32 s8, s11
	s_cbranch_execnz .LBB218_96
.LBB218_87:
	s_or_b32 exec_lo, exec_lo, s8
	s_and_b32 s8, s3, s4
	s_delay_alu instid0(SALU_CYCLE_1)
	s_and_saveexec_b32 s4, s8
	s_cbranch_execnz .LBB218_100
	s_branch .LBB218_104
.LBB218_88:
	v_cmp_ne_u32_e32 vcc_lo, 1, v48
	s_cbranch_vccnz .LBB218_90
; %bb.89:
	v_lshlrev_b64 v[90:91], 1, v[40:41]
	s_delay_alu instid0(VALU_DEP_1) | instskip(NEXT) | instid1(VALU_DEP_2)
	v_add_co_u32 v90, vcc_lo, v38, v90
	v_add_co_ci_u32_e32 v91, vcc_lo, v39, v91, vcc_lo
	flat_load_u16 v90, v[90:91]
	s_waitcnt vmcnt(0) lgkmcnt(0)
	v_mul_f16_e32 v90, s15, v90
	s_branch .LBB218_91
.LBB218_90:
	v_mov_b32_e32 v90, 0
.LBB218_91:
	v_pk_add_f16 v91, v8, v32
	v_pk_max_f16 v96, v111, v111
	v_pk_add_f16 v99, v9, v33
	s_delay_alu instid0(VALU_DEP_2) | instskip(NEXT) | instid1(VALU_DEP_1)
	v_pk_min_f16 v91, v96, v91
	v_pk_min_f16 v91, v91, v99
	v_lshlrev_b64 v[99:100], 1, v[40:41]
	s_delay_alu instid0(VALU_DEP_2) | instskip(NEXT) | instid1(VALU_DEP_1)
	v_lshrrev_b32_e32 v96, 16, v91
	v_min3_f16 v96, v90, v91, v96
	s_delay_alu instid0(VALU_DEP_3) | instskip(NEXT) | instid1(VALU_DEP_4)
	v_add_co_u32 v90, vcc_lo, v36, v99
	v_add_co_ci_u32_e32 v91, vcc_lo, v37, v100, vcc_lo
	global_store_b16 v[90:91], v96, off
	s_or_b32 exec_lo, exec_lo, s8
	s_and_b32 s11, s1, s4
	s_delay_alu instid0(SALU_CYCLE_1)
	s_and_saveexec_b32 s8, s11
	s_cbranch_execz .LBB218_86
.LBB218_92:
	v_cmp_ne_u32_e32 vcc_lo, 1, v48
	s_cbranch_vccnz .LBB218_94
; %bb.93:
	v_lshlrev_b64 v[90:91], 1, v[42:43]
	s_delay_alu instid0(VALU_DEP_1) | instskip(NEXT) | instid1(VALU_DEP_2)
	v_add_co_u32 v90, vcc_lo, v38, v90
	v_add_co_ci_u32_e32 v91, vcc_lo, v39, v91, vcc_lo
	flat_load_u16 v90, v[90:91]
	s_waitcnt vmcnt(0) lgkmcnt(0)
	v_mul_f16_e32 v90, s15, v90
	s_branch .LBB218_95
.LBB218_94:
	v_mov_b32_e32 v90, 0
.LBB218_95:
	v_pk_add_f16 v91, v10, v32
	v_pk_max_f16 v96, v110, v110
	v_pk_add_f16 v99, v11, v33
	s_delay_alu instid0(VALU_DEP_2) | instskip(NEXT) | instid1(VALU_DEP_1)
	v_pk_min_f16 v91, v96, v91
	v_pk_min_f16 v91, v91, v99
	v_lshlrev_b64 v[99:100], 1, v[42:43]
	s_delay_alu instid0(VALU_DEP_2) | instskip(NEXT) | instid1(VALU_DEP_1)
	v_lshrrev_b32_e32 v96, 16, v91
	v_min3_f16 v96, v90, v91, v96
	s_delay_alu instid0(VALU_DEP_3) | instskip(NEXT) | instid1(VALU_DEP_4)
	v_add_co_u32 v90, vcc_lo, v36, v99
	v_add_co_ci_u32_e32 v91, vcc_lo, v37, v100, vcc_lo
	global_store_b16 v[90:91], v96, off
	s_or_b32 exec_lo, exec_lo, s8
	s_and_b32 s11, s2, s4
	s_delay_alu instid0(SALU_CYCLE_1)
	s_and_saveexec_b32 s8, s11
	s_cbranch_execz .LBB218_87
.LBB218_96:
	v_cmp_ne_u32_e32 vcc_lo, 1, v48
	s_cbranch_vccnz .LBB218_98
; %bb.97:
	v_lshlrev_b64 v[90:91], 1, v[44:45]
	s_delay_alu instid0(VALU_DEP_1) | instskip(NEXT) | instid1(VALU_DEP_2)
	v_add_co_u32 v90, vcc_lo, v38, v90
	v_add_co_ci_u32_e32 v91, vcc_lo, v39, v91, vcc_lo
	flat_load_u16 v90, v[90:91]
	s_waitcnt vmcnt(0) lgkmcnt(0)
	v_mul_f16_e32 v90, s15, v90
	s_branch .LBB218_99
.LBB218_98:
	v_mov_b32_e32 v90, 0
.LBB218_99:
	v_pk_add_f16 v91, v0, v32
	v_pk_max_f16 v96, v109, v109
	v_pk_add_f16 v99, v1, v33
	s_delay_alu instid0(VALU_DEP_2) | instskip(NEXT) | instid1(VALU_DEP_1)
	v_pk_min_f16 v91, v96, v91
	v_pk_min_f16 v91, v91, v99
	v_lshlrev_b64 v[99:100], 1, v[44:45]
	s_delay_alu instid0(VALU_DEP_2) | instskip(NEXT) | instid1(VALU_DEP_1)
	v_lshrrev_b32_e32 v96, 16, v91
	v_min3_f16 v96, v90, v91, v96
	s_delay_alu instid0(VALU_DEP_3) | instskip(NEXT) | instid1(VALU_DEP_4)
	v_add_co_u32 v90, vcc_lo, v36, v99
	v_add_co_ci_u32_e32 v91, vcc_lo, v37, v100, vcc_lo
	global_store_b16 v[90:91], v96, off
	s_or_b32 exec_lo, exec_lo, s8
	s_and_b32 s8, s3, s4
	s_delay_alu instid0(SALU_CYCLE_1)
	s_and_saveexec_b32 s4, s8
	s_cbranch_execz .LBB218_104
.LBB218_100:
	v_cmp_ne_u32_e32 vcc_lo, 1, v48
	s_cbranch_vccnz .LBB218_102
; %bb.101:
	v_lshlrev_b64 v[90:91], 1, v[46:47]
	s_delay_alu instid0(VALU_DEP_1) | instskip(NEXT) | instid1(VALU_DEP_2)
	v_add_co_u32 v38, vcc_lo, v38, v90
	v_add_co_ci_u32_e32 v39, vcc_lo, v39, v91, vcc_lo
	flat_load_u16 v38, v[38:39]
	s_waitcnt vmcnt(0) lgkmcnt(0)
	v_mul_f16_e32 v38, s15, v38
	s_branch .LBB218_103
.LBB218_102:
	v_mov_b32_e32 v38, 0
.LBB218_103:
	v_pk_add_f16 v32, v2, v32
	v_pk_max_f16 v39, v108, v108
	v_pk_add_f16 v33, v3, v33
	s_delay_alu instid0(VALU_DEP_2) | instskip(NEXT) | instid1(VALU_DEP_1)
	v_pk_min_f16 v32, v39, v32
	v_pk_min_f16 v39, v32, v33
	v_lshlrev_b64 v[32:33], 1, v[46:47]
	s_delay_alu instid0(VALU_DEP_2) | instskip(NEXT) | instid1(VALU_DEP_2)
	v_lshrrev_b32_e32 v90, 16, v39
	v_add_co_u32 v32, vcc_lo, v36, v32
	s_delay_alu instid0(VALU_DEP_3) | instskip(NEXT) | instid1(VALU_DEP_3)
	v_add_co_ci_u32_e32 v33, vcc_lo, v37, v33, vcc_lo
	v_min3_f16 v38, v38, v39, v90
	global_store_b16 v[32:33], v38, off
.LBB218_104:
	s_or_b32 exec_lo, exec_lo, s4
	v_add_nc_u32_e32 v38, 24, v49
	s_delay_alu instid0(VALU_DEP_1) | instskip(SKIP_2) | instid1(VALU_DEP_3)
	v_mad_i64_i32 v[32:33], null, v38, s6, 0
	v_mad_i64_i32 v[36:37], null, v38, s5, 0
	v_cmp_gt_i32_e64 s4, s9, v38
	v_lshlrev_b64 v[32:33], 1, v[32:33]
	s_delay_alu instid0(VALU_DEP_2) | instskip(NEXT) | instid1(VALU_DEP_3)
	s_and_b32 s11, s0, s4
	v_lshlrev_b64 v[38:39], 1, v[36:37]
	s_delay_alu instid0(VALU_DEP_2) | instskip(NEXT) | instid1(VALU_DEP_3)
	v_add_co_u32 v36, vcc_lo, s12, v32
	v_add_co_ci_u32_e32 v37, vcc_lo, s13, v33, vcc_lo
	s_delay_alu instid0(VALU_DEP_3) | instskip(NEXT) | instid1(VALU_DEP_4)
	v_add_co_u32 v32, vcc_lo, s7, v38
	v_add_co_ci_u32_e32 v33, vcc_lo, s10, v39, vcc_lo
	s_and_saveexec_b32 s8, s11
	s_cbranch_execnz .LBB218_108
; %bb.105:
	s_or_b32 exec_lo, exec_lo, s8
	s_and_b32 s11, s1, s4
	s_delay_alu instid0(SALU_CYCLE_1)
	s_and_saveexec_b32 s8, s11
	s_cbranch_execnz .LBB218_112
.LBB218_106:
	s_or_b32 exec_lo, exec_lo, s8
	s_and_b32 s11, s2, s4
	s_delay_alu instid0(SALU_CYCLE_1)
	s_and_saveexec_b32 s8, s11
	s_cbranch_execnz .LBB218_116
.LBB218_107:
	s_or_b32 exec_lo, exec_lo, s8
	s_and_b32 s8, s3, s4
	s_delay_alu instid0(SALU_CYCLE_1)
	s_and_saveexec_b32 s4, s8
	s_cbranch_execnz .LBB218_120
	s_branch .LBB218_124
.LBB218_108:
	v_cmp_ne_u32_e32 vcc_lo, 1, v48
	s_cbranch_vccnz .LBB218_110
; %bb.109:
	v_lshlrev_b64 v[38:39], 1, v[40:41]
	s_delay_alu instid0(VALU_DEP_1) | instskip(NEXT) | instid1(VALU_DEP_2)
	v_add_co_u32 v38, vcc_lo, v36, v38
	v_add_co_ci_u32_e32 v39, vcc_lo, v37, v39, vcc_lo
	flat_load_u16 v38, v[38:39]
	s_waitcnt vmcnt(0) lgkmcnt(0)
	v_mul_f16_e32 v38, s15, v38
	s_branch .LBB218_111
.LBB218_110:
	v_mov_b32_e32 v38, 0
.LBB218_111:
	v_pk_add_f16 v39, v8, v34
	v_pk_max_f16 v90, v107, v107
	v_pk_add_f16 v91, v9, v35
	s_delay_alu instid0(VALU_DEP_2) | instskip(NEXT) | instid1(VALU_DEP_1)
	v_pk_min_f16 v39, v90, v39
	v_pk_min_f16 v39, v39, v91
	v_lshlrev_b64 v[90:91], 1, v[40:41]
	s_delay_alu instid0(VALU_DEP_2) | instskip(NEXT) | instid1(VALU_DEP_1)
	v_lshrrev_b32_e32 v96, 16, v39
	v_min3_f16 v96, v38, v39, v96
	s_delay_alu instid0(VALU_DEP_3) | instskip(NEXT) | instid1(VALU_DEP_4)
	v_add_co_u32 v38, vcc_lo, v32, v90
	v_add_co_ci_u32_e32 v39, vcc_lo, v33, v91, vcc_lo
	global_store_b16 v[38:39], v96, off
	s_or_b32 exec_lo, exec_lo, s8
	s_and_b32 s11, s1, s4
	s_delay_alu instid0(SALU_CYCLE_1)
	s_and_saveexec_b32 s8, s11
	s_cbranch_execz .LBB218_106
.LBB218_112:
	v_cmp_ne_u32_e32 vcc_lo, 1, v48
	s_cbranch_vccnz .LBB218_114
; %bb.113:
	v_lshlrev_b64 v[38:39], 1, v[42:43]
	s_delay_alu instid0(VALU_DEP_1) | instskip(NEXT) | instid1(VALU_DEP_2)
	v_add_co_u32 v38, vcc_lo, v36, v38
	v_add_co_ci_u32_e32 v39, vcc_lo, v37, v39, vcc_lo
	flat_load_u16 v38, v[38:39]
	s_waitcnt vmcnt(0) lgkmcnt(0)
	v_mul_f16_e32 v38, s15, v38
	s_branch .LBB218_115
.LBB218_114:
	v_mov_b32_e32 v38, 0
.LBB218_115:
	v_pk_add_f16 v39, v10, v34
	v_pk_max_f16 v90, v105, v105
	v_pk_add_f16 v91, v11, v35
	s_delay_alu instid0(VALU_DEP_2) | instskip(NEXT) | instid1(VALU_DEP_1)
	v_pk_min_f16 v39, v90, v39
	v_pk_min_f16 v39, v39, v91
	v_lshlrev_b64 v[90:91], 1, v[42:43]
	s_delay_alu instid0(VALU_DEP_2) | instskip(NEXT) | instid1(VALU_DEP_1)
	v_lshrrev_b32_e32 v96, 16, v39
	v_min3_f16 v96, v38, v39, v96
	s_delay_alu instid0(VALU_DEP_3) | instskip(NEXT) | instid1(VALU_DEP_4)
	v_add_co_u32 v38, vcc_lo, v32, v90
	v_add_co_ci_u32_e32 v39, vcc_lo, v33, v91, vcc_lo
	global_store_b16 v[38:39], v96, off
	s_or_b32 exec_lo, exec_lo, s8
	s_and_b32 s11, s2, s4
	s_delay_alu instid0(SALU_CYCLE_1)
	s_and_saveexec_b32 s8, s11
	s_cbranch_execz .LBB218_107
.LBB218_116:
	v_cmp_ne_u32_e32 vcc_lo, 1, v48
	s_cbranch_vccnz .LBB218_118
; %bb.117:
	v_lshlrev_b64 v[38:39], 1, v[44:45]
	s_delay_alu instid0(VALU_DEP_1) | instskip(NEXT) | instid1(VALU_DEP_2)
	v_add_co_u32 v38, vcc_lo, v36, v38
	v_add_co_ci_u32_e32 v39, vcc_lo, v37, v39, vcc_lo
	flat_load_u16 v38, v[38:39]
	s_waitcnt vmcnt(0) lgkmcnt(0)
	v_mul_f16_e32 v38, s15, v38
	s_branch .LBB218_119
.LBB218_118:
	v_mov_b32_e32 v38, 0
.LBB218_119:
	v_pk_add_f16 v39, v0, v34
	v_pk_max_f16 v90, v104, v104
	v_pk_add_f16 v91, v1, v35
	s_delay_alu instid0(VALU_DEP_2) | instskip(NEXT) | instid1(VALU_DEP_1)
	v_pk_min_f16 v39, v90, v39
	v_pk_min_f16 v39, v39, v91
	v_lshlrev_b64 v[90:91], 1, v[44:45]
	s_delay_alu instid0(VALU_DEP_2) | instskip(NEXT) | instid1(VALU_DEP_1)
	v_lshrrev_b32_e32 v96, 16, v39
	v_min3_f16 v96, v38, v39, v96
	s_delay_alu instid0(VALU_DEP_3) | instskip(NEXT) | instid1(VALU_DEP_4)
	v_add_co_u32 v38, vcc_lo, v32, v90
	v_add_co_ci_u32_e32 v39, vcc_lo, v33, v91, vcc_lo
	global_store_b16 v[38:39], v96, off
	s_or_b32 exec_lo, exec_lo, s8
	s_and_b32 s8, s3, s4
	s_delay_alu instid0(SALU_CYCLE_1)
	s_and_saveexec_b32 s4, s8
	s_cbranch_execz .LBB218_124
.LBB218_120:
	v_cmp_ne_u32_e32 vcc_lo, 1, v48
	s_cbranch_vccnz .LBB218_122
; %bb.121:
	v_lshlrev_b64 v[38:39], 1, v[46:47]
	s_delay_alu instid0(VALU_DEP_1) | instskip(NEXT) | instid1(VALU_DEP_2)
	v_add_co_u32 v36, vcc_lo, v36, v38
	v_add_co_ci_u32_e32 v37, vcc_lo, v37, v39, vcc_lo
	flat_load_u16 v36, v[36:37]
	s_waitcnt vmcnt(0) lgkmcnt(0)
	v_mul_f16_e32 v36, s15, v36
	s_branch .LBB218_123
.LBB218_122:
	v_mov_b32_e32 v36, 0
.LBB218_123:
	v_pk_add_f16 v34, v2, v34
	v_pk_max_f16 v37, v103, v103
	v_pk_add_f16 v35, v3, v35
	s_delay_alu instid0(VALU_DEP_2) | instskip(NEXT) | instid1(VALU_DEP_1)
	v_pk_min_f16 v34, v37, v34
	v_pk_min_f16 v37, v34, v35
	v_lshlrev_b64 v[34:35], 1, v[46:47]
	s_delay_alu instid0(VALU_DEP_2) | instskip(NEXT) | instid1(VALU_DEP_2)
	v_lshrrev_b32_e32 v38, 16, v37
	v_add_co_u32 v32, vcc_lo, v32, v34
	s_delay_alu instid0(VALU_DEP_3) | instskip(NEXT) | instid1(VALU_DEP_3)
	v_add_co_ci_u32_e32 v33, vcc_lo, v33, v35, vcc_lo
	v_min3_f16 v36, v36, v37, v38
	global_store_b16 v[32:33], v36, off
.LBB218_124:
	s_or_b32 exec_lo, exec_lo, s4
	v_add_nc_u32_e32 v36, 32, v49
	s_delay_alu instid0(VALU_DEP_1) | instskip(SKIP_2) | instid1(VALU_DEP_3)
	v_mad_i64_i32 v[32:33], null, v36, s6, 0
	v_mad_i64_i32 v[34:35], null, v36, s5, 0
	v_cmp_gt_i32_e64 s4, s9, v36
	v_lshlrev_b64 v[32:33], 1, v[32:33]
	s_delay_alu instid0(VALU_DEP_2) | instskip(NEXT) | instid1(VALU_DEP_3)
	s_and_b32 s11, s0, s4
	v_lshlrev_b64 v[36:37], 1, v[34:35]
	s_delay_alu instid0(VALU_DEP_2) | instskip(NEXT) | instid1(VALU_DEP_3)
	v_add_co_u32 v34, vcc_lo, s12, v32
	v_add_co_ci_u32_e32 v35, vcc_lo, s13, v33, vcc_lo
	s_delay_alu instid0(VALU_DEP_3) | instskip(NEXT) | instid1(VALU_DEP_4)
	v_add_co_u32 v32, vcc_lo, s7, v36
	v_add_co_ci_u32_e32 v33, vcc_lo, s10, v37, vcc_lo
	s_and_saveexec_b32 s8, s11
	s_cbranch_execnz .LBB218_128
; %bb.125:
	s_or_b32 exec_lo, exec_lo, s8
	s_and_b32 s11, s1, s4
	s_delay_alu instid0(SALU_CYCLE_1)
	s_and_saveexec_b32 s8, s11
	s_cbranch_execnz .LBB218_132
.LBB218_126:
	s_or_b32 exec_lo, exec_lo, s8
	s_and_b32 s11, s2, s4
	s_delay_alu instid0(SALU_CYCLE_1)
	s_and_saveexec_b32 s8, s11
	s_cbranch_execnz .LBB218_136
.LBB218_127:
	s_or_b32 exec_lo, exec_lo, s8
	s_and_b32 s8, s3, s4
	s_delay_alu instid0(SALU_CYCLE_1)
	s_and_saveexec_b32 s4, s8
	s_cbranch_execnz .LBB218_140
	s_branch .LBB218_144
.LBB218_128:
	v_cmp_ne_u32_e32 vcc_lo, 1, v48
	s_cbranch_vccnz .LBB218_130
; %bb.129:
	v_lshlrev_b64 v[36:37], 1, v[40:41]
	s_delay_alu instid0(VALU_DEP_1) | instskip(NEXT) | instid1(VALU_DEP_2)
	v_add_co_u32 v36, vcc_lo, v34, v36
	v_add_co_ci_u32_e32 v37, vcc_lo, v35, v37, vcc_lo
	flat_load_u16 v36, v[36:37]
	s_waitcnt vmcnt(0) lgkmcnt(0)
	v_mul_f16_e32 v36, s15, v36
	s_branch .LBB218_131
.LBB218_130:
	v_mov_b32_e32 v36, 0
.LBB218_131:
	v_pk_add_f16 v37, v8, v28
	v_pk_max_f16 v38, v102, v102
	v_pk_add_f16 v39, v9, v29
	s_delay_alu instid0(VALU_DEP_2) | instskip(NEXT) | instid1(VALU_DEP_1)
	v_pk_min_f16 v37, v38, v37
	v_pk_min_f16 v39, v37, v39
	v_lshlrev_b64 v[37:38], 1, v[40:41]
	s_delay_alu instid0(VALU_DEP_2) | instskip(NEXT) | instid1(VALU_DEP_1)
	v_lshrrev_b32_e32 v90, 16, v39
	v_min3_f16 v39, v36, v39, v90
	s_delay_alu instid0(VALU_DEP_3) | instskip(NEXT) | instid1(VALU_DEP_4)
	v_add_co_u32 v36, vcc_lo, v32, v37
	v_add_co_ci_u32_e32 v37, vcc_lo, v33, v38, vcc_lo
	global_store_b16 v[36:37], v39, off
	s_or_b32 exec_lo, exec_lo, s8
	s_and_b32 s11, s1, s4
	s_delay_alu instid0(SALU_CYCLE_1)
	s_and_saveexec_b32 s8, s11
	s_cbranch_execz .LBB218_126
.LBB218_132:
	v_cmp_ne_u32_e32 vcc_lo, 1, v48
	s_cbranch_vccnz .LBB218_134
; %bb.133:
	v_lshlrev_b64 v[36:37], 1, v[42:43]
	s_delay_alu instid0(VALU_DEP_1) | instskip(NEXT) | instid1(VALU_DEP_2)
	v_add_co_u32 v36, vcc_lo, v34, v36
	v_add_co_ci_u32_e32 v37, vcc_lo, v35, v37, vcc_lo
	flat_load_u16 v36, v[36:37]
	s_waitcnt vmcnt(0) lgkmcnt(0)
	v_mul_f16_e32 v36, s15, v36
	s_branch .LBB218_135
.LBB218_134:
	v_mov_b32_e32 v36, 0
.LBB218_135:
	v_pk_add_f16 v37, v10, v28
	v_pk_max_f16 v38, v101, v101
	v_pk_add_f16 v39, v11, v29
	s_delay_alu instid0(VALU_DEP_2) | instskip(NEXT) | instid1(VALU_DEP_1)
	v_pk_min_f16 v37, v38, v37
	v_pk_min_f16 v39, v37, v39
	v_lshlrev_b64 v[37:38], 1, v[42:43]
	s_delay_alu instid0(VALU_DEP_2) | instskip(NEXT) | instid1(VALU_DEP_1)
	v_lshrrev_b32_e32 v90, 16, v39
	v_min3_f16 v39, v36, v39, v90
	s_delay_alu instid0(VALU_DEP_3) | instskip(NEXT) | instid1(VALU_DEP_4)
	v_add_co_u32 v36, vcc_lo, v32, v37
	v_add_co_ci_u32_e32 v37, vcc_lo, v33, v38, vcc_lo
	global_store_b16 v[36:37], v39, off
	s_or_b32 exec_lo, exec_lo, s8
	s_and_b32 s11, s2, s4
	s_delay_alu instid0(SALU_CYCLE_1)
	s_and_saveexec_b32 s8, s11
	s_cbranch_execz .LBB218_127
.LBB218_136:
	v_cmp_ne_u32_e32 vcc_lo, 1, v48
	s_cbranch_vccnz .LBB218_138
; %bb.137:
	v_lshlrev_b64 v[36:37], 1, v[44:45]
	s_delay_alu instid0(VALU_DEP_1) | instskip(NEXT) | instid1(VALU_DEP_2)
	v_add_co_u32 v36, vcc_lo, v34, v36
	v_add_co_ci_u32_e32 v37, vcc_lo, v35, v37, vcc_lo
	flat_load_u16 v36, v[36:37]
	s_waitcnt vmcnt(0) lgkmcnt(0)
	v_mul_f16_e32 v36, s15, v36
	s_branch .LBB218_139
.LBB218_138:
	v_mov_b32_e32 v36, 0
.LBB218_139:
	v_pk_add_f16 v37, v0, v28
	v_pk_max_f16 v38, v98, v98
	v_pk_add_f16 v39, v1, v29
	s_delay_alu instid0(VALU_DEP_2) | instskip(NEXT) | instid1(VALU_DEP_1)
	v_pk_min_f16 v37, v38, v37
	v_pk_min_f16 v39, v37, v39
	v_lshlrev_b64 v[37:38], 1, v[44:45]
	s_delay_alu instid0(VALU_DEP_2) | instskip(NEXT) | instid1(VALU_DEP_1)
	v_lshrrev_b32_e32 v90, 16, v39
	v_min3_f16 v39, v36, v39, v90
	s_delay_alu instid0(VALU_DEP_3) | instskip(NEXT) | instid1(VALU_DEP_4)
	v_add_co_u32 v36, vcc_lo, v32, v37
	v_add_co_ci_u32_e32 v37, vcc_lo, v33, v38, vcc_lo
	global_store_b16 v[36:37], v39, off
	s_or_b32 exec_lo, exec_lo, s8
	s_and_b32 s8, s3, s4
	s_delay_alu instid0(SALU_CYCLE_1)
	s_and_saveexec_b32 s4, s8
	s_cbranch_execz .LBB218_144
.LBB218_140:
	v_cmp_ne_u32_e32 vcc_lo, 1, v48
	s_cbranch_vccnz .LBB218_142
; %bb.141:
	v_lshlrev_b64 v[36:37], 1, v[46:47]
	s_delay_alu instid0(VALU_DEP_1) | instskip(NEXT) | instid1(VALU_DEP_2)
	v_add_co_u32 v34, vcc_lo, v34, v36
	v_add_co_ci_u32_e32 v35, vcc_lo, v35, v37, vcc_lo
	flat_load_u16 v34, v[34:35]
	s_waitcnt vmcnt(0) lgkmcnt(0)
	v_mul_f16_e32 v34, s15, v34
	s_branch .LBB218_143
.LBB218_142:
	v_mov_b32_e32 v34, 0
.LBB218_143:
	v_pk_add_f16 v28, v2, v28
	v_pk_max_f16 v35, v97, v97
	v_pk_add_f16 v29, v3, v29
	s_delay_alu instid0(VALU_DEP_2) | instskip(NEXT) | instid1(VALU_DEP_1)
	v_pk_min_f16 v28, v35, v28
	v_pk_min_f16 v35, v28, v29
	v_lshlrev_b64 v[28:29], 1, v[46:47]
	s_delay_alu instid0(VALU_DEP_2) | instskip(NEXT) | instid1(VALU_DEP_2)
	v_lshrrev_b32_e32 v36, 16, v35
	v_add_co_u32 v28, vcc_lo, v32, v28
	s_delay_alu instid0(VALU_DEP_3) | instskip(NEXT) | instid1(VALU_DEP_3)
	v_add_co_ci_u32_e32 v29, vcc_lo, v33, v29, vcc_lo
	v_min3_f16 v34, v34, v35, v36
	global_store_b16 v[28:29], v34, off
.LBB218_144:
	s_or_b32 exec_lo, exec_lo, s4
	v_add_nc_u32_e32 v34, 40, v49
	s_delay_alu instid0(VALU_DEP_1) | instskip(SKIP_2) | instid1(VALU_DEP_3)
	v_mad_i64_i32 v[28:29], null, v34, s6, 0
	v_mad_i64_i32 v[32:33], null, v34, s5, 0
	v_cmp_gt_i32_e64 s4, s9, v34
	v_lshlrev_b64 v[28:29], 1, v[28:29]
	s_delay_alu instid0(VALU_DEP_2) | instskip(NEXT) | instid1(VALU_DEP_3)
	s_and_b32 s11, s0, s4
	v_lshlrev_b64 v[34:35], 1, v[32:33]
	s_delay_alu instid0(VALU_DEP_2) | instskip(NEXT) | instid1(VALU_DEP_3)
	v_add_co_u32 v32, vcc_lo, s12, v28
	v_add_co_ci_u32_e32 v33, vcc_lo, s13, v29, vcc_lo
	s_delay_alu instid0(VALU_DEP_3) | instskip(NEXT) | instid1(VALU_DEP_4)
	v_add_co_u32 v28, vcc_lo, s7, v34
	v_add_co_ci_u32_e32 v29, vcc_lo, s10, v35, vcc_lo
	s_and_saveexec_b32 s8, s11
	s_cbranch_execnz .LBB218_148
; %bb.145:
	s_or_b32 exec_lo, exec_lo, s8
	s_and_b32 s11, s1, s4
	s_delay_alu instid0(SALU_CYCLE_1)
	s_and_saveexec_b32 s8, s11
	s_cbranch_execnz .LBB218_152
.LBB218_146:
	s_or_b32 exec_lo, exec_lo, s8
	s_and_b32 s11, s2, s4
	s_delay_alu instid0(SALU_CYCLE_1)
	s_and_saveexec_b32 s8, s11
	s_cbranch_execnz .LBB218_156
.LBB218_147:
	s_or_b32 exec_lo, exec_lo, s8
	s_and_b32 s8, s3, s4
	s_delay_alu instid0(SALU_CYCLE_1)
	s_and_saveexec_b32 s4, s8
	s_cbranch_execnz .LBB218_160
	s_branch .LBB218_164
.LBB218_148:
	v_cmp_ne_u32_e32 vcc_lo, 1, v48
	s_cbranch_vccnz .LBB218_150
; %bb.149:
	v_lshlrev_b64 v[34:35], 1, v[40:41]
	s_delay_alu instid0(VALU_DEP_1) | instskip(NEXT) | instid1(VALU_DEP_2)
	v_add_co_u32 v34, vcc_lo, v32, v34
	v_add_co_ci_u32_e32 v35, vcc_lo, v33, v35, vcc_lo
	flat_load_u16 v34, v[34:35]
	s_waitcnt vmcnt(0) lgkmcnt(0)
	v_mul_f16_e32 v34, s15, v34
	s_branch .LBB218_151
.LBB218_150:
	v_mov_b32_e32 v34, 0
.LBB218_151:
	v_pk_add_f16 v35, v8, v30
	v_pk_max_f16 v36, v95, v95
	v_pk_add_f16 v37, v9, v31
	s_delay_alu instid0(VALU_DEP_2) | instskip(NEXT) | instid1(VALU_DEP_1)
	v_pk_min_f16 v35, v36, v35
	v_pk_min_f16 v37, v35, v37
	v_lshlrev_b64 v[35:36], 1, v[40:41]
	s_delay_alu instid0(VALU_DEP_2) | instskip(NEXT) | instid1(VALU_DEP_1)
	v_lshrrev_b32_e32 v38, 16, v37
	v_min3_f16 v37, v34, v37, v38
	s_delay_alu instid0(VALU_DEP_3) | instskip(NEXT) | instid1(VALU_DEP_4)
	v_add_co_u32 v34, vcc_lo, v28, v35
	v_add_co_ci_u32_e32 v35, vcc_lo, v29, v36, vcc_lo
	global_store_b16 v[34:35], v37, off
	s_or_b32 exec_lo, exec_lo, s8
	s_and_b32 s11, s1, s4
	s_delay_alu instid0(SALU_CYCLE_1)
	s_and_saveexec_b32 s8, s11
	s_cbranch_execz .LBB218_146
.LBB218_152:
	v_cmp_ne_u32_e32 vcc_lo, 1, v48
	s_cbranch_vccnz .LBB218_154
; %bb.153:
	v_lshlrev_b64 v[34:35], 1, v[42:43]
	s_delay_alu instid0(VALU_DEP_1) | instskip(NEXT) | instid1(VALU_DEP_2)
	v_add_co_u32 v34, vcc_lo, v32, v34
	v_add_co_ci_u32_e32 v35, vcc_lo, v33, v35, vcc_lo
	flat_load_u16 v34, v[34:35]
	s_waitcnt vmcnt(0) lgkmcnt(0)
	v_mul_f16_e32 v34, s15, v34
	s_branch .LBB218_155
.LBB218_154:
	v_mov_b32_e32 v34, 0
.LBB218_155:
	v_pk_add_f16 v35, v10, v30
	v_pk_max_f16 v36, v94, v94
	v_pk_add_f16 v37, v11, v31
	s_delay_alu instid0(VALU_DEP_2) | instskip(NEXT) | instid1(VALU_DEP_1)
	v_pk_min_f16 v35, v36, v35
	v_pk_min_f16 v37, v35, v37
	v_lshlrev_b64 v[35:36], 1, v[42:43]
	s_delay_alu instid0(VALU_DEP_2) | instskip(NEXT) | instid1(VALU_DEP_1)
	v_lshrrev_b32_e32 v38, 16, v37
	v_min3_f16 v37, v34, v37, v38
	s_delay_alu instid0(VALU_DEP_3) | instskip(NEXT) | instid1(VALU_DEP_4)
	v_add_co_u32 v34, vcc_lo, v28, v35
	v_add_co_ci_u32_e32 v35, vcc_lo, v29, v36, vcc_lo
	global_store_b16 v[34:35], v37, off
	s_or_b32 exec_lo, exec_lo, s8
	s_and_b32 s11, s2, s4
	s_delay_alu instid0(SALU_CYCLE_1)
	s_and_saveexec_b32 s8, s11
	s_cbranch_execz .LBB218_147
.LBB218_156:
	v_cmp_ne_u32_e32 vcc_lo, 1, v48
	s_cbranch_vccnz .LBB218_158
; %bb.157:
	v_lshlrev_b64 v[34:35], 1, v[44:45]
	s_delay_alu instid0(VALU_DEP_1) | instskip(NEXT) | instid1(VALU_DEP_2)
	v_add_co_u32 v34, vcc_lo, v32, v34
	v_add_co_ci_u32_e32 v35, vcc_lo, v33, v35, vcc_lo
	flat_load_u16 v34, v[34:35]
	s_waitcnt vmcnt(0) lgkmcnt(0)
	v_mul_f16_e32 v34, s15, v34
	s_branch .LBB218_159
.LBB218_158:
	v_mov_b32_e32 v34, 0
.LBB218_159:
	v_pk_add_f16 v35, v0, v30
	v_pk_max_f16 v36, v93, v93
	v_pk_add_f16 v37, v1, v31
	s_delay_alu instid0(VALU_DEP_2) | instskip(NEXT) | instid1(VALU_DEP_1)
	v_pk_min_f16 v35, v36, v35
	v_pk_min_f16 v37, v35, v37
	v_lshlrev_b64 v[35:36], 1, v[44:45]
	s_delay_alu instid0(VALU_DEP_2) | instskip(NEXT) | instid1(VALU_DEP_1)
	v_lshrrev_b32_e32 v38, 16, v37
	v_min3_f16 v37, v34, v37, v38
	s_delay_alu instid0(VALU_DEP_3) | instskip(NEXT) | instid1(VALU_DEP_4)
	v_add_co_u32 v34, vcc_lo, v28, v35
	v_add_co_ci_u32_e32 v35, vcc_lo, v29, v36, vcc_lo
	global_store_b16 v[34:35], v37, off
	s_or_b32 exec_lo, exec_lo, s8
	s_and_b32 s8, s3, s4
	s_delay_alu instid0(SALU_CYCLE_1)
	s_and_saveexec_b32 s4, s8
	s_cbranch_execz .LBB218_164
.LBB218_160:
	v_cmp_ne_u32_e32 vcc_lo, 1, v48
	s_cbranch_vccnz .LBB218_162
; %bb.161:
	v_lshlrev_b64 v[34:35], 1, v[46:47]
	s_delay_alu instid0(VALU_DEP_1) | instskip(NEXT) | instid1(VALU_DEP_2)
	v_add_co_u32 v32, vcc_lo, v32, v34
	v_add_co_ci_u32_e32 v33, vcc_lo, v33, v35, vcc_lo
	flat_load_u16 v32, v[32:33]
	s_waitcnt vmcnt(0) lgkmcnt(0)
	v_mul_f16_e32 v32, s15, v32
	s_branch .LBB218_163
.LBB218_162:
	v_mov_b32_e32 v32, 0
.LBB218_163:
	v_pk_add_f16 v30, v2, v30
	v_pk_max_f16 v33, v92, v92
	v_pk_add_f16 v31, v3, v31
	s_delay_alu instid0(VALU_DEP_2) | instskip(NEXT) | instid1(VALU_DEP_1)
	v_pk_min_f16 v30, v33, v30
	v_pk_min_f16 v33, v30, v31
	v_lshlrev_b64 v[30:31], 1, v[46:47]
	s_delay_alu instid0(VALU_DEP_2) | instskip(NEXT) | instid1(VALU_DEP_2)
	v_lshrrev_b32_e32 v34, 16, v33
	v_add_co_u32 v28, vcc_lo, v28, v30
	s_delay_alu instid0(VALU_DEP_3) | instskip(NEXT) | instid1(VALU_DEP_3)
	v_add_co_ci_u32_e32 v29, vcc_lo, v29, v31, vcc_lo
	v_min3_f16 v32, v32, v33, v34
	global_store_b16 v[28:29], v32, off
.LBB218_164:
	s_or_b32 exec_lo, exec_lo, s4
	v_add_nc_u32_e32 v32, 48, v49
	s_delay_alu instid0(VALU_DEP_1) | instskip(SKIP_2) | instid1(VALU_DEP_3)
	v_mad_i64_i32 v[28:29], null, v32, s6, 0
	v_mad_i64_i32 v[30:31], null, v32, s5, 0
	v_cmp_gt_i32_e64 s4, s9, v32
	v_lshlrev_b64 v[28:29], 1, v[28:29]
	s_delay_alu instid0(VALU_DEP_2) | instskip(NEXT) | instid1(VALU_DEP_3)
	s_and_b32 s11, s0, s4
	v_lshlrev_b64 v[32:33], 1, v[30:31]
	s_delay_alu instid0(VALU_DEP_2) | instskip(NEXT) | instid1(VALU_DEP_3)
	v_add_co_u32 v30, vcc_lo, s12, v28
	v_add_co_ci_u32_e32 v31, vcc_lo, s13, v29, vcc_lo
	s_delay_alu instid0(VALU_DEP_3) | instskip(NEXT) | instid1(VALU_DEP_4)
	v_add_co_u32 v28, vcc_lo, s7, v32
	v_add_co_ci_u32_e32 v29, vcc_lo, s10, v33, vcc_lo
	s_and_saveexec_b32 s8, s11
	s_cbranch_execnz .LBB218_168
; %bb.165:
	s_or_b32 exec_lo, exec_lo, s8
	s_and_b32 s11, s1, s4
	s_delay_alu instid0(SALU_CYCLE_1)
	s_and_saveexec_b32 s8, s11
	s_cbranch_execnz .LBB218_172
.LBB218_166:
	s_or_b32 exec_lo, exec_lo, s8
	s_and_b32 s11, s2, s4
	s_delay_alu instid0(SALU_CYCLE_1)
	s_and_saveexec_b32 s8, s11
	s_cbranch_execnz .LBB218_176
.LBB218_167:
	s_or_b32 exec_lo, exec_lo, s8
	s_and_b32 s8, s3, s4
	s_delay_alu instid0(SALU_CYCLE_1)
	s_and_saveexec_b32 s4, s8
	s_cbranch_execnz .LBB218_180
	s_branch .LBB218_184
.LBB218_168:
	v_cmp_ne_u32_e32 vcc_lo, 1, v48
	s_cbranch_vccnz .LBB218_170
; %bb.169:
	v_lshlrev_b64 v[32:33], 1, v[40:41]
	s_delay_alu instid0(VALU_DEP_1) | instskip(NEXT) | instid1(VALU_DEP_2)
	v_add_co_u32 v32, vcc_lo, v30, v32
	v_add_co_ci_u32_e32 v33, vcc_lo, v31, v33, vcc_lo
	flat_load_u16 v32, v[32:33]
	s_waitcnt vmcnt(0) lgkmcnt(0)
	v_mul_f16_e32 v32, s15, v32
	s_branch .LBB218_171
.LBB218_170:
	v_mov_b32_e32 v32, 0
.LBB218_171:
	v_pk_add_f16 v33, v8, v24
	v_pk_max_f16 v34, v89, v89
	v_pk_add_f16 v35, v9, v25
	s_delay_alu instid0(VALU_DEP_2) | instskip(NEXT) | instid1(VALU_DEP_1)
	v_pk_min_f16 v33, v34, v33
	v_pk_min_f16 v35, v33, v35
	v_lshlrev_b64 v[33:34], 1, v[40:41]
	s_delay_alu instid0(VALU_DEP_2) | instskip(NEXT) | instid1(VALU_DEP_1)
	v_lshrrev_b32_e32 v36, 16, v35
	v_min3_f16 v35, v32, v35, v36
	s_delay_alu instid0(VALU_DEP_3) | instskip(NEXT) | instid1(VALU_DEP_4)
	v_add_co_u32 v32, vcc_lo, v28, v33
	v_add_co_ci_u32_e32 v33, vcc_lo, v29, v34, vcc_lo
	global_store_b16 v[32:33], v35, off
	s_or_b32 exec_lo, exec_lo, s8
	s_and_b32 s11, s1, s4
	s_delay_alu instid0(SALU_CYCLE_1)
	s_and_saveexec_b32 s8, s11
	s_cbranch_execz .LBB218_166
.LBB218_172:
	v_cmp_ne_u32_e32 vcc_lo, 1, v48
	s_cbranch_vccnz .LBB218_174
; %bb.173:
	v_lshlrev_b64 v[32:33], 1, v[42:43]
	s_delay_alu instid0(VALU_DEP_1) | instskip(NEXT) | instid1(VALU_DEP_2)
	v_add_co_u32 v32, vcc_lo, v30, v32
	v_add_co_ci_u32_e32 v33, vcc_lo, v31, v33, vcc_lo
	flat_load_u16 v32, v[32:33]
	s_waitcnt vmcnt(0) lgkmcnt(0)
	v_mul_f16_e32 v32, s15, v32
	s_branch .LBB218_175
.LBB218_174:
	v_mov_b32_e32 v32, 0
.LBB218_175:
	v_pk_add_f16 v33, v10, v24
	v_pk_max_f16 v34, v88, v88
	v_pk_add_f16 v35, v11, v25
	s_delay_alu instid0(VALU_DEP_2) | instskip(NEXT) | instid1(VALU_DEP_1)
	v_pk_min_f16 v33, v34, v33
	v_pk_min_f16 v35, v33, v35
	v_lshlrev_b64 v[33:34], 1, v[42:43]
	s_delay_alu instid0(VALU_DEP_2) | instskip(NEXT) | instid1(VALU_DEP_1)
	v_lshrrev_b32_e32 v36, 16, v35
	v_min3_f16 v35, v32, v35, v36
	s_delay_alu instid0(VALU_DEP_3) | instskip(NEXT) | instid1(VALU_DEP_4)
	v_add_co_u32 v32, vcc_lo, v28, v33
	v_add_co_ci_u32_e32 v33, vcc_lo, v29, v34, vcc_lo
	global_store_b16 v[32:33], v35, off
	s_or_b32 exec_lo, exec_lo, s8
	s_and_b32 s11, s2, s4
	s_delay_alu instid0(SALU_CYCLE_1)
	s_and_saveexec_b32 s8, s11
	s_cbranch_execz .LBB218_167
.LBB218_176:
	v_cmp_ne_u32_e32 vcc_lo, 1, v48
	s_cbranch_vccnz .LBB218_178
; %bb.177:
	v_lshlrev_b64 v[32:33], 1, v[44:45]
	s_delay_alu instid0(VALU_DEP_1) | instskip(NEXT) | instid1(VALU_DEP_2)
	v_add_co_u32 v32, vcc_lo, v30, v32
	v_add_co_ci_u32_e32 v33, vcc_lo, v31, v33, vcc_lo
	flat_load_u16 v32, v[32:33]
	s_waitcnt vmcnt(0) lgkmcnt(0)
	v_mul_f16_e32 v32, s15, v32
	s_branch .LBB218_179
.LBB218_178:
	v_mov_b32_e32 v32, 0
.LBB218_179:
	v_pk_add_f16 v33, v0, v24
	v_pk_max_f16 v34, v87, v87
	v_pk_add_f16 v35, v1, v25
	s_delay_alu instid0(VALU_DEP_2) | instskip(NEXT) | instid1(VALU_DEP_1)
	v_pk_min_f16 v33, v34, v33
	v_pk_min_f16 v35, v33, v35
	v_lshlrev_b64 v[33:34], 1, v[44:45]
	s_delay_alu instid0(VALU_DEP_2) | instskip(NEXT) | instid1(VALU_DEP_1)
	v_lshrrev_b32_e32 v36, 16, v35
	v_min3_f16 v35, v32, v35, v36
	s_delay_alu instid0(VALU_DEP_3) | instskip(NEXT) | instid1(VALU_DEP_4)
	v_add_co_u32 v32, vcc_lo, v28, v33
	v_add_co_ci_u32_e32 v33, vcc_lo, v29, v34, vcc_lo
	global_store_b16 v[32:33], v35, off
	s_or_b32 exec_lo, exec_lo, s8
	s_and_b32 s8, s3, s4
	s_delay_alu instid0(SALU_CYCLE_1)
	s_and_saveexec_b32 s4, s8
	s_cbranch_execz .LBB218_184
.LBB218_180:
	v_cmp_ne_u32_e32 vcc_lo, 1, v48
	s_cbranch_vccnz .LBB218_182
; %bb.181:
	v_lshlrev_b64 v[32:33], 1, v[46:47]
	s_delay_alu instid0(VALU_DEP_1) | instskip(NEXT) | instid1(VALU_DEP_2)
	v_add_co_u32 v30, vcc_lo, v30, v32
	v_add_co_ci_u32_e32 v31, vcc_lo, v31, v33, vcc_lo
	flat_load_u16 v30, v[30:31]
	s_waitcnt vmcnt(0) lgkmcnt(0)
	v_mul_f16_e32 v30, s15, v30
	s_branch .LBB218_183
.LBB218_182:
	v_mov_b32_e32 v30, 0
.LBB218_183:
	v_pk_add_f16 v24, v2, v24
	v_pk_max_f16 v31, v86, v86
	v_pk_add_f16 v25, v3, v25
	s_delay_alu instid0(VALU_DEP_2) | instskip(NEXT) | instid1(VALU_DEP_1)
	v_pk_min_f16 v24, v31, v24
	v_pk_min_f16 v31, v24, v25
	v_lshlrev_b64 v[24:25], 1, v[46:47]
	s_delay_alu instid0(VALU_DEP_2) | instskip(NEXT) | instid1(VALU_DEP_2)
	v_lshrrev_b32_e32 v32, 16, v31
	v_add_co_u32 v24, vcc_lo, v28, v24
	s_delay_alu instid0(VALU_DEP_3) | instskip(NEXT) | instid1(VALU_DEP_3)
	v_add_co_ci_u32_e32 v25, vcc_lo, v29, v25, vcc_lo
	v_min3_f16 v30, v30, v31, v32
	global_store_b16 v[24:25], v30, off
.LBB218_184:
	s_or_b32 exec_lo, exec_lo, s4
	v_add_nc_u32_e32 v30, 56, v49
	s_delay_alu instid0(VALU_DEP_1) | instskip(SKIP_2) | instid1(VALU_DEP_3)
	v_mad_i64_i32 v[24:25], null, v30, s6, 0
	v_mad_i64_i32 v[28:29], null, v30, s5, 0
	v_cmp_gt_i32_e64 s4, s9, v30
	v_lshlrev_b64 v[24:25], 1, v[24:25]
	s_delay_alu instid0(VALU_DEP_2) | instskip(NEXT) | instid1(VALU_DEP_3)
	s_and_b32 s11, s0, s4
	v_lshlrev_b64 v[30:31], 1, v[28:29]
	s_delay_alu instid0(VALU_DEP_2) | instskip(NEXT) | instid1(VALU_DEP_3)
	v_add_co_u32 v28, vcc_lo, s12, v24
	v_add_co_ci_u32_e32 v29, vcc_lo, s13, v25, vcc_lo
	s_delay_alu instid0(VALU_DEP_3) | instskip(NEXT) | instid1(VALU_DEP_4)
	v_add_co_u32 v24, vcc_lo, s7, v30
	v_add_co_ci_u32_e32 v25, vcc_lo, s10, v31, vcc_lo
	s_and_saveexec_b32 s8, s11
	s_cbranch_execnz .LBB218_188
; %bb.185:
	s_or_b32 exec_lo, exec_lo, s8
	s_and_b32 s11, s1, s4
	s_delay_alu instid0(SALU_CYCLE_1)
	s_and_saveexec_b32 s8, s11
	s_cbranch_execnz .LBB218_192
.LBB218_186:
	s_or_b32 exec_lo, exec_lo, s8
	s_and_b32 s11, s2, s4
	s_delay_alu instid0(SALU_CYCLE_1)
	s_and_saveexec_b32 s8, s11
	s_cbranch_execnz .LBB218_196
.LBB218_187:
	s_or_b32 exec_lo, exec_lo, s8
	s_and_b32 s8, s3, s4
	s_delay_alu instid0(SALU_CYCLE_1)
	s_and_saveexec_b32 s4, s8
	s_cbranch_execnz .LBB218_200
	s_branch .LBB218_204
.LBB218_188:
	v_cmp_ne_u32_e32 vcc_lo, 1, v48
	s_cbranch_vccnz .LBB218_190
; %bb.189:
	v_lshlrev_b64 v[30:31], 1, v[40:41]
	s_delay_alu instid0(VALU_DEP_1) | instskip(NEXT) | instid1(VALU_DEP_2)
	v_add_co_u32 v30, vcc_lo, v28, v30
	v_add_co_ci_u32_e32 v31, vcc_lo, v29, v31, vcc_lo
	flat_load_u16 v30, v[30:31]
	s_waitcnt vmcnt(0) lgkmcnt(0)
	v_mul_f16_e32 v30, s15, v30
	s_branch .LBB218_191
.LBB218_190:
	v_mov_b32_e32 v30, 0
.LBB218_191:
	v_pk_add_f16 v31, v8, v26
	v_pk_max_f16 v32, v85, v85
	v_pk_add_f16 v33, v9, v27
	s_delay_alu instid0(VALU_DEP_2) | instskip(NEXT) | instid1(VALU_DEP_1)
	v_pk_min_f16 v31, v32, v31
	v_pk_min_f16 v33, v31, v33
	v_lshlrev_b64 v[31:32], 1, v[40:41]
	s_delay_alu instid0(VALU_DEP_2) | instskip(NEXT) | instid1(VALU_DEP_1)
	v_lshrrev_b32_e32 v34, 16, v33
	v_min3_f16 v33, v30, v33, v34
	s_delay_alu instid0(VALU_DEP_3) | instskip(NEXT) | instid1(VALU_DEP_4)
	v_add_co_u32 v30, vcc_lo, v24, v31
	v_add_co_ci_u32_e32 v31, vcc_lo, v25, v32, vcc_lo
	global_store_b16 v[30:31], v33, off
	s_or_b32 exec_lo, exec_lo, s8
	s_and_b32 s11, s1, s4
	s_delay_alu instid0(SALU_CYCLE_1)
	s_and_saveexec_b32 s8, s11
	s_cbranch_execz .LBB218_186
.LBB218_192:
	v_cmp_ne_u32_e32 vcc_lo, 1, v48
	s_cbranch_vccnz .LBB218_194
; %bb.193:
	v_lshlrev_b64 v[30:31], 1, v[42:43]
	s_delay_alu instid0(VALU_DEP_1) | instskip(NEXT) | instid1(VALU_DEP_2)
	v_add_co_u32 v30, vcc_lo, v28, v30
	v_add_co_ci_u32_e32 v31, vcc_lo, v29, v31, vcc_lo
	flat_load_u16 v30, v[30:31]
	s_waitcnt vmcnt(0) lgkmcnt(0)
	v_mul_f16_e32 v30, s15, v30
	s_branch .LBB218_195
.LBB218_194:
	v_mov_b32_e32 v30, 0
.LBB218_195:
	v_pk_add_f16 v31, v10, v26
	v_pk_max_f16 v32, v83, v83
	v_pk_add_f16 v33, v11, v27
	s_delay_alu instid0(VALU_DEP_2) | instskip(NEXT) | instid1(VALU_DEP_1)
	v_pk_min_f16 v31, v32, v31
	v_pk_min_f16 v33, v31, v33
	v_lshlrev_b64 v[31:32], 1, v[42:43]
	s_delay_alu instid0(VALU_DEP_2) | instskip(NEXT) | instid1(VALU_DEP_1)
	v_lshrrev_b32_e32 v34, 16, v33
	v_min3_f16 v33, v30, v33, v34
	s_delay_alu instid0(VALU_DEP_3) | instskip(NEXT) | instid1(VALU_DEP_4)
	v_add_co_u32 v30, vcc_lo, v24, v31
	v_add_co_ci_u32_e32 v31, vcc_lo, v25, v32, vcc_lo
	global_store_b16 v[30:31], v33, off
	s_or_b32 exec_lo, exec_lo, s8
	s_and_b32 s11, s2, s4
	s_delay_alu instid0(SALU_CYCLE_1)
	s_and_saveexec_b32 s8, s11
	s_cbranch_execz .LBB218_187
.LBB218_196:
	v_cmp_ne_u32_e32 vcc_lo, 1, v48
	s_cbranch_vccnz .LBB218_198
; %bb.197:
	v_lshlrev_b64 v[30:31], 1, v[44:45]
	s_delay_alu instid0(VALU_DEP_1) | instskip(NEXT) | instid1(VALU_DEP_2)
	v_add_co_u32 v30, vcc_lo, v28, v30
	v_add_co_ci_u32_e32 v31, vcc_lo, v29, v31, vcc_lo
	flat_load_u16 v30, v[30:31]
	s_waitcnt vmcnt(0) lgkmcnt(0)
	v_mul_f16_e32 v30, s15, v30
	s_branch .LBB218_199
.LBB218_198:
	v_mov_b32_e32 v30, 0
.LBB218_199:
	v_pk_add_f16 v31, v0, v26
	v_pk_max_f16 v32, v84, v84
	v_pk_add_f16 v33, v1, v27
	s_delay_alu instid0(VALU_DEP_2) | instskip(NEXT) | instid1(VALU_DEP_1)
	v_pk_min_f16 v31, v32, v31
	v_pk_min_f16 v33, v31, v33
	v_lshlrev_b64 v[31:32], 1, v[44:45]
	s_delay_alu instid0(VALU_DEP_2) | instskip(NEXT) | instid1(VALU_DEP_1)
	v_lshrrev_b32_e32 v34, 16, v33
	v_min3_f16 v33, v30, v33, v34
	s_delay_alu instid0(VALU_DEP_3) | instskip(NEXT) | instid1(VALU_DEP_4)
	v_add_co_u32 v30, vcc_lo, v24, v31
	v_add_co_ci_u32_e32 v31, vcc_lo, v25, v32, vcc_lo
	global_store_b16 v[30:31], v33, off
	s_or_b32 exec_lo, exec_lo, s8
	s_and_b32 s8, s3, s4
	s_delay_alu instid0(SALU_CYCLE_1)
	s_and_saveexec_b32 s4, s8
	s_cbranch_execz .LBB218_204
.LBB218_200:
	v_cmp_ne_u32_e32 vcc_lo, 1, v48
	s_cbranch_vccnz .LBB218_202
; %bb.201:
	v_lshlrev_b64 v[30:31], 1, v[46:47]
	s_delay_alu instid0(VALU_DEP_1) | instskip(NEXT) | instid1(VALU_DEP_2)
	v_add_co_u32 v28, vcc_lo, v28, v30
	v_add_co_ci_u32_e32 v29, vcc_lo, v29, v31, vcc_lo
	flat_load_u16 v28, v[28:29]
	s_waitcnt vmcnt(0) lgkmcnt(0)
	v_mul_f16_e32 v28, s15, v28
	s_branch .LBB218_203
.LBB218_202:
	v_mov_b32_e32 v28, 0
.LBB218_203:
	v_pk_add_f16 v26, v2, v26
	v_pk_max_f16 v29, v82, v82
	v_pk_add_f16 v27, v3, v27
	s_delay_alu instid0(VALU_DEP_2) | instskip(NEXT) | instid1(VALU_DEP_1)
	v_pk_min_f16 v26, v29, v26
	v_pk_min_f16 v29, v26, v27
	v_lshlrev_b64 v[26:27], 1, v[46:47]
	s_delay_alu instid0(VALU_DEP_2) | instskip(NEXT) | instid1(VALU_DEP_2)
	v_lshrrev_b32_e32 v30, 16, v29
	v_add_co_u32 v24, vcc_lo, v24, v26
	s_delay_alu instid0(VALU_DEP_3) | instskip(NEXT) | instid1(VALU_DEP_3)
	v_add_co_ci_u32_e32 v25, vcc_lo, v25, v27, vcc_lo
	v_min3_f16 v28, v28, v29, v30
	global_store_b16 v[24:25], v28, off
.LBB218_204:
	s_or_b32 exec_lo, exec_lo, s4
	v_add_nc_u32_e32 v28, 64, v49
	s_delay_alu instid0(VALU_DEP_1) | instskip(SKIP_2) | instid1(VALU_DEP_3)
	v_mad_i64_i32 v[24:25], null, v28, s6, 0
	v_mad_i64_i32 v[26:27], null, v28, s5, 0
	v_cmp_gt_i32_e64 s4, s9, v28
	v_lshlrev_b64 v[24:25], 1, v[24:25]
	s_delay_alu instid0(VALU_DEP_2) | instskip(NEXT) | instid1(VALU_DEP_3)
	s_and_b32 s11, s0, s4
	v_lshlrev_b64 v[28:29], 1, v[26:27]
	s_delay_alu instid0(VALU_DEP_2) | instskip(NEXT) | instid1(VALU_DEP_3)
	v_add_co_u32 v26, vcc_lo, s12, v24
	v_add_co_ci_u32_e32 v27, vcc_lo, s13, v25, vcc_lo
	s_delay_alu instid0(VALU_DEP_3) | instskip(NEXT) | instid1(VALU_DEP_4)
	v_add_co_u32 v24, vcc_lo, s7, v28
	v_add_co_ci_u32_e32 v25, vcc_lo, s10, v29, vcc_lo
	s_and_saveexec_b32 s8, s11
	s_cbranch_execnz .LBB218_208
; %bb.205:
	s_or_b32 exec_lo, exec_lo, s8
	s_and_b32 s11, s1, s4
	s_delay_alu instid0(SALU_CYCLE_1)
	s_and_saveexec_b32 s8, s11
	s_cbranch_execnz .LBB218_212
.LBB218_206:
	s_or_b32 exec_lo, exec_lo, s8
	s_and_b32 s11, s2, s4
	s_delay_alu instid0(SALU_CYCLE_1)
	s_and_saveexec_b32 s8, s11
	s_cbranch_execnz .LBB218_216
.LBB218_207:
	s_or_b32 exec_lo, exec_lo, s8
	s_and_b32 s8, s3, s4
	s_delay_alu instid0(SALU_CYCLE_1)
	s_and_saveexec_b32 s4, s8
	s_cbranch_execnz .LBB218_220
	s_branch .LBB218_224
.LBB218_208:
	v_cmp_ne_u32_e32 vcc_lo, 1, v48
	s_cbranch_vccnz .LBB218_210
; %bb.209:
	v_lshlrev_b64 v[28:29], 1, v[40:41]
	s_delay_alu instid0(VALU_DEP_1) | instskip(NEXT) | instid1(VALU_DEP_2)
	v_add_co_u32 v28, vcc_lo, v26, v28
	v_add_co_ci_u32_e32 v29, vcc_lo, v27, v29, vcc_lo
	flat_load_u16 v28, v[28:29]
	s_waitcnt vmcnt(0) lgkmcnt(0)
	v_mul_f16_e32 v28, s15, v28
	s_branch .LBB218_211
.LBB218_210:
	v_mov_b32_e32 v28, 0
.LBB218_211:
	v_pk_add_f16 v29, v8, v20
	v_pk_max_f16 v30, v81, v81
	v_pk_add_f16 v31, v9, v21
	s_delay_alu instid0(VALU_DEP_2) | instskip(NEXT) | instid1(VALU_DEP_1)
	v_pk_min_f16 v29, v30, v29
	v_pk_min_f16 v31, v29, v31
	v_lshlrev_b64 v[29:30], 1, v[40:41]
	s_delay_alu instid0(VALU_DEP_2) | instskip(NEXT) | instid1(VALU_DEP_1)
	v_lshrrev_b32_e32 v32, 16, v31
	v_min3_f16 v31, v28, v31, v32
	s_delay_alu instid0(VALU_DEP_3) | instskip(NEXT) | instid1(VALU_DEP_4)
	v_add_co_u32 v28, vcc_lo, v24, v29
	v_add_co_ci_u32_e32 v29, vcc_lo, v25, v30, vcc_lo
	global_store_b16 v[28:29], v31, off
	s_or_b32 exec_lo, exec_lo, s8
	s_and_b32 s11, s1, s4
	s_delay_alu instid0(SALU_CYCLE_1)
	s_and_saveexec_b32 s8, s11
	s_cbranch_execz .LBB218_206
.LBB218_212:
	v_cmp_ne_u32_e32 vcc_lo, 1, v48
	s_cbranch_vccnz .LBB218_214
; %bb.213:
	v_lshlrev_b64 v[28:29], 1, v[42:43]
	s_delay_alu instid0(VALU_DEP_1) | instskip(NEXT) | instid1(VALU_DEP_2)
	v_add_co_u32 v28, vcc_lo, v26, v28
	v_add_co_ci_u32_e32 v29, vcc_lo, v27, v29, vcc_lo
	flat_load_u16 v28, v[28:29]
	s_waitcnt vmcnt(0) lgkmcnt(0)
	v_mul_f16_e32 v28, s15, v28
	s_branch .LBB218_215
.LBB218_214:
	v_mov_b32_e32 v28, 0
.LBB218_215:
	v_pk_add_f16 v29, v10, v20
	v_pk_max_f16 v30, v80, v80
	v_pk_add_f16 v31, v11, v21
	s_delay_alu instid0(VALU_DEP_2) | instskip(NEXT) | instid1(VALU_DEP_1)
	v_pk_min_f16 v29, v30, v29
	v_pk_min_f16 v31, v29, v31
	v_lshlrev_b64 v[29:30], 1, v[42:43]
	s_delay_alu instid0(VALU_DEP_2) | instskip(NEXT) | instid1(VALU_DEP_1)
	v_lshrrev_b32_e32 v32, 16, v31
	v_min3_f16 v31, v28, v31, v32
	s_delay_alu instid0(VALU_DEP_3) | instskip(NEXT) | instid1(VALU_DEP_4)
	v_add_co_u32 v28, vcc_lo, v24, v29
	v_add_co_ci_u32_e32 v29, vcc_lo, v25, v30, vcc_lo
	global_store_b16 v[28:29], v31, off
	s_or_b32 exec_lo, exec_lo, s8
	s_and_b32 s11, s2, s4
	s_delay_alu instid0(SALU_CYCLE_1)
	s_and_saveexec_b32 s8, s11
	s_cbranch_execz .LBB218_207
.LBB218_216:
	v_cmp_ne_u32_e32 vcc_lo, 1, v48
	s_cbranch_vccnz .LBB218_218
; %bb.217:
	v_lshlrev_b64 v[28:29], 1, v[44:45]
	s_delay_alu instid0(VALU_DEP_1) | instskip(NEXT) | instid1(VALU_DEP_2)
	v_add_co_u32 v28, vcc_lo, v26, v28
	v_add_co_ci_u32_e32 v29, vcc_lo, v27, v29, vcc_lo
	flat_load_u16 v28, v[28:29]
	s_waitcnt vmcnt(0) lgkmcnt(0)
	v_mul_f16_e32 v28, s15, v28
	s_branch .LBB218_219
.LBB218_218:
	v_mov_b32_e32 v28, 0
.LBB218_219:
	v_pk_add_f16 v29, v0, v20
	v_pk_max_f16 v30, v79, v79
	v_pk_add_f16 v31, v1, v21
	s_delay_alu instid0(VALU_DEP_2) | instskip(NEXT) | instid1(VALU_DEP_1)
	v_pk_min_f16 v29, v30, v29
	v_pk_min_f16 v31, v29, v31
	v_lshlrev_b64 v[29:30], 1, v[44:45]
	s_delay_alu instid0(VALU_DEP_2) | instskip(NEXT) | instid1(VALU_DEP_1)
	v_lshrrev_b32_e32 v32, 16, v31
	v_min3_f16 v31, v28, v31, v32
	s_delay_alu instid0(VALU_DEP_3) | instskip(NEXT) | instid1(VALU_DEP_4)
	v_add_co_u32 v28, vcc_lo, v24, v29
	v_add_co_ci_u32_e32 v29, vcc_lo, v25, v30, vcc_lo
	global_store_b16 v[28:29], v31, off
	s_or_b32 exec_lo, exec_lo, s8
	s_and_b32 s8, s3, s4
	s_delay_alu instid0(SALU_CYCLE_1)
	s_and_saveexec_b32 s4, s8
	s_cbranch_execz .LBB218_224
.LBB218_220:
	v_cmp_ne_u32_e32 vcc_lo, 1, v48
	s_cbranch_vccnz .LBB218_222
; %bb.221:
	v_lshlrev_b64 v[28:29], 1, v[46:47]
	s_delay_alu instid0(VALU_DEP_1) | instskip(NEXT) | instid1(VALU_DEP_2)
	v_add_co_u32 v26, vcc_lo, v26, v28
	v_add_co_ci_u32_e32 v27, vcc_lo, v27, v29, vcc_lo
	flat_load_u16 v26, v[26:27]
	s_waitcnt vmcnt(0) lgkmcnt(0)
	v_mul_f16_e32 v26, s15, v26
	s_branch .LBB218_223
.LBB218_222:
	v_mov_b32_e32 v26, 0
.LBB218_223:
	v_pk_add_f16 v20, v2, v20
	v_pk_max_f16 v27, v78, v78
	v_pk_add_f16 v21, v3, v21
	s_delay_alu instid0(VALU_DEP_2) | instskip(NEXT) | instid1(VALU_DEP_1)
	v_pk_min_f16 v20, v27, v20
	v_pk_min_f16 v27, v20, v21
	v_lshlrev_b64 v[20:21], 1, v[46:47]
	s_delay_alu instid0(VALU_DEP_2) | instskip(NEXT) | instid1(VALU_DEP_2)
	v_lshrrev_b32_e32 v28, 16, v27
	v_add_co_u32 v20, vcc_lo, v24, v20
	s_delay_alu instid0(VALU_DEP_3) | instskip(NEXT) | instid1(VALU_DEP_3)
	v_add_co_ci_u32_e32 v21, vcc_lo, v25, v21, vcc_lo
	v_min3_f16 v26, v26, v27, v28
	global_store_b16 v[20:21], v26, off
.LBB218_224:
	s_or_b32 exec_lo, exec_lo, s4
	v_add_nc_u32_e32 v26, 0x48, v49
	s_delay_alu instid0(VALU_DEP_1) | instskip(SKIP_2) | instid1(VALU_DEP_3)
	v_mad_i64_i32 v[20:21], null, v26, s6, 0
	v_mad_i64_i32 v[24:25], null, v26, s5, 0
	v_cmp_gt_i32_e64 s4, s9, v26
	v_lshlrev_b64 v[20:21], 1, v[20:21]
	s_delay_alu instid0(VALU_DEP_2) | instskip(NEXT) | instid1(VALU_DEP_3)
	s_and_b32 s11, s0, s4
	v_lshlrev_b64 v[26:27], 1, v[24:25]
	s_delay_alu instid0(VALU_DEP_2) | instskip(NEXT) | instid1(VALU_DEP_3)
	v_add_co_u32 v24, vcc_lo, s12, v20
	v_add_co_ci_u32_e32 v25, vcc_lo, s13, v21, vcc_lo
	s_delay_alu instid0(VALU_DEP_3) | instskip(NEXT) | instid1(VALU_DEP_4)
	v_add_co_u32 v20, vcc_lo, s7, v26
	v_add_co_ci_u32_e32 v21, vcc_lo, s10, v27, vcc_lo
	s_and_saveexec_b32 s8, s11
	s_cbranch_execnz .LBB218_228
; %bb.225:
	s_or_b32 exec_lo, exec_lo, s8
	s_and_b32 s11, s1, s4
	s_delay_alu instid0(SALU_CYCLE_1)
	s_and_saveexec_b32 s8, s11
	s_cbranch_execnz .LBB218_232
.LBB218_226:
	s_or_b32 exec_lo, exec_lo, s8
	s_and_b32 s11, s2, s4
	s_delay_alu instid0(SALU_CYCLE_1)
	s_and_saveexec_b32 s8, s11
	s_cbranch_execnz .LBB218_236
.LBB218_227:
	s_or_b32 exec_lo, exec_lo, s8
	s_and_b32 s8, s3, s4
	s_delay_alu instid0(SALU_CYCLE_1)
	s_and_saveexec_b32 s4, s8
	s_cbranch_execnz .LBB218_240
	s_branch .LBB218_244
.LBB218_228:
	v_cmp_ne_u32_e32 vcc_lo, 1, v48
	s_cbranch_vccnz .LBB218_230
; %bb.229:
	v_lshlrev_b64 v[26:27], 1, v[40:41]
	s_delay_alu instid0(VALU_DEP_1) | instskip(NEXT) | instid1(VALU_DEP_2)
	v_add_co_u32 v26, vcc_lo, v24, v26
	v_add_co_ci_u32_e32 v27, vcc_lo, v25, v27, vcc_lo
	flat_load_u16 v26, v[26:27]
	s_waitcnt vmcnt(0) lgkmcnt(0)
	v_mul_f16_e32 v26, s15, v26
	s_branch .LBB218_231
.LBB218_230:
	v_mov_b32_e32 v26, 0
.LBB218_231:
	v_pk_add_f16 v27, v8, v22
	v_pk_max_f16 v28, v77, v77
	v_pk_add_f16 v29, v9, v23
	s_delay_alu instid0(VALU_DEP_2) | instskip(NEXT) | instid1(VALU_DEP_1)
	v_pk_min_f16 v27, v28, v27
	v_pk_min_f16 v29, v27, v29
	v_lshlrev_b64 v[27:28], 1, v[40:41]
	s_delay_alu instid0(VALU_DEP_2) | instskip(NEXT) | instid1(VALU_DEP_1)
	v_lshrrev_b32_e32 v30, 16, v29
	v_min3_f16 v29, v26, v29, v30
	s_delay_alu instid0(VALU_DEP_3) | instskip(NEXT) | instid1(VALU_DEP_4)
	v_add_co_u32 v26, vcc_lo, v20, v27
	v_add_co_ci_u32_e32 v27, vcc_lo, v21, v28, vcc_lo
	global_store_b16 v[26:27], v29, off
	s_or_b32 exec_lo, exec_lo, s8
	s_and_b32 s11, s1, s4
	s_delay_alu instid0(SALU_CYCLE_1)
	s_and_saveexec_b32 s8, s11
	s_cbranch_execz .LBB218_226
.LBB218_232:
	v_cmp_ne_u32_e32 vcc_lo, 1, v48
	s_cbranch_vccnz .LBB218_234
; %bb.233:
	v_lshlrev_b64 v[26:27], 1, v[42:43]
	s_delay_alu instid0(VALU_DEP_1) | instskip(NEXT) | instid1(VALU_DEP_2)
	v_add_co_u32 v26, vcc_lo, v24, v26
	v_add_co_ci_u32_e32 v27, vcc_lo, v25, v27, vcc_lo
	flat_load_u16 v26, v[26:27]
	s_waitcnt vmcnt(0) lgkmcnt(0)
	v_mul_f16_e32 v26, s15, v26
	s_branch .LBB218_235
.LBB218_234:
	v_mov_b32_e32 v26, 0
.LBB218_235:
	v_pk_add_f16 v27, v10, v22
	v_pk_max_f16 v28, v76, v76
	v_pk_add_f16 v29, v11, v23
	s_delay_alu instid0(VALU_DEP_2) | instskip(NEXT) | instid1(VALU_DEP_1)
	v_pk_min_f16 v27, v28, v27
	v_pk_min_f16 v29, v27, v29
	v_lshlrev_b64 v[27:28], 1, v[42:43]
	s_delay_alu instid0(VALU_DEP_2) | instskip(NEXT) | instid1(VALU_DEP_1)
	v_lshrrev_b32_e32 v30, 16, v29
	v_min3_f16 v29, v26, v29, v30
	s_delay_alu instid0(VALU_DEP_3) | instskip(NEXT) | instid1(VALU_DEP_4)
	v_add_co_u32 v26, vcc_lo, v20, v27
	v_add_co_ci_u32_e32 v27, vcc_lo, v21, v28, vcc_lo
	global_store_b16 v[26:27], v29, off
	s_or_b32 exec_lo, exec_lo, s8
	s_and_b32 s11, s2, s4
	s_delay_alu instid0(SALU_CYCLE_1)
	s_and_saveexec_b32 s8, s11
	s_cbranch_execz .LBB218_227
.LBB218_236:
	v_cmp_ne_u32_e32 vcc_lo, 1, v48
	s_cbranch_vccnz .LBB218_238
; %bb.237:
	v_lshlrev_b64 v[26:27], 1, v[44:45]
	s_delay_alu instid0(VALU_DEP_1) | instskip(NEXT) | instid1(VALU_DEP_2)
	v_add_co_u32 v26, vcc_lo, v24, v26
	v_add_co_ci_u32_e32 v27, vcc_lo, v25, v27, vcc_lo
	flat_load_u16 v26, v[26:27]
	s_waitcnt vmcnt(0) lgkmcnt(0)
	v_mul_f16_e32 v26, s15, v26
	s_branch .LBB218_239
.LBB218_238:
	v_mov_b32_e32 v26, 0
.LBB218_239:
	v_pk_add_f16 v27, v0, v22
	v_pk_max_f16 v28, v75, v75
	v_pk_add_f16 v29, v1, v23
	s_delay_alu instid0(VALU_DEP_2) | instskip(NEXT) | instid1(VALU_DEP_1)
	v_pk_min_f16 v27, v28, v27
	v_pk_min_f16 v29, v27, v29
	v_lshlrev_b64 v[27:28], 1, v[44:45]
	s_delay_alu instid0(VALU_DEP_2) | instskip(NEXT) | instid1(VALU_DEP_1)
	v_lshrrev_b32_e32 v30, 16, v29
	v_min3_f16 v29, v26, v29, v30
	s_delay_alu instid0(VALU_DEP_3) | instskip(NEXT) | instid1(VALU_DEP_4)
	v_add_co_u32 v26, vcc_lo, v20, v27
	v_add_co_ci_u32_e32 v27, vcc_lo, v21, v28, vcc_lo
	global_store_b16 v[26:27], v29, off
	s_or_b32 exec_lo, exec_lo, s8
	s_and_b32 s8, s3, s4
	s_delay_alu instid0(SALU_CYCLE_1)
	s_and_saveexec_b32 s4, s8
	s_cbranch_execz .LBB218_244
.LBB218_240:
	v_cmp_ne_u32_e32 vcc_lo, 1, v48
	s_cbranch_vccnz .LBB218_242
; %bb.241:
	v_lshlrev_b64 v[26:27], 1, v[46:47]
	s_delay_alu instid0(VALU_DEP_1) | instskip(NEXT) | instid1(VALU_DEP_2)
	v_add_co_u32 v24, vcc_lo, v24, v26
	v_add_co_ci_u32_e32 v25, vcc_lo, v25, v27, vcc_lo
	flat_load_u16 v24, v[24:25]
	s_waitcnt vmcnt(0) lgkmcnt(0)
	v_mul_f16_e32 v24, s15, v24
	s_branch .LBB218_243
.LBB218_242:
	v_mov_b32_e32 v24, 0
.LBB218_243:
	v_pk_add_f16 v22, v2, v22
	v_pk_max_f16 v25, v74, v74
	v_pk_add_f16 v23, v3, v23
	s_delay_alu instid0(VALU_DEP_2) | instskip(NEXT) | instid1(VALU_DEP_1)
	v_pk_min_f16 v22, v25, v22
	v_pk_min_f16 v25, v22, v23
	v_lshlrev_b64 v[22:23], 1, v[46:47]
	s_delay_alu instid0(VALU_DEP_2) | instskip(NEXT) | instid1(VALU_DEP_2)
	v_lshrrev_b32_e32 v26, 16, v25
	v_add_co_u32 v20, vcc_lo, v20, v22
	s_delay_alu instid0(VALU_DEP_3) | instskip(NEXT) | instid1(VALU_DEP_3)
	v_add_co_ci_u32_e32 v21, vcc_lo, v21, v23, vcc_lo
	v_min3_f16 v24, v24, v25, v26
	global_store_b16 v[20:21], v24, off
.LBB218_244:
	s_or_b32 exec_lo, exec_lo, s4
	v_add_nc_u32_e32 v24, 0x50, v49
	s_delay_alu instid0(VALU_DEP_1) | instskip(SKIP_2) | instid1(VALU_DEP_3)
	v_mad_i64_i32 v[20:21], null, v24, s6, 0
	v_mad_i64_i32 v[22:23], null, v24, s5, 0
	v_cmp_gt_i32_e64 s4, s9, v24
	v_lshlrev_b64 v[20:21], 1, v[20:21]
	s_delay_alu instid0(VALU_DEP_2) | instskip(NEXT) | instid1(VALU_DEP_3)
	s_and_b32 s11, s0, s4
	v_lshlrev_b64 v[24:25], 1, v[22:23]
	s_delay_alu instid0(VALU_DEP_2) | instskip(NEXT) | instid1(VALU_DEP_3)
	v_add_co_u32 v22, vcc_lo, s12, v20
	v_add_co_ci_u32_e32 v23, vcc_lo, s13, v21, vcc_lo
	s_delay_alu instid0(VALU_DEP_3) | instskip(NEXT) | instid1(VALU_DEP_4)
	v_add_co_u32 v20, vcc_lo, s7, v24
	v_add_co_ci_u32_e32 v21, vcc_lo, s10, v25, vcc_lo
	s_and_saveexec_b32 s8, s11
	s_cbranch_execnz .LBB218_248
; %bb.245:
	s_or_b32 exec_lo, exec_lo, s8
	s_and_b32 s11, s1, s4
	s_delay_alu instid0(SALU_CYCLE_1)
	s_and_saveexec_b32 s8, s11
	s_cbranch_execnz .LBB218_252
.LBB218_246:
	s_or_b32 exec_lo, exec_lo, s8
	s_and_b32 s11, s2, s4
	s_delay_alu instid0(SALU_CYCLE_1)
	s_and_saveexec_b32 s8, s11
	s_cbranch_execnz .LBB218_256
.LBB218_247:
	s_or_b32 exec_lo, exec_lo, s8
	s_and_b32 s8, s3, s4
	s_delay_alu instid0(SALU_CYCLE_1)
	s_and_saveexec_b32 s4, s8
	s_cbranch_execnz .LBB218_260
	s_branch .LBB218_264
.LBB218_248:
	v_cmp_ne_u32_e32 vcc_lo, 1, v48
	s_cbranch_vccnz .LBB218_250
; %bb.249:
	v_lshlrev_b64 v[24:25], 1, v[40:41]
	s_delay_alu instid0(VALU_DEP_1) | instskip(NEXT) | instid1(VALU_DEP_2)
	v_add_co_u32 v24, vcc_lo, v22, v24
	v_add_co_ci_u32_e32 v25, vcc_lo, v23, v25, vcc_lo
	flat_load_u16 v24, v[24:25]
	s_waitcnt vmcnt(0) lgkmcnt(0)
	v_mul_f16_e32 v24, s15, v24
	s_branch .LBB218_251
.LBB218_250:
	v_mov_b32_e32 v24, 0
.LBB218_251:
	v_pk_add_f16 v25, v8, v16
	v_pk_max_f16 v26, v73, v73
	v_pk_add_f16 v27, v9, v17
	s_delay_alu instid0(VALU_DEP_2) | instskip(NEXT) | instid1(VALU_DEP_1)
	v_pk_min_f16 v25, v26, v25
	v_pk_min_f16 v27, v25, v27
	v_lshlrev_b64 v[25:26], 1, v[40:41]
	s_delay_alu instid0(VALU_DEP_2) | instskip(NEXT) | instid1(VALU_DEP_1)
	v_lshrrev_b32_e32 v28, 16, v27
	v_min3_f16 v27, v24, v27, v28
	s_delay_alu instid0(VALU_DEP_3) | instskip(NEXT) | instid1(VALU_DEP_4)
	v_add_co_u32 v24, vcc_lo, v20, v25
	v_add_co_ci_u32_e32 v25, vcc_lo, v21, v26, vcc_lo
	global_store_b16 v[24:25], v27, off
	s_or_b32 exec_lo, exec_lo, s8
	s_and_b32 s11, s1, s4
	s_delay_alu instid0(SALU_CYCLE_1)
	s_and_saveexec_b32 s8, s11
	s_cbranch_execz .LBB218_246
.LBB218_252:
	v_cmp_ne_u32_e32 vcc_lo, 1, v48
	s_cbranch_vccnz .LBB218_254
; %bb.253:
	v_lshlrev_b64 v[24:25], 1, v[42:43]
	s_delay_alu instid0(VALU_DEP_1) | instskip(NEXT) | instid1(VALU_DEP_2)
	v_add_co_u32 v24, vcc_lo, v22, v24
	v_add_co_ci_u32_e32 v25, vcc_lo, v23, v25, vcc_lo
	flat_load_u16 v24, v[24:25]
	s_waitcnt vmcnt(0) lgkmcnt(0)
	v_mul_f16_e32 v24, s15, v24
	s_branch .LBB218_255
.LBB218_254:
	v_mov_b32_e32 v24, 0
.LBB218_255:
	v_pk_add_f16 v25, v10, v16
	v_pk_max_f16 v26, v72, v72
	v_pk_add_f16 v27, v11, v17
	s_delay_alu instid0(VALU_DEP_2) | instskip(NEXT) | instid1(VALU_DEP_1)
	v_pk_min_f16 v25, v26, v25
	v_pk_min_f16 v27, v25, v27
	v_lshlrev_b64 v[25:26], 1, v[42:43]
	s_delay_alu instid0(VALU_DEP_2) | instskip(NEXT) | instid1(VALU_DEP_1)
	v_lshrrev_b32_e32 v28, 16, v27
	v_min3_f16 v27, v24, v27, v28
	s_delay_alu instid0(VALU_DEP_3) | instskip(NEXT) | instid1(VALU_DEP_4)
	v_add_co_u32 v24, vcc_lo, v20, v25
	v_add_co_ci_u32_e32 v25, vcc_lo, v21, v26, vcc_lo
	global_store_b16 v[24:25], v27, off
	s_or_b32 exec_lo, exec_lo, s8
	s_and_b32 s11, s2, s4
	s_delay_alu instid0(SALU_CYCLE_1)
	s_and_saveexec_b32 s8, s11
	s_cbranch_execz .LBB218_247
.LBB218_256:
	v_cmp_ne_u32_e32 vcc_lo, 1, v48
	s_cbranch_vccnz .LBB218_258
; %bb.257:
	v_lshlrev_b64 v[24:25], 1, v[44:45]
	s_delay_alu instid0(VALU_DEP_1) | instskip(NEXT) | instid1(VALU_DEP_2)
	v_add_co_u32 v24, vcc_lo, v22, v24
	v_add_co_ci_u32_e32 v25, vcc_lo, v23, v25, vcc_lo
	flat_load_u16 v24, v[24:25]
	s_waitcnt vmcnt(0) lgkmcnt(0)
	v_mul_f16_e32 v24, s15, v24
	s_branch .LBB218_259
.LBB218_258:
	v_mov_b32_e32 v24, 0
.LBB218_259:
	v_pk_add_f16 v25, v0, v16
	v_pk_max_f16 v26, v71, v71
	v_pk_add_f16 v27, v1, v17
	s_delay_alu instid0(VALU_DEP_2) | instskip(NEXT) | instid1(VALU_DEP_1)
	v_pk_min_f16 v25, v26, v25
	v_pk_min_f16 v27, v25, v27
	v_lshlrev_b64 v[25:26], 1, v[44:45]
	s_delay_alu instid0(VALU_DEP_2) | instskip(NEXT) | instid1(VALU_DEP_1)
	v_lshrrev_b32_e32 v28, 16, v27
	v_min3_f16 v27, v24, v27, v28
	s_delay_alu instid0(VALU_DEP_3) | instskip(NEXT) | instid1(VALU_DEP_4)
	v_add_co_u32 v24, vcc_lo, v20, v25
	v_add_co_ci_u32_e32 v25, vcc_lo, v21, v26, vcc_lo
	global_store_b16 v[24:25], v27, off
	s_or_b32 exec_lo, exec_lo, s8
	s_and_b32 s8, s3, s4
	s_delay_alu instid0(SALU_CYCLE_1)
	s_and_saveexec_b32 s4, s8
	s_cbranch_execz .LBB218_264
.LBB218_260:
	v_cmp_ne_u32_e32 vcc_lo, 1, v48
	s_cbranch_vccnz .LBB218_262
; %bb.261:
	v_lshlrev_b64 v[24:25], 1, v[46:47]
	s_delay_alu instid0(VALU_DEP_1) | instskip(NEXT) | instid1(VALU_DEP_2)
	v_add_co_u32 v22, vcc_lo, v22, v24
	v_add_co_ci_u32_e32 v23, vcc_lo, v23, v25, vcc_lo
	flat_load_u16 v22, v[22:23]
	s_waitcnt vmcnt(0) lgkmcnt(0)
	v_mul_f16_e32 v22, s15, v22
	s_branch .LBB218_263
.LBB218_262:
	v_mov_b32_e32 v22, 0
.LBB218_263:
	v_pk_add_f16 v16, v2, v16
	v_pk_max_f16 v23, v70, v70
	v_pk_add_f16 v17, v3, v17
	s_delay_alu instid0(VALU_DEP_2) | instskip(NEXT) | instid1(VALU_DEP_1)
	v_pk_min_f16 v16, v23, v16
	v_pk_min_f16 v23, v16, v17
	v_lshlrev_b64 v[16:17], 1, v[46:47]
	s_delay_alu instid0(VALU_DEP_2) | instskip(NEXT) | instid1(VALU_DEP_2)
	v_lshrrev_b32_e32 v24, 16, v23
	v_add_co_u32 v16, vcc_lo, v20, v16
	s_delay_alu instid0(VALU_DEP_3) | instskip(NEXT) | instid1(VALU_DEP_3)
	v_add_co_ci_u32_e32 v17, vcc_lo, v21, v17, vcc_lo
	v_min3_f16 v22, v22, v23, v24
	global_store_b16 v[16:17], v22, off
.LBB218_264:
	s_or_b32 exec_lo, exec_lo, s4
	v_add_nc_u32_e32 v22, 0x58, v49
	s_delay_alu instid0(VALU_DEP_1) | instskip(SKIP_2) | instid1(VALU_DEP_3)
	v_mad_i64_i32 v[16:17], null, v22, s6, 0
	v_mad_i64_i32 v[20:21], null, v22, s5, 0
	v_cmp_gt_i32_e64 s4, s9, v22
	v_lshlrev_b64 v[16:17], 1, v[16:17]
	s_delay_alu instid0(VALU_DEP_2) | instskip(NEXT) | instid1(VALU_DEP_3)
	s_and_b32 s11, s0, s4
	v_lshlrev_b64 v[22:23], 1, v[20:21]
	s_delay_alu instid0(VALU_DEP_2) | instskip(NEXT) | instid1(VALU_DEP_3)
	v_add_co_u32 v20, vcc_lo, s12, v16
	v_add_co_ci_u32_e32 v21, vcc_lo, s13, v17, vcc_lo
	s_delay_alu instid0(VALU_DEP_3) | instskip(NEXT) | instid1(VALU_DEP_4)
	v_add_co_u32 v16, vcc_lo, s7, v22
	v_add_co_ci_u32_e32 v17, vcc_lo, s10, v23, vcc_lo
	s_and_saveexec_b32 s8, s11
	s_cbranch_execnz .LBB218_268
; %bb.265:
	s_or_b32 exec_lo, exec_lo, s8
	s_and_b32 s11, s1, s4
	s_delay_alu instid0(SALU_CYCLE_1)
	s_and_saveexec_b32 s8, s11
	s_cbranch_execnz .LBB218_272
.LBB218_266:
	s_or_b32 exec_lo, exec_lo, s8
	s_and_b32 s11, s2, s4
	s_delay_alu instid0(SALU_CYCLE_1)
	s_and_saveexec_b32 s8, s11
	s_cbranch_execnz .LBB218_276
.LBB218_267:
	s_or_b32 exec_lo, exec_lo, s8
	s_and_b32 s8, s3, s4
	s_delay_alu instid0(SALU_CYCLE_1)
	s_and_saveexec_b32 s4, s8
	s_cbranch_execnz .LBB218_280
	s_branch .LBB218_284
.LBB218_268:
	v_cmp_ne_u32_e32 vcc_lo, 1, v48
	s_cbranch_vccnz .LBB218_270
; %bb.269:
	v_lshlrev_b64 v[22:23], 1, v[40:41]
	s_delay_alu instid0(VALU_DEP_1) | instskip(NEXT) | instid1(VALU_DEP_2)
	v_add_co_u32 v22, vcc_lo, v20, v22
	v_add_co_ci_u32_e32 v23, vcc_lo, v21, v23, vcc_lo
	flat_load_u16 v22, v[22:23]
	s_waitcnt vmcnt(0) lgkmcnt(0)
	v_mul_f16_e32 v22, s15, v22
	s_branch .LBB218_271
.LBB218_270:
	v_mov_b32_e32 v22, 0
.LBB218_271:
	v_pk_add_f16 v23, v8, v18
	v_pk_max_f16 v24, v69, v69
	v_pk_add_f16 v25, v9, v19
	s_delay_alu instid0(VALU_DEP_2) | instskip(NEXT) | instid1(VALU_DEP_1)
	v_pk_min_f16 v23, v24, v23
	v_pk_min_f16 v25, v23, v25
	v_lshlrev_b64 v[23:24], 1, v[40:41]
	s_delay_alu instid0(VALU_DEP_2) | instskip(NEXT) | instid1(VALU_DEP_1)
	v_lshrrev_b32_e32 v26, 16, v25
	v_min3_f16 v25, v22, v25, v26
	s_delay_alu instid0(VALU_DEP_3) | instskip(NEXT) | instid1(VALU_DEP_4)
	v_add_co_u32 v22, vcc_lo, v16, v23
	v_add_co_ci_u32_e32 v23, vcc_lo, v17, v24, vcc_lo
	global_store_b16 v[22:23], v25, off
	s_or_b32 exec_lo, exec_lo, s8
	s_and_b32 s11, s1, s4
	s_delay_alu instid0(SALU_CYCLE_1)
	s_and_saveexec_b32 s8, s11
	s_cbranch_execz .LBB218_266
.LBB218_272:
	v_cmp_ne_u32_e32 vcc_lo, 1, v48
	s_cbranch_vccnz .LBB218_274
; %bb.273:
	v_lshlrev_b64 v[22:23], 1, v[42:43]
	s_delay_alu instid0(VALU_DEP_1) | instskip(NEXT) | instid1(VALU_DEP_2)
	v_add_co_u32 v22, vcc_lo, v20, v22
	v_add_co_ci_u32_e32 v23, vcc_lo, v21, v23, vcc_lo
	flat_load_u16 v22, v[22:23]
	s_waitcnt vmcnt(0) lgkmcnt(0)
	v_mul_f16_e32 v22, s15, v22
	s_branch .LBB218_275
.LBB218_274:
	v_mov_b32_e32 v22, 0
.LBB218_275:
	v_pk_add_f16 v23, v10, v18
	v_pk_max_f16 v24, v68, v68
	v_pk_add_f16 v25, v11, v19
	s_delay_alu instid0(VALU_DEP_2) | instskip(NEXT) | instid1(VALU_DEP_1)
	v_pk_min_f16 v23, v24, v23
	v_pk_min_f16 v25, v23, v25
	v_lshlrev_b64 v[23:24], 1, v[42:43]
	s_delay_alu instid0(VALU_DEP_2) | instskip(NEXT) | instid1(VALU_DEP_1)
	v_lshrrev_b32_e32 v26, 16, v25
	v_min3_f16 v25, v22, v25, v26
	s_delay_alu instid0(VALU_DEP_3) | instskip(NEXT) | instid1(VALU_DEP_4)
	v_add_co_u32 v22, vcc_lo, v16, v23
	v_add_co_ci_u32_e32 v23, vcc_lo, v17, v24, vcc_lo
	global_store_b16 v[22:23], v25, off
	s_or_b32 exec_lo, exec_lo, s8
	s_and_b32 s11, s2, s4
	s_delay_alu instid0(SALU_CYCLE_1)
	s_and_saveexec_b32 s8, s11
	s_cbranch_execz .LBB218_267
.LBB218_276:
	v_cmp_ne_u32_e32 vcc_lo, 1, v48
	s_cbranch_vccnz .LBB218_278
; %bb.277:
	v_lshlrev_b64 v[22:23], 1, v[44:45]
	s_delay_alu instid0(VALU_DEP_1) | instskip(NEXT) | instid1(VALU_DEP_2)
	v_add_co_u32 v22, vcc_lo, v20, v22
	v_add_co_ci_u32_e32 v23, vcc_lo, v21, v23, vcc_lo
	flat_load_u16 v22, v[22:23]
	s_waitcnt vmcnt(0) lgkmcnt(0)
	v_mul_f16_e32 v22, s15, v22
	s_branch .LBB218_279
.LBB218_278:
	v_mov_b32_e32 v22, 0
.LBB218_279:
	v_pk_add_f16 v23, v0, v18
	v_pk_max_f16 v24, v67, v67
	v_pk_add_f16 v25, v1, v19
	s_delay_alu instid0(VALU_DEP_2) | instskip(NEXT) | instid1(VALU_DEP_1)
	v_pk_min_f16 v23, v24, v23
	v_pk_min_f16 v25, v23, v25
	v_lshlrev_b64 v[23:24], 1, v[44:45]
	s_delay_alu instid0(VALU_DEP_2) | instskip(NEXT) | instid1(VALU_DEP_1)
	v_lshrrev_b32_e32 v26, 16, v25
	v_min3_f16 v25, v22, v25, v26
	s_delay_alu instid0(VALU_DEP_3) | instskip(NEXT) | instid1(VALU_DEP_4)
	v_add_co_u32 v22, vcc_lo, v16, v23
	v_add_co_ci_u32_e32 v23, vcc_lo, v17, v24, vcc_lo
	global_store_b16 v[22:23], v25, off
	s_or_b32 exec_lo, exec_lo, s8
	s_and_b32 s8, s3, s4
	s_delay_alu instid0(SALU_CYCLE_1)
	s_and_saveexec_b32 s4, s8
	s_cbranch_execz .LBB218_284
.LBB218_280:
	v_cmp_ne_u32_e32 vcc_lo, 1, v48
	s_cbranch_vccnz .LBB218_282
; %bb.281:
	v_lshlrev_b64 v[22:23], 1, v[46:47]
	s_delay_alu instid0(VALU_DEP_1) | instskip(NEXT) | instid1(VALU_DEP_2)
	v_add_co_u32 v20, vcc_lo, v20, v22
	v_add_co_ci_u32_e32 v21, vcc_lo, v21, v23, vcc_lo
	flat_load_u16 v20, v[20:21]
	s_waitcnt vmcnt(0) lgkmcnt(0)
	v_mul_f16_e32 v20, s15, v20
	s_branch .LBB218_283
.LBB218_282:
	v_mov_b32_e32 v20, 0
.LBB218_283:
	v_pk_add_f16 v18, v2, v18
	v_pk_max_f16 v21, v66, v66
	v_pk_add_f16 v19, v3, v19
	s_delay_alu instid0(VALU_DEP_2) | instskip(NEXT) | instid1(VALU_DEP_1)
	v_pk_min_f16 v18, v21, v18
	v_pk_min_f16 v21, v18, v19
	v_lshlrev_b64 v[18:19], 1, v[46:47]
	s_delay_alu instid0(VALU_DEP_2) | instskip(NEXT) | instid1(VALU_DEP_2)
	v_lshrrev_b32_e32 v22, 16, v21
	v_add_co_u32 v16, vcc_lo, v16, v18
	s_delay_alu instid0(VALU_DEP_3) | instskip(NEXT) | instid1(VALU_DEP_3)
	v_add_co_ci_u32_e32 v17, vcc_lo, v17, v19, vcc_lo
	v_min3_f16 v20, v20, v21, v22
	global_store_b16 v[16:17], v20, off
.LBB218_284:
	s_or_b32 exec_lo, exec_lo, s4
	v_add_nc_u32_e32 v20, 0x60, v49
	s_delay_alu instid0(VALU_DEP_1) | instskip(SKIP_2) | instid1(VALU_DEP_3)
	v_mad_i64_i32 v[16:17], null, v20, s6, 0
	v_mad_i64_i32 v[18:19], null, v20, s5, 0
	v_cmp_gt_i32_e64 s4, s9, v20
	v_lshlrev_b64 v[16:17], 1, v[16:17]
	s_delay_alu instid0(VALU_DEP_2) | instskip(NEXT) | instid1(VALU_DEP_3)
	s_and_b32 s11, s0, s4
	v_lshlrev_b64 v[20:21], 1, v[18:19]
	s_delay_alu instid0(VALU_DEP_2) | instskip(NEXT) | instid1(VALU_DEP_3)
	v_add_co_u32 v18, vcc_lo, s12, v16
	v_add_co_ci_u32_e32 v19, vcc_lo, s13, v17, vcc_lo
	s_delay_alu instid0(VALU_DEP_3) | instskip(NEXT) | instid1(VALU_DEP_4)
	v_add_co_u32 v16, vcc_lo, s7, v20
	v_add_co_ci_u32_e32 v17, vcc_lo, s10, v21, vcc_lo
	s_and_saveexec_b32 s8, s11
	s_cbranch_execnz .LBB218_288
; %bb.285:
	s_or_b32 exec_lo, exec_lo, s8
	s_and_b32 s11, s1, s4
	s_delay_alu instid0(SALU_CYCLE_1)
	s_and_saveexec_b32 s8, s11
	s_cbranch_execnz .LBB218_292
.LBB218_286:
	s_or_b32 exec_lo, exec_lo, s8
	s_and_b32 s11, s2, s4
	s_delay_alu instid0(SALU_CYCLE_1)
	s_and_saveexec_b32 s8, s11
	s_cbranch_execnz .LBB218_296
.LBB218_287:
	s_or_b32 exec_lo, exec_lo, s8
	s_and_b32 s8, s3, s4
	s_delay_alu instid0(SALU_CYCLE_1)
	s_and_saveexec_b32 s4, s8
	s_cbranch_execnz .LBB218_300
	s_branch .LBB218_304
.LBB218_288:
	v_cmp_ne_u32_e32 vcc_lo, 1, v48
	s_cbranch_vccnz .LBB218_290
; %bb.289:
	v_lshlrev_b64 v[20:21], 1, v[40:41]
	s_delay_alu instid0(VALU_DEP_1) | instskip(NEXT) | instid1(VALU_DEP_2)
	v_add_co_u32 v20, vcc_lo, v18, v20
	v_add_co_ci_u32_e32 v21, vcc_lo, v19, v21, vcc_lo
	flat_load_u16 v20, v[20:21]
	s_waitcnt vmcnt(0) lgkmcnt(0)
	v_mul_f16_e32 v20, s15, v20
	s_branch .LBB218_291
.LBB218_290:
	v_mov_b32_e32 v20, 0
.LBB218_291:
	v_pk_add_f16 v21, v8, v12
	v_pk_max_f16 v22, v65, v65
	v_pk_add_f16 v23, v9, v13
	s_delay_alu instid0(VALU_DEP_2) | instskip(NEXT) | instid1(VALU_DEP_1)
	v_pk_min_f16 v21, v22, v21
	v_pk_min_f16 v23, v21, v23
	v_lshlrev_b64 v[21:22], 1, v[40:41]
	s_delay_alu instid0(VALU_DEP_2) | instskip(NEXT) | instid1(VALU_DEP_1)
	v_lshrrev_b32_e32 v24, 16, v23
	v_min3_f16 v23, v20, v23, v24
	s_delay_alu instid0(VALU_DEP_3) | instskip(NEXT) | instid1(VALU_DEP_4)
	v_add_co_u32 v20, vcc_lo, v16, v21
	v_add_co_ci_u32_e32 v21, vcc_lo, v17, v22, vcc_lo
	global_store_b16 v[20:21], v23, off
	s_or_b32 exec_lo, exec_lo, s8
	s_and_b32 s11, s1, s4
	s_delay_alu instid0(SALU_CYCLE_1)
	s_and_saveexec_b32 s8, s11
	s_cbranch_execz .LBB218_286
.LBB218_292:
	v_cmp_ne_u32_e32 vcc_lo, 1, v48
	s_cbranch_vccnz .LBB218_294
; %bb.293:
	v_lshlrev_b64 v[20:21], 1, v[42:43]
	s_delay_alu instid0(VALU_DEP_1) | instskip(NEXT) | instid1(VALU_DEP_2)
	v_add_co_u32 v20, vcc_lo, v18, v20
	v_add_co_ci_u32_e32 v21, vcc_lo, v19, v21, vcc_lo
	flat_load_u16 v20, v[20:21]
	s_waitcnt vmcnt(0) lgkmcnt(0)
	v_mul_f16_e32 v20, s15, v20
	s_branch .LBB218_295
.LBB218_294:
	v_mov_b32_e32 v20, 0
.LBB218_295:
	v_pk_add_f16 v21, v10, v12
	v_pk_max_f16 v22, v64, v64
	v_pk_add_f16 v23, v11, v13
	s_delay_alu instid0(VALU_DEP_2) | instskip(NEXT) | instid1(VALU_DEP_1)
	v_pk_min_f16 v21, v22, v21
	v_pk_min_f16 v23, v21, v23
	v_lshlrev_b64 v[21:22], 1, v[42:43]
	s_delay_alu instid0(VALU_DEP_2) | instskip(NEXT) | instid1(VALU_DEP_1)
	v_lshrrev_b32_e32 v24, 16, v23
	v_min3_f16 v23, v20, v23, v24
	s_delay_alu instid0(VALU_DEP_3) | instskip(NEXT) | instid1(VALU_DEP_4)
	v_add_co_u32 v20, vcc_lo, v16, v21
	v_add_co_ci_u32_e32 v21, vcc_lo, v17, v22, vcc_lo
	global_store_b16 v[20:21], v23, off
	s_or_b32 exec_lo, exec_lo, s8
	s_and_b32 s11, s2, s4
	s_delay_alu instid0(SALU_CYCLE_1)
	s_and_saveexec_b32 s8, s11
	s_cbranch_execz .LBB218_287
.LBB218_296:
	v_cmp_ne_u32_e32 vcc_lo, 1, v48
	s_cbranch_vccnz .LBB218_298
; %bb.297:
	v_lshlrev_b64 v[20:21], 1, v[44:45]
	s_delay_alu instid0(VALU_DEP_1) | instskip(NEXT) | instid1(VALU_DEP_2)
	v_add_co_u32 v20, vcc_lo, v18, v20
	v_add_co_ci_u32_e32 v21, vcc_lo, v19, v21, vcc_lo
	flat_load_u16 v20, v[20:21]
	s_waitcnt vmcnt(0) lgkmcnt(0)
	v_mul_f16_e32 v20, s15, v20
	s_branch .LBB218_299
.LBB218_298:
	v_mov_b32_e32 v20, 0
.LBB218_299:
	v_pk_add_f16 v21, v0, v12
	v_pk_max_f16 v22, v63, v63
	v_pk_add_f16 v23, v1, v13
	s_delay_alu instid0(VALU_DEP_2) | instskip(NEXT) | instid1(VALU_DEP_1)
	v_pk_min_f16 v21, v22, v21
	v_pk_min_f16 v23, v21, v23
	v_lshlrev_b64 v[21:22], 1, v[44:45]
	s_delay_alu instid0(VALU_DEP_2) | instskip(NEXT) | instid1(VALU_DEP_1)
	v_lshrrev_b32_e32 v24, 16, v23
	v_min3_f16 v23, v20, v23, v24
	s_delay_alu instid0(VALU_DEP_3) | instskip(NEXT) | instid1(VALU_DEP_4)
	v_add_co_u32 v20, vcc_lo, v16, v21
	v_add_co_ci_u32_e32 v21, vcc_lo, v17, v22, vcc_lo
	global_store_b16 v[20:21], v23, off
	s_or_b32 exec_lo, exec_lo, s8
	s_and_b32 s8, s3, s4
	s_delay_alu instid0(SALU_CYCLE_1)
	s_and_saveexec_b32 s4, s8
	s_cbranch_execz .LBB218_304
.LBB218_300:
	v_cmp_ne_u32_e32 vcc_lo, 1, v48
	s_cbranch_vccnz .LBB218_302
; %bb.301:
	v_lshlrev_b64 v[20:21], 1, v[46:47]
	s_delay_alu instid0(VALU_DEP_1) | instskip(NEXT) | instid1(VALU_DEP_2)
	v_add_co_u32 v18, vcc_lo, v18, v20
	v_add_co_ci_u32_e32 v19, vcc_lo, v19, v21, vcc_lo
	flat_load_u16 v18, v[18:19]
	s_waitcnt vmcnt(0) lgkmcnt(0)
	v_mul_f16_e32 v18, s15, v18
	s_branch .LBB218_303
.LBB218_302:
	v_mov_b32_e32 v18, 0
.LBB218_303:
	v_pk_add_f16 v12, v2, v12
	v_pk_max_f16 v19, v62, v62
	v_pk_add_f16 v13, v3, v13
	s_delay_alu instid0(VALU_DEP_2) | instskip(NEXT) | instid1(VALU_DEP_1)
	v_pk_min_f16 v12, v19, v12
	v_pk_min_f16 v19, v12, v13
	v_lshlrev_b64 v[12:13], 1, v[46:47]
	s_delay_alu instid0(VALU_DEP_2) | instskip(NEXT) | instid1(VALU_DEP_2)
	v_lshrrev_b32_e32 v20, 16, v19
	v_add_co_u32 v12, vcc_lo, v16, v12
	s_delay_alu instid0(VALU_DEP_3) | instskip(NEXT) | instid1(VALU_DEP_3)
	v_add_co_ci_u32_e32 v13, vcc_lo, v17, v13, vcc_lo
	v_min3_f16 v18, v18, v19, v20
	global_store_b16 v[12:13], v18, off
.LBB218_304:
	s_or_b32 exec_lo, exec_lo, s4
	v_add_nc_u32_e32 v18, 0x68, v49
	s_delay_alu instid0(VALU_DEP_1) | instskip(SKIP_2) | instid1(VALU_DEP_3)
	v_mad_i64_i32 v[12:13], null, v18, s6, 0
	v_mad_i64_i32 v[16:17], null, v18, s5, 0
	v_cmp_gt_i32_e64 s4, s9, v18
	v_lshlrev_b64 v[12:13], 1, v[12:13]
	s_delay_alu instid0(VALU_DEP_2) | instskip(NEXT) | instid1(VALU_DEP_3)
	s_and_b32 s11, s0, s4
	v_lshlrev_b64 v[18:19], 1, v[16:17]
	s_delay_alu instid0(VALU_DEP_2) | instskip(NEXT) | instid1(VALU_DEP_3)
	v_add_co_u32 v16, vcc_lo, s12, v12
	v_add_co_ci_u32_e32 v17, vcc_lo, s13, v13, vcc_lo
	s_delay_alu instid0(VALU_DEP_3) | instskip(NEXT) | instid1(VALU_DEP_4)
	v_add_co_u32 v12, vcc_lo, s7, v18
	v_add_co_ci_u32_e32 v13, vcc_lo, s10, v19, vcc_lo
	s_and_saveexec_b32 s8, s11
	s_cbranch_execnz .LBB218_308
; %bb.305:
	s_or_b32 exec_lo, exec_lo, s8
	s_and_b32 s11, s1, s4
	s_delay_alu instid0(SALU_CYCLE_1)
	s_and_saveexec_b32 s8, s11
	s_cbranch_execnz .LBB218_312
.LBB218_306:
	s_or_b32 exec_lo, exec_lo, s8
	s_and_b32 s11, s2, s4
	s_delay_alu instid0(SALU_CYCLE_1)
	s_and_saveexec_b32 s8, s11
	s_cbranch_execnz .LBB218_316
.LBB218_307:
	s_or_b32 exec_lo, exec_lo, s8
	s_and_b32 s8, s3, s4
	s_delay_alu instid0(SALU_CYCLE_1)
	s_and_saveexec_b32 s4, s8
	s_cbranch_execnz .LBB218_320
	s_branch .LBB218_324
.LBB218_308:
	v_cmp_ne_u32_e32 vcc_lo, 1, v48
	s_cbranch_vccnz .LBB218_310
; %bb.309:
	v_lshlrev_b64 v[18:19], 1, v[40:41]
	s_delay_alu instid0(VALU_DEP_1) | instskip(NEXT) | instid1(VALU_DEP_2)
	v_add_co_u32 v18, vcc_lo, v16, v18
	v_add_co_ci_u32_e32 v19, vcc_lo, v17, v19, vcc_lo
	flat_load_u16 v18, v[18:19]
	s_waitcnt vmcnt(0) lgkmcnt(0)
	v_mul_f16_e32 v18, s15, v18
	s_branch .LBB218_311
.LBB218_310:
	v_mov_b32_e32 v18, 0
.LBB218_311:
	v_pk_add_f16 v19, v8, v14
	v_pk_max_f16 v20, v61, v61
	v_pk_add_f16 v21, v9, v15
	s_delay_alu instid0(VALU_DEP_2) | instskip(NEXT) | instid1(VALU_DEP_1)
	v_pk_min_f16 v19, v20, v19
	v_pk_min_f16 v21, v19, v21
	v_lshlrev_b64 v[19:20], 1, v[40:41]
	s_delay_alu instid0(VALU_DEP_2) | instskip(NEXT) | instid1(VALU_DEP_1)
	v_lshrrev_b32_e32 v22, 16, v21
	v_min3_f16 v21, v18, v21, v22
	s_delay_alu instid0(VALU_DEP_3) | instskip(NEXT) | instid1(VALU_DEP_4)
	v_add_co_u32 v18, vcc_lo, v12, v19
	v_add_co_ci_u32_e32 v19, vcc_lo, v13, v20, vcc_lo
	global_store_b16 v[18:19], v21, off
	s_or_b32 exec_lo, exec_lo, s8
	s_and_b32 s11, s1, s4
	s_delay_alu instid0(SALU_CYCLE_1)
	s_and_saveexec_b32 s8, s11
	s_cbranch_execz .LBB218_306
.LBB218_312:
	v_cmp_ne_u32_e32 vcc_lo, 1, v48
	s_cbranch_vccnz .LBB218_314
; %bb.313:
	v_lshlrev_b64 v[18:19], 1, v[42:43]
	s_delay_alu instid0(VALU_DEP_1) | instskip(NEXT) | instid1(VALU_DEP_2)
	v_add_co_u32 v18, vcc_lo, v16, v18
	v_add_co_ci_u32_e32 v19, vcc_lo, v17, v19, vcc_lo
	flat_load_u16 v18, v[18:19]
	s_waitcnt vmcnt(0) lgkmcnt(0)
	v_mul_f16_e32 v18, s15, v18
	s_branch .LBB218_315
.LBB218_314:
	v_mov_b32_e32 v18, 0
.LBB218_315:
	v_pk_add_f16 v19, v10, v14
	v_pk_max_f16 v20, v60, v60
	v_pk_add_f16 v21, v11, v15
	s_delay_alu instid0(VALU_DEP_2) | instskip(NEXT) | instid1(VALU_DEP_1)
	v_pk_min_f16 v19, v20, v19
	v_pk_min_f16 v21, v19, v21
	v_lshlrev_b64 v[19:20], 1, v[42:43]
	s_delay_alu instid0(VALU_DEP_2) | instskip(NEXT) | instid1(VALU_DEP_1)
	v_lshrrev_b32_e32 v22, 16, v21
	v_min3_f16 v21, v18, v21, v22
	s_delay_alu instid0(VALU_DEP_3) | instskip(NEXT) | instid1(VALU_DEP_4)
	v_add_co_u32 v18, vcc_lo, v12, v19
	v_add_co_ci_u32_e32 v19, vcc_lo, v13, v20, vcc_lo
	global_store_b16 v[18:19], v21, off
	s_or_b32 exec_lo, exec_lo, s8
	s_and_b32 s11, s2, s4
	s_delay_alu instid0(SALU_CYCLE_1)
	s_and_saveexec_b32 s8, s11
	s_cbranch_execz .LBB218_307
.LBB218_316:
	v_cmp_ne_u32_e32 vcc_lo, 1, v48
	s_cbranch_vccnz .LBB218_318
; %bb.317:
	v_lshlrev_b64 v[18:19], 1, v[44:45]
	s_delay_alu instid0(VALU_DEP_1) | instskip(NEXT) | instid1(VALU_DEP_2)
	v_add_co_u32 v18, vcc_lo, v16, v18
	v_add_co_ci_u32_e32 v19, vcc_lo, v17, v19, vcc_lo
	flat_load_u16 v18, v[18:19]
	s_waitcnt vmcnt(0) lgkmcnt(0)
	v_mul_f16_e32 v18, s15, v18
	s_branch .LBB218_319
.LBB218_318:
	v_mov_b32_e32 v18, 0
.LBB218_319:
	v_pk_add_f16 v19, v0, v14
	v_pk_max_f16 v20, v59, v59
	v_pk_add_f16 v21, v1, v15
	s_delay_alu instid0(VALU_DEP_2) | instskip(NEXT) | instid1(VALU_DEP_1)
	v_pk_min_f16 v19, v20, v19
	v_pk_min_f16 v21, v19, v21
	v_lshlrev_b64 v[19:20], 1, v[44:45]
	s_delay_alu instid0(VALU_DEP_2) | instskip(NEXT) | instid1(VALU_DEP_1)
	v_lshrrev_b32_e32 v22, 16, v21
	v_min3_f16 v21, v18, v21, v22
	s_delay_alu instid0(VALU_DEP_3) | instskip(NEXT) | instid1(VALU_DEP_4)
	v_add_co_u32 v18, vcc_lo, v12, v19
	v_add_co_ci_u32_e32 v19, vcc_lo, v13, v20, vcc_lo
	global_store_b16 v[18:19], v21, off
	s_or_b32 exec_lo, exec_lo, s8
	s_and_b32 s8, s3, s4
	s_delay_alu instid0(SALU_CYCLE_1)
	s_and_saveexec_b32 s4, s8
	s_cbranch_execz .LBB218_324
.LBB218_320:
	v_cmp_ne_u32_e32 vcc_lo, 1, v48
	s_cbranch_vccnz .LBB218_322
; %bb.321:
	v_lshlrev_b64 v[18:19], 1, v[46:47]
	s_delay_alu instid0(VALU_DEP_1) | instskip(NEXT) | instid1(VALU_DEP_2)
	v_add_co_u32 v16, vcc_lo, v16, v18
	v_add_co_ci_u32_e32 v17, vcc_lo, v17, v19, vcc_lo
	flat_load_u16 v16, v[16:17]
	s_waitcnt vmcnt(0) lgkmcnt(0)
	v_mul_f16_e32 v16, s15, v16
	s_branch .LBB218_323
.LBB218_322:
	v_mov_b32_e32 v16, 0
.LBB218_323:
	v_pk_add_f16 v14, v2, v14
	v_pk_max_f16 v17, v58, v58
	v_pk_add_f16 v15, v3, v15
	s_delay_alu instid0(VALU_DEP_2) | instskip(NEXT) | instid1(VALU_DEP_1)
	v_pk_min_f16 v14, v17, v14
	v_pk_min_f16 v17, v14, v15
	v_lshlrev_b64 v[14:15], 1, v[46:47]
	s_delay_alu instid0(VALU_DEP_2) | instskip(NEXT) | instid1(VALU_DEP_2)
	v_lshrrev_b32_e32 v18, 16, v17
	v_add_co_u32 v12, vcc_lo, v12, v14
	s_delay_alu instid0(VALU_DEP_3) | instskip(NEXT) | instid1(VALU_DEP_3)
	v_add_co_ci_u32_e32 v13, vcc_lo, v13, v15, vcc_lo
	v_min3_f16 v16, v16, v17, v18
	global_store_b16 v[12:13], v16, off
.LBB218_324:
	s_or_b32 exec_lo, exec_lo, s4
	v_add_nc_u32_e32 v16, 0x70, v49
	s_delay_alu instid0(VALU_DEP_1) | instskip(SKIP_2) | instid1(VALU_DEP_3)
	v_mad_i64_i32 v[12:13], null, v16, s6, 0
	v_mad_i64_i32 v[14:15], null, v16, s5, 0
	v_cmp_gt_i32_e64 s4, s9, v16
	v_lshlrev_b64 v[12:13], 1, v[12:13]
	s_delay_alu instid0(VALU_DEP_2) | instskip(NEXT) | instid1(VALU_DEP_3)
	s_and_b32 s11, s0, s4
	v_lshlrev_b64 v[16:17], 1, v[14:15]
	s_delay_alu instid0(VALU_DEP_2) | instskip(NEXT) | instid1(VALU_DEP_3)
	v_add_co_u32 v14, vcc_lo, s12, v12
	v_add_co_ci_u32_e32 v15, vcc_lo, s13, v13, vcc_lo
	s_delay_alu instid0(VALU_DEP_3) | instskip(NEXT) | instid1(VALU_DEP_4)
	v_add_co_u32 v12, vcc_lo, s7, v16
	v_add_co_ci_u32_e32 v13, vcc_lo, s10, v17, vcc_lo
	s_and_saveexec_b32 s8, s11
	s_cbranch_execnz .LBB218_328
; %bb.325:
	s_or_b32 exec_lo, exec_lo, s8
	s_and_b32 s11, s1, s4
	s_delay_alu instid0(SALU_CYCLE_1)
	s_and_saveexec_b32 s8, s11
	s_cbranch_execnz .LBB218_332
.LBB218_326:
	s_or_b32 exec_lo, exec_lo, s8
	s_and_b32 s11, s2, s4
	s_delay_alu instid0(SALU_CYCLE_1)
	s_and_saveexec_b32 s8, s11
	s_cbranch_execnz .LBB218_336
.LBB218_327:
	s_or_b32 exec_lo, exec_lo, s8
	s_and_b32 s8, s3, s4
	s_delay_alu instid0(SALU_CYCLE_1)
	s_and_saveexec_b32 s4, s8
	s_cbranch_execnz .LBB218_340
	s_branch .LBB218_344
.LBB218_328:
	v_cmp_ne_u32_e32 vcc_lo, 1, v48
	s_cbranch_vccnz .LBB218_330
; %bb.329:
	v_lshlrev_b64 v[16:17], 1, v[40:41]
	s_delay_alu instid0(VALU_DEP_1) | instskip(NEXT) | instid1(VALU_DEP_2)
	v_add_co_u32 v16, vcc_lo, v14, v16
	v_add_co_ci_u32_e32 v17, vcc_lo, v15, v17, vcc_lo
	flat_load_u16 v16, v[16:17]
	s_waitcnt vmcnt(0) lgkmcnt(0)
	v_mul_f16_e32 v16, s15, v16
	s_branch .LBB218_331
.LBB218_330:
	v_mov_b32_e32 v16, 0
.LBB218_331:
	v_pk_add_f16 v17, v8, v4
	v_pk_max_f16 v18, v57, v57
	v_pk_add_f16 v19, v9, v5
	s_delay_alu instid0(VALU_DEP_2) | instskip(NEXT) | instid1(VALU_DEP_1)
	v_pk_min_f16 v17, v18, v17
	v_pk_min_f16 v19, v17, v19
	v_lshlrev_b64 v[17:18], 1, v[40:41]
	s_delay_alu instid0(VALU_DEP_2) | instskip(NEXT) | instid1(VALU_DEP_1)
	v_lshrrev_b32_e32 v20, 16, v19
	v_min3_f16 v19, v16, v19, v20
	s_delay_alu instid0(VALU_DEP_3) | instskip(NEXT) | instid1(VALU_DEP_4)
	v_add_co_u32 v16, vcc_lo, v12, v17
	v_add_co_ci_u32_e32 v17, vcc_lo, v13, v18, vcc_lo
	global_store_b16 v[16:17], v19, off
	s_or_b32 exec_lo, exec_lo, s8
	s_and_b32 s11, s1, s4
	s_delay_alu instid0(SALU_CYCLE_1)
	s_and_saveexec_b32 s8, s11
	s_cbranch_execz .LBB218_326
.LBB218_332:
	v_cmp_ne_u32_e32 vcc_lo, 1, v48
	s_cbranch_vccnz .LBB218_334
; %bb.333:
	v_lshlrev_b64 v[16:17], 1, v[42:43]
	s_delay_alu instid0(VALU_DEP_1) | instskip(NEXT) | instid1(VALU_DEP_2)
	v_add_co_u32 v16, vcc_lo, v14, v16
	v_add_co_ci_u32_e32 v17, vcc_lo, v15, v17, vcc_lo
	flat_load_u16 v16, v[16:17]
	s_waitcnt vmcnt(0) lgkmcnt(0)
	v_mul_f16_e32 v16, s15, v16
	s_branch .LBB218_335
.LBB218_334:
	v_mov_b32_e32 v16, 0
.LBB218_335:
	v_pk_add_f16 v17, v10, v4
	v_pk_max_f16 v18, v56, v56
	v_pk_add_f16 v19, v11, v5
	s_delay_alu instid0(VALU_DEP_2) | instskip(NEXT) | instid1(VALU_DEP_1)
	v_pk_min_f16 v17, v18, v17
	v_pk_min_f16 v19, v17, v19
	v_lshlrev_b64 v[17:18], 1, v[42:43]
	s_delay_alu instid0(VALU_DEP_2) | instskip(NEXT) | instid1(VALU_DEP_1)
	v_lshrrev_b32_e32 v20, 16, v19
	v_min3_f16 v19, v16, v19, v20
	s_delay_alu instid0(VALU_DEP_3) | instskip(NEXT) | instid1(VALU_DEP_4)
	v_add_co_u32 v16, vcc_lo, v12, v17
	v_add_co_ci_u32_e32 v17, vcc_lo, v13, v18, vcc_lo
	global_store_b16 v[16:17], v19, off
	s_or_b32 exec_lo, exec_lo, s8
	s_and_b32 s11, s2, s4
	s_delay_alu instid0(SALU_CYCLE_1)
	s_and_saveexec_b32 s8, s11
	s_cbranch_execz .LBB218_327
.LBB218_336:
	v_cmp_ne_u32_e32 vcc_lo, 1, v48
	s_cbranch_vccnz .LBB218_338
; %bb.337:
	v_lshlrev_b64 v[16:17], 1, v[44:45]
	s_delay_alu instid0(VALU_DEP_1) | instskip(NEXT) | instid1(VALU_DEP_2)
	v_add_co_u32 v16, vcc_lo, v14, v16
	v_add_co_ci_u32_e32 v17, vcc_lo, v15, v17, vcc_lo
	flat_load_u16 v16, v[16:17]
	s_waitcnt vmcnt(0) lgkmcnt(0)
	v_mul_f16_e32 v16, s15, v16
	s_branch .LBB218_339
.LBB218_338:
	v_mov_b32_e32 v16, 0
.LBB218_339:
	v_pk_add_f16 v17, v0, v4
	v_pk_max_f16 v18, v55, v55
	v_pk_add_f16 v19, v1, v5
	s_delay_alu instid0(VALU_DEP_2) | instskip(NEXT) | instid1(VALU_DEP_1)
	v_pk_min_f16 v17, v18, v17
	v_pk_min_f16 v19, v17, v19
	v_lshlrev_b64 v[17:18], 1, v[44:45]
	s_delay_alu instid0(VALU_DEP_2) | instskip(NEXT) | instid1(VALU_DEP_1)
	v_lshrrev_b32_e32 v20, 16, v19
	v_min3_f16 v19, v16, v19, v20
	s_delay_alu instid0(VALU_DEP_3) | instskip(NEXT) | instid1(VALU_DEP_4)
	v_add_co_u32 v16, vcc_lo, v12, v17
	v_add_co_ci_u32_e32 v17, vcc_lo, v13, v18, vcc_lo
	global_store_b16 v[16:17], v19, off
	s_or_b32 exec_lo, exec_lo, s8
	s_and_b32 s8, s3, s4
	s_delay_alu instid0(SALU_CYCLE_1)
	s_and_saveexec_b32 s4, s8
	s_cbranch_execz .LBB218_344
.LBB218_340:
	v_cmp_ne_u32_e32 vcc_lo, 1, v48
	s_cbranch_vccnz .LBB218_342
; %bb.341:
	v_lshlrev_b64 v[16:17], 1, v[46:47]
	s_delay_alu instid0(VALU_DEP_1) | instskip(NEXT) | instid1(VALU_DEP_2)
	v_add_co_u32 v14, vcc_lo, v14, v16
	v_add_co_ci_u32_e32 v15, vcc_lo, v15, v17, vcc_lo
	flat_load_u16 v14, v[14:15]
	s_waitcnt vmcnt(0) lgkmcnt(0)
	v_mul_f16_e32 v14, s15, v14
	s_branch .LBB218_343
.LBB218_342:
	v_mov_b32_e32 v14, 0
.LBB218_343:
	v_pk_add_f16 v4, v2, v4
	v_pk_max_f16 v15, v54, v54
	v_pk_add_f16 v5, v3, v5
	s_delay_alu instid0(VALU_DEP_2) | instskip(NEXT) | instid1(VALU_DEP_1)
	v_pk_min_f16 v4, v15, v4
	v_pk_min_f16 v15, v4, v5
	v_lshlrev_b64 v[4:5], 1, v[46:47]
	s_delay_alu instid0(VALU_DEP_2) | instskip(NEXT) | instid1(VALU_DEP_2)
	v_lshrrev_b32_e32 v16, 16, v15
	v_add_co_u32 v4, vcc_lo, v12, v4
	s_delay_alu instid0(VALU_DEP_3) | instskip(NEXT) | instid1(VALU_DEP_3)
	v_add_co_ci_u32_e32 v5, vcc_lo, v13, v5, vcc_lo
	v_min3_f16 v14, v14, v15, v16
	global_store_b16 v[4:5], v14, off
.LBB218_344:
	s_or_b32 exec_lo, exec_lo, s4
	v_add_nc_u32_e32 v14, 0x78, v49
	s_delay_alu instid0(VALU_DEP_1) | instskip(SKIP_2) | instid1(VALU_DEP_3)
	v_mad_i64_i32 v[4:5], null, v14, s6, 0
	v_mad_i64_i32 v[12:13], null, v14, s5, 0
	v_cmp_gt_i32_e64 s4, s9, v14
	v_lshlrev_b64 v[4:5], 1, v[4:5]
	s_delay_alu instid0(VALU_DEP_2) | instskip(NEXT) | instid1(VALU_DEP_3)
	s_and_b32 s5, s0, s4
	v_lshlrev_b64 v[12:13], 1, v[12:13]
	s_delay_alu instid0(VALU_DEP_2) | instskip(NEXT) | instid1(VALU_DEP_3)
	v_add_co_u32 v14, vcc_lo, s12, v4
	v_add_co_ci_u32_e32 v15, vcc_lo, s13, v5, vcc_lo
	s_delay_alu instid0(VALU_DEP_3) | instskip(NEXT) | instid1(VALU_DEP_4)
	v_add_co_u32 v12, vcc_lo, s7, v12
	v_add_co_ci_u32_e32 v13, vcc_lo, s10, v13, vcc_lo
	s_and_saveexec_b32 s0, s5
	s_cbranch_execnz .LBB218_349
; %bb.345:
	s_or_b32 exec_lo, exec_lo, s0
	s_and_b32 s1, s1, s4
	s_delay_alu instid0(SALU_CYCLE_1)
	s_and_saveexec_b32 s0, s1
	s_cbranch_execnz .LBB218_353
.LBB218_346:
	s_or_b32 exec_lo, exec_lo, s0
	s_and_b32 s1, s2, s4
	s_delay_alu instid0(SALU_CYCLE_1)
	s_and_saveexec_b32 s0, s1
	s_cbranch_execnz .LBB218_357
.LBB218_347:
	s_or_b32 exec_lo, exec_lo, s0
	s_and_b32 s0, s3, s4
	s_delay_alu instid0(SALU_CYCLE_1)
	s_and_saveexec_b32 s1, s0
	s_cbranch_execnz .LBB218_361
.LBB218_348:
	s_nop 0
	s_sendmsg sendmsg(MSG_DEALLOC_VGPRS)
	s_endpgm
.LBB218_349:
	v_cmp_ne_u32_e32 vcc_lo, 1, v48
	v_lshlrev_b64 v[4:5], 1, v[40:41]
	s_cbranch_vccnz .LBB218_351
; %bb.350:
	s_delay_alu instid0(VALU_DEP_1) | instskip(NEXT) | instid1(VALU_DEP_2)
	v_add_co_u32 v16, vcc_lo, v14, v4
	v_add_co_ci_u32_e32 v17, vcc_lo, v15, v5, vcc_lo
	flat_load_u16 v16, v[16:17]
	s_waitcnt vmcnt(0) lgkmcnt(0)
	v_mul_f16_e32 v16, s15, v16
	s_branch .LBB218_352
.LBB218_351:
	v_mov_b32_e32 v16, 0
.LBB218_352:
	v_pk_add_f16 v8, v8, v6
	v_pk_max_f16 v17, v53, v53
	v_pk_add_f16 v9, v9, v7
	v_add_co_u32 v4, vcc_lo, v12, v4
	v_add_co_ci_u32_e32 v5, vcc_lo, v13, v5, vcc_lo
	s_delay_alu instid0(VALU_DEP_4) | instskip(NEXT) | instid1(VALU_DEP_1)
	v_pk_min_f16 v8, v17, v8
	v_pk_min_f16 v8, v8, v9
	s_delay_alu instid0(VALU_DEP_1) | instskip(NEXT) | instid1(VALU_DEP_1)
	v_lshrrev_b32_e32 v9, 16, v8
	v_min3_f16 v8, v16, v8, v9
	global_store_b16 v[4:5], v8, off
	s_or_b32 exec_lo, exec_lo, s0
	s_and_b32 s1, s1, s4
	s_delay_alu instid0(SALU_CYCLE_1)
	s_and_saveexec_b32 s0, s1
	s_cbranch_execz .LBB218_346
.LBB218_353:
	v_cmp_ne_u32_e32 vcc_lo, 1, v48
	v_lshlrev_b64 v[4:5], 1, v[42:43]
	s_cbranch_vccnz .LBB218_355
; %bb.354:
	s_delay_alu instid0(VALU_DEP_1) | instskip(NEXT) | instid1(VALU_DEP_2)
	v_add_co_u32 v8, vcc_lo, v14, v4
	v_add_co_ci_u32_e32 v9, vcc_lo, v15, v5, vcc_lo
	flat_load_u16 v8, v[8:9]
	s_waitcnt vmcnt(0) lgkmcnt(0)
	v_mul_f16_e32 v8, s15, v8
	s_branch .LBB218_356
.LBB218_355:
	v_mov_b32_e32 v8, 0
.LBB218_356:
	v_pk_add_f16 v9, v10, v6
	v_pk_max_f16 v10, v52, v52
	v_pk_add_f16 v11, v11, v7
	v_add_co_u32 v4, vcc_lo, v12, v4
	v_add_co_ci_u32_e32 v5, vcc_lo, v13, v5, vcc_lo
	s_delay_alu instid0(VALU_DEP_4) | instskip(NEXT) | instid1(VALU_DEP_1)
	v_pk_min_f16 v9, v10, v9
	v_pk_min_f16 v9, v9, v11
	s_delay_alu instid0(VALU_DEP_1) | instskip(NEXT) | instid1(VALU_DEP_1)
	v_lshrrev_b32_e32 v10, 16, v9
	v_min3_f16 v8, v8, v9, v10
	global_store_b16 v[4:5], v8, off
	s_or_b32 exec_lo, exec_lo, s0
	s_and_b32 s1, s2, s4
	s_delay_alu instid0(SALU_CYCLE_1)
	s_and_saveexec_b32 s0, s1
	s_cbranch_execz .LBB218_347
.LBB218_357:
	v_cmp_ne_u32_e32 vcc_lo, 1, v48
	v_lshlrev_b64 v[4:5], 1, v[44:45]
	s_cbranch_vccnz .LBB218_359
; %bb.358:
	s_delay_alu instid0(VALU_DEP_1) | instskip(NEXT) | instid1(VALU_DEP_2)
	v_add_co_u32 v8, vcc_lo, v14, v4
	v_add_co_ci_u32_e32 v9, vcc_lo, v15, v5, vcc_lo
	flat_load_u16 v8, v[8:9]
	s_waitcnt vmcnt(0) lgkmcnt(0)
	v_mul_f16_e32 v8, s15, v8
	s_branch .LBB218_360
.LBB218_359:
	v_mov_b32_e32 v8, 0
.LBB218_360:
	v_pk_add_f16 v0, v0, v6
	v_pk_max_f16 v9, v51, v51
	v_pk_add_f16 v1, v1, v7
	s_delay_alu instid0(VALU_DEP_2) | instskip(NEXT) | instid1(VALU_DEP_1)
	v_pk_min_f16 v0, v9, v0
	v_pk_min_f16 v0, v0, v1
	s_delay_alu instid0(VALU_DEP_1) | instskip(NEXT) | instid1(VALU_DEP_1)
	v_lshrrev_b32_e32 v1, 16, v0
	v_min3_f16 v8, v8, v0, v1
	v_add_co_u32 v0, vcc_lo, v12, v4
	v_add_co_ci_u32_e32 v1, vcc_lo, v13, v5, vcc_lo
	global_store_b16 v[0:1], v8, off
	s_or_b32 exec_lo, exec_lo, s0
	s_and_b32 s0, s3, s4
	s_delay_alu instid0(SALU_CYCLE_1)
	s_and_saveexec_b32 s1, s0
	s_cbranch_execz .LBB218_348
.LBB218_361:
	v_cmp_ne_u32_e32 vcc_lo, 1, v48
	v_lshlrev_b64 v[0:1], 1, v[46:47]
	s_cbranch_vccnz .LBB218_363
; %bb.362:
	s_delay_alu instid0(VALU_DEP_1) | instskip(NEXT) | instid1(VALU_DEP_2)
	v_add_co_u32 v4, vcc_lo, v14, v0
	v_add_co_ci_u32_e32 v5, vcc_lo, v15, v1, vcc_lo
	flat_load_u16 v4, v[4:5]
	s_waitcnt vmcnt(0) lgkmcnt(0)
	v_mul_f16_e32 v4, s15, v4
	s_branch .LBB218_364
.LBB218_363:
	v_mov_b32_e32 v4, 0
.LBB218_364:
	v_pk_add_f16 v2, v2, v6
	v_pk_max_f16 v5, v50, v50
	v_pk_add_f16 v3, v3, v7
	v_add_co_u32 v0, vcc_lo, v12, v0
	v_add_co_ci_u32_e32 v1, vcc_lo, v13, v1, vcc_lo
	s_delay_alu instid0(VALU_DEP_4) | instskip(NEXT) | instid1(VALU_DEP_1)
	v_pk_min_f16 v2, v5, v2
	v_pk_min_f16 v2, v2, v3
	s_delay_alu instid0(VALU_DEP_1) | instskip(NEXT) | instid1(VALU_DEP_1)
	v_lshrrev_b32_e32 v3, 16, v2
	v_min3_f16 v2, v4, v2, v3
	global_store_b16 v[0:1], v2, off
	s_nop 0
	s_sendmsg sendmsg(MSG_DEALLOC_VGPRS)
	s_endpgm
	.section	.rodata,"a",@progbits
	.p2align	6, 0x0
	.amdhsa_kernel _ZN12_GLOBAL__N_120geam_min_plus_kernelIDF16_Dv2_DF16_S1_Li32ELi8ELi128ELi128ELi4ELi4ELi64ELi4ELi64ELc84ELc78ELb0ELb1ELb1EDF16_KPKDF16_KPDF16_EEviiiT16_PT17_ilS9_ilS7_S9_ilPT18_ili26rocblas_geam_ex_operation_
		.amdhsa_group_segment_fixed_size 4096
		.amdhsa_private_segment_fixed_size 0
		.amdhsa_kernarg_size 128
		.amdhsa_user_sgpr_count 14
		.amdhsa_user_sgpr_dispatch_ptr 0
		.amdhsa_user_sgpr_queue_ptr 0
		.amdhsa_user_sgpr_kernarg_segment_ptr 1
		.amdhsa_user_sgpr_dispatch_id 0
		.amdhsa_user_sgpr_private_segment_size 0
		.amdhsa_wavefront_size32 1
		.amdhsa_uses_dynamic_stack 0
		.amdhsa_enable_private_segment 0
		.amdhsa_system_sgpr_workgroup_id_x 1
		.amdhsa_system_sgpr_workgroup_id_y 0
		.amdhsa_system_sgpr_workgroup_id_z 1
		.amdhsa_system_sgpr_workgroup_info 0
		.amdhsa_system_vgpr_workitem_id 1
		.amdhsa_next_free_vgpr 156
		.amdhsa_next_free_sgpr 28
		.amdhsa_reserve_vcc 1
		.amdhsa_float_round_mode_32 0
		.amdhsa_float_round_mode_16_64 0
		.amdhsa_float_denorm_mode_32 3
		.amdhsa_float_denorm_mode_16_64 3
		.amdhsa_dx10_clamp 1
		.amdhsa_ieee_mode 1
		.amdhsa_fp16_overflow 0
		.amdhsa_workgroup_processor_mode 1
		.amdhsa_memory_ordered 1
		.amdhsa_forward_progress 0
		.amdhsa_shared_vgpr_count 0
		.amdhsa_exception_fp_ieee_invalid_op 0
		.amdhsa_exception_fp_denorm_src 0
		.amdhsa_exception_fp_ieee_div_zero 0
		.amdhsa_exception_fp_ieee_overflow 0
		.amdhsa_exception_fp_ieee_underflow 0
		.amdhsa_exception_fp_ieee_inexact 0
		.amdhsa_exception_int_div_zero 0
	.end_amdhsa_kernel
	.section	.text._ZN12_GLOBAL__N_120geam_min_plus_kernelIDF16_Dv2_DF16_S1_Li32ELi8ELi128ELi128ELi4ELi4ELi64ELi4ELi64ELc84ELc78ELb0ELb1ELb1EDF16_KPKDF16_KPDF16_EEviiiT16_PT17_ilS9_ilS7_S9_ilPT18_ili26rocblas_geam_ex_operation_,"axG",@progbits,_ZN12_GLOBAL__N_120geam_min_plus_kernelIDF16_Dv2_DF16_S1_Li32ELi8ELi128ELi128ELi4ELi4ELi64ELi4ELi64ELc84ELc78ELb0ELb1ELb1EDF16_KPKDF16_KPDF16_EEviiiT16_PT17_ilS9_ilS7_S9_ilPT18_ili26rocblas_geam_ex_operation_,comdat
.Lfunc_end218:
	.size	_ZN12_GLOBAL__N_120geam_min_plus_kernelIDF16_Dv2_DF16_S1_Li32ELi8ELi128ELi128ELi4ELi4ELi64ELi4ELi64ELc84ELc78ELb0ELb1ELb1EDF16_KPKDF16_KPDF16_EEviiiT16_PT17_ilS9_ilS7_S9_ilPT18_ili26rocblas_geam_ex_operation_, .Lfunc_end218-_ZN12_GLOBAL__N_120geam_min_plus_kernelIDF16_Dv2_DF16_S1_Li32ELi8ELi128ELi128ELi4ELi4ELi64ELi4ELi64ELc84ELc78ELb0ELb1ELb1EDF16_KPKDF16_KPDF16_EEviiiT16_PT17_ilS9_ilS7_S9_ilPT18_ili26rocblas_geam_ex_operation_
                                        ; -- End function
	.section	.AMDGPU.csdata,"",@progbits
; Kernel info:
; codeLenInByte = 23680
; NumSgprs: 30
; NumVgprs: 156
; ScratchSize: 0
; MemoryBound: 0
; FloatMode: 240
; IeeeMode: 1
; LDSByteSize: 4096 bytes/workgroup (compile time only)
; SGPRBlocks: 3
; VGPRBlocks: 19
; NumSGPRsForWavesPerEU: 30
; NumVGPRsForWavesPerEU: 156
; Occupancy: 9
; WaveLimiterHint : 1
; COMPUTE_PGM_RSRC2:SCRATCH_EN: 0
; COMPUTE_PGM_RSRC2:USER_SGPR: 14
; COMPUTE_PGM_RSRC2:TRAP_HANDLER: 0
; COMPUTE_PGM_RSRC2:TGID_X_EN: 1
; COMPUTE_PGM_RSRC2:TGID_Y_EN: 0
; COMPUTE_PGM_RSRC2:TGID_Z_EN: 1
; COMPUTE_PGM_RSRC2:TIDIG_COMP_CNT: 1
	.section	.text._ZN12_GLOBAL__N_120geam_min_plus_kernelIDF16_Dv2_DF16_S1_Li8ELi32ELi64ELi256ELi4ELi64ELi4ELi64ELi4ELc78ELc84ELb0ELb0ELb1EPKDF16_KS3_KPDF16_EEviiiT16_PT17_ilS9_ilS7_S9_ilPT18_ili26rocblas_geam_ex_operation_,"axG",@progbits,_ZN12_GLOBAL__N_120geam_min_plus_kernelIDF16_Dv2_DF16_S1_Li8ELi32ELi64ELi256ELi4ELi64ELi4ELi64ELi4ELc78ELc84ELb0ELb0ELb1EPKDF16_KS3_KPDF16_EEviiiT16_PT17_ilS9_ilS7_S9_ilPT18_ili26rocblas_geam_ex_operation_,comdat
	.globl	_ZN12_GLOBAL__N_120geam_min_plus_kernelIDF16_Dv2_DF16_S1_Li8ELi32ELi64ELi256ELi4ELi64ELi4ELi64ELi4ELc78ELc84ELb0ELb0ELb1EPKDF16_KS3_KPDF16_EEviiiT16_PT17_ilS9_ilS7_S9_ilPT18_ili26rocblas_geam_ex_operation_ ; -- Begin function _ZN12_GLOBAL__N_120geam_min_plus_kernelIDF16_Dv2_DF16_S1_Li8ELi32ELi64ELi256ELi4ELi64ELi4ELi64ELi4ELc78ELc84ELb0ELb0ELb1EPKDF16_KS3_KPDF16_EEviiiT16_PT17_ilS9_ilS7_S9_ilPT18_ili26rocblas_geam_ex_operation_
	.p2align	8
	.type	_ZN12_GLOBAL__N_120geam_min_plus_kernelIDF16_Dv2_DF16_S1_Li8ELi32ELi64ELi256ELi4ELi64ELi4ELi64ELi4ELc78ELc84ELb0ELb0ELb1EPKDF16_KS3_KPDF16_EEviiiT16_PT17_ilS9_ilS7_S9_ilPT18_ili26rocblas_geam_ex_operation_,@function
_ZN12_GLOBAL__N_120geam_min_plus_kernelIDF16_Dv2_DF16_S1_Li8ELi32ELi64ELi256ELi4ELi64ELi4ELi64ELi4ELc78ELc84ELb0ELb0ELb1EPKDF16_KS3_KPDF16_EEviiiT16_PT17_ilS9_ilS7_S9_ilPT18_ili26rocblas_geam_ex_operation_: ; @_ZN12_GLOBAL__N_120geam_min_plus_kernelIDF16_Dv2_DF16_S1_Li8ELi32ELi64ELi256ELi4ELi64ELi4ELi64ELi4ELc78ELc84ELb0ELb0ELb1EPKDF16_KS3_KPDF16_EEviiiT16_PT17_ilS9_ilS7_S9_ilPT18_ili26rocblas_geam_ex_operation_
; %bb.0:
	s_clause 0x1
	s_load_b128 s[4:7], s[0:1], 0x10
	s_load_b128 s[8:11], s[0:1], 0x28
	s_mov_b32 s20, s15
	s_mov_b32 s21, 0
	v_mov_b32_e32 v1, 0
	s_lshl_b64 s[2:3], s[20:21], 1
	s_mov_b64 s[12:13], 0
	s_waitcnt lgkmcnt(0)
	s_add_u32 s4, s4, s2
	s_addc_u32 s5, s5, s3
	global_load_u16 v42, v1, s[4:5]
	s_clause 0x1
	s_load_b128 s[16:19], s[0:1], 0x40
	s_load_b64 s[22:23], s[0:1], 0x50
	s_waitcnt lgkmcnt(0)
	s_add_u32 s2, s18, s2
	s_addc_u32 s3, s19, s3
	s_mov_b64 s[18:19], 0
	s_waitcnt vmcnt(0)
	v_cmp_eq_f16_e64 s5, 0, v42
	v_cmp_neq_f16_e64 s4, 0, v42
	s_delay_alu instid0(VALU_DEP_2)
	s_and_b32 vcc_lo, exec_lo, s5
	s_cbranch_vccnz .LBB219_2
; %bb.1:
	s_lshl_b64 s[18:19], s[20:21], 3
	s_delay_alu instid0(SALU_CYCLE_1)
	s_add_u32 s6, s6, s18
	s_addc_u32 s7, s7, s19
	s_lshl_b64 s[8:9], s[8:9], 1
	s_load_b64 s[6:7], s[6:7], 0x0
	s_waitcnt lgkmcnt(0)
	s_add_u32 s18, s6, s8
	s_addc_u32 s19, s7, s9
.LBB219_2:
	global_load_u16 v48, v1, s[2:3]
	v_cndmask_b32_e64 v1, 0, 1, s4
	s_and_not1_b32 vcc_lo, exec_lo, s4
	s_delay_alu instid0(VALU_DEP_1)
	v_cmp_ne_u32_e64 s3, 1, v1
	s_cbranch_vccnz .LBB219_4
; %bb.3:
	s_lshl_b64 s[6:7], s[20:21], 3
	s_delay_alu instid0(SALU_CYCLE_1)
	s_add_u32 s6, s10, s6
	s_addc_u32 s7, s11, s7
	s_lshl_b64 s[8:9], s[16:17], 1
	s_load_b64 s[6:7], s[6:7], 0x0
	s_waitcnt lgkmcnt(0)
	s_add_u32 s12, s6, s8
	s_addc_u32 s13, s7, s9
.LBB219_4:
	s_load_b128 s[8:11], s[0:1], 0x60
	s_waitcnt vmcnt(0)
	v_cmp_eq_f16_e32 vcc_lo, 0, v48
	s_and_b32 s2, exec_lo, vcc_lo
	s_delay_alu instid0(SALU_CYCLE_1)
	s_mov_b32 vcc_lo, s2
	s_cbranch_vccnz .LBB219_6
; %bb.5:
	s_lshl_b64 s[6:7], s[20:21], 3
	s_delay_alu instid0(SALU_CYCLE_1)
	s_add_u32 s6, s22, s6
	s_addc_u32 s7, s23, s7
	s_waitcnt lgkmcnt(0)
	s_lshl_b64 s[8:9], s[8:9], 1
	s_load_b64 s[6:7], s[6:7], 0x0
	s_waitcnt lgkmcnt(0)
	s_add_u32 s8, s6, s8
	s_addc_u32 s9, s7, s9
	s_branch .LBB219_7
.LBB219_6:
	s_waitcnt lgkmcnt(0)
	s_mov_b64 s[8:9], 0
.LBB219_7:
	s_clause 0x1
	s_load_b32 s16, s[0:1], 0x20
	s_load_b32 s15, s[0:1], 0x0
	s_lshl_b64 s[6:7], s[20:21], 3
	v_and_b32_e32 v40, 0x3ff, v0
	v_bfe_u32 v41, v0, 10, 10
	v_cndmask_b32_e64 v0, 0, 1, s5
	s_waitcnt lgkmcnt(0)
	s_ashr_i32 s17, s16, 31
	s_add_u32 s10, s10, s6
	s_addc_u32 s11, s11, s7
	s_add_i32 s6, s15, -1
	s_delay_alu instid0(SALU_CYCLE_1) | instskip(NEXT) | instid1(SALU_CYCLE_1)
	s_ashr_i32 s7, s6, 31
	s_lshr_b32 s7, s7, 26
	s_delay_alu instid0(SALU_CYCLE_1) | instskip(NEXT) | instid1(SALU_CYCLE_1)
	s_add_i32 s6, s6, s7
	s_ashr_i32 s6, s6, 6
	s_delay_alu instid0(SALU_CYCLE_1) | instskip(SKIP_2) | instid1(VALU_DEP_1)
	s_add_i32 s20, s6, 1
	s_not_b32 s6, s6
	v_cvt_f32_u32_e32 v1, s20
	v_rcp_iflag_f32_e32 v1, v1
	s_waitcnt_depctr 0xfff
	v_mul_f32_e32 v1, 0x4f7ffffe, v1
	s_delay_alu instid0(VALU_DEP_1) | instskip(NEXT) | instid1(VALU_DEP_1)
	v_cvt_u32_f32_e32 v1, v1
	v_readfirstlane_b32 s7, v1
	v_lshl_add_u32 v1, v41, 3, v40
	s_delay_alu instid0(VALU_DEP_2) | instskip(NEXT) | instid1(VALU_DEP_1)
	s_mul_i32 s6, s6, s7
	v_and_b32_e32 v7, 63, v1
	s_mul_hi_u32 s6, s7, s6
	v_lshrrev_b32_e32 v6, 6, v1
	s_add_i32 s7, s7, s6
	s_delay_alu instid0(SALU_CYCLE_1) | instskip(NEXT) | instid1(SALU_CYCLE_1)
	s_mul_hi_u32 s6, s14, s7
	s_mul_i32 s7, s6, s20
	s_add_i32 s15, s6, 1
	s_sub_i32 s7, s14, s7
	s_delay_alu instid0(SALU_CYCLE_1)
	s_sub_i32 s21, s7, s20
	s_cmp_ge_u32 s7, s20
	s_cselect_b32 s6, s15, s6
	s_cselect_b32 s7, s21, s7
	s_add_i32 s21, s6, 1
	s_cmp_ge_u32 s7, s20
	s_mov_b32 s15, -1
	s_cselect_b32 s7, s21, s6
	v_cmp_ne_u32_e64 s6, 1, v0
	s_mul_i32 s22, s7, s20
	s_and_not1_b32 vcc_lo, exec_lo, s5
	s_sub_i32 s20, s14, s22
	s_delay_alu instid0(SALU_CYCLE_1)
	s_lshl_b32 s5, s20, 6
	s_cbranch_vccnz .LBB219_10
; %bb.8:
	v_mov_b32_e32 v1, 0
	s_mov_b32 s15, 0
	v_or_b32_e32 v2, s5, v7
	s_delay_alu instid0(VALU_DEP_1)
	v_ashrrev_i32_e32 v3, 31, v2
	s_cbranch_execz .LBB219_11
.LBB219_9:
	v_mov_b32_e32 v8, s15
	s_branch .LBB219_12
.LBB219_10:
                                        ; implicit-def: $vgpr0_vgpr1
	v_or_b32_e32 v2, s5, v7
	s_and_not1_b32 vcc_lo, exec_lo, s15
	s_delay_alu instid0(VALU_DEP_1)
	v_ashrrev_i32_e32 v3, 31, v2
	s_cbranch_vccnz .LBB219_9
.LBB219_11:
	v_mad_i64_i32 v[0:1], null, s16, v6, 0
	s_delay_alu instid0(VALU_DEP_2) | instskip(NEXT) | instid1(VALU_DEP_2)
	v_lshlrev_b64 v[4:5], 1, v[2:3]
	v_lshlrev_b64 v[0:1], 1, v[0:1]
	s_delay_alu instid0(VALU_DEP_1) | instskip(NEXT) | instid1(VALU_DEP_2)
	v_add_co_u32 v0, vcc_lo, s18, v0
	v_add_co_ci_u32_e32 v1, vcc_lo, s19, v1, vcc_lo
	s_delay_alu instid0(VALU_DEP_2) | instskip(NEXT) | instid1(VALU_DEP_2)
	v_add_co_u32 v0, vcc_lo, v0, v4
	v_add_co_ci_u32_e32 v1, vcc_lo, v1, v5, vcc_lo
	flat_load_u16 v0, v[0:1]
	v_mov_b32_e32 v1, 0
	s_waitcnt vmcnt(0) lgkmcnt(0)
	v_mul_f16_e32 v8, v42, v0
.LBB219_12:
	s_load_b32 s20, s[0:1], 0x38
	s_lshl_b32 s15, s7, 8
	s_waitcnt lgkmcnt(0)
	s_ashr_i32 s21, s20, 31
	v_mul_lo_u32 v4, v1, s20
	v_mad_u64_u32 v[0:1], null, v6, s20, 0
	v_mul_lo_u32 v5, v6, s21
	s_delay_alu instid0(VALU_DEP_1) | instskip(NEXT) | instid1(VALU_DEP_1)
	v_add3_u32 v1, v1, v5, v4
	v_lshlrev_b64 v[4:5], 1, v[0:1]
	v_or_b32_e32 v0, s15, v7
	s_delay_alu instid0(VALU_DEP_1) | instskip(NEXT) | instid1(VALU_DEP_3)
	v_ashrrev_i32_e32 v1, 31, v0
	v_add_co_u32 v4, vcc_lo, s12, v4
	s_delay_alu instid0(VALU_DEP_4)
	v_add_co_ci_u32_e32 v5, vcc_lo, s13, v5, vcc_lo
	s_and_b32 vcc_lo, exec_lo, s3
	s_cbranch_vccnz .LBB219_17
; %bb.13:
	v_lshlrev_b64 v[9:10], 1, v[0:1]
	s_delay_alu instid0(VALU_DEP_1) | instskip(NEXT) | instid1(VALU_DEP_2)
	v_add_co_u32 v9, vcc_lo, v4, v9
	v_add_co_ci_u32_e32 v10, vcc_lo, v5, v10, vcc_lo
	s_clause 0x1
	flat_load_u16 v11, v[9:10]
	flat_load_u16 v10, v[9:10] offset:128
	s_waitcnt vmcnt(1) lgkmcnt(1)
	v_mul_f16_e32 v9, v42, v11
	s_waitcnt vmcnt(0) lgkmcnt(0)
	v_mul_f16_e32 v10, v42, v10
	s_and_b32 vcc_lo, exec_lo, s3
	s_cbranch_vccnz .LBB219_18
.LBB219_14:
	v_lshlrev_b64 v[11:12], 1, v[0:1]
	s_delay_alu instid0(VALU_DEP_1) | instskip(NEXT) | instid1(VALU_DEP_2)
	v_add_co_u32 v4, vcc_lo, v4, v11
	v_add_co_ci_u32_e32 v5, vcc_lo, v5, v12, vcc_lo
	s_clause 0x1
	flat_load_u16 v11, v[4:5] offset:256
	flat_load_u16 v4, v[4:5] offset:384
	s_waitcnt vmcnt(1) lgkmcnt(1)
	v_mul_f16_e32 v11, v42, v11
	s_waitcnt vmcnt(0) lgkmcnt(0)
	v_mul_f16_e32 v12, v42, v4
	v_add_nc_u32_e32 v13, 4, v6
	s_and_b32 vcc_lo, exec_lo, s6
	s_cbranch_vccnz .LBB219_19
.LBB219_15:
	v_mov_b32_e32 v5, 0
	s_mov_b32 s6, 0
	s_cbranch_execz .LBB219_20
; %bb.16:
	v_mov_b32_e32 v2, s6
	s_branch .LBB219_21
.LBB219_17:
	v_dual_mov_b32 v9, 0 :: v_dual_mov_b32 v10, 0
	s_and_b32 vcc_lo, exec_lo, s3
	s_cbranch_vccz .LBB219_14
.LBB219_18:
	v_dual_mov_b32 v11, 0 :: v_dual_mov_b32 v12, 0
	v_add_nc_u32_e32 v13, 4, v6
	s_and_b32 vcc_lo, exec_lo, s6
	s_cbranch_vccz .LBB219_15
.LBB219_19:
	s_mov_b32 s6, -1
                                        ; implicit-def: $vgpr4_vgpr5
.LBB219_20:
	s_delay_alu instid0(VALU_DEP_1) | instskip(SKIP_1) | instid1(VALU_DEP_2)
	v_mad_i64_i32 v[4:5], null, s16, v13, 0
	v_lshlrev_b64 v[2:3], 1, v[2:3]
	v_lshlrev_b64 v[4:5], 1, v[4:5]
	s_delay_alu instid0(VALU_DEP_1) | instskip(NEXT) | instid1(VALU_DEP_2)
	v_add_co_u32 v4, vcc_lo, s18, v4
	v_add_co_ci_u32_e32 v5, vcc_lo, s19, v5, vcc_lo
	s_delay_alu instid0(VALU_DEP_2) | instskip(NEXT) | instid1(VALU_DEP_2)
	v_add_co_u32 v2, vcc_lo, v4, v2
	v_add_co_ci_u32_e32 v3, vcc_lo, v5, v3, vcc_lo
	v_mov_b32_e32 v5, 0
	flat_load_u16 v2, v[2:3]
	s_waitcnt vmcnt(0) lgkmcnt(0)
	v_mul_f16_e32 v2, v42, v2
.LBB219_21:
	v_mul_lo_u32 v5, v5, s20
	v_mul_lo_u32 v14, v13, s21
	v_mad_u64_u32 v[3:4], null, v13, s20, 0
	s_delay_alu instid0(VALU_DEP_1) | instskip(NEXT) | instid1(VALU_DEP_1)
	v_add3_u32 v4, v4, v14, v5
	v_lshlrev_b64 v[3:4], 1, v[3:4]
	s_delay_alu instid0(VALU_DEP_1) | instskip(NEXT) | instid1(VALU_DEP_2)
	v_add_co_u32 v5, vcc_lo, s12, v3
	v_add_co_ci_u32_e32 v13, vcc_lo, s13, v4, vcc_lo
	s_and_b32 vcc_lo, exec_lo, s3
	s_cbranch_vccnz .LBB219_24
; %bb.22:
	v_lshlrev_b64 v[3:4], 1, v[0:1]
	s_delay_alu instid0(VALU_DEP_1) | instskip(NEXT) | instid1(VALU_DEP_2)
	v_add_co_u32 v3, vcc_lo, v5, v3
	v_add_co_ci_u32_e32 v4, vcc_lo, v13, v4, vcc_lo
	s_clause 0x1
	flat_load_u16 v14, v[3:4]
	flat_load_u16 v4, v[3:4] offset:128
	s_waitcnt vmcnt(1) lgkmcnt(1)
	v_mul_f16_e32 v3, v42, v14
	s_waitcnt vmcnt(0) lgkmcnt(0)
	v_mul_f16_e32 v4, v42, v4
	s_and_b32 vcc_lo, exec_lo, s3
	s_cbranch_vccnz .LBB219_25
.LBB219_23:
	v_lshlrev_b64 v[0:1], 1, v[0:1]
	s_delay_alu instid0(VALU_DEP_1) | instskip(NEXT) | instid1(VALU_DEP_2)
	v_add_co_u32 v0, vcc_lo, v5, v0
	v_add_co_ci_u32_e32 v1, vcc_lo, v13, v1, vcc_lo
	s_clause 0x1
	flat_load_u16 v5, v[0:1] offset:256
	flat_load_u16 v1, v[0:1] offset:384
	s_waitcnt vmcnt(1) lgkmcnt(1)
	v_mul_f16_e32 v0, v42, v5
	s_waitcnt vmcnt(0) lgkmcnt(0)
	v_mul_f16_e32 v1, v42, v1
	s_branch .LBB219_26
.LBB219_24:
	v_dual_mov_b32 v3, 0 :: v_dual_mov_b32 v4, 0
	s_and_b32 vcc_lo, exec_lo, s3
	s_cbranch_vccz .LBB219_23
.LBB219_25:
	v_dual_mov_b32 v0, 0 :: v_dual_mov_b32 v1, 0
.LBB219_26:
	v_lshlrev_b32_e32 v5, 1, v6
	v_lshlrev_b32_e32 v43, 3, v40
	v_lshlrev_b32_e32 v80, 3, v41
	s_load_b64 s[6:7], s[10:11], 0x0
	s_load_b32 s10, s[0:1], 0x8
	v_lshl_add_u32 v44, v7, 3, v5
	v_add_nc_u32_e32 v5, 0x1000, v43
	ds_store_b16 v44, v9
	ds_store_b16 v44, v10 offset:512
	ds_store_b16 v44, v11 offset:1024
	;; [unrolled: 1-line block ×4, first 2 shown]
	s_waitcnt lgkmcnt(0)
	s_barrier
	buffer_gl0_inv
	ds_load_2addr_b64 v[8:11], v5 offset1:8
	ds_load_2addr_b64 v[12:15], v80 offset1:32
	ds_load_2addr_b64 v[16:19], v5 offset0:16 offset1:24
	ds_load_2addr_b64 v[20:23], v5 offset0:32 offset1:40
	ds_load_2addr_b64 v[24:27], v5 offset0:48 offset1:56
	ds_load_2addr_b64 v[28:31], v80 offset0:64 offset1:96
	ds_load_2addr_b64 v[32:35], v80 offset0:128 offset1:160
	s_cmp_lt_i32 s10, 9
	s_waitcnt lgkmcnt(5)
	v_pk_add_f16 v5, v8, v12
	v_pk_add_f16 v71, v9, v13
	s_waitcnt lgkmcnt(3)
	v_pk_add_f16 v39, v20, v12
	v_pk_add_f16 v45, v22, v12
	;; [unrolled: 1-line block ×3, first 2 shown]
	v_pk_min_f16 v5, 0x7c00, v5 op_sel_hi:[0,1]
	v_pk_add_f16 v50, v10, v14
	v_pk_add_f16 v51, v16, v14
	;; [unrolled: 1-line block ×4, first 2 shown]
	v_pk_min_f16 v39, 0x7c00, v39 op_sel_hi:[0,1]
	v_pk_min_f16 v120, v5, v71
	v_pk_min_f16 v5, 0x7c00, v45 op_sel_hi:[0,1]
	s_waitcnt lgkmcnt(2)
	v_pk_add_f16 v47, v26, v12
	v_pk_add_f16 v55, v24, v14
	;; [unrolled: 1-line block ×6, first 2 shown]
	v_pk_min_f16 v37, 0x7c00, v37 op_sel_hi:[0,1]
	v_pk_min_f16 v116, v39, v75
	v_pk_min_f16 v39, 0x7c00, v50 op_sel_hi:[0,1]
	v_pk_min_f16 v114, v5, v76
	v_pk_min_f16 v5, 0x7c00, v51 op_sel_hi:[0,1]
	v_pk_add_f16 v36, v10, v12
	v_pk_add_f16 v53, v20, v14
	s_waitcnt lgkmcnt(1)
	v_pk_add_f16 v57, v8, v28
	v_pk_add_f16 v58, v10, v28
	;; [unrolled: 1-line block ×11, first 2 shown]
	v_pk_min_f16 v118, v37, v73
	v_pk_min_f16 v37, 0x7c00, v47 op_sel_hi:[0,1]
	v_pk_min_f16 v105, v39, v81
	v_pk_min_f16 v39, 0x7c00, v55 op_sel_hi:[0,1]
	;; [unrolled: 2-line block ×3, first 2 shown]
	v_pk_add_f16 v46, v24, v12
	v_pk_add_f16 v65, v10, v30
	;; [unrolled: 1-line block ×13, first 2 shown]
	v_pk_min_f16 v36, 0x7c00, v36 op_sel_hi:[0,1]
	v_pk_min_f16 v107, v37, v78
	v_pk_min_f16 v37, 0x7c00, v53 op_sel_hi:[0,1]
	v_pk_min_f16 v100, v39, v86
	;; [unrolled: 2-line block ×3, first 2 shown]
	v_pk_min_f16 v5, 0x7c00, v61 op_sel_hi:[0,1]
	v_pk_min_f16 v28, 0x7c00, v28 op_sel_hi:[0,1]
	v_pk_add_f16 v38, v18, v12
	v_pk_add_f16 v49, v8, v14
	;; [unrolled: 1-line block ×17, first 2 shown]
	ds_load_2addr_b64 v[12:15], v80 offset0:192 offset1:224
	v_pk_min_f16 v119, v36, v72
	v_pk_min_f16 v36, 0x7c00, v46 op_sel_hi:[0,1]
	v_pk_min_f16 v102, v37, v84
	v_pk_min_f16 v37, 0x7c00, v58 op_sel_hi:[0,1]
	v_pk_min_f16 v95, v39, v91
	v_pk_min_f16 v94, v5, v92
	;; [unrolled: 1-line block ×3, first 2 shown]
	v_pk_min_f16 v5, 0x7c00, v65 op_sel_hi:[0,1]
	v_pk_min_f16 v28, 0x7c00, v66 op_sel_hi:[0,1]
	v_pk_add_f16 v109, v9, v31
	v_pk_add_f16 v113, v19, v31
	;; [unrolled: 1-line block ×6, first 2 shown]
	s_waitcnt lgkmcnt(1)
	v_pk_add_f16 v123, v8, v32
	v_pk_add_f16 v124, v10, v32
	;; [unrolled: 1-line block ×4, first 2 shown]
	v_pk_min_f16 v38, 0x7c00, v38 op_sel_hi:[0,1]
	v_pk_min_f16 v110, v36, v77
	v_pk_min_f16 v36, 0x7c00, v52 op_sel_hi:[0,1]
	v_pk_min_f16 v97, v37, v89
	;; [unrolled: 2-line block ×3, first 2 shown]
	v_pk_min_f16 v87, v28, v112
	v_pk_min_f16 v5, 0x7c00, v70 op_sel_hi:[0,1]
	v_pk_min_f16 v28, 0x7c00, v30 op_sel_hi:[0,1]
	v_pk_add_f16 v125, v16, v32
	v_pk_add_f16 v128, v22, v32
	;; [unrolled: 1-line block ×10, first 2 shown]
	v_pk_min_f16 v117, v38, v74
	v_pk_min_f16 v38, 0x7c00, v49 op_sel_hi:[0,1]
	v_pk_min_f16 v103, v36, v83
	v_pk_min_f16 v86, v29, v113
	v_pk_min_f16 v29, 0x7c00, v123 op_sel_hi:[0,1]
	v_pk_min_f16 v30, 0x7c00, v124 op_sel_hi:[0,1]
	v_pk_min_f16 v83, v5, v122
	v_pk_min_f16 v82, v28, v31
	v_pk_min_f16 v5, 0x7c00, v126 op_sel_hi:[0,1]
	v_pk_min_f16 v28, 0x7c00, v127 op_sel_hi:[0,1]
	v_pk_add_f16 v132, v16, v34
	v_pk_add_f16 v133, v18, v34
	;; [unrolled: 1-line block ×11, first 2 shown]
	v_pk_min_f16 v106, v38, v79
	v_pk_min_f16 v36, 0x7c00, v57 op_sel_hi:[0,1]
	v_pk_min_f16 v81, v29, v137
	v_pk_min_f16 v79, v30, v138
	v_pk_min_f16 v29, 0x7c00, v128 op_sel_hi:[0,1]
	v_pk_min_f16 v30, 0x7c00, v129 op_sel_hi:[0,1]
	;; [unrolled: 1-line block ×3, first 2 shown]
	v_pk_min_f16 v77, v5, v140
	v_pk_min_f16 v76, v28, v141
	v_pk_min_f16 v5, 0x7c00, v130 op_sel_hi:[0,1]
	v_pk_min_f16 v28, 0x7c00, v131 op_sel_hi:[0,1]
	v_pk_add_f16 v34, v26, v34
	v_pk_add_f16 v146, v17, v35
	;; [unrolled: 1-line block ×6, first 2 shown]
	v_pk_min_f16 v98, v36, v88
	v_pk_min_f16 v36, 0x7c00, v62 op_sel_hi:[0,1]
	v_pk_min_f16 v37, 0x7c00, v63 op_sel_hi:[0,1]
	v_pk_min_f16 v75, v29, v142
	v_pk_min_f16 v74, v30, v143
	;; [unrolled: 1-line block ×3, first 2 shown]
	v_pk_min_f16 v29, 0x7c00, v132 op_sel_hi:[0,1]
	v_pk_min_f16 v30, 0x7c00, v133 op_sel_hi:[0,1]
	;; [unrolled: 1-line block ×5, first 2 shown]
	v_pk_min_f16 v72, v5, v144
	s_waitcnt lgkmcnt(0)
	v_pk_add_f16 v5, v16, v12
	v_pk_min_f16 v71, v28, v145
	v_pk_add_f16 v28, v18, v12
	v_pk_add_f16 v35, v27, v35
	;; [unrolled: 1-line block ×6, first 2 shown]
	v_pk_min_f16 v93, v36, v93
	v_pk_min_f16 v92, v37, v108
	v_pk_min_f16 v36, 0x7c00, v68 op_sel_hi:[0,1]
	v_pk_min_f16 v37, 0x7c00, v69 op_sel_hi:[0,1]
	v_pk_min_f16 v34, 0x7c00, v34 op_sel_hi:[0,1]
	v_pk_min_f16 v70, v29, v146
	v_pk_add_f16 v29, v20, v12
	v_pk_min_f16 v5, 0x7c00, v5 op_sel_hi:[0,1]
	v_pk_min_f16 v28, 0x7c00, v28 op_sel_hi:[0,1]
	v_pk_min_f16 v69, v30, v147
	v_pk_add_f16 v30, v22, v12
	v_pk_min_f16 v68, v31, v148
	v_pk_add_f16 v31, v24, v12
	;; [unrolled: 2-line block ×4, first 2 shown]
	v_pk_add_f16 v33, v19, v13
	v_pk_add_f16 v153, v9, v13
	;; [unrolled: 1-line block ×5, first 2 shown]
	v_pk_min_f16 v38, 0x7c00, v54 op_sel_hi:[0,1]
	v_pk_min_f16 v30, 0x7c00, v30 op_sel_hi:[0,1]
	v_pk_add_f16 v16, v16, v14
	v_pk_min_f16 v12, 0x7c00, v12 op_sel_hi:[0,1]
	v_pk_min_f16 v8, 0x7c00, v8 op_sel_hi:[0,1]
	;; [unrolled: 1-line block ×3, first 2 shown]
	v_pk_min_f16 v65, v34, v35
	v_pk_add_f16 v34, v21, v13
	v_pk_min_f16 v62, v5, v32
	v_pk_add_f16 v5, v23, v13
	;; [unrolled: 2-line block ×3, first 2 shown]
	v_pk_add_f16 v13, v27, v13
	v_pk_min_f16 v101, v38, v85
	v_pk_min_f16 v38, 0x7c00, v59 op_sel_hi:[0,1]
	v_pk_min_f16 v85, v36, v115
	v_pk_min_f16 v36, 0x7c00, v125 op_sel_hi:[0,1]
	v_pk_min_f16 v16, 0x7c00, v16 op_sel_hi:[0,1]
	v_pk_min_f16 v59, v30, v5
	v_pk_add_f16 v5, v18, v14
	v_pk_add_f16 v18, v20, v14
	v_pk_min_f16 v57, v12, v13
	v_pk_add_f16 v12, v17, v15
	v_pk_min_f16 v56, v8, v9
	;; [unrolled: 2-line block ×3, first 2 shown]
	v_pk_add_f16 v9, v24, v14
	v_pk_add_f16 v10, v26, v14
	v_pk_min_f16 v96, v38, v90
	v_pk_min_f16 v38, 0x7c00, v64 op_sel_hi:[0,1]
	v_pk_min_f16 v84, v37, v121
	v_pk_min_f16 v78, v36, v139
	v_pk_min_f16 v36, 0x7c00, v151 op_sel_hi:[0,1]
	v_pk_min_f16 v37, 0x7c00, v152 op_sel_hi:[0,1]
	;; [unrolled: 1-line block ×4, first 2 shown]
	v_pk_min_f16 v54, v16, v12
	v_pk_min_f16 v5, 0x7c00, v5 op_sel_hi:[0,1]
	v_pk_min_f16 v11, 0x7c00, v18 op_sel_hi:[0,1]
	;; [unrolled: 1-line block ×5, first 2 shown]
	v_pk_add_f16 v12, v19, v15
	v_pk_add_f16 v13, v21, v15
	;; [unrolled: 1-line block ×5, first 2 shown]
	v_pk_min_f16 v90, v38, v109
	v_pk_min_f16 v64, v36, v153
	;; [unrolled: 1-line block ×10, first 2 shown]
	ds_store_b16 v44, v3 offset:2048
	ds_store_b16 v44, v4 offset:2560
	;; [unrolled: 1-line block ×5, first 2 shown]
	s_waitcnt lgkmcnt(0)
	s_barrier
	buffer_gl0_inv
	s_cbranch_scc1 .LBB219_44
; %bb.27:
	v_add_nc_u32_e32 v8, 12, v6
	v_lshl_or_b32 v2, s14, 6, v7
	s_lshl_b32 s11, s22, 6
	v_add_nc_u32_e32 v10, 8, v6
	v_or_b32_e32 v45, 0x1000, v44
	v_mad_i64_i32 v[0:1], null, v8, s16, 0
	v_subrev_nc_u32_e32 v2, s11, v2
	v_mad_i64_i32 v[4:5], null, v8, s20, 0
	v_mad_i64_i32 v[8:9], null, v10, s16, 0
	s_delay_alu instid0(VALU_DEP_3) | instskip(SKIP_3) | instid1(VALU_DEP_4)
	v_ashrrev_i32_e32 v3, 31, v2
	v_lshlrev_b64 v[32:33], 1, v[0:1]
	v_add_nc_u32_e32 v0, s15, v7
	v_mad_i64_i32 v[6:7], null, v10, s20, 0
	v_lshlrev_b64 v[2:3], 1, v[2:3]
	v_lshlrev_b64 v[34:35], 1, v[4:5]
	s_delay_alu instid0(VALU_DEP_4)
	v_ashrrev_i32_e32 v1, 31, v0
	v_lshlrev_b64 v[38:39], 1, v[8:9]
	v_add_nc_u32_e32 v46, 0x1000, v43
	v_add_nc_u32_e32 v47, 0x1200, v44
	v_add_co_u32 v111, vcc_lo, s18, v2
	v_lshlrev_b64 v[0:1], 1, v[0:1]
	v_add_co_ci_u32_e32 v112, vcc_lo, s19, v3, vcc_lo
	v_lshlrev_b64 v[36:37], 1, v[6:7]
	v_or_b32_e32 v88, 0x800, v44
	v_lshl_add_u32 v108, v40, 3, 0x1200
	v_add_co_u32 v113, vcc_lo, s12, v0
	v_lshl_add_u32 v109, v41, 3, 0x800
	v_add_co_ci_u32_e32 v115, vcc_lo, s13, v1, vcc_lo
	s_add_i32 s14, s10, -8
	s_lshl_b64 s[10:11], s[16:17], 4
	s_lshl_b64 s[12:13], s[20:21], 4
	s_mov_b32 s16, 0
	s_and_b32 s4, exec_lo, s4
	s_branch .LBB219_30
.LBB219_28:                             ;   in Loop: Header=BB219_30 Depth=1
	v_add_co_u32 v0, vcc_lo, v113, v34
	v_add_co_ci_u32_e32 v1, vcc_lo, v115, v35, vcc_lo
	s_clause 0x1
	flat_load_u16 v11, v[0:1] offset:256
	flat_load_u16 v1, v[0:1] offset:384
	s_waitcnt vmcnt(1) lgkmcnt(1)
	v_mul_f16_e32 v0, v42, v11
	s_waitcnt vmcnt(0) lgkmcnt(0)
	v_mul_f16_e32 v1, v42, v1
.LBB219_29:                             ;   in Loop: Header=BB219_30 Depth=1
	ds_load_2addr_b64 v[124:127], v46 offset1:8
	ds_load_2addr_b64 v[89:92], v80 offset1:32
	ds_load_2addr_b64 v[128:131], v46 offset0:16 offset1:24
	ds_load_2addr_b64 v[132:135], v46 offset0:32 offset1:40
	;; [unrolled: 1-line block ×6, first 2 shown]
	v_pk_max_f16 v11, v85, v85
	v_pk_max_f16 v17, v83, v83
	;; [unrolled: 1-line block ×13, first 2 shown]
	s_waitcnt lgkmcnt(6)
	v_pk_add_f16 v84, v124, v89
	v_pk_add_f16 v85, v126, v89
	s_waitcnt lgkmcnt(5)
	v_pk_add_f16 v86, v128, v89
	v_pk_add_f16 v87, v130, v89
	;; [unrolled: 3-line block ×4, first 2 shown]
	v_pk_min_f16 v11, v11, v84
	v_pk_min_f16 v17, v17, v85
	;; [unrolled: 1-line block ×5, first 2 shown]
	v_pk_add_f16 v84, v124, v91
	v_pk_add_f16 v85, v126, v91
	;; [unrolled: 1-line block ×5, first 2 shown]
	v_pk_min_f16 v71, v71, v84
	v_pk_min_f16 v78, v78, v85
	;; [unrolled: 1-line block ×5, first 2 shown]
	v_pk_add_f16 v84, v134, v91
	v_pk_add_f16 v85, v136, v91
	v_pk_max_f16 v74, v74, v74
	v_pk_add_f16 v86, v138, v91
	v_pk_max_f16 v72, v72, v72
	s_waitcnt lgkmcnt(2)
	v_pk_add_f16 v87, v124, v140
	v_pk_max_f16 v70, v70, v70
	v_pk_add_f16 v89, v126, v140
	v_pk_max_f16 v68, v68, v68
	v_pk_min_f16 v66, v66, v84
	v_pk_min_f16 v74, v74, v85
	v_pk_min_f16 v72, v72, v86
	v_pk_min_f16 v70, v70, v87
	v_pk_min_f16 v68, v68, v89
	v_pk_add_f16 v84, v128, v140
	v_pk_max_f16 v61, v61, v61
	v_pk_add_f16 v85, v130, v140
	v_pk_max_f16 v69, v69, v69
	v_pk_add_f16 v86, v132, v140
	v_pk_max_f16 v67, v67, v67
	v_pk_add_f16 v87, v134, v140
	v_pk_max_f16 v65, v65, v65
	v_pk_add_f16 v89, v136, v140
	v_pk_max_f16 v63, v63, v63
	v_pk_min_f16 v61, v61, v84
	v_pk_min_f16 v69, v69, v85
	v_pk_min_f16 v67, v67, v86
	v_pk_min_f16 v65, v65, v87
	v_pk_min_f16 v63, v63, v89
	v_pk_add_f16 v84, v138, v140
	v_pk_max_f16 v56, v56, v56
	v_pk_add_f16 v85, v124, v142
	v_pk_max_f16 v64, v64, v64
	v_pk_add_f16 v86, v126, v142
	v_pk_max_f16 v62, v62, v62
	;; [unrolled: 15-line block ×3, first 2 shown]
	v_pk_add_f16 v87, v138, v142
	v_pk_max_f16 v55, v55, v55
	s_waitcnt lgkmcnt(1)
	v_pk_add_f16 v89, v124, v144
	v_pk_max_f16 v53, v53, v53
	v_pk_min_f16 v51, v51, v84
	v_pk_min_f16 v59, v59, v85
	v_pk_min_f16 v57, v57, v86
	v_pk_min_f16 v55, v55, v87
	v_pk_min_f16 v53, v53, v89
	v_pk_add_f16 v84, v126, v144
	v_pk_max_f16 v29, v29, v29
	v_pk_add_f16 v85, v128, v144
	v_pk_max_f16 v54, v54, v54
	v_pk_add_f16 v86, v130, v144
	v_pk_max_f16 v52, v52, v52
	v_pk_add_f16 v87, v132, v144
	v_pk_max_f16 v50, v50, v50
	v_pk_add_f16 v89, v134, v144
	v_pk_max_f16 v31, v31, v31
	v_pk_min_f16 v29, v29, v84
	v_pk_min_f16 v54, v54, v85
	v_pk_min_f16 v52, v52, v86
	v_pk_min_f16 v50, v50, v87
	v_pk_min_f16 v31, v31, v89
	v_pk_add_f16 v84, v136, v144
	v_pk_max_f16 v24, v24, v24
	v_pk_add_f16 v85, v138, v144
	v_pk_max_f16 v49, v49, v49
	v_pk_add_f16 v86, v124, v146
	v_pk_max_f16 v30, v30, v30
	v_pk_add_f16 v87, v126, v146
	v_pk_max_f16 v28, v28, v28
	;; [unrolled: 15-line block ×3, first 2 shown]
	v_pk_add_f16 v89, v138, v146
	v_pk_max_f16 v21, v21, v21
	v_pk_min_f16 v18, v18, v84
	v_pk_min_f16 v27, v27, v85
	;; [unrolled: 1-line block ×5, first 2 shown]
	s_waitcnt lgkmcnt(0)
	v_pk_add_f16 v84, v124, v148
	v_pk_max_f16 v12, v12, v12
	v_pk_add_f16 v85, v126, v148
	v_pk_max_f16 v22, v22, v22
	;; [unrolled: 2-line block ×5, first 2 shown]
	v_pk_min_f16 v12, v12, v84
	v_pk_min_f16 v22, v22, v85
	;; [unrolled: 1-line block ×5, first 2 shown]
	v_pk_add_f16 v84, v134, v148
	v_pk_max_f16 v6, v6, v6
	v_pk_add_f16 v85, v136, v148
	v_pk_max_f16 v15, v15, v15
	;; [unrolled: 2-line block ×5, first 2 shown]
	v_pk_min_f16 v6, v6, v84
	v_pk_min_f16 v15, v15, v85
	;; [unrolled: 1-line block ×5, first 2 shown]
	v_pk_add_f16 v84, v128, v150
	v_pk_max_f16 v4, v4, v4
	v_pk_add_f16 v85, v130, v150
	v_pk_max_f16 v9, v9, v9
	;; [unrolled: 2-line block ×5, first 2 shown]
	v_pk_max_f16 v82, v82, v82
	v_pk_min_f16 v4, v4, v84
	v_pk_min_f16 v9, v9, v85
	;; [unrolled: 1-line block ×5, first 2 shown]
	v_pk_add_f16 v84, v138, v150
	v_pk_max_f16 v2, v2, v2
	v_pk_add_f16 v85, v125, v90
	v_pk_add_f16 v86, v127, v90
	;; [unrolled: 1-line block ×4, first 2 shown]
	v_pk_min_f16 v81, v81, v93
	v_pk_min_f16 v83, v83, v94
	;; [unrolled: 1-line block ×8, first 2 shown]
	v_pk_add_f16 v11, v133, v90
	v_pk_add_f16 v17, v135, v90
	v_pk_add_f16 v19, v137, v90
	v_pk_add_f16 v79, v139, v90
	v_pk_add_f16 v84, v125, v92
	v_pk_min_f16 v116, v81, v11
	v_pk_min_f16 v114, v83, v17
	v_pk_min_f16 v110, v82, v19
	v_pk_min_f16 v107, v77, v79
	v_pk_min_f16 v106, v71, v84
	v_pk_add_f16 v11, v127, v92
	v_pk_add_f16 v17, v129, v92
	v_pk_add_f16 v19, v131, v92
	v_pk_add_f16 v71, v133, v92
	v_pk_add_f16 v77, v135, v92
	v_pk_min_f16 v105, v78, v11
	v_pk_min_f16 v104, v76, v17
	v_pk_min_f16 v103, v75, v19
	v_pk_min_f16 v102, v73, v71
	v_pk_min_f16 v101, v66, v77
	v_pk_add_f16 v11, v137, v92
	v_pk_add_f16 v17, v139, v92
	v_pk_add_f16 v19, v125, v141
	v_pk_add_f16 v66, v127, v141
	v_pk_add_f16 v71, v129, v141
	v_pk_min_f16 v100, v74, v11
	v_pk_min_f16 v99, v72, v17
	v_pk_min_f16 v98, v70, v19
	v_pk_min_f16 v97, v68, v66
	v_pk_min_f16 v96, v61, v71
	v_pk_add_f16 v11, v131, v141
	v_pk_add_f16 v17, v133, v141
	v_pk_add_f16 v19, v135, v141
	v_pk_add_f16 v61, v137, v141
	v_pk_add_f16 v66, v139, v141
	v_pk_min_f16 v95, v69, v11
	v_pk_min_f16 v94, v67, v17
	v_pk_min_f16 v93, v65, v19
	v_pk_min_f16 v92, v63, v61
	v_pk_min_f16 v91, v56, v66
	v_pk_add_f16 v11, v125, v143
	v_pk_add_f16 v17, v127, v143
	v_pk_add_f16 v19, v129, v143
	v_pk_add_f16 v56, v131, v143
	v_pk_add_f16 v61, v133, v143
	v_pk_min_f16 v90, v64, v11
	v_pk_min_f16 v89, v62, v17
	v_pk_min_f16 v87, v60, v19
	v_pk_min_f16 v86, v58, v56
	v_pk_min_f16 v85, v51, v61
	v_pk_add_f16 v11, v135, v143
	v_pk_add_f16 v17, v137, v143
	v_pk_add_f16 v19, v139, v143
	v_pk_add_f16 v51, v125, v145
	v_pk_add_f16 v56, v127, v145
	v_pk_min_f16 v84, v59, v11
	v_pk_min_f16 v83, v57, v17
	v_pk_min_f16 v82, v55, v19
	v_pk_min_f16 v81, v53, v51
	v_pk_min_f16 v79, v29, v56
	v_pk_add_f16 v11, v129, v145
	v_pk_add_f16 v17, v131, v145
	v_pk_add_f16 v19, v133, v145
	v_pk_add_f16 v29, v135, v145
	v_pk_add_f16 v51, v137, v145
	v_pk_min_f16 v78, v54, v11
	v_pk_min_f16 v77, v52, v17
	v_pk_min_f16 v76, v50, v19
	v_pk_min_f16 v75, v31, v29
	v_pk_min_f16 v74, v24, v51
	v_pk_add_f16 v11, v139, v145
	v_pk_add_f16 v17, v125, v147
	v_pk_add_f16 v19, v127, v147
	v_pk_add_f16 v24, v129, v147
	v_pk_add_f16 v29, v131, v147
	v_pk_min_f16 v73, v49, v11
	v_pk_min_f16 v72, v30, v17
	v_pk_min_f16 v71, v28, v19
	v_pk_min_f16 v70, v26, v24
	v_pk_min_f16 v69, v18, v29
	v_pk_add_f16 v11, v133, v147
	v_pk_add_f16 v17, v135, v147
	v_pk_add_f16 v18, v137, v147
	v_pk_add_f16 v19, v139, v147
	v_pk_add_f16 v24, v125, v149
	v_pk_min_f16 v68, v27, v11
	v_pk_min_f16 v67, v25, v17
	v_pk_min_f16 v66, v23, v18
	v_pk_min_f16 v65, v21, v19
	v_pk_min_f16 v64, v12, v24
	v_pk_add_f16 v11, v127, v149
	v_pk_add_f16 v12, v129, v149
	v_pk_add_f16 v17, v131, v149
	v_pk_add_f16 v18, v133, v149
	v_pk_add_f16 v19, v135, v149
	v_pk_min_f16 v63, v22, v11
	v_pk_min_f16 v62, v20, v12
	v_pk_min_f16 v61, v16, v17
	v_pk_min_f16 v60, v14, v18
	v_pk_min_f16 v59, v6, v19
	v_pk_add_f16 v6, v137, v149
	v_pk_add_f16 v11, v139, v149
	v_pk_add_f16 v12, v125, v151
	v_pk_add_f16 v14, v127, v151
	v_pk_add_f16 v16, v129, v151
	v_pk_min_f16 v58, v15, v6
	v_pk_min_f16 v57, v13, v11
	v_pk_min_f16 v56, v10, v12
	v_pk_min_f16 v55, v8, v14
	v_pk_min_f16 v54, v4, v16
	v_pk_add_f16 v4, v131, v151
	v_pk_add_f16 v6, v133, v151
	;; [unrolled: 1-line block ×5, first 2 shown]
	v_add_co_u32 v111, vcc_lo, v111, s10
	v_add_co_ci_u32_e32 v112, vcc_lo, s11, v112, vcc_lo
	v_add_co_u32 v113, vcc_lo, v113, s12
	v_pk_min_f16 v53, v9, v4
	v_pk_min_f16 v52, v7, v6
	;; [unrolled: 1-line block ×5, first 2 shown]
	v_add_co_ci_u32_e32 v115, vcc_lo, s13, v115, vcc_lo
	s_add_i32 s16, s16, 8
	ds_store_b16 v47, v121
	ds_store_b16 v88, v122
	ds_store_b16 v88, v123 offset:512
	ds_store_b16 v88, v0 offset:1024
	;; [unrolled: 1-line block ×3, first 2 shown]
	s_cmp_ge_i32 s16, s14
	s_waitcnt lgkmcnt(0)
	s_barrier
	buffer_gl0_inv
	s_cbranch_scc1 .LBB219_44
.LBB219_30:                             ; =>This Inner Loop Header: Depth=1
	s_and_b32 vcc_lo, exec_lo, s3
	s_cbranch_vccnz .LBB219_34
; %bb.31:                               ;   in Loop: Header=BB219_30 Depth=1
	v_add_co_u32 v0, vcc_lo, v111, v38
	v_add_co_ci_u32_e32 v1, vcc_lo, v112, v39, vcc_lo
	flat_load_u16 v0, v[0:1]
	s_waitcnt vmcnt(0) lgkmcnt(0)
	v_mul_f16_e32 v121, v42, v0
	s_and_b32 vcc_lo, exec_lo, s3
	s_cbranch_vccnz .LBB219_35
.LBB219_32:                             ;   in Loop: Header=BB219_30 Depth=1
	v_add_co_u32 v0, vcc_lo, v113, v36
	v_add_co_ci_u32_e32 v1, vcc_lo, v115, v37, vcc_lo
	s_clause 0x1
	flat_load_u16 v2, v[0:1]
	flat_load_u16 v0, v[0:1] offset:128
	s_waitcnt vmcnt(1) lgkmcnt(1)
	v_mul_f16_e32 v122, v42, v2
	s_waitcnt vmcnt(0) lgkmcnt(0)
	v_mul_f16_e32 v123, v42, v0
	s_and_b32 vcc_lo, exec_lo, s3
	s_cbranch_vccnz .LBB219_36
.LBB219_33:                             ;   in Loop: Header=BB219_30 Depth=1
	v_add_co_u32 v0, vcc_lo, v113, v36
	v_add_co_ci_u32_e32 v1, vcc_lo, v115, v37, vcc_lo
	s_clause 0x1
	flat_load_u16 v2, v[0:1] offset:256
	flat_load_u16 v0, v[0:1] offset:384
	s_waitcnt vmcnt(1) lgkmcnt(1)
	v_mul_f16_e32 v124, v42, v2
	s_waitcnt vmcnt(0) lgkmcnt(0)
	v_mul_f16_e32 v125, v42, v0
	s_branch .LBB219_37
.LBB219_34:                             ;   in Loop: Header=BB219_30 Depth=1
	v_mov_b32_e32 v121, 0
	s_and_b32 vcc_lo, exec_lo, s3
	s_cbranch_vccz .LBB219_32
.LBB219_35:                             ;   in Loop: Header=BB219_30 Depth=1
	v_dual_mov_b32 v122, 0 :: v_dual_mov_b32 v123, 0
	s_and_b32 vcc_lo, exec_lo, s3
	s_cbranch_vccz .LBB219_33
.LBB219_36:                             ;   in Loop: Header=BB219_30 Depth=1
	v_dual_mov_b32 v124, 0 :: v_dual_mov_b32 v125, 0
.LBB219_37:                             ;   in Loop: Header=BB219_30 Depth=1
	ds_load_2addr_b64 v[12:15], v108 offset1:8
	ds_load_2addr_b64 v[8:11], v108 offset0:16 offset1:24
	ds_load_2addr_b64 v[4:7], v108 offset0:32 offset1:40
	;; [unrolled: 1-line block ×3, first 2 shown]
	ds_load_2addr_b64 v[28:31], v109 offset1:32
	ds_load_2addr_b64 v[24:27], v109 offset0:64 offset1:96
	ds_load_2addr_b64 v[20:23], v109 offset0:128 offset1:160
	;; [unrolled: 1-line block ×3, first 2 shown]
	s_mov_b32 vcc_lo, s4
	ds_store_b16 v45, v121
	ds_store_b16 v44, v122
	ds_store_b16 v44, v123 offset:512
	ds_store_b16 v44, v124 offset:1024
	;; [unrolled: 1-line block ×3, first 2 shown]
	s_waitcnt lgkmcnt(0)
	s_barrier
	buffer_gl0_inv
	s_cbranch_vccz .LBB219_40
; %bb.38:                               ;   in Loop: Header=BB219_30 Depth=1
	v_add_co_u32 v121, vcc_lo, v111, v32
	v_add_co_ci_u32_e32 v122, vcc_lo, v112, v33, vcc_lo
	flat_load_u16 v121, v[121:122]
	s_waitcnt vmcnt(0) lgkmcnt(0)
	v_mul_f16_e32 v121, v42, v121
	s_and_b32 vcc_lo, exec_lo, s3
	s_cbranch_vccnz .LBB219_41
.LBB219_39:                             ;   in Loop: Header=BB219_30 Depth=1
	v_add_co_u32 v122, vcc_lo, v113, v34
	v_add_co_ci_u32_e32 v123, vcc_lo, v115, v35, vcc_lo
	s_clause 0x1
	flat_load_u16 v124, v[122:123]
	flat_load_u16 v123, v[122:123] offset:128
	s_waitcnt vmcnt(1) lgkmcnt(1)
	v_mul_f16_e32 v122, v42, v124
	s_waitcnt vmcnt(0) lgkmcnt(0)
	v_mul_f16_e32 v123, v42, v123
	s_branch .LBB219_42
.LBB219_40:                             ;   in Loop: Header=BB219_30 Depth=1
	v_mov_b32_e32 v121, 0
	s_and_b32 vcc_lo, exec_lo, s3
	s_cbranch_vccz .LBB219_39
.LBB219_41:                             ;   in Loop: Header=BB219_30 Depth=1
	v_dual_mov_b32 v122, 0 :: v_dual_mov_b32 v123, 0
.LBB219_42:                             ;   in Loop: Header=BB219_30 Depth=1
	v_pk_add_f16 v124, v12, v28
	v_pk_max_f16 v120, v120, v120
	v_pk_add_f16 v125, v14, v28
	v_pk_max_f16 v119, v119, v119
	;; [unrolled: 2-line block ×3, first 2 shown]
	v_pk_min_f16 v120, v120, v124
	v_pk_add_f16 v124, v10, v28
	v_pk_min_f16 v119, v119, v125
	v_pk_max_f16 v117, v117, v117
	v_pk_min_f16 v118, v118, v126
	v_pk_add_f16 v125, v4, v28
	v_pk_max_f16 v116, v116, v116
	v_pk_add_f16 v126, v6, v28
	v_pk_add_f16 v127, v0, v28
	;; [unrolled: 1-line block ×3, first 2 shown]
	v_pk_max_f16 v107, v107, v107
	v_pk_max_f16 v114, v114, v114
	;; [unrolled: 1-line block ×3, first 2 shown]
	v_pk_min_f16 v117, v117, v124
	v_pk_min_f16 v116, v116, v125
	;; [unrolled: 1-line block ×3, first 2 shown]
	v_pk_add_f16 v107, v12, v30
	v_pk_max_f16 v106, v106, v106
	v_pk_add_f16 v124, v14, v30
	v_pk_max_f16 v105, v105, v105
	;; [unrolled: 2-line block ×3, first 2 shown]
	v_pk_min_f16 v114, v114, v126
	v_pk_min_f16 v110, v110, v127
	v_pk_add_f16 v126, v10, v30
	v_pk_max_f16 v103, v103, v103
	v_pk_add_f16 v127, v4, v30
	v_pk_min_f16 v106, v106, v107
	v_pk_min_f16 v105, v105, v124
	;; [unrolled: 1-line block ×3, first 2 shown]
	v_pk_add_f16 v107, v6, v30
	v_pk_max_f16 v101, v101, v101
	v_pk_add_f16 v124, v0, v30
	v_pk_add_f16 v30, v2, v30
	v_pk_max_f16 v99, v99, v99
	v_pk_add_f16 v125, v12, v24
	v_pk_max_f16 v98, v98, v98
	v_pk_min_f16 v103, v103, v126
	v_pk_max_f16 v100, v100, v100
	v_pk_add_f16 v126, v14, v24
	v_pk_max_f16 v97, v97, v97
	v_pk_min_f16 v101, v101, v107
	v_pk_min_f16 v30, v99, v30
	;; [unrolled: 1-line block ×3, first 2 shown]
	v_pk_add_f16 v99, v8, v24
	v_pk_max_f16 v96, v96, v96
	v_pk_add_f16 v107, v10, v24
	v_pk_max_f16 v95, v95, v95
	;; [unrolled: 2-line block ×3, first 2 shown]
	v_pk_min_f16 v100, v100, v124
	v_pk_min_f16 v97, v97, v126
	v_pk_add_f16 v124, v4, v24
	v_pk_max_f16 v94, v94, v94
	v_pk_add_f16 v126, v0, v24
	v_pk_min_f16 v96, v96, v99
	v_pk_min_f16 v95, v95, v107
	;; [unrolled: 1-line block ×3, first 2 shown]
	v_pk_add_f16 v24, v2, v24
	v_pk_max_f16 v91, v91, v91
	v_pk_add_f16 v99, v12, v26
	v_pk_max_f16 v90, v90, v90
	;; [unrolled: 2-line block ×4, first 2 shown]
	v_pk_min_f16 v94, v94, v124
	v_pk_add_f16 v124, v8, v26
	v_pk_min_f16 v24, v91, v24
	v_pk_min_f16 v90, v90, v99
	;; [unrolled: 1-line block ×4, first 2 shown]
	v_pk_add_f16 v86, v4, v26
	v_pk_add_f16 v99, v6, v26
	v_pk_add_f16 v107, v0, v26
	v_pk_max_f16 v83, v83, v83
	v_pk_add_f16 v26, v2, v26
	v_pk_max_f16 v82, v82, v82
	v_pk_max_f16 v102, v102, v102
	;; [unrolled: 1-line block ×5, first 2 shown]
	v_pk_min_f16 v107, v83, v107
	v_pk_min_f16 v26, v82, v26
	v_pk_add_f16 v82, v8, v20
	v_pk_max_f16 v78, v78, v78
	v_pk_add_f16 v83, v10, v20
	v_pk_max_f16 v77, v77, v77
	v_pk_min_f16 v102, v102, v127
	v_pk_min_f16 v87, v87, v124
	v_pk_add_f16 v124, v12, v20
	v_pk_max_f16 v81, v81, v81
	v_pk_min_f16 v125, v85, v86
	v_pk_min_f16 v99, v84, v99
	v_pk_add_f16 v84, v4, v20
	v_pk_max_f16 v76, v76, v76
	v_pk_add_f16 v85, v6, v20
	v_pk_max_f16 v75, v75, v75
	v_pk_min_f16 v127, v78, v82
	v_pk_min_f16 v128, v77, v83
	v_pk_add_f16 v77, v14, v22
	v_pk_max_f16 v71, v71, v71
	v_pk_add_f16 v78, v8, v22
	v_pk_max_f16 v70, v70, v70
	v_pk_min_f16 v124, v81, v124
	v_pk_add_f16 v81, v14, v20
	v_pk_min_f16 v129, v76, v84
	v_pk_min_f16 v130, v75, v85
	v_pk_add_f16 v75, v0, v20
	v_pk_add_f16 v20, v2, v20
	v_pk_max_f16 v73, v73, v73
	v_pk_add_f16 v76, v12, v22
	v_pk_max_f16 v72, v72, v72
	v_pk_min_f16 v133, v71, v77
	v_pk_min_f16 v134, v70, v78
	v_pk_add_f16 v70, v10, v22
	v_pk_max_f16 v69, v69, v69
	v_pk_add_f16 v71, v4, v22
	v_pk_max_f16 v68, v68, v68
	v_pk_min_f16 v20, v73, v20
	v_pk_min_f16 v132, v72, v76
	v_pk_add_f16 v72, v6, v22
	v_pk_max_f16 v67, v67, v67
	v_pk_add_f16 v73, v0, v22
	v_pk_max_f16 v66, v66, v66
	;; [unrolled: 2-line block ×3, first 2 shown]
	v_pk_min_f16 v135, v69, v70
	v_pk_min_f16 v136, v68, v71
	v_pk_add_f16 v68, v10, v16
	v_pk_max_f16 v61, v61, v61
	v_pk_add_f16 v69, v4, v16
	v_pk_max_f16 v60, v60, v60
	v_pk_min_f16 v137, v67, v72
	v_pk_min_f16 v138, v66, v73
	;; [unrolled: 1-line block ×3, first 2 shown]
	v_pk_add_f16 v65, v12, v16
	v_pk_add_f16 v66, v14, v16
	;; [unrolled: 1-line block ×3, first 2 shown]
	v_pk_min_f16 v142, v61, v68
	v_pk_min_f16 v143, v60, v69
	v_pk_add_f16 v60, v6, v16
	v_pk_add_f16 v61, v0, v16
	;; [unrolled: 1-line block ×3, first 2 shown]
	v_pk_max_f16 v57, v57, v57
	v_pk_add_f16 v12, v12, v18
	v_pk_max_f16 v56, v56, v56
	v_pk_add_f16 v14, v14, v18
	v_pk_max_f16 v55, v55, v55
	v_pk_min_f16 v146, v57, v16
	v_pk_add_f16 v8, v8, v18
	v_pk_min_f16 v147, v56, v12
	v_pk_max_f16 v12, v54, v54
	v_pk_add_f16 v4, v4, v18
	v_pk_max_f16 v16, v52, v52
	v_pk_min_f16 v148, v55, v14
	v_pk_add_f16 v10, v10, v18
	v_pk_max_f16 v14, v53, v53
	v_pk_add_f16 v6, v6, v18
	v_pk_max_f16 v51, v51, v51
	v_pk_min_f16 v149, v12, v8
	v_pk_min_f16 v151, v16, v4
	v_pk_add_f16 v2, v2, v18
	v_pk_max_f16 v4, v49, v49
	v_pk_add_f16 v8, v15, v29
	v_pk_max_f16 v92, v92, v92
	v_pk_max_f16 v79, v79, v79
	v_pk_min_f16 v150, v14, v10
	v_pk_min_f16 v152, v51, v6
	v_pk_add_f16 v6, v13, v29
	v_pk_add_f16 v10, v9, v29
	v_pk_min_f16 v2, v4, v2
	v_pk_min_f16 v83, v119, v8
	v_pk_add_f16 v4, v5, v29
	v_pk_add_f16 v8, v1, v29
	v_pk_min_f16 v92, v92, v126
	v_pk_min_f16 v126, v79, v81
	v_pk_max_f16 v74, v74, v74
	v_pk_add_f16 v12, v11, v29
	v_pk_min_f16 v85, v120, v6
	v_pk_min_f16 v81, v118, v10
	v_pk_add_f16 v6, v7, v29
	v_pk_add_f16 v10, v3, v29
	v_pk_min_f16 v86, v116, v4
	v_pk_min_f16 v82, v110, v8
	v_pk_add_f16 v4, v15, v31
	;; [unrolled: 4-line block ×3, first 2 shown]
	v_pk_min_f16 v84, v114, v6
	v_pk_min_f16 v77, v28, v10
	v_pk_add_f16 v6, v9, v31
	v_pk_add_f16 v10, v5, v31
	v_pk_min_f16 v78, v105, v4
	v_pk_min_f16 v75, v103, v8
	v_pk_add_f16 v4, v1, v31
	v_pk_add_f16 v8, v13, v25
	v_pk_max_f16 v64, v64, v64
	v_pk_max_f16 v63, v63, v63
	v_pk_min_f16 v71, v106, v12
	v_pk_add_f16 v12, v7, v31
	v_pk_min_f16 v76, v104, v6
	v_pk_min_f16 v73, v102, v10
	v_pk_add_f16 v6, v3, v31
	v_pk_add_f16 v10, v15, v25
	v_pk_min_f16 v74, v100, v4
	v_pk_min_f16 v70, v98, v8
	v_pk_add_f16 v4, v11, v25
	v_pk_add_f16 v8, v7, v25
	v_pk_max_f16 v62, v62, v62
	v_pk_min_f16 v139, v64, v65
	v_pk_min_f16 v140, v63, v66
	v_pk_max_f16 v59, v59, v59
	v_pk_max_f16 v58, v58, v58
	v_pk_min_f16 v66, v101, v12
	v_pk_add_f16 v12, v9, v25
	v_pk_min_f16 v72, v30, v6
	v_pk_min_f16 v68, v97, v10
	v_pk_add_f16 v6, v5, v25
	v_pk_add_f16 v10, v1, v25
	v_pk_min_f16 v69, v95, v4
	v_pk_min_f16 v65, v93, v8
	v_pk_add_f16 v4, v13, v27
	v_pk_add_f16 v8, v9, v27
	v_pk_min_f16 v141, v62, v67
	v_pk_min_f16 v144, v59, v60
	;; [unrolled: 1-line block ×4, first 2 shown]
	v_pk_add_f16 v12, v3, v25
	v_pk_min_f16 v67, v94, v6
	v_pk_min_f16 v63, v92, v10
	v_pk_add_f16 v6, v15, v27
	v_pk_add_f16 v10, v11, v27
	v_pk_min_f16 v64, v90, v4
	v_pk_min_f16 v60, v87, v8
	v_pk_add_f16 v4, v7, v27
	v_pk_add_f16 v8, v3, v27
	;; [unrolled: 1-line block ×3, first 2 shown]
	v_pk_max_f16 v50, v50, v50
	v_pk_min_f16 v56, v24, v12
	v_pk_add_f16 v12, v5, v27
	v_pk_min_f16 v62, v89, v6
	v_pk_min_f16 v58, v91, v10
	v_pk_add_f16 v6, v1, v27
	v_pk_add_f16 v10, v13, v21
	v_pk_min_f16 v59, v99, v4
	v_pk_min_f16 v55, v26, v8
	v_pk_add_f16 v4, v9, v21
	;; [unrolled: 4-line block ×3, first 2 shown]
	v_pk_min_f16 v57, v107, v6
	v_pk_min_f16 v53, v124, v10
	v_pk_add_f16 v6, v11, v21
	v_pk_add_f16 v10, v7, v21
	v_pk_min_f16 v54, v127, v4
	v_pk_min_f16 v50, v129, v8
	v_pk_add_f16 v4, v3, v21
	v_pk_add_f16 v8, v15, v23
	v_pk_min_f16 v29, v126, v12
	v_pk_add_f16 v12, v1, v21
	v_pk_min_f16 v52, v128, v6
	v_pk_min_f16 v31, v130, v10
	v_pk_add_f16 v6, v13, v23
	v_pk_add_f16 v10, v9, v23
	v_pk_min_f16 v49, v20, v4
	v_pk_min_f16 v28, v133, v8
	v_pk_add_f16 v4, v5, v23
	v_pk_add_f16 v8, v1, v23
	v_pk_min_f16 v24, v131, v12
	v_pk_add_f16 v12, v11, v23
	;; [unrolled: 10-line block ×3, first 2 shown]
	v_pk_min_f16 v25, v137, v6
	v_pk_min_f16 v21, v22, v10
	v_pk_add_f16 v6, v9, v17
	v_pk_add_f16 v10, v5, v17
	;; [unrolled: 1-line block ×3, first 2 shown]
	v_pk_min_f16 v22, v140, v4
	v_pk_min_f16 v16, v142, v8
	v_pk_add_f16 v4, v1, v17
	v_pk_add_f16 v8, v3, v17
	;; [unrolled: 1-line block ×4, first 2 shown]
	v_pk_min_f16 v14, v143, v10
	v_pk_add_f16 v10, v13, v19
	v_pk_min_f16 v15, v145, v4
	v_pk_min_f16 v13, v146, v8
	;; [unrolled: 1-line block ×4, first 2 shown]
	v_pk_add_f16 v9, v11, v19
	v_pk_add_f16 v5, v5, v19
	;; [unrolled: 1-line block ×5, first 2 shown]
	v_pk_min_f16 v12, v139, v12
	v_pk_min_f16 v20, v141, v6
	;; [unrolled: 1-line block ×9, first 2 shown]
	s_and_b32 vcc_lo, exec_lo, s3
	s_cbranch_vccz .LBB219_28
; %bb.43:                               ;   in Loop: Header=BB219_30 Depth=1
	v_dual_mov_b32 v0, 0 :: v_dual_mov_b32 v1, 0
	s_branch .LBB219_29
.LBB219_44:
	s_load_b32 s10, s[0:1], 0x58
	v_add_nc_u32_e32 v88, s15, v41
	ds_load_b64 v[28:29], v43 offset:4608
	ds_load_b64 v[46:47], v80 offset:2048
	v_add_nc_u32_e32 v44, s5, v40
	v_cmp_neq_f16_e64 s3, 0, v48
	v_mov_b32_e32 v34, 0
	v_mov_b32_e32 v32, 0
	s_delay_alu instid0(VALU_DEP_4) | instskip(NEXT) | instid1(VALU_DEP_4)
	v_ashrrev_i32_e32 v45, 31, v44
	s_and_b32 vcc_lo, exec_lo, s3
	s_delay_alu instid0(VALU_DEP_1) | instskip(SKIP_2) | instid1(VALU_DEP_1)
	v_lshlrev_b64 v[30:31], 1, v[44:45]
	s_waitcnt lgkmcnt(0)
	v_mad_i64_i32 v[0:1], null, v88, s10, 0
	v_lshlrev_b64 v[0:1], 1, v[0:1]
	s_delay_alu instid0(VALU_DEP_1) | instskip(NEXT) | instid1(VALU_DEP_1)
	v_add_co_u32 v108, s4, s8, v0
	v_add_co_ci_u32_e64 v109, s4, s9, v1, s4
	s_cbranch_vccz .LBB219_46
; %bb.45:
	s_delay_alu instid0(VALU_DEP_2) | instskip(NEXT) | instid1(VALU_DEP_2)
	v_add_co_u32 v0, vcc_lo, v108, v30
	v_add_co_ci_u32_e32 v1, vcc_lo, v109, v31, vcc_lo
	flat_load_u16 v0, v[0:1]
	s_waitcnt vmcnt(0) lgkmcnt(0)
	v_mul_f16_e32 v32, v48, v0
.LBB219_46:
	s_clause 0x1
	s_load_b32 s4, s[0:1], 0x70
	s_load_b64 s[12:13], s[0:1], 0x78
	v_add_nc_u32_e32 v0, 0x1000, v43
	v_pk_add_f16 v1, v28, v46
	v_pk_max_f16 v2, v120, v120
	v_add_nc_u32_e32 v12, 0x800, v80
	ds_load_b64 v[24:25], v43 offset:5056
	ds_load_b64 v[26:27], v80 offset:3840
	ds_load_2addr_b64 v[8:11], v0 offset0:72 offset1:80
	ds_load_2addr_b64 v[4:7], v0 offset0:88 offset1:96
	v_pk_min_f16 v36, v2, v1
	ds_load_2addr_b64 v[0:3], v0 offset0:104 offset1:112
	ds_load_2addr_b64 v[20:23], v12 offset0:32 offset1:64
	ds_load_2addr_b64 v[16:19], v12 offset0:96 offset1:128
	ds_load_2addr_b64 v[12:15], v12 offset0:160 offset1:192
	v_pk_add_f16 v33, v29, v47
	v_add_nc_u32_e32 v35, 8, v44
	v_cndmask_b32_e64 v39, 0, 1, s3
	s_delay_alu instid0(VALU_DEP_3) | instskip(NEXT) | instid1(VALU_DEP_3)
	v_pk_min_f16 v33, v36, v33
	v_ashrrev_i32_e32 v36, 31, v35
	s_delay_alu instid0(VALU_DEP_3)
	v_cmp_ne_u32_e64 s0, 1, v39
	s_waitcnt lgkmcnt(0)
	v_mad_i64_i32 v[37:38], null, v88, s4, 0
	s_lshl_b64 s[12:13], s[12:13], 1
	v_lshrrev_b32_e32 v39, 16, v33
	s_add_u32 s1, s6, s12
	s_addc_u32 s5, s7, s13
	s_delay_alu instid0(VALU_DEP_1) | instskip(NEXT) | instid1(VALU_DEP_3)
	v_min3_f16 v39, v32, v33, v39
	v_lshlrev_b64 v[37:38], 1, v[37:38]
	v_lshlrev_b64 v[32:33], 1, v[35:36]
	s_delay_alu instid0(VALU_DEP_2) | instskip(NEXT) | instid1(VALU_DEP_3)
	v_add_co_u32 v80, vcc_lo, s1, v37
	v_add_co_ci_u32_e32 v111, vcc_lo, s5, v38, vcc_lo
	s_delay_alu instid0(VALU_DEP_2) | instskip(NEXT) | instid1(VALU_DEP_2)
	v_add_co_u32 v37, vcc_lo, v80, v30
	v_add_co_ci_u32_e32 v38, vcc_lo, v111, v31, vcc_lo
	s_and_not1_b32 vcc_lo, exec_lo, s3
	global_store_b16 v[37:38], v39, off
	s_cbranch_vccnz .LBB219_48
; %bb.47:
	v_add_co_u32 v34, vcc_lo, v108, v32
	v_add_co_ci_u32_e32 v35, vcc_lo, v109, v33, vcc_lo
	flat_load_u16 v34, v[34:35]
	s_waitcnt vmcnt(0) lgkmcnt(0)
	v_mul_f16_e32 v34, v48, v34
.LBB219_48:
	v_pk_add_f16 v35, v8, v46
	v_pk_max_f16 v36, v119, v119
	v_pk_add_f16 v37, v9, v47
	v_add_co_u32 v38, vcc_lo, v80, v32
	v_add_co_ci_u32_e32 v39, vcc_lo, v111, v33, vcc_lo
	s_delay_alu instid0(VALU_DEP_4) | instskip(SKIP_2) | instid1(VALU_DEP_2)
	v_pk_min_f16 v36, v36, v35
	v_add_nc_u32_e32 v35, 16, v44
	s_and_b32 vcc_lo, exec_lo, s0
	v_pk_min_f16 v40, v36, v37
	s_delay_alu instid0(VALU_DEP_2) | instskip(SKIP_1) | instid1(VALU_DEP_3)
	v_ashrrev_i32_e32 v36, 31, v35
	v_mov_b32_e32 v37, 0
	v_lshrrev_b32_e32 v41, 16, v40
	s_delay_alu instid0(VALU_DEP_1) | instskip(NEXT) | instid1(VALU_DEP_4)
	v_min3_f16 v40, v34, v40, v41
	v_lshlrev_b64 v[34:35], 1, v[35:36]
	v_mov_b32_e32 v36, 0
	global_store_b16 v[38:39], v40, off
	s_cbranch_vccnz .LBB219_50
; %bb.49:
	v_add_co_u32 v38, vcc_lo, v108, v34
	v_add_co_ci_u32_e32 v39, vcc_lo, v109, v35, vcc_lo
	flat_load_u16 v36, v[38:39]
	s_waitcnt vmcnt(0) lgkmcnt(0)
	v_mul_f16_e32 v36, v48, v36
.LBB219_50:
	v_pk_add_f16 v38, v10, v46
	v_pk_max_f16 v39, v118, v118
	v_pk_add_f16 v40, v11, v47
	v_add_co_u32 v42, vcc_lo, v80, v34
	v_add_co_ci_u32_e32 v43, vcc_lo, v111, v35, vcc_lo
	s_delay_alu instid0(VALU_DEP_4) | instskip(SKIP_2) | instid1(VALU_DEP_2)
	v_pk_min_f16 v39, v39, v38
	v_add_nc_u32_e32 v38, 24, v44
	s_and_b32 vcc_lo, exec_lo, s0
	v_pk_min_f16 v40, v39, v40
	s_delay_alu instid0(VALU_DEP_2) | instskip(NEXT) | instid1(VALU_DEP_2)
	v_ashrrev_i32_e32 v39, 31, v38
	v_lshrrev_b32_e32 v41, 16, v40
	s_delay_alu instid0(VALU_DEP_1) | instskip(NEXT) | instid1(VALU_DEP_3)
	v_min3_f16 v36, v36, v40, v41
	v_lshlrev_b64 v[40:41], 1, v[38:39]
	global_store_b16 v[42:43], v36, off
	s_cbranch_vccnz .LBB219_52
; %bb.51:
	v_add_co_u32 v36, vcc_lo, v108, v40
	v_add_co_ci_u32_e32 v37, vcc_lo, v109, v41, vcc_lo
	flat_load_u16 v36, v[36:37]
	s_waitcnt vmcnt(0) lgkmcnt(0)
	v_mul_f16_e32 v37, v48, v36
.LBB219_52:
	v_pk_add_f16 v36, v4, v46
	v_pk_max_f16 v38, v117, v117
	v_pk_add_f16 v39, v5, v47
	v_add_co_u32 v112, vcc_lo, v80, v40
	v_add_co_ci_u32_e32 v113, vcc_lo, v111, v41, vcc_lo
	s_delay_alu instid0(VALU_DEP_4) | instskip(SKIP_2) | instid1(VALU_DEP_2)
	v_pk_min_f16 v36, v38, v36
	v_add_nc_u32_e32 v38, 32, v44
	s_and_b32 vcc_lo, exec_lo, s0
	v_pk_min_f16 v42, v36, v39
	v_mov_b32_e32 v36, 0
	s_delay_alu instid0(VALU_DEP_2) | instskip(NEXT) | instid1(VALU_DEP_1)
	v_lshrrev_b32_e32 v43, 16, v42
	v_min3_f16 v45, v37, v42, v43
	v_mov_b32_e32 v37, 0
	v_ashrrev_i32_e32 v39, 31, v38
	global_store_b16 v[112:113], v45, off
	v_lshlrev_b64 v[42:43], 1, v[38:39]
	s_cbranch_vccnz .LBB219_54
; %bb.53:
	s_delay_alu instid0(VALU_DEP_1) | instskip(NEXT) | instid1(VALU_DEP_2)
	v_add_co_u32 v37, vcc_lo, v108, v42
	v_add_co_ci_u32_e32 v38, vcc_lo, v109, v43, vcc_lo
	flat_load_u16 v37, v[37:38]
	s_waitcnt vmcnt(0) lgkmcnt(0)
	v_mul_f16_e32 v37, v48, v37
.LBB219_54:
	v_pk_add_f16 v38, v6, v46
	v_pk_max_f16 v39, v116, v116
	v_pk_add_f16 v45, v7, v47
	s_delay_alu instid0(VALU_DEP_4) | instskip(SKIP_1) | instid1(VALU_DEP_4)
	v_add_co_u32 v112, vcc_lo, v80, v42
	v_add_co_ci_u32_e32 v113, vcc_lo, v111, v43, vcc_lo
	v_pk_min_f16 v39, v39, v38
	v_add_nc_u32_e32 v38, 40, v44
	s_and_b32 vcc_lo, exec_lo, s0
	s_delay_alu instid0(VALU_DEP_2) | instskip(NEXT) | instid1(VALU_DEP_2)
	v_pk_min_f16 v45, v39, v45
	v_ashrrev_i32_e32 v39, 31, v38
	s_delay_alu instid0(VALU_DEP_2) | instskip(NEXT) | instid1(VALU_DEP_2)
	v_lshrrev_b32_e32 v115, 16, v45
	v_lshlrev_b64 v[38:39], 1, v[38:39]
	s_delay_alu instid0(VALU_DEP_2)
	v_min3_f16 v37, v37, v45, v115
	global_store_b16 v[112:113], v37, off
	s_cbranch_vccnz .LBB219_56
; %bb.55:
	v_add_co_u32 v36, vcc_lo, v108, v38
	v_add_co_ci_u32_e32 v37, vcc_lo, v109, v39, vcc_lo
	flat_load_u16 v36, v[36:37]
	s_waitcnt vmcnt(0) lgkmcnt(0)
	v_mul_f16_e32 v36, v48, v36
.LBB219_56:
	v_pk_add_f16 v37, v0, v46
	v_pk_max_f16 v45, v114, v114
	v_pk_add_f16 v112, v1, v47
	v_add_nc_u32_e32 v113, 48, v44
	v_add_co_u32 v115, vcc_lo, v80, v38
	s_delay_alu instid0(VALU_DEP_4) | instskip(SKIP_2) | instid1(VALU_DEP_2)
	v_pk_min_f16 v37, v45, v37
	v_add_co_ci_u32_e32 v116, vcc_lo, v111, v39, vcc_lo
	s_and_b32 vcc_lo, exec_lo, s0
	v_pk_min_f16 v37, v37, v112
	v_mov_b32_e32 v112, 0
	v_ashrrev_i32_e32 v114, 31, v113
	s_delay_alu instid0(VALU_DEP_3) | instskip(NEXT) | instid1(VALU_DEP_1)
	v_lshrrev_b32_e32 v45, 16, v37
	v_min3_f16 v117, v36, v37, v45
	s_delay_alu instid0(VALU_DEP_3)
	v_lshlrev_b64 v[36:37], 1, v[113:114]
	v_mov_b32_e32 v45, 0
	global_store_b16 v[115:116], v117, off
	s_cbranch_vccnz .LBB219_58
; %bb.57:
	v_add_co_u32 v113, vcc_lo, v108, v36
	v_add_co_ci_u32_e32 v114, vcc_lo, v109, v37, vcc_lo
	flat_load_u16 v45, v[113:114]
	s_waitcnt vmcnt(0) lgkmcnt(0)
	v_mul_f16_e32 v45, v48, v45
.LBB219_58:
	v_pk_add_f16 v113, v2, v46
	v_pk_max_f16 v110, v110, v110
	v_pk_add_f16 v114, v3, v47
	v_add_co_u32 v115, vcc_lo, v80, v36
	v_add_co_ci_u32_e32 v116, vcc_lo, v111, v37, vcc_lo
	s_delay_alu instid0(VALU_DEP_4) | instskip(SKIP_2) | instid1(VALU_DEP_2)
	v_pk_min_f16 v110, v110, v113
	v_add_nc_u32_e32 v113, 56, v44
	s_and_b32 vcc_lo, exec_lo, s0
	v_pk_min_f16 v44, v110, v114
	s_delay_alu instid0(VALU_DEP_2) | instskip(NEXT) | instid1(VALU_DEP_2)
	v_ashrrev_i32_e32 v114, 31, v113
	v_lshrrev_b32_e32 v110, 16, v44
	s_delay_alu instid0(VALU_DEP_1) | instskip(NEXT) | instid1(VALU_DEP_3)
	v_min3_f16 v110, v45, v44, v110
	v_lshlrev_b64 v[44:45], 1, v[113:114]
	global_store_b16 v[115:116], v110, off
	s_cbranch_vccnz .LBB219_60
; %bb.59:
	v_add_co_u32 v108, vcc_lo, v108, v44
	v_add_co_ci_u32_e32 v109, vcc_lo, v109, v45, vcc_lo
	flat_load_u16 v108, v[108:109]
	s_waitcnt vmcnt(0) lgkmcnt(0)
	v_mul_f16_e32 v112, v48, v108
.LBB219_60:
	v_add_nc_u32_e32 v108, 32, v88
	v_pk_add_f16 v46, v24, v46
	v_pk_max_f16 v107, v107, v107
	v_pk_add_f16 v47, v25, v47
	s_delay_alu instid0(VALU_DEP_4) | instskip(NEXT) | instid1(VALU_DEP_3)
	v_mad_i64_i32 v[109:110], null, v108, s10, 0
	v_pk_min_f16 v46, v107, v46
	s_delay_alu instid0(VALU_DEP_1) | instskip(NEXT) | instid1(VALU_DEP_3)
	v_pk_min_f16 v107, v46, v47
	v_lshlrev_b64 v[46:47], 1, v[109:110]
	v_add_co_u32 v110, vcc_lo, v80, v44
	v_add_co_ci_u32_e32 v111, vcc_lo, v111, v45, vcc_lo
	s_delay_alu instid0(VALU_DEP_4) | instskip(NEXT) | instid1(VALU_DEP_4)
	v_lshrrev_b32_e32 v80, 16, v107
	v_add_co_u32 v46, vcc_lo, s8, v46
	v_add_co_ci_u32_e32 v47, vcc_lo, s9, v47, vcc_lo
	s_delay_alu instid0(VALU_DEP_3)
	v_min3_f16 v80, v112, v107, v80
	v_mov_b32_e32 v107, 0
	v_mov_b32_e32 v109, 0
	s_and_b32 vcc_lo, exec_lo, s0
	global_store_b16 v[110:111], v80, off
	s_cbranch_vccnz .LBB219_62
; %bb.61:
	v_add_co_u32 v109, vcc_lo, v46, v30
	v_add_co_ci_u32_e32 v110, vcc_lo, v47, v31, vcc_lo
	flat_load_u16 v80, v[109:110]
	s_waitcnt vmcnt(0) lgkmcnt(0)
	v_mul_f16_e32 v109, v48, v80
.LBB219_62:
	v_pk_add_f16 v80, v28, v20
	v_pk_max_f16 v106, v106, v106
	v_mad_i64_i32 v[110:111], null, v108, s4, 0
	v_pk_add_f16 v108, v29, v21
	s_delay_alu instid0(VALU_DEP_3) | instskip(NEXT) | instid1(VALU_DEP_3)
	v_pk_min_f16 v80, v106, v80
	v_lshlrev_b64 v[110:111], 1, v[110:111]
	s_delay_alu instid0(VALU_DEP_2) | instskip(NEXT) | instid1(VALU_DEP_2)
	v_pk_min_f16 v108, v80, v108
	v_add_co_u32 v80, vcc_lo, s1, v110
	s_delay_alu instid0(VALU_DEP_2) | instskip(NEXT) | instid1(VALU_DEP_4)
	v_lshrrev_b32_e32 v112, 16, v108
	v_add_co_ci_u32_e32 v106, vcc_lo, s5, v111, vcc_lo
	s_delay_alu instid0(VALU_DEP_2) | instskip(NEXT) | instid1(VALU_DEP_4)
	v_min3_f16 v110, v109, v108, v112
	v_add_co_u32 v108, vcc_lo, v80, v30
	s_delay_alu instid0(VALU_DEP_3)
	v_add_co_ci_u32_e32 v109, vcc_lo, v106, v31, vcc_lo
	s_and_b32 vcc_lo, exec_lo, s0
	global_store_b16 v[108:109], v110, off
	s_cbranch_vccnz .LBB219_64
; %bb.63:
	v_add_co_u32 v107, vcc_lo, v46, v32
	v_add_co_ci_u32_e32 v108, vcc_lo, v47, v33, vcc_lo
	flat_load_u16 v107, v[107:108]
	s_waitcnt vmcnt(0) lgkmcnt(0)
	v_mul_f16_e32 v107, v48, v107
.LBB219_64:
	v_pk_add_f16 v108, v8, v20
	v_pk_max_f16 v105, v105, v105
	v_pk_add_f16 v109, v9, v21
	s_delay_alu instid0(VALU_DEP_2) | instskip(SKIP_1) | instid1(VALU_DEP_2)
	v_pk_min_f16 v105, v105, v108
	v_add_co_u32 v108, vcc_lo, v80, v32
	v_pk_min_f16 v105, v105, v109
	v_add_co_ci_u32_e32 v109, vcc_lo, v106, v33, vcc_lo
	s_and_b32 vcc_lo, exec_lo, s0
	s_delay_alu instid0(VALU_DEP_2) | instskip(NEXT) | instid1(VALU_DEP_1)
	v_lshrrev_b32_e32 v110, 16, v105
	v_min3_f16 v110, v107, v105, v110
	v_mov_b32_e32 v105, 0
	v_mov_b32_e32 v107, 0
	global_store_b16 v[108:109], v110, off
	s_cbranch_vccnz .LBB219_66
; %bb.65:
	v_add_co_u32 v107, vcc_lo, v46, v34
	v_add_co_ci_u32_e32 v108, vcc_lo, v47, v35, vcc_lo
	flat_load_u16 v107, v[107:108]
	s_waitcnt vmcnt(0) lgkmcnt(0)
	v_mul_f16_e32 v107, v48, v107
.LBB219_66:
	v_pk_add_f16 v108, v10, v20
	v_pk_max_f16 v104, v104, v104
	v_pk_add_f16 v109, v11, v21
	s_delay_alu instid0(VALU_DEP_2) | instskip(NEXT) | instid1(VALU_DEP_1)
	v_pk_min_f16 v104, v104, v108
	v_pk_min_f16 v104, v104, v109
	s_delay_alu instid0(VALU_DEP_1) | instskip(NEXT) | instid1(VALU_DEP_1)
	v_lshrrev_b32_e32 v108, 16, v104
	v_min3_f16 v104, v107, v104, v108
	v_add_co_u32 v107, vcc_lo, v80, v34
	v_add_co_ci_u32_e32 v108, vcc_lo, v106, v35, vcc_lo
	s_and_b32 vcc_lo, exec_lo, s0
	global_store_b16 v[107:108], v104, off
	s_cbranch_vccnz .LBB219_68
; %bb.67:
	v_add_co_u32 v104, vcc_lo, v46, v40
	v_add_co_ci_u32_e32 v105, vcc_lo, v47, v41, vcc_lo
	flat_load_u16 v104, v[104:105]
	s_waitcnt vmcnt(0) lgkmcnt(0)
	v_mul_f16_e32 v105, v48, v104
.LBB219_68:
	v_pk_add_f16 v104, v4, v20
	v_pk_max_f16 v103, v103, v103
	v_pk_add_f16 v107, v5, v21
	s_delay_alu instid0(VALU_DEP_2) | instskip(NEXT) | instid1(VALU_DEP_1)
	v_pk_min_f16 v103, v103, v104
	v_pk_min_f16 v103, v103, v107
	v_add_co_u32 v107, vcc_lo, v80, v40
	v_add_co_ci_u32_e32 v108, vcc_lo, v106, v41, vcc_lo
	s_delay_alu instid0(VALU_DEP_3) | instskip(SKIP_1) | instid1(VALU_DEP_1)
	v_lshrrev_b32_e32 v104, 16, v103
	s_and_b32 vcc_lo, exec_lo, s0
	v_min3_f16 v105, v105, v103, v104
	v_dual_mov_b32 v103, 0 :: v_dual_mov_b32 v104, 0
	global_store_b16 v[107:108], v105, off
	s_cbranch_vccnz .LBB219_70
; %bb.69:
	v_add_co_u32 v104, vcc_lo, v46, v42
	v_add_co_ci_u32_e32 v105, vcc_lo, v47, v43, vcc_lo
	flat_load_u16 v104, v[104:105]
	s_waitcnt vmcnt(0) lgkmcnt(0)
	v_mul_f16_e32 v104, v48, v104
.LBB219_70:
	v_pk_add_f16 v105, v6, v20
	v_pk_max_f16 v102, v102, v102
	v_pk_add_f16 v107, v7, v21
	s_delay_alu instid0(VALU_DEP_2) | instskip(NEXT) | instid1(VALU_DEP_1)
	v_pk_min_f16 v102, v102, v105
	v_pk_min_f16 v102, v102, v107
	s_delay_alu instid0(VALU_DEP_1) | instskip(NEXT) | instid1(VALU_DEP_1)
	v_lshrrev_b32_e32 v105, 16, v102
	v_min3_f16 v102, v104, v102, v105
	v_add_co_u32 v104, vcc_lo, v80, v42
	v_add_co_ci_u32_e32 v105, vcc_lo, v106, v43, vcc_lo
	s_and_b32 vcc_lo, exec_lo, s0
	global_store_b16 v[104:105], v102, off
	s_cbranch_vccnz .LBB219_72
; %bb.71:
	v_add_co_u32 v102, vcc_lo, v46, v38
	v_add_co_ci_u32_e32 v103, vcc_lo, v47, v39, vcc_lo
	flat_load_u16 v102, v[102:103]
	s_waitcnt vmcnt(0) lgkmcnt(0)
	v_mul_f16_e32 v103, v48, v102
.LBB219_72:
	v_pk_add_f16 v102, v0, v20
	v_pk_max_f16 v101, v101, v101
	v_pk_add_f16 v104, v1, v21
	s_delay_alu instid0(VALU_DEP_2) | instskip(NEXT) | instid1(VALU_DEP_1)
	v_pk_min_f16 v101, v101, v102
	v_pk_min_f16 v101, v101, v104
	v_add_co_u32 v104, vcc_lo, v80, v38
	v_add_co_ci_u32_e32 v105, vcc_lo, v106, v39, vcc_lo
	s_delay_alu instid0(VALU_DEP_3) | instskip(SKIP_1) | instid1(VALU_DEP_1)
	v_lshrrev_b32_e32 v102, 16, v101
	s_and_b32 vcc_lo, exec_lo, s0
	v_min3_f16 v103, v103, v101, v102
	v_dual_mov_b32 v101, 0 :: v_dual_mov_b32 v102, 0
	global_store_b16 v[104:105], v103, off
	s_cbranch_vccnz .LBB219_74
; %bb.73:
	v_add_co_u32 v102, vcc_lo, v46, v36
	v_add_co_ci_u32_e32 v103, vcc_lo, v47, v37, vcc_lo
	flat_load_u16 v102, v[102:103]
	s_waitcnt vmcnt(0) lgkmcnt(0)
	v_mul_f16_e32 v102, v48, v102
.LBB219_74:
	v_pk_add_f16 v103, v2, v20
	v_pk_max_f16 v100, v100, v100
	v_pk_add_f16 v104, v3, v21
	s_delay_alu instid0(VALU_DEP_2) | instskip(NEXT) | instid1(VALU_DEP_1)
	v_pk_min_f16 v100, v100, v103
	v_pk_min_f16 v100, v100, v104
	s_delay_alu instid0(VALU_DEP_1) | instskip(NEXT) | instid1(VALU_DEP_1)
	v_lshrrev_b32_e32 v103, 16, v100
	v_min3_f16 v100, v102, v100, v103
	v_add_co_u32 v102, vcc_lo, v80, v36
	v_add_co_ci_u32_e32 v103, vcc_lo, v106, v37, vcc_lo
	s_and_b32 vcc_lo, exec_lo, s0
	global_store_b16 v[102:103], v100, off
	s_cbranch_vccnz .LBB219_76
; %bb.75:
	v_add_co_u32 v46, vcc_lo, v46, v44
	v_add_co_ci_u32_e32 v47, vcc_lo, v47, v45, vcc_lo
	flat_load_u16 v46, v[46:47]
	s_waitcnt vmcnt(0) lgkmcnt(0)
	v_mul_f16_e32 v101, v48, v46
.LBB219_76:
	v_add_nc_u32_e32 v46, 64, v88
	v_pk_add_f16 v20, v24, v20
	v_pk_max_f16 v47, v99, v99
	v_pk_add_f16 v21, v25, v21
	v_add_co_u32 v102, vcc_lo, v80, v44
	v_mad_i64_i32 v[99:100], null, v46, s10, 0
	s_delay_alu instid0(VALU_DEP_4) | instskip(SKIP_1) | instid1(VALU_DEP_2)
	v_pk_min_f16 v20, v47, v20
	v_add_co_ci_u32_e32 v103, vcc_lo, v106, v45, vcc_lo
	v_pk_min_f16 v47, v20, v21
	s_delay_alu instid0(VALU_DEP_4) | instskip(SKIP_1) | instid1(VALU_DEP_3)
	v_lshlrev_b64 v[20:21], 1, v[99:100]
	v_mov_b32_e32 v99, 0
	v_lshrrev_b32_e32 v80, 16, v47
	s_delay_alu instid0(VALU_DEP_3) | instskip(NEXT) | instid1(VALU_DEP_4)
	v_add_co_u32 v20, vcc_lo, s8, v20
	v_add_co_ci_u32_e32 v21, vcc_lo, s9, v21, vcc_lo
	s_delay_alu instid0(VALU_DEP_3)
	v_min3_f16 v47, v101, v47, v80
	v_mov_b32_e32 v80, 0
	s_and_b32 vcc_lo, exec_lo, s0
	global_store_b16 v[102:103], v47, off
	s_cbranch_vccnz .LBB219_78
; %bb.77:
	v_add_co_u32 v99, vcc_lo, v20, v30
	v_add_co_ci_u32_e32 v100, vcc_lo, v21, v31, vcc_lo
	flat_load_u16 v47, v[99:100]
	s_waitcnt vmcnt(0) lgkmcnt(0)
	v_mul_f16_e32 v99, v48, v47
.LBB219_78:
	v_pk_add_f16 v47, v28, v22
	v_pk_max_f16 v98, v98, v98
	v_mad_i64_i32 v[100:101], null, v46, s4, 0
	v_pk_add_f16 v46, v29, v23
	s_delay_alu instid0(VALU_DEP_3) | instskip(NEXT) | instid1(VALU_DEP_1)
	v_pk_min_f16 v47, v98, v47
	v_pk_min_f16 v98, v47, v46
	s_delay_alu instid0(VALU_DEP_4) | instskip(NEXT) | instid1(VALU_DEP_2)
	v_lshlrev_b64 v[46:47], 1, v[100:101]
	v_lshrrev_b32_e32 v100, 16, v98
	s_delay_alu instid0(VALU_DEP_2) | instskip(NEXT) | instid1(VALU_DEP_3)
	v_add_co_u32 v46, vcc_lo, s1, v46
	v_add_co_ci_u32_e32 v47, vcc_lo, s5, v47, vcc_lo
	s_delay_alu instid0(VALU_DEP_3) | instskip(NEXT) | instid1(VALU_DEP_3)
	v_min3_f16 v100, v99, v98, v100
	v_add_co_u32 v98, vcc_lo, v46, v30
	s_delay_alu instid0(VALU_DEP_3)
	v_add_co_ci_u32_e32 v99, vcc_lo, v47, v31, vcc_lo
	s_and_b32 vcc_lo, exec_lo, s0
	global_store_b16 v[98:99], v100, off
	s_cbranch_vccnz .LBB219_80
; %bb.79:
	v_add_co_u32 v98, vcc_lo, v20, v32
	v_add_co_ci_u32_e32 v99, vcc_lo, v21, v33, vcc_lo
	flat_load_u16 v80, v[98:99]
	s_waitcnt vmcnt(0) lgkmcnt(0)
	v_mul_f16_e32 v80, v48, v80
.LBB219_80:
	v_pk_add_f16 v98, v8, v22
	v_pk_max_f16 v97, v97, v97
	v_pk_add_f16 v99, v9, v23
	s_delay_alu instid0(VALU_DEP_2) | instskip(SKIP_1) | instid1(VALU_DEP_2)
	v_pk_min_f16 v97, v97, v98
	v_add_co_u32 v98, vcc_lo, v46, v32
	v_pk_min_f16 v97, v97, v99
	v_add_co_ci_u32_e32 v99, vcc_lo, v47, v33, vcc_lo
	s_and_b32 vcc_lo, exec_lo, s0
	s_delay_alu instid0(VALU_DEP_2) | instskip(NEXT) | instid1(VALU_DEP_1)
	v_lshrrev_b32_e32 v100, 16, v97
	v_min3_f16 v100, v80, v97, v100
	v_dual_mov_b32 v80, 0 :: v_dual_mov_b32 v97, 0
	global_store_b16 v[98:99], v100, off
	s_cbranch_vccnz .LBB219_82
; %bb.81:
	v_add_co_u32 v97, vcc_lo, v20, v34
	v_add_co_ci_u32_e32 v98, vcc_lo, v21, v35, vcc_lo
	flat_load_u16 v97, v[97:98]
	s_waitcnt vmcnt(0) lgkmcnt(0)
	v_mul_f16_e32 v97, v48, v97
.LBB219_82:
	v_pk_add_f16 v98, v10, v22
	v_pk_max_f16 v96, v96, v96
	v_pk_add_f16 v99, v11, v23
	s_delay_alu instid0(VALU_DEP_2) | instskip(NEXT) | instid1(VALU_DEP_1)
	v_pk_min_f16 v96, v96, v98
	v_pk_min_f16 v96, v96, v99
	s_delay_alu instid0(VALU_DEP_1) | instskip(NEXT) | instid1(VALU_DEP_1)
	v_lshrrev_b32_e32 v98, 16, v96
	v_min3_f16 v98, v97, v96, v98
	v_add_co_u32 v96, vcc_lo, v46, v34
	v_add_co_ci_u32_e32 v97, vcc_lo, v47, v35, vcc_lo
	s_and_b32 vcc_lo, exec_lo, s0
	global_store_b16 v[96:97], v98, off
	s_cbranch_vccnz .LBB219_84
; %bb.83:
	v_add_co_u32 v96, vcc_lo, v20, v40
	v_add_co_ci_u32_e32 v97, vcc_lo, v21, v41, vcc_lo
	flat_load_u16 v80, v[96:97]
	s_waitcnt vmcnt(0) lgkmcnt(0)
	v_mul_f16_e32 v80, v48, v80
.LBB219_84:
	v_pk_add_f16 v96, v4, v22
	v_pk_max_f16 v95, v95, v95
	v_pk_add_f16 v97, v5, v23
	s_delay_alu instid0(VALU_DEP_2) | instskip(SKIP_1) | instid1(VALU_DEP_2)
	v_pk_min_f16 v95, v95, v96
	v_add_co_u32 v96, vcc_lo, v46, v40
	v_pk_min_f16 v95, v95, v97
	v_add_co_ci_u32_e32 v97, vcc_lo, v47, v41, vcc_lo
	s_and_b32 vcc_lo, exec_lo, s0
	s_delay_alu instid0(VALU_DEP_2) | instskip(NEXT) | instid1(VALU_DEP_1)
	v_lshrrev_b32_e32 v98, 16, v95
	v_min3_f16 v98, v80, v95, v98
	v_dual_mov_b32 v80, 0 :: v_dual_mov_b32 v95, 0
	global_store_b16 v[96:97], v98, off
	s_cbranch_vccnz .LBB219_86
; %bb.85:
	v_add_co_u32 v95, vcc_lo, v20, v42
	v_add_co_ci_u32_e32 v96, vcc_lo, v21, v43, vcc_lo
	flat_load_u16 v95, v[95:96]
	s_waitcnt vmcnt(0) lgkmcnt(0)
	v_mul_f16_e32 v95, v48, v95
.LBB219_86:
	v_pk_add_f16 v96, v6, v22
	v_pk_max_f16 v94, v94, v94
	v_pk_add_f16 v97, v7, v23
	s_delay_alu instid0(VALU_DEP_2) | instskip(NEXT) | instid1(VALU_DEP_1)
	v_pk_min_f16 v94, v94, v96
	v_pk_min_f16 v94, v94, v97
	s_delay_alu instid0(VALU_DEP_1) | instskip(NEXT) | instid1(VALU_DEP_1)
	v_lshrrev_b32_e32 v96, 16, v94
	v_min3_f16 v96, v95, v94, v96
	v_add_co_u32 v94, vcc_lo, v46, v42
	;; [unrolled: 43-line block ×3, first 2 shown]
	v_add_co_ci_u32_e32 v93, vcc_lo, v47, v37, vcc_lo
	s_and_b32 vcc_lo, exec_lo, s0
	global_store_b16 v[92:93], v94, off
	s_cbranch_vccnz .LBB219_92
; %bb.91:
	v_add_co_u32 v20, vcc_lo, v20, v44
	v_add_co_ci_u32_e32 v21, vcc_lo, v21, v45, vcc_lo
	flat_load_u16 v20, v[20:21]
	s_waitcnt vmcnt(0) lgkmcnt(0)
	v_mul_f16_e32 v80, v48, v20
.LBB219_92:
	v_pk_add_f16 v22, v24, v22
	v_pk_max_f16 v91, v91, v91
	v_pk_add_f16 v23, v25, v23
	v_add_nc_u32_e32 v92, 0x60, v88
	s_delay_alu instid0(VALU_DEP_3) | instskip(NEXT) | instid1(VALU_DEP_1)
	v_pk_min_f16 v22, v91, v22
	v_pk_min_f16 v91, v22, v23
	v_add_co_u32 v22, vcc_lo, v46, v44
	v_add_co_ci_u32_e32 v23, vcc_lo, v47, v45, vcc_lo
	v_mov_b32_e32 v47, 0
	v_mad_i64_i32 v[20:21], null, v92, s10, 0
	v_lshrrev_b32_e32 v46, 16, v91
	s_delay_alu instid0(VALU_DEP_1) | instskip(NEXT) | instid1(VALU_DEP_3)
	v_min3_f16 v80, v80, v91, v46
	v_lshlrev_b64 v[20:21], 1, v[20:21]
	v_mov_b32_e32 v46, 0
	global_store_b16 v[22:23], v80, off
	v_add_co_u32 v20, vcc_lo, s8, v20
	v_add_co_ci_u32_e32 v21, vcc_lo, s9, v21, vcc_lo
	s_and_b32 vcc_lo, exec_lo, s0
	s_cbranch_vccnz .LBB219_94
; %bb.93:
	s_delay_alu instid0(VALU_DEP_2) | instskip(NEXT) | instid1(VALU_DEP_2)
	v_add_co_u32 v22, vcc_lo, v20, v30
	v_add_co_ci_u32_e32 v23, vcc_lo, v21, v31, vcc_lo
	flat_load_u16 v22, v[22:23]
	s_waitcnt vmcnt(0) lgkmcnt(0)
	v_mul_f16_e32 v47, v48, v22
.LBB219_94:
	v_pk_add_f16 v80, v28, v16
	v_pk_max_f16 v90, v90, v90
	v_mad_i64_i32 v[22:23], null, v92, s4, 0
	v_pk_add_f16 v91, v29, v17
	s_delay_alu instid0(VALU_DEP_3) | instskip(NEXT) | instid1(VALU_DEP_3)
	v_pk_min_f16 v80, v90, v80
	v_lshlrev_b64 v[22:23], 1, v[22:23]
	s_delay_alu instid0(VALU_DEP_2) | instskip(NEXT) | instid1(VALU_DEP_2)
	v_pk_min_f16 v80, v80, v91
	v_add_co_u32 v22, vcc_lo, s1, v22
	s_delay_alu instid0(VALU_DEP_2) | instskip(NEXT) | instid1(VALU_DEP_4)
	v_lshrrev_b32_e32 v90, 16, v80
	v_add_co_ci_u32_e32 v23, vcc_lo, s5, v23, vcc_lo
	s_delay_alu instid0(VALU_DEP_2) | instskip(NEXT) | instid1(VALU_DEP_4)
	v_min3_f16 v47, v47, v80, v90
	v_add_co_u32 v90, vcc_lo, v22, v30
	s_delay_alu instid0(VALU_DEP_3)
	v_add_co_ci_u32_e32 v91, vcc_lo, v23, v31, vcc_lo
	s_and_b32 vcc_lo, exec_lo, s0
	global_store_b16 v[90:91], v47, off
	s_cbranch_vccnz .LBB219_96
; %bb.95:
	v_add_co_u32 v46, vcc_lo, v20, v32
	v_add_co_ci_u32_e32 v47, vcc_lo, v21, v33, vcc_lo
	flat_load_u16 v46, v[46:47]
	s_waitcnt vmcnt(0) lgkmcnt(0)
	v_mul_f16_e32 v46, v48, v46
.LBB219_96:
	v_pk_add_f16 v47, v8, v16
	v_pk_max_f16 v80, v89, v89
	v_pk_add_f16 v89, v9, v17
	s_delay_alu instid0(VALU_DEP_2) | instskip(NEXT) | instid1(VALU_DEP_1)
	v_pk_min_f16 v47, v80, v47
	v_pk_min_f16 v47, v47, v89
	v_add_co_u32 v89, vcc_lo, v22, v32
	v_add_co_ci_u32_e32 v90, vcc_lo, v23, v33, vcc_lo
	s_delay_alu instid0(VALU_DEP_3) | instskip(SKIP_1) | instid1(VALU_DEP_1)
	v_lshrrev_b32_e32 v80, 16, v47
	s_and_b32 vcc_lo, exec_lo, s0
	v_min3_f16 v80, v46, v47, v80
	v_dual_mov_b32 v46, 0 :: v_dual_mov_b32 v47, 0
	global_store_b16 v[89:90], v80, off
	s_cbranch_vccnz .LBB219_98
; %bb.97:
	v_add_co_u32 v89, vcc_lo, v20, v34
	v_add_co_ci_u32_e32 v90, vcc_lo, v21, v35, vcc_lo
	flat_load_u16 v47, v[89:90]
	s_waitcnt vmcnt(0) lgkmcnt(0)
	v_mul_f16_e32 v47, v48, v47
.LBB219_98:
	v_pk_add_f16 v80, v10, v16
	v_pk_max_f16 v87, v87, v87
	v_pk_add_f16 v89, v11, v17
	s_delay_alu instid0(VALU_DEP_2) | instskip(NEXT) | instid1(VALU_DEP_1)
	v_pk_min_f16 v80, v87, v80
	v_pk_min_f16 v80, v80, v89
	v_add_co_u32 v89, vcc_lo, v22, v34
	v_add_co_ci_u32_e32 v90, vcc_lo, v23, v35, vcc_lo
	s_delay_alu instid0(VALU_DEP_3) | instskip(SKIP_1) | instid1(VALU_DEP_1)
	v_lshrrev_b32_e32 v87, 16, v80
	s_and_b32 vcc_lo, exec_lo, s0
	v_min3_f16 v47, v47, v80, v87
	global_store_b16 v[89:90], v47, off
	s_cbranch_vccnz .LBB219_100
; %bb.99:
	v_add_co_u32 v46, vcc_lo, v20, v40
	v_add_co_ci_u32_e32 v47, vcc_lo, v21, v41, vcc_lo
	flat_load_u16 v46, v[46:47]
	s_waitcnt vmcnt(0) lgkmcnt(0)
	v_mul_f16_e32 v46, v48, v46
.LBB219_100:
	v_pk_add_f16 v47, v4, v16
	v_pk_max_f16 v80, v86, v86
	v_pk_add_f16 v86, v5, v17
	s_delay_alu instid0(VALU_DEP_2) | instskip(NEXT) | instid1(VALU_DEP_1)
	v_pk_min_f16 v47, v80, v47
	v_pk_min_f16 v47, v47, v86
	v_add_co_u32 v86, vcc_lo, v22, v40
	v_add_co_ci_u32_e32 v87, vcc_lo, v23, v41, vcc_lo
	s_delay_alu instid0(VALU_DEP_3) | instskip(SKIP_1) | instid1(VALU_DEP_1)
	v_lshrrev_b32_e32 v80, 16, v47
	s_and_b32 vcc_lo, exec_lo, s0
	v_min3_f16 v80, v46, v47, v80
	v_dual_mov_b32 v46, 0 :: v_dual_mov_b32 v47, 0
	global_store_b16 v[86:87], v80, off
	s_cbranch_vccnz .LBB219_102
; %bb.101:
	v_add_co_u32 v86, vcc_lo, v20, v42
	v_add_co_ci_u32_e32 v87, vcc_lo, v21, v43, vcc_lo
	flat_load_u16 v47, v[86:87]
	s_waitcnt vmcnt(0) lgkmcnt(0)
	v_mul_f16_e32 v47, v48, v47
.LBB219_102:
	v_pk_add_f16 v80, v6, v16
	v_pk_max_f16 v85, v85, v85
	v_pk_add_f16 v86, v7, v17
	s_delay_alu instid0(VALU_DEP_2) | instskip(NEXT) | instid1(VALU_DEP_1)
	v_pk_min_f16 v80, v85, v80
	v_pk_min_f16 v80, v80, v86
	s_delay_alu instid0(VALU_DEP_1) | instskip(NEXT) | instid1(VALU_DEP_1)
	v_lshrrev_b32_e32 v85, 16, v80
	v_min3_f16 v47, v47, v80, v85
	v_add_co_u32 v85, vcc_lo, v22, v42
	v_add_co_ci_u32_e32 v86, vcc_lo, v23, v43, vcc_lo
	s_and_b32 vcc_lo, exec_lo, s0
	global_store_b16 v[85:86], v47, off
	s_cbranch_vccnz .LBB219_104
; %bb.103:
	v_add_co_u32 v46, vcc_lo, v20, v38
	v_add_co_ci_u32_e32 v47, vcc_lo, v21, v39, vcc_lo
	flat_load_u16 v46, v[46:47]
	s_waitcnt vmcnt(0) lgkmcnt(0)
	v_mul_f16_e32 v46, v48, v46
.LBB219_104:
	v_pk_add_f16 v47, v0, v16
	v_pk_max_f16 v80, v84, v84
	v_pk_add_f16 v84, v1, v17
	s_delay_alu instid0(VALU_DEP_2) | instskip(NEXT) | instid1(VALU_DEP_1)
	v_pk_min_f16 v47, v80, v47
	v_pk_min_f16 v47, v47, v84
	v_add_co_u32 v84, vcc_lo, v22, v38
	v_add_co_ci_u32_e32 v85, vcc_lo, v23, v39, vcc_lo
	s_delay_alu instid0(VALU_DEP_3) | instskip(SKIP_1) | instid1(VALU_DEP_1)
	v_lshrrev_b32_e32 v80, 16, v47
	s_and_b32 vcc_lo, exec_lo, s0
	v_min3_f16 v80, v46, v47, v80
	v_dual_mov_b32 v46, 0 :: v_dual_mov_b32 v47, 0
	global_store_b16 v[84:85], v80, off
	s_cbranch_vccnz .LBB219_106
; %bb.105:
	v_add_co_u32 v84, vcc_lo, v20, v36
	v_add_co_ci_u32_e32 v85, vcc_lo, v21, v37, vcc_lo
	flat_load_u16 v47, v[84:85]
	s_waitcnt vmcnt(0) lgkmcnt(0)
	v_mul_f16_e32 v47, v48, v47
.LBB219_106:
	v_pk_add_f16 v80, v2, v16
	v_pk_max_f16 v83, v83, v83
	v_pk_add_f16 v84, v3, v17
	s_delay_alu instid0(VALU_DEP_2) | instskip(NEXT) | instid1(VALU_DEP_1)
	v_pk_min_f16 v80, v83, v80
	v_pk_min_f16 v80, v80, v84
	s_delay_alu instid0(VALU_DEP_1) | instskip(NEXT) | instid1(VALU_DEP_1)
	v_lshrrev_b32_e32 v83, 16, v80
	v_min3_f16 v47, v47, v80, v83
	v_add_co_u32 v83, vcc_lo, v22, v36
	v_add_co_ci_u32_e32 v84, vcc_lo, v23, v37, vcc_lo
	s_and_b32 vcc_lo, exec_lo, s0
	global_store_b16 v[83:84], v47, off
	s_cbranch_vccnz .LBB219_108
; %bb.107:
	v_add_co_u32 v20, vcc_lo, v20, v44
	v_add_co_ci_u32_e32 v21, vcc_lo, v21, v45, vcc_lo
	flat_load_u16 v20, v[20:21]
	s_waitcnt vmcnt(0) lgkmcnt(0)
	v_mul_f16_e32 v46, v48, v20
.LBB219_108:
	v_add_nc_u32_e32 v20, 0x80, v88
	v_pk_add_f16 v16, v24, v16
	v_pk_max_f16 v21, v82, v82
	v_pk_add_f16 v17, v25, v17
	s_delay_alu instid0(VALU_DEP_4) | instskip(NEXT) | instid1(VALU_DEP_3)
	v_mad_i64_i32 v[82:83], null, v20, s10, 0
	v_pk_min_f16 v16, v21, v16
	s_delay_alu instid0(VALU_DEP_1) | instskip(NEXT) | instid1(VALU_DEP_3)
	v_pk_min_f16 v21, v16, v17
	v_lshlrev_b64 v[16:17], 1, v[82:83]
	v_add_co_u32 v82, vcc_lo, v22, v44
	v_add_co_ci_u32_e32 v83, vcc_lo, v23, v45, vcc_lo
	v_mov_b32_e32 v23, 0
	v_lshrrev_b32_e32 v22, 16, v21
	v_add_co_u32 v16, vcc_lo, s8, v16
	v_add_co_ci_u32_e32 v17, vcc_lo, s9, v17, vcc_lo
	s_delay_alu instid0(VALU_DEP_3)
	v_min3_f16 v21, v46, v21, v22
	v_mov_b32_e32 v22, 0
	s_and_b32 vcc_lo, exec_lo, s0
	global_store_b16 v[82:83], v21, off
	s_cbranch_vccnz .LBB219_110
; %bb.109:
	v_add_co_u32 v46, vcc_lo, v16, v30
	v_add_co_ci_u32_e32 v47, vcc_lo, v17, v31, vcc_lo
	flat_load_u16 v21, v[46:47]
	s_waitcnt vmcnt(0) lgkmcnt(0)
	v_mul_f16_e32 v23, v48, v21
.LBB219_110:
	v_pk_add_f16 v21, v28, v18
	v_pk_max_f16 v80, v81, v81
	v_mad_i64_i32 v[46:47], null, v20, s4, 0
	v_pk_add_f16 v20, v29, v19
	s_delay_alu instid0(VALU_DEP_3) | instskip(NEXT) | instid1(VALU_DEP_1)
	v_pk_min_f16 v21, v80, v21
	v_pk_min_f16 v80, v21, v20
	s_delay_alu instid0(VALU_DEP_4) | instskip(NEXT) | instid1(VALU_DEP_2)
	v_lshlrev_b64 v[20:21], 1, v[46:47]
	v_lshrrev_b32_e32 v46, 16, v80
	s_delay_alu instid0(VALU_DEP_2) | instskip(NEXT) | instid1(VALU_DEP_3)
	v_add_co_u32 v20, vcc_lo, s1, v20
	v_add_co_ci_u32_e32 v21, vcc_lo, s5, v21, vcc_lo
	s_delay_alu instid0(VALU_DEP_3) | instskip(NEXT) | instid1(VALU_DEP_3)
	v_min3_f16 v23, v23, v80, v46
	v_add_co_u32 v46, vcc_lo, v20, v30
	s_delay_alu instid0(VALU_DEP_3)
	v_add_co_ci_u32_e32 v47, vcc_lo, v21, v31, vcc_lo
	s_and_b32 vcc_lo, exec_lo, s0
	global_store_b16 v[46:47], v23, off
	s_cbranch_vccnz .LBB219_112
; %bb.111:
	v_add_co_u32 v22, vcc_lo, v16, v32
	v_add_co_ci_u32_e32 v23, vcc_lo, v17, v33, vcc_lo
	flat_load_u16 v22, v[22:23]
	s_waitcnt vmcnt(0) lgkmcnt(0)
	v_mul_f16_e32 v22, v48, v22
.LBB219_112:
	v_pk_add_f16 v23, v8, v18
	v_pk_max_f16 v46, v79, v79
	v_pk_add_f16 v47, v9, v19
	s_delay_alu instid0(VALU_DEP_2) | instskip(SKIP_1) | instid1(VALU_DEP_2)
	v_pk_min_f16 v23, v46, v23
	v_add_co_u32 v46, vcc_lo, v20, v32
	v_pk_min_f16 v23, v23, v47
	v_add_co_ci_u32_e32 v47, vcc_lo, v21, v33, vcc_lo
	s_and_b32 vcc_lo, exec_lo, s0
	s_delay_alu instid0(VALU_DEP_2) | instskip(NEXT) | instid1(VALU_DEP_1)
	v_lshrrev_b32_e32 v79, 16, v23
	v_min3_f16 v79, v22, v23, v79
	v_dual_mov_b32 v22, 0 :: v_dual_mov_b32 v23, 0
	global_store_b16 v[46:47], v79, off
	s_cbranch_vccnz .LBB219_114
; %bb.113:
	v_add_co_u32 v46, vcc_lo, v16, v34
	v_add_co_ci_u32_e32 v47, vcc_lo, v17, v35, vcc_lo
	flat_load_u16 v23, v[46:47]
	s_waitcnt vmcnt(0) lgkmcnt(0)
	v_mul_f16_e32 v23, v48, v23
.LBB219_114:
	v_pk_add_f16 v46, v10, v18
	v_pk_max_f16 v47, v78, v78
	v_pk_add_f16 v78, v11, v19
	s_delay_alu instid0(VALU_DEP_2) | instskip(NEXT) | instid1(VALU_DEP_1)
	v_pk_min_f16 v46, v47, v46
	v_pk_min_f16 v46, v46, v78
	s_delay_alu instid0(VALU_DEP_1) | instskip(NEXT) | instid1(VALU_DEP_1)
	v_lshrrev_b32_e32 v47, 16, v46
	v_min3_f16 v23, v23, v46, v47
	v_add_co_u32 v46, vcc_lo, v20, v34
	v_add_co_ci_u32_e32 v47, vcc_lo, v21, v35, vcc_lo
	s_and_b32 vcc_lo, exec_lo, s0
	global_store_b16 v[46:47], v23, off
	s_cbranch_vccnz .LBB219_116
; %bb.115:
	v_add_co_u32 v22, vcc_lo, v16, v40
	v_add_co_ci_u32_e32 v23, vcc_lo, v17, v41, vcc_lo
	flat_load_u16 v22, v[22:23]
	s_waitcnt vmcnt(0) lgkmcnt(0)
	v_mul_f16_e32 v22, v48, v22
.LBB219_116:
	v_pk_add_f16 v23, v4, v18
	v_pk_max_f16 v46, v77, v77
	v_pk_add_f16 v47, v5, v19
	s_delay_alu instid0(VALU_DEP_2) | instskip(SKIP_1) | instid1(VALU_DEP_2)
	v_pk_min_f16 v23, v46, v23
	v_add_co_u32 v46, vcc_lo, v20, v40
	v_pk_min_f16 v23, v23, v47
	v_add_co_ci_u32_e32 v47, vcc_lo, v21, v41, vcc_lo
	s_and_b32 vcc_lo, exec_lo, s0
	s_delay_alu instid0(VALU_DEP_2) | instskip(NEXT) | instid1(VALU_DEP_1)
	v_lshrrev_b32_e32 v77, 16, v23
	v_min3_f16 v77, v22, v23, v77
	v_dual_mov_b32 v22, 0 :: v_dual_mov_b32 v23, 0
	global_store_b16 v[46:47], v77, off
	s_cbranch_vccnz .LBB219_118
; %bb.117:
	v_add_co_u32 v46, vcc_lo, v16, v42
	v_add_co_ci_u32_e32 v47, vcc_lo, v17, v43, vcc_lo
	flat_load_u16 v23, v[46:47]
	s_waitcnt vmcnt(0) lgkmcnt(0)
	v_mul_f16_e32 v23, v48, v23
.LBB219_118:
	v_pk_add_f16 v46, v6, v18
	v_pk_max_f16 v47, v76, v76
	v_pk_add_f16 v76, v7, v19
	s_delay_alu instid0(VALU_DEP_2) | instskip(NEXT) | instid1(VALU_DEP_1)
	v_pk_min_f16 v46, v47, v46
	v_pk_min_f16 v46, v46, v76
	s_delay_alu instid0(VALU_DEP_1) | instskip(NEXT) | instid1(VALU_DEP_1)
	v_lshrrev_b32_e32 v47, 16, v46
	v_min3_f16 v23, v23, v46, v47
	v_add_co_u32 v46, vcc_lo, v20, v42
	;; [unrolled: 43-line block ×3, first 2 shown]
	v_add_co_ci_u32_e32 v47, vcc_lo, v21, v37, vcc_lo
	s_and_b32 vcc_lo, exec_lo, s0
	global_store_b16 v[46:47], v23, off
	s_cbranch_vccnz .LBB219_124
; %bb.123:
	v_add_co_u32 v16, vcc_lo, v16, v44
	v_add_co_ci_u32_e32 v17, vcc_lo, v17, v45, vcc_lo
	flat_load_u16 v16, v[16:17]
	s_waitcnt vmcnt(0) lgkmcnt(0)
	v_mul_f16_e32 v22, v48, v16
.LBB219_124:
	v_pk_add_f16 v18, v24, v18
	v_pk_max_f16 v46, v73, v73
	v_pk_add_f16 v19, v25, v19
	v_add_nc_u32_e32 v23, 0xa0, v88
	s_delay_alu instid0(VALU_DEP_3) | instskip(NEXT) | instid1(VALU_DEP_1)
	v_pk_min_f16 v18, v46, v18
	v_pk_min_f16 v46, v18, v19
	v_add_co_u32 v18, vcc_lo, v20, v44
	v_add_co_ci_u32_e32 v19, vcc_lo, v21, v45, vcc_lo
	s_delay_alu instid0(VALU_DEP_3) | instskip(SKIP_1) | instid1(VALU_DEP_2)
	v_lshrrev_b32_e32 v20, 16, v46
	v_mov_b32_e32 v21, 0
	v_min3_f16 v22, v22, v46, v20
	v_mov_b32_e32 v20, 0
	v_mad_i64_i32 v[16:17], null, v23, s10, 0
	global_store_b16 v[18:19], v22, off
	v_lshlrev_b64 v[16:17], 1, v[16:17]
	s_delay_alu instid0(VALU_DEP_1) | instskip(NEXT) | instid1(VALU_DEP_2)
	v_add_co_u32 v16, vcc_lo, s8, v16
	v_add_co_ci_u32_e32 v17, vcc_lo, s9, v17, vcc_lo
	s_and_b32 vcc_lo, exec_lo, s0
	s_cbranch_vccnz .LBB219_126
; %bb.125:
	s_delay_alu instid0(VALU_DEP_2) | instskip(NEXT) | instid1(VALU_DEP_2)
	v_add_co_u32 v18, vcc_lo, v16, v30
	v_add_co_ci_u32_e32 v19, vcc_lo, v17, v31, vcc_lo
	flat_load_u16 v18, v[18:19]
	s_waitcnt vmcnt(0) lgkmcnt(0)
	v_mul_f16_e32 v21, v48, v18
.LBB219_126:
	v_pk_add_f16 v22, v28, v12
	v_pk_max_f16 v46, v72, v72
	v_mad_i64_i32 v[18:19], null, v23, s4, 0
	v_pk_add_f16 v23, v29, v13
	s_delay_alu instid0(VALU_DEP_3) | instskip(NEXT) | instid1(VALU_DEP_3)
	v_pk_min_f16 v22, v46, v22
	v_lshlrev_b64 v[18:19], 1, v[18:19]
	s_delay_alu instid0(VALU_DEP_2) | instskip(NEXT) | instid1(VALU_DEP_2)
	v_pk_min_f16 v22, v22, v23
	v_add_co_u32 v18, vcc_lo, s1, v18
	s_delay_alu instid0(VALU_DEP_2) | instskip(NEXT) | instid1(VALU_DEP_4)
	v_lshrrev_b32_e32 v23, 16, v22
	v_add_co_ci_u32_e32 v19, vcc_lo, s5, v19, vcc_lo
	s_delay_alu instid0(VALU_DEP_2) | instskip(NEXT) | instid1(VALU_DEP_4)
	v_min3_f16 v23, v21, v22, v23
	v_add_co_u32 v21, vcc_lo, v18, v30
	s_delay_alu instid0(VALU_DEP_3)
	v_add_co_ci_u32_e32 v22, vcc_lo, v19, v31, vcc_lo
	s_and_b32 vcc_lo, exec_lo, s0
	global_store_b16 v[21:22], v23, off
	s_cbranch_vccnz .LBB219_128
; %bb.127:
	v_add_co_u32 v20, vcc_lo, v16, v32
	v_add_co_ci_u32_e32 v21, vcc_lo, v17, v33, vcc_lo
	flat_load_u16 v20, v[20:21]
	s_waitcnt vmcnt(0) lgkmcnt(0)
	v_mul_f16_e32 v20, v48, v20
.LBB219_128:
	v_pk_add_f16 v21, v8, v12
	v_pk_max_f16 v22, v71, v71
	v_pk_add_f16 v23, v9, v13
	s_delay_alu instid0(VALU_DEP_2) | instskip(SKIP_1) | instid1(VALU_DEP_2)
	v_pk_min_f16 v21, v22, v21
	v_add_co_u32 v22, vcc_lo, v18, v32
	v_pk_min_f16 v21, v21, v23
	v_add_co_ci_u32_e32 v23, vcc_lo, v19, v33, vcc_lo
	s_and_b32 vcc_lo, exec_lo, s0
	s_delay_alu instid0(VALU_DEP_2) | instskip(NEXT) | instid1(VALU_DEP_1)
	v_lshrrev_b32_e32 v46, 16, v21
	v_min3_f16 v46, v20, v21, v46
	v_dual_mov_b32 v20, 0 :: v_dual_mov_b32 v21, 0
	global_store_b16 v[22:23], v46, off
	s_cbranch_vccnz .LBB219_130
; %bb.129:
	v_add_co_u32 v21, vcc_lo, v16, v34
	v_add_co_ci_u32_e32 v22, vcc_lo, v17, v35, vcc_lo
	flat_load_u16 v21, v[21:22]
	s_waitcnt vmcnt(0) lgkmcnt(0)
	v_mul_f16_e32 v21, v48, v21
.LBB219_130:
	v_pk_add_f16 v22, v10, v12
	v_pk_max_f16 v23, v70, v70
	v_pk_add_f16 v46, v11, v13
	s_delay_alu instid0(VALU_DEP_2) | instskip(NEXT) | instid1(VALU_DEP_1)
	v_pk_min_f16 v22, v23, v22
	v_pk_min_f16 v22, v22, v46
	s_delay_alu instid0(VALU_DEP_1) | instskip(NEXT) | instid1(VALU_DEP_1)
	v_lshrrev_b32_e32 v23, 16, v22
	v_min3_f16 v23, v21, v22, v23
	v_add_co_u32 v21, vcc_lo, v18, v34
	v_add_co_ci_u32_e32 v22, vcc_lo, v19, v35, vcc_lo
	s_and_b32 vcc_lo, exec_lo, s0
	global_store_b16 v[21:22], v23, off
	s_cbranch_vccnz .LBB219_132
; %bb.131:
	v_add_co_u32 v20, vcc_lo, v16, v40
	v_add_co_ci_u32_e32 v21, vcc_lo, v17, v41, vcc_lo
	flat_load_u16 v20, v[20:21]
	s_waitcnt vmcnt(0) lgkmcnt(0)
	v_mul_f16_e32 v20, v48, v20
.LBB219_132:
	v_pk_add_f16 v21, v4, v12
	v_pk_max_f16 v22, v69, v69
	v_pk_add_f16 v23, v5, v13
	s_delay_alu instid0(VALU_DEP_2) | instskip(SKIP_1) | instid1(VALU_DEP_2)
	v_pk_min_f16 v21, v22, v21
	v_add_co_u32 v22, vcc_lo, v18, v40
	v_pk_min_f16 v21, v21, v23
	v_add_co_ci_u32_e32 v23, vcc_lo, v19, v41, vcc_lo
	s_and_b32 vcc_lo, exec_lo, s0
	s_delay_alu instid0(VALU_DEP_2) | instskip(NEXT) | instid1(VALU_DEP_1)
	v_lshrrev_b32_e32 v46, 16, v21
	v_min3_f16 v46, v20, v21, v46
	v_dual_mov_b32 v20, 0 :: v_dual_mov_b32 v21, 0
	global_store_b16 v[22:23], v46, off
	s_cbranch_vccnz .LBB219_134
; %bb.133:
	v_add_co_u32 v21, vcc_lo, v16, v42
	v_add_co_ci_u32_e32 v22, vcc_lo, v17, v43, vcc_lo
	flat_load_u16 v21, v[21:22]
	s_waitcnt vmcnt(0) lgkmcnt(0)
	v_mul_f16_e32 v21, v48, v21
.LBB219_134:
	v_pk_add_f16 v22, v6, v12
	v_pk_max_f16 v23, v68, v68
	v_pk_add_f16 v46, v7, v13
	s_delay_alu instid0(VALU_DEP_2) | instskip(NEXT) | instid1(VALU_DEP_1)
	v_pk_min_f16 v22, v23, v22
	v_pk_min_f16 v22, v22, v46
	s_delay_alu instid0(VALU_DEP_1) | instskip(NEXT) | instid1(VALU_DEP_1)
	v_lshrrev_b32_e32 v23, 16, v22
	v_min3_f16 v23, v21, v22, v23
	v_add_co_u32 v21, vcc_lo, v18, v42
	;; [unrolled: 43-line block ×3, first 2 shown]
	v_add_co_ci_u32_e32 v22, vcc_lo, v19, v37, vcc_lo
	s_and_b32 vcc_lo, exec_lo, s0
	global_store_b16 v[21:22], v23, off
	s_cbranch_vccnz .LBB219_140
; %bb.139:
	v_add_co_u32 v16, vcc_lo, v16, v44
	v_add_co_ci_u32_e32 v17, vcc_lo, v17, v45, vcc_lo
	flat_load_u16 v16, v[16:17]
	s_waitcnt vmcnt(0) lgkmcnt(0)
	v_mul_f16_e32 v20, v48, v16
.LBB219_140:
	v_add_nc_u32_e32 v16, 0xc0, v88
	v_pk_add_f16 v12, v24, v12
	v_pk_max_f16 v17, v65, v65
	v_pk_add_f16 v13, v25, v13
	s_delay_alu instid0(VALU_DEP_4) | instskip(NEXT) | instid1(VALU_DEP_3)
	v_mad_i64_i32 v[21:22], null, v16, s10, 0
	v_pk_min_f16 v12, v17, v12
	s_delay_alu instid0(VALU_DEP_1) | instskip(NEXT) | instid1(VALU_DEP_3)
	v_pk_min_f16 v17, v12, v13
	v_lshlrev_b64 v[12:13], 1, v[21:22]
	v_add_co_u32 v21, vcc_lo, v18, v44
	v_add_co_ci_u32_e32 v22, vcc_lo, v19, v45, vcc_lo
	v_mov_b32_e32 v19, 0
	v_lshrrev_b32_e32 v18, 16, v17
	v_add_co_u32 v12, vcc_lo, s8, v12
	v_add_co_ci_u32_e32 v13, vcc_lo, s9, v13, vcc_lo
	s_delay_alu instid0(VALU_DEP_3)
	v_min3_f16 v17, v20, v17, v18
	v_mov_b32_e32 v18, 0
	s_and_b32 vcc_lo, exec_lo, s0
	global_store_b16 v[21:22], v17, off
	s_cbranch_vccnz .LBB219_142
; %bb.141:
	v_add_co_u32 v19, vcc_lo, v12, v30
	v_add_co_ci_u32_e32 v20, vcc_lo, v13, v31, vcc_lo
	flat_load_u16 v17, v[19:20]
	s_waitcnt vmcnt(0) lgkmcnt(0)
	v_mul_f16_e32 v19, v48, v17
.LBB219_142:
	v_pk_add_f16 v17, v28, v14
	v_pk_max_f16 v22, v64, v64
	v_mad_i64_i32 v[20:21], null, v16, s4, 0
	v_pk_add_f16 v16, v29, v15
	s_delay_alu instid0(VALU_DEP_3) | instskip(NEXT) | instid1(VALU_DEP_1)
	v_pk_min_f16 v17, v22, v17
	v_pk_min_f16 v22, v17, v16
	s_delay_alu instid0(VALU_DEP_4) | instskip(NEXT) | instid1(VALU_DEP_2)
	v_lshlrev_b64 v[16:17], 1, v[20:21]
	v_lshrrev_b32_e32 v20, 16, v22
	s_delay_alu instid0(VALU_DEP_2) | instskip(NEXT) | instid1(VALU_DEP_3)
	v_add_co_u32 v16, vcc_lo, s1, v16
	v_add_co_ci_u32_e32 v17, vcc_lo, s5, v17, vcc_lo
	s_delay_alu instid0(VALU_DEP_3) | instskip(NEXT) | instid1(VALU_DEP_3)
	v_min3_f16 v21, v19, v22, v20
	v_add_co_u32 v19, vcc_lo, v16, v30
	s_delay_alu instid0(VALU_DEP_3)
	v_add_co_ci_u32_e32 v20, vcc_lo, v17, v31, vcc_lo
	s_and_b32 vcc_lo, exec_lo, s0
	global_store_b16 v[19:20], v21, off
	s_cbranch_vccnz .LBB219_144
; %bb.143:
	v_add_co_u32 v18, vcc_lo, v12, v32
	v_add_co_ci_u32_e32 v19, vcc_lo, v13, v33, vcc_lo
	flat_load_u16 v18, v[18:19]
	s_waitcnt vmcnt(0) lgkmcnt(0)
	v_mul_f16_e32 v18, v48, v18
.LBB219_144:
	v_pk_add_f16 v19, v8, v14
	v_pk_max_f16 v20, v63, v63
	v_pk_add_f16 v21, v9, v15
	s_delay_alu instid0(VALU_DEP_2) | instskip(SKIP_1) | instid1(VALU_DEP_2)
	v_pk_min_f16 v19, v20, v19
	v_add_co_u32 v20, vcc_lo, v16, v32
	v_pk_min_f16 v19, v19, v21
	v_add_co_ci_u32_e32 v21, vcc_lo, v17, v33, vcc_lo
	s_and_b32 vcc_lo, exec_lo, s0
	s_delay_alu instid0(VALU_DEP_2) | instskip(NEXT) | instid1(VALU_DEP_1)
	v_lshrrev_b32_e32 v22, 16, v19
	v_min3_f16 v22, v18, v19, v22
	v_dual_mov_b32 v18, 0 :: v_dual_mov_b32 v19, 0
	global_store_b16 v[20:21], v22, off
	s_cbranch_vccnz .LBB219_146
; %bb.145:
	v_add_co_u32 v19, vcc_lo, v12, v34
	v_add_co_ci_u32_e32 v20, vcc_lo, v13, v35, vcc_lo
	flat_load_u16 v19, v[19:20]
	s_waitcnt vmcnt(0) lgkmcnt(0)
	v_mul_f16_e32 v19, v48, v19
.LBB219_146:
	v_pk_add_f16 v20, v10, v14
	v_pk_max_f16 v21, v62, v62
	v_pk_add_f16 v22, v11, v15
	s_delay_alu instid0(VALU_DEP_2) | instskip(NEXT) | instid1(VALU_DEP_1)
	v_pk_min_f16 v20, v21, v20
	v_pk_min_f16 v20, v20, v22
	s_delay_alu instid0(VALU_DEP_1) | instskip(NEXT) | instid1(VALU_DEP_1)
	v_lshrrev_b32_e32 v21, 16, v20
	v_min3_f16 v21, v19, v20, v21
	v_add_co_u32 v19, vcc_lo, v16, v34
	v_add_co_ci_u32_e32 v20, vcc_lo, v17, v35, vcc_lo
	s_and_b32 vcc_lo, exec_lo, s0
	global_store_b16 v[19:20], v21, off
	s_cbranch_vccnz .LBB219_148
; %bb.147:
	v_add_co_u32 v18, vcc_lo, v12, v40
	v_add_co_ci_u32_e32 v19, vcc_lo, v13, v41, vcc_lo
	flat_load_u16 v18, v[18:19]
	s_waitcnt vmcnt(0) lgkmcnt(0)
	v_mul_f16_e32 v18, v48, v18
.LBB219_148:
	v_pk_add_f16 v19, v4, v14
	v_pk_max_f16 v20, v61, v61
	v_pk_add_f16 v21, v5, v15
	s_delay_alu instid0(VALU_DEP_2) | instskip(SKIP_1) | instid1(VALU_DEP_2)
	v_pk_min_f16 v19, v20, v19
	v_add_co_u32 v20, vcc_lo, v16, v40
	v_pk_min_f16 v19, v19, v21
	v_add_co_ci_u32_e32 v21, vcc_lo, v17, v41, vcc_lo
	s_and_b32 vcc_lo, exec_lo, s0
	s_delay_alu instid0(VALU_DEP_2) | instskip(NEXT) | instid1(VALU_DEP_1)
	v_lshrrev_b32_e32 v22, 16, v19
	v_min3_f16 v22, v18, v19, v22
	v_dual_mov_b32 v18, 0 :: v_dual_mov_b32 v19, 0
	global_store_b16 v[20:21], v22, off
	s_cbranch_vccnz .LBB219_150
; %bb.149:
	v_add_co_u32 v19, vcc_lo, v12, v42
	v_add_co_ci_u32_e32 v20, vcc_lo, v13, v43, vcc_lo
	flat_load_u16 v19, v[19:20]
	s_waitcnt vmcnt(0) lgkmcnt(0)
	v_mul_f16_e32 v19, v48, v19
.LBB219_150:
	v_pk_add_f16 v20, v6, v14
	v_pk_max_f16 v21, v60, v60
	v_pk_add_f16 v22, v7, v15
	s_delay_alu instid0(VALU_DEP_2) | instskip(NEXT) | instid1(VALU_DEP_1)
	v_pk_min_f16 v20, v21, v20
	v_pk_min_f16 v20, v20, v22
	s_delay_alu instid0(VALU_DEP_1) | instskip(NEXT) | instid1(VALU_DEP_1)
	v_lshrrev_b32_e32 v21, 16, v20
	v_min3_f16 v21, v19, v20, v21
	v_add_co_u32 v19, vcc_lo, v16, v42
	;; [unrolled: 43-line block ×3, first 2 shown]
	v_add_co_ci_u32_e32 v20, vcc_lo, v17, v37, vcc_lo
	s_and_b32 vcc_lo, exec_lo, s0
	global_store_b16 v[19:20], v21, off
	s_cbranch_vccnz .LBB219_156
; %bb.155:
	v_add_co_u32 v12, vcc_lo, v12, v44
	v_add_co_ci_u32_e32 v13, vcc_lo, v13, v45, vcc_lo
	flat_load_u16 v12, v[12:13]
	s_waitcnt vmcnt(0) lgkmcnt(0)
	v_mul_f16_e32 v18, v48, v12
.LBB219_156:
	v_pk_add_f16 v14, v24, v14
	v_pk_max_f16 v20, v57, v57
	v_pk_add_f16 v15, v25, v15
	v_add_nc_u32_e32 v19, 0xe0, v88
	s_delay_alu instid0(VALU_DEP_3) | instskip(NEXT) | instid1(VALU_DEP_1)
	v_pk_min_f16 v14, v20, v14
	v_pk_min_f16 v20, v14, v15
	v_add_co_u32 v14, vcc_lo, v16, v44
	v_add_co_ci_u32_e32 v15, vcc_lo, v17, v45, vcc_lo
	s_delay_alu instid0(VALU_DEP_3) | instskip(SKIP_1) | instid1(VALU_DEP_2)
	v_lshrrev_b32_e32 v16, 16, v20
	v_mov_b32_e32 v17, 0
	v_min3_f16 v18, v18, v20, v16
	v_mov_b32_e32 v16, 0
	v_mad_i64_i32 v[12:13], null, v19, s10, 0
	global_store_b16 v[14:15], v18, off
	v_lshlrev_b64 v[12:13], 1, v[12:13]
	s_delay_alu instid0(VALU_DEP_1) | instskip(NEXT) | instid1(VALU_DEP_2)
	v_add_co_u32 v12, vcc_lo, s8, v12
	v_add_co_ci_u32_e32 v13, vcc_lo, s9, v13, vcc_lo
	s_and_b32 vcc_lo, exec_lo, s0
	s_cbranch_vccnz .LBB219_158
; %bb.157:
	s_delay_alu instid0(VALU_DEP_2) | instskip(NEXT) | instid1(VALU_DEP_2)
	v_add_co_u32 v14, vcc_lo, v12, v30
	v_add_co_ci_u32_e32 v15, vcc_lo, v13, v31, vcc_lo
	flat_load_u16 v14, v[14:15]
	s_waitcnt vmcnt(0) lgkmcnt(0)
	v_mul_f16_e32 v17, v48, v14
.LBB219_158:
	v_pk_add_f16 v18, v28, v26
	v_pk_max_f16 v20, v56, v56
	v_mad_i64_i32 v[14:15], null, v19, s4, 0
	v_pk_add_f16 v19, v29, v27
	s_delay_alu instid0(VALU_DEP_3) | instskip(NEXT) | instid1(VALU_DEP_3)
	v_pk_min_f16 v18, v20, v18
	v_lshlrev_b64 v[14:15], 1, v[14:15]
	s_delay_alu instid0(VALU_DEP_2) | instskip(NEXT) | instid1(VALU_DEP_2)
	v_pk_min_f16 v18, v18, v19
	v_add_co_u32 v14, vcc_lo, s1, v14
	s_delay_alu instid0(VALU_DEP_2) | instskip(NEXT) | instid1(VALU_DEP_4)
	v_lshrrev_b32_e32 v19, 16, v18
	v_add_co_ci_u32_e32 v15, vcc_lo, s5, v15, vcc_lo
	s_delay_alu instid0(VALU_DEP_2) | instskip(NEXT) | instid1(VALU_DEP_4)
	v_min3_f16 v19, v17, v18, v19
	v_add_co_u32 v17, vcc_lo, v14, v30
	s_delay_alu instid0(VALU_DEP_3)
	v_add_co_ci_u32_e32 v18, vcc_lo, v15, v31, vcc_lo
	s_and_b32 vcc_lo, exec_lo, s0
	global_store_b16 v[17:18], v19, off
	s_cbranch_vccnz .LBB219_160
; %bb.159:
	v_add_co_u32 v16, vcc_lo, v12, v32
	v_add_co_ci_u32_e32 v17, vcc_lo, v13, v33, vcc_lo
	flat_load_u16 v16, v[16:17]
	s_waitcnt vmcnt(0) lgkmcnt(0)
	v_mul_f16_e32 v16, v48, v16
.LBB219_160:
	v_pk_add_f16 v8, v8, v26
	v_pk_max_f16 v17, v55, v55
	v_pk_add_f16 v9, v9, v27
	s_delay_alu instid0(VALU_DEP_2) | instskip(SKIP_2) | instid1(VALU_DEP_3)
	v_pk_min_f16 v8, v17, v8
	v_add_co_u32 v17, vcc_lo, v14, v32
	v_add_co_ci_u32_e32 v18, vcc_lo, v15, v33, vcc_lo
	v_pk_min_f16 v8, v8, v9
	s_and_b32 vcc_lo, exec_lo, s0
	s_delay_alu instid0(VALU_DEP_1) | instskip(NEXT) | instid1(VALU_DEP_1)
	v_lshrrev_b32_e32 v9, 16, v8
	v_min3_f16 v16, v16, v8, v9
	v_dual_mov_b32 v8, 0 :: v_dual_mov_b32 v9, 0
	global_store_b16 v[17:18], v16, off
	s_cbranch_vccnz .LBB219_162
; %bb.161:
	v_add_co_u32 v16, vcc_lo, v12, v34
	v_add_co_ci_u32_e32 v17, vcc_lo, v13, v35, vcc_lo
	flat_load_u16 v9, v[16:17]
	s_waitcnt vmcnt(0) lgkmcnt(0)
	v_mul_f16_e32 v9, v48, v9
.LBB219_162:
	v_pk_add_f16 v10, v10, v26
	v_pk_max_f16 v16, v54, v54
	v_pk_add_f16 v11, v11, v27
	s_delay_alu instid0(VALU_DEP_2) | instskip(NEXT) | instid1(VALU_DEP_1)
	v_pk_min_f16 v10, v16, v10
	v_pk_min_f16 v10, v10, v11
	s_delay_alu instid0(VALU_DEP_1) | instskip(NEXT) | instid1(VALU_DEP_1)
	v_lshrrev_b32_e32 v11, 16, v10
	v_min3_f16 v11, v9, v10, v11
	v_add_co_u32 v9, vcc_lo, v14, v34
	v_add_co_ci_u32_e32 v10, vcc_lo, v15, v35, vcc_lo
	s_and_b32 vcc_lo, exec_lo, s0
	global_store_b16 v[9:10], v11, off
	s_cbranch_vccnz .LBB219_164
; %bb.163:
	v_add_co_u32 v8, vcc_lo, v12, v40
	v_add_co_ci_u32_e32 v9, vcc_lo, v13, v41, vcc_lo
	flat_load_u16 v8, v[8:9]
	s_waitcnt vmcnt(0) lgkmcnt(0)
	v_mul_f16_e32 v8, v48, v8
.LBB219_164:
	v_pk_add_f16 v4, v4, v26
	v_pk_max_f16 v9, v53, v53
	v_pk_add_f16 v5, v5, v27
	s_delay_alu instid0(VALU_DEP_2) | instskip(SKIP_2) | instid1(VALU_DEP_3)
	v_pk_min_f16 v4, v9, v4
	v_add_co_u32 v9, vcc_lo, v14, v40
	v_add_co_ci_u32_e32 v10, vcc_lo, v15, v41, vcc_lo
	v_pk_min_f16 v4, v4, v5
	s_and_b32 vcc_lo, exec_lo, s0
	s_delay_alu instid0(VALU_DEP_1) | instskip(NEXT) | instid1(VALU_DEP_1)
	v_lshrrev_b32_e32 v5, 16, v4
	v_min3_f16 v8, v8, v4, v5
	v_dual_mov_b32 v4, 0 :: v_dual_mov_b32 v5, 0
	global_store_b16 v[9:10], v8, off
	s_cbranch_vccnz .LBB219_166
; %bb.165:
	v_add_co_u32 v8, vcc_lo, v12, v42
	v_add_co_ci_u32_e32 v9, vcc_lo, v13, v43, vcc_lo
	flat_load_u16 v5, v[8:9]
	s_waitcnt vmcnt(0) lgkmcnt(0)
	v_mul_f16_e32 v5, v48, v5
.LBB219_166:
	v_pk_add_f16 v6, v6, v26
	v_pk_max_f16 v8, v52, v52
	v_pk_add_f16 v7, v7, v27
	s_delay_alu instid0(VALU_DEP_2) | instskip(NEXT) | instid1(VALU_DEP_1)
	v_pk_min_f16 v6, v8, v6
	v_pk_min_f16 v6, v6, v7
	s_delay_alu instid0(VALU_DEP_1) | instskip(NEXT) | instid1(VALU_DEP_1)
	v_lshrrev_b32_e32 v7, 16, v6
	v_min3_f16 v7, v5, v6, v7
	v_add_co_u32 v5, vcc_lo, v14, v42
	v_add_co_ci_u32_e32 v6, vcc_lo, v15, v43, vcc_lo
	s_and_b32 vcc_lo, exec_lo, s0
	global_store_b16 v[5:6], v7, off
	s_cbranch_vccnz .LBB219_168
; %bb.167:
	v_add_co_u32 v4, vcc_lo, v12, v38
	v_add_co_ci_u32_e32 v5, vcc_lo, v13, v39, vcc_lo
	flat_load_u16 v4, v[4:5]
	s_waitcnt vmcnt(0) lgkmcnt(0)
	v_mul_f16_e32 v4, v48, v4
.LBB219_168:
	v_pk_add_f16 v0, v0, v26
	v_pk_max_f16 v5, v51, v51
	v_pk_add_f16 v2, v2, v26
	v_pk_max_f16 v6, v50, v50
	v_pk_add_f16 v1, v1, v27
	v_pk_add_f16 v3, v3, v27
	v_pk_min_f16 v0, v5, v0
	s_delay_alu instid0(VALU_DEP_4) | instskip(NEXT) | instid1(VALU_DEP_2)
	v_pk_min_f16 v2, v6, v2
	v_pk_min_f16 v0, v0, v1
	s_delay_alu instid0(VALU_DEP_2) | instskip(NEXT) | instid1(VALU_DEP_2)
	v_pk_min_f16 v1, v2, v3
	v_lshrrev_b32_e32 v2, 16, v0
	s_delay_alu instid0(VALU_DEP_2) | instskip(NEXT) | instid1(VALU_DEP_2)
	v_lshrrev_b32_e32 v3, 16, v1
	v_min3_f16 v4, v4, v0, v2
	s_delay_alu instid0(VALU_DEP_2) | instskip(SKIP_2) | instid1(VALU_DEP_3)
	v_min_f16_e32 v0, v1, v3
	v_add_co_u32 v1, vcc_lo, v14, v38
	v_add_co_ci_u32_e32 v2, vcc_lo, v15, v39, vcc_lo
	v_max_f16_e32 v0, v0, v0
	s_mov_b32 vcc_lo, s2
	global_store_b16 v[1:2], v4, off
	s_cbranch_vccz .LBB219_171
; %bb.169:
	v_add_co_u32 v1, vcc_lo, v14, v36
	v_min_f16_e32 v3, 0, v0
	v_add_co_ci_u32_e32 v2, vcc_lo, v15, v37, vcc_lo
	s_mov_b32 s0, 0
	global_store_b16 v[1:2], v3, off
	s_cbranch_execz .LBB219_172
; %bb.170:
	v_mov_b32_e32 v0, s0
	s_branch .LBB219_173
.LBB219_171:
	s_mov_b32 s0, -1
.LBB219_172:
	v_add_co_u32 v1, vcc_lo, v12, v36
	v_add_co_ci_u32_e32 v2, vcc_lo, v13, v37, vcc_lo
	flat_load_u16 v1, v[1:2]
	s_waitcnt vmcnt(0) lgkmcnt(0)
	v_mul_f16_e32 v3, v48, v1
	v_add_co_u32 v1, vcc_lo, v14, v36
	v_add_co_ci_u32_e32 v2, vcc_lo, v15, v37, vcc_lo
	s_delay_alu instid0(VALU_DEP_3)
	v_min_f16_e32 v0, v3, v0
	v_add_co_u32 v3, vcc_lo, v12, v44
	v_add_co_ci_u32_e32 v4, vcc_lo, v13, v45, vcc_lo
	global_store_b16 v[1:2], v0, off
	flat_load_u16 v0, v[3:4]
	s_waitcnt vmcnt(0) lgkmcnt(0)
	v_mul_f16_e32 v0, v48, v0
.LBB219_173:
	v_pk_add_f16 v1, v24, v26
	v_pk_max_f16 v2, v49, v49
	v_pk_add_f16 v3, v25, v27
	s_delay_alu instid0(VALU_DEP_2) | instskip(NEXT) | instid1(VALU_DEP_1)
	v_pk_min_f16 v1, v2, v1
	v_pk_min_f16 v1, v1, v3
	s_delay_alu instid0(VALU_DEP_1) | instskip(NEXT) | instid1(VALU_DEP_1)
	v_lshrrev_b32_e32 v2, 16, v1
	v_min3_f16 v2, v0, v1, v2
	v_add_co_u32 v0, vcc_lo, v14, v44
	v_add_co_ci_u32_e32 v1, vcc_lo, v15, v45, vcc_lo
	global_store_b16 v[0:1], v2, off
	s_nop 0
	s_sendmsg sendmsg(MSG_DEALLOC_VGPRS)
	s_endpgm
	.section	.rodata,"a",@progbits
	.p2align	6, 0x0
	.amdhsa_kernel _ZN12_GLOBAL__N_120geam_min_plus_kernelIDF16_Dv2_DF16_S1_Li8ELi32ELi64ELi256ELi4ELi64ELi4ELi64ELi4ELc78ELc84ELb0ELb0ELb1EPKDF16_KS3_KPDF16_EEviiiT16_PT17_ilS9_ilS7_S9_ilPT18_ili26rocblas_geam_ex_operation_
		.amdhsa_group_segment_fixed_size 5120
		.amdhsa_private_segment_fixed_size 0
		.amdhsa_kernarg_size 136
		.amdhsa_user_sgpr_count 14
		.amdhsa_user_sgpr_dispatch_ptr 0
		.amdhsa_user_sgpr_queue_ptr 0
		.amdhsa_user_sgpr_kernarg_segment_ptr 1
		.amdhsa_user_sgpr_dispatch_id 0
		.amdhsa_user_sgpr_private_segment_size 0
		.amdhsa_wavefront_size32 1
		.amdhsa_uses_dynamic_stack 0
		.amdhsa_enable_private_segment 0
		.amdhsa_system_sgpr_workgroup_id_x 1
		.amdhsa_system_sgpr_workgroup_id_y 0
		.amdhsa_system_sgpr_workgroup_id_z 1
		.amdhsa_system_sgpr_workgroup_info 0
		.amdhsa_system_vgpr_workitem_id 1
		.amdhsa_next_free_vgpr 155
		.amdhsa_next_free_sgpr 24
		.amdhsa_reserve_vcc 1
		.amdhsa_float_round_mode_32 0
		.amdhsa_float_round_mode_16_64 0
		.amdhsa_float_denorm_mode_32 3
		.amdhsa_float_denorm_mode_16_64 3
		.amdhsa_dx10_clamp 1
		.amdhsa_ieee_mode 1
		.amdhsa_fp16_overflow 0
		.amdhsa_workgroup_processor_mode 1
		.amdhsa_memory_ordered 1
		.amdhsa_forward_progress 0
		.amdhsa_shared_vgpr_count 0
		.amdhsa_exception_fp_ieee_invalid_op 0
		.amdhsa_exception_fp_denorm_src 0
		.amdhsa_exception_fp_ieee_div_zero 0
		.amdhsa_exception_fp_ieee_overflow 0
		.amdhsa_exception_fp_ieee_underflow 0
		.amdhsa_exception_fp_ieee_inexact 0
		.amdhsa_exception_int_div_zero 0
	.end_amdhsa_kernel
	.section	.text._ZN12_GLOBAL__N_120geam_min_plus_kernelIDF16_Dv2_DF16_S1_Li8ELi32ELi64ELi256ELi4ELi64ELi4ELi64ELi4ELc78ELc84ELb0ELb0ELb1EPKDF16_KS3_KPDF16_EEviiiT16_PT17_ilS9_ilS7_S9_ilPT18_ili26rocblas_geam_ex_operation_,"axG",@progbits,_ZN12_GLOBAL__N_120geam_min_plus_kernelIDF16_Dv2_DF16_S1_Li8ELi32ELi64ELi256ELi4ELi64ELi4ELi64ELi4ELc78ELc84ELb0ELb0ELb1EPKDF16_KS3_KPDF16_EEviiiT16_PT17_ilS9_ilS7_S9_ilPT18_ili26rocblas_geam_ex_operation_,comdat
.Lfunc_end219:
	.size	_ZN12_GLOBAL__N_120geam_min_plus_kernelIDF16_Dv2_DF16_S1_Li8ELi32ELi64ELi256ELi4ELi64ELi4ELi64ELi4ELc78ELc84ELb0ELb0ELb1EPKDF16_KS3_KPDF16_EEviiiT16_PT17_ilS9_ilS7_S9_ilPT18_ili26rocblas_geam_ex_operation_, .Lfunc_end219-_ZN12_GLOBAL__N_120geam_min_plus_kernelIDF16_Dv2_DF16_S1_Li8ELi32ELi64ELi256ELi4ELi64ELi4ELi64ELi4ELc78ELc84ELb0ELb0ELb1EPKDF16_KS3_KPDF16_EEviiiT16_PT17_ilS9_ilS7_S9_ilPT18_ili26rocblas_geam_ex_operation_
                                        ; -- End function
	.section	.AMDGPU.csdata,"",@progbits
; Kernel info:
; codeLenInByte = 18616
; NumSgprs: 26
; NumVgprs: 155
; ScratchSize: 0
; MemoryBound: 0
; FloatMode: 240
; IeeeMode: 1
; LDSByteSize: 5120 bytes/workgroup (compile time only)
; SGPRBlocks: 3
; VGPRBlocks: 19
; NumSGPRsForWavesPerEU: 26
; NumVGPRsForWavesPerEU: 155
; Occupancy: 9
; WaveLimiterHint : 1
; COMPUTE_PGM_RSRC2:SCRATCH_EN: 0
; COMPUTE_PGM_RSRC2:USER_SGPR: 14
; COMPUTE_PGM_RSRC2:TRAP_HANDLER: 0
; COMPUTE_PGM_RSRC2:TGID_X_EN: 1
; COMPUTE_PGM_RSRC2:TGID_Y_EN: 0
; COMPUTE_PGM_RSRC2:TGID_Z_EN: 1
; COMPUTE_PGM_RSRC2:TIDIG_COMP_CNT: 1
	.section	.text._ZN12_GLOBAL__N_120geam_min_plus_kernelIDF16_Dv2_DF16_S1_Li8ELi32ELi64ELi256ELi4ELi64ELi4ELi64ELi4ELc78ELc84ELb1ELb0ELb1EDF16_KPKDF16_KPDF16_EEviiiT16_PT17_ilS9_ilS7_S9_ilPT18_ili26rocblas_geam_ex_operation_,"axG",@progbits,_ZN12_GLOBAL__N_120geam_min_plus_kernelIDF16_Dv2_DF16_S1_Li8ELi32ELi64ELi256ELi4ELi64ELi4ELi64ELi4ELc78ELc84ELb1ELb0ELb1EDF16_KPKDF16_KPDF16_EEviiiT16_PT17_ilS9_ilS7_S9_ilPT18_ili26rocblas_geam_ex_operation_,comdat
	.globl	_ZN12_GLOBAL__N_120geam_min_plus_kernelIDF16_Dv2_DF16_S1_Li8ELi32ELi64ELi256ELi4ELi64ELi4ELi64ELi4ELc78ELc84ELb1ELb0ELb1EDF16_KPKDF16_KPDF16_EEviiiT16_PT17_ilS9_ilS7_S9_ilPT18_ili26rocblas_geam_ex_operation_ ; -- Begin function _ZN12_GLOBAL__N_120geam_min_plus_kernelIDF16_Dv2_DF16_S1_Li8ELi32ELi64ELi256ELi4ELi64ELi4ELi64ELi4ELc78ELc84ELb1ELb0ELb1EDF16_KPKDF16_KPDF16_EEviiiT16_PT17_ilS9_ilS7_S9_ilPT18_ili26rocblas_geam_ex_operation_
	.p2align	8
	.type	_ZN12_GLOBAL__N_120geam_min_plus_kernelIDF16_Dv2_DF16_S1_Li8ELi32ELi64ELi256ELi4ELi64ELi4ELi64ELi4ELc78ELc84ELb1ELb0ELb1EDF16_KPKDF16_KPDF16_EEviiiT16_PT17_ilS9_ilS7_S9_ilPT18_ili26rocblas_geam_ex_operation_,@function
_ZN12_GLOBAL__N_120geam_min_plus_kernelIDF16_Dv2_DF16_S1_Li8ELi32ELi64ELi256ELi4ELi64ELi4ELi64ELi4ELc78ELc84ELb1ELb0ELb1EDF16_KPKDF16_KPDF16_EEviiiT16_PT17_ilS9_ilS7_S9_ilPT18_ili26rocblas_geam_ex_operation_: ; @_ZN12_GLOBAL__N_120geam_min_plus_kernelIDF16_Dv2_DF16_S1_Li8ELi32ELi64ELi256ELi4ELi64ELi4ELi64ELi4ELc78ELc84ELb1ELb0ELb1EDF16_KPKDF16_KPDF16_EEviiiT16_PT17_ilS9_ilS7_S9_ilPT18_ili26rocblas_geam_ex_operation_
; %bb.0:
	s_clause 0x1
	s_load_b64 s[8:9], s[0:1], 0x8
	s_load_b128 s[4:7], s[0:1], 0x20
	s_mov_b32 s16, s15
	s_mov_b32 s17, 0
	s_waitcnt lgkmcnt(0)
	v_cmp_eq_f16_e64 s2, s9, 0
	s_delay_alu instid0(VALU_DEP_1)
	s_and_b32 vcc_lo, exec_lo, s2
	s_cbranch_vccnz .LBB220_3
; %bb.1:
	s_load_b64 s[10:11], s[0:1], 0x10
	s_lshl_b64 s[12:13], s[16:17], 3
	s_waitcnt lgkmcnt(0)
	s_add_u32 s10, s10, s12
	s_addc_u32 s11, s11, s13
	s_lshl_b64 s[4:5], s[4:5], 1
	s_load_b64 s[10:11], s[10:11], 0x0
	s_waitcnt lgkmcnt(0)
	s_add_u32 s10, s10, s4
	s_addc_u32 s11, s11, s5
	s_and_not1_b32 vcc_lo, exec_lo, s2
	s_cbranch_vccnz .LBB220_4
.LBB220_2:
	s_mov_b64 s[12:13], 0
	s_and_not1_b32 vcc_lo, exec_lo, s17
	s_cbranch_vccz .LBB220_5
	s_branch .LBB220_6
.LBB220_3:
	s_mov_b64 s[10:11], 0
	s_and_not1_b32 vcc_lo, exec_lo, s2
	s_cbranch_vccz .LBB220_2
.LBB220_4:
	s_mov_b32 s17, -1
                                        ; implicit-def: $sgpr12_sgpr13
.LBB220_5:
	s_mov_b32 s17, 0
	s_load_b64 s[4:5], s[0:1], 0x38
	s_lshl_b64 s[2:3], s[16:17], 3
	s_delay_alu instid0(SALU_CYCLE_1) | instskip(SKIP_4) | instid1(SALU_CYCLE_1)
	s_add_u32 s2, s6, s2
	s_addc_u32 s3, s7, s3
	s_load_b64 s[2:3], s[2:3], 0x0
	s_waitcnt lgkmcnt(0)
	s_lshl_b64 s[4:5], s[4:5], 1
	s_add_u32 s12, s2, s4
	s_addc_u32 s13, s3, s5
.LBB220_6:
	s_clause 0x1
	s_load_b32 s15, s[0:1], 0x40
	s_load_b128 s[4:7], s[0:1], 0x58
	s_waitcnt lgkmcnt(0)
	v_cmp_eq_f16_e64 s2, s15, 0
	s_delay_alu instid0(VALU_DEP_1) | instskip(NEXT) | instid1(SALU_CYCLE_1)
	s_and_b32 s2, exec_lo, s2
	s_mov_b32 vcc_lo, s2
	s_cbranch_vccnz .LBB220_8
; %bb.7:
	s_load_b64 s[18:19], s[0:1], 0x48
	s_lshl_b64 s[20:21], s[16:17], 3
	s_waitcnt lgkmcnt(0)
	s_add_u32 s18, s18, s20
	s_addc_u32 s19, s19, s21
	s_lshl_b64 s[4:5], s[4:5], 1
	s_load_b64 s[18:19], s[18:19], 0x0
	s_waitcnt lgkmcnt(0)
	s_add_u32 s4, s18, s4
	s_addc_u32 s5, s19, s5
	s_branch .LBB220_9
.LBB220_8:
	s_mov_b64 s[4:5], 0
.LBB220_9:
	s_load_b32 s3, s[0:1], 0x0
	s_lshl_b64 s[20:21], s[16:17], 3
	v_bfe_u32 v162, v0, 10, 10
	s_add_u32 s6, s6, s20
	s_addc_u32 s7, s7, s21
	v_and_b32_e32 v139, 0x3ff, v0
	s_clause 0x1
	s_load_b32 s16, s[0:1], 0x18
	s_load_b32 s18, s[0:1], 0x30
	v_lshlrev_b32_e32 v163, 3, v162
	v_lshlrev_b32_e32 v164, 3, v139
	s_delay_alu instid0(VALU_DEP_2) | instskip(NEXT) | instid1(VALU_DEP_1)
	v_add_nc_u32_e32 v0, v163, v139
	v_lshrrev_b32_e32 v2, 6, v0
	v_and_b32_e32 v15, 63, v0
	s_waitcnt lgkmcnt(0)
	s_add_i32 s3, s3, -1
	s_delay_alu instid0(SALU_CYCLE_1) | instskip(SKIP_2) | instid1(SALU_CYCLE_1)
	s_ashr_i32 s9, s3, 31
	v_add_nc_u32_e32 v16, 4, v2
	s_lshr_b32 s9, s9, 26
	s_add_i32 s3, s3, s9
	v_mad_i64_i32 v[3:4], null, s18, v2, 0
	s_ashr_i32 s3, s3, 6
	s_delay_alu instid0(SALU_CYCLE_1) | instskip(SKIP_2) | instid1(VALU_DEP_2)
	s_add_i32 s9, s3, 1
	s_not_b32 s3, s3
	v_cvt_f32_u32_e32 v1, s9
	v_lshlrev_b64 v[3:4], 1, v[3:4]
	s_delay_alu instid0(VALU_DEP_2) | instskip(SKIP_2) | instid1(VALU_DEP_1)
	v_rcp_iflag_f32_e32 v1, v1
	s_waitcnt_depctr 0xfff
	v_mul_f32_e32 v1, 0x4f7ffffe, v1
	v_cvt_u32_f32_e32 v1, v1
	s_delay_alu instid0(VALU_DEP_1) | instskip(SKIP_1) | instid1(VALU_DEP_2)
	v_readfirstlane_b32 s17, v1
	v_mad_i64_i32 v[0:1], null, s16, v2, 0
	s_mul_i32 s3, s3, s17
	s_delay_alu instid0(SALU_CYCLE_1) | instskip(NEXT) | instid1(SALU_CYCLE_1)
	s_mul_hi_u32 s3, s17, s3
	s_add_i32 s17, s17, s3
	s_delay_alu instid0(VALU_DEP_1) | instskip(SKIP_1) | instid1(SALU_CYCLE_1)
	v_lshlrev_b64 v[0:1], 1, v[0:1]
	s_mul_hi_u32 s3, s14, s17
	s_mul_i32 s17, s3, s9
	s_add_i32 s19, s3, 1
	s_sub_i32 s17, s14, s17
	s_delay_alu instid0(VALU_DEP_1)
	v_add_co_u32 v7, vcc_lo, s10, v0
	s_sub_i32 s20, s17, s9
	s_cmp_ge_u32 s17, s9
	v_add_co_ci_u32_e32 v17, vcc_lo, s11, v1, vcc_lo
	s_cselect_b32 s3, s19, s3
	s_cselect_b32 s17, s20, s17
	s_add_i32 s19, s3, 1
	s_cmp_ge_u32 s17, s9
	v_add_co_u32 v3, vcc_lo, s12, v3
	s_cselect_b32 s3, s19, s3
	v_add_co_ci_u32_e32 v4, vcc_lo, s13, v4, vcc_lo
	s_mul_i32 s9, s3, s9
	s_lshl_b32 s20, s3, 8
	s_sub_i32 s3, s14, s9
	v_or_b32_e32 v5, s20, v15
	s_lshl_b32 s3, s3, 6
	s_cmp_lt_i32 s8, 9
	v_or_b32_e32 v13, s3, v15
	s_delay_alu instid0(VALU_DEP_2) | instskip(NEXT) | instid1(VALU_DEP_2)
	v_ashrrev_i32_e32 v6, 31, v5
	v_ashrrev_i32_e32 v14, 31, v13
	s_delay_alu instid0(VALU_DEP_2) | instskip(NEXT) | instid1(VALU_DEP_2)
	v_lshlrev_b64 v[8:9], 1, v[5:6]
	v_lshlrev_b64 v[0:1], 1, v[13:14]
	v_mad_i64_i32 v[13:14], null, s18, v16, 0
	s_delay_alu instid0(VALU_DEP_3) | instskip(NEXT) | instid1(VALU_DEP_4)
	v_add_co_u32 v3, vcc_lo, v3, v8
	v_add_co_ci_u32_e32 v4, vcc_lo, v4, v9, vcc_lo
	s_delay_alu instid0(VALU_DEP_4)
	v_add_co_u32 v5, vcc_lo, v7, v0
	v_add_co_ci_u32_e32 v6, vcc_lo, v17, v1, vcc_lo
	s_clause 0x2
	flat_load_u16 v17, v[3:4]
	flat_load_u16 v18, v[3:4] offset:128
	flat_load_u16 v19, v[3:4] offset:256
	flat_load_u16 v20, v[5:6]
	flat_load_u16 v21, v[3:4] offset:384
	v_lshlrev_b64 v[3:4], 1, v[13:14]
	v_mad_i64_i32 v[6:7], null, s16, v16, 0
	s_delay_alu instid0(VALU_DEP_2) | instskip(NEXT) | instid1(VALU_DEP_3)
	v_add_co_u32 v3, vcc_lo, s12, v3
	v_add_co_ci_u32_e32 v5, vcc_lo, s13, v4, vcc_lo
	s_delay_alu instid0(VALU_DEP_3) | instskip(NEXT) | instid1(VALU_DEP_3)
	v_lshlrev_b64 v[6:7], 1, v[6:7]
	v_add_co_u32 v4, vcc_lo, v3, v8
	s_delay_alu instid0(VALU_DEP_3)
	v_add_co_ci_u32_e32 v5, vcc_lo, v5, v9, vcc_lo
	s_clause 0x2
	flat_load_u16 v47, v[4:5]
	flat_load_u16 v48, v[4:5] offset:128
	flat_load_u16 v49, v[4:5] offset:256
	v_add_co_u32 v3, vcc_lo, s10, v6
	v_add_co_ci_u32_e32 v7, vcc_lo, s11, v7, vcc_lo
	s_delay_alu instid0(VALU_DEP_2) | instskip(NEXT) | instid1(VALU_DEP_2)
	v_add_co_u32 v6, vcc_lo, v3, v0
	v_add_co_ci_u32_e32 v7, vcc_lo, v7, v1, vcc_lo
	flat_load_u16 v3, v[6:7]
	flat_load_u16 v4, v[4:5] offset:384
	v_lshlrev_b32_e32 v5, 1, v2
	s_load_b64 s[6:7], s[6:7], 0x0
	s_delay_alu instid0(VALU_DEP_1)
	v_lshl_add_u32 v165, v15, 3, v5
	v_add_nc_u32_e32 v5, 0x1000, v164
	s_waitcnt vmcnt(9) lgkmcnt(0)
	ds_store_b16 v165, v17
	s_waitcnt vmcnt(8)
	ds_store_b16 v165, v18 offset:512
	s_waitcnt vmcnt(7)
	ds_store_b16 v165, v19 offset:1024
	;; [unrolled: 2-line block ×4, first 2 shown]
	s_waitcnt vmcnt(0) lgkmcnt(0)
	s_barrier
	buffer_gl0_inv
	ds_load_2addr_b64 v[15:18], v5 offset1:8
	ds_load_2addr_b64 v[19:22], v163 offset1:32
	ds_load_2addr_b64 v[23:26], v5 offset0:16 offset1:24
	ds_load_2addr_b64 v[27:30], v5 offset0:32 offset1:40
	;; [unrolled: 1-line block ×6, first 2 shown]
	ds_store_b16 v165, v47 offset:2048
	ds_store_b16 v165, v48 offset:2560
	;; [unrolled: 1-line block ×3, first 2 shown]
	s_waitcnt lgkmcnt(9)
	v_pk_add_f16 v5, v15, v19
	v_pk_add_f16 v6, v17, v19
	s_waitcnt lgkmcnt(8)
	v_pk_add_f16 v7, v23, v19
	v_pk_add_f16 v47, v25, v19
	;; [unrolled: 3-line block ×4, first 2 shown]
	v_pk_add_f16 v51, v15, v21
	v_pk_add_f16 v52, v17, v21
	;; [unrolled: 1-line block ×8, first 2 shown]
	s_waitcnt lgkmcnt(5)
	v_pk_add_f16 v58, v15, v35
	v_pk_add_f16 v59, v17, v35
	;; [unrolled: 1-line block ×32, first 2 shown]
	s_waitcnt lgkmcnt(4)
	v_pk_add_f16 v36, v15, v39
	v_pk_add_f16 v38, v17, v39
	;; [unrolled: 1-line block ×16, first 2 shown]
	s_waitcnt lgkmcnt(3)
	v_pk_add_f16 v104, v15, v43
	v_pk_add_f16 v105, v17, v43
	;; [unrolled: 1-line block ×64, first 2 shown]
	v_pk_min_f16 v5, 0x7c00, v5 op_sel_hi:[0,1]
	v_pk_min_f16 v6, 0x7c00, v6 op_sel_hi:[0,1]
	v_pk_min_f16 v7, 0x7c00, v7 op_sel_hi:[0,1]
	v_pk_min_f16 v47, 0x7c00, v47 op_sel_hi:[0,1]
	v_pk_min_f16 v48, 0x7c00, v48 op_sel_hi:[0,1]
	v_pk_min_f16 v49, 0x7c00, v49 op_sel_hi:[0,1]
	v_pk_min_f16 v50, 0x7c00, v50 op_sel_hi:[0,1]
	v_pk_min_f16 v19, 0x7c00, v19 op_sel_hi:[0,1]
	v_pk_min_f16 v51, 0x7c00, v51 op_sel_hi:[0,1]
	v_pk_min_f16 v52, 0x7c00, v52 op_sel_hi:[0,1]
	v_pk_min_f16 v53, 0x7c00, v53 op_sel_hi:[0,1]
	v_pk_min_f16 v54, 0x7c00, v54 op_sel_hi:[0,1]
	v_pk_min_f16 v55, 0x7c00, v55 op_sel_hi:[0,1]
	v_pk_min_f16 v56, 0x7c00, v56 op_sel_hi:[0,1]
	v_pk_min_f16 v57, 0x7c00, v57 op_sel_hi:[0,1]
	v_pk_min_f16 v21, 0x7c00, v21 op_sel_hi:[0,1]
	v_pk_min_f16 v58, 0x7c00, v58 op_sel_hi:[0,1]
	v_pk_min_f16 v59, 0x7c00, v59 op_sel_hi:[0,1]
	v_pk_min_f16 v60, 0x7c00, v60 op_sel_hi:[0,1]
	v_pk_min_f16 v61, 0x7c00, v61 op_sel_hi:[0,1]
	v_pk_min_f16 v62, 0x7c00, v62 op_sel_hi:[0,1]
	v_pk_min_f16 v63, 0x7c00, v63 op_sel_hi:[0,1]
	v_pk_min_f16 v64, 0x7c00, v64 op_sel_hi:[0,1]
	v_pk_min_f16 v35, 0x7c00, v35 op_sel_hi:[0,1]
	v_pk_min_f16 v65, 0x7c00, v65 op_sel_hi:[0,1]
	v_pk_min_f16 v66, 0x7c00, v66 op_sel_hi:[0,1]
	v_pk_min_f16 v67, 0x7c00, v67 op_sel_hi:[0,1]
	v_pk_min_f16 v68, 0x7c00, v68 op_sel_hi:[0,1]
	v_pk_min_f16 v69, 0x7c00, v69 op_sel_hi:[0,1]
	v_pk_min_f16 v70, 0x7c00, v70 op_sel_hi:[0,1]
	v_pk_min_f16 v71, 0x7c00, v71 op_sel_hi:[0,1]
	v_pk_min_f16 v141, 0x7c00, v37 op_sel_hi:[0,1]
	v_pk_min_f16 v142, 0x7c00, v36 op_sel_hi:[0,1]
	v_pk_min_f16 v143, 0x7c00, v38 op_sel_hi:[0,1]
	v_pk_min_f16 v144, 0x7c00, v91 op_sel_hi:[0,1]
	v_pk_min_f16 v145, 0x7c00, v92 op_sel_hi:[0,1]
	v_pk_min_f16 v146, 0x7c00, v93 op_sel_hi:[0,1]
	v_pk_min_f16 v147, 0x7c00, v94 op_sel_hi:[0,1]
	v_pk_min_f16 v148, 0x7c00, v95 op_sel_hi:[0,1]
	v_pk_min_f16 v149, 0x7c00, v39 op_sel_hi:[0,1]
	v_pk_min_f16 v150, 0x7c00, v96 op_sel_hi:[0,1]
	v_pk_min_f16 v151, 0x7c00, v97 op_sel_hi:[0,1]
	v_pk_min_f16 v152, 0x7c00, v99 op_sel_hi:[0,1]
	v_pk_min_f16 v153, 0x7c00, v100 op_sel_hi:[0,1]
	v_pk_min_f16 v154, 0x7c00, v101 op_sel_hi:[0,1]
	v_pk_min_f16 v155, 0x7c00, v102 op_sel_hi:[0,1]
	v_pk_min_f16 v156, 0x7c00, v103 op_sel_hi:[0,1]
	v_pk_min_f16 v41, 0x7c00, v41 op_sel_hi:[0,1]
	v_pk_min_f16 v157, 0x7c00, v104 op_sel_hi:[0,1]
	v_pk_min_f16 v158, 0x7c00, v105 op_sel_hi:[0,1]
	v_pk_min_f16 v159, 0x7c00, v106 op_sel_hi:[0,1]
	v_pk_min_f16 v133, 0x7c00, v133 op_sel_hi:[0,1]
	v_pk_min_f16 v30, 0x7c00, v136 op_sel_hi:[0,1]
	v_pk_min_f16 v131, 0x7c00, v137 op_sel_hi:[0,1]
	v_pk_min_f16 v136, 0x7c00, v140 op_sel_hi:[0,1]
	v_pk_min_f16 v43, 0x7c00, v43 op_sel_hi:[0,1]
	v_pk_min_f16 v160, 0x7c00, v15 op_sel_hi:[0,1]
	v_pk_min_f16 v17, 0x7c00, v17 op_sel_hi:[0,1]
	v_pk_min_f16 v23, 0x7c00, v23 op_sel_hi:[0,1]
	v_pk_min_f16 v25, 0x7c00, v25 op_sel_hi:[0,1]
	v_pk_min_f16 v27, 0x7c00, v27 op_sel_hi:[0,1]
	v_pk_min_f16 v10, 0x7c00, v29 op_sel_hi:[0,1]
	v_pk_min_f16 v12, 0x7c00, v31 op_sel_hi:[0,1]
	v_pk_min_f16 v13, 0x7c00, v33 op_sel_hi:[0,1]
	v_pk_min_f16 v15, v5, v72
	v_pk_min_f16 v34, v6, v73
	;; [unrolled: 1-line block ×64, first 2 shown]
	ds_store_b16 v165, v3 offset:4608
	ds_store_b16 v165, v4 offset:3584
	scratch_store_b32 off, v165, off offset:304 ; 4-byte Folded Spill
	s_waitcnt lgkmcnt(0)
	s_waitcnt_vscnt null, 0x0
	s_barrier
	buffer_gl0_inv
	s_cbranch_scc1 .LBB220_13
; %bb.10:
	scratch_load_b32 v3, off, off offset:304 ; 4-byte Folded Reload
	scratch_store_b32 off, v162, off offset:368 ; 4-byte Folded Spill
	v_add_nc_u32_e32 v6, 12, v2
	v_add_co_u32 v162, vcc_lo, s10, v0
	v_lshl_add_u32 v0, v139, 3, 0x1200
	v_mov_b32_e32 v10, v20
	v_add_nc_u32_e32 v20, 8, v2
	v_add_co_ci_u32_e32 v21, vcc_lo, s11, v1, vcc_lo
	v_add_co_u32 v8, vcc_lo, s12, v8
	s_delay_alu instid0(VALU_DEP_3)
	v_mad_i64_i32 v[24:25], null, v20, s18, 0
	v_add_co_ci_u32_e32 v9, vcc_lo, s13, v9, vcc_lo
	v_mov_b32_e32 v32, v29
	v_mov_b32_e32 v42, v31
	s_ashr_i32 s17, s16, 31
	s_ashr_i32 s19, s18, 31
	s_add_i32 s14, s8, -8
	s_lshl_b64 s[8:9], s[16:17], 4
	s_lshl_b64 s[10:11], s[18:19], 4
	s_mov_b32 s12, 0
	s_waitcnt vmcnt(0)
	v_or_b32_e32 v4, 0x1000, v3
	s_clause 0x1
	scratch_store_b32 off, v4, off offset:308
	scratch_store_b32 off, v164, off offset:372
	v_add_nc_u32_e32 v4, 0x1000, v164
	scratch_store_b32 off, v0, off offset:324 ; 4-byte Folded Spill
	v_add_nc_u32_e32 v0, 0x800, v163
	scratch_store_b32 off, v4, off offset:312 ; 4-byte Folded Spill
	v_add_nc_u32_e32 v4, 0x1200, v3
	v_or_b32_e32 v3, 0x800, v3
	s_clause 0x3
	scratch_store_b32 off, v139, off offset:364
	scratch_store_b32 off, v0, off offset:328
	scratch_store_b32 off, v4, off offset:316
	scratch_store_b32 off, v3, off offset:320
	v_mad_i64_i32 v[2:3], null, v6, s16, 0
	v_mad_i64_i32 v[4:5], null, v6, s18, 0
	v_mad_i64_i32 v[6:7], null, v20, s16, 0
	v_mov_b32_e32 v20, v10
	s_delay_alu instid0(VALU_DEP_4)
	v_lshlrev_b64 v[0:1], 1, v[2:3]
	scratch_store_b64 off, v[0:1], off offset:332 ; 8-byte Folded Spill
	v_lshlrev_b64 v[0:1], 1, v[4:5]
	scratch_store_b64 off, v[0:1], off offset:340 ; 8-byte Folded Spill
	;; [unrolled: 2-line block ×4, first 2 shown]
	v_mov_b32_e32 v0, v53
.LBB220_11:                             ; =>This Inner Loop Header: Depth=1
	s_clause 0x1
	scratch_load_b32 v1, off, off offset:324
	scratch_load_b32 v2, off, off offset:328
	v_pk_max_f16 v41, v36, v36
	v_pk_max_f16 v161, v161, v161
	v_pk_max_f16 v160, v160, v160
	v_pk_max_f16 v20, v20, v20
	v_pk_max_f16 v0, v0, v0
	v_pk_max_f16 v23, v23, v23
	v_pk_max_f16 v159, v159, v159
	v_pk_max_f16 v158, v158, v158
	v_pk_max_f16 v157, v157, v157
	v_pk_max_f16 v156, v156, v156
	v_pk_max_f16 v22, v22, v22
	v_pk_max_f16 v155, v155, v155
	v_pk_max_f16 v154, v154, v154
	v_pk_max_f16 v153, v153, v153
	v_pk_max_f16 v152, v152, v152
	v_pk_max_f16 v19, v19, v19
	v_pk_max_f16 v151, v151, v151
	v_pk_max_f16 v40, v40, v40
	v_pk_max_f16 v32, v32, v32
	v_pk_max_f16 v42, v42, v42
	v_pk_max_f16 v69, v69, v69
	v_pk_max_f16 v70, v70, v70
	v_pk_max_f16 v71, v71, v71
	v_pk_max_f16 v72, v72, v72
	v_pk_max_f16 v73, v73, v73
	v_pk_max_f16 v74, v74, v74
	v_pk_max_f16 v75, v75, v75
	v_pk_max_f16 v76, v76, v76
	v_pk_max_f16 v77, v77, v77
	v_pk_max_f16 v96, v96, v96
	v_pk_max_f16 v78, v78, v78
	v_pk_max_f16 v79, v79, v79
	v_pk_max_f16 v80, v80, v80
	v_pk_max_f16 v81, v81, v81
	v_pk_max_f16 v82, v82, v82
	v_pk_max_f16 v83, v83, v83
	v_pk_max_f16 v84, v84, v84
	v_pk_max_f16 v85, v85, v85
	v_pk_max_f16 v86, v86, v86
	v_pk_max_f16 v87, v87, v87
	v_pk_max_f16 v88, v88, v88
	v_pk_max_f16 v89, v89, v89
	v_pk_max_f16 v90, v90, v90
	v_pk_max_f16 v91, v91, v91
	v_pk_max_f16 v92, v92, v92
	v_pk_max_f16 v15, v15, v15
	v_pk_max_f16 v34, v34, v34
	v_pk_max_f16 v39, v39, v39
	v_pk_max_f16 v38, v38, v38
	v_pk_max_f16 v106, v106, v106
	v_pk_max_f16 v105, v105, v105
	v_pk_max_f16 v104, v104, v104
	v_pk_max_f16 v103, v103, v103
	v_pk_max_f16 v102, v102, v102
	v_pk_max_f16 v101, v101, v101
	v_pk_max_f16 v100, v100, v100
	v_pk_max_f16 v99, v99, v99
	v_pk_max_f16 v97, v97, v97
	v_pk_max_f16 v95, v95, v95
	v_pk_max_f16 v94, v94, v94
	v_pk_max_f16 v93, v93, v93
	s_add_i32 s12, s12, 8
	s_delay_alu instid0(SALU_CYCLE_1)
	s_cmp_ge_i32 s12, s14
	s_waitcnt vmcnt(1)
	ds_load_2addr_b64 v[184:187], v1 offset0:48 offset1:56
	s_waitcnt vmcnt(0)
	ds_load_2addr_b64 v[132:135], v2 offset0:192 offset1:224
	ds_load_2addr_b64 v[216:219], v1 offset1:8
	ds_load_2addr_b64 v[197:200], v1 offset0:32 offset1:40
	ds_load_2addr_b64 v[207:210], v1 offset0:16 offset1:24
	;; [unrolled: 1-line block ×4, first 2 shown]
	ds_load_2addr_b64 v[220:223], v2 offset1:32
	s_waitcnt lgkmcnt(6)
	v_pk_add_f16 v3, v186, v134
	s_waitcnt lgkmcnt(5)
	v_pk_add_f16 v1, v218, v134
	;; [unrolled: 2-line block ×3, first 2 shown]
	s_clause 0x1
	scratch_store_b32 off, v3, off offset:60
	scratch_store_b32 off, v1, off offset:108
	v_pk_add_f16 v3, v187, v135
	v_pk_add_f16 v1, v219, v135
	;; [unrolled: 1-line block ×3, first 2 shown]
	s_waitcnt lgkmcnt(0)
	v_pk_add_f16 v214, v207, v222
	v_pk_add_f16 v215, v207, v220
	s_clause 0x1
	scratch_store_b32 off, v3, off
	scratch_store_b32 off, v1, off offset:24
	v_pk_add_f16 v3, v184, v134
	v_pk_add_f16 v1, v216, v134
	;; [unrolled: 1-line block ×5, first 2 shown]
	scratch_store_b32 off, v3, off offset:68 ; 4-byte Folded Spill
	v_pk_add_f16 v3, v185, v135
	scratch_store_b32 off, v1, off offset:116 ; 4-byte Folded Spill
	v_pk_add_f16 v1, v217, v135
	v_pk_add_f16 v173, v209, v193
	v_pk_add_f16 v175, v218, v193
	scratch_store_b32 off, v3, off offset:4 ; 4-byte Folded Spill
	v_pk_add_f16 v3, v199, v134
	scratch_store_b32 off, v1, off offset:28 ; 4-byte Folded Spill
	v_pk_add_f16 v1, v186, v132
	v_pk_add_f16 v176, v216, v193
	v_pk_add_f16 v190, v210, v221
	;; [unrolled: 6-line block ×10, first 2 shown]
	v_pk_add_f16 v181, v185, v221
	v_pk_add_f16 v204, v199, v222
	scratch_store_b32 off, v1, off offset:156 ; 4-byte Folded Spill
	v_pk_add_f16 v1, v210, v133
	v_pk_add_f16 v205, v197, v222
	;; [unrolled: 1-line block ×5, first 2 shown]
	scratch_store_b32 off, v1, off offset:48 ; 4-byte Folded Spill
	v_pk_add_f16 v1, v207, v132
	v_pk_add_f16 v238, v218, v222
	;; [unrolled: 1-line block ×3, first 2 shown]
	v_pk_min_f16 v96, v96, v195
	v_pk_min_f16 v78, v78, v135
	scratch_store_b32 off, v1, off offset:164 ; 4-byte Folded Spill
	v_pk_add_f16 v1, v208, v133
	v_pk_min_f16 v81, v81, v168
	v_pk_min_f16 v96, v96, v169
	v_pk_min_f16 v82, v82, v170
	v_pk_min_f16 v83, v83, v172
	scratch_store_b32 off, v1, off offset:52 ; 4-byte Folded Spill
	v_pk_add_f16 v1, v218, v132
	v_pk_min_f16 v84, v84, v173
	v_pk_min_f16 v85, v85, v174
	;; [unrolled: 6-line block ×8, first 2 shown]
	v_pk_min_f16 v105, v105, v179
	v_pk_min_f16 v106, v106, v181
	scratch_store_b32 off, v1, off offset:196 ; 4-byte Folded Spill
	v_pk_add_f16 v1, v185, v167
	scratch_store_b32 off, v1, off offset:80 ; 4-byte Folded Spill
	v_pk_add_f16 v1, v199, v166
	;; [unrolled: 2-line block ×12, first 2 shown]
	v_pk_add_f16 v166, v217, v192
	scratch_store_b32 off, v1, off offset:244 ; 4-byte Folded Spill
	v_pk_add_f16 v1, v217, v167
	v_pk_add_f16 v167, v186, v193
	;; [unrolled: 1-line block ×3, first 2 shown]
	v_pk_min_f16 v95, v95, v166
	scratch_store_b32 off, v1, off offset:128 ; 4-byte Folded Spill
	v_pk_add_f16 v1, v186, v164
	v_pk_add_f16 v186, v200, v223
	v_pk_min_f16 v80, v80, v167
	v_pk_min_f16 v102, v102, v193
	scratch_store_b32 off, v1, off offset:252 ; 4-byte Folded Spill
	v_pk_add_f16 v1, v187, v165
	v_pk_min_f16 v99, v99, v186
	scratch_store_b32 off, v1, off offset:136 ; 4-byte Folded Spill
	v_pk_add_f16 v1, v184, v164
	v_pk_add_f16 v184, v200, v221
	scratch_store_b32 off, v1, off offset:260 ; 4-byte Folded Spill
	v_pk_add_f16 v1, v185, v165
	v_pk_min_f16 v41, v41, v184
	scratch_store_b32 off, v1, off offset:144 ; 4-byte Folded Spill
	v_pk_add_f16 v1, v199, v164
	v_pk_add_f16 v199, v219, v221
	;; [unrolled: 6-line block ×5, first 2 shown]
	v_pk_min_f16 v38, v38, v190
	scratch_store_b32 off, v1, off offset:292 ; 4-byte Folded Spill
	v_pk_add_f16 v1, v208, v165
	v_pk_min_f16 v79, v79, v164
	scratch_store_b32 off, v1, off offset:176 ; 4-byte Folded Spill
	v_pk_add_f16 v1, v219, v165
	scratch_store_b32 off, v1, off offset:184 ; 4-byte Folded Spill
	v_pk_add_f16 v1, v217, v165
	v_pk_add_f16 v165, v219, v192
	scratch_store_b32 off, v1, off offset:188 ; 4-byte Folded Spill
	v_pk_add_f16 v1, v187, v194
	v_pk_min_f16 v94, v94, v165
	scratch_store_b32 off, v1, off offset:200 ; 4-byte Folded Spill
	v_pk_add_f16 v1, v185, v194
	scratch_store_b32 off, v1, off offset:208 ; 4-byte Folded Spill
	v_pk_add_f16 v1, v200, v194
	;; [unrolled: 2-line block ×7, first 2 shown]
	v_pk_add_f16 v194, v208, v221
	scratch_store_b32 off, v1, off offset:256 ; 4-byte Folded Spill
	v_pk_add_f16 v1, v187, v192
	v_pk_add_f16 v187, v198, v223
	v_pk_min_f16 v39, v39, v194
	scratch_store_b32 off, v1, off offset:264 ; 4-byte Folded Spill
	v_pk_add_f16 v1, v185, v192
	v_pk_add_f16 v185, v198, v221
	v_pk_min_f16 v100, v100, v187
	scratch_store_b32 off, v1, off offset:272 ; 4-byte Folded Spill
	v_pk_add_f16 v1, v200, v192
	v_pk_add_f16 v200, v217, v221
	scratch_store_b32 off, v1, off offset:280 ; 4-byte Folded Spill
	v_pk_add_f16 v1, v198, v192
	v_pk_add_f16 v198, v217, v223
	v_pk_min_f16 v15, v15, v200
	scratch_store_b32 off, v1, off offset:288 ; 4-byte Folded Spill
	v_pk_add_f16 v1, v210, v192
	v_pk_min_f16 v104, v104, v198
	scratch_store_b32 off, v1, off offset:296 ; 4-byte Folded Spill
	v_pk_add_f16 v1, v208, v192
	v_pk_add_f16 v192, v210, v223
	scratch_store_b32 off, v1, off offset:300 ; 4-byte Folded Spill
	scratch_load_b64 v[1:2], off, off offset:348 ; 8-byte Folded Reload
	v_pk_min_f16 v101, v101, v192
	s_waitcnt vmcnt(0)
	v_add_co_u32 v207, vcc_lo, v162, v1
	v_add_co_ci_u32_e32 v208, vcc_lo, v21, v2, vcc_lo
	flat_load_u16 v210, v[207:208]
	scratch_load_b64 v[1:2], off, off offset:356 ; 8-byte Folded Reload
	s_waitcnt vmcnt(0)
	v_add_co_u32 v207, vcc_lo, v8, v1
	v_add_co_ci_u32_e32 v208, vcc_lo, v9, v2, vcc_lo
	s_clause 0x3
	flat_load_u16 v211, v[207:208]
	flat_load_u16 v213, v[207:208] offset:128
	flat_load_u16 v216, v[207:208] offset:256
	;; [unrolled: 1-line block ×3, first 2 shown]
	scratch_load_b32 v1, off, off offset:308 ; 4-byte Folded Reload
	s_waitcnt vmcnt(0) lgkmcnt(4)
	ds_store_b16 v1, v210
	scratch_load_b32 v1, off, off offset:304 ; 4-byte Folded Reload
	s_waitcnt vmcnt(0) lgkmcnt(4)
	ds_store_b16 v1, v211
	s_waitcnt lgkmcnt(4)
	ds_store_b16 v1, v213 offset:512
	s_waitcnt lgkmcnt(4)
	ds_store_b16 v1, v216 offset:1024
	;; [unrolled: 2-line block ×3, first 2 shown]
	s_waitcnt lgkmcnt(0)
	s_waitcnt_vscnt null, 0x0
	s_barrier
	buffer_gl0_inv
	scratch_load_b32 v1, off, off offset:312 ; 4-byte Folded Reload
	s_waitcnt vmcnt(0)
	ds_load_2addr_b64 v[218:221], v1 offset1:8
	ds_load_2addr_b64 v[222:225], v163 offset1:32
	scratch_load_b64 v[2:3], off, off offset:332 ; 8-byte Folded Reload
	ds_load_2addr_b64 v[226:229], v1 offset0:16 offset1:24
	ds_load_2addr_b64 v[230:233], v1 offset0:32 offset1:40
	ds_load_2addr_b64 v[234:237], v1 offset0:48 offset1:56
	v_mov_b32_e32 v1, v57
	s_waitcnt lgkmcnt(3)
	v_pk_add_f16 v207, v218, v222
	v_pk_add_f16 v208, v220, v222
	s_waitcnt lgkmcnt(2)
	v_pk_add_f16 v210, v226, v222
	v_pk_add_f16 v211, v228, v222
	;; [unrolled: 3-line block ×4, first 2 shown]
	v_pk_add_f16 v243, v218, v224
	v_pk_add_f16 v244, v220, v224
	;; [unrolled: 1-line block ×24, first 2 shown]
	ds_load_2addr_b64 v[222:225], v163 offset0:64 offset1:96
	v_pk_min_f16 v96, v96, v250
	v_pk_min_f16 v15, v15, v207
	;; [unrolled: 1-line block ×19, first 2 shown]
	s_waitcnt lgkmcnt(0)
	v_pk_add_f16 v6, v218, v222
	v_pk_add_f16 v7, v220, v222
	;; [unrolled: 1-line block ×32, first 2 shown]
	ds_load_2addr_b64 v[222:225], v163 offset0:128 offset1:160
	v_pk_min_f16 v6, v95, v6
	v_pk_min_f16 v7, v94, v7
	;; [unrolled: 1-line block ×14, first 2 shown]
	s_waitcnt lgkmcnt(0)
	v_pk_add_f16 v120, v218, v222
	v_pk_add_f16 v121, v220, v222
	;; [unrolled: 1-line block ×32, first 2 shown]
	ds_load_2addr_b64 v[222:225], v163 offset0:192 offset1:224
	s_waitcnt lgkmcnt(0)
	v_pk_add_f16 v149, v218, v222
	v_pk_add_f16 v115, v218, v224
	;; [unrolled: 1-line block ×32, first 2 shown]
	v_pk_max_f16 v237, v37, v37
	s_delay_alu instid0(VALU_DEP_1) | instskip(NEXT) | instid1(VALU_DEP_1)
	v_pk_min_f16 v135, v237, v206
	v_pk_min_f16 v135, v135, v185
	s_delay_alu instid0(VALU_DEP_1)
	v_pk_min_f16 v135, v135, v213
	s_waitcnt vmcnt(0)
	v_add_co_u32 v218, vcc_lo, v162, v2
	v_add_co_ci_u32_e32 v219, vcc_lo, v21, v3, vcc_lo
	flat_load_u16 v218, v[218:219]
	v_pk_max_f16 v219, v150, v150
	v_pk_max_f16 v150, v1, v1
	scratch_load_b64 v[1:2], off, off offset:340 ; 8-byte Folded Reload
	s_waitcnt vmcnt(0)
	v_add_co_u32 v36, vcc_lo, v8, v1
	v_add_co_ci_u32_e32 v37, vcc_lo, v9, v2, vcc_lo
	s_clause 0x3
	flat_load_u16 v1, v[36:37]
	flat_load_u16 v2, v[36:37] offset:128
	flat_load_u16 v3, v[36:37] offset:256
	;; [unrolled: 1-line block ×3, first 2 shown]
	s_clause 0x1
	scratch_load_b32 v36, off, off offset:60
	scratch_load_b32 v37, off, off offset:68
	v_add_co_u32 v162, vcc_lo, v162, s8
	v_add_co_ci_u32_e32 v21, vcc_lo, s9, v21, vcc_lo
	v_add_co_u32 v8, vcc_lo, v8, s10
	v_add_co_ci_u32_e32 v9, vcc_lo, s11, v9, vcc_lo
	scratch_load_b32 v5, off, off offset:316 ; 4-byte Folded Reload
	s_waitcnt vmcnt(2)
	v_pk_min_f16 v36, v219, v36
	s_waitcnt vmcnt(1)
	v_pk_min_f16 v37, v161, v37
	scratch_load_b32 v161, off, off offset:76 ; 4-byte Folded Reload
	s_waitcnt vmcnt(1) lgkmcnt(4)
	ds_store_b16 v5, v218
	scratch_load_b32 v5, off, off offset:320 ; 4-byte Folded Reload
	s_waitcnt vmcnt(1)
	v_pk_min_f16 v160, v160, v161
	scratch_load_b32 v161, off, off offset:84 ; 4-byte Folded Reload
	s_waitcnt vmcnt(0)
	v_pk_min_f16 v20, v20, v161
	;; [unrolled: 3-line block ×28, first 2 shown]
	scratch_load_b32 v161, off, off         ; 4-byte Folded Reload
	s_waitcnt vmcnt(0)
	v_pk_min_f16 v36, v36, v161
	scratch_load_b32 v161, off, off offset:4 ; 4-byte Folded Reload
	s_waitcnt vmcnt(0)
	v_pk_min_f16 v37, v37, v161
	scratch_load_b32 v161, off, off offset:8 ; 4-byte Folded Reload
	;; [unrolled: 3-line block ×4, first 2 shown]
	v_pk_min_f16 v20, v20, v230
	s_delay_alu instid0(VALU_DEP_1) | instskip(SKIP_4) | instid1(VALU_DEP_1)
	v_pk_min_f16 v20, v20, v231
	s_waitcnt vmcnt(0)
	v_pk_min_f16 v0, v0, v161
	scratch_load_b32 v161, off, off offset:20 ; 4-byte Folded Reload
	v_pk_min_f16 v0, v0, v228
	v_pk_min_f16 v0, v0, v229
	s_waitcnt vmcnt(0)
	v_pk_min_f16 v23, v23, v161
	scratch_load_b32 v161, off, off offset:24 ; 4-byte Folded Reload
	v_pk_min_f16 v23, v23, v226
	s_delay_alu instid0(VALU_DEP_1)
	v_pk_min_f16 v23, v23, v227
	s_waitcnt vmcnt(0)
	v_pk_min_f16 v159, v159, v161
	scratch_load_b32 v161, off, off offset:28 ; 4-byte Folded Reload
	s_waitcnt vmcnt(0)
	v_pk_min_f16 v158, v158, v161
	scratch_load_b32 v161, off, off offset:32 ; 4-byte Folded Reload
	v_pk_min_f16 v115, v158, v115
	s_delay_alu instid0(VALU_DEP_1)
	v_pk_min_f16 v158, v115, v111
	s_waitcnt vmcnt(0)
	v_pk_min_f16 v157, v157, v161
	scratch_load_b32 v161, off, off offset:36 ; 4-byte Folded Reload
	;; [unrolled: 9-line block ×3, first 2 shown]
	v_pk_min_f16 v22, v22, v46
	v_pk_min_f16 v46, v157, v222
	s_delay_alu instid0(VALU_DEP_2) | instskip(NEXT) | instid1(VALU_DEP_2)
	v_pk_min_f16 v22, v22, v43
	v_pk_min_f16 v157, v46, v223
	s_waitcnt vmcnt(0)
	v_pk_min_f16 v155, v155, v161
	scratch_load_b32 v161, off, off offset:48 ; 4-byte Folded Reload
	v_pk_min_f16 v108, v155, v108
	s_delay_alu instid0(VALU_DEP_1) | instskip(SKIP_4) | instid1(VALU_DEP_1)
	v_pk_min_f16 v155, v108, v47
	s_waitcnt vmcnt(0)
	v_pk_min_f16 v154, v154, v161
	scratch_load_b32 v161, off, off offset:52 ; 4-byte Folded Reload
	v_pk_min_f16 v109, v154, v109
	v_pk_min_f16 v154, v109, v107
	s_waitcnt vmcnt(0)
	v_pk_min_f16 v153, v153, v161
	scratch_load_b32 v161, off, off offset:56 ; 4-byte Folded Reload
	v_pk_min_f16 v112, v153, v112
	s_delay_alu instid0(VALU_DEP_1) | instskip(SKIP_4) | instid1(VALU_DEP_1)
	v_pk_min_f16 v153, v112, v110
	s_waitcnt vmcnt(0)
	v_pk_min_f16 v152, v152, v161
	scratch_load_b32 v161, off, off offset:64 ; 4-byte Folded Reload
	;; [unrolled: 11-line block ×3, first 2 shown]
	v_pk_min_f16 v65, v151, v65
	v_pk_min_f16 v151, v65, v148
	s_waitcnt vmcnt(0)
	v_pk_min_f16 v150, v150, v161
	scratch_load_b32 v161, off, off offset:88 ; 4-byte Folded Reload
	s_waitcnt vmcnt(0)
	v_pk_min_f16 v40, v40, v161
	scratch_load_b32 v161, off, off offset:96 ; 4-byte Folded Reload
	v_pk_min_f16 v40, v40, v130
	s_delay_alu instid0(VALU_DEP_1)
	v_pk_min_f16 v40, v40, v146
	s_waitcnt vmcnt(0)
	v_pk_min_f16 v32, v32, v161
	scratch_load_b32 v161, off, off offset:104 ; 4-byte Folded Reload
	v_pk_min_f16 v32, v32, v64
	v_pk_min_f16 v64, v150, v131
	s_delay_alu instid0(VALU_DEP_2) | instskip(SKIP_4) | instid1(VALU_DEP_1)
	v_pk_min_f16 v32, v32, v68
	s_waitcnt vmcnt(0)
	v_pk_min_f16 v42, v42, v161
	scratch_load_b32 v161, off, off offset:112 ; 4-byte Folded Reload
	v_pk_min_f16 v42, v42, v129
	v_pk_min_f16 v42, v42, v145
	s_waitcnt vmcnt(0)
	v_pk_min_f16 v69, v69, v161
	scratch_load_b32 v161, off, off offset:120 ; 4-byte Folded Reload
	v_pk_min_f16 v69, v69, v128
	s_delay_alu instid0(VALU_DEP_1) | instskip(SKIP_4) | instid1(VALU_DEP_1)
	v_pk_min_f16 v69, v69, v144
	s_waitcnt vmcnt(0)
	v_pk_min_f16 v70, v70, v161
	scratch_load_b32 v161, off, off offset:128 ; 4-byte Folded Reload
	v_pk_min_f16 v70, v70, v127
	v_pk_min_f16 v70, v70, v143
	s_waitcnt vmcnt(0)
	v_pk_min_f16 v71, v71, v161
	scratch_load_b32 v161, off, off offset:136 ; 4-byte Folded Reload
	v_pk_min_f16 v71, v71, v126
	s_delay_alu instid0(VALU_DEP_1) | instskip(SKIP_4) | instid1(VALU_DEP_1)
	;; [unrolled: 11-line block ×3, first 2 shown]
	v_pk_min_f16 v73, v73, v141
	s_waitcnt vmcnt(0)
	v_pk_min_f16 v74, v74, v161
	scratch_load_b32 v161, off, off offset:160 ; 4-byte Folded Reload
	v_pk_min_f16 v74, v74, v124
	v_pk_min_f16 v74, v74, v140
	s_waitcnt vmcnt(0)
	v_pk_min_f16 v75, v75, v161
	scratch_load_b32 v161, off, off offset:168 ; 4-byte Folded Reload
	v_pk_min_f16 v75, v75, v123
	v_pk_min_f16 v123, v36, v224
	;; [unrolled: 1-line block ×3, first 2 shown]
	s_delay_alu instid0(VALU_DEP_3) | instskip(NEXT) | instid1(VALU_DEP_3)
	v_pk_min_f16 v75, v75, v66
	v_pk_min_f16 v150, v123, v225
	s_waitcnt vmcnt(0)
	v_pk_min_f16 v76, v76, v161
	scratch_load_b32 v161, off, off offset:176 ; 4-byte Folded Reload
	v_pk_min_f16 v76, v76, v122
	v_pk_min_f16 v122, v37, v234
	;; [unrolled: 1-line block ×3, first 2 shown]
	s_delay_alu instid0(VALU_DEP_3) | instskip(SKIP_4) | instid1(VALU_DEP_1)
	v_pk_min_f16 v76, v76, v139
	s_waitcnt vmcnt(0)
	v_pk_min_f16 v77, v77, v161
	scratch_load_b32 v161, off, off offset:184 ; 4-byte Folded Reload
	v_pk_min_f16 v62, v77, v62
	v_pk_min_f16 v77, v62, v138
	s_waitcnt vmcnt(0)
	v_pk_min_f16 v78, v78, v161
	scratch_load_b32 v161, off, off offset:188 ; 4-byte Folded Reload
	v_pk_min_f16 v78, v78, v121
	v_pk_min_f16 v121, v160, v232
	s_delay_alu instid0(VALU_DEP_2) | instskip(NEXT) | instid1(VALU_DEP_2)
	v_pk_min_f16 v78, v78, v137
	v_pk_min_f16 v160, v121, v233
	s_waitcnt vmcnt(0)
	v_pk_min_f16 v79, v79, v161
	scratch_load_b32 v161, off, off offset:200 ; 4-byte Folded Reload
	v_pk_min_f16 v79, v79, v120
	v_pk_min_f16 v120, v159, v220
	s_delay_alu instid0(VALU_DEP_2) | instskip(NEXT) | instid1(VALU_DEP_2)
	v_pk_min_f16 v79, v79, v136
	v_pk_min_f16 v159, v120, v221
	s_waitcnt vmcnt(0)
	v_pk_min_f16 v80, v80, v161
	scratch_load_b32 v161, off, off offset:208 ; 4-byte Folded Reload
	v_pk_min_f16 v53, v80, v53
	s_delay_alu instid0(VALU_DEP_1) | instskip(SKIP_4) | instid1(VALU_DEP_1)
	v_pk_min_f16 v80, v53, v61
	s_waitcnt vmcnt(0)
	v_pk_min_f16 v81, v81, v161
	scratch_load_b32 v161, off, off offset:216 ; 4-byte Folded Reload
	v_pk_min_f16 v31, v81, v31
	v_pk_min_f16 v81, v31, v119
	s_waitcnt vmcnt(0)
	v_pk_min_f16 v82, v82, v161
	scratch_load_b32 v161, off, off offset:224 ; 4-byte Folded Reload
	v_pk_min_f16 v52, v82, v52
	s_delay_alu instid0(VALU_DEP_1) | instskip(SKIP_4) | instid1(VALU_DEP_1)
	v_pk_min_f16 v82, v52, v118
	s_waitcnt vmcnt(0)
	v_pk_min_f16 v83, v83, v161
	scratch_load_b32 v161, off, off offset:232 ; 4-byte Folded Reload
	;; [unrolled: 11-line block ×5, first 2 shown]
	v_pk_min_f16 v27, v89, v27
	v_pk_min_f16 v89, v27, v57
	;; [unrolled: 1-line block ×3, first 2 shown]
	s_waitcnt vmcnt(0)
	v_pk_min_f16 v90, v90, v161
	scratch_load_b32 v161, off, off offset:288 ; 4-byte Folded Reload
	v_pk_min_f16 v26, v90, v26
	s_delay_alu instid0(VALU_DEP_1) | instskip(SKIP_4) | instid1(VALU_DEP_1)
	v_pk_min_f16 v90, v26, v44
	s_waitcnt vmcnt(0)
	v_pk_min_f16 v91, v91, v161
	scratch_load_b32 v161, off, off offset:296 ; 4-byte Folded Reload
	v_pk_min_f16 v48, v91, v48
	v_pk_min_f16 v91, v48, v56
	s_waitcnt vmcnt(0)
	v_pk_min_f16 v92, v92, v161
	scratch_load_b32 v161, off, off offset:300 ; 4-byte Folded Reload
	s_waitcnt lgkmcnt(4)
	ds_store_b16 v5, v1
	s_waitcnt lgkmcnt(4)
	ds_store_b16 v5, v2 offset:512
	s_waitcnt lgkmcnt(4)
	ds_store_b16 v5, v3 offset:1024
	;; [unrolled: 2-line block ×3, first 2 shown]
	s_waitcnt vmcnt(0) lgkmcnt(0)
	s_barrier
	v_pk_min_f16 v14, v92, v14
	buffer_gl0_inv
	v_pk_min_f16 v92, v14, v55
	v_pk_min_f16 v93, v93, v161
	;; [unrolled: 1-line block ×3, first 2 shown]
	s_delay_alu instid0(VALU_DEP_2) | instskip(NEXT) | instid1(VALU_DEP_1)
	v_pk_min_f16 v10, v93, v10
	v_pk_min_f16 v93, v10, v35
	s_cbranch_scc0 .LBB220_11
; %bb.12:
	s_clause 0x2
	scratch_load_b32 v139, off, off offset:364
	scratch_load_b32 v162, off, off offset:368
	;; [unrolled: 1-line block ×3, first 2 shown]
	v_mov_b32_e32 v53, v0
	s_branch .LBB220_14
.LBB220_13:
	v_mov_b32_e32 v32, v29
	v_mov_b32_e32 v42, v31
.LBB220_14:
	s_load_b32 s8, s[0:1], 0x50
	s_waitcnt vmcnt(1)
	v_add_nc_u32_e32 v44, s20, v162
	s_waitcnt vmcnt(0)
	ds_load_b64 v[26:27], v164 offset:4608
	ds_load_b64 v[46:47], v163 offset:2048
	v_add_nc_u32_e32 v48, s3, v139
	v_cmp_neq_f16_e64 s9, s15, 0
	v_dual_mov_b32 v59, v32 :: v_dual_mov_b32 v60, v42
	v_dual_mov_b32 v58, v40 :: v_dual_mov_b32 v55, v22
	s_delay_alu instid0(VALU_DEP_4) | instskip(SKIP_3) | instid1(VALU_DEP_4)
	v_ashrrev_i32_e32 v49, 31, v48
	v_dual_mov_b32 v56, v19 :: v_dual_mov_b32 v33, 0
	v_mov_b32_e32 v54, v23
	v_mov_b32_e32 v52, v20
	v_lshlrev_b64 v[28:29], 1, v[48:49]
	v_mov_b32_e32 v32, 0
	s_and_b32 vcc_lo, exec_lo, s9
	s_waitcnt lgkmcnt(0)
	v_mad_i64_i32 v[0:1], null, v44, s8, 0
	s_delay_alu instid0(VALU_DEP_1) | instskip(NEXT) | instid1(VALU_DEP_1)
	v_lshlrev_b64 v[0:1], 1, v[0:1]
	v_add_co_u32 v107, s3, s4, v0
	s_delay_alu instid0(VALU_DEP_1)
	v_add_co_ci_u32_e64 v108, s3, s5, v1, s3
	s_cbranch_vccz .LBB220_16
; %bb.15:
	s_delay_alu instid0(VALU_DEP_2) | instskip(NEXT) | instid1(VALU_DEP_2)
	v_add_co_u32 v0, vcc_lo, v107, v28
	v_add_co_ci_u32_e32 v1, vcc_lo, v108, v29, vcc_lo
	flat_load_u16 v0, v[0:1]
	s_waitcnt vmcnt(0) lgkmcnt(0)
	v_mul_f16_e32 v32, s15, v0
.LBB220_16:
	s_clause 0x1
	s_load_b32 s3, s[0:1], 0x68
	s_load_b64 s[10:11], s[0:1], 0x70
	v_add_nc_u32_e32 v0, 0x1000, v164
	v_pk_add_f16 v1, v26, v46
	v_pk_max_f16 v2, v15, v15
	v_add_nc_u32_e32 v12, 0x800, v163
	ds_load_b64 v[24:25], v164 offset:5056
	ds_load_b64 v[49:50], v163 offset:3840
	ds_load_2addr_b64 v[8:11], v0 offset0:72 offset1:80
	ds_load_2addr_b64 v[4:7], v0 offset0:88 offset1:96
	v_pk_min_f16 v35, v2, v1
	ds_load_2addr_b64 v[0:3], v0 offset0:104 offset1:112
	ds_load_2addr_b64 v[20:23], v12 offset0:32 offset1:64
	;; [unrolled: 1-line block ×4, first 2 shown]
	v_pk_add_f16 v30, v27, v47
	v_add_nc_u32_e32 v40, 8, v48
	v_cndmask_b32_e64 v31, 0, 1, s9
	s_delay_alu instid0(VALU_DEP_3) | instskip(NEXT) | instid1(VALU_DEP_3)
	v_pk_min_f16 v30, v35, v30
	v_ashrrev_i32_e32 v41, 31, v40
	s_delay_alu instid0(VALU_DEP_3)
	v_cmp_ne_u32_e64 s0, 1, v31
	s_waitcnt lgkmcnt(0)
	v_mad_i64_i32 v[42:43], null, v44, s3, 0
	s_lshl_b64 s[10:11], s[10:11], 1
	v_lshrrev_b32_e32 v31, 16, v30
	s_add_u32 s1, s6, s10
	s_addc_u32 s6, s7, s11
	s_delay_alu instid0(VALU_DEP_1) | instskip(NEXT) | instid1(VALU_DEP_3)
	v_min3_f16 v32, v32, v30, v31
	v_lshlrev_b64 v[42:43], 1, v[42:43]
	v_lshlrev_b64 v[30:31], 1, v[40:41]
	s_delay_alu instid0(VALU_DEP_2) | instskip(NEXT) | instid1(VALU_DEP_3)
	v_add_co_u32 v109, vcc_lo, s1, v42
	v_add_co_ci_u32_e32 v110, vcc_lo, s6, v43, vcc_lo
	s_delay_alu instid0(VALU_DEP_2) | instskip(NEXT) | instid1(VALU_DEP_2)
	v_add_co_u32 v42, vcc_lo, v109, v28
	v_add_co_ci_u32_e32 v43, vcc_lo, v110, v29, vcc_lo
	s_and_not1_b32 vcc_lo, exec_lo, s9
	global_store_b16 v[42:43], v32, off
	s_cbranch_vccnz .LBB220_18
; %bb.17:
	v_add_co_u32 v40, vcc_lo, v107, v30
	v_add_co_ci_u32_e32 v41, vcc_lo, v108, v31, vcc_lo
	flat_load_u16 v32, v[40:41]
	s_waitcnt vmcnt(0) lgkmcnt(0)
	v_mul_f16_e32 v33, s15, v32
.LBB220_18:
	v_pk_add_f16 v32, v8, v46
	v_pk_max_f16 v34, v34, v34
	v_pk_add_f16 v35, v9, v47
	v_add_nc_u32_e32 v40, 16, v48
	v_add_co_u32 v111, vcc_lo, v109, v30
	s_delay_alu instid0(VALU_DEP_4) | instskip(SKIP_1) | instid1(VALU_DEP_4)
	v_pk_min_f16 v32, v34, v32
	v_add_co_ci_u32_e32 v112, vcc_lo, v110, v31, vcc_lo
	v_ashrrev_i32_e32 v41, 31, v40
	v_mov_b32_e32 v42, 0
	s_delay_alu instid0(VALU_DEP_4) | instskip(SKIP_1) | instid1(VALU_DEP_1)
	v_pk_min_f16 v32, v32, v35
	s_and_b32 vcc_lo, exec_lo, s0
	v_lshrrev_b32_e32 v34, 16, v32
	s_delay_alu instid0(VALU_DEP_1)
	v_min3_f16 v34, v33, v32, v34
	v_lshlrev_b64 v[32:33], 1, v[40:41]
	v_mov_b32_e32 v40, 0
	global_store_b16 v[111:112], v34, off
	s_cbranch_vccnz .LBB220_20
; %bb.19:
	v_add_co_u32 v40, vcc_lo, v107, v32
	v_add_co_ci_u32_e32 v41, vcc_lo, v108, v33, vcc_lo
	flat_load_u16 v34, v[40:41]
	s_waitcnt vmcnt(0) lgkmcnt(0)
	v_mul_f16_e32 v40, s15, v34
.LBB220_20:
	v_pk_add_f16 v34, v10, v46
	v_pk_max_f16 v35, v39, v39
	v_pk_add_f16 v39, v11, v47
	v_add_nc_u32_e32 v111, 24, v48
	v_add_co_u32 v113, vcc_lo, v109, v32
	s_delay_alu instid0(VALU_DEP_4) | instskip(SKIP_1) | instid1(VALU_DEP_4)
	v_pk_min_f16 v34, v35, v34
	v_add_co_ci_u32_e32 v114, vcc_lo, v110, v33, vcc_lo
	v_ashrrev_i32_e32 v112, 31, v111
	s_and_b32 vcc_lo, exec_lo, s0
	s_delay_alu instid0(VALU_DEP_3) | instskip(NEXT) | instid1(VALU_DEP_1)
	v_pk_min_f16 v34, v34, v39
	v_lshrrev_b32_e32 v35, 16, v34
	s_delay_alu instid0(VALU_DEP_1)
	v_min3_f16 v34, v40, v34, v35
	v_lshlrev_b64 v[40:41], 1, v[111:112]
	global_store_b16 v[113:114], v34, off
	s_cbranch_vccnz .LBB220_22
; %bb.21:
	v_add_co_u32 v42, vcc_lo, v107, v40
	v_add_co_ci_u32_e32 v43, vcc_lo, v108, v41, vcc_lo
	flat_load_u16 v34, v[42:43]
	s_waitcnt vmcnt(0) lgkmcnt(0)
	v_mul_f16_e32 v42, s15, v34
.LBB220_22:
	v_pk_add_f16 v34, v4, v46
	v_pk_max_f16 v35, v38, v38
	v_pk_add_f16 v39, v5, v47
	v_dual_mov_b32 v45, 0 :: v_dual_add_nc_u32 v38, 32, v48
	v_add_co_u32 v111, vcc_lo, v109, v40
	s_delay_alu instid0(VALU_DEP_4) | instskip(SKIP_2) | instid1(VALU_DEP_2)
	v_pk_min_f16 v34, v35, v34
	v_add_co_ci_u32_e32 v112, vcc_lo, v110, v41, vcc_lo
	s_and_b32 vcc_lo, exec_lo, s0
	v_pk_min_f16 v34, v34, v39
	v_ashrrev_i32_e32 v39, 31, v38
	s_delay_alu instid0(VALU_DEP_2) | instskip(NEXT) | instid1(VALU_DEP_1)
	v_lshrrev_b32_e32 v35, 16, v34
	v_min3_f16 v34, v42, v34, v35
	s_delay_alu instid0(VALU_DEP_3)
	v_lshlrev_b64 v[42:43], 1, v[38:39]
	v_mov_b32_e32 v38, 0
	global_store_b16 v[111:112], v34, off
	s_cbranch_vccnz .LBB220_24
; %bb.23:
	v_add_co_u32 v38, vcc_lo, v107, v42
	v_add_co_ci_u32_e32 v39, vcc_lo, v108, v43, vcc_lo
	flat_load_u16 v34, v[38:39]
	s_waitcnt vmcnt(0) lgkmcnt(0)
	v_mul_f16_e32 v38, s15, v34
.LBB220_24:
	v_pk_add_f16 v34, v6, v46
	v_pk_max_f16 v35, v37, v37
	v_pk_add_f16 v37, v7, v47
	v_add_nc_u32_e32 v111, 40, v48
	v_add_co_u32 v113, vcc_lo, v109, v42
	s_delay_alu instid0(VALU_DEP_4) | instskip(SKIP_1) | instid1(VALU_DEP_4)
	v_pk_min_f16 v34, v35, v34
	v_add_co_ci_u32_e32 v114, vcc_lo, v110, v43, vcc_lo
	v_ashrrev_i32_e32 v112, 31, v111
	s_and_b32 vcc_lo, exec_lo, s0
	s_delay_alu instid0(VALU_DEP_3) | instskip(NEXT) | instid1(VALU_DEP_1)
	v_pk_min_f16 v34, v34, v37
	v_lshrrev_b32_e32 v35, 16, v34
	s_delay_alu instid0(VALU_DEP_1)
	v_min3_f16 v34, v38, v34, v35
	v_lshlrev_b64 v[38:39], 1, v[111:112]
	global_store_b16 v[113:114], v34, off
	s_cbranch_vccnz .LBB220_26
; %bb.25:
	v_add_co_u32 v111, vcc_lo, v107, v38
	v_add_co_ci_u32_e32 v112, vcc_lo, v108, v39, vcc_lo
	flat_load_u16 v34, v[111:112]
	s_waitcnt vmcnt(0) lgkmcnt(0)
	v_mul_f16_e32 v45, s15, v34
.LBB220_26:
	v_pk_add_f16 v34, v0, v46
	v_pk_max_f16 v35, v36, v36
	v_pk_add_f16 v37, v1, v47
	v_dual_mov_b32 v111, 0 :: v_dual_add_nc_u32 v36, 48, v48
	v_add_co_u32 v112, vcc_lo, v109, v38
	s_delay_alu instid0(VALU_DEP_4) | instskip(SKIP_2) | instid1(VALU_DEP_2)
	v_pk_min_f16 v34, v35, v34
	v_add_co_ci_u32_e32 v113, vcc_lo, v110, v39, vcc_lo
	s_and_b32 vcc_lo, exec_lo, s0
	v_pk_min_f16 v34, v34, v37
	v_ashrrev_i32_e32 v37, 31, v36
	s_delay_alu instid0(VALU_DEP_2) | instskip(NEXT) | instid1(VALU_DEP_2)
	v_lshrrev_b32_e32 v35, 16, v34
	v_lshlrev_b64 v[36:37], 1, v[36:37]
	s_delay_alu instid0(VALU_DEP_2)
	v_min3_f16 v34, v45, v34, v35
	v_mov_b32_e32 v45, 0
	global_store_b16 v[112:113], v34, off
	s_cbranch_vccnz .LBB220_28
; %bb.27:
	v_add_co_u32 v112, vcc_lo, v107, v36
	v_add_co_ci_u32_e32 v113, vcc_lo, v108, v37, vcc_lo
	flat_load_u16 v34, v[112:113]
	s_waitcnt vmcnt(0) lgkmcnt(0)
	v_mul_f16_e32 v45, s15, v34
.LBB220_28:
	v_pk_add_f16 v34, v2, v46
	v_pk_max_f16 v35, v106, v106
	v_pk_add_f16 v51, v3, v47
	v_add_nc_u32_e32 v112, 56, v48
	v_add_co_u32 v114, vcc_lo, v109, v36
	s_delay_alu instid0(VALU_DEP_4) | instskip(SKIP_1) | instid1(VALU_DEP_4)
	v_pk_min_f16 v34, v35, v34
	v_add_co_ci_u32_e32 v115, vcc_lo, v110, v37, vcc_lo
	v_ashrrev_i32_e32 v113, 31, v112
	s_and_b32 vcc_lo, exec_lo, s0
	s_delay_alu instid0(VALU_DEP_3) | instskip(NEXT) | instid1(VALU_DEP_1)
	v_pk_min_f16 v34, v34, v51
	v_lshrrev_b32_e32 v35, 16, v34
	s_delay_alu instid0(VALU_DEP_1)
	v_min3_f16 v45, v45, v34, v35
	v_lshlrev_b64 v[34:35], 1, v[112:113]
	global_store_b16 v[114:115], v45, off
	s_cbranch_vccnz .LBB220_30
; %bb.29:
	v_add_co_u32 v106, vcc_lo, v107, v34
	v_add_co_ci_u32_e32 v107, vcc_lo, v108, v35, vcc_lo
	flat_load_u16 v45, v[106:107]
	s_waitcnt vmcnt(0) lgkmcnt(0)
	v_mul_f16_e32 v111, s15, v45
.LBB220_30:
	v_add_nc_u32_e32 v107, 32, v44
	v_pk_add_f16 v45, v24, v46
	v_pk_max_f16 v46, v105, v105
	v_pk_add_f16 v47, v25, v47
	v_add_co_u32 v109, vcc_lo, v109, v34
	v_mad_i64_i32 v[105:106], null, v107, s8, 0
	s_delay_alu instid0(VALU_DEP_4) | instskip(SKIP_2) | instid1(VALU_DEP_3)
	v_pk_min_f16 v45, v46, v45
	v_add_co_ci_u32_e32 v110, vcc_lo, v110, v35, vcc_lo
	v_mov_b32_e32 v108, 0
	v_pk_min_f16 v45, v45, v47
	v_lshlrev_b64 v[46:47], 1, v[105:106]
	v_mov_b32_e32 v106, 0
	s_delay_alu instid0(VALU_DEP_3) | instskip(NEXT) | instid1(VALU_DEP_3)
	v_lshrrev_b32_e32 v48, 16, v45
	v_add_co_u32 v46, vcc_lo, s4, v46
	s_delay_alu instid0(VALU_DEP_4) | instskip(NEXT) | instid1(VALU_DEP_3)
	v_add_co_ci_u32_e32 v47, vcc_lo, s5, v47, vcc_lo
	v_min3_f16 v45, v111, v45, v48
	s_and_b32 vcc_lo, exec_lo, s0
	global_store_b16 v[109:110], v45, off
	s_cbranch_vccnz .LBB220_32
; %bb.31:
	v_add_co_u32 v108, vcc_lo, v46, v28
	v_add_co_ci_u32_e32 v109, vcc_lo, v47, v29, vcc_lo
	flat_load_u16 v45, v[108:109]
	s_waitcnt vmcnt(0) lgkmcnt(0)
	v_mul_f16_e32 v108, s15, v45
.LBB220_32:
	v_pk_max_f16 v48, v104, v104
	v_mad_i64_i32 v[104:105], null, v107, s3, 0
	v_pk_add_f16 v45, v26, v20
	v_pk_add_f16 v51, v27, v21
	s_delay_alu instid0(VALU_DEP_2) | instskip(NEXT) | instid1(VALU_DEP_4)
	v_pk_min_f16 v45, v48, v45
	v_lshlrev_b64 v[104:105], 1, v[104:105]
	s_delay_alu instid0(VALU_DEP_2) | instskip(NEXT) | instid1(VALU_DEP_2)
	v_pk_min_f16 v45, v45, v51
	v_add_co_u32 v104, vcc_lo, s1, v104
	s_delay_alu instid0(VALU_DEP_3) | instskip(NEXT) | instid1(VALU_DEP_3)
	v_add_co_ci_u32_e32 v105, vcc_lo, s6, v105, vcc_lo
	v_lshrrev_b32_e32 v48, 16, v45
	s_delay_alu instid0(VALU_DEP_3) | instskip(NEXT) | instid1(VALU_DEP_2)
	v_add_co_u32 v107, vcc_lo, v104, v28
	v_min3_f16 v45, v108, v45, v48
	s_delay_alu instid0(VALU_DEP_4)
	v_add_co_ci_u32_e32 v108, vcc_lo, v105, v29, vcc_lo
	s_and_b32 vcc_lo, exec_lo, s0
	global_store_b16 v[107:108], v45, off
	s_cbranch_vccnz .LBB220_34
; %bb.33:
	v_add_co_u32 v106, vcc_lo, v46, v30
	v_add_co_ci_u32_e32 v107, vcc_lo, v47, v31, vcc_lo
	flat_load_u16 v45, v[106:107]
	s_waitcnt vmcnt(0) lgkmcnt(0)
	v_mul_f16_e32 v106, s15, v45
.LBB220_34:
	v_pk_add_f16 v45, v8, v20
	v_pk_max_f16 v48, v103, v103
	v_pk_add_f16 v51, v9, v21
	v_add_co_u32 v107, vcc_lo, v104, v30
	v_add_co_ci_u32_e32 v108, vcc_lo, v105, v31, vcc_lo
	s_delay_alu instid0(VALU_DEP_4) | instskip(SKIP_2) | instid1(VALU_DEP_2)
	v_pk_min_f16 v45, v48, v45
	v_mov_b32_e32 v103, 0
	s_and_b32 vcc_lo, exec_lo, s0
	v_pk_min_f16 v45, v45, v51
	s_delay_alu instid0(VALU_DEP_1) | instskip(NEXT) | instid1(VALU_DEP_1)
	v_lshrrev_b32_e32 v48, 16, v45
	v_min3_f16 v45, v106, v45, v48
	v_mov_b32_e32 v106, 0
	global_store_b16 v[107:108], v45, off
	s_cbranch_vccnz .LBB220_36
; %bb.35:
	v_add_co_u32 v106, vcc_lo, v46, v32
	v_add_co_ci_u32_e32 v107, vcc_lo, v47, v33, vcc_lo
	flat_load_u16 v45, v[106:107]
	s_waitcnt vmcnt(0) lgkmcnt(0)
	v_mul_f16_e32 v106, s15, v45
.LBB220_36:
	v_pk_add_f16 v45, v10, v20
	v_pk_max_f16 v48, v102, v102
	v_pk_add_f16 v51, v11, v21
	s_delay_alu instid0(VALU_DEP_2) | instskip(NEXT) | instid1(VALU_DEP_1)
	v_pk_min_f16 v45, v48, v45
	v_pk_min_f16 v45, v45, v51
	s_delay_alu instid0(VALU_DEP_1) | instskip(NEXT) | instid1(VALU_DEP_1)
	v_lshrrev_b32_e32 v48, 16, v45
	v_min3_f16 v45, v106, v45, v48
	v_add_co_u32 v106, vcc_lo, v104, v32
	v_add_co_ci_u32_e32 v107, vcc_lo, v105, v33, vcc_lo
	s_and_b32 vcc_lo, exec_lo, s0
	global_store_b16 v[106:107], v45, off
	s_cbranch_vccnz .LBB220_38
; %bb.37:
	v_add_co_u32 v102, vcc_lo, v46, v40
	v_add_co_ci_u32_e32 v103, vcc_lo, v47, v41, vcc_lo
	flat_load_u16 v45, v[102:103]
	s_waitcnt vmcnt(0) lgkmcnt(0)
	v_mul_f16_e32 v103, s15, v45
.LBB220_38:
	v_pk_add_f16 v45, v4, v20
	v_pk_max_f16 v48, v101, v101
	v_pk_add_f16 v51, v5, v21
	v_add_co_u32 v106, vcc_lo, v104, v40
	v_add_co_ci_u32_e32 v107, vcc_lo, v105, v41, vcc_lo
	s_delay_alu instid0(VALU_DEP_4) | instskip(SKIP_2) | instid1(VALU_DEP_2)
	v_pk_min_f16 v45, v48, v45
	v_dual_mov_b32 v101, 0 :: v_dual_mov_b32 v102, 0
	s_and_b32 vcc_lo, exec_lo, s0
	v_pk_min_f16 v45, v45, v51
	s_delay_alu instid0(VALU_DEP_1) | instskip(NEXT) | instid1(VALU_DEP_1)
	v_lshrrev_b32_e32 v48, 16, v45
	v_min3_f16 v45, v103, v45, v48
	global_store_b16 v[106:107], v45, off
	s_cbranch_vccnz .LBB220_40
; %bb.39:
	v_add_co_u32 v102, vcc_lo, v46, v42
	v_add_co_ci_u32_e32 v103, vcc_lo, v47, v43, vcc_lo
	flat_load_u16 v45, v[102:103]
	s_waitcnt vmcnt(0) lgkmcnt(0)
	v_mul_f16_e32 v102, s15, v45
.LBB220_40:
	v_pk_add_f16 v45, v6, v20
	v_pk_max_f16 v48, v100, v100
	v_pk_add_f16 v51, v7, v21
	s_delay_alu instid0(VALU_DEP_2) | instskip(NEXT) | instid1(VALU_DEP_1)
	v_pk_min_f16 v45, v48, v45
	v_pk_min_f16 v45, v45, v51
	s_delay_alu instid0(VALU_DEP_1) | instskip(NEXT) | instid1(VALU_DEP_1)
	v_lshrrev_b32_e32 v48, 16, v45
	v_min3_f16 v45, v102, v45, v48
	v_add_co_u32 v102, vcc_lo, v104, v42
	v_add_co_ci_u32_e32 v103, vcc_lo, v105, v43, vcc_lo
	s_and_b32 vcc_lo, exec_lo, s0
	global_store_b16 v[102:103], v45, off
	s_cbranch_vccnz .LBB220_42
; %bb.41:
	v_add_co_u32 v100, vcc_lo, v46, v38
	v_add_co_ci_u32_e32 v101, vcc_lo, v47, v39, vcc_lo
	flat_load_u16 v45, v[100:101]
	s_waitcnt vmcnt(0) lgkmcnt(0)
	v_mul_f16_e32 v101, s15, v45
.LBB220_42:
	v_pk_add_f16 v45, v0, v20
	v_pk_max_f16 v48, v99, v99
	v_pk_add_f16 v51, v1, v21
	v_add_co_u32 v102, vcc_lo, v104, v38
	v_add_co_ci_u32_e32 v103, vcc_lo, v105, v39, vcc_lo
	s_delay_alu instid0(VALU_DEP_4) | instskip(SKIP_2) | instid1(VALU_DEP_2)
	v_pk_min_f16 v45, v48, v45
	v_dual_mov_b32 v99, 0 :: v_dual_mov_b32 v100, 0
	s_and_b32 vcc_lo, exec_lo, s0
	v_pk_min_f16 v45, v45, v51
	s_delay_alu instid0(VALU_DEP_1) | instskip(NEXT) | instid1(VALU_DEP_1)
	v_lshrrev_b32_e32 v48, 16, v45
	v_min3_f16 v45, v101, v45, v48
	global_store_b16 v[102:103], v45, off
	s_cbranch_vccnz .LBB220_44
; %bb.43:
	v_add_co_u32 v100, vcc_lo, v46, v36
	v_add_co_ci_u32_e32 v101, vcc_lo, v47, v37, vcc_lo
	flat_load_u16 v45, v[100:101]
	s_waitcnt vmcnt(0) lgkmcnt(0)
	v_mul_f16_e32 v100, s15, v45
.LBB220_44:
	v_pk_add_f16 v45, v2, v20
	v_pk_max_f16 v48, v97, v97
	v_pk_add_f16 v51, v3, v21
	s_delay_alu instid0(VALU_DEP_2) | instskip(NEXT) | instid1(VALU_DEP_1)
	v_pk_min_f16 v45, v48, v45
	v_pk_min_f16 v45, v45, v51
	s_delay_alu instid0(VALU_DEP_1) | instskip(NEXT) | instid1(VALU_DEP_1)
	v_lshrrev_b32_e32 v48, 16, v45
	v_min3_f16 v45, v100, v45, v48
	v_add_co_u32 v100, vcc_lo, v104, v36
	v_add_co_ci_u32_e32 v101, vcc_lo, v105, v37, vcc_lo
	s_and_b32 vcc_lo, exec_lo, s0
	global_store_b16 v[100:101], v45, off
	s_cbranch_vccnz .LBB220_46
; %bb.45:
	v_add_co_u32 v46, vcc_lo, v46, v34
	v_add_co_ci_u32_e32 v47, vcc_lo, v47, v35, vcc_lo
	flat_load_u16 v45, v[46:47]
	s_waitcnt vmcnt(0) lgkmcnt(0)
	v_mul_f16_e32 v99, s15, v45
.LBB220_46:
	v_add_nc_u32_e32 v46, 64, v44
	v_pk_add_f16 v20, v24, v20
	v_pk_max_f16 v45, v96, v96
	v_pk_add_f16 v21, v25, v21
	v_add_co_u32 v100, vcc_lo, v104, v34
	v_mad_i64_i32 v[96:97], null, v46, s8, 0
	s_delay_alu instid0(VALU_DEP_4) | instskip(SKIP_1) | instid1(VALU_DEP_2)
	v_pk_min_f16 v20, v45, v20
	v_add_co_ci_u32_e32 v101, vcc_lo, v105, v35, vcc_lo
	v_pk_min_f16 v45, v20, v21
	s_delay_alu instid0(VALU_DEP_4) | instskip(SKIP_1) | instid1(VALU_DEP_3)
	v_lshlrev_b64 v[20:21], 1, v[96:97]
	v_dual_mov_b32 v97, 0 :: v_dual_mov_b32 v96, 0
	v_lshrrev_b32_e32 v47, 16, v45
	s_delay_alu instid0(VALU_DEP_3) | instskip(NEXT) | instid1(VALU_DEP_4)
	v_add_co_u32 v20, vcc_lo, s4, v20
	v_add_co_ci_u32_e32 v21, vcc_lo, s5, v21, vcc_lo
	s_delay_alu instid0(VALU_DEP_3)
	v_min3_f16 v45, v99, v45, v47
	s_and_b32 vcc_lo, exec_lo, s0
	global_store_b16 v[100:101], v45, off
	s_cbranch_vccnz .LBB220_48
; %bb.47:
	v_add_co_u32 v99, vcc_lo, v20, v28
	v_add_co_ci_u32_e32 v100, vcc_lo, v21, v29, vcc_lo
	flat_load_u16 v45, v[99:100]
	s_waitcnt vmcnt(0) lgkmcnt(0)
	v_mul_f16_e32 v97, s15, v45
.LBB220_48:
	v_pk_add_f16 v45, v26, v22
	v_pk_max_f16 v47, v95, v95
	v_mad_i64_i32 v[99:100], null, v46, s3, 0
	v_pk_add_f16 v46, v27, v23
	s_delay_alu instid0(VALU_DEP_3) | instskip(NEXT) | instid1(VALU_DEP_1)
	v_pk_min_f16 v45, v47, v45
	v_pk_min_f16 v45, v45, v46
	s_delay_alu instid0(VALU_DEP_4) | instskip(NEXT) | instid1(VALU_DEP_2)
	v_lshlrev_b64 v[46:47], 1, v[99:100]
	v_lshrrev_b32_e32 v48, 16, v45
	s_delay_alu instid0(VALU_DEP_2) | instskip(NEXT) | instid1(VALU_DEP_3)
	v_add_co_u32 v46, vcc_lo, s1, v46
	v_add_co_ci_u32_e32 v47, vcc_lo, s6, v47, vcc_lo
	s_delay_alu instid0(VALU_DEP_3) | instskip(NEXT) | instid1(VALU_DEP_3)
	v_min3_f16 v45, v97, v45, v48
	v_add_co_u32 v99, vcc_lo, v46, v28
	s_delay_alu instid0(VALU_DEP_3)
	v_add_co_ci_u32_e32 v100, vcc_lo, v47, v29, vcc_lo
	s_and_b32 vcc_lo, exec_lo, s0
	global_store_b16 v[99:100], v45, off
	s_cbranch_vccnz .LBB220_50
; %bb.49:
	v_add_co_u32 v95, vcc_lo, v20, v30
	v_add_co_ci_u32_e32 v96, vcc_lo, v21, v31, vcc_lo
	flat_load_u16 v45, v[95:96]
	s_waitcnt vmcnt(0) lgkmcnt(0)
	v_mul_f16_e32 v96, s15, v45
.LBB220_50:
	v_pk_add_f16 v45, v8, v22
	v_pk_max_f16 v48, v94, v94
	v_pk_add_f16 v51, v9, v23
	v_add_co_u32 v99, vcc_lo, v46, v30
	v_add_co_ci_u32_e32 v100, vcc_lo, v47, v31, vcc_lo
	s_delay_alu instid0(VALU_DEP_4) | instskip(SKIP_2) | instid1(VALU_DEP_2)
	v_pk_min_f16 v45, v48, v45
	v_dual_mov_b32 v94, 0 :: v_dual_mov_b32 v95, 0
	s_and_b32 vcc_lo, exec_lo, s0
	v_pk_min_f16 v45, v45, v51
	s_delay_alu instid0(VALU_DEP_1) | instskip(NEXT) | instid1(VALU_DEP_1)
	v_lshrrev_b32_e32 v48, 16, v45
	v_min3_f16 v45, v96, v45, v48
	global_store_b16 v[99:100], v45, off
	s_cbranch_vccnz .LBB220_52
; %bb.51:
	v_add_co_u32 v95, vcc_lo, v20, v32
	v_add_co_ci_u32_e32 v96, vcc_lo, v21, v33, vcc_lo
	flat_load_u16 v45, v[95:96]
	s_waitcnt vmcnt(0) lgkmcnt(0)
	v_mul_f16_e32 v95, s15, v45
.LBB220_52:
	v_pk_add_f16 v45, v10, v22
	v_pk_max_f16 v48, v93, v93
	v_pk_add_f16 v51, v11, v23
	s_delay_alu instid0(VALU_DEP_2) | instskip(NEXT) | instid1(VALU_DEP_1)
	v_pk_min_f16 v45, v48, v45
	v_pk_min_f16 v45, v45, v51
	s_delay_alu instid0(VALU_DEP_1) | instskip(NEXT) | instid1(VALU_DEP_1)
	v_lshrrev_b32_e32 v48, 16, v45
	v_min3_f16 v45, v95, v45, v48
	v_add_co_u32 v95, vcc_lo, v46, v32
	v_add_co_ci_u32_e32 v96, vcc_lo, v47, v33, vcc_lo
	s_and_b32 vcc_lo, exec_lo, s0
	global_store_b16 v[95:96], v45, off
	s_cbranch_vccnz .LBB220_54
; %bb.53:
	v_add_co_u32 v93, vcc_lo, v20, v40
	v_add_co_ci_u32_e32 v94, vcc_lo, v21, v41, vcc_lo
	flat_load_u16 v45, v[93:94]
	s_waitcnt vmcnt(0) lgkmcnt(0)
	v_mul_f16_e32 v94, s15, v45
.LBB220_54:
	v_pk_add_f16 v45, v4, v22
	v_pk_max_f16 v48, v92, v92
	v_pk_add_f16 v51, v5, v23
	v_add_co_u32 v95, vcc_lo, v46, v40
	v_add_co_ci_u32_e32 v96, vcc_lo, v47, v41, vcc_lo
	s_delay_alu instid0(VALU_DEP_4) | instskip(SKIP_2) | instid1(VALU_DEP_2)
	v_pk_min_f16 v45, v48, v45
	v_dual_mov_b32 v92, 0 :: v_dual_mov_b32 v93, 0
	s_and_b32 vcc_lo, exec_lo, s0
	v_pk_min_f16 v45, v45, v51
	s_delay_alu instid0(VALU_DEP_1) | instskip(NEXT) | instid1(VALU_DEP_1)
	v_lshrrev_b32_e32 v48, 16, v45
	v_min3_f16 v45, v94, v45, v48
	global_store_b16 v[95:96], v45, off
	s_cbranch_vccnz .LBB220_56
; %bb.55:
	v_add_co_u32 v93, vcc_lo, v20, v42
	v_add_co_ci_u32_e32 v94, vcc_lo, v21, v43, vcc_lo
	flat_load_u16 v45, v[93:94]
	s_waitcnt vmcnt(0) lgkmcnt(0)
	v_mul_f16_e32 v93, s15, v45
.LBB220_56:
	v_pk_add_f16 v45, v6, v22
	v_pk_max_f16 v48, v91, v91
	v_pk_add_f16 v51, v7, v23
	s_delay_alu instid0(VALU_DEP_2) | instskip(NEXT) | instid1(VALU_DEP_1)
	v_pk_min_f16 v45, v48, v45
	v_pk_min_f16 v45, v45, v51
	s_delay_alu instid0(VALU_DEP_1) | instskip(NEXT) | instid1(VALU_DEP_1)
	v_lshrrev_b32_e32 v48, 16, v45
	v_min3_f16 v45, v93, v45, v48
	v_add_co_u32 v93, vcc_lo, v46, v42
	;; [unrolled: 43-line block ×3, first 2 shown]
	v_add_co_ci_u32_e32 v92, vcc_lo, v47, v37, vcc_lo
	s_and_b32 vcc_lo, exec_lo, s0
	global_store_b16 v[91:92], v45, off
	s_cbranch_vccnz .LBB220_62
; %bb.61:
	v_add_co_u32 v20, vcc_lo, v20, v34
	v_add_co_ci_u32_e32 v21, vcc_lo, v21, v35, vcc_lo
	flat_load_u16 v20, v[20:21]
	s_waitcnt vmcnt(0) lgkmcnt(0)
	v_mul_f16_e32 v90, s15, v20
.LBB220_62:
	v_pk_add_f16 v22, v24, v22
	v_pk_max_f16 v45, v88, v88
	v_pk_add_f16 v23, v25, v23
	v_add_nc_u32_e32 v89, 0x60, v44
	s_delay_alu instid0(VALU_DEP_3) | instskip(NEXT) | instid1(VALU_DEP_1)
	v_pk_min_f16 v22, v45, v22
	v_pk_min_f16 v45, v22, v23
	v_add_co_u32 v22, vcc_lo, v46, v34
	v_add_co_ci_u32_e32 v23, vcc_lo, v47, v35, vcc_lo
	s_delay_alu instid0(VALU_DEP_3) | instskip(SKIP_1) | instid1(VALU_DEP_2)
	v_lshrrev_b32_e32 v46, 16, v45
	v_mov_b32_e32 v47, 0
	v_min3_f16 v45, v90, v45, v46
	v_mov_b32_e32 v46, 0
	v_mad_i64_i32 v[20:21], null, v89, s8, 0
	global_store_b16 v[22:23], v45, off
	v_lshlrev_b64 v[20:21], 1, v[20:21]
	s_delay_alu instid0(VALU_DEP_1) | instskip(NEXT) | instid1(VALU_DEP_2)
	v_add_co_u32 v20, vcc_lo, s4, v20
	v_add_co_ci_u32_e32 v21, vcc_lo, s5, v21, vcc_lo
	s_and_b32 vcc_lo, exec_lo, s0
	s_cbranch_vccnz .LBB220_64
; %bb.63:
	s_delay_alu instid0(VALU_DEP_2) | instskip(NEXT) | instid1(VALU_DEP_2)
	v_add_co_u32 v22, vcc_lo, v20, v28
	v_add_co_ci_u32_e32 v23, vcc_lo, v21, v29, vcc_lo
	flat_load_u16 v22, v[22:23]
	s_waitcnt vmcnt(0) lgkmcnt(0)
	v_mul_f16_e32 v47, s15, v22
.LBB220_64:
	v_mad_i64_i32 v[22:23], null, v89, s3, 0
	v_pk_add_f16 v45, v26, v16
	v_pk_max_f16 v48, v87, v87
	v_pk_add_f16 v51, v27, v17
	s_delay_alu instid0(VALU_DEP_2) | instskip(SKIP_1) | instid1(VALU_DEP_2)
	v_pk_min_f16 v45, v48, v45
	v_lshlrev_b64 v[22:23], 1, v[22:23]
	v_pk_min_f16 v45, v45, v51
	s_delay_alu instid0(VALU_DEP_2) | instskip(NEXT) | instid1(VALU_DEP_3)
	v_add_co_u32 v22, vcc_lo, s1, v22
	v_add_co_ci_u32_e32 v23, vcc_lo, s6, v23, vcc_lo
	s_delay_alu instid0(VALU_DEP_3) | instskip(NEXT) | instid1(VALU_DEP_3)
	v_lshrrev_b32_e32 v48, 16, v45
	v_add_co_u32 v87, vcc_lo, v22, v28
	s_delay_alu instid0(VALU_DEP_3) | instskip(NEXT) | instid1(VALU_DEP_3)
	v_add_co_ci_u32_e32 v88, vcc_lo, v23, v29, vcc_lo
	v_min3_f16 v45, v47, v45, v48
	s_and_b32 vcc_lo, exec_lo, s0
	global_store_b16 v[87:88], v45, off
	s_cbranch_vccnz .LBB220_66
; %bb.65:
	v_add_co_u32 v46, vcc_lo, v20, v30
	v_add_co_ci_u32_e32 v47, vcc_lo, v21, v31, vcc_lo
	flat_load_u16 v45, v[46:47]
	s_waitcnt vmcnt(0) lgkmcnt(0)
	v_mul_f16_e32 v46, s15, v45
.LBB220_66:
	v_pk_add_f16 v45, v8, v16
	v_pk_max_f16 v47, v86, v86
	v_pk_add_f16 v48, v9, v17
	v_add_co_u32 v86, vcc_lo, v22, v30
	v_add_co_ci_u32_e32 v87, vcc_lo, v23, v31, vcc_lo
	s_delay_alu instid0(VALU_DEP_4) | instskip(SKIP_1) | instid1(VALU_DEP_1)
	v_pk_min_f16 v45, v47, v45
	s_and_b32 vcc_lo, exec_lo, s0
	v_pk_min_f16 v45, v45, v48
	s_delay_alu instid0(VALU_DEP_1) | instskip(NEXT) | instid1(VALU_DEP_1)
	v_lshrrev_b32_e32 v47, 16, v45
	v_min3_f16 v45, v46, v45, v47
	v_dual_mov_b32 v46, 0 :: v_dual_mov_b32 v47, 0
	global_store_b16 v[86:87], v45, off
	s_cbranch_vccnz .LBB220_68
; %bb.67:
	v_add_co_u32 v86, vcc_lo, v20, v32
	v_add_co_ci_u32_e32 v87, vcc_lo, v21, v33, vcc_lo
	flat_load_u16 v45, v[86:87]
	s_waitcnt vmcnt(0) lgkmcnt(0)
	v_mul_f16_e32 v47, s15, v45
.LBB220_68:
	v_pk_add_f16 v45, v10, v16
	v_pk_max_f16 v48, v85, v85
	v_pk_add_f16 v51, v11, v17
	v_add_co_u32 v85, vcc_lo, v22, v32
	v_add_co_ci_u32_e32 v86, vcc_lo, v23, v33, vcc_lo
	s_delay_alu instid0(VALU_DEP_4) | instskip(SKIP_1) | instid1(VALU_DEP_1)
	v_pk_min_f16 v45, v48, v45
	s_and_b32 vcc_lo, exec_lo, s0
	v_pk_min_f16 v45, v45, v51
	s_delay_alu instid0(VALU_DEP_1) | instskip(NEXT) | instid1(VALU_DEP_1)
	v_lshrrev_b32_e32 v48, 16, v45
	v_min3_f16 v45, v47, v45, v48
	global_store_b16 v[85:86], v45, off
	s_cbranch_vccnz .LBB220_70
; %bb.69:
	v_add_co_u32 v46, vcc_lo, v20, v40
	v_add_co_ci_u32_e32 v47, vcc_lo, v21, v41, vcc_lo
	flat_load_u16 v45, v[46:47]
	s_waitcnt vmcnt(0) lgkmcnt(0)
	v_mul_f16_e32 v46, s15, v45
.LBB220_70:
	v_pk_add_f16 v45, v4, v16
	v_pk_max_f16 v47, v84, v84
	v_pk_add_f16 v48, v5, v17
	v_add_co_u32 v84, vcc_lo, v22, v40
	v_add_co_ci_u32_e32 v85, vcc_lo, v23, v41, vcc_lo
	s_delay_alu instid0(VALU_DEP_4) | instskip(SKIP_1) | instid1(VALU_DEP_1)
	v_pk_min_f16 v45, v47, v45
	s_and_b32 vcc_lo, exec_lo, s0
	v_pk_min_f16 v45, v45, v48
	s_delay_alu instid0(VALU_DEP_1) | instskip(NEXT) | instid1(VALU_DEP_1)
	v_lshrrev_b32_e32 v47, 16, v45
	v_min3_f16 v45, v46, v45, v47
	v_dual_mov_b32 v46, 0 :: v_dual_mov_b32 v47, 0
	global_store_b16 v[84:85], v45, off
	s_cbranch_vccnz .LBB220_72
; %bb.71:
	v_add_co_u32 v84, vcc_lo, v20, v42
	v_add_co_ci_u32_e32 v85, vcc_lo, v21, v43, vcc_lo
	flat_load_u16 v45, v[84:85]
	s_waitcnt vmcnt(0) lgkmcnt(0)
	v_mul_f16_e32 v47, s15, v45
.LBB220_72:
	v_pk_add_f16 v45, v6, v16
	v_pk_max_f16 v48, v83, v83
	v_pk_add_f16 v51, v7, v17
	v_add_co_u32 v83, vcc_lo, v22, v42
	v_add_co_ci_u32_e32 v84, vcc_lo, v23, v43, vcc_lo
	s_delay_alu instid0(VALU_DEP_4) | instskip(SKIP_1) | instid1(VALU_DEP_1)
	v_pk_min_f16 v45, v48, v45
	s_and_b32 vcc_lo, exec_lo, s0
	v_pk_min_f16 v45, v45, v51
	s_delay_alu instid0(VALU_DEP_1) | instskip(NEXT) | instid1(VALU_DEP_1)
	v_lshrrev_b32_e32 v48, 16, v45
	v_min3_f16 v45, v47, v45, v48
	;; [unrolled: 43-line block ×3, first 2 shown]
	global_store_b16 v[81:82], v45, off
	s_cbranch_vccnz .LBB220_78
; %bb.77:
	v_add_co_u32 v20, vcc_lo, v20, v34
	v_add_co_ci_u32_e32 v21, vcc_lo, v21, v35, vcc_lo
	flat_load_u16 v20, v[20:21]
	s_waitcnt vmcnt(0) lgkmcnt(0)
	v_mul_f16_e32 v46, s15, v20
.LBB220_78:
	v_add_nc_u32_e32 v20, 0x80, v44
	v_pk_add_f16 v16, v24, v16
	v_pk_max_f16 v21, v80, v80
	v_pk_add_f16 v17, v25, v17
	s_delay_alu instid0(VALU_DEP_4) | instskip(NEXT) | instid1(VALU_DEP_3)
	v_mad_i64_i32 v[80:81], null, v20, s8, 0
	v_pk_min_f16 v16, v21, v16
	s_delay_alu instid0(VALU_DEP_1) | instskip(NEXT) | instid1(VALU_DEP_3)
	v_pk_min_f16 v21, v16, v17
	v_lshlrev_b64 v[16:17], 1, v[80:81]
	v_add_co_u32 v80, vcc_lo, v22, v34
	v_add_co_ci_u32_e32 v81, vcc_lo, v23, v35, vcc_lo
	v_mov_b32_e32 v23, 0
	v_lshrrev_b32_e32 v22, 16, v21
	v_add_co_u32 v16, vcc_lo, s4, v16
	v_add_co_ci_u32_e32 v17, vcc_lo, s5, v17, vcc_lo
	s_delay_alu instid0(VALU_DEP_3)
	v_min3_f16 v21, v46, v21, v22
	v_mov_b32_e32 v22, 0
	s_and_b32 vcc_lo, exec_lo, s0
	global_store_b16 v[80:81], v21, off
	s_cbranch_vccnz .LBB220_80
; %bb.79:
	v_add_co_u32 v46, vcc_lo, v16, v28
	v_add_co_ci_u32_e32 v47, vcc_lo, v17, v29, vcc_lo
	flat_load_u16 v21, v[46:47]
	s_waitcnt vmcnt(0) lgkmcnt(0)
	v_mul_f16_e32 v23, s15, v21
.LBB220_80:
	v_pk_add_f16 v21, v26, v18
	v_pk_max_f16 v45, v79, v79
	v_mad_i64_i32 v[46:47], null, v20, s3, 0
	v_pk_add_f16 v20, v27, v19
	s_delay_alu instid0(VALU_DEP_3) | instskip(NEXT) | instid1(VALU_DEP_1)
	v_pk_min_f16 v21, v45, v21
	v_pk_min_f16 v45, v21, v20
	s_delay_alu instid0(VALU_DEP_4) | instskip(NEXT) | instid1(VALU_DEP_2)
	v_lshlrev_b64 v[20:21], 1, v[46:47]
	v_lshrrev_b32_e32 v46, 16, v45
	s_delay_alu instid0(VALU_DEP_2) | instskip(NEXT) | instid1(VALU_DEP_3)
	v_add_co_u32 v20, vcc_lo, s1, v20
	v_add_co_ci_u32_e32 v21, vcc_lo, s6, v21, vcc_lo
	s_delay_alu instid0(VALU_DEP_3) | instskip(NEXT) | instid1(VALU_DEP_3)
	v_min3_f16 v23, v23, v45, v46
	v_add_co_u32 v46, vcc_lo, v20, v28
	s_delay_alu instid0(VALU_DEP_3)
	v_add_co_ci_u32_e32 v47, vcc_lo, v21, v29, vcc_lo
	s_and_b32 vcc_lo, exec_lo, s0
	global_store_b16 v[46:47], v23, off
	s_cbranch_vccnz .LBB220_82
; %bb.81:
	v_add_co_u32 v22, vcc_lo, v16, v30
	v_add_co_ci_u32_e32 v23, vcc_lo, v17, v31, vcc_lo
	flat_load_u16 v22, v[22:23]
	s_waitcnt vmcnt(0) lgkmcnt(0)
	v_mul_f16_e32 v22, s15, v22
.LBB220_82:
	v_pk_add_f16 v23, v8, v18
	v_pk_max_f16 v45, v78, v78
	v_pk_add_f16 v46, v9, v19
	s_delay_alu instid0(VALU_DEP_2) | instskip(NEXT) | instid1(VALU_DEP_1)
	v_pk_min_f16 v23, v45, v23
	v_pk_min_f16 v23, v23, v46
	v_add_co_u32 v46, vcc_lo, v20, v30
	v_add_co_ci_u32_e32 v47, vcc_lo, v21, v31, vcc_lo
	s_delay_alu instid0(VALU_DEP_3) | instskip(SKIP_1) | instid1(VALU_DEP_1)
	v_lshrrev_b32_e32 v45, 16, v23
	s_and_b32 vcc_lo, exec_lo, s0
	v_min3_f16 v45, v22, v23, v45
	v_dual_mov_b32 v22, 0 :: v_dual_mov_b32 v23, 0
	global_store_b16 v[46:47], v45, off
	s_cbranch_vccnz .LBB220_84
; %bb.83:
	v_add_co_u32 v46, vcc_lo, v16, v32
	v_add_co_ci_u32_e32 v47, vcc_lo, v17, v33, vcc_lo
	flat_load_u16 v23, v[46:47]
	s_waitcnt vmcnt(0) lgkmcnt(0)
	v_mul_f16_e32 v23, s15, v23
.LBB220_84:
	v_pk_add_f16 v45, v10, v18
	v_pk_max_f16 v46, v77, v77
	v_pk_add_f16 v47, v11, v19
	s_delay_alu instid0(VALU_DEP_2) | instskip(NEXT) | instid1(VALU_DEP_1)
	v_pk_min_f16 v45, v46, v45
	v_pk_min_f16 v45, v45, v47
	s_delay_alu instid0(VALU_DEP_1) | instskip(NEXT) | instid1(VALU_DEP_1)
	v_lshrrev_b32_e32 v46, 16, v45
	v_min3_f16 v23, v23, v45, v46
	v_add_co_u32 v46, vcc_lo, v20, v32
	v_add_co_ci_u32_e32 v47, vcc_lo, v21, v33, vcc_lo
	s_and_b32 vcc_lo, exec_lo, s0
	global_store_b16 v[46:47], v23, off
	s_cbranch_vccnz .LBB220_86
; %bb.85:
	v_add_co_u32 v22, vcc_lo, v16, v40
	v_add_co_ci_u32_e32 v23, vcc_lo, v17, v41, vcc_lo
	flat_load_u16 v22, v[22:23]
	s_waitcnt vmcnt(0) lgkmcnt(0)
	v_mul_f16_e32 v22, s15, v22
.LBB220_86:
	v_pk_add_f16 v23, v4, v18
	v_pk_max_f16 v45, v76, v76
	v_pk_add_f16 v46, v5, v19
	s_delay_alu instid0(VALU_DEP_2) | instskip(NEXT) | instid1(VALU_DEP_1)
	v_pk_min_f16 v23, v45, v23
	v_pk_min_f16 v23, v23, v46
	v_add_co_u32 v46, vcc_lo, v20, v40
	v_add_co_ci_u32_e32 v47, vcc_lo, v21, v41, vcc_lo
	s_delay_alu instid0(VALU_DEP_3) | instskip(SKIP_1) | instid1(VALU_DEP_1)
	v_lshrrev_b32_e32 v45, 16, v23
	s_and_b32 vcc_lo, exec_lo, s0
	v_min3_f16 v45, v22, v23, v45
	v_dual_mov_b32 v22, 0 :: v_dual_mov_b32 v23, 0
	global_store_b16 v[46:47], v45, off
	s_cbranch_vccnz .LBB220_88
; %bb.87:
	v_add_co_u32 v46, vcc_lo, v16, v42
	v_add_co_ci_u32_e32 v47, vcc_lo, v17, v43, vcc_lo
	flat_load_u16 v23, v[46:47]
	s_waitcnt vmcnt(0) lgkmcnt(0)
	v_mul_f16_e32 v23, s15, v23
.LBB220_88:
	v_pk_add_f16 v45, v6, v18
	v_pk_max_f16 v46, v75, v75
	v_pk_add_f16 v47, v7, v19
	s_delay_alu instid0(VALU_DEP_2) | instskip(NEXT) | instid1(VALU_DEP_1)
	v_pk_min_f16 v45, v46, v45
	v_pk_min_f16 v45, v45, v47
	s_delay_alu instid0(VALU_DEP_1) | instskip(NEXT) | instid1(VALU_DEP_1)
	v_lshrrev_b32_e32 v46, 16, v45
	v_min3_f16 v23, v23, v45, v46
	v_add_co_u32 v46, vcc_lo, v20, v42
	;; [unrolled: 43-line block ×3, first 2 shown]
	v_add_co_ci_u32_e32 v47, vcc_lo, v21, v37, vcc_lo
	s_and_b32 vcc_lo, exec_lo, s0
	global_store_b16 v[46:47], v23, off
	s_cbranch_vccnz .LBB220_94
; %bb.93:
	v_add_co_u32 v16, vcc_lo, v16, v34
	v_add_co_ci_u32_e32 v17, vcc_lo, v17, v35, vcc_lo
	flat_load_u16 v16, v[16:17]
	s_waitcnt vmcnt(0) lgkmcnt(0)
	v_mul_f16_e32 v22, s15, v16
.LBB220_94:
	v_pk_add_f16 v18, v24, v18
	v_pk_max_f16 v45, v72, v72
	v_pk_add_f16 v19, v25, v19
	v_add_nc_u32_e32 v23, 0xa0, v44
	s_delay_alu instid0(VALU_DEP_3) | instskip(NEXT) | instid1(VALU_DEP_1)
	v_pk_min_f16 v18, v45, v18
	v_pk_min_f16 v45, v18, v19
	v_add_co_u32 v18, vcc_lo, v20, v34
	v_add_co_ci_u32_e32 v19, vcc_lo, v21, v35, vcc_lo
	s_delay_alu instid0(VALU_DEP_3) | instskip(SKIP_1) | instid1(VALU_DEP_2)
	v_lshrrev_b32_e32 v20, 16, v45
	v_mov_b32_e32 v21, 0
	v_min3_f16 v22, v22, v45, v20
	v_mov_b32_e32 v20, 0
	v_mad_i64_i32 v[16:17], null, v23, s8, 0
	global_store_b16 v[18:19], v22, off
	v_lshlrev_b64 v[16:17], 1, v[16:17]
	s_delay_alu instid0(VALU_DEP_1) | instskip(NEXT) | instid1(VALU_DEP_2)
	v_add_co_u32 v16, vcc_lo, s4, v16
	v_add_co_ci_u32_e32 v17, vcc_lo, s5, v17, vcc_lo
	s_and_b32 vcc_lo, exec_lo, s0
	s_cbranch_vccnz .LBB220_96
; %bb.95:
	s_delay_alu instid0(VALU_DEP_2) | instskip(NEXT) | instid1(VALU_DEP_2)
	v_add_co_u32 v18, vcc_lo, v16, v28
	v_add_co_ci_u32_e32 v19, vcc_lo, v17, v29, vcc_lo
	flat_load_u16 v18, v[18:19]
	s_waitcnt vmcnt(0) lgkmcnt(0)
	v_mul_f16_e32 v21, s15, v18
.LBB220_96:
	v_pk_add_f16 v22, v26, v12
	v_pk_max_f16 v45, v71, v71
	v_mad_i64_i32 v[18:19], null, v23, s3, 0
	v_pk_add_f16 v23, v27, v13
	s_delay_alu instid0(VALU_DEP_3) | instskip(NEXT) | instid1(VALU_DEP_3)
	v_pk_min_f16 v22, v45, v22
	v_lshlrev_b64 v[18:19], 1, v[18:19]
	s_delay_alu instid0(VALU_DEP_2) | instskip(NEXT) | instid1(VALU_DEP_2)
	v_pk_min_f16 v22, v22, v23
	v_add_co_u32 v18, vcc_lo, s1, v18
	s_delay_alu instid0(VALU_DEP_2) | instskip(NEXT) | instid1(VALU_DEP_4)
	v_lshrrev_b32_e32 v23, 16, v22
	v_add_co_ci_u32_e32 v19, vcc_lo, s6, v19, vcc_lo
	s_delay_alu instid0(VALU_DEP_2) | instskip(NEXT) | instid1(VALU_DEP_4)
	v_min3_f16 v23, v21, v22, v23
	v_add_co_u32 v21, vcc_lo, v18, v28
	s_delay_alu instid0(VALU_DEP_3)
	v_add_co_ci_u32_e32 v22, vcc_lo, v19, v29, vcc_lo
	s_and_b32 vcc_lo, exec_lo, s0
	global_store_b16 v[21:22], v23, off
	s_cbranch_vccnz .LBB220_98
; %bb.97:
	v_add_co_u32 v20, vcc_lo, v16, v30
	v_add_co_ci_u32_e32 v21, vcc_lo, v17, v31, vcc_lo
	flat_load_u16 v20, v[20:21]
	s_waitcnt vmcnt(0) lgkmcnt(0)
	v_mul_f16_e32 v20, s15, v20
.LBB220_98:
	v_pk_add_f16 v21, v8, v12
	v_pk_max_f16 v22, v70, v70
	v_pk_add_f16 v23, v9, v13
	s_delay_alu instid0(VALU_DEP_2) | instskip(SKIP_1) | instid1(VALU_DEP_2)
	v_pk_min_f16 v21, v22, v21
	v_add_co_u32 v22, vcc_lo, v18, v30
	v_pk_min_f16 v21, v21, v23
	v_add_co_ci_u32_e32 v23, vcc_lo, v19, v31, vcc_lo
	s_and_b32 vcc_lo, exec_lo, s0
	s_delay_alu instid0(VALU_DEP_2) | instskip(NEXT) | instid1(VALU_DEP_1)
	v_lshrrev_b32_e32 v45, 16, v21
	v_min3_f16 v45, v20, v21, v45
	v_dual_mov_b32 v20, 0 :: v_dual_mov_b32 v21, 0
	global_store_b16 v[22:23], v45, off
	s_cbranch_vccnz .LBB220_100
; %bb.99:
	v_add_co_u32 v21, vcc_lo, v16, v32
	v_add_co_ci_u32_e32 v22, vcc_lo, v17, v33, vcc_lo
	flat_load_u16 v21, v[21:22]
	s_waitcnt vmcnt(0) lgkmcnt(0)
	v_mul_f16_e32 v21, s15, v21
.LBB220_100:
	v_pk_add_f16 v22, v10, v12
	v_pk_max_f16 v23, v69, v69
	v_pk_add_f16 v45, v11, v13
	s_delay_alu instid0(VALU_DEP_2) | instskip(NEXT) | instid1(VALU_DEP_1)
	v_pk_min_f16 v22, v23, v22
	v_pk_min_f16 v22, v22, v45
	s_delay_alu instid0(VALU_DEP_1) | instskip(NEXT) | instid1(VALU_DEP_1)
	v_lshrrev_b32_e32 v23, 16, v22
	v_min3_f16 v23, v21, v22, v23
	v_add_co_u32 v21, vcc_lo, v18, v32
	v_add_co_ci_u32_e32 v22, vcc_lo, v19, v33, vcc_lo
	s_and_b32 vcc_lo, exec_lo, s0
	global_store_b16 v[21:22], v23, off
	s_cbranch_vccnz .LBB220_102
; %bb.101:
	v_add_co_u32 v20, vcc_lo, v16, v40
	v_add_co_ci_u32_e32 v21, vcc_lo, v17, v41, vcc_lo
	flat_load_u16 v20, v[20:21]
	s_waitcnt vmcnt(0) lgkmcnt(0)
	v_mul_f16_e32 v20, s15, v20
.LBB220_102:
	v_pk_add_f16 v21, v4, v12
	v_pk_max_f16 v22, v60, v60
	v_pk_add_f16 v23, v5, v13
	s_delay_alu instid0(VALU_DEP_2) | instskip(SKIP_1) | instid1(VALU_DEP_2)
	v_pk_min_f16 v21, v22, v21
	v_add_co_u32 v22, vcc_lo, v18, v40
	v_pk_min_f16 v21, v21, v23
	v_add_co_ci_u32_e32 v23, vcc_lo, v19, v41, vcc_lo
	s_and_b32 vcc_lo, exec_lo, s0
	s_delay_alu instid0(VALU_DEP_2) | instskip(NEXT) | instid1(VALU_DEP_1)
	v_lshrrev_b32_e32 v45, 16, v21
	v_min3_f16 v45, v20, v21, v45
	v_dual_mov_b32 v20, 0 :: v_dual_mov_b32 v21, 0
	global_store_b16 v[22:23], v45, off
	s_cbranch_vccnz .LBB220_104
; %bb.103:
	v_add_co_u32 v21, vcc_lo, v16, v42
	v_add_co_ci_u32_e32 v22, vcc_lo, v17, v43, vcc_lo
	flat_load_u16 v21, v[21:22]
	s_waitcnt vmcnt(0) lgkmcnt(0)
	v_mul_f16_e32 v21, s15, v21
.LBB220_104:
	v_pk_add_f16 v22, v6, v12
	v_pk_max_f16 v23, v59, v59
	v_pk_add_f16 v45, v7, v13
	s_delay_alu instid0(VALU_DEP_2) | instskip(NEXT) | instid1(VALU_DEP_1)
	v_pk_min_f16 v22, v23, v22
	v_pk_min_f16 v22, v22, v45
	s_delay_alu instid0(VALU_DEP_1) | instskip(NEXT) | instid1(VALU_DEP_1)
	v_lshrrev_b32_e32 v23, 16, v22
	v_min3_f16 v23, v21, v22, v23
	v_add_co_u32 v21, vcc_lo, v18, v42
	;; [unrolled: 43-line block ×3, first 2 shown]
	v_add_co_ci_u32_e32 v22, vcc_lo, v19, v37, vcc_lo
	s_and_b32 vcc_lo, exec_lo, s0
	global_store_b16 v[21:22], v23, off
	s_cbranch_vccnz .LBB220_110
; %bb.109:
	v_add_co_u32 v16, vcc_lo, v16, v34
	v_add_co_ci_u32_e32 v17, vcc_lo, v17, v35, vcc_lo
	flat_load_u16 v16, v[16:17]
	s_waitcnt vmcnt(0) lgkmcnt(0)
	v_mul_f16_e32 v20, s15, v16
.LBB220_110:
	v_add_nc_u32_e32 v16, 0xc0, v44
	v_pk_add_f16 v12, v24, v12
	v_pk_max_f16 v17, v151, v151
	v_pk_add_f16 v13, v25, v13
	s_delay_alu instid0(VALU_DEP_4) | instskip(NEXT) | instid1(VALU_DEP_3)
	v_mad_i64_i32 v[21:22], null, v16, s8, 0
	v_pk_min_f16 v12, v17, v12
	s_delay_alu instid0(VALU_DEP_1) | instskip(NEXT) | instid1(VALU_DEP_3)
	v_pk_min_f16 v17, v12, v13
	v_lshlrev_b64 v[12:13], 1, v[21:22]
	v_add_co_u32 v21, vcc_lo, v18, v34
	v_add_co_ci_u32_e32 v22, vcc_lo, v19, v35, vcc_lo
	v_mov_b32_e32 v19, 0
	v_lshrrev_b32_e32 v18, 16, v17
	v_add_co_u32 v12, vcc_lo, s4, v12
	v_add_co_ci_u32_e32 v13, vcc_lo, s5, v13, vcc_lo
	s_delay_alu instid0(VALU_DEP_3)
	v_min3_f16 v17, v20, v17, v18
	v_mov_b32_e32 v18, 0
	s_and_b32 vcc_lo, exec_lo, s0
	global_store_b16 v[21:22], v17, off
	s_cbranch_vccnz .LBB220_112
; %bb.111:
	v_add_co_u32 v19, vcc_lo, v12, v28
	v_add_co_ci_u32_e32 v20, vcc_lo, v13, v29, vcc_lo
	flat_load_u16 v17, v[19:20]
	s_waitcnt vmcnt(0) lgkmcnt(0)
	v_mul_f16_e32 v19, s15, v17
.LBB220_112:
	v_pk_add_f16 v17, v26, v14
	v_pk_max_f16 v22, v56, v56
	v_mad_i64_i32 v[20:21], null, v16, s3, 0
	v_pk_add_f16 v16, v27, v15
	s_delay_alu instid0(VALU_DEP_3) | instskip(NEXT) | instid1(VALU_DEP_1)
	v_pk_min_f16 v17, v22, v17
	v_pk_min_f16 v22, v17, v16
	s_delay_alu instid0(VALU_DEP_4) | instskip(NEXT) | instid1(VALU_DEP_2)
	v_lshlrev_b64 v[16:17], 1, v[20:21]
	v_lshrrev_b32_e32 v20, 16, v22
	s_delay_alu instid0(VALU_DEP_2) | instskip(NEXT) | instid1(VALU_DEP_3)
	v_add_co_u32 v16, vcc_lo, s1, v16
	v_add_co_ci_u32_e32 v17, vcc_lo, s6, v17, vcc_lo
	s_delay_alu instid0(VALU_DEP_3) | instskip(NEXT) | instid1(VALU_DEP_3)
	v_min3_f16 v21, v19, v22, v20
	v_add_co_u32 v19, vcc_lo, v16, v28
	s_delay_alu instid0(VALU_DEP_3)
	v_add_co_ci_u32_e32 v20, vcc_lo, v17, v29, vcc_lo
	s_and_b32 vcc_lo, exec_lo, s0
	global_store_b16 v[19:20], v21, off
	s_cbranch_vccnz .LBB220_114
; %bb.113:
	v_add_co_u32 v18, vcc_lo, v12, v30
	v_add_co_ci_u32_e32 v19, vcc_lo, v13, v31, vcc_lo
	flat_load_u16 v18, v[18:19]
	s_waitcnt vmcnt(0) lgkmcnt(0)
	v_mul_f16_e32 v18, s15, v18
.LBB220_114:
	v_pk_add_f16 v19, v8, v14
	v_pk_max_f16 v20, v152, v152
	v_pk_add_f16 v21, v9, v15
	s_delay_alu instid0(VALU_DEP_2) | instskip(SKIP_1) | instid1(VALU_DEP_2)
	v_pk_min_f16 v19, v20, v19
	v_add_co_u32 v20, vcc_lo, v16, v30
	v_pk_min_f16 v19, v19, v21
	v_add_co_ci_u32_e32 v21, vcc_lo, v17, v31, vcc_lo
	s_and_b32 vcc_lo, exec_lo, s0
	s_delay_alu instid0(VALU_DEP_2) | instskip(NEXT) | instid1(VALU_DEP_1)
	v_lshrrev_b32_e32 v22, 16, v19
	v_min3_f16 v22, v18, v19, v22
	v_dual_mov_b32 v18, 0 :: v_dual_mov_b32 v19, 0
	global_store_b16 v[20:21], v22, off
	s_cbranch_vccnz .LBB220_116
; %bb.115:
	v_add_co_u32 v19, vcc_lo, v12, v32
	v_add_co_ci_u32_e32 v20, vcc_lo, v13, v33, vcc_lo
	flat_load_u16 v19, v[19:20]
	s_waitcnt vmcnt(0) lgkmcnt(0)
	v_mul_f16_e32 v19, s15, v19
.LBB220_116:
	v_pk_add_f16 v20, v10, v14
	v_pk_max_f16 v21, v153, v153
	v_pk_add_f16 v22, v11, v15
	s_delay_alu instid0(VALU_DEP_2) | instskip(NEXT) | instid1(VALU_DEP_1)
	v_pk_min_f16 v20, v21, v20
	v_pk_min_f16 v20, v20, v22
	s_delay_alu instid0(VALU_DEP_1) | instskip(NEXT) | instid1(VALU_DEP_1)
	v_lshrrev_b32_e32 v21, 16, v20
	v_min3_f16 v21, v19, v20, v21
	v_add_co_u32 v19, vcc_lo, v16, v32
	v_add_co_ci_u32_e32 v20, vcc_lo, v17, v33, vcc_lo
	s_and_b32 vcc_lo, exec_lo, s0
	global_store_b16 v[19:20], v21, off
	s_cbranch_vccnz .LBB220_118
; %bb.117:
	v_add_co_u32 v18, vcc_lo, v12, v40
	v_add_co_ci_u32_e32 v19, vcc_lo, v13, v41, vcc_lo
	flat_load_u16 v18, v[18:19]
	s_waitcnt vmcnt(0) lgkmcnt(0)
	v_mul_f16_e32 v18, s15, v18
.LBB220_118:
	v_pk_add_f16 v19, v4, v14
	v_pk_max_f16 v20, v154, v154
	v_pk_add_f16 v21, v5, v15
	s_delay_alu instid0(VALU_DEP_2) | instskip(SKIP_1) | instid1(VALU_DEP_2)
	v_pk_min_f16 v19, v20, v19
	v_add_co_u32 v20, vcc_lo, v16, v40
	v_pk_min_f16 v19, v19, v21
	v_add_co_ci_u32_e32 v21, vcc_lo, v17, v41, vcc_lo
	s_and_b32 vcc_lo, exec_lo, s0
	s_delay_alu instid0(VALU_DEP_2) | instskip(NEXT) | instid1(VALU_DEP_1)
	v_lshrrev_b32_e32 v22, 16, v19
	v_min3_f16 v22, v18, v19, v22
	v_dual_mov_b32 v18, 0 :: v_dual_mov_b32 v19, 0
	global_store_b16 v[20:21], v22, off
	s_cbranch_vccnz .LBB220_120
; %bb.119:
	v_add_co_u32 v19, vcc_lo, v12, v42
	v_add_co_ci_u32_e32 v20, vcc_lo, v13, v43, vcc_lo
	flat_load_u16 v19, v[19:20]
	s_waitcnt vmcnt(0) lgkmcnt(0)
	v_mul_f16_e32 v19, s15, v19
.LBB220_120:
	v_pk_add_f16 v20, v6, v14
	v_pk_max_f16 v21, v155, v155
	v_pk_add_f16 v22, v7, v15
	s_delay_alu instid0(VALU_DEP_2) | instskip(NEXT) | instid1(VALU_DEP_1)
	v_pk_min_f16 v20, v21, v20
	v_pk_min_f16 v20, v20, v22
	s_delay_alu instid0(VALU_DEP_1) | instskip(NEXT) | instid1(VALU_DEP_1)
	v_lshrrev_b32_e32 v21, 16, v20
	v_min3_f16 v21, v19, v20, v21
	v_add_co_u32 v19, vcc_lo, v16, v42
	;; [unrolled: 43-line block ×3, first 2 shown]
	v_add_co_ci_u32_e32 v20, vcc_lo, v17, v37, vcc_lo
	s_and_b32 vcc_lo, exec_lo, s0
	global_store_b16 v[19:20], v21, off
	s_cbranch_vccnz .LBB220_126
; %bb.125:
	v_add_co_u32 v12, vcc_lo, v12, v34
	v_add_co_ci_u32_e32 v13, vcc_lo, v13, v35, vcc_lo
	flat_load_u16 v12, v[12:13]
	s_waitcnt vmcnt(0) lgkmcnt(0)
	v_mul_f16_e32 v18, s15, v12
.LBB220_126:
	v_pk_add_f16 v14, v24, v14
	v_pk_max_f16 v20, v157, v157
	v_pk_add_f16 v15, v25, v15
	v_add_nc_u32_e32 v19, 0xe0, v44
	s_delay_alu instid0(VALU_DEP_3) | instskip(NEXT) | instid1(VALU_DEP_1)
	v_pk_min_f16 v14, v20, v14
	v_pk_min_f16 v20, v14, v15
	v_add_co_u32 v14, vcc_lo, v16, v34
	v_add_co_ci_u32_e32 v15, vcc_lo, v17, v35, vcc_lo
	s_delay_alu instid0(VALU_DEP_3) | instskip(SKIP_1) | instid1(VALU_DEP_2)
	v_lshrrev_b32_e32 v16, 16, v20
	v_mov_b32_e32 v17, 0
	v_min3_f16 v18, v18, v20, v16
	v_mov_b32_e32 v16, 0
	v_mad_i64_i32 v[12:13], null, v19, s8, 0
	global_store_b16 v[14:15], v18, off
	v_lshlrev_b64 v[12:13], 1, v[12:13]
	s_delay_alu instid0(VALU_DEP_1) | instskip(NEXT) | instid1(VALU_DEP_2)
	v_add_co_u32 v12, vcc_lo, s4, v12
	v_add_co_ci_u32_e32 v13, vcc_lo, s5, v13, vcc_lo
	s_and_b32 vcc_lo, exec_lo, s0
	s_cbranch_vccnz .LBB220_128
; %bb.127:
	s_delay_alu instid0(VALU_DEP_2) | instskip(NEXT) | instid1(VALU_DEP_2)
	v_add_co_u32 v14, vcc_lo, v12, v28
	v_add_co_ci_u32_e32 v15, vcc_lo, v13, v29, vcc_lo
	flat_load_u16 v14, v[14:15]
	s_waitcnt vmcnt(0) lgkmcnt(0)
	v_mul_f16_e32 v17, s15, v14
.LBB220_128:
	v_pk_add_f16 v18, v26, v49
	v_pk_max_f16 v20, v158, v158
	v_mad_i64_i32 v[14:15], null, v19, s3, 0
	v_pk_add_f16 v19, v27, v50
	s_delay_alu instid0(VALU_DEP_3) | instskip(NEXT) | instid1(VALU_DEP_3)
	v_pk_min_f16 v18, v20, v18
	v_lshlrev_b64 v[14:15], 1, v[14:15]
	s_delay_alu instid0(VALU_DEP_2) | instskip(NEXT) | instid1(VALU_DEP_2)
	v_pk_min_f16 v18, v18, v19
	v_add_co_u32 v14, vcc_lo, s1, v14
	s_delay_alu instid0(VALU_DEP_2) | instskip(NEXT) | instid1(VALU_DEP_4)
	v_lshrrev_b32_e32 v19, 16, v18
	v_add_co_ci_u32_e32 v15, vcc_lo, s6, v15, vcc_lo
	s_delay_alu instid0(VALU_DEP_2) | instskip(NEXT) | instid1(VALU_DEP_4)
	v_min3_f16 v19, v17, v18, v19
	v_add_co_u32 v17, vcc_lo, v14, v28
	s_delay_alu instid0(VALU_DEP_3)
	v_add_co_ci_u32_e32 v18, vcc_lo, v15, v29, vcc_lo
	s_and_b32 vcc_lo, exec_lo, s0
	global_store_b16 v[17:18], v19, off
	s_cbranch_vccnz .LBB220_130
; %bb.129:
	v_add_co_u32 v16, vcc_lo, v12, v30
	v_add_co_ci_u32_e32 v17, vcc_lo, v13, v31, vcc_lo
	flat_load_u16 v16, v[16:17]
	s_waitcnt vmcnt(0) lgkmcnt(0)
	v_mul_f16_e32 v16, s15, v16
.LBB220_130:
	v_pk_add_f16 v8, v8, v49
	v_pk_max_f16 v17, v159, v159
	v_pk_add_f16 v9, v9, v50
	s_delay_alu instid0(VALU_DEP_2) | instskip(SKIP_2) | instid1(VALU_DEP_3)
	v_pk_min_f16 v8, v17, v8
	v_add_co_u32 v17, vcc_lo, v14, v30
	v_add_co_ci_u32_e32 v18, vcc_lo, v15, v31, vcc_lo
	v_pk_min_f16 v8, v8, v9
	s_and_b32 vcc_lo, exec_lo, s0
	s_delay_alu instid0(VALU_DEP_1) | instskip(NEXT) | instid1(VALU_DEP_1)
	v_lshrrev_b32_e32 v9, 16, v8
	v_min3_f16 v16, v16, v8, v9
	v_dual_mov_b32 v8, 0 :: v_dual_mov_b32 v9, 0
	global_store_b16 v[17:18], v16, off
	s_cbranch_vccnz .LBB220_132
; %bb.131:
	v_add_co_u32 v16, vcc_lo, v12, v32
	v_add_co_ci_u32_e32 v17, vcc_lo, v13, v33, vcc_lo
	flat_load_u16 v9, v[16:17]
	s_waitcnt vmcnt(0) lgkmcnt(0)
	v_mul_f16_e32 v9, s15, v9
.LBB220_132:
	v_pk_add_f16 v10, v10, v49
	v_pk_max_f16 v16, v54, v54
	v_pk_add_f16 v11, v11, v50
	s_delay_alu instid0(VALU_DEP_2) | instskip(NEXT) | instid1(VALU_DEP_1)
	v_pk_min_f16 v10, v16, v10
	v_pk_min_f16 v10, v10, v11
	s_delay_alu instid0(VALU_DEP_1) | instskip(NEXT) | instid1(VALU_DEP_1)
	v_lshrrev_b32_e32 v11, 16, v10
	v_min3_f16 v11, v9, v10, v11
	v_add_co_u32 v9, vcc_lo, v14, v32
	v_add_co_ci_u32_e32 v10, vcc_lo, v15, v33, vcc_lo
	s_and_b32 vcc_lo, exec_lo, s0
	global_store_b16 v[9:10], v11, off
	s_cbranch_vccnz .LBB220_134
; %bb.133:
	v_add_co_u32 v8, vcc_lo, v12, v40
	v_add_co_ci_u32_e32 v9, vcc_lo, v13, v41, vcc_lo
	flat_load_u16 v8, v[8:9]
	s_waitcnt vmcnt(0) lgkmcnt(0)
	v_mul_f16_e32 v8, s15, v8
.LBB220_134:
	v_pk_add_f16 v4, v4, v49
	v_pk_max_f16 v9, v53, v53
	v_pk_add_f16 v5, v5, v50
	s_delay_alu instid0(VALU_DEP_2) | instskip(SKIP_2) | instid1(VALU_DEP_3)
	v_pk_min_f16 v4, v9, v4
	v_add_co_u32 v9, vcc_lo, v14, v40
	v_add_co_ci_u32_e32 v10, vcc_lo, v15, v41, vcc_lo
	v_pk_min_f16 v4, v4, v5
	s_and_b32 vcc_lo, exec_lo, s0
	s_delay_alu instid0(VALU_DEP_1) | instskip(NEXT) | instid1(VALU_DEP_1)
	v_lshrrev_b32_e32 v5, 16, v4
	v_min3_f16 v8, v8, v4, v5
	v_dual_mov_b32 v4, 0 :: v_dual_mov_b32 v5, 0
	global_store_b16 v[9:10], v8, off
	s_cbranch_vccnz .LBB220_136
; %bb.135:
	v_add_co_u32 v8, vcc_lo, v12, v42
	v_add_co_ci_u32_e32 v9, vcc_lo, v13, v43, vcc_lo
	flat_load_u16 v5, v[8:9]
	s_waitcnt vmcnt(0) lgkmcnt(0)
	v_mul_f16_e32 v5, s15, v5
.LBB220_136:
	v_pk_add_f16 v6, v6, v49
	v_pk_max_f16 v8, v52, v52
	v_pk_add_f16 v7, v7, v50
	s_delay_alu instid0(VALU_DEP_2) | instskip(NEXT) | instid1(VALU_DEP_1)
	v_pk_min_f16 v6, v8, v6
	v_pk_min_f16 v6, v6, v7
	s_delay_alu instid0(VALU_DEP_1) | instskip(NEXT) | instid1(VALU_DEP_1)
	v_lshrrev_b32_e32 v7, 16, v6
	v_min3_f16 v7, v5, v6, v7
	v_add_co_u32 v5, vcc_lo, v14, v42
	v_add_co_ci_u32_e32 v6, vcc_lo, v15, v43, vcc_lo
	s_and_b32 vcc_lo, exec_lo, s0
	global_store_b16 v[5:6], v7, off
	s_cbranch_vccnz .LBB220_138
; %bb.137:
	v_add_co_u32 v4, vcc_lo, v12, v38
	v_add_co_ci_u32_e32 v5, vcc_lo, v13, v39, vcc_lo
	flat_load_u16 v4, v[4:5]
	s_waitcnt vmcnt(0) lgkmcnt(0)
	v_mul_f16_e32 v4, s15, v4
.LBB220_138:
	v_pk_add_f16 v0, v0, v49
	v_pk_max_f16 v5, v160, v160
	v_pk_add_f16 v2, v2, v49
	v_pk_max_f16 v6, v161, v161
	v_pk_add_f16 v1, v1, v50
	v_pk_add_f16 v3, v3, v50
	v_pk_min_f16 v0, v5, v0
	s_delay_alu instid0(VALU_DEP_4) | instskip(NEXT) | instid1(VALU_DEP_2)
	v_pk_min_f16 v2, v6, v2
	v_pk_min_f16 v0, v0, v1
	s_delay_alu instid0(VALU_DEP_2) | instskip(NEXT) | instid1(VALU_DEP_2)
	v_pk_min_f16 v1, v2, v3
	v_lshrrev_b32_e32 v2, 16, v0
	s_delay_alu instid0(VALU_DEP_2) | instskip(NEXT) | instid1(VALU_DEP_2)
	v_lshrrev_b32_e32 v3, 16, v1
	v_min3_f16 v4, v4, v0, v2
	s_delay_alu instid0(VALU_DEP_2) | instskip(SKIP_2) | instid1(VALU_DEP_3)
	v_min_f16_e32 v0, v1, v3
	v_add_co_u32 v1, vcc_lo, v14, v38
	v_add_co_ci_u32_e32 v2, vcc_lo, v15, v39, vcc_lo
	v_max_f16_e32 v0, v0, v0
	s_mov_b32 vcc_lo, s2
	global_store_b16 v[1:2], v4, off
	s_cbranch_vccz .LBB220_141
; %bb.139:
	v_add_co_u32 v1, vcc_lo, v14, v36
	v_min_f16_e32 v3, 0, v0
	v_add_co_ci_u32_e32 v2, vcc_lo, v15, v37, vcc_lo
	s_mov_b32 s0, 0
	global_store_b16 v[1:2], v3, off
	s_cbranch_execz .LBB220_142
; %bb.140:
	v_mov_b32_e32 v0, s0
	s_branch .LBB220_143
.LBB220_141:
	s_mov_b32 s0, -1
.LBB220_142:
	v_add_co_u32 v1, vcc_lo, v12, v36
	v_add_co_ci_u32_e32 v2, vcc_lo, v13, v37, vcc_lo
	flat_load_u16 v1, v[1:2]
	s_waitcnt vmcnt(0) lgkmcnt(0)
	v_mul_f16_e32 v3, s15, v1
	v_add_co_u32 v1, vcc_lo, v14, v36
	v_add_co_ci_u32_e32 v2, vcc_lo, v15, v37, vcc_lo
	s_delay_alu instid0(VALU_DEP_3)
	v_min_f16_e32 v0, v3, v0
	v_add_co_u32 v3, vcc_lo, v12, v34
	v_add_co_ci_u32_e32 v4, vcc_lo, v13, v35, vcc_lo
	global_store_b16 v[1:2], v0, off
	flat_load_u16 v0, v[3:4]
	s_waitcnt vmcnt(0) lgkmcnt(0)
	v_mul_f16_e32 v0, s15, v0
.LBB220_143:
	v_pk_add_f16 v1, v24, v49
	v_pk_max_f16 v2, v150, v150
	v_pk_add_f16 v3, v25, v50
	s_delay_alu instid0(VALU_DEP_2) | instskip(NEXT) | instid1(VALU_DEP_1)
	v_pk_min_f16 v1, v2, v1
	v_pk_min_f16 v1, v1, v3
	s_delay_alu instid0(VALU_DEP_1) | instskip(NEXT) | instid1(VALU_DEP_1)
	v_lshrrev_b32_e32 v2, 16, v1
	v_min3_f16 v2, v0, v1, v2
	v_add_co_u32 v0, vcc_lo, v14, v34
	v_add_co_ci_u32_e32 v1, vcc_lo, v15, v35, vcc_lo
	global_store_b16 v[0:1], v2, off
	s_nop 0
	s_sendmsg sendmsg(MSG_DEALLOC_VGPRS)
	s_endpgm
	.section	.rodata,"a",@progbits
	.p2align	6, 0x0
	.amdhsa_kernel _ZN12_GLOBAL__N_120geam_min_plus_kernelIDF16_Dv2_DF16_S1_Li8ELi32ELi64ELi256ELi4ELi64ELi4ELi64ELi4ELc78ELc84ELb1ELb0ELb1EDF16_KPKDF16_KPDF16_EEviiiT16_PT17_ilS9_ilS7_S9_ilPT18_ili26rocblas_geam_ex_operation_
		.amdhsa_group_segment_fixed_size 5120
		.amdhsa_private_segment_fixed_size 380
		.amdhsa_kernarg_size 128
		.amdhsa_user_sgpr_count 14
		.amdhsa_user_sgpr_dispatch_ptr 0
		.amdhsa_user_sgpr_queue_ptr 0
		.amdhsa_user_sgpr_kernarg_segment_ptr 1
		.amdhsa_user_sgpr_dispatch_id 0
		.amdhsa_user_sgpr_private_segment_size 0
		.amdhsa_wavefront_size32 1
		.amdhsa_uses_dynamic_stack 0
		.amdhsa_enable_private_segment 1
		.amdhsa_system_sgpr_workgroup_id_x 1
		.amdhsa_system_sgpr_workgroup_id_y 0
		.amdhsa_system_sgpr_workgroup_id_z 1
		.amdhsa_system_sgpr_workgroup_info 0
		.amdhsa_system_vgpr_workitem_id 1
		.amdhsa_next_free_vgpr 256
		.amdhsa_next_free_sgpr 22
		.amdhsa_reserve_vcc 1
		.amdhsa_float_round_mode_32 0
		.amdhsa_float_round_mode_16_64 0
		.amdhsa_float_denorm_mode_32 3
		.amdhsa_float_denorm_mode_16_64 3
		.amdhsa_dx10_clamp 1
		.amdhsa_ieee_mode 1
		.amdhsa_fp16_overflow 0
		.amdhsa_workgroup_processor_mode 1
		.amdhsa_memory_ordered 1
		.amdhsa_forward_progress 0
		.amdhsa_shared_vgpr_count 0
		.amdhsa_exception_fp_ieee_invalid_op 0
		.amdhsa_exception_fp_denorm_src 0
		.amdhsa_exception_fp_ieee_div_zero 0
		.amdhsa_exception_fp_ieee_overflow 0
		.amdhsa_exception_fp_ieee_underflow 0
		.amdhsa_exception_fp_ieee_inexact 0
		.amdhsa_exception_int_div_zero 0
	.end_amdhsa_kernel
	.section	.text._ZN12_GLOBAL__N_120geam_min_plus_kernelIDF16_Dv2_DF16_S1_Li8ELi32ELi64ELi256ELi4ELi64ELi4ELi64ELi4ELc78ELc84ELb1ELb0ELb1EDF16_KPKDF16_KPDF16_EEviiiT16_PT17_ilS9_ilS7_S9_ilPT18_ili26rocblas_geam_ex_operation_,"axG",@progbits,_ZN12_GLOBAL__N_120geam_min_plus_kernelIDF16_Dv2_DF16_S1_Li8ELi32ELi64ELi256ELi4ELi64ELi4ELi64ELi4ELc78ELc84ELb1ELb0ELb1EDF16_KPKDF16_KPDF16_EEviiiT16_PT17_ilS9_ilS7_S9_ilPT18_ili26rocblas_geam_ex_operation_,comdat
.Lfunc_end220:
	.size	_ZN12_GLOBAL__N_120geam_min_plus_kernelIDF16_Dv2_DF16_S1_Li8ELi32ELi64ELi256ELi4ELi64ELi4ELi64ELi4ELc78ELc84ELb1ELb0ELb1EDF16_KPKDF16_KPDF16_EEviiiT16_PT17_ilS9_ilS7_S9_ilPT18_ili26rocblas_geam_ex_operation_, .Lfunc_end220-_ZN12_GLOBAL__N_120geam_min_plus_kernelIDF16_Dv2_DF16_S1_Li8ELi32ELi64ELi256ELi4ELi64ELi4ELi64ELi4ELc78ELc84ELb1ELb0ELb1EDF16_KPKDF16_KPDF16_EEviiiT16_PT17_ilS9_ilS7_S9_ilPT18_ili26rocblas_geam_ex_operation_
                                        ; -- End function
	.section	.AMDGPU.csdata,"",@progbits
; Kernel info:
; codeLenInByte = 19408
; NumSgprs: 24
; NumVgprs: 256
; ScratchSize: 380
; MemoryBound: 0
; FloatMode: 240
; IeeeMode: 1
; LDSByteSize: 5120 bytes/workgroup (compile time only)
; SGPRBlocks: 2
; VGPRBlocks: 31
; NumSGPRsForWavesPerEU: 24
; NumVGPRsForWavesPerEU: 256
; Occupancy: 5
; WaveLimiterHint : 1
; COMPUTE_PGM_RSRC2:SCRATCH_EN: 1
; COMPUTE_PGM_RSRC2:USER_SGPR: 14
; COMPUTE_PGM_RSRC2:TRAP_HANDLER: 0
; COMPUTE_PGM_RSRC2:TGID_X_EN: 1
; COMPUTE_PGM_RSRC2:TGID_Y_EN: 0
; COMPUTE_PGM_RSRC2:TGID_Z_EN: 1
; COMPUTE_PGM_RSRC2:TIDIG_COMP_CNT: 1
	.section	.text._ZN12_GLOBAL__N_120geam_min_plus_kernelIDF16_Dv2_DF16_S1_Li8ELi32ELi64ELi256ELi4ELi64ELi4ELi64ELi4ELc78ELc84ELb0ELb0ELb1EDF16_KPKDF16_KPDF16_EEviiiT16_PT17_ilS9_ilS7_S9_ilPT18_ili26rocblas_geam_ex_operation_,"axG",@progbits,_ZN12_GLOBAL__N_120geam_min_plus_kernelIDF16_Dv2_DF16_S1_Li8ELi32ELi64ELi256ELi4ELi64ELi4ELi64ELi4ELc78ELc84ELb0ELb0ELb1EDF16_KPKDF16_KPDF16_EEviiiT16_PT17_ilS9_ilS7_S9_ilPT18_ili26rocblas_geam_ex_operation_,comdat
	.globl	_ZN12_GLOBAL__N_120geam_min_plus_kernelIDF16_Dv2_DF16_S1_Li8ELi32ELi64ELi256ELi4ELi64ELi4ELi64ELi4ELc78ELc84ELb0ELb0ELb1EDF16_KPKDF16_KPDF16_EEviiiT16_PT17_ilS9_ilS7_S9_ilPT18_ili26rocblas_geam_ex_operation_ ; -- Begin function _ZN12_GLOBAL__N_120geam_min_plus_kernelIDF16_Dv2_DF16_S1_Li8ELi32ELi64ELi256ELi4ELi64ELi4ELi64ELi4ELc78ELc84ELb0ELb0ELb1EDF16_KPKDF16_KPDF16_EEviiiT16_PT17_ilS9_ilS7_S9_ilPT18_ili26rocblas_geam_ex_operation_
	.p2align	8
	.type	_ZN12_GLOBAL__N_120geam_min_plus_kernelIDF16_Dv2_DF16_S1_Li8ELi32ELi64ELi256ELi4ELi64ELi4ELi64ELi4ELc78ELc84ELb0ELb0ELb1EDF16_KPKDF16_KPDF16_EEviiiT16_PT17_ilS9_ilS7_S9_ilPT18_ili26rocblas_geam_ex_operation_,@function
_ZN12_GLOBAL__N_120geam_min_plus_kernelIDF16_Dv2_DF16_S1_Li8ELi32ELi64ELi256ELi4ELi64ELi4ELi64ELi4ELc78ELc84ELb0ELb0ELb1EDF16_KPKDF16_KPDF16_EEviiiT16_PT17_ilS9_ilS7_S9_ilPT18_ili26rocblas_geam_ex_operation_: ; @_ZN12_GLOBAL__N_120geam_min_plus_kernelIDF16_Dv2_DF16_S1_Li8ELi32ELi64ELi256ELi4ELi64ELi4ELi64ELi4ELc78ELc84ELb0ELb0ELb1EDF16_KPKDF16_KPDF16_EEviiiT16_PT17_ilS9_ilS7_S9_ilPT18_ili26rocblas_geam_ex_operation_
; %bb.0:
	s_clause 0x1
	s_load_b64 s[12:13], s[0:1], 0x8
	s_load_b128 s[4:7], s[0:1], 0x20
	s_mov_b32 s22, s15
	s_mov_b32 s23, 0
	s_waitcnt lgkmcnt(0)
	v_cmp_eq_f16_e64 s2, s13, 0
	s_delay_alu instid0(VALU_DEP_1)
	s_and_b32 vcc_lo, exec_lo, s2
	s_cbranch_vccnz .LBB221_3
; %bb.1:
	s_load_b64 s[8:9], s[0:1], 0x10
	s_lshl_b64 s[10:11], s[22:23], 3
	s_waitcnt lgkmcnt(0)
	s_add_u32 s8, s8, s10
	s_addc_u32 s9, s9, s11
	s_lshl_b64 s[4:5], s[4:5], 1
	s_load_b64 s[8:9], s[8:9], 0x0
	s_waitcnt lgkmcnt(0)
	s_add_u32 s16, s8, s4
	s_addc_u32 s17, s9, s5
	v_cndmask_b32_e64 v1, 0, 1, s2
	s_and_not1_b32 vcc_lo, exec_lo, s2
	s_delay_alu instid0(VALU_DEP_1)
	v_cmp_ne_u32_e64 s4, 1, v1
	s_cbranch_vccnz .LBB221_4
.LBB221_2:
	s_mov_b64 s[18:19], 0
	s_and_not1_b32 vcc_lo, exec_lo, s23
	s_cbranch_vccz .LBB221_5
	s_branch .LBB221_6
.LBB221_3:
	s_mov_b64 s[16:17], 0
	v_cndmask_b32_e64 v1, 0, 1, s2
	s_and_not1_b32 vcc_lo, exec_lo, s2
	s_delay_alu instid0(VALU_DEP_1)
	v_cmp_ne_u32_e64 s4, 1, v1
	s_cbranch_vccz .LBB221_2
.LBB221_4:
	s_mov_b32 s23, -1
                                        ; implicit-def: $sgpr18_sgpr19
.LBB221_5:
	s_mov_b32 s23, 0
	s_load_b64 s[8:9], s[0:1], 0x38
	s_lshl_b64 s[2:3], s[22:23], 3
	s_delay_alu instid0(SALU_CYCLE_1) | instskip(SKIP_4) | instid1(SALU_CYCLE_1)
	s_add_u32 s2, s6, s2
	s_addc_u32 s3, s7, s3
	s_load_b64 s[2:3], s[2:3], 0x0
	s_waitcnt lgkmcnt(0)
	s_lshl_b64 s[6:7], s[8:9], 1
	s_add_u32 s18, s2, s6
	s_addc_u32 s19, s3, s7
.LBB221_6:
	s_clause 0x1
	s_load_b32 s5, s[0:1], 0x40
	s_load_b128 s[8:11], s[0:1], 0x58
	s_waitcnt lgkmcnt(0)
	v_cmp_eq_f16_e64 s2, s5, 0
	s_delay_alu instid0(VALU_DEP_1) | instskip(NEXT) | instid1(SALU_CYCLE_1)
	s_and_b32 s2, exec_lo, s2
	s_mov_b32 vcc_lo, s2
	s_cbranch_vccnz .LBB221_8
; %bb.7:
	s_load_b64 s[6:7], s[0:1], 0x48
	s_lshl_b64 s[20:21], s[22:23], 3
	s_waitcnt lgkmcnt(0)
	s_add_u32 s6, s6, s20
	s_addc_u32 s7, s7, s21
	s_lshl_b64 s[8:9], s[8:9], 1
	s_load_b64 s[6:7], s[6:7], 0x0
	s_waitcnt lgkmcnt(0)
	s_add_u32 s6, s6, s8
	s_addc_u32 s7, s7, s9
	s_branch .LBB221_9
.LBB221_8:
	s_mov_b64 s[6:7], 0
.LBB221_9:
	s_clause 0x1
	s_load_b32 s20, s[0:1], 0x18
	s_load_b32 s3, s[0:1], 0x0
	s_lshl_b64 s[8:9], s[22:23], 3
	v_and_b32_e32 v40, 0x3ff, v0
	v_bfe_u32 v41, v0, 10, 10
	s_delay_alu instid0(VALU_DEP_1) | instskip(NEXT) | instid1(VALU_DEP_1)
	v_lshl_add_u32 v0, v41, 3, v40
	v_and_b32_e32 v7, 63, v0
	v_lshrrev_b32_e32 v6, 6, v0
	s_waitcnt lgkmcnt(0)
	s_ashr_i32 s21, s20, 31
	s_add_u32 s8, s10, s8
	s_addc_u32 s9, s11, s9
	s_add_i32 s3, s3, -1
	s_delay_alu instid0(SALU_CYCLE_1) | instskip(NEXT) | instid1(SALU_CYCLE_1)
	s_ashr_i32 s10, s3, 31
	s_lshr_b32 s10, s10, 26
	s_delay_alu instid0(SALU_CYCLE_1) | instskip(NEXT) | instid1(SALU_CYCLE_1)
	s_add_i32 s3, s3, s10
	s_ashr_i32 s3, s3, 6
	s_delay_alu instid0(SALU_CYCLE_1) | instskip(SKIP_2) | instid1(VALU_DEP_1)
	s_add_i32 s10, s3, 1
	s_not_b32 s3, s3
	v_cvt_f32_u32_e32 v1, s10
	v_rcp_iflag_f32_e32 v1, v1
	s_waitcnt_depctr 0xfff
	v_mul_f32_e32 v1, 0x4f7ffffe, v1
	s_delay_alu instid0(VALU_DEP_1) | instskip(NEXT) | instid1(VALU_DEP_1)
	v_cvt_u32_f32_e32 v1, v1
	v_readfirstlane_b32 s11, v1
	s_delay_alu instid0(VALU_DEP_1) | instskip(NEXT) | instid1(SALU_CYCLE_1)
	s_mul_i32 s3, s3, s11
	s_mul_hi_u32 s3, s11, s3
	s_delay_alu instid0(SALU_CYCLE_1) | instskip(NEXT) | instid1(SALU_CYCLE_1)
	s_add_i32 s11, s11, s3
	s_mul_hi_u32 s3, s14, s11
	s_delay_alu instid0(SALU_CYCLE_1) | instskip(SKIP_2) | instid1(SALU_CYCLE_1)
	s_mul_i32 s11, s3, s10
	s_add_i32 s15, s3, 1
	s_sub_i32 s11, s14, s11
	s_sub_i32 s22, s11, s10
	s_cmp_ge_u32 s11, s10
	s_cselect_b32 s3, s15, s3
	s_cselect_b32 s11, s22, s11
	s_add_i32 s15, s3, 1
	s_cmp_ge_u32 s11, s10
	s_mov_b32 s11, -1
	s_cselect_b32 s3, s15, s3
	s_and_b32 vcc_lo, exec_lo, s4
	s_mul_i32 s10, s3, s10
	s_delay_alu instid0(SALU_CYCLE_1) | instskip(NEXT) | instid1(SALU_CYCLE_1)
	s_sub_i32 s15, s14, s10
	s_lshl_b32 s24, s15, 6
	s_cbranch_vccnz .LBB221_11
; %bb.10:
	v_mov_b32_e32 v1, 0
	s_mov_b32 s11, 0
	s_branch .LBB221_12
.LBB221_11:
                                        ; implicit-def: $vgpr0_vgpr1
.LBB221_12:
	v_or_b32_e32 v2, s24, v7
	v_cmp_neq_f16_e64 s26, s13, 0
	s_and_not1_b32 vcc_lo, exec_lo, s11
	s_delay_alu instid0(VALU_DEP_2)
	v_ashrrev_i32_e32 v3, 31, v2
	s_cbranch_vccnz .LBB221_14
; %bb.13:
	v_mad_i64_i32 v[0:1], null, s20, v6, 0
	s_delay_alu instid0(VALU_DEP_2) | instskip(NEXT) | instid1(VALU_DEP_2)
	v_lshlrev_b64 v[4:5], 1, v[2:3]
	v_lshlrev_b64 v[0:1], 1, v[0:1]
	s_delay_alu instid0(VALU_DEP_1) | instskip(NEXT) | instid1(VALU_DEP_2)
	v_add_co_u32 v0, vcc_lo, s16, v0
	v_add_co_ci_u32_e32 v1, vcc_lo, s17, v1, vcc_lo
	s_delay_alu instid0(VALU_DEP_2) | instskip(NEXT) | instid1(VALU_DEP_2)
	v_add_co_u32 v0, vcc_lo, v0, v4
	v_add_co_ci_u32_e32 v1, vcc_lo, v1, v5, vcc_lo
	flat_load_u16 v0, v[0:1]
	v_mov_b32_e32 v1, 0
	s_waitcnt vmcnt(0) lgkmcnt(0)
	v_mul_f16_e32 v8, s13, v0
	s_branch .LBB221_15
.LBB221_14:
	v_mov_b32_e32 v8, s11
.LBB221_15:
	s_load_b32 s22, s[0:1], 0x30
	s_lshl_b32 s25, s3, 8
	v_cndmask_b32_e64 v9, 0, 1, s26
	s_delay_alu instid0(VALU_DEP_1)
	v_cmp_ne_u32_e64 s3, 1, v9
	s_waitcnt lgkmcnt(0)
	s_ashr_i32 s23, s22, 31
	v_mul_lo_u32 v4, v1, s22
	v_mad_u64_u32 v[0:1], null, v6, s22, 0
	v_mul_lo_u32 v5, v6, s23
	s_delay_alu instid0(VALU_DEP_1) | instskip(NEXT) | instid1(VALU_DEP_1)
	v_add3_u32 v1, v1, v5, v4
	v_lshlrev_b64 v[4:5], 1, v[0:1]
	v_or_b32_e32 v0, s25, v7
	s_delay_alu instid0(VALU_DEP_1) | instskip(NEXT) | instid1(VALU_DEP_3)
	v_ashrrev_i32_e32 v1, 31, v0
	v_add_co_u32 v4, vcc_lo, s18, v4
	s_delay_alu instid0(VALU_DEP_4)
	v_add_co_ci_u32_e32 v5, vcc_lo, s19, v5, vcc_lo
	s_and_not1_b32 vcc_lo, exec_lo, s26
	s_cbranch_vccnz .LBB221_20
; %bb.16:
	v_lshlrev_b64 v[9:10], 1, v[0:1]
	s_delay_alu instid0(VALU_DEP_1) | instskip(NEXT) | instid1(VALU_DEP_2)
	v_add_co_u32 v9, vcc_lo, v4, v9
	v_add_co_ci_u32_e32 v10, vcc_lo, v5, v10, vcc_lo
	s_clause 0x1
	flat_load_u16 v11, v[9:10]
	flat_load_u16 v10, v[9:10] offset:128
	s_waitcnt vmcnt(1) lgkmcnt(1)
	v_mul_f16_e32 v9, s13, v11
	s_waitcnt vmcnt(0) lgkmcnt(0)
	v_mul_f16_e32 v10, s13, v10
	s_and_b32 vcc_lo, exec_lo, s3
	s_cbranch_vccnz .LBB221_21
.LBB221_17:
	v_lshlrev_b64 v[11:12], 1, v[0:1]
	s_delay_alu instid0(VALU_DEP_1) | instskip(NEXT) | instid1(VALU_DEP_2)
	v_add_co_u32 v4, vcc_lo, v4, v11
	v_add_co_ci_u32_e32 v5, vcc_lo, v5, v12, vcc_lo
	s_clause 0x1
	flat_load_u16 v11, v[4:5] offset:256
	flat_load_u16 v4, v[4:5] offset:384
	s_waitcnt vmcnt(1) lgkmcnt(1)
	v_mul_f16_e32 v11, s13, v11
	s_waitcnt vmcnt(0) lgkmcnt(0)
	v_mul_f16_e32 v12, s13, v4
	v_add_nc_u32_e32 v13, 4, v6
	s_and_b32 vcc_lo, exec_lo, s4
	s_cbranch_vccnz .LBB221_22
.LBB221_18:
	v_mov_b32_e32 v5, 0
	s_mov_b32 s4, 0
	s_cbranch_execz .LBB221_23
; %bb.19:
	v_mov_b32_e32 v2, s4
	s_branch .LBB221_24
.LBB221_20:
	v_dual_mov_b32 v9, 0 :: v_dual_mov_b32 v10, 0
	s_and_b32 vcc_lo, exec_lo, s3
	s_cbranch_vccz .LBB221_17
.LBB221_21:
	v_dual_mov_b32 v11, 0 :: v_dual_mov_b32 v12, 0
	v_add_nc_u32_e32 v13, 4, v6
	s_and_b32 vcc_lo, exec_lo, s4
	s_cbranch_vccz .LBB221_18
.LBB221_22:
	s_mov_b32 s4, -1
                                        ; implicit-def: $vgpr4_vgpr5
.LBB221_23:
	s_delay_alu instid0(VALU_DEP_1) | instskip(SKIP_1) | instid1(VALU_DEP_2)
	v_mad_i64_i32 v[4:5], null, s20, v13, 0
	v_lshlrev_b64 v[2:3], 1, v[2:3]
	v_lshlrev_b64 v[4:5], 1, v[4:5]
	s_delay_alu instid0(VALU_DEP_1) | instskip(NEXT) | instid1(VALU_DEP_2)
	v_add_co_u32 v4, vcc_lo, s16, v4
	v_add_co_ci_u32_e32 v5, vcc_lo, s17, v5, vcc_lo
	s_delay_alu instid0(VALU_DEP_2) | instskip(NEXT) | instid1(VALU_DEP_2)
	v_add_co_u32 v2, vcc_lo, v4, v2
	v_add_co_ci_u32_e32 v3, vcc_lo, v5, v3, vcc_lo
	v_mov_b32_e32 v5, 0
	flat_load_u16 v2, v[2:3]
	s_waitcnt vmcnt(0) lgkmcnt(0)
	v_mul_f16_e32 v2, s13, v2
.LBB221_24:
	v_mul_lo_u32 v5, v5, s22
	v_mul_lo_u32 v14, v13, s23
	v_mad_u64_u32 v[3:4], null, v13, s22, 0
	s_delay_alu instid0(VALU_DEP_1) | instskip(NEXT) | instid1(VALU_DEP_1)
	v_add3_u32 v4, v4, v14, v5
	v_lshlrev_b64 v[3:4], 1, v[3:4]
	s_delay_alu instid0(VALU_DEP_1) | instskip(NEXT) | instid1(VALU_DEP_2)
	v_add_co_u32 v5, vcc_lo, s18, v3
	v_add_co_ci_u32_e32 v13, vcc_lo, s19, v4, vcc_lo
	s_and_b32 vcc_lo, exec_lo, s3
	s_cbranch_vccnz .LBB221_27
; %bb.25:
	v_lshlrev_b64 v[3:4], 1, v[0:1]
	s_delay_alu instid0(VALU_DEP_1) | instskip(NEXT) | instid1(VALU_DEP_2)
	v_add_co_u32 v3, vcc_lo, v5, v3
	v_add_co_ci_u32_e32 v4, vcc_lo, v13, v4, vcc_lo
	s_clause 0x1
	flat_load_u16 v14, v[3:4]
	flat_load_u16 v4, v[3:4] offset:128
	s_waitcnt vmcnt(1) lgkmcnt(1)
	v_mul_f16_e32 v3, s13, v14
	s_waitcnt vmcnt(0) lgkmcnt(0)
	v_mul_f16_e32 v4, s13, v4
	s_and_b32 vcc_lo, exec_lo, s3
	s_cbranch_vccnz .LBB221_28
.LBB221_26:
	v_lshlrev_b64 v[0:1], 1, v[0:1]
	s_delay_alu instid0(VALU_DEP_1) | instskip(NEXT) | instid1(VALU_DEP_2)
	v_add_co_u32 v0, vcc_lo, v5, v0
	v_add_co_ci_u32_e32 v1, vcc_lo, v13, v1, vcc_lo
	s_clause 0x1
	flat_load_u16 v5, v[0:1] offset:256
	flat_load_u16 v1, v[0:1] offset:384
	s_waitcnt vmcnt(1) lgkmcnt(1)
	v_mul_f16_e32 v0, s13, v5
	s_waitcnt vmcnt(0) lgkmcnt(0)
	v_mul_f16_e32 v1, s13, v1
	s_branch .LBB221_29
.LBB221_27:
	v_dual_mov_b32 v3, 0 :: v_dual_mov_b32 v4, 0
	s_and_b32 vcc_lo, exec_lo, s3
	s_cbranch_vccz .LBB221_26
.LBB221_28:
	v_dual_mov_b32 v0, 0 :: v_dual_mov_b32 v1, 0
.LBB221_29:
	v_lshlrev_b32_e32 v5, 1, v6
	v_lshlrev_b32_e32 v42, 3, v40
	;; [unrolled: 1-line block ×3, first 2 shown]
	s_load_b64 s[8:9], s[8:9], 0x0
	s_cmp_lt_i32 s12, 9
	v_lshl_add_u32 v44, v7, 3, v5
	v_add_nc_u32_e32 v5, 0x1000, v42
	ds_store_b16 v44, v9
	ds_store_b16 v44, v10 offset:512
	ds_store_b16 v44, v11 offset:1024
	;; [unrolled: 1-line block ×4, first 2 shown]
	s_waitcnt lgkmcnt(0)
	s_barrier
	buffer_gl0_inv
	ds_load_2addr_b64 v[8:11], v5 offset1:8
	ds_load_2addr_b64 v[12:15], v43 offset1:32
	ds_load_2addr_b64 v[16:19], v5 offset0:16 offset1:24
	ds_load_2addr_b64 v[20:23], v5 offset0:32 offset1:40
	;; [unrolled: 1-line block ×5, first 2 shown]
	s_waitcnt lgkmcnt(5)
	v_pk_add_f16 v5, v8, v12
	v_pk_add_f16 v70, v9, v13
	s_waitcnt lgkmcnt(3)
	v_pk_add_f16 v39, v20, v12
	v_pk_add_f16 v45, v22, v12
	;; [unrolled: 1-line block ×3, first 2 shown]
	v_pk_min_f16 v5, 0x7c00, v5 op_sel_hi:[0,1]
	v_pk_add_f16 v49, v10, v14
	v_pk_add_f16 v50, v16, v14
	;; [unrolled: 1-line block ×4, first 2 shown]
	v_pk_min_f16 v39, 0x7c00, v39 op_sel_hi:[0,1]
	v_pk_min_f16 v118, v5, v70
	v_pk_min_f16 v5, 0x7c00, v45 op_sel_hi:[0,1]
	s_waitcnt lgkmcnt(2)
	v_pk_add_f16 v47, v26, v12
	v_pk_add_f16 v54, v24, v14
	;; [unrolled: 1-line block ×6, first 2 shown]
	v_pk_min_f16 v37, 0x7c00, v37 op_sel_hi:[0,1]
	v_pk_min_f16 v114, v39, v74
	v_pk_min_f16 v39, 0x7c00, v49 op_sel_hi:[0,1]
	v_pk_min_f16 v113, v5, v75
	v_pk_min_f16 v5, 0x7c00, v50 op_sel_hi:[0,1]
	v_pk_add_f16 v36, v10, v12
	v_pk_add_f16 v52, v20, v14
	s_waitcnt lgkmcnt(1)
	v_pk_add_f16 v56, v8, v28
	v_pk_add_f16 v57, v10, v28
	;; [unrolled: 1-line block ×11, first 2 shown]
	v_pk_min_f16 v116, v37, v72
	v_pk_min_f16 v37, 0x7c00, v47 op_sel_hi:[0,1]
	v_pk_min_f16 v103, v39, v79
	v_pk_min_f16 v39, 0x7c00, v54 op_sel_hi:[0,1]
	v_pk_min_f16 v102, v5, v80
	v_pk_min_f16 v5, 0x7c00, v55 op_sel_hi:[0,1]
	v_pk_add_f16 v46, v24, v12
	v_pk_add_f16 v64, v10, v30
	;; [unrolled: 1-line block ×13, first 2 shown]
	v_pk_min_f16 v36, 0x7c00, v36 op_sel_hi:[0,1]
	v_pk_min_f16 v105, v37, v77
	v_pk_min_f16 v37, 0x7c00, v52 op_sel_hi:[0,1]
	v_pk_min_f16 v98, v39, v84
	;; [unrolled: 2-line block ×3, first 2 shown]
	v_pk_min_f16 v5, 0x7c00, v60 op_sel_hi:[0,1]
	v_pk_min_f16 v28, 0x7c00, v28 op_sel_hi:[0,1]
	v_pk_add_f16 v38, v18, v12
	v_pk_add_f16 v48, v8, v14
	v_pk_add_f16 v51, v18, v14
	v_pk_add_f16 v53, v22, v14
	v_pk_add_f16 v63, v8, v30
	v_pk_add_f16 v66, v18, v30
	v_pk_add_f16 v67, v20, v30
	v_pk_add_f16 v68, v22, v30
	v_pk_add_f16 v69, v24, v30
	v_pk_add_f16 v30, v26, v30
	v_pk_add_f16 v73, v19, v13
	v_pk_add_f16 v76, v25, v13
	v_pk_add_f16 v78, v9, v15
	v_pk_add_f16 v81, v19, v15
	v_pk_add_f16 v83, v23, v15
	v_pk_add_f16 v109, v11, v31
	v_pk_add_f16 v110, v17, v31
	ds_load_2addr_b64 v[12:15], v43 offset0:192 offset1:224
	v_pk_min_f16 v117, v36, v71
	v_pk_min_f16 v36, 0x7c00, v46 op_sel_hi:[0,1]
	v_pk_min_f16 v100, v37, v82
	v_pk_min_f16 v37, 0x7c00, v57 op_sel_hi:[0,1]
	v_pk_min_f16 v93, v39, v89
	v_pk_min_f16 v92, v5, v90
	;; [unrolled: 1-line block ×3, first 2 shown]
	v_pk_min_f16 v5, 0x7c00, v64 op_sel_hi:[0,1]
	v_pk_min_f16 v28, 0x7c00, v65 op_sel_hi:[0,1]
	v_pk_add_f16 v107, v9, v31
	v_pk_add_f16 v111, v19, v31
	;; [unrolled: 1-line block ×6, first 2 shown]
	s_waitcnt lgkmcnt(1)
	v_pk_add_f16 v121, v8, v32
	v_pk_add_f16 v122, v10, v32
	;; [unrolled: 1-line block ×4, first 2 shown]
	v_pk_min_f16 v38, 0x7c00, v38 op_sel_hi:[0,1]
	v_pk_min_f16 v108, v36, v76
	v_pk_min_f16 v36, 0x7c00, v51 op_sel_hi:[0,1]
	v_pk_min_f16 v95, v37, v87
	;; [unrolled: 2-line block ×3, first 2 shown]
	v_pk_min_f16 v85, v28, v110
	v_pk_min_f16 v5, 0x7c00, v69 op_sel_hi:[0,1]
	v_pk_min_f16 v28, 0x7c00, v30 op_sel_hi:[0,1]
	v_pk_add_f16 v123, v16, v32
	v_pk_add_f16 v126, v22, v32
	;; [unrolled: 1-line block ×10, first 2 shown]
	v_pk_min_f16 v115, v38, v73
	v_pk_min_f16 v38, 0x7c00, v48 op_sel_hi:[0,1]
	v_pk_min_f16 v101, v36, v81
	v_pk_min_f16 v84, v29, v111
	v_pk_min_f16 v29, 0x7c00, v121 op_sel_hi:[0,1]
	v_pk_min_f16 v30, 0x7c00, v122 op_sel_hi:[0,1]
	v_pk_min_f16 v81, v5, v120
	v_pk_min_f16 v80, v28, v31
	v_pk_min_f16 v5, 0x7c00, v124 op_sel_hi:[0,1]
	v_pk_min_f16 v28, 0x7c00, v125 op_sel_hi:[0,1]
	v_pk_add_f16 v130, v16, v34
	v_pk_add_f16 v131, v18, v34
	;; [unrolled: 1-line block ×11, first 2 shown]
	v_pk_min_f16 v104, v38, v78
	v_pk_min_f16 v36, 0x7c00, v56 op_sel_hi:[0,1]
	v_pk_min_f16 v79, v29, v135
	v_pk_min_f16 v78, v30, v136
	v_pk_min_f16 v29, 0x7c00, v126 op_sel_hi:[0,1]
	v_pk_min_f16 v30, 0x7c00, v127 op_sel_hi:[0,1]
	v_pk_min_f16 v31, 0x7c00, v32 op_sel_hi:[0,1]
	v_pk_min_f16 v76, v5, v138
	v_pk_min_f16 v75, v28, v139
	v_pk_min_f16 v5, 0x7c00, v128 op_sel_hi:[0,1]
	v_pk_min_f16 v28, 0x7c00, v129 op_sel_hi:[0,1]
	v_pk_add_f16 v34, v26, v34
	v_pk_add_f16 v144, v17, v35
	;; [unrolled: 1-line block ×6, first 2 shown]
	v_pk_min_f16 v96, v36, v86
	v_pk_min_f16 v36, 0x7c00, v61 op_sel_hi:[0,1]
	v_pk_min_f16 v37, 0x7c00, v62 op_sel_hi:[0,1]
	v_pk_min_f16 v74, v29, v140
	v_pk_min_f16 v73, v30, v141
	;; [unrolled: 1-line block ×3, first 2 shown]
	v_pk_min_f16 v29, 0x7c00, v130 op_sel_hi:[0,1]
	v_pk_min_f16 v30, 0x7c00, v131 op_sel_hi:[0,1]
	;; [unrolled: 1-line block ×5, first 2 shown]
	v_pk_min_f16 v71, v5, v142
	s_waitcnt lgkmcnt(0)
	v_pk_add_f16 v5, v16, v12
	v_pk_min_f16 v70, v28, v143
	v_pk_add_f16 v28, v18, v12
	v_pk_add_f16 v35, v27, v35
	;; [unrolled: 1-line block ×6, first 2 shown]
	v_pk_min_f16 v91, v36, v91
	v_pk_min_f16 v90, v37, v106
	v_pk_min_f16 v36, 0x7c00, v67 op_sel_hi:[0,1]
	v_pk_min_f16 v37, 0x7c00, v68 op_sel_hi:[0,1]
	;; [unrolled: 1-line block ×3, first 2 shown]
	v_pk_min_f16 v69, v29, v144
	v_pk_add_f16 v29, v20, v12
	v_pk_min_f16 v5, 0x7c00, v5 op_sel_hi:[0,1]
	v_pk_min_f16 v28, 0x7c00, v28 op_sel_hi:[0,1]
	v_pk_min_f16 v68, v30, v145
	v_pk_add_f16 v30, v22, v12
	v_pk_min_f16 v67, v31, v146
	v_pk_add_f16 v31, v24, v12
	v_pk_min_f16 v66, v32, v147
	v_pk_add_f16 v12, v26, v12
	v_pk_min_f16 v65, v33, v148
	v_pk_add_f16 v32, v17, v13
	v_pk_add_f16 v33, v19, v13
	v_pk_add_f16 v151, v9, v13
	;; [unrolled: 1-line block ×5, first 2 shown]
	v_pk_min_f16 v38, 0x7c00, v53 op_sel_hi:[0,1]
	v_pk_min_f16 v30, 0x7c00, v30 op_sel_hi:[0,1]
	v_pk_add_f16 v16, v16, v14
	v_pk_min_f16 v12, 0x7c00, v12 op_sel_hi:[0,1]
	v_pk_min_f16 v8, 0x7c00, v8 op_sel_hi:[0,1]
	v_pk_min_f16 v10, 0x7c00, v10 op_sel_hi:[0,1]
	v_pk_min_f16 v64, v34, v35
	v_pk_add_f16 v34, v21, v13
	v_pk_min_f16 v61, v5, v32
	v_pk_add_f16 v5, v23, v13
	;; [unrolled: 2-line block ×3, first 2 shown]
	v_pk_add_f16 v13, v27, v13
	v_pk_min_f16 v99, v38, v83
	v_pk_min_f16 v38, 0x7c00, v58 op_sel_hi:[0,1]
	v_pk_min_f16 v83, v36, v112
	v_pk_min_f16 v36, 0x7c00, v123 op_sel_hi:[0,1]
	v_pk_min_f16 v16, 0x7c00, v16 op_sel_hi:[0,1]
	v_pk_min_f16 v58, v30, v5
	v_pk_add_f16 v5, v18, v14
	v_pk_add_f16 v18, v20, v14
	v_pk_min_f16 v56, v12, v13
	v_pk_add_f16 v12, v17, v15
	v_pk_min_f16 v55, v8, v9
	;; [unrolled: 2-line block ×3, first 2 shown]
	v_pk_add_f16 v9, v24, v14
	v_pk_add_f16 v10, v26, v14
	v_pk_min_f16 v94, v38, v88
	v_pk_min_f16 v38, 0x7c00, v63 op_sel_hi:[0,1]
	v_pk_min_f16 v82, v37, v119
	v_pk_min_f16 v77, v36, v137
	v_pk_min_f16 v36, 0x7c00, v149 op_sel_hi:[0,1]
	v_pk_min_f16 v37, 0x7c00, v150 op_sel_hi:[0,1]
	;; [unrolled: 1-line block ×4, first 2 shown]
	v_pk_min_f16 v53, v16, v12
	v_pk_min_f16 v5, 0x7c00, v5 op_sel_hi:[0,1]
	v_pk_min_f16 v11, 0x7c00, v18 op_sel_hi:[0,1]
	;; [unrolled: 1-line block ×5, first 2 shown]
	v_pk_add_f16 v12, v19, v15
	v_pk_add_f16 v13, v21, v15
	v_pk_add_f16 v14, v23, v15
	v_pk_add_f16 v16, v25, v15
	v_pk_add_f16 v15, v27, v15
	v_pk_min_f16 v88, v38, v107
	v_pk_min_f16 v63, v36, v151
	;; [unrolled: 1-line block ×10, first 2 shown]
	ds_store_b16 v44, v3 offset:2048
	ds_store_b16 v44, v4 offset:2560
	;; [unrolled: 1-line block ×5, first 2 shown]
	s_waitcnt lgkmcnt(0)
	s_barrier
	buffer_gl0_inv
	s_cbranch_scc1 .LBB221_47
; %bb.30:
	v_add_nc_u32_e32 v8, 12, v6
	v_lshl_or_b32 v2, s14, 6, v7
	s_lshl_b32 s4, s10, 6
	v_add_nc_u32_e32 v10, 8, v6
	v_or_b32_e32 v45, 0x1000, v44
	v_mad_i64_i32 v[0:1], null, v8, s20, 0
	v_subrev_nc_u32_e32 v2, s4, v2
	v_mad_i64_i32 v[4:5], null, v8, s22, 0
	v_mad_i64_i32 v[8:9], null, v10, s20, 0
	s_delay_alu instid0(VALU_DEP_3) | instskip(SKIP_3) | instid1(VALU_DEP_4)
	v_ashrrev_i32_e32 v3, 31, v2
	v_lshlrev_b64 v[32:33], 1, v[0:1]
	v_add_nc_u32_e32 v0, s25, v7
	v_mad_i64_i32 v[6:7], null, v10, s22, 0
	v_lshlrev_b64 v[2:3], 1, v[2:3]
	v_lshlrev_b64 v[34:35], 1, v[4:5]
	s_delay_alu instid0(VALU_DEP_4)
	v_ashrrev_i32_e32 v1, 31, v0
	v_lshlrev_b64 v[38:39], 1, v[8:9]
	v_add_nc_u32_e32 v46, 0x1000, v42
	v_add_nc_u32_e32 v47, 0x1200, v44
	v_add_co_u32 v109, vcc_lo, s16, v2
	v_lshlrev_b64 v[0:1], 1, v[0:1]
	v_add_co_ci_u32_e32 v110, vcc_lo, s17, v3, vcc_lo
	v_lshlrev_b64 v[36:37], 1, v[6:7]
	v_or_b32_e32 v86, 0x800, v44
	v_lshl_add_u32 v106, v40, 3, 0x1200
	v_add_co_u32 v111, vcc_lo, s18, v0
	v_lshl_add_u32 v107, v41, 3, 0x800
	v_add_co_ci_u32_e32 v112, vcc_lo, s19, v1, vcc_lo
	s_add_i32 s12, s12, -8
	s_lshl_b64 s[10:11], s[20:21], 4
	s_lshl_b64 s[14:15], s[22:23], 4
	s_mov_b32 s16, 0
	s_and_b32 s4, exec_lo, s26
	s_branch .LBB221_33
.LBB221_31:                             ;   in Loop: Header=BB221_33 Depth=1
	v_add_co_u32 v0, vcc_lo, v111, v34
	v_add_co_ci_u32_e32 v1, vcc_lo, v112, v35, vcc_lo
	s_clause 0x1
	flat_load_u16 v11, v[0:1] offset:256
	flat_load_u16 v1, v[0:1] offset:384
	s_waitcnt vmcnt(1) lgkmcnt(1)
	v_mul_f16_e32 v0, s13, v11
	s_waitcnt vmcnt(0) lgkmcnt(0)
	v_mul_f16_e32 v1, s13, v1
.LBB221_32:                             ;   in Loop: Header=BB221_33 Depth=1
	ds_load_2addr_b64 v[122:125], v46 offset1:8
	ds_load_2addr_b64 v[87:90], v43 offset1:32
	ds_load_2addr_b64 v[126:129], v46 offset0:16 offset1:24
	ds_load_2addr_b64 v[130:133], v46 offset0:32 offset1:40
	;; [unrolled: 1-line block ×6, first 2 shown]
	v_pk_max_f16 v11, v83, v83
	v_pk_max_f16 v17, v81, v81
	;; [unrolled: 1-line block ×13, first 2 shown]
	s_waitcnt lgkmcnt(6)
	v_pk_add_f16 v82, v122, v87
	v_pk_add_f16 v83, v124, v87
	s_waitcnt lgkmcnt(5)
	v_pk_add_f16 v84, v126, v87
	v_pk_add_f16 v85, v128, v87
	;; [unrolled: 3-line block ×4, first 2 shown]
	v_pk_min_f16 v11, v11, v82
	v_pk_min_f16 v17, v17, v83
	;; [unrolled: 1-line block ×5, first 2 shown]
	v_pk_add_f16 v82, v122, v89
	v_pk_add_f16 v83, v124, v89
	;; [unrolled: 1-line block ×5, first 2 shown]
	v_pk_min_f16 v70, v70, v82
	v_pk_min_f16 v77, v77, v83
	;; [unrolled: 1-line block ×5, first 2 shown]
	v_pk_add_f16 v82, v132, v89
	v_pk_add_f16 v83, v134, v89
	v_pk_max_f16 v73, v73, v73
	v_pk_add_f16 v84, v136, v89
	v_pk_max_f16 v71, v71, v71
	s_waitcnt lgkmcnt(2)
	v_pk_add_f16 v85, v122, v138
	v_pk_max_f16 v69, v69, v69
	v_pk_add_f16 v87, v124, v138
	v_pk_max_f16 v67, v67, v67
	v_pk_min_f16 v65, v65, v82
	v_pk_min_f16 v73, v73, v83
	v_pk_min_f16 v71, v71, v84
	v_pk_min_f16 v69, v69, v85
	v_pk_min_f16 v67, v67, v87
	v_pk_add_f16 v82, v126, v138
	v_pk_max_f16 v60, v60, v60
	v_pk_add_f16 v83, v128, v138
	v_pk_max_f16 v68, v68, v68
	v_pk_add_f16 v84, v130, v138
	v_pk_max_f16 v66, v66, v66
	v_pk_add_f16 v85, v132, v138
	v_pk_max_f16 v64, v64, v64
	v_pk_add_f16 v87, v134, v138
	v_pk_max_f16 v62, v62, v62
	v_pk_min_f16 v60, v60, v82
	v_pk_min_f16 v68, v68, v83
	v_pk_min_f16 v66, v66, v84
	v_pk_min_f16 v64, v64, v85
	v_pk_min_f16 v62, v62, v87
	v_pk_add_f16 v82, v136, v138
	v_pk_max_f16 v55, v55, v55
	v_pk_add_f16 v83, v122, v140
	v_pk_max_f16 v63, v63, v63
	v_pk_add_f16 v84, v124, v140
	v_pk_max_f16 v61, v61, v61
	;; [unrolled: 15-line block ×3, first 2 shown]
	v_pk_add_f16 v85, v136, v140
	v_pk_max_f16 v54, v54, v54
	s_waitcnt lgkmcnt(1)
	v_pk_add_f16 v87, v122, v142
	v_pk_max_f16 v52, v52, v52
	v_pk_min_f16 v50, v50, v82
	v_pk_min_f16 v58, v58, v83
	v_pk_min_f16 v56, v56, v84
	v_pk_min_f16 v54, v54, v85
	v_pk_min_f16 v52, v52, v87
	v_pk_add_f16 v82, v124, v142
	v_pk_max_f16 v29, v29, v29
	v_pk_add_f16 v83, v126, v142
	v_pk_max_f16 v53, v53, v53
	v_pk_add_f16 v84, v128, v142
	v_pk_max_f16 v51, v51, v51
	v_pk_add_f16 v85, v130, v142
	v_pk_max_f16 v49, v49, v49
	v_pk_add_f16 v87, v132, v142
	v_pk_max_f16 v31, v31, v31
	v_pk_min_f16 v29, v29, v82
	v_pk_min_f16 v53, v53, v83
	v_pk_min_f16 v51, v51, v84
	v_pk_min_f16 v49, v49, v85
	v_pk_min_f16 v31, v31, v87
	v_pk_add_f16 v82, v134, v142
	v_pk_max_f16 v24, v24, v24
	v_pk_add_f16 v83, v136, v142
	v_pk_max_f16 v48, v48, v48
	v_pk_add_f16 v84, v122, v144
	v_pk_max_f16 v30, v30, v30
	v_pk_add_f16 v85, v124, v144
	v_pk_max_f16 v28, v28, v28
	v_pk_add_f16 v87, v126, v144
	v_pk_max_f16 v26, v26, v26
	v_pk_min_f16 v24, v24, v82
	v_pk_min_f16 v48, v48, v83
	v_pk_min_f16 v30, v30, v84
	v_pk_min_f16 v28, v28, v85
	v_pk_min_f16 v26, v26, v87
	v_pk_add_f16 v82, v128, v144
	v_pk_max_f16 v18, v18, v18
	v_pk_add_f16 v83, v130, v144
	v_pk_max_f16 v27, v27, v27
	v_pk_add_f16 v84, v132, v144
	v_pk_max_f16 v25, v25, v25
	v_pk_add_f16 v85, v134, v144
	v_pk_max_f16 v23, v23, v23
	v_pk_add_f16 v87, v136, v144
	v_pk_max_f16 v21, v21, v21
	v_pk_min_f16 v18, v18, v82
	v_pk_min_f16 v27, v27, v83
	;; [unrolled: 1-line block ×5, first 2 shown]
	s_waitcnt lgkmcnt(0)
	v_pk_add_f16 v82, v122, v146
	v_pk_max_f16 v12, v12, v12
	v_pk_add_f16 v83, v124, v146
	v_pk_max_f16 v22, v22, v22
	;; [unrolled: 2-line block ×5, first 2 shown]
	v_pk_min_f16 v12, v12, v82
	v_pk_min_f16 v22, v22, v83
	;; [unrolled: 1-line block ×5, first 2 shown]
	v_pk_add_f16 v82, v132, v146
	v_pk_max_f16 v6, v6, v6
	v_pk_add_f16 v83, v134, v146
	v_pk_max_f16 v15, v15, v15
	v_pk_add_f16 v84, v136, v146
	v_pk_max_f16 v13, v13, v13
	v_pk_add_f16 v85, v122, v148
	v_pk_max_f16 v10, v10, v10
	v_pk_add_f16 v87, v124, v148
	v_pk_max_f16 v8, v8, v8
	v_pk_min_f16 v6, v6, v82
	v_pk_min_f16 v15, v15, v83
	;; [unrolled: 1-line block ×5, first 2 shown]
	v_pk_add_f16 v82, v126, v148
	v_pk_max_f16 v4, v4, v4
	v_pk_add_f16 v83, v128, v148
	v_pk_max_f16 v9, v9, v9
	;; [unrolled: 2-line block ×5, first 2 shown]
	v_pk_max_f16 v80, v80, v80
	v_pk_min_f16 v4, v4, v82
	v_pk_min_f16 v9, v9, v83
	;; [unrolled: 1-line block ×5, first 2 shown]
	v_pk_add_f16 v82, v136, v148
	v_pk_max_f16 v2, v2, v2
	v_pk_add_f16 v83, v123, v88
	v_pk_add_f16 v84, v125, v88
	;; [unrolled: 1-line block ×4, first 2 shown]
	v_pk_min_f16 v79, v79, v91
	v_pk_min_f16 v81, v81, v92
	;; [unrolled: 1-line block ×8, first 2 shown]
	v_pk_add_f16 v11, v131, v88
	v_pk_add_f16 v17, v133, v88
	v_pk_add_f16 v19, v135, v88
	v_pk_add_f16 v78, v137, v88
	v_pk_add_f16 v82, v123, v90
	v_pk_min_f16 v114, v79, v11
	v_pk_min_f16 v113, v81, v17
	v_pk_min_f16 v108, v80, v19
	v_pk_min_f16 v105, v76, v78
	v_pk_min_f16 v104, v70, v82
	v_pk_add_f16 v11, v125, v90
	v_pk_add_f16 v17, v127, v90
	v_pk_add_f16 v19, v129, v90
	v_pk_add_f16 v70, v131, v90
	v_pk_add_f16 v76, v133, v90
	v_pk_min_f16 v103, v77, v11
	v_pk_min_f16 v102, v75, v17
	v_pk_min_f16 v101, v74, v19
	v_pk_min_f16 v100, v72, v70
	v_pk_min_f16 v99, v65, v76
	;; [unrolled: 10-line block ×11, first 2 shown]
	v_pk_add_f16 v4, v129, v149
	v_pk_add_f16 v6, v131, v149
	;; [unrolled: 1-line block ×5, first 2 shown]
	v_add_co_u32 v109, vcc_lo, v109, s10
	v_add_co_ci_u32_e32 v110, vcc_lo, s11, v110, vcc_lo
	v_add_co_u32 v111, vcc_lo, v111, s14
	v_pk_min_f16 v52, v9, v4
	v_pk_min_f16 v51, v7, v6
	;; [unrolled: 1-line block ×5, first 2 shown]
	v_add_co_ci_u32_e32 v112, vcc_lo, s15, v112, vcc_lo
	s_add_i32 s16, s16, 8
	ds_store_b16 v47, v119
	ds_store_b16 v86, v120
	ds_store_b16 v86, v121 offset:512
	ds_store_b16 v86, v0 offset:1024
	;; [unrolled: 1-line block ×3, first 2 shown]
	s_cmp_ge_i32 s16, s12
	s_waitcnt lgkmcnt(0)
	s_barrier
	buffer_gl0_inv
	s_cbranch_scc1 .LBB221_47
.LBB221_33:                             ; =>This Inner Loop Header: Depth=1
	s_and_b32 vcc_lo, exec_lo, s3
	s_cbranch_vccnz .LBB221_37
; %bb.34:                               ;   in Loop: Header=BB221_33 Depth=1
	v_add_co_u32 v0, vcc_lo, v109, v38
	v_add_co_ci_u32_e32 v1, vcc_lo, v110, v39, vcc_lo
	flat_load_u16 v0, v[0:1]
	s_waitcnt vmcnt(0) lgkmcnt(0)
	v_mul_f16_e32 v119, s13, v0
	s_and_b32 vcc_lo, exec_lo, s3
	s_cbranch_vccnz .LBB221_38
.LBB221_35:                             ;   in Loop: Header=BB221_33 Depth=1
	v_add_co_u32 v0, vcc_lo, v111, v36
	v_add_co_ci_u32_e32 v1, vcc_lo, v112, v37, vcc_lo
	s_clause 0x1
	flat_load_u16 v2, v[0:1]
	flat_load_u16 v0, v[0:1] offset:128
	s_waitcnt vmcnt(1) lgkmcnt(1)
	v_mul_f16_e32 v120, s13, v2
	s_waitcnt vmcnt(0) lgkmcnt(0)
	v_mul_f16_e32 v121, s13, v0
	s_and_b32 vcc_lo, exec_lo, s3
	s_cbranch_vccnz .LBB221_39
.LBB221_36:                             ;   in Loop: Header=BB221_33 Depth=1
	v_add_co_u32 v0, vcc_lo, v111, v36
	v_add_co_ci_u32_e32 v1, vcc_lo, v112, v37, vcc_lo
	s_clause 0x1
	flat_load_u16 v2, v[0:1] offset:256
	flat_load_u16 v0, v[0:1] offset:384
	s_waitcnt vmcnt(1) lgkmcnt(1)
	v_mul_f16_e32 v122, s13, v2
	s_waitcnt vmcnt(0) lgkmcnt(0)
	v_mul_f16_e32 v123, s13, v0
	s_branch .LBB221_40
.LBB221_37:                             ;   in Loop: Header=BB221_33 Depth=1
	v_mov_b32_e32 v119, 0
	s_and_b32 vcc_lo, exec_lo, s3
	s_cbranch_vccz .LBB221_35
.LBB221_38:                             ;   in Loop: Header=BB221_33 Depth=1
	v_dual_mov_b32 v120, 0 :: v_dual_mov_b32 v121, 0
	s_and_b32 vcc_lo, exec_lo, s3
	s_cbranch_vccz .LBB221_36
.LBB221_39:                             ;   in Loop: Header=BB221_33 Depth=1
	v_dual_mov_b32 v122, 0 :: v_dual_mov_b32 v123, 0
.LBB221_40:                             ;   in Loop: Header=BB221_33 Depth=1
	ds_load_2addr_b64 v[12:15], v106 offset1:8
	ds_load_2addr_b64 v[8:11], v106 offset0:16 offset1:24
	ds_load_2addr_b64 v[4:7], v106 offset0:32 offset1:40
	;; [unrolled: 1-line block ×3, first 2 shown]
	ds_load_2addr_b64 v[28:31], v107 offset1:32
	ds_load_2addr_b64 v[24:27], v107 offset0:64 offset1:96
	ds_load_2addr_b64 v[20:23], v107 offset0:128 offset1:160
	;; [unrolled: 1-line block ×3, first 2 shown]
	s_mov_b32 vcc_lo, s4
	ds_store_b16 v45, v119
	ds_store_b16 v44, v120
	ds_store_b16 v44, v121 offset:512
	ds_store_b16 v44, v122 offset:1024
	;; [unrolled: 1-line block ×3, first 2 shown]
	s_waitcnt lgkmcnt(0)
	s_barrier
	buffer_gl0_inv
	s_cbranch_vccz .LBB221_43
; %bb.41:                               ;   in Loop: Header=BB221_33 Depth=1
	v_add_co_u32 v119, vcc_lo, v109, v32
	v_add_co_ci_u32_e32 v120, vcc_lo, v110, v33, vcc_lo
	flat_load_u16 v119, v[119:120]
	s_waitcnt vmcnt(0) lgkmcnt(0)
	v_mul_f16_e32 v119, s13, v119
	s_and_b32 vcc_lo, exec_lo, s3
	s_cbranch_vccnz .LBB221_44
.LBB221_42:                             ;   in Loop: Header=BB221_33 Depth=1
	v_add_co_u32 v120, vcc_lo, v111, v34
	v_add_co_ci_u32_e32 v121, vcc_lo, v112, v35, vcc_lo
	s_clause 0x1
	flat_load_u16 v122, v[120:121]
	flat_load_u16 v121, v[120:121] offset:128
	s_waitcnt vmcnt(1) lgkmcnt(1)
	v_mul_f16_e32 v120, s13, v122
	s_waitcnt vmcnt(0) lgkmcnt(0)
	v_mul_f16_e32 v121, s13, v121
	s_branch .LBB221_45
.LBB221_43:                             ;   in Loop: Header=BB221_33 Depth=1
	v_mov_b32_e32 v119, 0
	s_and_b32 vcc_lo, exec_lo, s3
	s_cbranch_vccz .LBB221_42
.LBB221_44:                             ;   in Loop: Header=BB221_33 Depth=1
	v_dual_mov_b32 v120, 0 :: v_dual_mov_b32 v121, 0
.LBB221_45:                             ;   in Loop: Header=BB221_33 Depth=1
	v_pk_add_f16 v122, v12, v28
	v_pk_max_f16 v118, v118, v118
	v_pk_add_f16 v123, v14, v28
	v_pk_max_f16 v117, v117, v117
	;; [unrolled: 2-line block ×3, first 2 shown]
	v_pk_min_f16 v118, v118, v122
	v_pk_add_f16 v122, v10, v28
	v_pk_min_f16 v117, v117, v123
	v_pk_max_f16 v115, v115, v115
	v_pk_min_f16 v116, v116, v124
	v_pk_add_f16 v123, v4, v28
	v_pk_max_f16 v114, v114, v114
	v_pk_add_f16 v124, v6, v28
	v_pk_add_f16 v125, v0, v28
	;; [unrolled: 1-line block ×3, first 2 shown]
	v_pk_max_f16 v105, v105, v105
	v_pk_max_f16 v113, v113, v113
	;; [unrolled: 1-line block ×3, first 2 shown]
	v_pk_min_f16 v115, v115, v122
	v_pk_min_f16 v114, v114, v123
	;; [unrolled: 1-line block ×3, first 2 shown]
	v_pk_add_f16 v105, v12, v30
	v_pk_max_f16 v104, v104, v104
	v_pk_add_f16 v122, v14, v30
	v_pk_max_f16 v103, v103, v103
	v_pk_add_f16 v123, v8, v30
	v_pk_max_f16 v102, v102, v102
	v_pk_min_f16 v113, v113, v124
	v_pk_min_f16 v108, v108, v125
	v_pk_add_f16 v124, v10, v30
	v_pk_max_f16 v101, v101, v101
	v_pk_add_f16 v125, v4, v30
	v_pk_min_f16 v104, v104, v105
	v_pk_min_f16 v103, v103, v122
	;; [unrolled: 1-line block ×3, first 2 shown]
	v_pk_add_f16 v105, v6, v30
	v_pk_max_f16 v99, v99, v99
	v_pk_add_f16 v122, v0, v30
	v_pk_add_f16 v30, v2, v30
	v_pk_max_f16 v97, v97, v97
	v_pk_add_f16 v123, v12, v24
	v_pk_max_f16 v96, v96, v96
	v_pk_min_f16 v101, v101, v124
	v_pk_max_f16 v98, v98, v98
	v_pk_add_f16 v124, v14, v24
	v_pk_max_f16 v95, v95, v95
	v_pk_min_f16 v99, v99, v105
	v_pk_min_f16 v30, v97, v30
	;; [unrolled: 1-line block ×3, first 2 shown]
	v_pk_add_f16 v97, v8, v24
	v_pk_max_f16 v94, v94, v94
	v_pk_add_f16 v105, v10, v24
	v_pk_max_f16 v93, v93, v93
	;; [unrolled: 2-line block ×3, first 2 shown]
	v_pk_min_f16 v98, v98, v122
	v_pk_min_f16 v95, v95, v124
	v_pk_add_f16 v122, v4, v24
	v_pk_max_f16 v92, v92, v92
	v_pk_add_f16 v124, v0, v24
	v_pk_min_f16 v94, v94, v97
	v_pk_min_f16 v93, v93, v105
	;; [unrolled: 1-line block ×3, first 2 shown]
	v_pk_add_f16 v24, v2, v24
	v_pk_max_f16 v89, v89, v89
	v_pk_add_f16 v97, v12, v26
	v_pk_max_f16 v88, v88, v88
	v_pk_add_f16 v105, v14, v26
	v_pk_max_f16 v87, v87, v87
	v_pk_add_f16 v123, v10, v26
	v_pk_max_f16 v84, v84, v84
	v_pk_min_f16 v92, v92, v122
	v_pk_add_f16 v122, v8, v26
	v_pk_min_f16 v24, v89, v24
	v_pk_min_f16 v88, v88, v97
	;; [unrolled: 1-line block ×4, first 2 shown]
	v_pk_add_f16 v84, v4, v26
	v_pk_add_f16 v97, v6, v26
	;; [unrolled: 1-line block ×3, first 2 shown]
	v_pk_max_f16 v81, v81, v81
	v_pk_add_f16 v26, v2, v26
	v_pk_max_f16 v80, v80, v80
	v_pk_max_f16 v100, v100, v100
	v_pk_max_f16 v85, v85, v85
	v_pk_max_f16 v83, v83, v83
	v_pk_max_f16 v82, v82, v82
	v_pk_min_f16 v105, v81, v105
	v_pk_min_f16 v26, v80, v26
	v_pk_add_f16 v80, v8, v20
	v_pk_max_f16 v77, v77, v77
	v_pk_add_f16 v81, v10, v20
	v_pk_max_f16 v76, v76, v76
	v_pk_min_f16 v100, v100, v125
	v_pk_min_f16 v85, v85, v122
	v_pk_add_f16 v122, v12, v20
	v_pk_max_f16 v79, v79, v79
	v_pk_min_f16 v123, v83, v84
	v_pk_min_f16 v97, v82, v97
	v_pk_add_f16 v82, v4, v20
	v_pk_max_f16 v75, v75, v75
	v_pk_add_f16 v83, v6, v20
	v_pk_max_f16 v74, v74, v74
	v_pk_min_f16 v125, v77, v80
	v_pk_min_f16 v126, v76, v81
	v_pk_add_f16 v76, v14, v22
	v_pk_max_f16 v70, v70, v70
	v_pk_add_f16 v77, v8, v22
	v_pk_max_f16 v69, v69, v69
	v_pk_min_f16 v122, v79, v122
	v_pk_add_f16 v79, v14, v20
	v_pk_min_f16 v127, v75, v82
	v_pk_min_f16 v128, v74, v83
	v_pk_add_f16 v74, v0, v20
	v_pk_add_f16 v20, v2, v20
	v_pk_max_f16 v72, v72, v72
	v_pk_add_f16 v75, v12, v22
	v_pk_max_f16 v71, v71, v71
	v_pk_min_f16 v131, v70, v76
	v_pk_min_f16 v132, v69, v77
	v_pk_add_f16 v69, v10, v22
	v_pk_max_f16 v68, v68, v68
	v_pk_add_f16 v70, v4, v22
	v_pk_max_f16 v67, v67, v67
	v_pk_min_f16 v20, v72, v20
	v_pk_min_f16 v130, v71, v75
	v_pk_add_f16 v71, v6, v22
	v_pk_max_f16 v66, v66, v66
	v_pk_add_f16 v72, v0, v22
	v_pk_max_f16 v65, v65, v65
	;; [unrolled: 2-line block ×3, first 2 shown]
	v_pk_min_f16 v133, v68, v69
	v_pk_min_f16 v134, v67, v70
	v_pk_add_f16 v67, v10, v16
	v_pk_max_f16 v60, v60, v60
	v_pk_add_f16 v68, v4, v16
	v_pk_max_f16 v59, v59, v59
	v_pk_min_f16 v135, v66, v71
	v_pk_min_f16 v136, v65, v72
	;; [unrolled: 1-line block ×3, first 2 shown]
	v_pk_add_f16 v64, v12, v16
	v_pk_add_f16 v65, v14, v16
	;; [unrolled: 1-line block ×3, first 2 shown]
	v_pk_min_f16 v140, v60, v67
	v_pk_min_f16 v141, v59, v68
	v_pk_add_f16 v59, v6, v16
	v_pk_add_f16 v60, v0, v16
	;; [unrolled: 1-line block ×3, first 2 shown]
	v_pk_max_f16 v56, v56, v56
	v_pk_add_f16 v12, v12, v18
	v_pk_max_f16 v55, v55, v55
	v_pk_add_f16 v14, v14, v18
	v_pk_max_f16 v54, v54, v54
	v_pk_min_f16 v144, v56, v16
	v_pk_add_f16 v8, v8, v18
	v_pk_min_f16 v145, v55, v12
	v_pk_max_f16 v12, v53, v53
	v_pk_add_f16 v4, v4, v18
	v_pk_max_f16 v16, v51, v51
	v_pk_min_f16 v146, v54, v14
	v_pk_add_f16 v10, v10, v18
	v_pk_max_f16 v14, v52, v52
	v_pk_add_f16 v6, v6, v18
	v_pk_max_f16 v50, v50, v50
	v_pk_min_f16 v147, v12, v8
	v_pk_min_f16 v149, v16, v4
	v_pk_add_f16 v2, v2, v18
	v_pk_max_f16 v4, v48, v48
	v_pk_add_f16 v8, v15, v29
	v_pk_max_f16 v90, v90, v90
	v_pk_max_f16 v78, v78, v78
	v_pk_min_f16 v148, v14, v10
	v_pk_min_f16 v150, v50, v6
	v_pk_add_f16 v6, v13, v29
	v_pk_add_f16 v10, v9, v29
	v_pk_min_f16 v2, v4, v2
	v_pk_min_f16 v81, v117, v8
	v_pk_add_f16 v4, v5, v29
	v_pk_add_f16 v8, v1, v29
	v_pk_min_f16 v90, v90, v124
	v_pk_min_f16 v124, v78, v79
	v_pk_max_f16 v73, v73, v73
	v_pk_add_f16 v12, v11, v29
	v_pk_min_f16 v83, v118, v6
	v_pk_min_f16 v79, v116, v10
	v_pk_add_f16 v6, v7, v29
	v_pk_add_f16 v10, v3, v29
	v_pk_min_f16 v84, v114, v4
	v_pk_min_f16 v80, v108, v8
	v_pk_add_f16 v4, v15, v31
	;; [unrolled: 4-line block ×3, first 2 shown]
	v_pk_min_f16 v82, v113, v6
	v_pk_min_f16 v76, v28, v10
	v_pk_add_f16 v6, v9, v31
	v_pk_add_f16 v10, v5, v31
	v_pk_min_f16 v77, v103, v4
	v_pk_min_f16 v74, v101, v8
	v_pk_add_f16 v4, v1, v31
	v_pk_add_f16 v8, v13, v25
	v_pk_max_f16 v63, v63, v63
	v_pk_max_f16 v62, v62, v62
	v_pk_min_f16 v70, v104, v12
	v_pk_add_f16 v12, v7, v31
	v_pk_min_f16 v75, v102, v6
	v_pk_min_f16 v72, v100, v10
	v_pk_add_f16 v6, v3, v31
	v_pk_add_f16 v10, v15, v25
	v_pk_min_f16 v73, v98, v4
	v_pk_min_f16 v69, v96, v8
	v_pk_add_f16 v4, v11, v25
	v_pk_add_f16 v8, v7, v25
	v_pk_max_f16 v61, v61, v61
	v_pk_min_f16 v137, v63, v64
	v_pk_min_f16 v138, v62, v65
	v_pk_max_f16 v58, v58, v58
	v_pk_max_f16 v57, v57, v57
	v_pk_min_f16 v65, v99, v12
	v_pk_add_f16 v12, v9, v25
	v_pk_min_f16 v71, v30, v6
	v_pk_min_f16 v67, v95, v10
	v_pk_add_f16 v6, v5, v25
	v_pk_add_f16 v10, v1, v25
	v_pk_min_f16 v68, v93, v4
	v_pk_min_f16 v64, v91, v8
	v_pk_add_f16 v4, v13, v27
	v_pk_add_f16 v8, v9, v27
	v_pk_min_f16 v139, v61, v66
	v_pk_min_f16 v142, v58, v59
	;; [unrolled: 1-line block ×4, first 2 shown]
	v_pk_add_f16 v12, v3, v25
	v_pk_min_f16 v66, v92, v6
	v_pk_min_f16 v62, v90, v10
	v_pk_add_f16 v6, v15, v27
	v_pk_add_f16 v10, v11, v27
	v_pk_min_f16 v63, v88, v4
	v_pk_min_f16 v59, v85, v8
	v_pk_add_f16 v4, v7, v27
	v_pk_add_f16 v8, v3, v27
	;; [unrolled: 1-line block ×3, first 2 shown]
	v_pk_max_f16 v49, v49, v49
	v_pk_min_f16 v55, v24, v12
	v_pk_add_f16 v12, v5, v27
	v_pk_min_f16 v61, v87, v6
	v_pk_min_f16 v57, v89, v10
	v_pk_add_f16 v6, v1, v27
	v_pk_add_f16 v10, v13, v21
	v_pk_min_f16 v58, v97, v4
	v_pk_min_f16 v54, v26, v8
	v_pk_add_f16 v4, v9, v21
	;; [unrolled: 4-line block ×3, first 2 shown]
	v_pk_min_f16 v56, v105, v6
	v_pk_min_f16 v52, v122, v10
	v_pk_add_f16 v6, v11, v21
	v_pk_add_f16 v10, v7, v21
	v_pk_min_f16 v53, v125, v4
	v_pk_min_f16 v49, v127, v8
	v_pk_add_f16 v4, v3, v21
	v_pk_add_f16 v8, v15, v23
	v_pk_min_f16 v29, v124, v12
	v_pk_add_f16 v12, v1, v21
	v_pk_min_f16 v51, v126, v6
	v_pk_min_f16 v31, v128, v10
	v_pk_add_f16 v6, v13, v23
	v_pk_add_f16 v10, v9, v23
	v_pk_min_f16 v48, v20, v4
	v_pk_min_f16 v28, v131, v8
	v_pk_add_f16 v4, v5, v23
	v_pk_add_f16 v8, v1, v23
	v_pk_min_f16 v24, v129, v12
	v_pk_add_f16 v12, v11, v23
	;; [unrolled: 10-line block ×3, first 2 shown]
	v_pk_min_f16 v25, v135, v6
	v_pk_min_f16 v21, v22, v10
	v_pk_add_f16 v6, v9, v17
	v_pk_add_f16 v10, v5, v17
	;; [unrolled: 1-line block ×3, first 2 shown]
	v_pk_min_f16 v22, v138, v4
	v_pk_min_f16 v16, v140, v8
	v_pk_add_f16 v4, v1, v17
	v_pk_add_f16 v8, v3, v17
	;; [unrolled: 1-line block ×4, first 2 shown]
	v_pk_min_f16 v14, v141, v10
	v_pk_add_f16 v10, v13, v19
	v_pk_min_f16 v15, v143, v4
	v_pk_min_f16 v13, v144, v8
	;; [unrolled: 1-line block ×4, first 2 shown]
	v_pk_add_f16 v9, v11, v19
	v_pk_add_f16 v5, v5, v19
	;; [unrolled: 1-line block ×5, first 2 shown]
	v_pk_min_f16 v12, v137, v12
	v_pk_min_f16 v20, v139, v6
	;; [unrolled: 1-line block ×9, first 2 shown]
	s_and_b32 vcc_lo, exec_lo, s3
	s_cbranch_vccz .LBB221_31
; %bb.46:                               ;   in Loop: Header=BB221_33 Depth=1
	v_dual_mov_b32 v0, 0 :: v_dual_mov_b32 v1, 0
	s_branch .LBB221_32
.LBB221_47:
	s_load_b32 s4, s[0:1], 0x50
	v_add_nc_u32_e32 v86, s25, v41
	ds_load_b64 v[28:29], v42 offset:4608
	ds_load_b64 v[46:47], v43 offset:2048
	v_add_nc_u32_e32 v44, s24, v40
	v_cmp_neq_f16_e64 s10, s5, 0
	v_mov_b32_e32 v34, 0
	v_mov_b32_e32 v32, 0
	s_delay_alu instid0(VALU_DEP_4) | instskip(NEXT) | instid1(VALU_DEP_4)
	v_ashrrev_i32_e32 v45, 31, v44
	s_and_b32 vcc_lo, exec_lo, s10
	s_delay_alu instid0(VALU_DEP_1) | instskip(SKIP_2) | instid1(VALU_DEP_1)
	v_lshlrev_b64 v[30:31], 1, v[44:45]
	s_waitcnt lgkmcnt(0)
	v_mad_i64_i32 v[0:1], null, v86, s4, 0
	v_lshlrev_b64 v[0:1], 1, v[0:1]
	s_delay_alu instid0(VALU_DEP_1) | instskip(NEXT) | instid1(VALU_DEP_1)
	v_add_co_u32 v106, s3, s6, v0
	v_add_co_ci_u32_e64 v107, s3, s7, v1, s3
	s_cbranch_vccz .LBB221_49
; %bb.48:
	s_delay_alu instid0(VALU_DEP_2) | instskip(NEXT) | instid1(VALU_DEP_2)
	v_add_co_u32 v0, vcc_lo, v106, v30
	v_add_co_ci_u32_e32 v1, vcc_lo, v107, v31, vcc_lo
	flat_load_u16 v0, v[0:1]
	s_waitcnt vmcnt(0) lgkmcnt(0)
	v_mul_f16_e32 v32, s5, v0
.LBB221_49:
	s_clause 0x1
	s_load_b32 s3, s[0:1], 0x68
	s_load_b64 s[12:13], s[0:1], 0x70
	v_add_nc_u32_e32 v0, 0x1000, v42
	v_pk_add_f16 v1, v28, v46
	v_pk_max_f16 v2, v118, v118
	v_add_nc_u32_e32 v12, 0x800, v43
	ds_load_b64 v[24:25], v42 offset:5056
	ds_load_b64 v[26:27], v43 offset:3840
	ds_load_2addr_b64 v[8:11], v0 offset0:72 offset1:80
	ds_load_2addr_b64 v[4:7], v0 offset0:88 offset1:96
	v_pk_min_f16 v36, v2, v1
	ds_load_2addr_b64 v[0:3], v0 offset0:104 offset1:112
	ds_load_2addr_b64 v[20:23], v12 offset0:32 offset1:64
	ds_load_2addr_b64 v[16:19], v12 offset0:96 offset1:128
	ds_load_2addr_b64 v[12:15], v12 offset0:160 offset1:192
	v_pk_add_f16 v33, v29, v47
	v_add_nc_u32_e32 v35, 8, v44
	v_cndmask_b32_e64 v39, 0, 1, s10
	s_delay_alu instid0(VALU_DEP_3) | instskip(NEXT) | instid1(VALU_DEP_3)
	v_pk_min_f16 v33, v36, v33
	v_ashrrev_i32_e32 v36, 31, v35
	s_delay_alu instid0(VALU_DEP_3)
	v_cmp_ne_u32_e64 s0, 1, v39
	s_waitcnt lgkmcnt(0)
	v_mad_i64_i32 v[37:38], null, v86, s3, 0
	s_lshl_b64 s[12:13], s[12:13], 1
	v_lshrrev_b32_e32 v39, 16, v33
	s_add_u32 s1, s8, s12
	s_addc_u32 s8, s9, s13
	s_delay_alu instid0(VALU_DEP_1) | instskip(NEXT) | instid1(VALU_DEP_3)
	v_min3_f16 v39, v32, v33, v39
	v_lshlrev_b64 v[37:38], 1, v[37:38]
	v_lshlrev_b64 v[32:33], 1, v[35:36]
	s_delay_alu instid0(VALU_DEP_2) | instskip(NEXT) | instid1(VALU_DEP_3)
	v_add_co_u32 v109, vcc_lo, s1, v37
	v_add_co_ci_u32_e32 v110, vcc_lo, s8, v38, vcc_lo
	s_delay_alu instid0(VALU_DEP_2) | instskip(NEXT) | instid1(VALU_DEP_2)
	v_add_co_u32 v37, vcc_lo, v109, v30
	v_add_co_ci_u32_e32 v38, vcc_lo, v110, v31, vcc_lo
	s_and_not1_b32 vcc_lo, exec_lo, s10
	global_store_b16 v[37:38], v39, off
	s_cbranch_vccnz .LBB221_51
; %bb.50:
	v_add_co_u32 v34, vcc_lo, v106, v32
	v_add_co_ci_u32_e32 v35, vcc_lo, v107, v33, vcc_lo
	flat_load_u16 v34, v[34:35]
	s_waitcnt vmcnt(0) lgkmcnt(0)
	v_mul_f16_e32 v34, s5, v34
.LBB221_51:
	v_pk_add_f16 v35, v8, v46
	v_pk_max_f16 v36, v117, v117
	v_pk_add_f16 v37, v9, v47
	v_add_co_u32 v38, vcc_lo, v109, v32
	v_add_co_ci_u32_e32 v39, vcc_lo, v110, v33, vcc_lo
	s_delay_alu instid0(VALU_DEP_4) | instskip(SKIP_2) | instid1(VALU_DEP_2)
	v_pk_min_f16 v36, v36, v35
	v_add_nc_u32_e32 v35, 16, v44
	s_and_b32 vcc_lo, exec_lo, s0
	v_pk_min_f16 v40, v36, v37
	s_delay_alu instid0(VALU_DEP_2) | instskip(SKIP_1) | instid1(VALU_DEP_3)
	v_ashrrev_i32_e32 v36, 31, v35
	v_mov_b32_e32 v37, 0
	v_lshrrev_b32_e32 v41, 16, v40
	s_delay_alu instid0(VALU_DEP_1) | instskip(NEXT) | instid1(VALU_DEP_4)
	v_min3_f16 v40, v34, v40, v41
	v_lshlrev_b64 v[34:35], 1, v[35:36]
	v_mov_b32_e32 v36, 0
	global_store_b16 v[38:39], v40, off
	s_cbranch_vccnz .LBB221_53
; %bb.52:
	v_add_co_u32 v38, vcc_lo, v106, v34
	v_add_co_ci_u32_e32 v39, vcc_lo, v107, v35, vcc_lo
	flat_load_u16 v36, v[38:39]
	s_waitcnt vmcnt(0) lgkmcnt(0)
	v_mul_f16_e32 v36, s5, v36
.LBB221_53:
	v_pk_add_f16 v38, v10, v46
	v_pk_max_f16 v39, v116, v116
	v_pk_add_f16 v40, v11, v47
	v_add_co_u32 v42, vcc_lo, v109, v34
	v_add_co_ci_u32_e32 v43, vcc_lo, v110, v35, vcc_lo
	s_delay_alu instid0(VALU_DEP_4) | instskip(SKIP_2) | instid1(VALU_DEP_2)
	v_pk_min_f16 v39, v39, v38
	v_add_nc_u32_e32 v38, 24, v44
	s_and_b32 vcc_lo, exec_lo, s0
	v_pk_min_f16 v40, v39, v40
	s_delay_alu instid0(VALU_DEP_2) | instskip(NEXT) | instid1(VALU_DEP_2)
	v_ashrrev_i32_e32 v39, 31, v38
	v_lshrrev_b32_e32 v41, 16, v40
	s_delay_alu instid0(VALU_DEP_1) | instskip(NEXT) | instid1(VALU_DEP_3)
	v_min3_f16 v36, v36, v40, v41
	v_lshlrev_b64 v[40:41], 1, v[38:39]
	global_store_b16 v[42:43], v36, off
	s_cbranch_vccnz .LBB221_55
; %bb.54:
	v_add_co_u32 v36, vcc_lo, v106, v40
	v_add_co_ci_u32_e32 v37, vcc_lo, v107, v41, vcc_lo
	flat_load_u16 v36, v[36:37]
	s_waitcnt vmcnt(0) lgkmcnt(0)
	v_mul_f16_e32 v37, s5, v36
.LBB221_55:
	v_pk_add_f16 v36, v4, v46
	v_pk_max_f16 v38, v115, v115
	v_pk_add_f16 v39, v5, v47
	v_add_co_u32 v111, vcc_lo, v109, v40
	v_add_co_ci_u32_e32 v112, vcc_lo, v110, v41, vcc_lo
	s_delay_alu instid0(VALU_DEP_4) | instskip(SKIP_2) | instid1(VALU_DEP_2)
	v_pk_min_f16 v36, v38, v36
	v_add_nc_u32_e32 v38, 32, v44
	s_and_b32 vcc_lo, exec_lo, s0
	v_pk_min_f16 v42, v36, v39
	v_mov_b32_e32 v36, 0
	s_delay_alu instid0(VALU_DEP_2) | instskip(NEXT) | instid1(VALU_DEP_1)
	v_lshrrev_b32_e32 v43, 16, v42
	v_min3_f16 v45, v37, v42, v43
	v_mov_b32_e32 v37, 0
	v_ashrrev_i32_e32 v39, 31, v38
	global_store_b16 v[111:112], v45, off
	v_lshlrev_b64 v[42:43], 1, v[38:39]
	s_cbranch_vccnz .LBB221_57
; %bb.56:
	s_delay_alu instid0(VALU_DEP_1) | instskip(NEXT) | instid1(VALU_DEP_2)
	v_add_co_u32 v37, vcc_lo, v106, v42
	v_add_co_ci_u32_e32 v38, vcc_lo, v107, v43, vcc_lo
	flat_load_u16 v37, v[37:38]
	s_waitcnt vmcnt(0) lgkmcnt(0)
	v_mul_f16_e32 v37, s5, v37
.LBB221_57:
	v_pk_add_f16 v38, v6, v46
	v_pk_max_f16 v39, v114, v114
	v_pk_add_f16 v45, v7, v47
	s_delay_alu instid0(VALU_DEP_4) | instskip(SKIP_1) | instid1(VALU_DEP_4)
	v_add_co_u32 v111, vcc_lo, v109, v42
	v_add_co_ci_u32_e32 v112, vcc_lo, v110, v43, vcc_lo
	v_pk_min_f16 v39, v39, v38
	v_add_nc_u32_e32 v38, 40, v44
	s_and_b32 vcc_lo, exec_lo, s0
	s_delay_alu instid0(VALU_DEP_2) | instskip(NEXT) | instid1(VALU_DEP_2)
	v_pk_min_f16 v45, v39, v45
	v_ashrrev_i32_e32 v39, 31, v38
	s_delay_alu instid0(VALU_DEP_2) | instskip(NEXT) | instid1(VALU_DEP_2)
	v_lshrrev_b32_e32 v114, 16, v45
	v_lshlrev_b64 v[38:39], 1, v[38:39]
	s_delay_alu instid0(VALU_DEP_2)
	v_min3_f16 v37, v37, v45, v114
	global_store_b16 v[111:112], v37, off
	s_cbranch_vccnz .LBB221_59
; %bb.58:
	v_add_co_u32 v36, vcc_lo, v106, v38
	v_add_co_ci_u32_e32 v37, vcc_lo, v107, v39, vcc_lo
	flat_load_u16 v36, v[36:37]
	s_waitcnt vmcnt(0) lgkmcnt(0)
	v_mul_f16_e32 v36, s5, v36
.LBB221_59:
	v_pk_add_f16 v37, v0, v46
	v_pk_max_f16 v45, v113, v113
	v_pk_add_f16 v111, v1, v47
	v_add_nc_u32_e32 v112, 48, v44
	v_add_co_u32 v114, vcc_lo, v109, v38
	s_delay_alu instid0(VALU_DEP_4) | instskip(SKIP_2) | instid1(VALU_DEP_2)
	v_pk_min_f16 v37, v45, v37
	v_add_co_ci_u32_e32 v115, vcc_lo, v110, v39, vcc_lo
	s_and_b32 vcc_lo, exec_lo, s0
	v_pk_min_f16 v37, v37, v111
	v_mov_b32_e32 v111, 0
	v_ashrrev_i32_e32 v113, 31, v112
	s_delay_alu instid0(VALU_DEP_3) | instskip(NEXT) | instid1(VALU_DEP_1)
	v_lshrrev_b32_e32 v45, 16, v37
	v_min3_f16 v116, v36, v37, v45
	s_delay_alu instid0(VALU_DEP_3)
	v_lshlrev_b64 v[36:37], 1, v[112:113]
	v_mov_b32_e32 v45, 0
	global_store_b16 v[114:115], v116, off
	s_cbranch_vccnz .LBB221_61
; %bb.60:
	v_add_co_u32 v112, vcc_lo, v106, v36
	v_add_co_ci_u32_e32 v113, vcc_lo, v107, v37, vcc_lo
	flat_load_u16 v45, v[112:113]
	s_waitcnt vmcnt(0) lgkmcnt(0)
	v_mul_f16_e32 v45, s5, v45
.LBB221_61:
	v_pk_add_f16 v112, v2, v46
	v_pk_max_f16 v108, v108, v108
	v_pk_add_f16 v113, v3, v47
	v_add_co_u32 v114, vcc_lo, v109, v36
	v_add_co_ci_u32_e32 v115, vcc_lo, v110, v37, vcc_lo
	s_delay_alu instid0(VALU_DEP_4) | instskip(SKIP_2) | instid1(VALU_DEP_2)
	v_pk_min_f16 v108, v108, v112
	v_add_nc_u32_e32 v112, 56, v44
	s_and_b32 vcc_lo, exec_lo, s0
	v_pk_min_f16 v44, v108, v113
	s_delay_alu instid0(VALU_DEP_2) | instskip(NEXT) | instid1(VALU_DEP_2)
	v_ashrrev_i32_e32 v113, 31, v112
	v_lshrrev_b32_e32 v108, 16, v44
	s_delay_alu instid0(VALU_DEP_1) | instskip(NEXT) | instid1(VALU_DEP_3)
	v_min3_f16 v108, v45, v44, v108
	v_lshlrev_b64 v[44:45], 1, v[112:113]
	global_store_b16 v[114:115], v108, off
	s_cbranch_vccnz .LBB221_63
; %bb.62:
	v_add_co_u32 v106, vcc_lo, v106, v44
	v_add_co_ci_u32_e32 v107, vcc_lo, v107, v45, vcc_lo
	flat_load_u16 v106, v[106:107]
	s_waitcnt vmcnt(0) lgkmcnt(0)
	v_mul_f16_e32 v111, s5, v106
.LBB221_63:
	v_add_nc_u32_e32 v107, 32, v86
	v_pk_add_f16 v46, v24, v46
	v_pk_max_f16 v108, v105, v105
	v_pk_add_f16 v47, v25, v47
	v_add_co_u32 v109, vcc_lo, v109, v44
	v_mad_i64_i32 v[105:106], null, v107, s4, 0
	s_delay_alu instid0(VALU_DEP_4) | instskip(SKIP_1) | instid1(VALU_DEP_2)
	v_pk_min_f16 v46, v108, v46
	v_add_co_ci_u32_e32 v110, vcc_lo, v110, v45, vcc_lo
	v_pk_min_f16 v108, v46, v47
	s_delay_alu instid0(VALU_DEP_4) | instskip(SKIP_1) | instid1(VALU_DEP_3)
	v_lshlrev_b64 v[46:47], 1, v[105:106]
	v_mov_b32_e32 v106, 0
	v_lshrrev_b32_e32 v105, 16, v108
	s_delay_alu instid0(VALU_DEP_3) | instskip(NEXT) | instid1(VALU_DEP_4)
	v_add_co_u32 v46, vcc_lo, s6, v46
	v_add_co_ci_u32_e32 v47, vcc_lo, s7, v47, vcc_lo
	s_delay_alu instid0(VALU_DEP_3)
	v_min3_f16 v105, v111, v108, v105
	v_mov_b32_e32 v108, 0
	s_and_b32 vcc_lo, exec_lo, s0
	global_store_b16 v[109:110], v105, off
	s_cbranch_vccnz .LBB221_65
; %bb.64:
	v_add_co_u32 v108, vcc_lo, v46, v30
	v_add_co_ci_u32_e32 v109, vcc_lo, v47, v31, vcc_lo
	flat_load_u16 v105, v[108:109]
	s_waitcnt vmcnt(0) lgkmcnt(0)
	v_mul_f16_e32 v108, s5, v105
.LBB221_65:
	v_pk_add_f16 v109, v28, v20
	v_pk_max_f16 v110, v104, v104
	v_mad_i64_i32 v[104:105], null, v107, s3, 0
	v_pk_add_f16 v107, v29, v21
	s_delay_alu instid0(VALU_DEP_3) | instskip(NEXT) | instid1(VALU_DEP_3)
	v_pk_min_f16 v109, v110, v109
	v_lshlrev_b64 v[104:105], 1, v[104:105]
	s_delay_alu instid0(VALU_DEP_2) | instskip(NEXT) | instid1(VALU_DEP_2)
	v_pk_min_f16 v107, v109, v107
	v_add_co_u32 v104, vcc_lo, s1, v104
	s_delay_alu instid0(VALU_DEP_2) | instskip(NEXT) | instid1(VALU_DEP_4)
	v_lshrrev_b32_e32 v109, 16, v107
	v_add_co_ci_u32_e32 v105, vcc_lo, s8, v105, vcc_lo
	s_delay_alu instid0(VALU_DEP_2) | instskip(NEXT) | instid1(VALU_DEP_4)
	v_min3_f16 v109, v108, v107, v109
	v_add_co_u32 v107, vcc_lo, v104, v30
	s_delay_alu instid0(VALU_DEP_3)
	v_add_co_ci_u32_e32 v108, vcc_lo, v105, v31, vcc_lo
	s_and_b32 vcc_lo, exec_lo, s0
	global_store_b16 v[107:108], v109, off
	s_cbranch_vccnz .LBB221_67
; %bb.66:
	v_add_co_u32 v106, vcc_lo, v46, v32
	v_add_co_ci_u32_e32 v107, vcc_lo, v47, v33, vcc_lo
	flat_load_u16 v106, v[106:107]
	s_waitcnt vmcnt(0) lgkmcnt(0)
	v_mul_f16_e32 v106, s5, v106
.LBB221_67:
	v_pk_add_f16 v107, v8, v20
	v_pk_max_f16 v103, v103, v103
	v_pk_add_f16 v108, v9, v21
	s_delay_alu instid0(VALU_DEP_2) | instskip(SKIP_1) | instid1(VALU_DEP_2)
	v_pk_min_f16 v103, v103, v107
	v_add_co_u32 v107, vcc_lo, v104, v32
	v_pk_min_f16 v103, v103, v108
	v_add_co_ci_u32_e32 v108, vcc_lo, v105, v33, vcc_lo
	s_and_b32 vcc_lo, exec_lo, s0
	s_delay_alu instid0(VALU_DEP_2) | instskip(NEXT) | instid1(VALU_DEP_1)
	v_lshrrev_b32_e32 v109, 16, v103
	v_min3_f16 v109, v106, v103, v109
	v_dual_mov_b32 v103, 0 :: v_dual_mov_b32 v106, 0
	global_store_b16 v[107:108], v109, off
	s_cbranch_vccnz .LBB221_69
; %bb.68:
	v_add_co_u32 v106, vcc_lo, v46, v34
	v_add_co_ci_u32_e32 v107, vcc_lo, v47, v35, vcc_lo
	flat_load_u16 v106, v[106:107]
	s_waitcnt vmcnt(0) lgkmcnt(0)
	v_mul_f16_e32 v106, s5, v106
.LBB221_69:
	v_pk_add_f16 v107, v10, v20
	v_pk_max_f16 v102, v102, v102
	v_pk_add_f16 v108, v11, v21
	s_delay_alu instid0(VALU_DEP_2) | instskip(NEXT) | instid1(VALU_DEP_1)
	v_pk_min_f16 v102, v102, v107
	v_pk_min_f16 v102, v102, v108
	s_delay_alu instid0(VALU_DEP_1) | instskip(NEXT) | instid1(VALU_DEP_1)
	v_lshrrev_b32_e32 v107, 16, v102
	v_min3_f16 v102, v106, v102, v107
	v_add_co_u32 v106, vcc_lo, v104, v34
	v_add_co_ci_u32_e32 v107, vcc_lo, v105, v35, vcc_lo
	s_and_b32 vcc_lo, exec_lo, s0
	global_store_b16 v[106:107], v102, off
	s_cbranch_vccnz .LBB221_71
; %bb.70:
	v_add_co_u32 v102, vcc_lo, v46, v40
	v_add_co_ci_u32_e32 v103, vcc_lo, v47, v41, vcc_lo
	flat_load_u16 v102, v[102:103]
	s_waitcnt vmcnt(0) lgkmcnt(0)
	v_mul_f16_e32 v103, s5, v102
.LBB221_71:
	v_pk_add_f16 v102, v4, v20
	v_pk_max_f16 v101, v101, v101
	v_pk_add_f16 v106, v5, v21
	s_delay_alu instid0(VALU_DEP_2) | instskip(NEXT) | instid1(VALU_DEP_1)
	v_pk_min_f16 v101, v101, v102
	v_pk_min_f16 v101, v101, v106
	v_add_co_u32 v106, vcc_lo, v104, v40
	v_add_co_ci_u32_e32 v107, vcc_lo, v105, v41, vcc_lo
	s_delay_alu instid0(VALU_DEP_3) | instskip(SKIP_1) | instid1(VALU_DEP_1)
	v_lshrrev_b32_e32 v102, 16, v101
	s_and_b32 vcc_lo, exec_lo, s0
	v_min3_f16 v103, v103, v101, v102
	v_dual_mov_b32 v101, 0 :: v_dual_mov_b32 v102, 0
	global_store_b16 v[106:107], v103, off
	s_cbranch_vccnz .LBB221_73
; %bb.72:
	v_add_co_u32 v102, vcc_lo, v46, v42
	v_add_co_ci_u32_e32 v103, vcc_lo, v47, v43, vcc_lo
	flat_load_u16 v102, v[102:103]
	s_waitcnt vmcnt(0) lgkmcnt(0)
	v_mul_f16_e32 v102, s5, v102
.LBB221_73:
	v_pk_add_f16 v103, v6, v20
	v_pk_max_f16 v100, v100, v100
	v_pk_add_f16 v106, v7, v21
	s_delay_alu instid0(VALU_DEP_2) | instskip(NEXT) | instid1(VALU_DEP_1)
	v_pk_min_f16 v100, v100, v103
	v_pk_min_f16 v100, v100, v106
	s_delay_alu instid0(VALU_DEP_1) | instskip(NEXT) | instid1(VALU_DEP_1)
	v_lshrrev_b32_e32 v103, 16, v100
	v_min3_f16 v100, v102, v100, v103
	v_add_co_u32 v102, vcc_lo, v104, v42
	v_add_co_ci_u32_e32 v103, vcc_lo, v105, v43, vcc_lo
	s_and_b32 vcc_lo, exec_lo, s0
	global_store_b16 v[102:103], v100, off
	s_cbranch_vccnz .LBB221_75
; %bb.74:
	v_add_co_u32 v100, vcc_lo, v46, v38
	v_add_co_ci_u32_e32 v101, vcc_lo, v47, v39, vcc_lo
	flat_load_u16 v100, v[100:101]
	s_waitcnt vmcnt(0) lgkmcnt(0)
	v_mul_f16_e32 v101, s5, v100
.LBB221_75:
	v_pk_add_f16 v100, v0, v20
	v_pk_max_f16 v99, v99, v99
	v_pk_add_f16 v102, v1, v21
	s_delay_alu instid0(VALU_DEP_2) | instskip(NEXT) | instid1(VALU_DEP_1)
	v_pk_min_f16 v99, v99, v100
	v_pk_min_f16 v99, v99, v102
	v_add_co_u32 v102, vcc_lo, v104, v38
	v_add_co_ci_u32_e32 v103, vcc_lo, v105, v39, vcc_lo
	s_delay_alu instid0(VALU_DEP_3) | instskip(SKIP_1) | instid1(VALU_DEP_1)
	v_lshrrev_b32_e32 v100, 16, v99
	s_and_b32 vcc_lo, exec_lo, s0
	v_min3_f16 v101, v101, v99, v100
	v_dual_mov_b32 v99, 0 :: v_dual_mov_b32 v100, 0
	global_store_b16 v[102:103], v101, off
	s_cbranch_vccnz .LBB221_77
; %bb.76:
	v_add_co_u32 v100, vcc_lo, v46, v36
	v_add_co_ci_u32_e32 v101, vcc_lo, v47, v37, vcc_lo
	flat_load_u16 v100, v[100:101]
	s_waitcnt vmcnt(0) lgkmcnt(0)
	v_mul_f16_e32 v100, s5, v100
.LBB221_77:
	v_pk_add_f16 v101, v2, v20
	v_pk_max_f16 v98, v98, v98
	v_pk_add_f16 v102, v3, v21
	s_delay_alu instid0(VALU_DEP_2) | instskip(NEXT) | instid1(VALU_DEP_1)
	v_pk_min_f16 v98, v98, v101
	v_pk_min_f16 v98, v98, v102
	s_delay_alu instid0(VALU_DEP_1) | instskip(NEXT) | instid1(VALU_DEP_1)
	v_lshrrev_b32_e32 v101, 16, v98
	v_min3_f16 v98, v100, v98, v101
	v_add_co_u32 v100, vcc_lo, v104, v36
	v_add_co_ci_u32_e32 v101, vcc_lo, v105, v37, vcc_lo
	s_and_b32 vcc_lo, exec_lo, s0
	global_store_b16 v[100:101], v98, off
	s_cbranch_vccnz .LBB221_79
; %bb.78:
	v_add_co_u32 v46, vcc_lo, v46, v44
	v_add_co_ci_u32_e32 v47, vcc_lo, v47, v45, vcc_lo
	flat_load_u16 v46, v[46:47]
	s_waitcnt vmcnt(0) lgkmcnt(0)
	v_mul_f16_e32 v99, s5, v46
.LBB221_79:
	v_add_nc_u32_e32 v46, 64, v86
	v_pk_add_f16 v20, v24, v20
	v_pk_max_f16 v47, v97, v97
	v_pk_add_f16 v21, v25, v21
	v_add_co_u32 v100, vcc_lo, v104, v44
	v_mad_i64_i32 v[97:98], null, v46, s4, 0
	s_delay_alu instid0(VALU_DEP_4) | instskip(SKIP_1) | instid1(VALU_DEP_2)
	v_pk_min_f16 v20, v47, v20
	v_add_co_ci_u32_e32 v101, vcc_lo, v105, v45, vcc_lo
	v_pk_min_f16 v47, v20, v21
	s_delay_alu instid0(VALU_DEP_4) | instskip(SKIP_1) | instid1(VALU_DEP_3)
	v_lshlrev_b64 v[20:21], 1, v[97:98]
	v_mov_b32_e32 v98, 0
	v_lshrrev_b32_e32 v97, 16, v47
	s_delay_alu instid0(VALU_DEP_3) | instskip(NEXT) | instid1(VALU_DEP_4)
	v_add_co_u32 v20, vcc_lo, s6, v20
	v_add_co_ci_u32_e32 v21, vcc_lo, s7, v21, vcc_lo
	s_delay_alu instid0(VALU_DEP_3)
	v_min3_f16 v47, v99, v47, v97
	v_mov_b32_e32 v97, 0
	s_and_b32 vcc_lo, exec_lo, s0
	global_store_b16 v[100:101], v47, off
	s_cbranch_vccnz .LBB221_81
; %bb.80:
	v_add_co_u32 v98, vcc_lo, v20, v30
	v_add_co_ci_u32_e32 v99, vcc_lo, v21, v31, vcc_lo
	flat_load_u16 v47, v[98:99]
	s_waitcnt vmcnt(0) lgkmcnt(0)
	v_mul_f16_e32 v98, s5, v47
.LBB221_81:
	v_pk_add_f16 v47, v28, v22
	v_pk_max_f16 v96, v96, v96
	v_mad_i64_i32 v[99:100], null, v46, s3, 0
	v_pk_add_f16 v46, v29, v23
	s_delay_alu instid0(VALU_DEP_3) | instskip(NEXT) | instid1(VALU_DEP_1)
	v_pk_min_f16 v47, v96, v47
	v_pk_min_f16 v96, v47, v46
	s_delay_alu instid0(VALU_DEP_4) | instskip(NEXT) | instid1(VALU_DEP_2)
	v_lshlrev_b64 v[46:47], 1, v[99:100]
	v_lshrrev_b32_e32 v99, 16, v96
	s_delay_alu instid0(VALU_DEP_2) | instskip(NEXT) | instid1(VALU_DEP_3)
	v_add_co_u32 v46, vcc_lo, s1, v46
	v_add_co_ci_u32_e32 v47, vcc_lo, s8, v47, vcc_lo
	s_delay_alu instid0(VALU_DEP_3) | instskip(NEXT) | instid1(VALU_DEP_3)
	v_min3_f16 v96, v98, v96, v99
	v_add_co_u32 v98, vcc_lo, v46, v30
	s_delay_alu instid0(VALU_DEP_3)
	v_add_co_ci_u32_e32 v99, vcc_lo, v47, v31, vcc_lo
	s_and_b32 vcc_lo, exec_lo, s0
	global_store_b16 v[98:99], v96, off
	s_cbranch_vccnz .LBB221_83
; %bb.82:
	v_add_co_u32 v96, vcc_lo, v20, v32
	v_add_co_ci_u32_e32 v97, vcc_lo, v21, v33, vcc_lo
	flat_load_u16 v96, v[96:97]
	s_waitcnt vmcnt(0) lgkmcnt(0)
	v_mul_f16_e32 v97, s5, v96
.LBB221_83:
	v_pk_add_f16 v96, v8, v22
	v_pk_max_f16 v95, v95, v95
	v_pk_add_f16 v98, v9, v23
	s_delay_alu instid0(VALU_DEP_2) | instskip(NEXT) | instid1(VALU_DEP_1)
	v_pk_min_f16 v95, v95, v96
	v_pk_min_f16 v95, v95, v98
	v_add_co_u32 v98, vcc_lo, v46, v32
	v_add_co_ci_u32_e32 v99, vcc_lo, v47, v33, vcc_lo
	s_delay_alu instid0(VALU_DEP_3) | instskip(SKIP_1) | instid1(VALU_DEP_1)
	v_lshrrev_b32_e32 v96, 16, v95
	s_and_b32 vcc_lo, exec_lo, s0
	v_min3_f16 v97, v97, v95, v96
	v_dual_mov_b32 v95, 0 :: v_dual_mov_b32 v96, 0
	global_store_b16 v[98:99], v97, off
	s_cbranch_vccnz .LBB221_85
; %bb.84:
	v_add_co_u32 v96, vcc_lo, v20, v34
	v_add_co_ci_u32_e32 v97, vcc_lo, v21, v35, vcc_lo
	flat_load_u16 v96, v[96:97]
	s_waitcnt vmcnt(0) lgkmcnt(0)
	v_mul_f16_e32 v96, s5, v96
.LBB221_85:
	v_pk_add_f16 v97, v10, v22
	v_pk_max_f16 v94, v94, v94
	v_pk_add_f16 v98, v11, v23
	s_delay_alu instid0(VALU_DEP_2) | instskip(NEXT) | instid1(VALU_DEP_1)
	v_pk_min_f16 v94, v94, v97
	v_pk_min_f16 v94, v94, v98
	s_delay_alu instid0(VALU_DEP_1) | instskip(NEXT) | instid1(VALU_DEP_1)
	v_lshrrev_b32_e32 v97, 16, v94
	v_min3_f16 v94, v96, v94, v97
	v_add_co_u32 v96, vcc_lo, v46, v34
	v_add_co_ci_u32_e32 v97, vcc_lo, v47, v35, vcc_lo
	s_and_b32 vcc_lo, exec_lo, s0
	global_store_b16 v[96:97], v94, off
	s_cbranch_vccnz .LBB221_87
; %bb.86:
	v_add_co_u32 v94, vcc_lo, v20, v40
	v_add_co_ci_u32_e32 v95, vcc_lo, v21, v41, vcc_lo
	flat_load_u16 v94, v[94:95]
	s_waitcnt vmcnt(0) lgkmcnt(0)
	v_mul_f16_e32 v95, s5, v94
.LBB221_87:
	v_pk_add_f16 v94, v4, v22
	v_pk_max_f16 v93, v93, v93
	v_pk_add_f16 v96, v5, v23
	s_delay_alu instid0(VALU_DEP_2) | instskip(NEXT) | instid1(VALU_DEP_1)
	v_pk_min_f16 v93, v93, v94
	v_pk_min_f16 v93, v93, v96
	v_add_co_u32 v96, vcc_lo, v46, v40
	v_add_co_ci_u32_e32 v97, vcc_lo, v47, v41, vcc_lo
	s_delay_alu instid0(VALU_DEP_3) | instskip(SKIP_1) | instid1(VALU_DEP_1)
	v_lshrrev_b32_e32 v94, 16, v93
	s_and_b32 vcc_lo, exec_lo, s0
	v_min3_f16 v95, v95, v93, v94
	v_dual_mov_b32 v93, 0 :: v_dual_mov_b32 v94, 0
	global_store_b16 v[96:97], v95, off
	s_cbranch_vccnz .LBB221_89
; %bb.88:
	v_add_co_u32 v94, vcc_lo, v20, v42
	v_add_co_ci_u32_e32 v95, vcc_lo, v21, v43, vcc_lo
	flat_load_u16 v94, v[94:95]
	s_waitcnt vmcnt(0) lgkmcnt(0)
	v_mul_f16_e32 v94, s5, v94
.LBB221_89:
	v_pk_add_f16 v95, v6, v22
	v_pk_max_f16 v92, v92, v92
	v_pk_add_f16 v96, v7, v23
	s_delay_alu instid0(VALU_DEP_2) | instskip(NEXT) | instid1(VALU_DEP_1)
	v_pk_min_f16 v92, v92, v95
	v_pk_min_f16 v92, v92, v96
	s_delay_alu instid0(VALU_DEP_1) | instskip(NEXT) | instid1(VALU_DEP_1)
	v_lshrrev_b32_e32 v95, 16, v92
	v_min3_f16 v92, v94, v92, v95
	v_add_co_u32 v94, vcc_lo, v46, v42
	;; [unrolled: 43-line block ×3, first 2 shown]
	v_add_co_ci_u32_e32 v93, vcc_lo, v47, v37, vcc_lo
	s_and_b32 vcc_lo, exec_lo, s0
	global_store_b16 v[92:93], v90, off
	s_cbranch_vccnz .LBB221_95
; %bb.94:
	v_add_co_u32 v20, vcc_lo, v20, v44
	v_add_co_ci_u32_e32 v21, vcc_lo, v21, v45, vcc_lo
	flat_load_u16 v20, v[20:21]
	s_waitcnt vmcnt(0) lgkmcnt(0)
	v_mul_f16_e32 v91, s5, v20
.LBB221_95:
	v_pk_add_f16 v22, v24, v22
	v_pk_max_f16 v89, v89, v89
	v_pk_add_f16 v23, v25, v23
	v_add_nc_u32_e32 v90, 0x60, v86
	s_delay_alu instid0(VALU_DEP_3) | instskip(NEXT) | instid1(VALU_DEP_1)
	v_pk_min_f16 v22, v89, v22
	v_pk_min_f16 v89, v22, v23
	v_add_co_u32 v22, vcc_lo, v46, v44
	v_add_co_ci_u32_e32 v23, vcc_lo, v47, v45, vcc_lo
	v_mov_b32_e32 v47, 0
	v_mad_i64_i32 v[20:21], null, v90, s4, 0
	v_lshrrev_b32_e32 v46, 16, v89
	s_delay_alu instid0(VALU_DEP_1) | instskip(NEXT) | instid1(VALU_DEP_3)
	v_min3_f16 v89, v91, v89, v46
	v_lshlrev_b64 v[20:21], 1, v[20:21]
	v_mov_b32_e32 v46, 0
	global_store_b16 v[22:23], v89, off
	v_add_co_u32 v20, vcc_lo, s6, v20
	v_add_co_ci_u32_e32 v21, vcc_lo, s7, v21, vcc_lo
	s_and_b32 vcc_lo, exec_lo, s0
	s_cbranch_vccnz .LBB221_97
; %bb.96:
	s_delay_alu instid0(VALU_DEP_2) | instskip(NEXT) | instid1(VALU_DEP_2)
	v_add_co_u32 v22, vcc_lo, v20, v30
	v_add_co_ci_u32_e32 v23, vcc_lo, v21, v31, vcc_lo
	flat_load_u16 v22, v[22:23]
	s_waitcnt vmcnt(0) lgkmcnt(0)
	v_mul_f16_e32 v47, s5, v22
.LBB221_97:
	v_pk_add_f16 v89, v28, v16
	v_pk_max_f16 v88, v88, v88
	v_mad_i64_i32 v[22:23], null, v90, s3, 0
	v_pk_add_f16 v90, v29, v17
	s_delay_alu instid0(VALU_DEP_3) | instskip(NEXT) | instid1(VALU_DEP_3)
	v_pk_min_f16 v88, v88, v89
	v_lshlrev_b64 v[22:23], 1, v[22:23]
	s_delay_alu instid0(VALU_DEP_2) | instskip(NEXT) | instid1(VALU_DEP_2)
	v_pk_min_f16 v88, v88, v90
	v_add_co_u32 v22, vcc_lo, s1, v22
	s_delay_alu instid0(VALU_DEP_2) | instskip(NEXT) | instid1(VALU_DEP_4)
	v_lshrrev_b32_e32 v89, 16, v88
	v_add_co_ci_u32_e32 v23, vcc_lo, s8, v23, vcc_lo
	s_delay_alu instid0(VALU_DEP_2) | instskip(NEXT) | instid1(VALU_DEP_4)
	v_min3_f16 v47, v47, v88, v89
	v_add_co_u32 v88, vcc_lo, v22, v30
	s_delay_alu instid0(VALU_DEP_3)
	v_add_co_ci_u32_e32 v89, vcc_lo, v23, v31, vcc_lo
	s_and_b32 vcc_lo, exec_lo, s0
	global_store_b16 v[88:89], v47, off
	s_cbranch_vccnz .LBB221_99
; %bb.98:
	v_add_co_u32 v46, vcc_lo, v20, v32
	v_add_co_ci_u32_e32 v47, vcc_lo, v21, v33, vcc_lo
	flat_load_u16 v46, v[46:47]
	s_waitcnt vmcnt(0) lgkmcnt(0)
	v_mul_f16_e32 v46, s5, v46
.LBB221_99:
	v_pk_add_f16 v47, v8, v16
	v_pk_max_f16 v87, v87, v87
	v_pk_add_f16 v88, v9, v17
	s_delay_alu instid0(VALU_DEP_2) | instskip(SKIP_1) | instid1(VALU_DEP_2)
	v_pk_min_f16 v47, v87, v47
	v_add_co_u32 v87, vcc_lo, v22, v32
	v_pk_min_f16 v47, v47, v88
	v_add_co_ci_u32_e32 v88, vcc_lo, v23, v33, vcc_lo
	s_and_b32 vcc_lo, exec_lo, s0
	s_delay_alu instid0(VALU_DEP_2) | instskip(NEXT) | instid1(VALU_DEP_1)
	v_lshrrev_b32_e32 v89, 16, v47
	v_min3_f16 v89, v46, v47, v89
	v_dual_mov_b32 v46, 0 :: v_dual_mov_b32 v47, 0
	global_store_b16 v[87:88], v89, off
	s_cbranch_vccnz .LBB221_101
; %bb.100:
	v_add_co_u32 v87, vcc_lo, v20, v34
	v_add_co_ci_u32_e32 v88, vcc_lo, v21, v35, vcc_lo
	flat_load_u16 v47, v[87:88]
	s_waitcnt vmcnt(0) lgkmcnt(0)
	v_mul_f16_e32 v47, s5, v47
.LBB221_101:
	v_pk_add_f16 v87, v10, v16
	v_pk_max_f16 v85, v85, v85
	v_pk_add_f16 v88, v11, v17
	s_delay_alu instid0(VALU_DEP_2) | instskip(NEXT) | instid1(VALU_DEP_1)
	v_pk_min_f16 v85, v85, v87
	v_pk_min_f16 v85, v85, v88
	s_delay_alu instid0(VALU_DEP_1) | instskip(NEXT) | instid1(VALU_DEP_1)
	v_lshrrev_b32_e32 v87, 16, v85
	v_min3_f16 v47, v47, v85, v87
	v_add_co_u32 v87, vcc_lo, v22, v34
	v_add_co_ci_u32_e32 v88, vcc_lo, v23, v35, vcc_lo
	s_and_b32 vcc_lo, exec_lo, s0
	global_store_b16 v[87:88], v47, off
	s_cbranch_vccnz .LBB221_103
; %bb.102:
	v_add_co_u32 v46, vcc_lo, v20, v40
	v_add_co_ci_u32_e32 v47, vcc_lo, v21, v41, vcc_lo
	flat_load_u16 v46, v[46:47]
	s_waitcnt vmcnt(0) lgkmcnt(0)
	v_mul_f16_e32 v46, s5, v46
.LBB221_103:
	v_pk_add_f16 v47, v4, v16
	v_pk_max_f16 v84, v84, v84
	v_pk_add_f16 v85, v5, v17
	s_delay_alu instid0(VALU_DEP_2) | instskip(SKIP_1) | instid1(VALU_DEP_2)
	v_pk_min_f16 v47, v84, v47
	v_add_co_u32 v84, vcc_lo, v22, v40
	v_pk_min_f16 v47, v47, v85
	v_add_co_ci_u32_e32 v85, vcc_lo, v23, v41, vcc_lo
	s_and_b32 vcc_lo, exec_lo, s0
	s_delay_alu instid0(VALU_DEP_2) | instskip(NEXT) | instid1(VALU_DEP_1)
	v_lshrrev_b32_e32 v87, 16, v47
	v_min3_f16 v87, v46, v47, v87
	v_dual_mov_b32 v46, 0 :: v_dual_mov_b32 v47, 0
	global_store_b16 v[84:85], v87, off
	s_cbranch_vccnz .LBB221_105
; %bb.104:
	v_add_co_u32 v84, vcc_lo, v20, v42
	v_add_co_ci_u32_e32 v85, vcc_lo, v21, v43, vcc_lo
	flat_load_u16 v47, v[84:85]
	s_waitcnt vmcnt(0) lgkmcnt(0)
	v_mul_f16_e32 v47, s5, v47
.LBB221_105:
	v_pk_add_f16 v84, v6, v16
	v_pk_max_f16 v83, v83, v83
	v_pk_add_f16 v85, v7, v17
	s_delay_alu instid0(VALU_DEP_2) | instskip(NEXT) | instid1(VALU_DEP_1)
	v_pk_min_f16 v83, v83, v84
	v_pk_min_f16 v83, v83, v85
	s_delay_alu instid0(VALU_DEP_1) | instskip(NEXT) | instid1(VALU_DEP_1)
	v_lshrrev_b32_e32 v84, 16, v83
	v_min3_f16 v47, v47, v83, v84
	v_add_co_u32 v83, vcc_lo, v22, v42
	;; [unrolled: 43-line block ×3, first 2 shown]
	v_add_co_ci_u32_e32 v82, vcc_lo, v23, v37, vcc_lo
	s_and_b32 vcc_lo, exec_lo, s0
	global_store_b16 v[81:82], v47, off
	s_cbranch_vccnz .LBB221_111
; %bb.110:
	v_add_co_u32 v20, vcc_lo, v20, v44
	v_add_co_ci_u32_e32 v21, vcc_lo, v21, v45, vcc_lo
	flat_load_u16 v20, v[20:21]
	s_waitcnt vmcnt(0) lgkmcnt(0)
	v_mul_f16_e32 v46, s5, v20
.LBB221_111:
	v_add_nc_u32_e32 v20, 0x80, v86
	v_pk_add_f16 v16, v24, v16
	v_pk_max_f16 v21, v80, v80
	v_pk_add_f16 v17, v25, v17
	s_delay_alu instid0(VALU_DEP_4) | instskip(NEXT) | instid1(VALU_DEP_3)
	v_mad_i64_i32 v[80:81], null, v20, s4, 0
	v_pk_min_f16 v16, v21, v16
	s_delay_alu instid0(VALU_DEP_1) | instskip(NEXT) | instid1(VALU_DEP_3)
	v_pk_min_f16 v21, v16, v17
	v_lshlrev_b64 v[16:17], 1, v[80:81]
	v_add_co_u32 v80, vcc_lo, v22, v44
	v_add_co_ci_u32_e32 v81, vcc_lo, v23, v45, vcc_lo
	v_mov_b32_e32 v23, 0
	v_lshrrev_b32_e32 v22, 16, v21
	v_add_co_u32 v16, vcc_lo, s6, v16
	v_add_co_ci_u32_e32 v17, vcc_lo, s7, v17, vcc_lo
	s_delay_alu instid0(VALU_DEP_3)
	v_min3_f16 v21, v46, v21, v22
	v_mov_b32_e32 v22, 0
	s_and_b32 vcc_lo, exec_lo, s0
	global_store_b16 v[80:81], v21, off
	s_cbranch_vccnz .LBB221_113
; %bb.112:
	v_add_co_u32 v46, vcc_lo, v16, v30
	v_add_co_ci_u32_e32 v47, vcc_lo, v17, v31, vcc_lo
	flat_load_u16 v21, v[46:47]
	s_waitcnt vmcnt(0) lgkmcnt(0)
	v_mul_f16_e32 v23, s5, v21
.LBB221_113:
	v_pk_add_f16 v21, v28, v18
	v_pk_max_f16 v79, v79, v79
	v_mad_i64_i32 v[46:47], null, v20, s3, 0
	v_pk_add_f16 v20, v29, v19
	s_delay_alu instid0(VALU_DEP_3) | instskip(NEXT) | instid1(VALU_DEP_1)
	v_pk_min_f16 v21, v79, v21
	v_pk_min_f16 v79, v21, v20
	s_delay_alu instid0(VALU_DEP_4) | instskip(NEXT) | instid1(VALU_DEP_2)
	v_lshlrev_b64 v[20:21], 1, v[46:47]
	v_lshrrev_b32_e32 v46, 16, v79
	s_delay_alu instid0(VALU_DEP_2) | instskip(NEXT) | instid1(VALU_DEP_3)
	v_add_co_u32 v20, vcc_lo, s1, v20
	v_add_co_ci_u32_e32 v21, vcc_lo, s8, v21, vcc_lo
	s_delay_alu instid0(VALU_DEP_3) | instskip(NEXT) | instid1(VALU_DEP_3)
	v_min3_f16 v23, v23, v79, v46
	v_add_co_u32 v46, vcc_lo, v20, v30
	s_delay_alu instid0(VALU_DEP_3)
	v_add_co_ci_u32_e32 v47, vcc_lo, v21, v31, vcc_lo
	s_and_b32 vcc_lo, exec_lo, s0
	global_store_b16 v[46:47], v23, off
	s_cbranch_vccnz .LBB221_115
; %bb.114:
	v_add_co_u32 v22, vcc_lo, v16, v32
	v_add_co_ci_u32_e32 v23, vcc_lo, v17, v33, vcc_lo
	flat_load_u16 v22, v[22:23]
	s_waitcnt vmcnt(0) lgkmcnt(0)
	v_mul_f16_e32 v22, s5, v22
.LBB221_115:
	v_pk_add_f16 v23, v8, v18
	v_pk_max_f16 v46, v78, v78
	v_pk_add_f16 v47, v9, v19
	s_delay_alu instid0(VALU_DEP_2) | instskip(SKIP_1) | instid1(VALU_DEP_2)
	v_pk_min_f16 v23, v46, v23
	v_add_co_u32 v46, vcc_lo, v20, v32
	v_pk_min_f16 v23, v23, v47
	v_add_co_ci_u32_e32 v47, vcc_lo, v21, v33, vcc_lo
	s_and_b32 vcc_lo, exec_lo, s0
	s_delay_alu instid0(VALU_DEP_2) | instskip(NEXT) | instid1(VALU_DEP_1)
	v_lshrrev_b32_e32 v78, 16, v23
	v_min3_f16 v78, v22, v23, v78
	v_dual_mov_b32 v22, 0 :: v_dual_mov_b32 v23, 0
	global_store_b16 v[46:47], v78, off
	s_cbranch_vccnz .LBB221_117
; %bb.116:
	v_add_co_u32 v46, vcc_lo, v16, v34
	v_add_co_ci_u32_e32 v47, vcc_lo, v17, v35, vcc_lo
	flat_load_u16 v23, v[46:47]
	s_waitcnt vmcnt(0) lgkmcnt(0)
	v_mul_f16_e32 v23, s5, v23
.LBB221_117:
	v_pk_add_f16 v46, v10, v18
	v_pk_max_f16 v47, v77, v77
	v_pk_add_f16 v77, v11, v19
	s_delay_alu instid0(VALU_DEP_2) | instskip(NEXT) | instid1(VALU_DEP_1)
	v_pk_min_f16 v46, v47, v46
	v_pk_min_f16 v46, v46, v77
	s_delay_alu instid0(VALU_DEP_1) | instskip(NEXT) | instid1(VALU_DEP_1)
	v_lshrrev_b32_e32 v47, 16, v46
	v_min3_f16 v23, v23, v46, v47
	v_add_co_u32 v46, vcc_lo, v20, v34
	v_add_co_ci_u32_e32 v47, vcc_lo, v21, v35, vcc_lo
	s_and_b32 vcc_lo, exec_lo, s0
	global_store_b16 v[46:47], v23, off
	s_cbranch_vccnz .LBB221_119
; %bb.118:
	v_add_co_u32 v22, vcc_lo, v16, v40
	v_add_co_ci_u32_e32 v23, vcc_lo, v17, v41, vcc_lo
	flat_load_u16 v22, v[22:23]
	s_waitcnt vmcnt(0) lgkmcnt(0)
	v_mul_f16_e32 v22, s5, v22
.LBB221_119:
	v_pk_add_f16 v23, v4, v18
	v_pk_max_f16 v46, v76, v76
	v_pk_add_f16 v47, v5, v19
	s_delay_alu instid0(VALU_DEP_2) | instskip(SKIP_1) | instid1(VALU_DEP_2)
	v_pk_min_f16 v23, v46, v23
	v_add_co_u32 v46, vcc_lo, v20, v40
	v_pk_min_f16 v23, v23, v47
	v_add_co_ci_u32_e32 v47, vcc_lo, v21, v41, vcc_lo
	s_and_b32 vcc_lo, exec_lo, s0
	s_delay_alu instid0(VALU_DEP_2) | instskip(NEXT) | instid1(VALU_DEP_1)
	v_lshrrev_b32_e32 v76, 16, v23
	v_min3_f16 v76, v22, v23, v76
	v_dual_mov_b32 v22, 0 :: v_dual_mov_b32 v23, 0
	global_store_b16 v[46:47], v76, off
	s_cbranch_vccnz .LBB221_121
; %bb.120:
	v_add_co_u32 v46, vcc_lo, v16, v42
	v_add_co_ci_u32_e32 v47, vcc_lo, v17, v43, vcc_lo
	flat_load_u16 v23, v[46:47]
	s_waitcnt vmcnt(0) lgkmcnt(0)
	v_mul_f16_e32 v23, s5, v23
.LBB221_121:
	v_pk_add_f16 v46, v6, v18
	v_pk_max_f16 v47, v75, v75
	v_pk_add_f16 v75, v7, v19
	s_delay_alu instid0(VALU_DEP_2) | instskip(NEXT) | instid1(VALU_DEP_1)
	v_pk_min_f16 v46, v47, v46
	v_pk_min_f16 v46, v46, v75
	s_delay_alu instid0(VALU_DEP_1) | instskip(NEXT) | instid1(VALU_DEP_1)
	v_lshrrev_b32_e32 v47, 16, v46
	v_min3_f16 v23, v23, v46, v47
	v_add_co_u32 v46, vcc_lo, v20, v42
	v_add_co_ci_u32_e32 v47, vcc_lo, v21, v43, vcc_lo
	s_and_b32 vcc_lo, exec_lo, s0
	global_store_b16 v[46:47], v23, off
	s_cbranch_vccnz .LBB221_123
; %bb.122:
	v_add_co_u32 v22, vcc_lo, v16, v38
	v_add_co_ci_u32_e32 v23, vcc_lo, v17, v39, vcc_lo
	flat_load_u16 v22, v[22:23]
	s_waitcnt vmcnt(0) lgkmcnt(0)
	v_mul_f16_e32 v22, s5, v22
.LBB221_123:
	v_pk_add_f16 v23, v0, v18
	v_pk_max_f16 v46, v74, v74
	v_pk_add_f16 v47, v1, v19
	s_delay_alu instid0(VALU_DEP_2) | instskip(SKIP_1) | instid1(VALU_DEP_2)
	v_pk_min_f16 v23, v46, v23
	v_add_co_u32 v46, vcc_lo, v20, v38
	v_pk_min_f16 v23, v23, v47
	v_add_co_ci_u32_e32 v47, vcc_lo, v21, v39, vcc_lo
	s_and_b32 vcc_lo, exec_lo, s0
	s_delay_alu instid0(VALU_DEP_2) | instskip(NEXT) | instid1(VALU_DEP_1)
	v_lshrrev_b32_e32 v74, 16, v23
	v_min3_f16 v74, v22, v23, v74
	v_dual_mov_b32 v22, 0 :: v_dual_mov_b32 v23, 0
	global_store_b16 v[46:47], v74, off
	s_cbranch_vccnz .LBB221_125
; %bb.124:
	v_add_co_u32 v46, vcc_lo, v16, v36
	v_add_co_ci_u32_e32 v47, vcc_lo, v17, v37, vcc_lo
	flat_load_u16 v23, v[46:47]
	s_waitcnt vmcnt(0) lgkmcnt(0)
	v_mul_f16_e32 v23, s5, v23
.LBB221_125:
	v_pk_add_f16 v46, v2, v18
	v_pk_max_f16 v47, v73, v73
	v_pk_add_f16 v73, v3, v19
	s_delay_alu instid0(VALU_DEP_2) | instskip(NEXT) | instid1(VALU_DEP_1)
	v_pk_min_f16 v46, v47, v46
	v_pk_min_f16 v46, v46, v73
	s_delay_alu instid0(VALU_DEP_1) | instskip(NEXT) | instid1(VALU_DEP_1)
	v_lshrrev_b32_e32 v47, 16, v46
	v_min3_f16 v23, v23, v46, v47
	v_add_co_u32 v46, vcc_lo, v20, v36
	v_add_co_ci_u32_e32 v47, vcc_lo, v21, v37, vcc_lo
	s_and_b32 vcc_lo, exec_lo, s0
	global_store_b16 v[46:47], v23, off
	s_cbranch_vccnz .LBB221_127
; %bb.126:
	v_add_co_u32 v16, vcc_lo, v16, v44
	v_add_co_ci_u32_e32 v17, vcc_lo, v17, v45, vcc_lo
	flat_load_u16 v16, v[16:17]
	s_waitcnt vmcnt(0) lgkmcnt(0)
	v_mul_f16_e32 v22, s5, v16
.LBB221_127:
	v_pk_add_f16 v18, v24, v18
	v_pk_max_f16 v46, v72, v72
	v_pk_add_f16 v19, v25, v19
	v_add_nc_u32_e32 v23, 0xa0, v86
	s_delay_alu instid0(VALU_DEP_3) | instskip(NEXT) | instid1(VALU_DEP_1)
	v_pk_min_f16 v18, v46, v18
	v_pk_min_f16 v46, v18, v19
	v_add_co_u32 v18, vcc_lo, v20, v44
	v_add_co_ci_u32_e32 v19, vcc_lo, v21, v45, vcc_lo
	s_delay_alu instid0(VALU_DEP_3) | instskip(SKIP_1) | instid1(VALU_DEP_2)
	v_lshrrev_b32_e32 v20, 16, v46
	v_mov_b32_e32 v21, 0
	v_min3_f16 v22, v22, v46, v20
	v_mov_b32_e32 v20, 0
	v_mad_i64_i32 v[16:17], null, v23, s4, 0
	global_store_b16 v[18:19], v22, off
	v_lshlrev_b64 v[16:17], 1, v[16:17]
	s_delay_alu instid0(VALU_DEP_1) | instskip(NEXT) | instid1(VALU_DEP_2)
	v_add_co_u32 v16, vcc_lo, s6, v16
	v_add_co_ci_u32_e32 v17, vcc_lo, s7, v17, vcc_lo
	s_and_b32 vcc_lo, exec_lo, s0
	s_cbranch_vccnz .LBB221_129
; %bb.128:
	s_delay_alu instid0(VALU_DEP_2) | instskip(NEXT) | instid1(VALU_DEP_2)
	v_add_co_u32 v18, vcc_lo, v16, v30
	v_add_co_ci_u32_e32 v19, vcc_lo, v17, v31, vcc_lo
	flat_load_u16 v18, v[18:19]
	s_waitcnt vmcnt(0) lgkmcnt(0)
	v_mul_f16_e32 v21, s5, v18
.LBB221_129:
	v_pk_add_f16 v22, v28, v12
	v_pk_max_f16 v46, v71, v71
	v_mad_i64_i32 v[18:19], null, v23, s3, 0
	v_pk_add_f16 v23, v29, v13
	s_delay_alu instid0(VALU_DEP_3) | instskip(NEXT) | instid1(VALU_DEP_3)
	v_pk_min_f16 v22, v46, v22
	v_lshlrev_b64 v[18:19], 1, v[18:19]
	s_delay_alu instid0(VALU_DEP_2) | instskip(NEXT) | instid1(VALU_DEP_2)
	v_pk_min_f16 v22, v22, v23
	v_add_co_u32 v18, vcc_lo, s1, v18
	s_delay_alu instid0(VALU_DEP_2) | instskip(NEXT) | instid1(VALU_DEP_4)
	v_lshrrev_b32_e32 v23, 16, v22
	v_add_co_ci_u32_e32 v19, vcc_lo, s8, v19, vcc_lo
	s_delay_alu instid0(VALU_DEP_2) | instskip(NEXT) | instid1(VALU_DEP_4)
	v_min3_f16 v23, v21, v22, v23
	v_add_co_u32 v21, vcc_lo, v18, v30
	s_delay_alu instid0(VALU_DEP_3)
	v_add_co_ci_u32_e32 v22, vcc_lo, v19, v31, vcc_lo
	s_and_b32 vcc_lo, exec_lo, s0
	global_store_b16 v[21:22], v23, off
	s_cbranch_vccnz .LBB221_131
; %bb.130:
	v_add_co_u32 v20, vcc_lo, v16, v32
	v_add_co_ci_u32_e32 v21, vcc_lo, v17, v33, vcc_lo
	flat_load_u16 v20, v[20:21]
	s_waitcnt vmcnt(0) lgkmcnt(0)
	v_mul_f16_e32 v20, s5, v20
.LBB221_131:
	v_pk_add_f16 v21, v8, v12
	v_pk_max_f16 v22, v70, v70
	v_pk_add_f16 v23, v9, v13
	s_delay_alu instid0(VALU_DEP_2) | instskip(SKIP_1) | instid1(VALU_DEP_2)
	v_pk_min_f16 v21, v22, v21
	v_add_co_u32 v22, vcc_lo, v18, v32
	v_pk_min_f16 v21, v21, v23
	v_add_co_ci_u32_e32 v23, vcc_lo, v19, v33, vcc_lo
	s_and_b32 vcc_lo, exec_lo, s0
	s_delay_alu instid0(VALU_DEP_2) | instskip(NEXT) | instid1(VALU_DEP_1)
	v_lshrrev_b32_e32 v46, 16, v21
	v_min3_f16 v46, v20, v21, v46
	v_dual_mov_b32 v20, 0 :: v_dual_mov_b32 v21, 0
	global_store_b16 v[22:23], v46, off
	s_cbranch_vccnz .LBB221_133
; %bb.132:
	v_add_co_u32 v21, vcc_lo, v16, v34
	v_add_co_ci_u32_e32 v22, vcc_lo, v17, v35, vcc_lo
	flat_load_u16 v21, v[21:22]
	s_waitcnt vmcnt(0) lgkmcnt(0)
	v_mul_f16_e32 v21, s5, v21
.LBB221_133:
	v_pk_add_f16 v22, v10, v12
	v_pk_max_f16 v23, v69, v69
	v_pk_add_f16 v46, v11, v13
	s_delay_alu instid0(VALU_DEP_2) | instskip(NEXT) | instid1(VALU_DEP_1)
	v_pk_min_f16 v22, v23, v22
	v_pk_min_f16 v22, v22, v46
	s_delay_alu instid0(VALU_DEP_1) | instskip(NEXT) | instid1(VALU_DEP_1)
	v_lshrrev_b32_e32 v23, 16, v22
	v_min3_f16 v23, v21, v22, v23
	v_add_co_u32 v21, vcc_lo, v18, v34
	v_add_co_ci_u32_e32 v22, vcc_lo, v19, v35, vcc_lo
	s_and_b32 vcc_lo, exec_lo, s0
	global_store_b16 v[21:22], v23, off
	s_cbranch_vccnz .LBB221_135
; %bb.134:
	v_add_co_u32 v20, vcc_lo, v16, v40
	v_add_co_ci_u32_e32 v21, vcc_lo, v17, v41, vcc_lo
	flat_load_u16 v20, v[20:21]
	s_waitcnt vmcnt(0) lgkmcnt(0)
	v_mul_f16_e32 v20, s5, v20
.LBB221_135:
	v_pk_add_f16 v21, v4, v12
	v_pk_max_f16 v22, v68, v68
	v_pk_add_f16 v23, v5, v13
	s_delay_alu instid0(VALU_DEP_2) | instskip(SKIP_1) | instid1(VALU_DEP_2)
	v_pk_min_f16 v21, v22, v21
	v_add_co_u32 v22, vcc_lo, v18, v40
	v_pk_min_f16 v21, v21, v23
	v_add_co_ci_u32_e32 v23, vcc_lo, v19, v41, vcc_lo
	s_and_b32 vcc_lo, exec_lo, s0
	s_delay_alu instid0(VALU_DEP_2) | instskip(NEXT) | instid1(VALU_DEP_1)
	v_lshrrev_b32_e32 v46, 16, v21
	v_min3_f16 v46, v20, v21, v46
	v_dual_mov_b32 v20, 0 :: v_dual_mov_b32 v21, 0
	global_store_b16 v[22:23], v46, off
	s_cbranch_vccnz .LBB221_137
; %bb.136:
	v_add_co_u32 v21, vcc_lo, v16, v42
	v_add_co_ci_u32_e32 v22, vcc_lo, v17, v43, vcc_lo
	flat_load_u16 v21, v[21:22]
	s_waitcnt vmcnt(0) lgkmcnt(0)
	v_mul_f16_e32 v21, s5, v21
.LBB221_137:
	v_pk_add_f16 v22, v6, v12
	v_pk_max_f16 v23, v67, v67
	v_pk_add_f16 v46, v7, v13
	s_delay_alu instid0(VALU_DEP_2) | instskip(NEXT) | instid1(VALU_DEP_1)
	v_pk_min_f16 v22, v23, v22
	v_pk_min_f16 v22, v22, v46
	s_delay_alu instid0(VALU_DEP_1) | instskip(NEXT) | instid1(VALU_DEP_1)
	v_lshrrev_b32_e32 v23, 16, v22
	v_min3_f16 v23, v21, v22, v23
	v_add_co_u32 v21, vcc_lo, v18, v42
	;; [unrolled: 43-line block ×3, first 2 shown]
	v_add_co_ci_u32_e32 v22, vcc_lo, v19, v37, vcc_lo
	s_and_b32 vcc_lo, exec_lo, s0
	global_store_b16 v[21:22], v23, off
	s_cbranch_vccnz .LBB221_143
; %bb.142:
	v_add_co_u32 v16, vcc_lo, v16, v44
	v_add_co_ci_u32_e32 v17, vcc_lo, v17, v45, vcc_lo
	flat_load_u16 v16, v[16:17]
	s_waitcnt vmcnt(0) lgkmcnt(0)
	v_mul_f16_e32 v20, s5, v16
.LBB221_143:
	v_add_nc_u32_e32 v16, 0xc0, v86
	v_pk_add_f16 v12, v24, v12
	v_pk_max_f16 v17, v64, v64
	v_pk_add_f16 v13, v25, v13
	s_delay_alu instid0(VALU_DEP_4) | instskip(NEXT) | instid1(VALU_DEP_3)
	v_mad_i64_i32 v[21:22], null, v16, s4, 0
	v_pk_min_f16 v12, v17, v12
	s_delay_alu instid0(VALU_DEP_1) | instskip(NEXT) | instid1(VALU_DEP_3)
	v_pk_min_f16 v17, v12, v13
	v_lshlrev_b64 v[12:13], 1, v[21:22]
	v_add_co_u32 v21, vcc_lo, v18, v44
	v_add_co_ci_u32_e32 v22, vcc_lo, v19, v45, vcc_lo
	v_mov_b32_e32 v19, 0
	v_lshrrev_b32_e32 v18, 16, v17
	v_add_co_u32 v12, vcc_lo, s6, v12
	v_add_co_ci_u32_e32 v13, vcc_lo, s7, v13, vcc_lo
	s_delay_alu instid0(VALU_DEP_3)
	v_min3_f16 v17, v20, v17, v18
	v_mov_b32_e32 v18, 0
	s_and_b32 vcc_lo, exec_lo, s0
	global_store_b16 v[21:22], v17, off
	s_cbranch_vccnz .LBB221_145
; %bb.144:
	v_add_co_u32 v19, vcc_lo, v12, v30
	v_add_co_ci_u32_e32 v20, vcc_lo, v13, v31, vcc_lo
	flat_load_u16 v17, v[19:20]
	s_waitcnt vmcnt(0) lgkmcnt(0)
	v_mul_f16_e32 v19, s5, v17
.LBB221_145:
	v_pk_add_f16 v17, v28, v14
	v_pk_max_f16 v22, v63, v63
	v_mad_i64_i32 v[20:21], null, v16, s3, 0
	v_pk_add_f16 v16, v29, v15
	s_delay_alu instid0(VALU_DEP_3) | instskip(NEXT) | instid1(VALU_DEP_1)
	v_pk_min_f16 v17, v22, v17
	v_pk_min_f16 v22, v17, v16
	s_delay_alu instid0(VALU_DEP_4) | instskip(NEXT) | instid1(VALU_DEP_2)
	v_lshlrev_b64 v[16:17], 1, v[20:21]
	v_lshrrev_b32_e32 v20, 16, v22
	s_delay_alu instid0(VALU_DEP_2) | instskip(NEXT) | instid1(VALU_DEP_3)
	v_add_co_u32 v16, vcc_lo, s1, v16
	v_add_co_ci_u32_e32 v17, vcc_lo, s8, v17, vcc_lo
	s_delay_alu instid0(VALU_DEP_3) | instskip(NEXT) | instid1(VALU_DEP_3)
	v_min3_f16 v21, v19, v22, v20
	v_add_co_u32 v19, vcc_lo, v16, v30
	s_delay_alu instid0(VALU_DEP_3)
	v_add_co_ci_u32_e32 v20, vcc_lo, v17, v31, vcc_lo
	s_and_b32 vcc_lo, exec_lo, s0
	global_store_b16 v[19:20], v21, off
	s_cbranch_vccnz .LBB221_147
; %bb.146:
	v_add_co_u32 v18, vcc_lo, v12, v32
	v_add_co_ci_u32_e32 v19, vcc_lo, v13, v33, vcc_lo
	flat_load_u16 v18, v[18:19]
	s_waitcnt vmcnt(0) lgkmcnt(0)
	v_mul_f16_e32 v18, s5, v18
.LBB221_147:
	v_pk_add_f16 v19, v8, v14
	v_pk_max_f16 v20, v62, v62
	v_pk_add_f16 v21, v9, v15
	s_delay_alu instid0(VALU_DEP_2) | instskip(SKIP_1) | instid1(VALU_DEP_2)
	v_pk_min_f16 v19, v20, v19
	v_add_co_u32 v20, vcc_lo, v16, v32
	v_pk_min_f16 v19, v19, v21
	v_add_co_ci_u32_e32 v21, vcc_lo, v17, v33, vcc_lo
	s_and_b32 vcc_lo, exec_lo, s0
	s_delay_alu instid0(VALU_DEP_2) | instskip(NEXT) | instid1(VALU_DEP_1)
	v_lshrrev_b32_e32 v22, 16, v19
	v_min3_f16 v22, v18, v19, v22
	v_dual_mov_b32 v18, 0 :: v_dual_mov_b32 v19, 0
	global_store_b16 v[20:21], v22, off
	s_cbranch_vccnz .LBB221_149
; %bb.148:
	v_add_co_u32 v19, vcc_lo, v12, v34
	v_add_co_ci_u32_e32 v20, vcc_lo, v13, v35, vcc_lo
	flat_load_u16 v19, v[19:20]
	s_waitcnt vmcnt(0) lgkmcnt(0)
	v_mul_f16_e32 v19, s5, v19
.LBB221_149:
	v_pk_add_f16 v20, v10, v14
	v_pk_max_f16 v21, v61, v61
	v_pk_add_f16 v22, v11, v15
	s_delay_alu instid0(VALU_DEP_2) | instskip(NEXT) | instid1(VALU_DEP_1)
	v_pk_min_f16 v20, v21, v20
	v_pk_min_f16 v20, v20, v22
	s_delay_alu instid0(VALU_DEP_1) | instskip(NEXT) | instid1(VALU_DEP_1)
	v_lshrrev_b32_e32 v21, 16, v20
	v_min3_f16 v21, v19, v20, v21
	v_add_co_u32 v19, vcc_lo, v16, v34
	v_add_co_ci_u32_e32 v20, vcc_lo, v17, v35, vcc_lo
	s_and_b32 vcc_lo, exec_lo, s0
	global_store_b16 v[19:20], v21, off
	s_cbranch_vccnz .LBB221_151
; %bb.150:
	v_add_co_u32 v18, vcc_lo, v12, v40
	v_add_co_ci_u32_e32 v19, vcc_lo, v13, v41, vcc_lo
	flat_load_u16 v18, v[18:19]
	s_waitcnt vmcnt(0) lgkmcnt(0)
	v_mul_f16_e32 v18, s5, v18
.LBB221_151:
	v_pk_add_f16 v19, v4, v14
	v_pk_max_f16 v20, v60, v60
	v_pk_add_f16 v21, v5, v15
	s_delay_alu instid0(VALU_DEP_2) | instskip(SKIP_1) | instid1(VALU_DEP_2)
	v_pk_min_f16 v19, v20, v19
	v_add_co_u32 v20, vcc_lo, v16, v40
	v_pk_min_f16 v19, v19, v21
	v_add_co_ci_u32_e32 v21, vcc_lo, v17, v41, vcc_lo
	s_and_b32 vcc_lo, exec_lo, s0
	s_delay_alu instid0(VALU_DEP_2) | instskip(NEXT) | instid1(VALU_DEP_1)
	v_lshrrev_b32_e32 v22, 16, v19
	v_min3_f16 v22, v18, v19, v22
	v_dual_mov_b32 v18, 0 :: v_dual_mov_b32 v19, 0
	global_store_b16 v[20:21], v22, off
	s_cbranch_vccnz .LBB221_153
; %bb.152:
	v_add_co_u32 v19, vcc_lo, v12, v42
	v_add_co_ci_u32_e32 v20, vcc_lo, v13, v43, vcc_lo
	flat_load_u16 v19, v[19:20]
	s_waitcnt vmcnt(0) lgkmcnt(0)
	v_mul_f16_e32 v19, s5, v19
.LBB221_153:
	v_pk_add_f16 v20, v6, v14
	v_pk_max_f16 v21, v59, v59
	v_pk_add_f16 v22, v7, v15
	s_delay_alu instid0(VALU_DEP_2) | instskip(NEXT) | instid1(VALU_DEP_1)
	v_pk_min_f16 v20, v21, v20
	v_pk_min_f16 v20, v20, v22
	s_delay_alu instid0(VALU_DEP_1) | instskip(NEXT) | instid1(VALU_DEP_1)
	v_lshrrev_b32_e32 v21, 16, v20
	v_min3_f16 v21, v19, v20, v21
	v_add_co_u32 v19, vcc_lo, v16, v42
	;; [unrolled: 43-line block ×3, first 2 shown]
	v_add_co_ci_u32_e32 v20, vcc_lo, v17, v37, vcc_lo
	s_and_b32 vcc_lo, exec_lo, s0
	global_store_b16 v[19:20], v21, off
	s_cbranch_vccnz .LBB221_159
; %bb.158:
	v_add_co_u32 v12, vcc_lo, v12, v44
	v_add_co_ci_u32_e32 v13, vcc_lo, v13, v45, vcc_lo
	flat_load_u16 v12, v[12:13]
	s_waitcnt vmcnt(0) lgkmcnt(0)
	v_mul_f16_e32 v18, s5, v12
.LBB221_159:
	v_pk_add_f16 v14, v24, v14
	v_pk_max_f16 v20, v56, v56
	v_pk_add_f16 v15, v25, v15
	v_add_nc_u32_e32 v19, 0xe0, v86
	s_delay_alu instid0(VALU_DEP_3) | instskip(NEXT) | instid1(VALU_DEP_1)
	v_pk_min_f16 v14, v20, v14
	v_pk_min_f16 v20, v14, v15
	v_add_co_u32 v14, vcc_lo, v16, v44
	v_add_co_ci_u32_e32 v15, vcc_lo, v17, v45, vcc_lo
	s_delay_alu instid0(VALU_DEP_3) | instskip(SKIP_1) | instid1(VALU_DEP_2)
	v_lshrrev_b32_e32 v16, 16, v20
	v_mov_b32_e32 v17, 0
	v_min3_f16 v18, v18, v20, v16
	v_mov_b32_e32 v16, 0
	v_mad_i64_i32 v[12:13], null, v19, s4, 0
	global_store_b16 v[14:15], v18, off
	v_lshlrev_b64 v[12:13], 1, v[12:13]
	s_delay_alu instid0(VALU_DEP_1) | instskip(NEXT) | instid1(VALU_DEP_2)
	v_add_co_u32 v12, vcc_lo, s6, v12
	v_add_co_ci_u32_e32 v13, vcc_lo, s7, v13, vcc_lo
	s_and_b32 vcc_lo, exec_lo, s0
	s_cbranch_vccnz .LBB221_161
; %bb.160:
	s_delay_alu instid0(VALU_DEP_2) | instskip(NEXT) | instid1(VALU_DEP_2)
	v_add_co_u32 v14, vcc_lo, v12, v30
	v_add_co_ci_u32_e32 v15, vcc_lo, v13, v31, vcc_lo
	flat_load_u16 v14, v[14:15]
	s_waitcnt vmcnt(0) lgkmcnt(0)
	v_mul_f16_e32 v17, s5, v14
.LBB221_161:
	v_pk_add_f16 v18, v28, v26
	v_pk_max_f16 v20, v55, v55
	v_mad_i64_i32 v[14:15], null, v19, s3, 0
	v_pk_add_f16 v19, v29, v27
	s_delay_alu instid0(VALU_DEP_3) | instskip(NEXT) | instid1(VALU_DEP_3)
	v_pk_min_f16 v18, v20, v18
	v_lshlrev_b64 v[14:15], 1, v[14:15]
	s_delay_alu instid0(VALU_DEP_2) | instskip(NEXT) | instid1(VALU_DEP_2)
	v_pk_min_f16 v18, v18, v19
	v_add_co_u32 v14, vcc_lo, s1, v14
	s_delay_alu instid0(VALU_DEP_2) | instskip(NEXT) | instid1(VALU_DEP_4)
	v_lshrrev_b32_e32 v19, 16, v18
	v_add_co_ci_u32_e32 v15, vcc_lo, s8, v15, vcc_lo
	s_delay_alu instid0(VALU_DEP_2) | instskip(NEXT) | instid1(VALU_DEP_4)
	v_min3_f16 v19, v17, v18, v19
	v_add_co_u32 v17, vcc_lo, v14, v30
	s_delay_alu instid0(VALU_DEP_3)
	v_add_co_ci_u32_e32 v18, vcc_lo, v15, v31, vcc_lo
	s_and_b32 vcc_lo, exec_lo, s0
	global_store_b16 v[17:18], v19, off
	s_cbranch_vccnz .LBB221_163
; %bb.162:
	v_add_co_u32 v16, vcc_lo, v12, v32
	v_add_co_ci_u32_e32 v17, vcc_lo, v13, v33, vcc_lo
	flat_load_u16 v16, v[16:17]
	s_waitcnt vmcnt(0) lgkmcnt(0)
	v_mul_f16_e32 v16, s5, v16
.LBB221_163:
	v_pk_add_f16 v8, v8, v26
	v_pk_max_f16 v17, v54, v54
	v_pk_add_f16 v9, v9, v27
	s_delay_alu instid0(VALU_DEP_2) | instskip(SKIP_2) | instid1(VALU_DEP_3)
	v_pk_min_f16 v8, v17, v8
	v_add_co_u32 v17, vcc_lo, v14, v32
	v_add_co_ci_u32_e32 v18, vcc_lo, v15, v33, vcc_lo
	v_pk_min_f16 v8, v8, v9
	s_and_b32 vcc_lo, exec_lo, s0
	s_delay_alu instid0(VALU_DEP_1) | instskip(NEXT) | instid1(VALU_DEP_1)
	v_lshrrev_b32_e32 v9, 16, v8
	v_min3_f16 v16, v16, v8, v9
	v_dual_mov_b32 v8, 0 :: v_dual_mov_b32 v9, 0
	global_store_b16 v[17:18], v16, off
	s_cbranch_vccnz .LBB221_165
; %bb.164:
	v_add_co_u32 v16, vcc_lo, v12, v34
	v_add_co_ci_u32_e32 v17, vcc_lo, v13, v35, vcc_lo
	flat_load_u16 v9, v[16:17]
	s_waitcnt vmcnt(0) lgkmcnt(0)
	v_mul_f16_e32 v9, s5, v9
.LBB221_165:
	v_pk_add_f16 v10, v10, v26
	v_pk_max_f16 v16, v53, v53
	v_pk_add_f16 v11, v11, v27
	s_delay_alu instid0(VALU_DEP_2) | instskip(NEXT) | instid1(VALU_DEP_1)
	v_pk_min_f16 v10, v16, v10
	v_pk_min_f16 v10, v10, v11
	s_delay_alu instid0(VALU_DEP_1) | instskip(NEXT) | instid1(VALU_DEP_1)
	v_lshrrev_b32_e32 v11, 16, v10
	v_min3_f16 v11, v9, v10, v11
	v_add_co_u32 v9, vcc_lo, v14, v34
	v_add_co_ci_u32_e32 v10, vcc_lo, v15, v35, vcc_lo
	s_and_b32 vcc_lo, exec_lo, s0
	global_store_b16 v[9:10], v11, off
	s_cbranch_vccnz .LBB221_167
; %bb.166:
	v_add_co_u32 v8, vcc_lo, v12, v40
	v_add_co_ci_u32_e32 v9, vcc_lo, v13, v41, vcc_lo
	flat_load_u16 v8, v[8:9]
	s_waitcnt vmcnt(0) lgkmcnt(0)
	v_mul_f16_e32 v8, s5, v8
.LBB221_167:
	v_pk_add_f16 v4, v4, v26
	v_pk_max_f16 v9, v52, v52
	v_pk_add_f16 v5, v5, v27
	s_delay_alu instid0(VALU_DEP_2) | instskip(SKIP_2) | instid1(VALU_DEP_3)
	v_pk_min_f16 v4, v9, v4
	v_add_co_u32 v9, vcc_lo, v14, v40
	v_add_co_ci_u32_e32 v10, vcc_lo, v15, v41, vcc_lo
	v_pk_min_f16 v4, v4, v5
	s_and_b32 vcc_lo, exec_lo, s0
	s_delay_alu instid0(VALU_DEP_1) | instskip(NEXT) | instid1(VALU_DEP_1)
	v_lshrrev_b32_e32 v5, 16, v4
	v_min3_f16 v8, v8, v4, v5
	v_dual_mov_b32 v4, 0 :: v_dual_mov_b32 v5, 0
	global_store_b16 v[9:10], v8, off
	s_cbranch_vccnz .LBB221_169
; %bb.168:
	v_add_co_u32 v8, vcc_lo, v12, v42
	v_add_co_ci_u32_e32 v9, vcc_lo, v13, v43, vcc_lo
	flat_load_u16 v5, v[8:9]
	s_waitcnt vmcnt(0) lgkmcnt(0)
	v_mul_f16_e32 v5, s5, v5
.LBB221_169:
	v_pk_add_f16 v6, v6, v26
	v_pk_max_f16 v8, v51, v51
	v_pk_add_f16 v7, v7, v27
	s_delay_alu instid0(VALU_DEP_2) | instskip(NEXT) | instid1(VALU_DEP_1)
	v_pk_min_f16 v6, v8, v6
	v_pk_min_f16 v6, v6, v7
	s_delay_alu instid0(VALU_DEP_1) | instskip(NEXT) | instid1(VALU_DEP_1)
	v_lshrrev_b32_e32 v7, 16, v6
	v_min3_f16 v7, v5, v6, v7
	v_add_co_u32 v5, vcc_lo, v14, v42
	v_add_co_ci_u32_e32 v6, vcc_lo, v15, v43, vcc_lo
	s_and_b32 vcc_lo, exec_lo, s0
	global_store_b16 v[5:6], v7, off
	s_cbranch_vccnz .LBB221_171
; %bb.170:
	v_add_co_u32 v4, vcc_lo, v12, v38
	v_add_co_ci_u32_e32 v5, vcc_lo, v13, v39, vcc_lo
	flat_load_u16 v4, v[4:5]
	s_waitcnt vmcnt(0) lgkmcnt(0)
	v_mul_f16_e32 v4, s5, v4
.LBB221_171:
	v_pk_add_f16 v0, v0, v26
	v_pk_max_f16 v5, v50, v50
	v_pk_add_f16 v2, v2, v26
	v_pk_max_f16 v6, v49, v49
	v_pk_add_f16 v1, v1, v27
	v_pk_add_f16 v3, v3, v27
	v_pk_min_f16 v0, v5, v0
	s_delay_alu instid0(VALU_DEP_4) | instskip(NEXT) | instid1(VALU_DEP_2)
	v_pk_min_f16 v2, v6, v2
	v_pk_min_f16 v0, v0, v1
	s_delay_alu instid0(VALU_DEP_2) | instskip(NEXT) | instid1(VALU_DEP_2)
	v_pk_min_f16 v1, v2, v3
	v_lshrrev_b32_e32 v2, 16, v0
	s_delay_alu instid0(VALU_DEP_2) | instskip(NEXT) | instid1(VALU_DEP_2)
	v_lshrrev_b32_e32 v3, 16, v1
	v_min3_f16 v4, v4, v0, v2
	s_delay_alu instid0(VALU_DEP_2) | instskip(SKIP_2) | instid1(VALU_DEP_3)
	v_min_f16_e32 v0, v1, v3
	v_add_co_u32 v1, vcc_lo, v14, v38
	v_add_co_ci_u32_e32 v2, vcc_lo, v15, v39, vcc_lo
	v_max_f16_e32 v0, v0, v0
	s_mov_b32 vcc_lo, s2
	global_store_b16 v[1:2], v4, off
	s_cbranch_vccz .LBB221_174
; %bb.172:
	v_add_co_u32 v1, vcc_lo, v14, v36
	v_min_f16_e32 v3, 0, v0
	v_add_co_ci_u32_e32 v2, vcc_lo, v15, v37, vcc_lo
	s_mov_b32 s0, 0
	global_store_b16 v[1:2], v3, off
	s_cbranch_execz .LBB221_175
; %bb.173:
	v_mov_b32_e32 v0, s0
	s_branch .LBB221_176
.LBB221_174:
	s_mov_b32 s0, -1
.LBB221_175:
	v_add_co_u32 v1, vcc_lo, v12, v36
	v_add_co_ci_u32_e32 v2, vcc_lo, v13, v37, vcc_lo
	flat_load_u16 v1, v[1:2]
	s_waitcnt vmcnt(0) lgkmcnt(0)
	v_mul_f16_e32 v3, s5, v1
	v_add_co_u32 v1, vcc_lo, v14, v36
	v_add_co_ci_u32_e32 v2, vcc_lo, v15, v37, vcc_lo
	s_delay_alu instid0(VALU_DEP_3)
	v_min_f16_e32 v0, v3, v0
	v_add_co_u32 v3, vcc_lo, v12, v44
	v_add_co_ci_u32_e32 v4, vcc_lo, v13, v45, vcc_lo
	global_store_b16 v[1:2], v0, off
	flat_load_u16 v0, v[3:4]
	s_waitcnt vmcnt(0) lgkmcnt(0)
	v_mul_f16_e32 v0, s5, v0
.LBB221_176:
	v_pk_add_f16 v1, v24, v26
	v_pk_max_f16 v2, v48, v48
	v_pk_add_f16 v3, v25, v27
	s_delay_alu instid0(VALU_DEP_2) | instskip(NEXT) | instid1(VALU_DEP_1)
	v_pk_min_f16 v1, v2, v1
	v_pk_min_f16 v1, v1, v3
	s_delay_alu instid0(VALU_DEP_1) | instskip(NEXT) | instid1(VALU_DEP_1)
	v_lshrrev_b32_e32 v2, 16, v1
	v_min3_f16 v2, v0, v1, v2
	v_add_co_u32 v0, vcc_lo, v14, v44
	v_add_co_ci_u32_e32 v1, vcc_lo, v15, v45, vcc_lo
	global_store_b16 v[0:1], v2, off
	s_nop 0
	s_sendmsg sendmsg(MSG_DEALLOC_VGPRS)
	s_endpgm
	.section	.rodata,"a",@progbits
	.p2align	6, 0x0
	.amdhsa_kernel _ZN12_GLOBAL__N_120geam_min_plus_kernelIDF16_Dv2_DF16_S1_Li8ELi32ELi64ELi256ELi4ELi64ELi4ELi64ELi4ELc78ELc84ELb0ELb0ELb1EDF16_KPKDF16_KPDF16_EEviiiT16_PT17_ilS9_ilS7_S9_ilPT18_ili26rocblas_geam_ex_operation_
		.amdhsa_group_segment_fixed_size 5120
		.amdhsa_private_segment_fixed_size 0
		.amdhsa_kernarg_size 128
		.amdhsa_user_sgpr_count 14
		.amdhsa_user_sgpr_dispatch_ptr 0
		.amdhsa_user_sgpr_queue_ptr 0
		.amdhsa_user_sgpr_kernarg_segment_ptr 1
		.amdhsa_user_sgpr_dispatch_id 0
		.amdhsa_user_sgpr_private_segment_size 0
		.amdhsa_wavefront_size32 1
		.amdhsa_uses_dynamic_stack 0
		.amdhsa_enable_private_segment 0
		.amdhsa_system_sgpr_workgroup_id_x 1
		.amdhsa_system_sgpr_workgroup_id_y 0
		.amdhsa_system_sgpr_workgroup_id_z 1
		.amdhsa_system_sgpr_workgroup_info 0
		.amdhsa_system_vgpr_workitem_id 1
		.amdhsa_next_free_vgpr 153
		.amdhsa_next_free_sgpr 27
		.amdhsa_reserve_vcc 1
		.amdhsa_float_round_mode_32 0
		.amdhsa_float_round_mode_16_64 0
		.amdhsa_float_denorm_mode_32 3
		.amdhsa_float_denorm_mode_16_64 3
		.amdhsa_dx10_clamp 1
		.amdhsa_ieee_mode 1
		.amdhsa_fp16_overflow 0
		.amdhsa_workgroup_processor_mode 1
		.amdhsa_memory_ordered 1
		.amdhsa_forward_progress 0
		.amdhsa_shared_vgpr_count 0
		.amdhsa_exception_fp_ieee_invalid_op 0
		.amdhsa_exception_fp_denorm_src 0
		.amdhsa_exception_fp_ieee_div_zero 0
		.amdhsa_exception_fp_ieee_overflow 0
		.amdhsa_exception_fp_ieee_underflow 0
		.amdhsa_exception_fp_ieee_inexact 0
		.amdhsa_exception_int_div_zero 0
	.end_amdhsa_kernel
	.section	.text._ZN12_GLOBAL__N_120geam_min_plus_kernelIDF16_Dv2_DF16_S1_Li8ELi32ELi64ELi256ELi4ELi64ELi4ELi64ELi4ELc78ELc84ELb0ELb0ELb1EDF16_KPKDF16_KPDF16_EEviiiT16_PT17_ilS9_ilS7_S9_ilPT18_ili26rocblas_geam_ex_operation_,"axG",@progbits,_ZN12_GLOBAL__N_120geam_min_plus_kernelIDF16_Dv2_DF16_S1_Li8ELi32ELi64ELi256ELi4ELi64ELi4ELi64ELi4ELc78ELc84ELb0ELb0ELb1EDF16_KPKDF16_KPDF16_EEviiiT16_PT17_ilS9_ilS7_S9_ilPT18_ili26rocblas_geam_ex_operation_,comdat
.Lfunc_end221:
	.size	_ZN12_GLOBAL__N_120geam_min_plus_kernelIDF16_Dv2_DF16_S1_Li8ELi32ELi64ELi256ELi4ELi64ELi4ELi64ELi4ELc78ELc84ELb0ELb0ELb1EDF16_KPKDF16_KPDF16_EEviiiT16_PT17_ilS9_ilS7_S9_ilPT18_ili26rocblas_geam_ex_operation_, .Lfunc_end221-_ZN12_GLOBAL__N_120geam_min_plus_kernelIDF16_Dv2_DF16_S1_Li8ELi32ELi64ELi256ELi4ELi64ELi4ELi64ELi4ELc78ELc84ELb0ELb0ELb1EDF16_KPKDF16_KPDF16_EEviiiT16_PT17_ilS9_ilS7_S9_ilPT18_ili26rocblas_geam_ex_operation_
                                        ; -- End function
	.section	.AMDGPU.csdata,"",@progbits
; Kernel info:
; codeLenInByte = 18616
; NumSgprs: 29
; NumVgprs: 153
; ScratchSize: 0
; MemoryBound: 0
; FloatMode: 240
; IeeeMode: 1
; LDSByteSize: 5120 bytes/workgroup (compile time only)
; SGPRBlocks: 3
; VGPRBlocks: 19
; NumSGPRsForWavesPerEU: 29
; NumVGPRsForWavesPerEU: 153
; Occupancy: 9
; WaveLimiterHint : 1
; COMPUTE_PGM_RSRC2:SCRATCH_EN: 0
; COMPUTE_PGM_RSRC2:USER_SGPR: 14
; COMPUTE_PGM_RSRC2:TRAP_HANDLER: 0
; COMPUTE_PGM_RSRC2:TGID_X_EN: 1
; COMPUTE_PGM_RSRC2:TGID_Y_EN: 0
; COMPUTE_PGM_RSRC2:TGID_Z_EN: 1
; COMPUTE_PGM_RSRC2:TIDIG_COMP_CNT: 1
	.section	.text._ZN12_GLOBAL__N_120geam_min_plus_kernelIDF16_Dv2_DF16_S1_Li8ELi32ELi64ELi256ELi4ELi64ELi4ELi64ELi4ELc78ELc84ELb0ELb1ELb1EPKDF16_KS3_KPDF16_EEviiiT16_PT17_ilS9_ilS7_S9_ilPT18_ili26rocblas_geam_ex_operation_,"axG",@progbits,_ZN12_GLOBAL__N_120geam_min_plus_kernelIDF16_Dv2_DF16_S1_Li8ELi32ELi64ELi256ELi4ELi64ELi4ELi64ELi4ELc78ELc84ELb0ELb1ELb1EPKDF16_KS3_KPDF16_EEviiiT16_PT17_ilS9_ilS7_S9_ilPT18_ili26rocblas_geam_ex_operation_,comdat
	.globl	_ZN12_GLOBAL__N_120geam_min_plus_kernelIDF16_Dv2_DF16_S1_Li8ELi32ELi64ELi256ELi4ELi64ELi4ELi64ELi4ELc78ELc84ELb0ELb1ELb1EPKDF16_KS3_KPDF16_EEviiiT16_PT17_ilS9_ilS7_S9_ilPT18_ili26rocblas_geam_ex_operation_ ; -- Begin function _ZN12_GLOBAL__N_120geam_min_plus_kernelIDF16_Dv2_DF16_S1_Li8ELi32ELi64ELi256ELi4ELi64ELi4ELi64ELi4ELc78ELc84ELb0ELb1ELb1EPKDF16_KS3_KPDF16_EEviiiT16_PT17_ilS9_ilS7_S9_ilPT18_ili26rocblas_geam_ex_operation_
	.p2align	8
	.type	_ZN12_GLOBAL__N_120geam_min_plus_kernelIDF16_Dv2_DF16_S1_Li8ELi32ELi64ELi256ELi4ELi64ELi4ELi64ELi4ELc78ELc84ELb0ELb1ELb1EPKDF16_KS3_KPDF16_EEviiiT16_PT17_ilS9_ilS7_S9_ilPT18_ili26rocblas_geam_ex_operation_,@function
_ZN12_GLOBAL__N_120geam_min_plus_kernelIDF16_Dv2_DF16_S1_Li8ELi32ELi64ELi256ELi4ELi64ELi4ELi64ELi4ELc78ELc84ELb0ELb1ELb1EPKDF16_KS3_KPDF16_EEviiiT16_PT17_ilS9_ilS7_S9_ilPT18_ili26rocblas_geam_ex_operation_: ; @_ZN12_GLOBAL__N_120geam_min_plus_kernelIDF16_Dv2_DF16_S1_Li8ELi32ELi64ELi256ELi4ELi64ELi4ELi64ELi4ELc78ELc84ELb0ELb1ELb1EPKDF16_KS3_KPDF16_EEviiiT16_PT17_ilS9_ilS7_S9_ilPT18_ili26rocblas_geam_ex_operation_
; %bb.0:
	s_clause 0x1
	s_load_b128 s[16:19], s[0:1], 0x10
	s_load_b128 s[4:7], s[0:1], 0x40
	s_mov_b32 s12, s15
	s_mov_b32 s13, 0
	v_mov_b32_e32 v1, 0
	s_lshl_b64 s[2:3], s[12:13], 1
	s_load_b128 s[8:11], s[0:1], 0x28
	s_mov_b64 s[20:21], 0
	s_mov_b64 s[22:23], 0
	s_waitcnt lgkmcnt(0)
	s_add_u32 s16, s16, s2
	s_addc_u32 s17, s17, s3
	s_add_u32 s2, s6, s2
	global_load_u16 v46, v1, s[16:17]
	s_addc_u32 s3, s7, s3
	global_load_u16 v48, v1, s[2:3]
	s_load_b64 s[16:17], s[0:1], 0x50
	s_waitcnt vmcnt(1)
	v_cmp_eq_f16_e64 s3, 0, v46
	v_cmp_neq_f16_e64 s2, 0, v46
	s_delay_alu instid0(VALU_DEP_2)
	s_and_b32 vcc_lo, exec_lo, s3
	s_cbranch_vccnz .LBB222_2
; %bb.1:
	s_lshl_b64 s[6:7], s[12:13], 3
	s_delay_alu instid0(SALU_CYCLE_1)
	s_add_u32 s6, s18, s6
	s_addc_u32 s7, s19, s7
	s_lshl_b64 s[8:9], s[8:9], 1
	s_load_b64 s[6:7], s[6:7], 0x0
	s_waitcnt lgkmcnt(0)
	s_add_u32 s22, s6, s8
	s_addc_u32 s23, s7, s9
.LBB222_2:
	s_delay_alu instid0(VALU_DEP_1)
	s_and_not1_b32 vcc_lo, exec_lo, s2
	s_cbranch_vccnz .LBB222_4
; %bb.3:
	s_lshl_b64 s[6:7], s[12:13], 3
	s_delay_alu instid0(SALU_CYCLE_1)
	s_add_u32 s6, s10, s6
	s_addc_u32 s7, s11, s7
	s_lshl_b64 s[4:5], s[4:5], 1
	s_load_b64 s[6:7], s[6:7], 0x0
	s_waitcnt lgkmcnt(0)
	s_add_u32 s20, s6, s4
	s_addc_u32 s21, s7, s5
.LBB222_4:
	s_load_b128 s[4:7], s[0:1], 0x60
	s_waitcnt vmcnt(0)
	v_cmp_eq_f16_e32 vcc_lo, 0, v48
	v_cmp_neq_f16_e64 s2, 0, v48
	s_cbranch_vccnz .LBB222_6
; %bb.5:
	s_lshl_b64 s[8:9], s[12:13], 3
	s_waitcnt lgkmcnt(0)
	s_add_u32 s8, s16, s8
	s_addc_u32 s9, s17, s9
	s_lshl_b64 s[4:5], s[4:5], 1
	s_load_b64 s[8:9], s[8:9], 0x0
	s_waitcnt lgkmcnt(0)
	s_add_u32 s10, s8, s4
	s_addc_u32 s11, s9, s5
	s_branch .LBB222_7
.LBB222_6:
	s_mov_b64 s[10:11], 0
.LBB222_7:
	s_load_b32 s24, s[0:1], 0x20
	s_waitcnt lgkmcnt(0)
	s_load_b128 s[16:19], s[0:1], 0x0
	s_lshl_b64 s[4:5], s[12:13], 3
	v_and_b32_e32 v44, 0x3ff, v0
	v_bfe_u32 v45, v0, 10, 10
                                        ; implicit-def: $vgpr16
	s_delay_alu instid0(VALU_DEP_1) | instskip(NEXT) | instid1(VALU_DEP_1)
	v_lshl_add_u32 v0, v45, 3, v44
	v_and_b32_e32 v15, 63, v0
	v_lshrrev_b32_e32 v47, 6, v0
	s_ashr_i32 s25, s24, 31
	s_add_u32 s6, s6, s4
	s_addc_u32 s7, s7, s5
	s_waitcnt lgkmcnt(0)
	s_add_i32 s4, s16, -1
	s_delay_alu instid0(SALU_CYCLE_1) | instskip(NEXT) | instid1(SALU_CYCLE_1)
	s_ashr_i32 s5, s4, 31
	s_lshr_b32 s5, s5, 26
	s_delay_alu instid0(SALU_CYCLE_1) | instskip(NEXT) | instid1(SALU_CYCLE_1)
	s_add_i32 s5, s4, s5
	s_ashr_i32 s5, s5, 6
	s_delay_alu instid0(SALU_CYCLE_1) | instskip(SKIP_2) | instid1(VALU_DEP_1)
	s_add_i32 s8, s5, 1
	s_not_b32 s5, s5
	v_cvt_f32_u32_e32 v1, s8
	v_rcp_iflag_f32_e32 v1, v1
	s_waitcnt_depctr 0xfff
	v_mul_f32_e32 v1, 0x4f7ffffe, v1
	s_delay_alu instid0(VALU_DEP_1) | instskip(NEXT) | instid1(VALU_DEP_1)
	v_cvt_u32_f32_e32 v1, v1
	v_readfirstlane_b32 s9, v1
	s_delay_alu instid0(VALU_DEP_1) | instskip(NEXT) | instid1(SALU_CYCLE_1)
	s_mul_i32 s5, s5, s9
	s_mul_hi_u32 s5, s9, s5
	s_delay_alu instid0(SALU_CYCLE_1) | instskip(NEXT) | instid1(SALU_CYCLE_1)
	s_add_i32 s9, s9, s5
	s_mul_hi_u32 s5, s14, s9
	s_delay_alu instid0(SALU_CYCLE_1) | instskip(SKIP_2) | instid1(SALU_CYCLE_1)
	s_mul_i32 s9, s5, s8
	s_add_i32 s12, s5, 1
	s_sub_i32 s9, s14, s9
	s_sub_i32 s13, s9, s8
	s_cmp_ge_u32 s9, s8
	s_cselect_b32 s5, s12, s5
	s_cselect_b32 s9, s13, s9
	s_add_i32 s12, s5, 1
	s_cmp_ge_u32 s9, s8
	s_cselect_b32 s5, s12, s5
	s_load_b64 s[12:13], s[6:7], 0x0
	s_mul_i32 s8, s5, s8
	s_add_i32 s27, s18, -1
	s_sub_i32 s8, s14, s8
	v_min_i32_e32 v2, s27, v47
	s_lshl_b32 s19, s8, 6
	v_cmp_le_i32_e64 s8, s18, v47
	v_or_b32_e32 v0, s19, v15
	s_delay_alu instid0(VALU_DEP_3) | instskip(NEXT) | instid1(VALU_DEP_2)
	v_ashrrev_i32_e32 v3, 31, v2
	v_cmp_le_i32_e32 vcc_lo, s16, v0
	v_min_i32_e32 v0, s4, v0
	s_or_b32 s6, vcc_lo, s8
	s_delay_alu instid0(VALU_DEP_1) | instskip(SKIP_1) | instid1(SALU_CYCLE_1)
	v_ashrrev_i32_e32 v1, 31, v0
	s_or_b32 s4, s3, s6
	s_xor_b32 s4, s4, -1
	s_delay_alu instid0(SALU_CYCLE_1) | instskip(NEXT) | instid1(SALU_CYCLE_1)
	s_and_saveexec_b32 s7, s4
	s_xor_b32 s7, exec_lo, s7
	s_cbranch_execz .LBB222_9
; %bb.8:
	v_mad_i64_i32 v[4:5], null, s24, v2, 0
	v_lshlrev_b64 v[6:7], 1, v[0:1]
	s_delay_alu instid0(VALU_DEP_2) | instskip(NEXT) | instid1(VALU_DEP_1)
	v_lshlrev_b64 v[4:5], 1, v[4:5]
	v_add_co_u32 v4, s4, s22, v4
	s_delay_alu instid0(VALU_DEP_1) | instskip(NEXT) | instid1(VALU_DEP_2)
	v_add_co_ci_u32_e64 v5, s4, s23, v5, s4
	v_add_co_u32 v4, s4, v4, v6
	s_delay_alu instid0(VALU_DEP_1)
	v_add_co_ci_u32_e64 v5, s4, v5, v7, s4
	flat_load_u16 v4, v[4:5]
	s_waitcnt vmcnt(0) lgkmcnt(0)
	v_mul_f16_e32 v16, v46, v4
.LBB222_9:
	s_and_not1_saveexec_b32 s4, s7
; %bb.10:
	v_cndmask_b32_e64 v16, 0, 0x7c00, s6
; %bb.11:
	s_or_b32 exec_lo, exec_lo, s4
	s_load_b32 s28, s[0:1], 0x38
	s_lshl_b32 s26, s5, 8
	s_waitcnt lgkmcnt(0)
	s_ashr_i32 s14, s28, 31
	v_mul_lo_u32 v5, v3, s28
	v_mad_u64_u32 v[3:4], null, v2, s28, 0
	v_mul_lo_u32 v6, v2, s14
	v_or_b32_e32 v2, s26, v15
	s_delay_alu instid0(VALU_DEP_1) | instskip(NEXT) | instid1(VALU_DEP_3)
	v_cmp_le_i32_e64 s4, s17, v2
	v_add3_u32 v4, v4, v6, v5
	s_delay_alu instid0(VALU_DEP_2) | instskip(NEXT) | instid1(VALU_DEP_1)
	s_or_b32 s6, s4, s8
	v_lshlrev_b64 v[3:4], 1, v[3:4]
	v_cndmask_b32_e64 v17, 0, 0x7c00, s6
	s_delay_alu instid0(VALU_DEP_2) | instskip(NEXT) | instid1(VALU_DEP_1)
	v_add_co_u32 v10, s5, s20, v3
	v_add_co_ci_u32_e64 v11, s5, s21, v4, s5
	v_ashrrev_i32_e32 v3, 31, v2
	s_or_b32 s5, s3, s6
	s_delay_alu instid0(SALU_CYCLE_1) | instskip(NEXT) | instid1(SALU_CYCLE_1)
	s_xor_b32 s5, s5, -1
	s_and_saveexec_b32 s6, s5
	s_cbranch_execz .LBB222_13
; %bb.12:
	v_lshlrev_b64 v[4:5], 1, v[2:3]
	s_delay_alu instid0(VALU_DEP_1) | instskip(NEXT) | instid1(VALU_DEP_1)
	v_add_co_u32 v4, s5, v10, v4
	v_add_co_ci_u32_e64 v5, s5, v11, v5, s5
	flat_load_u16 v4, v[4:5]
	s_waitcnt vmcnt(0) lgkmcnt(0)
	v_mul_f16_e32 v17, v46, v4
.LBB222_13:
	s_or_b32 exec_lo, exec_lo, s6
	v_or_b32_e32 v4, 64, v2
	s_add_i32 s9, s17, -1
	s_delay_alu instid0(VALU_DEP_1) | instskip(SKIP_1) | instid1(VALU_DEP_2)
	v_cmp_le_i32_e64 s5, s17, v4
	v_min_i32_e32 v4, s9, v4
	s_or_b32 s6, s5, s8
	s_delay_alu instid0(VALU_DEP_1) | instskip(SKIP_2) | instid1(SALU_CYCLE_1)
	v_ashrrev_i32_e32 v5, 31, v4
	v_cndmask_b32_e64 v18, 0, 0x7c00, s6
	s_or_b32 s6, s3, s6
	s_xor_b32 s6, s6, -1
	s_delay_alu instid0(SALU_CYCLE_1)
	s_and_saveexec_b32 s7, s6
	s_cbranch_execz .LBB222_15
; %bb.14:
	v_lshlrev_b64 v[6:7], 1, v[4:5]
	s_delay_alu instid0(VALU_DEP_1) | instskip(NEXT) | instid1(VALU_DEP_1)
	v_add_co_u32 v6, s6, v10, v6
	v_add_co_ci_u32_e64 v7, s6, v11, v7, s6
	flat_load_u16 v6, v[6:7]
	s_waitcnt vmcnt(0) lgkmcnt(0)
	v_mul_f16_e32 v18, v46, v6
.LBB222_15:
	s_or_b32 exec_lo, exec_lo, s7
	v_or_b32_e32 v6, 0x80, v2
	s_delay_alu instid0(VALU_DEP_1) | instskip(SKIP_1) | instid1(VALU_DEP_2)
	v_cmp_le_i32_e64 s6, s17, v6
	v_min_i32_e32 v6, s9, v6
	s_or_b32 s7, s6, s8
	s_delay_alu instid0(VALU_DEP_1) | instskip(SKIP_2) | instid1(SALU_CYCLE_1)
	v_ashrrev_i32_e32 v7, 31, v6
	v_cndmask_b32_e64 v19, 0, 0x7c00, s7
	s_or_b32 s7, s3, s7
	s_xor_b32 s7, s7, -1
	s_delay_alu instid0(SALU_CYCLE_1)
	s_and_saveexec_b32 s15, s7
	s_cbranch_execz .LBB222_17
; %bb.16:
	v_lshlrev_b64 v[8:9], 1, v[6:7]
	s_delay_alu instid0(VALU_DEP_1) | instskip(NEXT) | instid1(VALU_DEP_1)
	v_add_co_u32 v8, s7, v10, v8
	v_add_co_ci_u32_e64 v9, s7, v11, v9, s7
	flat_load_u16 v8, v[8:9]
	s_waitcnt vmcnt(0) lgkmcnt(0)
	v_mul_f16_e32 v19, v46, v8
.LBB222_17:
	s_or_b32 exec_lo, exec_lo, s15
	v_or_b32_e32 v8, 0xc0, v2
	s_delay_alu instid0(VALU_DEP_1) | instskip(SKIP_1) | instid1(VALU_DEP_2)
	v_cmp_le_i32_e64 s7, s17, v8
	v_min_i32_e32 v8, s9, v8
	s_or_b32 s8, s7, s8
	s_delay_alu instid0(VALU_DEP_1) | instskip(SKIP_2) | instid1(SALU_CYCLE_1)
	v_ashrrev_i32_e32 v9, 31, v8
	v_cndmask_b32_e64 v20, 0, 0x7c00, s8
	s_or_b32 s8, s3, s8
	s_xor_b32 s8, s8, -1
	s_delay_alu instid0(SALU_CYCLE_1)
	s_and_saveexec_b32 s9, s8
	s_cbranch_execz .LBB222_19
; %bb.18:
	v_lshlrev_b64 v[12:13], 1, v[8:9]
	s_delay_alu instid0(VALU_DEP_1) | instskip(NEXT) | instid1(VALU_DEP_1)
	v_add_co_u32 v10, s8, v10, v12
	v_add_co_ci_u32_e64 v11, s8, v11, v13, s8
	flat_load_u16 v10, v[10:11]
	s_waitcnt vmcnt(0) lgkmcnt(0)
	v_mul_f16_e32 v20, v46, v10
.LBB222_19:
	s_or_b32 exec_lo, exec_lo, s9
	v_add_nc_u32_e32 v10, 4, v47
	s_delay_alu instid0(VALU_DEP_1) | instskip(SKIP_1) | instid1(VALU_DEP_2)
	v_cmp_le_i32_e64 s8, s18, v10
	v_min_i32_e32 v11, s27, v10
                                        ; implicit-def: $vgpr10
	s_or_b32 s15, vcc_lo, s8
	s_delay_alu instid0(VALU_DEP_1) | instskip(SKIP_1) | instid1(SALU_CYCLE_1)
	v_ashrrev_i32_e32 v12, 31, v11
	s_or_b32 s9, s3, s15
	s_xor_b32 s9, s9, -1
	s_delay_alu instid0(SALU_CYCLE_1) | instskip(NEXT) | instid1(SALU_CYCLE_1)
	s_and_saveexec_b32 s29, s9
	s_xor_b32 s29, exec_lo, s29
	s_cbranch_execz .LBB222_21
; %bb.20:
	v_mad_i64_i32 v[13:14], null, s24, v11, 0
	v_lshlrev_b64 v[21:22], 1, v[0:1]
	s_delay_alu instid0(VALU_DEP_2) | instskip(NEXT) | instid1(VALU_DEP_1)
	v_lshlrev_b64 v[13:14], 1, v[13:14]
	v_add_co_u32 v10, s9, s22, v13
	s_delay_alu instid0(VALU_DEP_1) | instskip(NEXT) | instid1(VALU_DEP_2)
	v_add_co_ci_u32_e64 v14, s9, s23, v14, s9
	v_add_co_u32 v13, s9, v10, v21
	s_delay_alu instid0(VALU_DEP_1)
	v_add_co_ci_u32_e64 v14, s9, v14, v22, s9
	flat_load_u16 v10, v[13:14]
	s_waitcnt vmcnt(0) lgkmcnt(0)
	v_mul_f16_e32 v10, v46, v10
.LBB222_21:
	s_and_not1_saveexec_b32 s9, s29
; %bb.22:
	v_cndmask_b32_e64 v10, 0, 0x7c00, s15
; %bb.23:
	s_or_b32 exec_lo, exec_lo, s9
	v_mul_lo_u32 v14, v12, s28
	v_mul_lo_u32 v21, v11, s14
	v_mad_u64_u32 v[12:13], null, v11, s28, 0
	s_delay_alu instid0(VALU_DEP_1) | instskip(NEXT) | instid1(VALU_DEP_1)
	v_add3_u32 v13, v13, v21, v14
	v_lshlrev_b64 v[11:12], 1, v[12:13]
	s_delay_alu instid0(VALU_DEP_1) | instskip(NEXT) | instid1(VALU_DEP_1)
	v_add_co_u32 v21, s9, s20, v11
	v_add_co_ci_u32_e64 v22, s9, s21, v12, s9
	s_or_b32 s9, s4, s8
	s_delay_alu instid0(SALU_CYCLE_1) | instskip(SKIP_1) | instid1(SALU_CYCLE_1)
	v_cndmask_b32_e64 v11, 0, 0x7c00, s9
	s_or_b32 s9, s3, s9
	s_xor_b32 s9, s9, -1
	s_delay_alu instid0(SALU_CYCLE_1)
	s_and_saveexec_b32 s14, s9
	s_cbranch_execz .LBB222_25
; %bb.24:
	v_lshlrev_b64 v[11:12], 1, v[2:3]
	s_delay_alu instid0(VALU_DEP_1) | instskip(NEXT) | instid1(VALU_DEP_1)
	v_add_co_u32 v11, s9, v21, v11
	v_add_co_ci_u32_e64 v12, s9, v22, v12, s9
	flat_load_u16 v11, v[11:12]
	s_waitcnt vmcnt(0) lgkmcnt(0)
	v_mul_f16_e32 v11, v46, v11
.LBB222_25:
	s_or_b32 exec_lo, exec_lo, s14
	s_or_b32 s9, s5, s8
	s_delay_alu instid0(SALU_CYCLE_1) | instskip(SKIP_1) | instid1(SALU_CYCLE_1)
	v_cndmask_b32_e64 v12, 0, 0x7c00, s9
	s_or_b32 s9, s3, s9
	s_xor_b32 s9, s9, -1
	s_delay_alu instid0(SALU_CYCLE_1)
	s_and_saveexec_b32 s14, s9
	s_cbranch_execz .LBB222_27
; %bb.26:
	v_lshlrev_b64 v[12:13], 1, v[4:5]
	s_delay_alu instid0(VALU_DEP_1) | instskip(NEXT) | instid1(VALU_DEP_1)
	v_add_co_u32 v12, s9, v21, v12
	v_add_co_ci_u32_e64 v13, s9, v22, v13, s9
	flat_load_u16 v12, v[12:13]
	s_waitcnt vmcnt(0) lgkmcnt(0)
	v_mul_f16_e32 v12, v46, v12
.LBB222_27:
	s_or_b32 exec_lo, exec_lo, s14
	;; [unrolled: 18-line block ×4, first 2 shown]
	v_lshlrev_b32_e32 v21, 1, v47
	v_lshlrev_b32_e32 v73, 3, v44
	;; [unrolled: 1-line block ×3, first 2 shown]
	s_cmp_lt_i32 s18, 9
	s_delay_alu instid0(VALU_DEP_3) | instskip(NEXT) | instid1(VALU_DEP_3)
	v_lshl_add_u32 v98, v15, 3, v21
	v_add_nc_u32_e32 v31, 0x1000, v73
	ds_store_b16 v98, v17
	ds_store_b16 v98, v18 offset:512
	ds_store_b16 v98, v19 offset:1024
	ds_store_b16 v98, v16 offset:4096
	ds_store_b16 v98, v20 offset:1536
	s_waitcnt lgkmcnt(0)
	s_barrier
	buffer_gl0_inv
	ds_load_2addr_b64 v[15:18], v31 offset1:8
	ds_load_2addr_b64 v[19:22], v81 offset1:32
	ds_load_2addr_b64 v[23:26], v31 offset0:16 offset1:24
	ds_load_2addr_b64 v[27:30], v31 offset0:32 offset1:40
	;; [unrolled: 1-line block ×5, first 2 shown]
	s_waitcnt lgkmcnt(5)
	v_pk_add_f16 v43, v15, v19
	s_waitcnt lgkmcnt(4)
	v_pk_add_f16 v50, v23, v19
	v_pk_add_f16 v49, v17, v19
	s_waitcnt lgkmcnt(2)
	v_pk_add_f16 v54, v31, v19
	v_pk_add_f16 v82, v24, v20
	;; [unrolled: 1-line block ×3, first 2 shown]
	v_pk_min_f16 v50, 0x7c00, v50 op_sel_hi:[0,1]
	v_pk_add_f16 v53, v29, v19
	v_pk_add_f16 v59, v25, v21
	s_waitcnt lgkmcnt(1)
	v_pk_add_f16 v64, v15, v35
	v_pk_add_f16 v65, v17, v35
	;; [unrolled: 1-line block ×11, first 2 shown]
	v_pk_min_f16 v43, 0x7c00, v43 op_sel_hi:[0,1]
	v_pk_min_f16 v49, 0x7c00, v49 op_sel_hi:[0,1]
	v_pk_min_f16 v121, v50, v82
	v_pk_min_f16 v50, 0x7c00, v54 op_sel_hi:[0,1]
	v_pk_add_f16 v57, v17, v21
	v_pk_add_f16 v58, v23, v21
	v_pk_add_f16 v71, v15, v37
	v_pk_add_f16 v72, v17, v37
	v_pk_add_f16 v84, v28, v20
	v_pk_add_f16 v85, v30, v20
	v_pk_add_f16 v91, v26, v22
	v_pk_add_f16 v96, v16, v36
	v_pk_add_f16 v97, v18, v36
	v_pk_add_f16 v111, v24, v36
	v_pk_add_f16 v112, v26, v36
	v_pk_add_f16 v113, v28, v36
	v_pk_add_f16 v114, v30, v36
	v_pk_add_f16 v115, v32, v36
	v_pk_add_f16 v36, v34, v36
	v_pk_min_f16 v123, v43, v79
	v_pk_min_f16 v122, v49, v80
	v_pk_min_f16 v43, 0x7c00, v52 op_sel_hi:[0,1]
	v_pk_min_f16 v49, 0x7c00, v53 op_sel_hi:[0,1]
	v_pk_min_f16 v109, v50, v86
	v_pk_min_f16 v50, 0x7c00, v59 op_sel_hi:[0,1]
	v_pk_min_f16 v35, 0x7c00, v35 op_sel_hi:[0,1]
	v_pk_add_f16 v51, v25, v19
	v_pk_add_f16 v55, v33, v19
	;; [unrolled: 1-line block ×20, first 2 shown]
	ds_load_2addr_b64 v[19:22], v81 offset0:192 offset1:224
	v_pk_min_f16 v116, v43, v84
	v_pk_min_f16 v110, v49, v85
	v_pk_min_f16 v43, 0x7c00, v57 op_sel_hi:[0,1]
	v_pk_min_f16 v49, 0x7c00, v58 op_sel_hi:[0,1]
	v_pk_min_f16 v104, v50, v91
	v_pk_min_f16 v91, v35, v36
	v_pk_min_f16 v35, 0x7c00, v71 op_sel_hi:[0,1]
	v_pk_min_f16 v36, 0x7c00, v72 op_sel_hi:[0,1]
	v_pk_add_f16 v74, v23, v37
	v_pk_add_f16 v75, v25, v37
	;; [unrolled: 1-line block ×6, first 2 shown]
	s_waitcnt lgkmcnt(1)
	v_pk_add_f16 v130, v23, v39
	v_pk_add_f16 v131, v25, v39
	v_pk_min_f16 v51, 0x7c00, v51 op_sel_hi:[0,1]
	v_pk_min_f16 v106, v43, v89
	v_pk_min_f16 v105, v49, v90
	v_pk_min_f16 v90, v35, v117
	v_pk_min_f16 v89, v36, v118
	v_pk_min_f16 v35, 0x7c00, v77 op_sel_hi:[0,1]
	v_pk_min_f16 v36, 0x7c00, v78 op_sel_hi:[0,1]
	v_pk_add_f16 v119, v24, v38
	v_pk_add_f16 v124, v26, v38
	;; [unrolled: 1-line block ×13, first 2 shown]
	v_pk_min_f16 v120, v51, v83
	v_pk_min_f16 v51, 0x7c00, v55 op_sel_hi:[0,1]
	v_pk_min_f16 v52, 0x7c00, v56 op_sel_hi:[0,1]
	;; [unrolled: 1-line block ×5, first 2 shown]
	v_pk_min_f16 v85, v35, v126
	v_pk_min_f16 v84, v36, v127
	v_pk_min_f16 v35, 0x7c00, v130 op_sel_hi:[0,1]
	v_pk_min_f16 v36, 0x7c00, v131 op_sel_hi:[0,1]
	v_pk_add_f16 v136, v17, v41
	v_pk_add_f16 v137, v23, v41
	;; [unrolled: 1-line block ×14, first 2 shown]
	v_pk_min_f16 v108, v51, v87
	v_pk_min_f16 v107, v52, v88
	v_pk_min_f16 v51, 0x7c00, v60 op_sel_hi:[0,1]
	v_pk_min_f16 v52, 0x7c00, v61 op_sel_hi:[0,1]
	;; [unrolled: 1-line block ×3, first 2 shown]
	v_pk_min_f16 v101, v43, v94
	v_pk_min_f16 v99, v50, v96
	v_pk_min_f16 v43, 0x7c00, v67 op_sel_hi:[0,1]
	v_pk_min_f16 v50, 0x7c00, v69 op_sel_hi:[0,1]
	v_pk_min_f16 v83, v37, v38
	v_pk_min_f16 v37, 0x7c00, v132 op_sel_hi:[0,1]
	v_pk_min_f16 v38, 0x7c00, v133 op_sel_hi:[0,1]
	v_pk_min_f16 v79, v35, v144
	v_pk_min_f16 v78, v36, v145
	v_pk_min_f16 v35, 0x7c00, v39 op_sel_hi:[0,1]
	v_pk_min_f16 v36, 0x7c00, v135 op_sel_hi:[0,1]
	v_pk_add_f16 v150, v18, v42
	v_pk_add_f16 v151, v24, v42
	v_pk_add_f16 v152, v26, v42
	v_pk_add_f16 v153, v28, v42
	v_pk_add_f16 v154, v30, v42
	v_pk_add_f16 v155, v32, v42
	v_pk_add_f16 v42, v34, v42
	v_pk_min_f16 v103, v51, v92
	v_pk_min_f16 v102, v52, v93
	v_pk_min_f16 v51, 0x7c00, v65 op_sel_hi:[0,1]
	v_pk_min_f16 v100, v49, v95
	v_pk_min_f16 v95, v43, v112
	;; [unrolled: 1-line block ×3, first 2 shown]
	v_pk_min_f16 v43, 0x7c00, v74 op_sel_hi:[0,1]
	v_pk_min_f16 v50, 0x7c00, v76 op_sel_hi:[0,1]
	v_pk_min_f16 v77, v37, v146
	v_pk_min_f16 v76, v38, v147
	v_pk_min_f16 v37, 0x7c00, v136 op_sel_hi:[0,1]
	v_pk_min_f16 v38, 0x7c00, v137 op_sel_hi:[0,1]
	;; [unrolled: 1-line block ×4, first 2 shown]
	v_pk_min_f16 v74, v35, v40
	s_waitcnt lgkmcnt(0)
	v_pk_add_f16 v35, v23, v19
	v_pk_min_f16 v72, v36, v149
	v_pk_add_f16 v36, v25, v19
	v_pk_add_f16 v156, v15, v19
	v_pk_add_f16 v157, v17, v19
	v_pk_add_f16 v15, v15, v21
	v_pk_min_f16 v97, v51, v97
	v_pk_min_f16 v49, 0x7c00, v68 op_sel_hi:[0,1]
	v_pk_min_f16 v51, 0x7c00, v70 op_sel_hi:[0,1]
	v_pk_min_f16 v71, v37, v150
	v_pk_add_f16 v37, v27, v19
	v_pk_min_f16 v70, v38, v151
	v_pk_add_f16 v38, v29, v19
	;; [unrolled: 2-line block ×3, first 2 shown]
	v_pk_min_f16 v35, 0x7c00, v35 op_sel_hi:[0,1]
	v_pk_min_f16 v36, 0x7c00, v36 op_sel_hi:[0,1]
	v_pk_add_f16 v19, v33, v19
	v_pk_min_f16 v65, v41, v42
	v_pk_add_f16 v40, v24, v20
	v_pk_add_f16 v41, v26, v20
	;; [unrolled: 1-line block ×6, first 2 shown]
	v_pk_min_f16 v94, v49, v113
	v_pk_min_f16 v49, 0x7c00, v75 op_sel_hi:[0,1]
	v_pk_min_f16 v88, v43, v119
	v_pk_min_f16 v43, 0x7c00, v128 op_sel_hi:[0,1]
	v_pk_add_f16 v23, v23, v21
	v_pk_min_f16 v19, 0x7c00, v19 op_sel_hi:[0,1]
	v_pk_min_f16 v15, 0x7c00, v15 op_sel_hi:[0,1]
	v_pk_add_f16 v42, v28, v20
	v_pk_min_f16 v62, v35, v40
	v_pk_add_f16 v35, v30, v20
	v_pk_min_f16 v61, v36, v41
	v_pk_add_f16 v36, v32, v20
	v_pk_add_f16 v20, v34, v20
	;; [unrolled: 1-line block ×3, first 2 shown]
	v_pk_min_f16 v52, 0x7c00, v66 op_sel_hi:[0,1]
	v_pk_min_f16 v87, v49, v124
	v_pk_min_f16 v49, 0x7c00, v129 op_sel_hi:[0,1]
	v_pk_min_f16 v82, v43, v142
	v_pk_min_f16 v43, 0x7c00, v134 op_sel_hi:[0,1]
	v_pk_add_f16 v25, v25, v21
	v_pk_min_f16 v17, 0x7c00, v17 op_sel_hi:[0,1]
	v_pk_min_f16 v23, 0x7c00, v23 op_sel_hi:[0,1]
	v_pk_add_f16 v27, v27, v21
	v_pk_add_f16 v29, v29, v21
	v_pk_min_f16 v57, v19, v20
	v_pk_add_f16 v19, v31, v21
	v_pk_min_f16 v56, v15, v16
	v_pk_add_f16 v15, v33, v21
	v_pk_add_f16 v16, v24, v22
	v_pk_min_f16 v96, v52, v111
	v_pk_min_f16 v92, v51, v115
	;; [unrolled: 1-line block ×5, first 2 shown]
	v_pk_min_f16 v43, 0x7c00, v139 op_sel_hi:[0,1]
	v_pk_min_f16 v49, 0x7c00, v140 op_sel_hi:[0,1]
	;; [unrolled: 1-line block ×9, first 2 shown]
	v_pk_min_f16 v55, v17, v18
	v_pk_min_f16 v17, 0x7c00, v27 op_sel_hi:[0,1]
	v_pk_min_f16 v18, 0x7c00, v29 op_sel_hi:[0,1]
	;; [unrolled: 1-line block ×4, first 2 shown]
	v_pk_min_f16 v54, v23, v16
	v_pk_add_f16 v16, v26, v22
	v_pk_add_f16 v20, v28, v22
	;; [unrolled: 1-line block ×5, first 2 shown]
	v_pk_min_f16 v68, v43, v153
	v_pk_min_f16 v67, v49, v154
	;; [unrolled: 1-line block ×13, first 2 shown]
	ds_store_b16 v98, v11 offset:2048
	ds_store_b16 v98, v12 offset:2560
	;; [unrolled: 1-line block ×5, first 2 shown]
	s_waitcnt lgkmcnt(0)
	s_barrier
	buffer_gl0_inv
	s_cbranch_scc1 .LBB222_54
; %bb.32:
	v_add_nc_u32_e32 v10, v81, v44
	v_lshlrev_b64 v[32:33], 1, v[2:3]
	v_lshlrev_b64 v[0:1], 1, v[0:1]
	;; [unrolled: 1-line block ×4, first 2 shown]
	v_lshrrev_b32_e32 v10, 6, v10
	v_lshlrev_b64 v[42:43], 1, v[8:9]
	v_or_b32_e32 v111, 0x1000, v98
	v_add_co_u32 v117, s8, s22, v0
	s_delay_alu instid0(VALU_DEP_4)
	v_add_nc_u32_e32 v11, 12, v10
	v_add_nc_u32_e32 v12, 8, v10
	;; [unrolled: 1-line block ×4, first 2 shown]
	v_or_b32_e32 v114, 0x800, v98
	v_mad_i64_i32 v[2:3], null, v11, s24, 0
	v_mad_i64_i32 v[10:11], null, v12, s24, 0
	v_lshl_add_u32 v115, v44, 3, 0x1200
	v_add_co_ci_u32_e64 v118, s8, s23, v1, s8
	v_add_nc_u32_e32 v119, 0x800, v81
	v_lshlrev_b64 v[38:39], 1, v[2:3]
	s_add_i32 s22, s18, -8
	v_lshlrev_b64 v[40:41], 1, v[10:11]
	s_lshl_b64 s[14:15], s[24:25], 4
	s_mov_b32 s23, 0
	s_branch .LBB222_34
.LBB222_33:                             ;   in Loop: Header=BB222_34 Depth=1
	s_or_b32 exec_lo, exec_lo, s9
	ds_load_2addr_b64 v[128:131], v112 offset1:8
	ds_load_2addr_b64 v[88:91], v81 offset1:32
	ds_load_2addr_b64 v[132:135], v112 offset0:16 offset1:24
	ds_load_2addr_b64 v[136:139], v112 offset0:32 offset1:40
	;; [unrolled: 1-line block ×6, first 2 shown]
	v_pk_max_f16 v11, v86, v86
	v_pk_max_f16 v15, v84, v84
	;; [unrolled: 1-line block ×13, first 2 shown]
	s_waitcnt lgkmcnt(6)
	v_pk_add_f16 v84, v128, v88
	v_pk_add_f16 v85, v130, v88
	s_waitcnt lgkmcnt(5)
	v_pk_add_f16 v86, v132, v88
	v_pk_add_f16 v87, v134, v88
	;; [unrolled: 3-line block ×4, first 2 shown]
	v_pk_min_f16 v11, v11, v84
	v_pk_min_f16 v15, v15, v85
	;; [unrolled: 1-line block ×5, first 2 shown]
	v_pk_add_f16 v84, v128, v90
	v_pk_add_f16 v85, v130, v90
	;; [unrolled: 1-line block ×5, first 2 shown]
	v_pk_min_f16 v71, v71, v84
	v_pk_min_f16 v79, v79, v85
	;; [unrolled: 1-line block ×5, first 2 shown]
	v_pk_add_f16 v84, v138, v90
	v_pk_add_f16 v85, v140, v90
	v_pk_max_f16 v75, v75, v75
	v_pk_add_f16 v86, v142, v90
	v_pk_max_f16 v72, v72, v72
	s_waitcnt lgkmcnt(2)
	v_pk_add_f16 v87, v128, v144
	v_pk_max_f16 v70, v70, v70
	v_pk_add_f16 v88, v130, v144
	v_pk_max_f16 v68, v68, v68
	v_pk_min_f16 v66, v66, v84
	v_pk_min_f16 v75, v75, v85
	v_pk_min_f16 v72, v72, v86
	v_pk_min_f16 v70, v70, v87
	v_pk_min_f16 v68, v68, v88
	v_pk_add_f16 v84, v132, v144
	v_pk_max_f16 v61, v61, v61
	v_pk_add_f16 v85, v134, v144
	v_pk_max_f16 v69, v69, v69
	v_pk_add_f16 v86, v136, v144
	v_pk_max_f16 v67, v67, v67
	v_pk_add_f16 v87, v138, v144
	v_pk_max_f16 v65, v65, v65
	v_pk_add_f16 v88, v140, v144
	v_pk_max_f16 v63, v63, v63
	v_pk_min_f16 v61, v61, v84
	v_pk_min_f16 v69, v69, v85
	v_pk_min_f16 v67, v67, v86
	v_pk_min_f16 v65, v65, v87
	v_pk_min_f16 v63, v63, v88
	v_pk_add_f16 v84, v142, v144
	v_pk_max_f16 v56, v56, v56
	v_pk_add_f16 v85, v128, v146
	v_pk_max_f16 v64, v64, v64
	v_pk_add_f16 v86, v130, v146
	v_pk_max_f16 v62, v62, v62
	;; [unrolled: 15-line block ×3, first 2 shown]
	v_pk_add_f16 v87, v142, v146
	v_pk_max_f16 v55, v55, v55
	s_waitcnt lgkmcnt(1)
	v_pk_add_f16 v88, v128, v148
	v_pk_max_f16 v53, v53, v53
	v_pk_min_f16 v51, v51, v84
	v_pk_min_f16 v59, v59, v85
	v_pk_min_f16 v57, v57, v86
	v_pk_min_f16 v55, v55, v87
	v_pk_min_f16 v53, v53, v88
	v_pk_add_f16 v84, v130, v148
	v_pk_max_f16 v29, v29, v29
	v_pk_add_f16 v85, v132, v148
	v_pk_max_f16 v54, v54, v54
	v_pk_add_f16 v86, v134, v148
	v_pk_max_f16 v52, v52, v52
	v_pk_add_f16 v87, v136, v148
	v_pk_max_f16 v50, v50, v50
	v_pk_add_f16 v88, v138, v148
	v_pk_max_f16 v31, v31, v31
	v_pk_min_f16 v29, v29, v84
	v_pk_min_f16 v54, v54, v85
	v_pk_min_f16 v52, v52, v86
	v_pk_min_f16 v50, v50, v87
	v_pk_min_f16 v31, v31, v88
	v_pk_add_f16 v84, v140, v148
	v_pk_max_f16 v24, v24, v24
	v_pk_add_f16 v85, v142, v148
	v_pk_max_f16 v49, v49, v49
	v_pk_add_f16 v86, v128, v150
	v_pk_max_f16 v30, v30, v30
	v_pk_add_f16 v87, v130, v150
	v_pk_max_f16 v28, v28, v28
	;; [unrolled: 15-line block ×3, first 2 shown]
	v_pk_add_f16 v88, v142, v150
	v_pk_max_f16 v21, v21, v21
	v_pk_min_f16 v18, v18, v84
	v_pk_min_f16 v27, v27, v85
	;; [unrolled: 1-line block ×5, first 2 shown]
	s_waitcnt lgkmcnt(0)
	v_pk_add_f16 v84, v128, v152
	v_pk_max_f16 v10, v10, v10
	v_pk_add_f16 v85, v130, v152
	v_pk_max_f16 v22, v22, v22
	;; [unrolled: 2-line block ×5, first 2 shown]
	v_pk_min_f16 v10, v10, v84
	v_pk_min_f16 v22, v22, v85
	;; [unrolled: 1-line block ×5, first 2 shown]
	v_pk_add_f16 v84, v138, v152
	v_pk_max_f16 v6, v6, v6
	v_pk_add_f16 v85, v140, v152
	v_pk_max_f16 v13, v13, v13
	;; [unrolled: 2-line block ×5, first 2 shown]
	v_pk_min_f16 v6, v6, v84
	v_pk_min_f16 v13, v13, v85
	;; [unrolled: 1-line block ×5, first 2 shown]
	v_pk_add_f16 v84, v132, v154
	v_pk_max_f16 v2, v2, v2
	v_pk_add_f16 v85, v134, v154
	v_pk_max_f16 v7, v7, v7
	v_pk_add_f16 v86, v136, v154
	v_pk_max_f16 v5, v5, v5
	v_pk_add_f16 v87, v138, v154
	v_pk_max_f16 v4, v4, v4
	v_pk_add_f16 v88, v140, v154
	v_pk_max_f16 v3, v3, v3
	v_pk_max_f16 v83, v83, v83
	v_pk_min_f16 v2, v2, v84
	v_pk_min_f16 v7, v7, v85
	;; [unrolled: 1-line block ×5, first 2 shown]
	v_pk_add_f16 v84, v142, v154
	v_pk_max_f16 v1, v1, v1
	v_pk_add_f16 v85, v129, v89
	v_pk_add_f16 v86, v131, v89
	;; [unrolled: 1-line block ×4, first 2 shown]
	v_pk_min_f16 v80, v80, v92
	v_pk_min_f16 v82, v82, v93
	;; [unrolled: 1-line block ×8, first 2 shown]
	v_pk_add_f16 v11, v137, v89
	v_pk_add_f16 v15, v139, v89
	v_pk_add_f16 v17, v141, v89
	v_pk_add_f16 v19, v143, v89
	v_pk_add_f16 v84, v129, v91
	v_pk_min_f16 v116, v80, v11
	v_pk_min_f16 v110, v82, v15
	v_pk_min_f16 v109, v83, v17
	v_pk_min_f16 v108, v78, v19
	v_pk_min_f16 v107, v71, v84
	v_pk_add_f16 v11, v131, v91
	v_pk_add_f16 v15, v133, v91
	v_pk_add_f16 v17, v135, v91
	v_pk_add_f16 v19, v137, v91
	v_pk_add_f16 v71, v139, v91
	v_pk_min_f16 v106, v79, v11
	v_pk_min_f16 v105, v77, v15
	v_pk_min_f16 v104, v76, v17
	v_pk_min_f16 v103, v74, v19
	v_pk_min_f16 v102, v66, v71
	;; [unrolled: 10-line block ×11, first 2 shown]
	v_pk_add_f16 v2, v135, v155
	v_pk_add_f16 v6, v137, v155
	;; [unrolled: 1-line block ×5, first 2 shown]
	v_add_co_u32 v117, s8, v117, s14
	v_pk_min_f16 v53, v7, v2
	v_pk_min_f16 v52, v5, v6
	;; [unrolled: 1-line block ×5, first 2 shown]
	v_add_co_ci_u32_e64 v118, s8, s15, v118, s8
	s_add_i32 s23, s23, 8
	ds_store_b16 v113, v124
	ds_store_b16 v114, v125
	ds_store_b16 v114, v126 offset:512
	ds_store_b16 v114, v127 offset:1024
	;; [unrolled: 1-line block ×3, first 2 shown]
	s_cmp_ge_i32 s23, s22
	s_waitcnt lgkmcnt(0)
	s_barrier
	buffer_gl0_inv
	s_cbranch_scc1 .LBB222_54
.LBB222_34:                             ; =>This Inner Loop Header: Depth=1
	v_add_nc_u32_e32 v124, s23, v47
	s_delay_alu instid0(VALU_DEP_1) | instskip(NEXT) | instid1(VALU_DEP_1)
	v_add_nc_u32_e32 v0, 8, v124
	v_cmp_le_i32_e64 s8, s18, v0
	s_delay_alu instid0(VALU_DEP_1) | instskip(NEXT) | instid1(SALU_CYCLE_1)
	s_or_b32 s9, vcc_lo, s8
	v_cndmask_b32_e64 v125, 0, 0x7c00, s9
	s_or_b32 s9, s3, s9
	s_delay_alu instid0(SALU_CYCLE_1) | instskip(NEXT) | instid1(SALU_CYCLE_1)
	s_xor_b32 s9, s9, -1
	s_and_saveexec_b32 s24, s9
	s_cbranch_execz .LBB222_36
; %bb.35:                               ;   in Loop: Header=BB222_34 Depth=1
	v_add_co_u32 v1, s9, v117, v40
	s_delay_alu instid0(VALU_DEP_1)
	v_add_co_ci_u32_e64 v2, s9, v118, v41, s9
	flat_load_u16 v1, v[1:2]
	s_waitcnt vmcnt(0) lgkmcnt(0)
	v_mul_f16_e32 v125, v46, v1
.LBB222_36:                             ;   in Loop: Header=BB222_34 Depth=1
	s_or_b32 exec_lo, exec_lo, s24
	v_min_i32_e32 v2, s27, v0
	s_delay_alu instid0(VALU_DEP_1) | instskip(NEXT) | instid1(VALU_DEP_1)
	v_mad_i64_i32 v[0:1], null, v2, s28, 0
	v_lshlrev_b64 v[0:1], 1, v[0:1]
	s_delay_alu instid0(VALU_DEP_1) | instskip(NEXT) | instid1(VALU_DEP_1)
	v_add_co_u32 v0, s9, s20, v0
	v_add_co_ci_u32_e64 v1, s9, s21, v1, s9
	s_or_b32 s9, s4, s8
	s_delay_alu instid0(SALU_CYCLE_1) | instskip(SKIP_1) | instid1(SALU_CYCLE_1)
	v_cndmask_b32_e64 v126, 0, 0x7c00, s9
	s_or_b32 s9, s3, s9
	s_xor_b32 s9, s9, -1
	s_delay_alu instid0(SALU_CYCLE_1)
	s_and_saveexec_b32 s24, s9
	s_cbranch_execz .LBB222_38
; %bb.37:                               ;   in Loop: Header=BB222_34 Depth=1
	v_add_co_u32 v2, s9, v0, v32
	s_delay_alu instid0(VALU_DEP_1)
	v_add_co_ci_u32_e64 v3, s9, v1, v33, s9
	flat_load_u16 v2, v[2:3]
	s_waitcnt vmcnt(0) lgkmcnt(0)
	v_mul_f16_e32 v126, v46, v2
.LBB222_38:                             ;   in Loop: Header=BB222_34 Depth=1
	s_or_b32 exec_lo, exec_lo, s24
	s_or_b32 s9, s5, s8
	s_delay_alu instid0(SALU_CYCLE_1) | instskip(SKIP_1) | instid1(SALU_CYCLE_1)
	v_cndmask_b32_e64 v127, 0, 0x7c00, s9
	s_or_b32 s9, s3, s9
	s_xor_b32 s9, s9, -1
	s_delay_alu instid0(SALU_CYCLE_1)
	s_and_saveexec_b32 s24, s9
	s_cbranch_execz .LBB222_40
; %bb.39:                               ;   in Loop: Header=BB222_34 Depth=1
	v_add_co_u32 v2, s9, v0, v34
	s_delay_alu instid0(VALU_DEP_1)
	v_add_co_ci_u32_e64 v3, s9, v1, v35, s9
	flat_load_u16 v2, v[2:3]
	s_waitcnt vmcnt(0) lgkmcnt(0)
	v_mul_f16_e32 v127, v46, v2
.LBB222_40:                             ;   in Loop: Header=BB222_34 Depth=1
	s_or_b32 exec_lo, exec_lo, s24
	s_or_b32 s9, s6, s8
	s_delay_alu instid0(SALU_CYCLE_1) | instskip(SKIP_1) | instid1(SALU_CYCLE_1)
	v_cndmask_b32_e64 v128, 0, 0x7c00, s9
	s_or_b32 s9, s3, s9
	s_xor_b32 s9, s9, -1
	s_delay_alu instid0(SALU_CYCLE_1)
	s_and_saveexec_b32 s24, s9
	s_cbranch_execz .LBB222_42
; %bb.41:                               ;   in Loop: Header=BB222_34 Depth=1
	v_add_co_u32 v2, s9, v0, v36
	s_delay_alu instid0(VALU_DEP_1)
	v_add_co_ci_u32_e64 v3, s9, v1, v37, s9
	flat_load_u16 v2, v[2:3]
	s_waitcnt vmcnt(0) lgkmcnt(0)
	v_mul_f16_e64 v128, v46, v2
.LBB222_42:                             ;   in Loop: Header=BB222_34 Depth=1
	s_or_b32 exec_lo, exec_lo, s24
	s_or_b32 s8, s7, s8
	s_delay_alu instid0(SALU_CYCLE_1) | instskip(SKIP_1) | instid1(SALU_CYCLE_1)
	v_cndmask_b32_e64 v129, 0, 0x7c00, s8
	s_or_b32 s8, s3, s8
	s_xor_b32 s8, s8, -1
	s_delay_alu instid0(SALU_CYCLE_1)
	s_and_saveexec_b32 s9, s8
	s_cbranch_execz .LBB222_44
; %bb.43:                               ;   in Loop: Header=BB222_34 Depth=1
	v_add_co_u32 v0, s8, v0, v42
	s_delay_alu instid0(VALU_DEP_1)
	v_add_co_ci_u32_e64 v1, s8, v1, v43, s8
	flat_load_u16 v0, v[0:1]
	s_waitcnt vmcnt(0) lgkmcnt(0)
	v_mul_f16_e64 v129, v46, v0
.LBB222_44:                             ;   in Loop: Header=BB222_34 Depth=1
	s_or_b32 exec_lo, exec_lo, s9
	ds_load_2addr_b64 v[12:15], v115 offset1:8
	ds_load_2addr_b64 v[8:11], v115 offset0:16 offset1:24
	ds_load_2addr_b64 v[4:7], v115 offset0:32 offset1:40
	;; [unrolled: 1-line block ×3, first 2 shown]
	ds_load_2addr_b64 v[28:31], v119 offset1:32
	ds_load_2addr_b64 v[24:27], v119 offset0:64 offset1:96
	ds_load_2addr_b64 v[20:23], v119 offset0:128 offset1:160
	;; [unrolled: 1-line block ×3, first 2 shown]
	v_add_nc_u32_e32 v130, 12, v124
	ds_store_b16 v111, v125
	ds_store_b16 v98, v126
	ds_store_b16 v98, v127 offset:512
	ds_store_b16 v98, v128 offset:1024
	;; [unrolled: 1-line block ×3, first 2 shown]
	s_waitcnt lgkmcnt(0)
	s_barrier
	buffer_gl0_inv
	v_cmp_le_i32_e64 s8, s18, v130
	s_delay_alu instid0(VALU_DEP_1) | instskip(NEXT) | instid1(SALU_CYCLE_1)
	s_or_b32 s9, vcc_lo, s8
	v_cndmask_b32_e64 v124, 0, 0x7c00, s9
	s_or_b32 s9, s3, s9
	s_delay_alu instid0(SALU_CYCLE_1) | instskip(NEXT) | instid1(SALU_CYCLE_1)
	s_xor_b32 s9, s9, -1
	s_and_saveexec_b32 s24, s9
	s_delay_alu instid0(SALU_CYCLE_1)
	s_xor_b32 s24, exec_lo, s24
	s_cbranch_execz .LBB222_46
; %bb.45:                               ;   in Loop: Header=BB222_34 Depth=1
	v_add_co_u32 v124, s9, v117, v38
	s_delay_alu instid0(VALU_DEP_1)
	v_add_co_ci_u32_e64 v125, s9, v118, v39, s9
	flat_load_u16 v124, v[124:125]
	s_waitcnt vmcnt(0) lgkmcnt(0)
	v_mul_f16_e32 v124, v46, v124
.LBB222_46:                             ;   in Loop: Header=BB222_34 Depth=1
	s_or_b32 exec_lo, exec_lo, s24
	v_min_i32_e32 v127, s27, v130
	s_delay_alu instid0(VALU_DEP_1) | instskip(NEXT) | instid1(VALU_DEP_1)
	v_mad_i64_i32 v[125:126], null, v127, s28, 0
	v_lshlrev_b64 v[125:126], 1, v[125:126]
	s_delay_alu instid0(VALU_DEP_1) | instskip(NEXT) | instid1(VALU_DEP_1)
	v_add_co_u32 v128, s9, s20, v125
	v_add_co_ci_u32_e64 v129, s9, s21, v126, s9
	s_or_b32 s9, s4, s8
	s_delay_alu instid0(SALU_CYCLE_1) | instskip(SKIP_1) | instid1(SALU_CYCLE_1)
	v_cndmask_b32_e64 v125, 0, 0x7c00, s9
	s_or_b32 s9, s3, s9
	s_xor_b32 s9, s9, -1
	s_delay_alu instid0(SALU_CYCLE_1)
	s_and_saveexec_b32 s24, s9
	s_cbranch_execz .LBB222_48
; %bb.47:                               ;   in Loop: Header=BB222_34 Depth=1
	v_add_co_u32 v125, s9, v128, v32
	s_delay_alu instid0(VALU_DEP_1)
	v_add_co_ci_u32_e64 v126, s9, v129, v33, s9
	flat_load_u16 v125, v[125:126]
	s_waitcnt vmcnt(0) lgkmcnt(0)
	v_mul_f16_e32 v125, v46, v125
.LBB222_48:                             ;   in Loop: Header=BB222_34 Depth=1
	s_or_b32 exec_lo, exec_lo, s24
	s_or_b32 s9, s5, s8
	s_delay_alu instid0(SALU_CYCLE_1) | instskip(SKIP_1) | instid1(SALU_CYCLE_1)
	v_cndmask_b32_e64 v126, 0, 0x7c00, s9
	s_or_b32 s9, s3, s9
	s_xor_b32 s9, s9, -1
	s_delay_alu instid0(SALU_CYCLE_1)
	s_and_saveexec_b32 s24, s9
	s_cbranch_execz .LBB222_50
; %bb.49:                               ;   in Loop: Header=BB222_34 Depth=1
	v_add_co_u32 v126, s9, v128, v34
	s_delay_alu instid0(VALU_DEP_1)
	v_add_co_ci_u32_e64 v127, s9, v129, v35, s9
	flat_load_u16 v126, v[126:127]
	s_waitcnt vmcnt(0) lgkmcnt(0)
	v_mul_f16_e32 v126, v46, v126
.LBB222_50:                             ;   in Loop: Header=BB222_34 Depth=1
	s_or_b32 exec_lo, exec_lo, s24
	;; [unrolled: 17-line block ×3, first 2 shown]
	v_pk_add_f16 v130, v12, v28
	v_pk_max_f16 v123, v123, v123
	v_pk_add_f16 v131, v14, v28
	v_pk_max_f16 v122, v122, v122
	;; [unrolled: 2-line block ×3, first 2 shown]
	v_pk_min_f16 v123, v123, v130
	v_pk_add_f16 v130, v10, v28
	v_pk_min_f16 v122, v122, v131
	v_pk_max_f16 v120, v120, v120
	v_pk_min_f16 v121, v121, v132
	v_pk_add_f16 v131, v4, v28
	v_pk_max_f16 v116, v116, v116
	v_pk_add_f16 v132, v6, v28
	v_pk_add_f16 v133, v0, v28
	v_pk_add_f16 v28, v2, v28
	v_pk_max_f16 v108, v108, v108
	v_pk_max_f16 v110, v110, v110
	;; [unrolled: 1-line block ×3, first 2 shown]
	v_pk_min_f16 v120, v120, v130
	v_pk_min_f16 v116, v116, v131
	;; [unrolled: 1-line block ×3, first 2 shown]
	v_pk_add_f16 v108, v12, v30
	v_pk_max_f16 v107, v107, v107
	v_pk_add_f16 v130, v14, v30
	v_pk_max_f16 v106, v106, v106
	;; [unrolled: 2-line block ×3, first 2 shown]
	v_pk_min_f16 v110, v110, v132
	v_pk_min_f16 v109, v109, v133
	v_pk_add_f16 v132, v10, v30
	v_pk_max_f16 v104, v104, v104
	v_pk_add_f16 v133, v4, v30
	v_pk_min_f16 v107, v107, v108
	v_pk_min_f16 v106, v106, v130
	;; [unrolled: 1-line block ×3, first 2 shown]
	v_pk_add_f16 v108, v6, v30
	v_pk_max_f16 v102, v102, v102
	v_pk_add_f16 v130, v0, v30
	v_pk_add_f16 v30, v2, v30
	v_pk_max_f16 v100, v100, v100
	v_pk_add_f16 v131, v12, v24
	v_pk_max_f16 v99, v99, v99
	v_pk_min_f16 v104, v104, v132
	v_pk_max_f16 v101, v101, v101
	v_pk_add_f16 v132, v14, v24
	v_pk_max_f16 v97, v97, v97
	v_pk_min_f16 v102, v102, v108
	v_pk_min_f16 v30, v100, v30
	;; [unrolled: 1-line block ×3, first 2 shown]
	v_pk_add_f16 v100, v8, v24
	v_pk_max_f16 v96, v96, v96
	v_pk_add_f16 v108, v10, v24
	v_pk_max_f16 v95, v95, v95
	;; [unrolled: 2-line block ×3, first 2 shown]
	v_pk_min_f16 v101, v101, v130
	v_pk_min_f16 v97, v97, v132
	v_pk_add_f16 v130, v4, v24
	v_pk_max_f16 v94, v94, v94
	v_pk_add_f16 v132, v0, v24
	v_pk_min_f16 v96, v96, v100
	v_pk_min_f16 v95, v95, v108
	;; [unrolled: 1-line block ×3, first 2 shown]
	v_pk_add_f16 v24, v2, v24
	v_pk_max_f16 v91, v91, v91
	v_pk_add_f16 v100, v12, v26
	v_pk_max_f16 v90, v90, v90
	;; [unrolled: 2-line block ×4, first 2 shown]
	v_pk_min_f16 v94, v94, v130
	v_pk_add_f16 v130, v8, v26
	v_pk_max_f16 v88, v88, v88
	v_pk_min_f16 v24, v91, v24
	v_pk_min_f16 v90, v90, v100
	;; [unrolled: 1-line block ×4, first 2 shown]
	v_pk_add_f16 v87, v4, v26
	v_pk_max_f16 v86, v86, v86
	v_pk_add_f16 v100, v6, v26
	v_pk_max_f16 v85, v85, v85
	;; [unrolled: 2-line block ×4, first 2 shown]
	v_pk_max_f16 v103, v103, v103
	v_pk_min_f16 v88, v88, v130
	v_pk_add_f16 v130, v12, v20
	v_pk_max_f16 v82, v82, v82
	v_pk_min_f16 v131, v86, v87
	v_pk_min_f16 v100, v85, v100
	;; [unrolled: 1-line block ×4, first 2 shown]
	v_pk_add_f16 v83, v8, v20
	v_pk_max_f16 v79, v79, v79
	v_pk_add_f16 v84, v10, v20
	v_pk_max_f16 v78, v78, v78
	;; [unrolled: 2-line block ×4, first 2 shown]
	v_pk_min_f16 v103, v103, v133
	v_pk_min_f16 v130, v82, v130
	v_pk_add_f16 v82, v14, v20
	v_pk_min_f16 v133, v79, v83
	v_pk_min_f16 v134, v78, v84
	;; [unrolled: 1-line block ×4, first 2 shown]
	v_pk_add_f16 v76, v0, v20
	v_pk_add_f16 v20, v2, v20
	v_pk_max_f16 v74, v74, v74
	v_pk_add_f16 v77, v12, v22
	v_pk_max_f16 v72, v72, v72
	;; [unrolled: 2-line block ×4, first 2 shown]
	v_pk_min_f16 v20, v74, v20
	v_pk_min_f16 v138, v72, v77
	;; [unrolled: 1-line block ×3, first 2 shown]
	v_pk_max_f16 v69, v69, v69
	v_pk_min_f16 v140, v70, v79
	v_pk_add_f16 v70, v10, v22
	v_pk_add_f16 v71, v4, v22
	;; [unrolled: 1-line block ×5, first 2 shown]
	v_pk_max_f16 v65, v65, v65
	v_pk_max_f16 v68, v68, v68
	;; [unrolled: 1-line block ×4, first 2 shown]
	v_pk_min_f16 v141, v69, v70
	v_pk_min_f16 v22, v65, v22
	v_pk_add_f16 v65, v12, v16
	v_pk_add_f16 v69, v4, v16
	v_pk_max_f16 v60, v60, v60
	v_pk_add_f16 v12, v12, v18
	v_pk_max_f16 v56, v56, v56
	v_pk_min_f16 v142, v68, v71
	v_pk_min_f16 v143, v67, v72
	v_pk_min_f16 v144, v66, v74
	v_pk_add_f16 v66, v14, v16
	v_pk_add_f16 v67, v8, v16
	;; [unrolled: 1-line block ×3, first 2 shown]
	v_pk_max_f16 v61, v61, v61
	v_pk_min_f16 v149, v60, v69
	v_pk_add_f16 v60, v6, v16
	v_pk_add_f16 v14, v14, v18
	v_pk_max_f16 v55, v55, v55
	v_pk_min_f16 v153, v56, v12
	v_pk_add_f16 v8, v8, v18
	v_pk_max_f16 v12, v54, v54
	v_pk_add_f16 v6, v6, v18
	v_pk_max_f16 v51, v51, v51
	v_pk_min_f16 v148, v61, v68
	v_pk_add_f16 v61, v0, v16
	v_pk_add_f16 v16, v2, v16
	v_pk_min_f16 v154, v55, v14
	v_pk_add_f16 v10, v10, v18
	v_pk_max_f16 v14, v53, v53
	v_pk_min_f16 v155, v12, v8
	v_pk_min_f16 v157, v51, v6
	v_pk_add_f16 v2, v2, v18
	v_pk_max_f16 v6, v49, v49
	v_pk_add_f16 v8, v13, v29
	v_pk_max_f16 v92, v92, v92
	v_pk_max_f16 v80, v80, v80
	v_pk_min_f16 v156, v14, v10
	v_pk_add_f16 v10, v15, v29
	v_pk_add_f16 v12, v9, v29
	v_pk_min_f16 v158, v6, v2
	v_pk_min_f16 v86, v123, v8
	v_pk_add_f16 v2, v5, v29
	v_pk_add_f16 v8, v1, v29
	v_pk_min_f16 v92, v92, v132
	v_pk_min_f16 v132, v80, v82
	v_pk_max_f16 v75, v75, v75
	v_pk_min_f16 v84, v122, v10
	v_pk_min_f16 v82, v121, v12
	v_pk_add_f16 v6, v7, v29
	v_pk_add_f16 v10, v3, v29
	;; [unrolled: 1-line block ×3, first 2 shown]
	v_pk_min_f16 v87, v116, v2
	v_pk_min_f16 v83, v109, v8
	v_pk_add_f16 v2, v15, v31
	v_pk_add_f16 v8, v11, v31
	v_pk_min_f16 v137, v75, v76
	v_pk_max_f16 v63, v63, v63
	v_pk_min_f16 v85, v110, v6
	v_pk_min_f16 v78, v28, v10
	;; [unrolled: 1-line block ×3, first 2 shown]
	v_pk_add_f16 v6, v9, v31
	v_pk_add_f16 v10, v5, v31
	;; [unrolled: 1-line block ×3, first 2 shown]
	v_pk_min_f16 v79, v106, v2
	v_pk_min_f16 v76, v104, v8
	v_pk_add_f16 v2, v1, v31
	v_pk_add_f16 v8, v13, v25
	v_pk_max_f16 v64, v64, v64
	v_pk_min_f16 v146, v63, v66
	v_pk_max_f16 v58, v58, v58
	v_pk_min_f16 v77, v105, v6
	v_pk_min_f16 v74, v103, v10
	;; [unrolled: 1-line block ×3, first 2 shown]
	v_pk_add_f16 v6, v3, v31
	v_pk_add_f16 v10, v15, v25
	;; [unrolled: 1-line block ×3, first 2 shown]
	v_pk_min_f16 v75, v101, v2
	v_pk_min_f16 v70, v99, v8
	v_pk_add_f16 v2, v11, v25
	v_pk_add_f16 v8, v7, v25
	v_pk_max_f16 v62, v62, v62
	v_pk_min_f16 v145, v64, v65
	v_pk_max_f16 v59, v59, v59
	v_pk_min_f16 v151, v58, v61
	v_pk_min_f16 v72, v30, v6
	;; [unrolled: 1-line block ×4, first 2 shown]
	v_pk_add_f16 v6, v5, v25
	v_pk_add_f16 v10, v1, v25
	;; [unrolled: 1-line block ×3, first 2 shown]
	v_pk_min_f16 v69, v95, v2
	v_pk_min_f16 v65, v93, v8
	v_pk_add_f16 v2, v13, v27
	v_pk_add_f16 v8, v9, v27
	v_pk_min_f16 v147, v62, v67
	v_pk_min_f16 v150, v59, v60
	;; [unrolled: 1-line block ×5, first 2 shown]
	v_pk_add_f16 v6, v15, v27
	v_pk_add_f16 v10, v11, v27
	v_pk_add_f16 v12, v5, v27
	v_pk_min_f16 v64, v90, v2
	v_pk_min_f16 v60, v88, v8
	v_pk_add_f16 v2, v7, v27
	v_pk_add_f16 v8, v3, v27
	v_pk_max_f16 v57, v57, v57
	v_pk_add_f16 v0, v0, v18
	v_pk_max_f16 v50, v50, v50
	v_pk_min_f16 v62, v89, v6
	v_pk_min_f16 v58, v91, v10
	;; [unrolled: 1-line block ×3, first 2 shown]
	v_pk_add_f16 v6, v1, v27
	v_pk_add_f16 v10, v13, v21
	;; [unrolled: 1-line block ×3, first 2 shown]
	v_pk_min_f16 v59, v100, v2
	v_pk_min_f16 v55, v26, v8
	v_pk_add_f16 v2, v9, v21
	v_pk_add_f16 v8, v5, v21
	v_pk_min_f16 v152, v57, v16
	v_pk_min_f16 v0, v50, v0
	v_pk_add_f16 v14, v11, v29
	v_pk_min_f16 v57, v108, v6
	v_pk_min_f16 v53, v130, v10
	;; [unrolled: 1-line block ×3, first 2 shown]
	v_pk_add_f16 v6, v11, v21
	v_pk_add_f16 v10, v7, v21
	;; [unrolled: 1-line block ×3, first 2 shown]
	v_pk_min_f16 v54, v133, v2
	v_pk_min_f16 v50, v135, v8
	v_pk_add_f16 v2, v3, v21
	v_pk_add_f16 v8, v15, v23
	v_pk_max_f16 v16, v52, v52
	v_pk_min_f16 v52, v134, v6
	v_pk_min_f16 v31, v136, v10
	;; [unrolled: 1-line block ×3, first 2 shown]
	v_pk_add_f16 v6, v13, v23
	v_pk_add_f16 v10, v9, v23
	;; [unrolled: 1-line block ×3, first 2 shown]
	v_pk_min_f16 v49, v20, v2
	v_pk_min_f16 v28, v139, v8
	v_pk_add_f16 v2, v5, v23
	v_pk_add_f16 v8, v1, v23
	;; [unrolled: 1-line block ×3, first 2 shown]
	v_pk_min_f16 v30, v138, v6
	v_pk_min_f16 v26, v140, v10
	;; [unrolled: 1-line block ×3, first 2 shown]
	v_pk_add_f16 v6, v7, v23
	v_pk_add_f16 v10, v3, v23
	;; [unrolled: 1-line block ×3, first 2 shown]
	v_pk_min_f16 v27, v142, v2
	v_pk_min_f16 v23, v144, v8
	v_pk_add_f16 v2, v15, v17
	v_pk_add_f16 v8, v11, v17
	v_pk_min_f16 v4, v16, v4
	v_pk_min_f16 v25, v143, v6
	;; [unrolled: 1-line block ×4, first 2 shown]
	v_pk_add_f16 v6, v9, v17
	v_pk_add_f16 v12, v5, v17
	;; [unrolled: 1-line block ×3, first 2 shown]
	v_pk_min_f16 v22, v146, v2
	v_pk_min_f16 v16, v148, v8
	v_pk_add_f16 v2, v1, v17
	v_pk_add_f16 v8, v3, v17
	;; [unrolled: 1-line block ×4, first 2 shown]
	v_pk_min_f16 v80, v120, v14
	v_pk_min_f16 v20, v147, v6
	;; [unrolled: 1-line block ×4, first 2 shown]
	v_pk_add_f16 v88, v9, v19
	v_pk_min_f16 v12, v152, v8
	v_pk_min_f16 v9, v153, v17
	;; [unrolled: 1-line block ×3, first 2 shown]
	v_pk_add_f16 v11, v11, v19
	v_pk_add_f16 v5, v5, v19
	;; [unrolled: 1-line block ×5, first 2 shown]
	s_or_b32 s8, s7, s8
	v_pk_min_f16 v13, v151, v2
	v_pk_min_f16 v2, v155, v88
	;; [unrolled: 1-line block ×7, first 2 shown]
	v_cndmask_b32_e64 v0, 0, 0x7c00, s8
	s_or_b32 s8, s3, s8
	s_delay_alu instid0(SALU_CYCLE_1) | instskip(NEXT) | instid1(SALU_CYCLE_1)
	s_xor_b32 s8, s8, -1
	s_and_saveexec_b32 s9, s8
	s_cbranch_execz .LBB222_33
; %bb.53:                               ;   in Loop: Header=BB222_34 Depth=1
	v_add_co_u32 v88, s8, v128, v42
	s_delay_alu instid0(VALU_DEP_1)
	v_add_co_ci_u32_e64 v89, s8, v129, v43, s8
	flat_load_u16 v0, v[88:89]
	s_waitcnt vmcnt(0) lgkmcnt(0)
	v_mul_f16_e32 v0, v46, v0
	s_branch .LBB222_33
.LBB222_54:
	s_clause 0x2
	s_load_b32 s14, s[0:1], 0x58
	s_load_b32 s9, s[0:1], 0x70
	s_load_b64 s[4:5], s[0:1], 0x78
	v_add_nc_u32_e32 v0, 0x1000, v73
	v_add_nc_u32_e32 v4, 0x800, v81
	;; [unrolled: 1-line block ×4, first 2 shown]
	ds_load_2addr_b64 v[16:19], v0 offset0:64 offset1:72
	ds_load_2addr_b64 v[12:15], v0 offset0:80 offset1:88
	;; [unrolled: 1-line block ×4, first 2 shown]
	ds_load_2addr_b64 v[28:31], v4 offset1:32
	ds_load_2addr_b64 v[24:27], v4 offset0:64 offset1:96
	ds_load_2addr_b64 v[20:23], v4 offset0:128 offset1:160
	ds_load_2addr_b64 v[4:7], v4 offset0:192 offset1:224
	v_cmp_gt_i32_e64 s8, s17, v81
	v_cmp_gt_i32_e64 s0, s16, v32
	v_ashrrev_i32_e32 v33, 31, v32
	v_cndmask_b32_e64 v73, 0, 1, s2
	s_waitcnt lgkmcnt(0)
	v_mad_i64_i32 v[34:35], null, v81, s14, 0
	v_mad_i64_i32 v[36:37], null, v81, s9, 0
	s_lshl_b64 s[4:5], s[4:5], 1
	s_delay_alu instid0(SALU_CYCLE_1) | instskip(SKIP_1) | instid1(VALU_DEP_2)
	s_add_u32 s12, s12, s4
	s_addc_u32 s13, s13, s5
	v_lshlrev_b64 v[34:35], 1, v[34:35]
	s_and_b32 s1, s0, s8
	s_delay_alu instid0(VALU_DEP_2) | instskip(NEXT) | instid1(VALU_DEP_2)
	v_lshlrev_b64 v[36:37], 1, v[36:37]
	v_add_co_u32 v112, vcc_lo, s10, v34
	s_delay_alu instid0(VALU_DEP_3) | instskip(NEXT) | instid1(VALU_DEP_3)
	v_add_co_ci_u32_e32 v113, vcc_lo, s11, v35, vcc_lo
	v_add_co_u32 v98, vcc_lo, s12, v36
	s_delay_alu instid0(VALU_DEP_4) | instskip(SKIP_1) | instid1(SALU_CYCLE_1)
	v_add_co_ci_u32_e32 v111, vcc_lo, s13, v37, vcc_lo
	s_and_saveexec_b32 s3, s1
	s_xor_b32 s1, exec_lo, s3
	s_cbranch_execz .LBB222_59
; %bb.55:
	s_and_not1_b32 vcc_lo, exec_lo, s2
	s_cbranch_vccnz .LBB222_57
; %bb.56:
	v_lshlrev_b64 v[34:35], 1, v[32:33]
	s_delay_alu instid0(VALU_DEP_1) | instskip(NEXT) | instid1(VALU_DEP_2)
	v_add_co_u32 v34, vcc_lo, v112, v34
	v_add_co_ci_u32_e32 v35, vcc_lo, v113, v35, vcc_lo
	flat_load_u16 v34, v[34:35]
	s_waitcnt vmcnt(0) lgkmcnt(0)
	v_mul_f16_e32 v34, v48, v34
	s_branch .LBB222_58
.LBB222_57:
	v_mov_b32_e32 v34, 0
.LBB222_58:
	v_pk_add_f16 v35, v16, v28
	v_pk_max_f16 v36, v123, v123
	v_pk_add_f16 v37, v17, v29
	s_delay_alu instid0(VALU_DEP_2) | instskip(NEXT) | instid1(VALU_DEP_1)
	v_pk_min_f16 v35, v36, v35
	v_pk_min_f16 v37, v35, v37
	v_lshlrev_b64 v[35:36], 1, v[32:33]
	s_delay_alu instid0(VALU_DEP_2) | instskip(NEXT) | instid1(VALU_DEP_1)
	v_lshrrev_b32_e32 v38, 16, v37
	v_min3_f16 v37, v34, v37, v38
	s_delay_alu instid0(VALU_DEP_3) | instskip(NEXT) | instid1(VALU_DEP_4)
	v_add_co_u32 v34, vcc_lo, v98, v35
	v_add_co_ci_u32_e32 v35, vcc_lo, v111, v36, vcc_lo
	global_store_b16 v[34:35], v37, off
.LBB222_59:
	s_or_b32 exec_lo, exec_lo, s1
	v_add_nc_u32_e32 v34, 8, v32
	s_delay_alu instid0(VALU_DEP_1) | instskip(SKIP_1) | instid1(VALU_DEP_2)
	v_cmp_gt_i32_e64 s1, s16, v34
	v_ashrrev_i32_e32 v35, 31, v34
	s_and_b32 s3, s1, s8
	s_delay_alu instid0(SALU_CYCLE_1)
	s_and_saveexec_b32 s2, s3
	s_cbranch_execz .LBB222_64
; %bb.60:
	v_cmp_ne_u32_e32 vcc_lo, 1, v73
	s_cbranch_vccnz .LBB222_62
; %bb.61:
	v_lshlrev_b64 v[36:37], 1, v[34:35]
	s_delay_alu instid0(VALU_DEP_1) | instskip(NEXT) | instid1(VALU_DEP_2)
	v_add_co_u32 v36, vcc_lo, v112, v36
	v_add_co_ci_u32_e32 v37, vcc_lo, v113, v37, vcc_lo
	flat_load_u16 v36, v[36:37]
	s_waitcnt vmcnt(0) lgkmcnt(0)
	v_mul_f16_e32 v36, v48, v36
	s_branch .LBB222_63
.LBB222_62:
	v_mov_b32_e32 v36, 0
.LBB222_63:
	v_pk_add_f16 v37, v18, v28
	v_pk_max_f16 v38, v122, v122
	v_pk_add_f16 v39, v19, v29
	s_delay_alu instid0(VALU_DEP_2) | instskip(NEXT) | instid1(VALU_DEP_1)
	v_pk_min_f16 v37, v38, v37
	v_pk_min_f16 v39, v37, v39
	v_lshlrev_b64 v[37:38], 1, v[34:35]
	s_delay_alu instid0(VALU_DEP_2) | instskip(NEXT) | instid1(VALU_DEP_1)
	v_lshrrev_b32_e32 v40, 16, v39
	v_min3_f16 v39, v36, v39, v40
	s_delay_alu instid0(VALU_DEP_3) | instskip(NEXT) | instid1(VALU_DEP_4)
	v_add_co_u32 v36, vcc_lo, v98, v37
	v_add_co_ci_u32_e32 v37, vcc_lo, v111, v38, vcc_lo
	global_store_b16 v[36:37], v39, off
.LBB222_64:
	s_or_b32 exec_lo, exec_lo, s2
	v_add_nc_u32_e32 v36, 16, v32
	s_delay_alu instid0(VALU_DEP_1) | instskip(SKIP_1) | instid1(VALU_DEP_2)
	v_cmp_gt_i32_e64 s2, s16, v36
	v_ashrrev_i32_e32 v37, 31, v36
	s_and_b32 s4, s2, s8
	s_delay_alu instid0(SALU_CYCLE_1)
	s_and_saveexec_b32 s3, s4
	s_cbranch_execz .LBB222_69
; %bb.65:
	v_cmp_ne_u32_e32 vcc_lo, 1, v73
	s_cbranch_vccnz .LBB222_67
; %bb.66:
	v_lshlrev_b64 v[38:39], 1, v[36:37]
	s_delay_alu instid0(VALU_DEP_1) | instskip(NEXT) | instid1(VALU_DEP_2)
	v_add_co_u32 v38, vcc_lo, v112, v38
	v_add_co_ci_u32_e32 v39, vcc_lo, v113, v39, vcc_lo
	flat_load_u16 v38, v[38:39]
	s_waitcnt vmcnt(0) lgkmcnt(0)
	v_mul_f16_e32 v38, v48, v38
	s_branch .LBB222_68
.LBB222_67:
	v_mov_b32_e32 v38, 0
.LBB222_68:
	v_pk_add_f16 v39, v12, v28
	v_pk_max_f16 v40, v121, v121
	v_pk_add_f16 v41, v13, v29
	s_delay_alu instid0(VALU_DEP_2) | instskip(NEXT) | instid1(VALU_DEP_1)
	v_pk_min_f16 v39, v40, v39
	v_pk_min_f16 v41, v39, v41
	v_lshlrev_b64 v[39:40], 1, v[36:37]
	s_delay_alu instid0(VALU_DEP_2) | instskip(NEXT) | instid1(VALU_DEP_1)
	v_lshrrev_b32_e32 v42, 16, v41
	v_min3_f16 v41, v38, v41, v42
	s_delay_alu instid0(VALU_DEP_3) | instskip(NEXT) | instid1(VALU_DEP_4)
	v_add_co_u32 v38, vcc_lo, v98, v39
	v_add_co_ci_u32_e32 v39, vcc_lo, v111, v40, vcc_lo
	global_store_b16 v[38:39], v41, off
.LBB222_69:
	;; [unrolled: 39-line block ×6, first 2 shown]
	s_or_b32 exec_lo, exec_lo, s7
	v_add_nc_u32_e32 v46, 56, v32
	s_delay_alu instid0(VALU_DEP_1) | instskip(SKIP_1) | instid1(VALU_DEP_2)
	v_cmp_gt_i32_e64 s7, s16, v46
	v_ashrrev_i32_e32 v47, 31, v46
	s_and_b32 s15, s7, s8
	s_delay_alu instid0(SALU_CYCLE_1)
	s_and_saveexec_b32 s8, s15
	s_cbranch_execz .LBB222_94
; %bb.90:
	v_cmp_ne_u32_e32 vcc_lo, 1, v73
	s_cbranch_vccnz .LBB222_92
; %bb.91:
	v_lshlrev_b64 v[109:110], 1, v[46:47]
	s_delay_alu instid0(VALU_DEP_1) | instskip(NEXT) | instid1(VALU_DEP_2)
	v_add_co_u32 v109, vcc_lo, v112, v109
	v_add_co_ci_u32_e32 v110, vcc_lo, v113, v110, vcc_lo
	flat_load_u16 v109, v[109:110]
	s_waitcnt vmcnt(0) lgkmcnt(0)
	v_mul_f16_e32 v109, v48, v109
	s_branch .LBB222_93
.LBB222_92:
	v_mov_b32_e32 v109, 0
.LBB222_93:
	v_pk_add_f16 v28, v2, v28
	v_pk_max_f16 v108, v108, v108
	v_pk_add_f16 v29, v3, v29
	s_delay_alu instid0(VALU_DEP_2) | instskip(NEXT) | instid1(VALU_DEP_1)
	v_pk_min_f16 v28, v108, v28
	v_pk_min_f16 v108, v28, v29
	v_lshlrev_b64 v[28:29], 1, v[46:47]
	s_delay_alu instid0(VALU_DEP_2) | instskip(NEXT) | instid1(VALU_DEP_2)
	v_lshrrev_b32_e32 v110, 16, v108
	v_add_co_u32 v28, vcc_lo, v98, v28
	s_delay_alu instid0(VALU_DEP_3) | instskip(NEXT) | instid1(VALU_DEP_3)
	v_add_co_ci_u32_e32 v29, vcc_lo, v111, v29, vcc_lo
	v_min3_f16 v108, v109, v108, v110
	global_store_b16 v[28:29], v108, off
.LBB222_94:
	s_or_b32 exec_lo, exec_lo, s8
	v_add_nc_u32_e32 v98, 32, v81
	s_delay_alu instid0(VALU_DEP_1) | instskip(SKIP_2) | instid1(VALU_DEP_3)
	v_mad_i64_i32 v[28:29], null, v98, s14, 0
	v_mad_i64_i32 v[108:109], null, v98, s9, 0
	v_cmp_gt_i32_e64 s8, s17, v98
	v_lshlrev_b64 v[28:29], 1, v[28:29]
	s_delay_alu instid0(VALU_DEP_2) | instskip(NEXT) | instid1(VALU_DEP_3)
	s_and_b32 s16, s0, s8
	v_lshlrev_b64 v[109:110], 1, v[108:109]
	s_delay_alu instid0(VALU_DEP_2) | instskip(NEXT) | instid1(VALU_DEP_3)
	v_add_co_u32 v98, vcc_lo, s10, v28
	v_add_co_ci_u32_e32 v108, vcc_lo, s11, v29, vcc_lo
	s_delay_alu instid0(VALU_DEP_3) | instskip(NEXT) | instid1(VALU_DEP_4)
	v_add_co_u32 v28, vcc_lo, s12, v109
	v_add_co_ci_u32_e32 v29, vcc_lo, s13, v110, vcc_lo
	s_and_saveexec_b32 s15, s16
	s_cbranch_execnz .LBB222_102
; %bb.95:
	s_or_b32 exec_lo, exec_lo, s15
	s_and_b32 s16, s1, s8
	s_delay_alu instid0(SALU_CYCLE_1)
	s_and_saveexec_b32 s15, s16
	s_cbranch_execnz .LBB222_106
.LBB222_96:
	s_or_b32 exec_lo, exec_lo, s15
	s_and_b32 s16, s2, s8
	s_delay_alu instid0(SALU_CYCLE_1)
	s_and_saveexec_b32 s15, s16
	s_cbranch_execnz .LBB222_110
.LBB222_97:
	s_or_b32 exec_lo, exec_lo, s15
	s_and_b32 s16, s3, s8
	s_delay_alu instid0(SALU_CYCLE_1)
	s_and_saveexec_b32 s15, s16
	s_cbranch_execnz .LBB222_114
.LBB222_98:
	s_or_b32 exec_lo, exec_lo, s15
	s_and_b32 s16, s4, s8
	s_delay_alu instid0(SALU_CYCLE_1)
	s_and_saveexec_b32 s15, s16
	s_cbranch_execnz .LBB222_118
.LBB222_99:
	s_or_b32 exec_lo, exec_lo, s15
	s_and_b32 s16, s5, s8
	s_delay_alu instid0(SALU_CYCLE_1)
	s_and_saveexec_b32 s15, s16
	s_cbranch_execnz .LBB222_122
.LBB222_100:
	s_or_b32 exec_lo, exec_lo, s15
	s_and_b32 s16, s6, s8
	s_delay_alu instid0(SALU_CYCLE_1)
	s_and_saveexec_b32 s15, s16
	s_cbranch_execnz .LBB222_126
.LBB222_101:
	s_or_b32 exec_lo, exec_lo, s15
	s_and_b32 s15, s7, s8
	s_delay_alu instid0(SALU_CYCLE_1)
	s_and_saveexec_b32 s8, s15
	s_cbranch_execnz .LBB222_130
	s_branch .LBB222_134
.LBB222_102:
	v_cmp_ne_u32_e32 vcc_lo, 1, v73
	s_cbranch_vccnz .LBB222_104
; %bb.103:
	v_lshlrev_b64 v[109:110], 1, v[32:33]
	s_delay_alu instid0(VALU_DEP_1) | instskip(NEXT) | instid1(VALU_DEP_2)
	v_add_co_u32 v109, vcc_lo, v98, v109
	v_add_co_ci_u32_e32 v110, vcc_lo, v108, v110, vcc_lo
	flat_load_u16 v109, v[109:110]
	s_waitcnt vmcnt(0) lgkmcnt(0)
	v_mul_f16_e32 v109, v48, v109
	s_branch .LBB222_105
.LBB222_104:
	v_mov_b32_e32 v109, 0
.LBB222_105:
	v_pk_add_f16 v110, v16, v30
	v_pk_max_f16 v107, v107, v107
	v_pk_add_f16 v111, v17, v31
	s_delay_alu instid0(VALU_DEP_2) | instskip(NEXT) | instid1(VALU_DEP_1)
	v_pk_min_f16 v107, v107, v110
	v_pk_min_f16 v107, v107, v111
	v_lshlrev_b64 v[110:111], 1, v[32:33]
	s_delay_alu instid0(VALU_DEP_2) | instskip(NEXT) | instid1(VALU_DEP_1)
	v_lshrrev_b32_e32 v112, 16, v107
	v_min3_f16 v107, v109, v107, v112
	s_delay_alu instid0(VALU_DEP_3) | instskip(NEXT) | instid1(VALU_DEP_4)
	v_add_co_u32 v109, vcc_lo, v28, v110
	v_add_co_ci_u32_e32 v110, vcc_lo, v29, v111, vcc_lo
	global_store_b16 v[109:110], v107, off
	s_or_b32 exec_lo, exec_lo, s15
	s_and_b32 s16, s1, s8
	s_delay_alu instid0(SALU_CYCLE_1)
	s_and_saveexec_b32 s15, s16
	s_cbranch_execz .LBB222_96
.LBB222_106:
	v_cmp_ne_u32_e32 vcc_lo, 1, v73
	s_cbranch_vccnz .LBB222_108
; %bb.107:
	v_lshlrev_b64 v[109:110], 1, v[34:35]
	s_delay_alu instid0(VALU_DEP_1) | instskip(NEXT) | instid1(VALU_DEP_2)
	v_add_co_u32 v109, vcc_lo, v98, v109
	v_add_co_ci_u32_e32 v110, vcc_lo, v108, v110, vcc_lo
	flat_load_u16 v107, v[109:110]
	s_waitcnt vmcnt(0) lgkmcnt(0)
	v_mul_f16_e32 v107, v48, v107
	s_branch .LBB222_109
.LBB222_108:
	v_mov_b32_e32 v107, 0
.LBB222_109:
	v_pk_add_f16 v109, v18, v30
	v_pk_max_f16 v106, v106, v106
	v_pk_add_f16 v110, v19, v31
	s_delay_alu instid0(VALU_DEP_2) | instskip(NEXT) | instid1(VALU_DEP_1)
	v_pk_min_f16 v106, v106, v109
	v_pk_min_f16 v106, v106, v110
	v_lshlrev_b64 v[109:110], 1, v[34:35]
	s_delay_alu instid0(VALU_DEP_2) | instskip(NEXT) | instid1(VALU_DEP_1)
	v_lshrrev_b32_e32 v111, 16, v106
	v_min3_f16 v111, v107, v106, v111
	s_delay_alu instid0(VALU_DEP_3) | instskip(NEXT) | instid1(VALU_DEP_4)
	v_add_co_u32 v106, vcc_lo, v28, v109
	v_add_co_ci_u32_e32 v107, vcc_lo, v29, v110, vcc_lo
	global_store_b16 v[106:107], v111, off
	s_or_b32 exec_lo, exec_lo, s15
	s_and_b32 s16, s2, s8
	s_delay_alu instid0(SALU_CYCLE_1)
	s_and_saveexec_b32 s15, s16
	s_cbranch_execz .LBB222_97
.LBB222_110:
	v_cmp_ne_u32_e32 vcc_lo, 1, v73
	s_cbranch_vccnz .LBB222_112
; %bb.111:
	v_lshlrev_b64 v[106:107], 1, v[36:37]
	s_delay_alu instid0(VALU_DEP_1) | instskip(NEXT) | instid1(VALU_DEP_2)
	v_add_co_u32 v106, vcc_lo, v98, v106
	v_add_co_ci_u32_e32 v107, vcc_lo, v108, v107, vcc_lo
	flat_load_u16 v106, v[106:107]
	s_waitcnt vmcnt(0) lgkmcnt(0)
	v_mul_f16_e32 v106, v48, v106
	s_branch .LBB222_113
.LBB222_112:
	v_mov_b32_e32 v106, 0
.LBB222_113:
	v_pk_add_f16 v107, v12, v30
	v_pk_max_f16 v105, v105, v105
	v_pk_add_f16 v109, v13, v31
	s_delay_alu instid0(VALU_DEP_2) | instskip(NEXT) | instid1(VALU_DEP_1)
	v_pk_min_f16 v105, v105, v107
	v_pk_min_f16 v105, v105, v109
	v_lshlrev_b64 v[109:110], 1, v[36:37]
	s_delay_alu instid0(VALU_DEP_2) | instskip(NEXT) | instid1(VALU_DEP_1)
	v_lshrrev_b32_e32 v107, 16, v105
	v_min3_f16 v107, v106, v105, v107
	s_delay_alu instid0(VALU_DEP_3) | instskip(NEXT) | instid1(VALU_DEP_4)
	v_add_co_u32 v105, vcc_lo, v28, v109
	v_add_co_ci_u32_e32 v106, vcc_lo, v29, v110, vcc_lo
	global_store_b16 v[105:106], v107, off
	s_or_b32 exec_lo, exec_lo, s15
	s_and_b32 s16, s3, s8
	s_delay_alu instid0(SALU_CYCLE_1)
	s_and_saveexec_b32 s15, s16
	s_cbranch_execz .LBB222_98
.LBB222_114:
	v_cmp_ne_u32_e32 vcc_lo, 1, v73
	s_cbranch_vccnz .LBB222_116
; %bb.115:
	v_lshlrev_b64 v[105:106], 1, v[38:39]
	s_delay_alu instid0(VALU_DEP_1) | instskip(NEXT) | instid1(VALU_DEP_2)
	v_add_co_u32 v105, vcc_lo, v98, v105
	v_add_co_ci_u32_e32 v106, vcc_lo, v108, v106, vcc_lo
	flat_load_u16 v105, v[105:106]
	s_waitcnt vmcnt(0) lgkmcnt(0)
	v_mul_f16_e32 v105, v48, v105
	s_branch .LBB222_117
.LBB222_116:
	v_mov_b32_e32 v105, 0
.LBB222_117:
	v_pk_add_f16 v106, v14, v30
	v_pk_max_f16 v104, v104, v104
	v_pk_add_f16 v107, v15, v31
	s_delay_alu instid0(VALU_DEP_2) | instskip(NEXT) | instid1(VALU_DEP_1)
	v_pk_min_f16 v104, v104, v106
	v_pk_min_f16 v104, v104, v107
	v_lshlrev_b64 v[106:107], 1, v[38:39]
	s_delay_alu instid0(VALU_DEP_2) | instskip(NEXT) | instid1(VALU_DEP_1)
	v_lshrrev_b32_e32 v109, 16, v104
	v_min3_f16 v109, v105, v104, v109
	s_delay_alu instid0(VALU_DEP_3) | instskip(NEXT) | instid1(VALU_DEP_4)
	v_add_co_u32 v104, vcc_lo, v28, v106
	v_add_co_ci_u32_e32 v105, vcc_lo, v29, v107, vcc_lo
	global_store_b16 v[104:105], v109, off
	s_or_b32 exec_lo, exec_lo, s15
	s_and_b32 s16, s4, s8
	s_delay_alu instid0(SALU_CYCLE_1)
	s_and_saveexec_b32 s15, s16
	s_cbranch_execz .LBB222_99
.LBB222_118:
	v_cmp_ne_u32_e32 vcc_lo, 1, v73
	s_cbranch_vccnz .LBB222_120
; %bb.119:
	v_lshlrev_b64 v[104:105], 1, v[40:41]
	s_delay_alu instid0(VALU_DEP_1) | instskip(NEXT) | instid1(VALU_DEP_2)
	v_add_co_u32 v104, vcc_lo, v98, v104
	v_add_co_ci_u32_e32 v105, vcc_lo, v108, v105, vcc_lo
	flat_load_u16 v104, v[104:105]
	s_waitcnt vmcnt(0) lgkmcnt(0)
	v_mul_f16_e32 v104, v48, v104
	s_branch .LBB222_121
.LBB222_120:
	v_mov_b32_e32 v104, 0
.LBB222_121:
	v_pk_add_f16 v105, v8, v30
	v_pk_max_f16 v103, v103, v103
	v_pk_add_f16 v106, v9, v31
	s_delay_alu instid0(VALU_DEP_2) | instskip(NEXT) | instid1(VALU_DEP_1)
	v_pk_min_f16 v103, v103, v105
	v_pk_min_f16 v103, v103, v106
	v_lshlrev_b64 v[105:106], 1, v[40:41]
	s_delay_alu instid0(VALU_DEP_2) | instskip(NEXT) | instid1(VALU_DEP_1)
	v_lshrrev_b32_e32 v107, 16, v103
	v_min3_f16 v107, v104, v103, v107
	s_delay_alu instid0(VALU_DEP_3) | instskip(NEXT) | instid1(VALU_DEP_4)
	v_add_co_u32 v103, vcc_lo, v28, v105
	v_add_co_ci_u32_e32 v104, vcc_lo, v29, v106, vcc_lo
	global_store_b16 v[103:104], v107, off
	s_or_b32 exec_lo, exec_lo, s15
	s_and_b32 s16, s5, s8
	s_delay_alu instid0(SALU_CYCLE_1)
	s_and_saveexec_b32 s15, s16
	s_cbranch_execz .LBB222_100
.LBB222_122:
	v_cmp_ne_u32_e32 vcc_lo, 1, v73
	s_cbranch_vccnz .LBB222_124
; %bb.123:
	v_lshlrev_b64 v[103:104], 1, v[42:43]
	s_delay_alu instid0(VALU_DEP_1) | instskip(NEXT) | instid1(VALU_DEP_2)
	v_add_co_u32 v103, vcc_lo, v98, v103
	v_add_co_ci_u32_e32 v104, vcc_lo, v108, v104, vcc_lo
	flat_load_u16 v103, v[103:104]
	s_waitcnt vmcnt(0) lgkmcnt(0)
	v_mul_f16_e32 v103, v48, v103
	s_branch .LBB222_125
.LBB222_124:
	v_mov_b32_e32 v103, 0
.LBB222_125:
	v_pk_add_f16 v104, v10, v30
	v_pk_max_f16 v102, v102, v102
	v_pk_add_f16 v105, v11, v31
	s_delay_alu instid0(VALU_DEP_2) | instskip(NEXT) | instid1(VALU_DEP_1)
	v_pk_min_f16 v102, v102, v104
	v_pk_min_f16 v102, v102, v105
	v_lshlrev_b64 v[104:105], 1, v[42:43]
	s_delay_alu instid0(VALU_DEP_2) | instskip(NEXT) | instid1(VALU_DEP_1)
	v_lshrrev_b32_e32 v106, 16, v102
	v_min3_f16 v106, v103, v102, v106
	s_delay_alu instid0(VALU_DEP_3) | instskip(NEXT) | instid1(VALU_DEP_4)
	v_add_co_u32 v102, vcc_lo, v28, v104
	v_add_co_ci_u32_e32 v103, vcc_lo, v29, v105, vcc_lo
	global_store_b16 v[102:103], v106, off
	s_or_b32 exec_lo, exec_lo, s15
	s_and_b32 s16, s6, s8
	s_delay_alu instid0(SALU_CYCLE_1)
	s_and_saveexec_b32 s15, s16
	s_cbranch_execz .LBB222_101
.LBB222_126:
	v_cmp_ne_u32_e32 vcc_lo, 1, v73
	s_cbranch_vccnz .LBB222_128
; %bb.127:
	v_lshlrev_b64 v[102:103], 1, v[44:45]
	s_delay_alu instid0(VALU_DEP_1) | instskip(NEXT) | instid1(VALU_DEP_2)
	v_add_co_u32 v102, vcc_lo, v98, v102
	v_add_co_ci_u32_e32 v103, vcc_lo, v108, v103, vcc_lo
	flat_load_u16 v102, v[102:103]
	s_waitcnt vmcnt(0) lgkmcnt(0)
	v_mul_f16_e32 v102, v48, v102
	s_branch .LBB222_129
.LBB222_128:
	v_mov_b32_e32 v102, 0
.LBB222_129:
	v_pk_add_f16 v103, v0, v30
	v_pk_max_f16 v101, v101, v101
	v_pk_add_f16 v104, v1, v31
	s_delay_alu instid0(VALU_DEP_2) | instskip(NEXT) | instid1(VALU_DEP_1)
	v_pk_min_f16 v101, v101, v103
	v_pk_min_f16 v101, v101, v104
	v_lshlrev_b64 v[103:104], 1, v[44:45]
	s_delay_alu instid0(VALU_DEP_2) | instskip(NEXT) | instid1(VALU_DEP_1)
	v_lshrrev_b32_e32 v105, 16, v101
	v_min3_f16 v105, v102, v101, v105
	s_delay_alu instid0(VALU_DEP_3) | instskip(NEXT) | instid1(VALU_DEP_4)
	v_add_co_u32 v101, vcc_lo, v28, v103
	v_add_co_ci_u32_e32 v102, vcc_lo, v29, v104, vcc_lo
	global_store_b16 v[101:102], v105, off
	s_or_b32 exec_lo, exec_lo, s15
	s_and_b32 s15, s7, s8
	s_delay_alu instid0(SALU_CYCLE_1)
	s_and_saveexec_b32 s8, s15
	s_cbranch_execz .LBB222_134
.LBB222_130:
	v_cmp_ne_u32_e32 vcc_lo, 1, v73
	s_cbranch_vccnz .LBB222_132
; %bb.131:
	v_lshlrev_b64 v[101:102], 1, v[46:47]
	s_delay_alu instid0(VALU_DEP_1) | instskip(NEXT) | instid1(VALU_DEP_2)
	v_add_co_u32 v101, vcc_lo, v98, v101
	v_add_co_ci_u32_e32 v102, vcc_lo, v108, v102, vcc_lo
	flat_load_u16 v98, v[101:102]
	s_waitcnt vmcnt(0) lgkmcnt(0)
	v_mul_f16_e32 v98, v48, v98
	s_branch .LBB222_133
.LBB222_132:
	v_mov_b32_e32 v98, 0
.LBB222_133:
	v_pk_add_f16 v30, v2, v30
	v_pk_max_f16 v100, v100, v100
	v_pk_add_f16 v31, v3, v31
	s_delay_alu instid0(VALU_DEP_2) | instskip(NEXT) | instid1(VALU_DEP_1)
	v_pk_min_f16 v30, v100, v30
	v_pk_min_f16 v100, v30, v31
	v_lshlrev_b64 v[30:31], 1, v[46:47]
	s_delay_alu instid0(VALU_DEP_2) | instskip(NEXT) | instid1(VALU_DEP_2)
	v_lshrrev_b32_e32 v101, 16, v100
	v_add_co_u32 v28, vcc_lo, v28, v30
	s_delay_alu instid0(VALU_DEP_3) | instskip(NEXT) | instid1(VALU_DEP_3)
	v_add_co_ci_u32_e32 v29, vcc_lo, v29, v31, vcc_lo
	v_min3_f16 v98, v98, v100, v101
	global_store_b16 v[28:29], v98, off
.LBB222_134:
	s_or_b32 exec_lo, exec_lo, s8
	v_add_nc_u32_e32 v98, 64, v81
	s_delay_alu instid0(VALU_DEP_1) | instskip(SKIP_2) | instid1(VALU_DEP_3)
	v_mad_i64_i32 v[28:29], null, v98, s14, 0
	v_mad_i64_i32 v[30:31], null, v98, s9, 0
	v_cmp_gt_i32_e64 s8, s17, v98
	v_lshlrev_b64 v[28:29], 1, v[28:29]
	s_delay_alu instid0(VALU_DEP_2) | instskip(NEXT) | instid1(VALU_DEP_3)
	s_and_b32 s16, s0, s8
	v_lshlrev_b64 v[100:101], 1, v[30:31]
	s_delay_alu instid0(VALU_DEP_2) | instskip(NEXT) | instid1(VALU_DEP_3)
	v_add_co_u32 v30, vcc_lo, s10, v28
	v_add_co_ci_u32_e32 v31, vcc_lo, s11, v29, vcc_lo
	s_delay_alu instid0(VALU_DEP_3) | instskip(NEXT) | instid1(VALU_DEP_4)
	v_add_co_u32 v28, vcc_lo, s12, v100
	v_add_co_ci_u32_e32 v29, vcc_lo, s13, v101, vcc_lo
	s_and_saveexec_b32 s15, s16
	s_cbranch_execnz .LBB222_142
; %bb.135:
	s_or_b32 exec_lo, exec_lo, s15
	s_and_b32 s16, s1, s8
	s_delay_alu instid0(SALU_CYCLE_1)
	s_and_saveexec_b32 s15, s16
	s_cbranch_execnz .LBB222_146
.LBB222_136:
	s_or_b32 exec_lo, exec_lo, s15
	s_and_b32 s16, s2, s8
	s_delay_alu instid0(SALU_CYCLE_1)
	s_and_saveexec_b32 s15, s16
	s_cbranch_execnz .LBB222_150
.LBB222_137:
	s_or_b32 exec_lo, exec_lo, s15
	s_and_b32 s16, s3, s8
	s_delay_alu instid0(SALU_CYCLE_1)
	s_and_saveexec_b32 s15, s16
	s_cbranch_execnz .LBB222_154
.LBB222_138:
	s_or_b32 exec_lo, exec_lo, s15
	s_and_b32 s16, s4, s8
	s_delay_alu instid0(SALU_CYCLE_1)
	s_and_saveexec_b32 s15, s16
	s_cbranch_execnz .LBB222_158
.LBB222_139:
	s_or_b32 exec_lo, exec_lo, s15
	s_and_b32 s16, s5, s8
	s_delay_alu instid0(SALU_CYCLE_1)
	s_and_saveexec_b32 s15, s16
	s_cbranch_execnz .LBB222_162
.LBB222_140:
	s_or_b32 exec_lo, exec_lo, s15
	s_and_b32 s16, s6, s8
	s_delay_alu instid0(SALU_CYCLE_1)
	s_and_saveexec_b32 s15, s16
	s_cbranch_execnz .LBB222_166
.LBB222_141:
	s_or_b32 exec_lo, exec_lo, s15
	s_and_b32 s15, s7, s8
	s_delay_alu instid0(SALU_CYCLE_1)
	s_and_saveexec_b32 s8, s15
	s_cbranch_execnz .LBB222_170
	s_branch .LBB222_174
.LBB222_142:
	v_cmp_ne_u32_e32 vcc_lo, 1, v73
	s_cbranch_vccnz .LBB222_144
; %bb.143:
	v_lshlrev_b64 v[100:101], 1, v[32:33]
	s_delay_alu instid0(VALU_DEP_1) | instskip(NEXT) | instid1(VALU_DEP_2)
	v_add_co_u32 v100, vcc_lo, v30, v100
	v_add_co_ci_u32_e32 v101, vcc_lo, v31, v101, vcc_lo
	flat_load_u16 v98, v[100:101]
	s_waitcnt vmcnt(0) lgkmcnt(0)
	v_mul_f16_e32 v98, v48, v98
	s_branch .LBB222_145
.LBB222_144:
	v_mov_b32_e32 v98, 0
.LBB222_145:
	v_pk_add_f16 v100, v16, v24
	v_pk_max_f16 v99, v99, v99
	v_pk_add_f16 v101, v17, v25
	s_delay_alu instid0(VALU_DEP_2) | instskip(NEXT) | instid1(VALU_DEP_1)
	v_pk_min_f16 v99, v99, v100
	v_pk_min_f16 v101, v99, v101
	v_lshlrev_b64 v[99:100], 1, v[32:33]
	s_delay_alu instid0(VALU_DEP_2) | instskip(NEXT) | instid1(VALU_DEP_1)
	v_lshrrev_b32_e32 v102, 16, v101
	v_min3_f16 v101, v98, v101, v102
	s_delay_alu instid0(VALU_DEP_3) | instskip(NEXT) | instid1(VALU_DEP_4)
	v_add_co_u32 v98, vcc_lo, v28, v99
	v_add_co_ci_u32_e32 v99, vcc_lo, v29, v100, vcc_lo
	global_store_b16 v[98:99], v101, off
	s_or_b32 exec_lo, exec_lo, s15
	s_and_b32 s16, s1, s8
	s_delay_alu instid0(SALU_CYCLE_1)
	s_and_saveexec_b32 s15, s16
	s_cbranch_execz .LBB222_136
.LBB222_146:
	v_cmp_ne_u32_e32 vcc_lo, 1, v73
	s_cbranch_vccnz .LBB222_148
; %bb.147:
	v_lshlrev_b64 v[98:99], 1, v[34:35]
	s_delay_alu instid0(VALU_DEP_1) | instskip(NEXT) | instid1(VALU_DEP_2)
	v_add_co_u32 v98, vcc_lo, v30, v98
	v_add_co_ci_u32_e32 v99, vcc_lo, v31, v99, vcc_lo
	flat_load_u16 v98, v[98:99]
	s_waitcnt vmcnt(0) lgkmcnt(0)
	v_mul_f16_e32 v98, v48, v98
	s_branch .LBB222_149
.LBB222_148:
	v_mov_b32_e32 v98, 0
.LBB222_149:
	v_pk_add_f16 v99, v18, v24
	v_pk_max_f16 v97, v97, v97
	v_pk_add_f16 v100, v19, v25
	s_delay_alu instid0(VALU_DEP_2) | instskip(NEXT) | instid1(VALU_DEP_1)
	v_pk_min_f16 v97, v97, v99
	v_pk_min_f16 v97, v97, v100
	v_lshlrev_b64 v[99:100], 1, v[34:35]
	s_delay_alu instid0(VALU_DEP_2) | instskip(NEXT) | instid1(VALU_DEP_1)
	v_lshrrev_b32_e32 v101, 16, v97
	v_min3_f16 v101, v98, v97, v101
	s_delay_alu instid0(VALU_DEP_3) | instskip(NEXT) | instid1(VALU_DEP_4)
	v_add_co_u32 v97, vcc_lo, v28, v99
	v_add_co_ci_u32_e32 v98, vcc_lo, v29, v100, vcc_lo
	global_store_b16 v[97:98], v101, off
	s_or_b32 exec_lo, exec_lo, s15
	s_and_b32 s16, s2, s8
	s_delay_alu instid0(SALU_CYCLE_1)
	s_and_saveexec_b32 s15, s16
	s_cbranch_execz .LBB222_137
.LBB222_150:
	v_cmp_ne_u32_e32 vcc_lo, 1, v73
	s_cbranch_vccnz .LBB222_152
; %bb.151:
	v_lshlrev_b64 v[97:98], 1, v[36:37]
	s_delay_alu instid0(VALU_DEP_1) | instskip(NEXT) | instid1(VALU_DEP_2)
	v_add_co_u32 v97, vcc_lo, v30, v97
	v_add_co_ci_u32_e32 v98, vcc_lo, v31, v98, vcc_lo
	flat_load_u16 v97, v[97:98]
	s_waitcnt vmcnt(0) lgkmcnt(0)
	v_mul_f16_e32 v97, v48, v97
	s_branch .LBB222_153
.LBB222_152:
	v_mov_b32_e32 v97, 0
.LBB222_153:
	v_pk_add_f16 v98, v12, v24
	v_pk_max_f16 v96, v96, v96
	v_pk_add_f16 v99, v13, v25
	s_delay_alu instid0(VALU_DEP_2) | instskip(NEXT) | instid1(VALU_DEP_1)
	v_pk_min_f16 v96, v96, v98
	v_pk_min_f16 v96, v96, v99
	v_lshlrev_b64 v[98:99], 1, v[36:37]
	s_delay_alu instid0(VALU_DEP_2) | instskip(NEXT) | instid1(VALU_DEP_1)
	v_lshrrev_b32_e32 v100, 16, v96
	v_min3_f16 v100, v97, v96, v100
	s_delay_alu instid0(VALU_DEP_3) | instskip(NEXT) | instid1(VALU_DEP_4)
	v_add_co_u32 v96, vcc_lo, v28, v98
	v_add_co_ci_u32_e32 v97, vcc_lo, v29, v99, vcc_lo
	global_store_b16 v[96:97], v100, off
	s_or_b32 exec_lo, exec_lo, s15
	s_and_b32 s16, s3, s8
	s_delay_alu instid0(SALU_CYCLE_1)
	s_and_saveexec_b32 s15, s16
	s_cbranch_execz .LBB222_138
.LBB222_154:
	v_cmp_ne_u32_e32 vcc_lo, 1, v73
	s_cbranch_vccnz .LBB222_156
; %bb.155:
	v_lshlrev_b64 v[96:97], 1, v[38:39]
	s_delay_alu instid0(VALU_DEP_1) | instskip(NEXT) | instid1(VALU_DEP_2)
	v_add_co_u32 v96, vcc_lo, v30, v96
	v_add_co_ci_u32_e32 v97, vcc_lo, v31, v97, vcc_lo
	flat_load_u16 v96, v[96:97]
	s_waitcnt vmcnt(0) lgkmcnt(0)
	v_mul_f16_e32 v96, v48, v96
	s_branch .LBB222_157
.LBB222_156:
	v_mov_b32_e32 v96, 0
.LBB222_157:
	v_pk_add_f16 v97, v14, v24
	v_pk_max_f16 v95, v95, v95
	v_pk_add_f16 v98, v15, v25
	s_delay_alu instid0(VALU_DEP_2) | instskip(NEXT) | instid1(VALU_DEP_1)
	v_pk_min_f16 v95, v95, v97
	v_pk_min_f16 v95, v95, v98
	v_lshlrev_b64 v[97:98], 1, v[38:39]
	s_delay_alu instid0(VALU_DEP_2) | instskip(NEXT) | instid1(VALU_DEP_1)
	v_lshrrev_b32_e32 v99, 16, v95
	v_min3_f16 v99, v96, v95, v99
	s_delay_alu instid0(VALU_DEP_3) | instskip(NEXT) | instid1(VALU_DEP_4)
	v_add_co_u32 v95, vcc_lo, v28, v97
	v_add_co_ci_u32_e32 v96, vcc_lo, v29, v98, vcc_lo
	global_store_b16 v[95:96], v99, off
	s_or_b32 exec_lo, exec_lo, s15
	s_and_b32 s16, s4, s8
	s_delay_alu instid0(SALU_CYCLE_1)
	s_and_saveexec_b32 s15, s16
	s_cbranch_execz .LBB222_139
.LBB222_158:
	v_cmp_ne_u32_e32 vcc_lo, 1, v73
	s_cbranch_vccnz .LBB222_160
; %bb.159:
	v_lshlrev_b64 v[95:96], 1, v[40:41]
	s_delay_alu instid0(VALU_DEP_1) | instskip(NEXT) | instid1(VALU_DEP_2)
	v_add_co_u32 v95, vcc_lo, v30, v95
	v_add_co_ci_u32_e32 v96, vcc_lo, v31, v96, vcc_lo
	flat_load_u16 v95, v[95:96]
	s_waitcnt vmcnt(0) lgkmcnt(0)
	v_mul_f16_e32 v95, v48, v95
	s_branch .LBB222_161
.LBB222_160:
	v_mov_b32_e32 v95, 0
.LBB222_161:
	v_pk_add_f16 v96, v8, v24
	v_pk_max_f16 v94, v94, v94
	v_pk_add_f16 v97, v9, v25
	s_delay_alu instid0(VALU_DEP_2) | instskip(NEXT) | instid1(VALU_DEP_1)
	v_pk_min_f16 v94, v94, v96
	v_pk_min_f16 v94, v94, v97
	v_lshlrev_b64 v[96:97], 1, v[40:41]
	s_delay_alu instid0(VALU_DEP_2) | instskip(NEXT) | instid1(VALU_DEP_1)
	v_lshrrev_b32_e32 v98, 16, v94
	v_min3_f16 v98, v95, v94, v98
	s_delay_alu instid0(VALU_DEP_3) | instskip(NEXT) | instid1(VALU_DEP_4)
	v_add_co_u32 v94, vcc_lo, v28, v96
	v_add_co_ci_u32_e32 v95, vcc_lo, v29, v97, vcc_lo
	global_store_b16 v[94:95], v98, off
	s_or_b32 exec_lo, exec_lo, s15
	s_and_b32 s16, s5, s8
	s_delay_alu instid0(SALU_CYCLE_1)
	s_and_saveexec_b32 s15, s16
	s_cbranch_execz .LBB222_140
.LBB222_162:
	v_cmp_ne_u32_e32 vcc_lo, 1, v73
	s_cbranch_vccnz .LBB222_164
; %bb.163:
	v_lshlrev_b64 v[94:95], 1, v[42:43]
	s_delay_alu instid0(VALU_DEP_1) | instskip(NEXT) | instid1(VALU_DEP_2)
	v_add_co_u32 v94, vcc_lo, v30, v94
	v_add_co_ci_u32_e32 v95, vcc_lo, v31, v95, vcc_lo
	flat_load_u16 v94, v[94:95]
	s_waitcnt vmcnt(0) lgkmcnt(0)
	v_mul_f16_e32 v94, v48, v94
	s_branch .LBB222_165
.LBB222_164:
	v_mov_b32_e32 v94, 0
.LBB222_165:
	v_pk_add_f16 v95, v10, v24
	v_pk_max_f16 v93, v93, v93
	v_pk_add_f16 v96, v11, v25
	s_delay_alu instid0(VALU_DEP_2) | instskip(NEXT) | instid1(VALU_DEP_1)
	v_pk_min_f16 v93, v93, v95
	v_pk_min_f16 v93, v93, v96
	v_lshlrev_b64 v[95:96], 1, v[42:43]
	s_delay_alu instid0(VALU_DEP_2) | instskip(NEXT) | instid1(VALU_DEP_1)
	v_lshrrev_b32_e32 v97, 16, v93
	v_min3_f16 v97, v94, v93, v97
	s_delay_alu instid0(VALU_DEP_3) | instskip(NEXT) | instid1(VALU_DEP_4)
	v_add_co_u32 v93, vcc_lo, v28, v95
	v_add_co_ci_u32_e32 v94, vcc_lo, v29, v96, vcc_lo
	global_store_b16 v[93:94], v97, off
	s_or_b32 exec_lo, exec_lo, s15
	s_and_b32 s16, s6, s8
	s_delay_alu instid0(SALU_CYCLE_1)
	s_and_saveexec_b32 s15, s16
	s_cbranch_execz .LBB222_141
.LBB222_166:
	v_cmp_ne_u32_e32 vcc_lo, 1, v73
	s_cbranch_vccnz .LBB222_168
; %bb.167:
	v_lshlrev_b64 v[93:94], 1, v[44:45]
	s_delay_alu instid0(VALU_DEP_1) | instskip(NEXT) | instid1(VALU_DEP_2)
	v_add_co_u32 v93, vcc_lo, v30, v93
	v_add_co_ci_u32_e32 v94, vcc_lo, v31, v94, vcc_lo
	flat_load_u16 v93, v[93:94]
	s_waitcnt vmcnt(0) lgkmcnt(0)
	v_mul_f16_e32 v93, v48, v93
	s_branch .LBB222_169
.LBB222_168:
	v_mov_b32_e32 v93, 0
.LBB222_169:
	v_pk_add_f16 v94, v0, v24
	v_pk_max_f16 v92, v92, v92
	v_pk_add_f16 v95, v1, v25
	s_delay_alu instid0(VALU_DEP_2) | instskip(NEXT) | instid1(VALU_DEP_1)
	v_pk_min_f16 v92, v92, v94
	v_pk_min_f16 v92, v92, v95
	v_lshlrev_b64 v[94:95], 1, v[44:45]
	s_delay_alu instid0(VALU_DEP_2) | instskip(NEXT) | instid1(VALU_DEP_1)
	v_lshrrev_b32_e32 v96, 16, v92
	v_min3_f16 v96, v93, v92, v96
	s_delay_alu instid0(VALU_DEP_3) | instskip(NEXT) | instid1(VALU_DEP_4)
	v_add_co_u32 v92, vcc_lo, v28, v94
	v_add_co_ci_u32_e32 v93, vcc_lo, v29, v95, vcc_lo
	global_store_b16 v[92:93], v96, off
	s_or_b32 exec_lo, exec_lo, s15
	s_and_b32 s15, s7, s8
	s_delay_alu instid0(SALU_CYCLE_1)
	s_and_saveexec_b32 s8, s15
	s_cbranch_execz .LBB222_174
.LBB222_170:
	v_cmp_ne_u32_e32 vcc_lo, 1, v73
	s_cbranch_vccnz .LBB222_172
; %bb.171:
	v_lshlrev_b64 v[92:93], 1, v[46:47]
	s_delay_alu instid0(VALU_DEP_1) | instskip(NEXT) | instid1(VALU_DEP_2)
	v_add_co_u32 v30, vcc_lo, v30, v92
	v_add_co_ci_u32_e32 v31, vcc_lo, v31, v93, vcc_lo
	flat_load_u16 v30, v[30:31]
	s_waitcnt vmcnt(0) lgkmcnt(0)
	v_mul_f16_e32 v30, v48, v30
	s_branch .LBB222_173
.LBB222_172:
	v_mov_b32_e32 v30, 0
.LBB222_173:
	v_pk_add_f16 v24, v2, v24
	v_pk_max_f16 v31, v91, v91
	v_pk_add_f16 v25, v3, v25
	s_delay_alu instid0(VALU_DEP_2) | instskip(NEXT) | instid1(VALU_DEP_1)
	v_pk_min_f16 v24, v31, v24
	v_pk_min_f16 v31, v24, v25
	v_lshlrev_b64 v[24:25], 1, v[46:47]
	s_delay_alu instid0(VALU_DEP_2) | instskip(NEXT) | instid1(VALU_DEP_2)
	v_lshrrev_b32_e32 v91, 16, v31
	v_add_co_u32 v24, vcc_lo, v28, v24
	s_delay_alu instid0(VALU_DEP_3) | instskip(NEXT) | instid1(VALU_DEP_3)
	v_add_co_ci_u32_e32 v25, vcc_lo, v29, v25, vcc_lo
	v_min3_f16 v30, v30, v31, v91
	global_store_b16 v[24:25], v30, off
.LBB222_174:
	s_or_b32 exec_lo, exec_lo, s8
	v_add_nc_u32_e32 v30, 0x60, v81
	s_delay_alu instid0(VALU_DEP_1) | instskip(SKIP_2) | instid1(VALU_DEP_3)
	v_mad_i64_i32 v[24:25], null, v30, s14, 0
	v_mad_i64_i32 v[28:29], null, v30, s9, 0
	v_cmp_gt_i32_e64 s8, s17, v30
	v_lshlrev_b64 v[24:25], 1, v[24:25]
	s_delay_alu instid0(VALU_DEP_2) | instskip(NEXT) | instid1(VALU_DEP_3)
	s_and_b32 s16, s0, s8
	v_lshlrev_b64 v[30:31], 1, v[28:29]
	s_delay_alu instid0(VALU_DEP_2) | instskip(NEXT) | instid1(VALU_DEP_3)
	v_add_co_u32 v28, vcc_lo, s10, v24
	v_add_co_ci_u32_e32 v29, vcc_lo, s11, v25, vcc_lo
	s_delay_alu instid0(VALU_DEP_3) | instskip(NEXT) | instid1(VALU_DEP_4)
	v_add_co_u32 v24, vcc_lo, s12, v30
	v_add_co_ci_u32_e32 v25, vcc_lo, s13, v31, vcc_lo
	s_and_saveexec_b32 s15, s16
	s_cbranch_execnz .LBB222_182
; %bb.175:
	s_or_b32 exec_lo, exec_lo, s15
	s_and_b32 s16, s1, s8
	s_delay_alu instid0(SALU_CYCLE_1)
	s_and_saveexec_b32 s15, s16
	s_cbranch_execnz .LBB222_186
.LBB222_176:
	s_or_b32 exec_lo, exec_lo, s15
	s_and_b32 s16, s2, s8
	s_delay_alu instid0(SALU_CYCLE_1)
	s_and_saveexec_b32 s15, s16
	s_cbranch_execnz .LBB222_190
.LBB222_177:
	s_or_b32 exec_lo, exec_lo, s15
	s_and_b32 s16, s3, s8
	s_delay_alu instid0(SALU_CYCLE_1)
	s_and_saveexec_b32 s15, s16
	s_cbranch_execnz .LBB222_194
.LBB222_178:
	s_or_b32 exec_lo, exec_lo, s15
	s_and_b32 s16, s4, s8
	s_delay_alu instid0(SALU_CYCLE_1)
	s_and_saveexec_b32 s15, s16
	s_cbranch_execnz .LBB222_198
.LBB222_179:
	s_or_b32 exec_lo, exec_lo, s15
	s_and_b32 s16, s5, s8
	s_delay_alu instid0(SALU_CYCLE_1)
	s_and_saveexec_b32 s15, s16
	s_cbranch_execnz .LBB222_202
.LBB222_180:
	s_or_b32 exec_lo, exec_lo, s15
	s_and_b32 s16, s6, s8
	s_delay_alu instid0(SALU_CYCLE_1)
	s_and_saveexec_b32 s15, s16
	s_cbranch_execnz .LBB222_206
.LBB222_181:
	s_or_b32 exec_lo, exec_lo, s15
	s_and_b32 s15, s7, s8
	s_delay_alu instid0(SALU_CYCLE_1)
	s_and_saveexec_b32 s8, s15
	s_cbranch_execnz .LBB222_210
	s_branch .LBB222_214
.LBB222_182:
	v_cmp_ne_u32_e32 vcc_lo, 1, v73
	s_cbranch_vccnz .LBB222_184
; %bb.183:
	v_lshlrev_b64 v[30:31], 1, v[32:33]
	s_delay_alu instid0(VALU_DEP_1) | instskip(NEXT) | instid1(VALU_DEP_2)
	v_add_co_u32 v30, vcc_lo, v28, v30
	v_add_co_ci_u32_e32 v31, vcc_lo, v29, v31, vcc_lo
	flat_load_u16 v30, v[30:31]
	s_waitcnt vmcnt(0) lgkmcnt(0)
	v_mul_f16_e32 v30, v48, v30
	s_branch .LBB222_185
.LBB222_184:
	v_mov_b32_e32 v30, 0
.LBB222_185:
	v_pk_add_f16 v31, v16, v26
	v_pk_max_f16 v90, v90, v90
	v_pk_add_f16 v91, v17, v27
	s_delay_alu instid0(VALU_DEP_2) | instskip(NEXT) | instid1(VALU_DEP_1)
	v_pk_min_f16 v31, v90, v31
	v_pk_min_f16 v31, v31, v91
	v_lshlrev_b64 v[90:91], 1, v[32:33]
	s_delay_alu instid0(VALU_DEP_2) | instskip(NEXT) | instid1(VALU_DEP_1)
	v_lshrrev_b32_e32 v92, 16, v31
	v_min3_f16 v92, v30, v31, v92
	s_delay_alu instid0(VALU_DEP_3) | instskip(NEXT) | instid1(VALU_DEP_4)
	v_add_co_u32 v30, vcc_lo, v24, v90
	v_add_co_ci_u32_e32 v31, vcc_lo, v25, v91, vcc_lo
	global_store_b16 v[30:31], v92, off
	s_or_b32 exec_lo, exec_lo, s15
	s_and_b32 s16, s1, s8
	s_delay_alu instid0(SALU_CYCLE_1)
	s_and_saveexec_b32 s15, s16
	s_cbranch_execz .LBB222_176
.LBB222_186:
	v_cmp_ne_u32_e32 vcc_lo, 1, v73
	s_cbranch_vccnz .LBB222_188
; %bb.187:
	v_lshlrev_b64 v[30:31], 1, v[34:35]
	s_delay_alu instid0(VALU_DEP_1) | instskip(NEXT) | instid1(VALU_DEP_2)
	v_add_co_u32 v30, vcc_lo, v28, v30
	v_add_co_ci_u32_e32 v31, vcc_lo, v29, v31, vcc_lo
	flat_load_u16 v30, v[30:31]
	s_waitcnt vmcnt(0) lgkmcnt(0)
	v_mul_f16_e32 v30, v48, v30
	s_branch .LBB222_189
.LBB222_188:
	v_mov_b32_e32 v30, 0
.LBB222_189:
	v_pk_add_f16 v31, v18, v26
	v_pk_max_f16 v89, v89, v89
	v_pk_add_f16 v90, v19, v27
	s_delay_alu instid0(VALU_DEP_2) | instskip(NEXT) | instid1(VALU_DEP_1)
	v_pk_min_f16 v31, v89, v31
	v_pk_min_f16 v31, v31, v90
	v_lshlrev_b64 v[89:90], 1, v[34:35]
	s_delay_alu instid0(VALU_DEP_2) | instskip(NEXT) | instid1(VALU_DEP_1)
	v_lshrrev_b32_e32 v91, 16, v31
	v_min3_f16 v91, v30, v31, v91
	s_delay_alu instid0(VALU_DEP_3) | instskip(NEXT) | instid1(VALU_DEP_4)
	v_add_co_u32 v30, vcc_lo, v24, v89
	v_add_co_ci_u32_e32 v31, vcc_lo, v25, v90, vcc_lo
	global_store_b16 v[30:31], v91, off
	s_or_b32 exec_lo, exec_lo, s15
	s_and_b32 s16, s2, s8
	s_delay_alu instid0(SALU_CYCLE_1)
	s_and_saveexec_b32 s15, s16
	s_cbranch_execz .LBB222_177
.LBB222_190:
	v_cmp_ne_u32_e32 vcc_lo, 1, v73
	s_cbranch_vccnz .LBB222_192
; %bb.191:
	v_lshlrev_b64 v[30:31], 1, v[36:37]
	s_delay_alu instid0(VALU_DEP_1) | instskip(NEXT) | instid1(VALU_DEP_2)
	v_add_co_u32 v30, vcc_lo, v28, v30
	v_add_co_ci_u32_e32 v31, vcc_lo, v29, v31, vcc_lo
	flat_load_u16 v30, v[30:31]
	s_waitcnt vmcnt(0) lgkmcnt(0)
	v_mul_f16_e32 v30, v48, v30
	s_branch .LBB222_193
.LBB222_192:
	v_mov_b32_e32 v30, 0
.LBB222_193:
	v_pk_add_f16 v31, v12, v26
	v_pk_max_f16 v88, v88, v88
	v_pk_add_f16 v89, v13, v27
	s_delay_alu instid0(VALU_DEP_2) | instskip(NEXT) | instid1(VALU_DEP_1)
	v_pk_min_f16 v31, v88, v31
	v_pk_min_f16 v31, v31, v89
	v_lshlrev_b64 v[88:89], 1, v[36:37]
	s_delay_alu instid0(VALU_DEP_2) | instskip(NEXT) | instid1(VALU_DEP_1)
	v_lshrrev_b32_e32 v90, 16, v31
	v_min3_f16 v90, v30, v31, v90
	s_delay_alu instid0(VALU_DEP_3) | instskip(NEXT) | instid1(VALU_DEP_4)
	v_add_co_u32 v30, vcc_lo, v24, v88
	v_add_co_ci_u32_e32 v31, vcc_lo, v25, v89, vcc_lo
	global_store_b16 v[30:31], v90, off
	s_or_b32 exec_lo, exec_lo, s15
	s_and_b32 s16, s3, s8
	s_delay_alu instid0(SALU_CYCLE_1)
	s_and_saveexec_b32 s15, s16
	s_cbranch_execz .LBB222_178
.LBB222_194:
	v_cmp_ne_u32_e32 vcc_lo, 1, v73
	s_cbranch_vccnz .LBB222_196
; %bb.195:
	v_lshlrev_b64 v[30:31], 1, v[38:39]
	s_delay_alu instid0(VALU_DEP_1) | instskip(NEXT) | instid1(VALU_DEP_2)
	v_add_co_u32 v30, vcc_lo, v28, v30
	v_add_co_ci_u32_e32 v31, vcc_lo, v29, v31, vcc_lo
	flat_load_u16 v30, v[30:31]
	s_waitcnt vmcnt(0) lgkmcnt(0)
	v_mul_f16_e32 v30, v48, v30
	s_branch .LBB222_197
.LBB222_196:
	v_mov_b32_e32 v30, 0
.LBB222_197:
	v_pk_add_f16 v31, v14, v26
	v_pk_max_f16 v87, v87, v87
	v_pk_add_f16 v88, v15, v27
	s_delay_alu instid0(VALU_DEP_2) | instskip(NEXT) | instid1(VALU_DEP_1)
	v_pk_min_f16 v31, v87, v31
	v_pk_min_f16 v31, v31, v88
	v_lshlrev_b64 v[87:88], 1, v[38:39]
	s_delay_alu instid0(VALU_DEP_2) | instskip(NEXT) | instid1(VALU_DEP_1)
	v_lshrrev_b32_e32 v89, 16, v31
	v_min3_f16 v89, v30, v31, v89
	s_delay_alu instid0(VALU_DEP_3) | instskip(NEXT) | instid1(VALU_DEP_4)
	v_add_co_u32 v30, vcc_lo, v24, v87
	v_add_co_ci_u32_e32 v31, vcc_lo, v25, v88, vcc_lo
	global_store_b16 v[30:31], v89, off
	s_or_b32 exec_lo, exec_lo, s15
	s_and_b32 s16, s4, s8
	s_delay_alu instid0(SALU_CYCLE_1)
	s_and_saveexec_b32 s15, s16
	s_cbranch_execz .LBB222_179
.LBB222_198:
	v_cmp_ne_u32_e32 vcc_lo, 1, v73
	s_cbranch_vccnz .LBB222_200
; %bb.199:
	v_lshlrev_b64 v[30:31], 1, v[40:41]
	s_delay_alu instid0(VALU_DEP_1) | instskip(NEXT) | instid1(VALU_DEP_2)
	v_add_co_u32 v30, vcc_lo, v28, v30
	v_add_co_ci_u32_e32 v31, vcc_lo, v29, v31, vcc_lo
	flat_load_u16 v30, v[30:31]
	s_waitcnt vmcnt(0) lgkmcnt(0)
	v_mul_f16_e32 v30, v48, v30
	s_branch .LBB222_201
.LBB222_200:
	v_mov_b32_e32 v30, 0
.LBB222_201:
	v_pk_add_f16 v31, v8, v26
	v_pk_max_f16 v86, v86, v86
	v_pk_add_f16 v87, v9, v27
	s_delay_alu instid0(VALU_DEP_2) | instskip(NEXT) | instid1(VALU_DEP_1)
	v_pk_min_f16 v31, v86, v31
	v_pk_min_f16 v31, v31, v87
	v_lshlrev_b64 v[86:87], 1, v[40:41]
	s_delay_alu instid0(VALU_DEP_2) | instskip(NEXT) | instid1(VALU_DEP_1)
	v_lshrrev_b32_e32 v88, 16, v31
	v_min3_f16 v88, v30, v31, v88
	s_delay_alu instid0(VALU_DEP_3) | instskip(NEXT) | instid1(VALU_DEP_4)
	v_add_co_u32 v30, vcc_lo, v24, v86
	v_add_co_ci_u32_e32 v31, vcc_lo, v25, v87, vcc_lo
	global_store_b16 v[30:31], v88, off
	s_or_b32 exec_lo, exec_lo, s15
	s_and_b32 s16, s5, s8
	s_delay_alu instid0(SALU_CYCLE_1)
	s_and_saveexec_b32 s15, s16
	s_cbranch_execz .LBB222_180
.LBB222_202:
	v_cmp_ne_u32_e32 vcc_lo, 1, v73
	s_cbranch_vccnz .LBB222_204
; %bb.203:
	v_lshlrev_b64 v[30:31], 1, v[42:43]
	s_delay_alu instid0(VALU_DEP_1) | instskip(NEXT) | instid1(VALU_DEP_2)
	v_add_co_u32 v30, vcc_lo, v28, v30
	v_add_co_ci_u32_e32 v31, vcc_lo, v29, v31, vcc_lo
	flat_load_u16 v30, v[30:31]
	s_waitcnt vmcnt(0) lgkmcnt(0)
	v_mul_f16_e32 v30, v48, v30
	s_branch .LBB222_205
.LBB222_204:
	v_mov_b32_e32 v30, 0
.LBB222_205:
	v_pk_add_f16 v31, v10, v26
	v_pk_max_f16 v85, v85, v85
	v_pk_add_f16 v86, v11, v27
	s_delay_alu instid0(VALU_DEP_2) | instskip(NEXT) | instid1(VALU_DEP_1)
	v_pk_min_f16 v31, v85, v31
	v_pk_min_f16 v31, v31, v86
	v_lshlrev_b64 v[85:86], 1, v[42:43]
	s_delay_alu instid0(VALU_DEP_2) | instskip(NEXT) | instid1(VALU_DEP_1)
	v_lshrrev_b32_e32 v87, 16, v31
	v_min3_f16 v87, v30, v31, v87
	s_delay_alu instid0(VALU_DEP_3) | instskip(NEXT) | instid1(VALU_DEP_4)
	v_add_co_u32 v30, vcc_lo, v24, v85
	v_add_co_ci_u32_e32 v31, vcc_lo, v25, v86, vcc_lo
	global_store_b16 v[30:31], v87, off
	s_or_b32 exec_lo, exec_lo, s15
	s_and_b32 s16, s6, s8
	s_delay_alu instid0(SALU_CYCLE_1)
	s_and_saveexec_b32 s15, s16
	s_cbranch_execz .LBB222_181
.LBB222_206:
	v_cmp_ne_u32_e32 vcc_lo, 1, v73
	s_cbranch_vccnz .LBB222_208
; %bb.207:
	v_lshlrev_b64 v[30:31], 1, v[44:45]
	s_delay_alu instid0(VALU_DEP_1) | instskip(NEXT) | instid1(VALU_DEP_2)
	v_add_co_u32 v30, vcc_lo, v28, v30
	v_add_co_ci_u32_e32 v31, vcc_lo, v29, v31, vcc_lo
	flat_load_u16 v30, v[30:31]
	s_waitcnt vmcnt(0) lgkmcnt(0)
	v_mul_f16_e32 v30, v48, v30
	s_branch .LBB222_209
.LBB222_208:
	v_mov_b32_e32 v30, 0
.LBB222_209:
	v_pk_add_f16 v31, v0, v26
	v_pk_max_f16 v84, v84, v84
	v_pk_add_f16 v85, v1, v27
	s_delay_alu instid0(VALU_DEP_2) | instskip(NEXT) | instid1(VALU_DEP_1)
	v_pk_min_f16 v31, v84, v31
	v_pk_min_f16 v31, v31, v85
	v_lshlrev_b64 v[84:85], 1, v[44:45]
	s_delay_alu instid0(VALU_DEP_2) | instskip(NEXT) | instid1(VALU_DEP_1)
	v_lshrrev_b32_e32 v86, 16, v31
	v_min3_f16 v86, v30, v31, v86
	s_delay_alu instid0(VALU_DEP_3) | instskip(NEXT) | instid1(VALU_DEP_4)
	v_add_co_u32 v30, vcc_lo, v24, v84
	v_add_co_ci_u32_e32 v31, vcc_lo, v25, v85, vcc_lo
	global_store_b16 v[30:31], v86, off
	s_or_b32 exec_lo, exec_lo, s15
	s_and_b32 s15, s7, s8
	s_delay_alu instid0(SALU_CYCLE_1)
	s_and_saveexec_b32 s8, s15
	s_cbranch_execz .LBB222_214
.LBB222_210:
	v_cmp_ne_u32_e32 vcc_lo, 1, v73
	s_cbranch_vccnz .LBB222_212
; %bb.211:
	v_lshlrev_b64 v[30:31], 1, v[46:47]
	s_delay_alu instid0(VALU_DEP_1) | instskip(NEXT) | instid1(VALU_DEP_2)
	v_add_co_u32 v28, vcc_lo, v28, v30
	v_add_co_ci_u32_e32 v29, vcc_lo, v29, v31, vcc_lo
	flat_load_u16 v28, v[28:29]
	s_waitcnt vmcnt(0) lgkmcnt(0)
	v_mul_f16_e32 v28, v48, v28
	s_branch .LBB222_213
.LBB222_212:
	v_mov_b32_e32 v28, 0
.LBB222_213:
	v_pk_add_f16 v26, v2, v26
	v_pk_max_f16 v29, v83, v83
	v_pk_add_f16 v27, v3, v27
	s_delay_alu instid0(VALU_DEP_2) | instskip(NEXT) | instid1(VALU_DEP_1)
	v_pk_min_f16 v26, v29, v26
	v_pk_min_f16 v29, v26, v27
	v_lshlrev_b64 v[26:27], 1, v[46:47]
	s_delay_alu instid0(VALU_DEP_2) | instskip(NEXT) | instid1(VALU_DEP_2)
	v_lshrrev_b32_e32 v30, 16, v29
	v_add_co_u32 v24, vcc_lo, v24, v26
	s_delay_alu instid0(VALU_DEP_3) | instskip(NEXT) | instid1(VALU_DEP_3)
	v_add_co_ci_u32_e32 v25, vcc_lo, v25, v27, vcc_lo
	v_min3_f16 v28, v28, v29, v30
	global_store_b16 v[24:25], v28, off
.LBB222_214:
	s_or_b32 exec_lo, exec_lo, s8
	v_add_nc_u32_e32 v28, 0x80, v81
	s_delay_alu instid0(VALU_DEP_1) | instskip(SKIP_2) | instid1(VALU_DEP_3)
	v_mad_i64_i32 v[24:25], null, v28, s14, 0
	v_mad_i64_i32 v[26:27], null, v28, s9, 0
	v_cmp_gt_i32_e64 s8, s17, v28
	v_lshlrev_b64 v[24:25], 1, v[24:25]
	s_delay_alu instid0(VALU_DEP_2) | instskip(NEXT) | instid1(VALU_DEP_3)
	s_and_b32 s16, s0, s8
	v_lshlrev_b64 v[28:29], 1, v[26:27]
	s_delay_alu instid0(VALU_DEP_2) | instskip(NEXT) | instid1(VALU_DEP_3)
	v_add_co_u32 v26, vcc_lo, s10, v24
	v_add_co_ci_u32_e32 v27, vcc_lo, s11, v25, vcc_lo
	s_delay_alu instid0(VALU_DEP_3) | instskip(NEXT) | instid1(VALU_DEP_4)
	v_add_co_u32 v24, vcc_lo, s12, v28
	v_add_co_ci_u32_e32 v25, vcc_lo, s13, v29, vcc_lo
	s_and_saveexec_b32 s15, s16
	s_cbranch_execnz .LBB222_222
; %bb.215:
	s_or_b32 exec_lo, exec_lo, s15
	s_and_b32 s16, s1, s8
	s_delay_alu instid0(SALU_CYCLE_1)
	s_and_saveexec_b32 s15, s16
	s_cbranch_execnz .LBB222_226
.LBB222_216:
	s_or_b32 exec_lo, exec_lo, s15
	s_and_b32 s16, s2, s8
	s_delay_alu instid0(SALU_CYCLE_1)
	s_and_saveexec_b32 s15, s16
	s_cbranch_execnz .LBB222_230
.LBB222_217:
	s_or_b32 exec_lo, exec_lo, s15
	s_and_b32 s16, s3, s8
	s_delay_alu instid0(SALU_CYCLE_1)
	s_and_saveexec_b32 s15, s16
	s_cbranch_execnz .LBB222_234
.LBB222_218:
	s_or_b32 exec_lo, exec_lo, s15
	s_and_b32 s16, s4, s8
	s_delay_alu instid0(SALU_CYCLE_1)
	s_and_saveexec_b32 s15, s16
	s_cbranch_execnz .LBB222_238
.LBB222_219:
	s_or_b32 exec_lo, exec_lo, s15
	s_and_b32 s16, s5, s8
	s_delay_alu instid0(SALU_CYCLE_1)
	s_and_saveexec_b32 s15, s16
	s_cbranch_execnz .LBB222_242
.LBB222_220:
	s_or_b32 exec_lo, exec_lo, s15
	s_and_b32 s16, s6, s8
	s_delay_alu instid0(SALU_CYCLE_1)
	s_and_saveexec_b32 s15, s16
	s_cbranch_execnz .LBB222_246
.LBB222_221:
	s_or_b32 exec_lo, exec_lo, s15
	s_and_b32 s15, s7, s8
	s_delay_alu instid0(SALU_CYCLE_1)
	s_and_saveexec_b32 s8, s15
	s_cbranch_execnz .LBB222_250
	s_branch .LBB222_254
.LBB222_222:
	v_cmp_ne_u32_e32 vcc_lo, 1, v73
	s_cbranch_vccnz .LBB222_224
; %bb.223:
	v_lshlrev_b64 v[28:29], 1, v[32:33]
	s_delay_alu instid0(VALU_DEP_1) | instskip(NEXT) | instid1(VALU_DEP_2)
	v_add_co_u32 v28, vcc_lo, v26, v28
	v_add_co_ci_u32_e32 v29, vcc_lo, v27, v29, vcc_lo
	flat_load_u16 v28, v[28:29]
	s_waitcnt vmcnt(0) lgkmcnt(0)
	v_mul_f16_e32 v28, v48, v28
	s_branch .LBB222_225
.LBB222_224:
	v_mov_b32_e32 v28, 0
.LBB222_225:
	v_pk_add_f16 v29, v16, v20
	v_pk_max_f16 v30, v82, v82
	v_pk_add_f16 v31, v17, v21
	s_delay_alu instid0(VALU_DEP_2) | instskip(NEXT) | instid1(VALU_DEP_1)
	v_pk_min_f16 v29, v30, v29
	v_pk_min_f16 v31, v29, v31
	v_lshlrev_b64 v[29:30], 1, v[32:33]
	s_delay_alu instid0(VALU_DEP_2) | instskip(NEXT) | instid1(VALU_DEP_1)
	v_lshrrev_b32_e32 v82, 16, v31
	v_min3_f16 v31, v28, v31, v82
	s_delay_alu instid0(VALU_DEP_3) | instskip(NEXT) | instid1(VALU_DEP_4)
	v_add_co_u32 v28, vcc_lo, v24, v29
	v_add_co_ci_u32_e32 v29, vcc_lo, v25, v30, vcc_lo
	global_store_b16 v[28:29], v31, off
	s_or_b32 exec_lo, exec_lo, s15
	s_and_b32 s16, s1, s8
	s_delay_alu instid0(SALU_CYCLE_1)
	s_and_saveexec_b32 s15, s16
	s_cbranch_execz .LBB222_216
.LBB222_226:
	v_cmp_ne_u32_e32 vcc_lo, 1, v73
	s_cbranch_vccnz .LBB222_228
; %bb.227:
	v_lshlrev_b64 v[28:29], 1, v[34:35]
	s_delay_alu instid0(VALU_DEP_1) | instskip(NEXT) | instid1(VALU_DEP_2)
	v_add_co_u32 v28, vcc_lo, v26, v28
	v_add_co_ci_u32_e32 v29, vcc_lo, v27, v29, vcc_lo
	flat_load_u16 v28, v[28:29]
	s_waitcnt vmcnt(0) lgkmcnt(0)
	v_mul_f16_e32 v28, v48, v28
	s_branch .LBB222_229
.LBB222_228:
	v_mov_b32_e32 v28, 0
.LBB222_229:
	v_pk_add_f16 v29, v18, v20
	v_pk_max_f16 v30, v80, v80
	v_pk_add_f16 v31, v19, v21
	s_delay_alu instid0(VALU_DEP_2) | instskip(NEXT) | instid1(VALU_DEP_1)
	v_pk_min_f16 v29, v30, v29
	v_pk_min_f16 v31, v29, v31
	v_lshlrev_b64 v[29:30], 1, v[34:35]
	s_delay_alu instid0(VALU_DEP_2) | instskip(NEXT) | instid1(VALU_DEP_1)
	v_lshrrev_b32_e32 v80, 16, v31
	v_min3_f16 v31, v28, v31, v80
	s_delay_alu instid0(VALU_DEP_3) | instskip(NEXT) | instid1(VALU_DEP_4)
	v_add_co_u32 v28, vcc_lo, v24, v29
	v_add_co_ci_u32_e32 v29, vcc_lo, v25, v30, vcc_lo
	global_store_b16 v[28:29], v31, off
	s_or_b32 exec_lo, exec_lo, s15
	s_and_b32 s16, s2, s8
	s_delay_alu instid0(SALU_CYCLE_1)
	s_and_saveexec_b32 s15, s16
	s_cbranch_execz .LBB222_217
.LBB222_230:
	v_cmp_ne_u32_e32 vcc_lo, 1, v73
	s_cbranch_vccnz .LBB222_232
; %bb.231:
	v_lshlrev_b64 v[28:29], 1, v[36:37]
	s_delay_alu instid0(VALU_DEP_1) | instskip(NEXT) | instid1(VALU_DEP_2)
	v_add_co_u32 v28, vcc_lo, v26, v28
	v_add_co_ci_u32_e32 v29, vcc_lo, v27, v29, vcc_lo
	flat_load_u16 v28, v[28:29]
	s_waitcnt vmcnt(0) lgkmcnt(0)
	v_mul_f16_e32 v28, v48, v28
	s_branch .LBB222_233
.LBB222_232:
	v_mov_b32_e32 v28, 0
.LBB222_233:
	v_pk_add_f16 v29, v12, v20
	v_pk_max_f16 v30, v79, v79
	v_pk_add_f16 v31, v13, v21
	s_delay_alu instid0(VALU_DEP_2) | instskip(NEXT) | instid1(VALU_DEP_1)
	v_pk_min_f16 v29, v30, v29
	v_pk_min_f16 v31, v29, v31
	v_lshlrev_b64 v[29:30], 1, v[36:37]
	s_delay_alu instid0(VALU_DEP_2) | instskip(NEXT) | instid1(VALU_DEP_1)
	v_lshrrev_b32_e32 v79, 16, v31
	v_min3_f16 v31, v28, v31, v79
	s_delay_alu instid0(VALU_DEP_3) | instskip(NEXT) | instid1(VALU_DEP_4)
	v_add_co_u32 v28, vcc_lo, v24, v29
	v_add_co_ci_u32_e32 v29, vcc_lo, v25, v30, vcc_lo
	global_store_b16 v[28:29], v31, off
	s_or_b32 exec_lo, exec_lo, s15
	s_and_b32 s16, s3, s8
	s_delay_alu instid0(SALU_CYCLE_1)
	s_and_saveexec_b32 s15, s16
	s_cbranch_execz .LBB222_218
.LBB222_234:
	v_cmp_ne_u32_e32 vcc_lo, 1, v73
	s_cbranch_vccnz .LBB222_236
; %bb.235:
	v_lshlrev_b64 v[28:29], 1, v[38:39]
	s_delay_alu instid0(VALU_DEP_1) | instskip(NEXT) | instid1(VALU_DEP_2)
	v_add_co_u32 v28, vcc_lo, v26, v28
	v_add_co_ci_u32_e32 v29, vcc_lo, v27, v29, vcc_lo
	flat_load_u16 v28, v[28:29]
	s_waitcnt vmcnt(0) lgkmcnt(0)
	v_mul_f16_e32 v28, v48, v28
	s_branch .LBB222_237
.LBB222_236:
	v_mov_b32_e32 v28, 0
.LBB222_237:
	v_pk_add_f16 v29, v14, v20
	v_pk_max_f16 v30, v78, v78
	v_pk_add_f16 v31, v15, v21
	s_delay_alu instid0(VALU_DEP_2) | instskip(NEXT) | instid1(VALU_DEP_1)
	v_pk_min_f16 v29, v30, v29
	v_pk_min_f16 v31, v29, v31
	v_lshlrev_b64 v[29:30], 1, v[38:39]
	s_delay_alu instid0(VALU_DEP_2) | instskip(NEXT) | instid1(VALU_DEP_1)
	v_lshrrev_b32_e32 v78, 16, v31
	v_min3_f16 v31, v28, v31, v78
	s_delay_alu instid0(VALU_DEP_3) | instskip(NEXT) | instid1(VALU_DEP_4)
	v_add_co_u32 v28, vcc_lo, v24, v29
	v_add_co_ci_u32_e32 v29, vcc_lo, v25, v30, vcc_lo
	global_store_b16 v[28:29], v31, off
	s_or_b32 exec_lo, exec_lo, s15
	s_and_b32 s16, s4, s8
	s_delay_alu instid0(SALU_CYCLE_1)
	s_and_saveexec_b32 s15, s16
	s_cbranch_execz .LBB222_219
.LBB222_238:
	v_cmp_ne_u32_e32 vcc_lo, 1, v73
	s_cbranch_vccnz .LBB222_240
; %bb.239:
	v_lshlrev_b64 v[28:29], 1, v[40:41]
	s_delay_alu instid0(VALU_DEP_1) | instskip(NEXT) | instid1(VALU_DEP_2)
	v_add_co_u32 v28, vcc_lo, v26, v28
	v_add_co_ci_u32_e32 v29, vcc_lo, v27, v29, vcc_lo
	flat_load_u16 v28, v[28:29]
	s_waitcnt vmcnt(0) lgkmcnt(0)
	v_mul_f16_e32 v28, v48, v28
	s_branch .LBB222_241
.LBB222_240:
	v_mov_b32_e32 v28, 0
.LBB222_241:
	v_pk_add_f16 v29, v8, v20
	v_pk_max_f16 v30, v77, v77
	v_pk_add_f16 v31, v9, v21
	s_delay_alu instid0(VALU_DEP_2) | instskip(NEXT) | instid1(VALU_DEP_1)
	v_pk_min_f16 v29, v30, v29
	v_pk_min_f16 v31, v29, v31
	v_lshlrev_b64 v[29:30], 1, v[40:41]
	s_delay_alu instid0(VALU_DEP_2) | instskip(NEXT) | instid1(VALU_DEP_1)
	v_lshrrev_b32_e32 v77, 16, v31
	v_min3_f16 v31, v28, v31, v77
	s_delay_alu instid0(VALU_DEP_3) | instskip(NEXT) | instid1(VALU_DEP_4)
	v_add_co_u32 v28, vcc_lo, v24, v29
	v_add_co_ci_u32_e32 v29, vcc_lo, v25, v30, vcc_lo
	global_store_b16 v[28:29], v31, off
	s_or_b32 exec_lo, exec_lo, s15
	s_and_b32 s16, s5, s8
	s_delay_alu instid0(SALU_CYCLE_1)
	s_and_saveexec_b32 s15, s16
	s_cbranch_execz .LBB222_220
.LBB222_242:
	v_cmp_ne_u32_e32 vcc_lo, 1, v73
	s_cbranch_vccnz .LBB222_244
; %bb.243:
	v_lshlrev_b64 v[28:29], 1, v[42:43]
	s_delay_alu instid0(VALU_DEP_1) | instskip(NEXT) | instid1(VALU_DEP_2)
	v_add_co_u32 v28, vcc_lo, v26, v28
	v_add_co_ci_u32_e32 v29, vcc_lo, v27, v29, vcc_lo
	flat_load_u16 v28, v[28:29]
	s_waitcnt vmcnt(0) lgkmcnt(0)
	v_mul_f16_e32 v28, v48, v28
	s_branch .LBB222_245
.LBB222_244:
	v_mov_b32_e32 v28, 0
.LBB222_245:
	v_pk_add_f16 v29, v10, v20
	v_pk_max_f16 v30, v76, v76
	v_pk_add_f16 v31, v11, v21
	s_delay_alu instid0(VALU_DEP_2) | instskip(NEXT) | instid1(VALU_DEP_1)
	v_pk_min_f16 v29, v30, v29
	v_pk_min_f16 v31, v29, v31
	v_lshlrev_b64 v[29:30], 1, v[42:43]
	s_delay_alu instid0(VALU_DEP_2) | instskip(NEXT) | instid1(VALU_DEP_1)
	v_lshrrev_b32_e32 v76, 16, v31
	v_min3_f16 v31, v28, v31, v76
	s_delay_alu instid0(VALU_DEP_3) | instskip(NEXT) | instid1(VALU_DEP_4)
	v_add_co_u32 v28, vcc_lo, v24, v29
	v_add_co_ci_u32_e32 v29, vcc_lo, v25, v30, vcc_lo
	global_store_b16 v[28:29], v31, off
	s_or_b32 exec_lo, exec_lo, s15
	s_and_b32 s16, s6, s8
	s_delay_alu instid0(SALU_CYCLE_1)
	s_and_saveexec_b32 s15, s16
	s_cbranch_execz .LBB222_221
.LBB222_246:
	v_cmp_ne_u32_e32 vcc_lo, 1, v73
	s_cbranch_vccnz .LBB222_248
; %bb.247:
	v_lshlrev_b64 v[28:29], 1, v[44:45]
	s_delay_alu instid0(VALU_DEP_1) | instskip(NEXT) | instid1(VALU_DEP_2)
	v_add_co_u32 v28, vcc_lo, v26, v28
	v_add_co_ci_u32_e32 v29, vcc_lo, v27, v29, vcc_lo
	flat_load_u16 v28, v[28:29]
	s_waitcnt vmcnt(0) lgkmcnt(0)
	v_mul_f16_e32 v28, v48, v28
	s_branch .LBB222_249
.LBB222_248:
	v_mov_b32_e32 v28, 0
.LBB222_249:
	v_pk_add_f16 v29, v0, v20
	v_pk_max_f16 v30, v75, v75
	v_pk_add_f16 v31, v1, v21
	s_delay_alu instid0(VALU_DEP_2) | instskip(NEXT) | instid1(VALU_DEP_1)
	v_pk_min_f16 v29, v30, v29
	v_pk_min_f16 v31, v29, v31
	v_lshlrev_b64 v[29:30], 1, v[44:45]
	s_delay_alu instid0(VALU_DEP_2) | instskip(NEXT) | instid1(VALU_DEP_1)
	v_lshrrev_b32_e32 v75, 16, v31
	v_min3_f16 v31, v28, v31, v75
	s_delay_alu instid0(VALU_DEP_3) | instskip(NEXT) | instid1(VALU_DEP_4)
	v_add_co_u32 v28, vcc_lo, v24, v29
	v_add_co_ci_u32_e32 v29, vcc_lo, v25, v30, vcc_lo
	global_store_b16 v[28:29], v31, off
	s_or_b32 exec_lo, exec_lo, s15
	s_and_b32 s15, s7, s8
	s_delay_alu instid0(SALU_CYCLE_1)
	s_and_saveexec_b32 s8, s15
	s_cbranch_execz .LBB222_254
.LBB222_250:
	v_cmp_ne_u32_e32 vcc_lo, 1, v73
	s_cbranch_vccnz .LBB222_252
; %bb.251:
	v_lshlrev_b64 v[28:29], 1, v[46:47]
	s_delay_alu instid0(VALU_DEP_1) | instskip(NEXT) | instid1(VALU_DEP_2)
	v_add_co_u32 v26, vcc_lo, v26, v28
	v_add_co_ci_u32_e32 v27, vcc_lo, v27, v29, vcc_lo
	flat_load_u16 v26, v[26:27]
	s_waitcnt vmcnt(0) lgkmcnt(0)
	v_mul_f16_e32 v26, v48, v26
	s_branch .LBB222_253
.LBB222_252:
	v_mov_b32_e32 v26, 0
.LBB222_253:
	v_pk_add_f16 v20, v2, v20
	v_pk_max_f16 v27, v74, v74
	v_pk_add_f16 v21, v3, v21
	s_delay_alu instid0(VALU_DEP_2) | instskip(NEXT) | instid1(VALU_DEP_1)
	v_pk_min_f16 v20, v27, v20
	v_pk_min_f16 v27, v20, v21
	v_lshlrev_b64 v[20:21], 1, v[46:47]
	s_delay_alu instid0(VALU_DEP_2) | instskip(NEXT) | instid1(VALU_DEP_2)
	v_lshrrev_b32_e32 v28, 16, v27
	v_add_co_u32 v20, vcc_lo, v24, v20
	s_delay_alu instid0(VALU_DEP_3) | instskip(NEXT) | instid1(VALU_DEP_3)
	v_add_co_ci_u32_e32 v21, vcc_lo, v25, v21, vcc_lo
	v_min3_f16 v26, v26, v27, v28
	global_store_b16 v[20:21], v26, off
.LBB222_254:
	s_or_b32 exec_lo, exec_lo, s8
	v_add_nc_u32_e32 v26, 0xa0, v81
	s_delay_alu instid0(VALU_DEP_1) | instskip(SKIP_2) | instid1(VALU_DEP_3)
	v_mad_i64_i32 v[20:21], null, v26, s14, 0
	v_mad_i64_i32 v[24:25], null, v26, s9, 0
	v_cmp_gt_i32_e64 s8, s17, v26
	v_lshlrev_b64 v[20:21], 1, v[20:21]
	s_delay_alu instid0(VALU_DEP_2) | instskip(NEXT) | instid1(VALU_DEP_3)
	s_and_b32 s16, s0, s8
	v_lshlrev_b64 v[26:27], 1, v[24:25]
	s_delay_alu instid0(VALU_DEP_2) | instskip(NEXT) | instid1(VALU_DEP_3)
	v_add_co_u32 v24, vcc_lo, s10, v20
	v_add_co_ci_u32_e32 v25, vcc_lo, s11, v21, vcc_lo
	s_delay_alu instid0(VALU_DEP_3) | instskip(NEXT) | instid1(VALU_DEP_4)
	v_add_co_u32 v20, vcc_lo, s12, v26
	v_add_co_ci_u32_e32 v21, vcc_lo, s13, v27, vcc_lo
	s_and_saveexec_b32 s15, s16
	s_cbranch_execnz .LBB222_262
; %bb.255:
	s_or_b32 exec_lo, exec_lo, s15
	s_and_b32 s16, s1, s8
	s_delay_alu instid0(SALU_CYCLE_1)
	s_and_saveexec_b32 s15, s16
	s_cbranch_execnz .LBB222_266
.LBB222_256:
	s_or_b32 exec_lo, exec_lo, s15
	s_and_b32 s16, s2, s8
	s_delay_alu instid0(SALU_CYCLE_1)
	s_and_saveexec_b32 s15, s16
	s_cbranch_execnz .LBB222_270
.LBB222_257:
	s_or_b32 exec_lo, exec_lo, s15
	s_and_b32 s16, s3, s8
	s_delay_alu instid0(SALU_CYCLE_1)
	s_and_saveexec_b32 s15, s16
	s_cbranch_execnz .LBB222_274
.LBB222_258:
	s_or_b32 exec_lo, exec_lo, s15
	s_and_b32 s16, s4, s8
	s_delay_alu instid0(SALU_CYCLE_1)
	s_and_saveexec_b32 s15, s16
	s_cbranch_execnz .LBB222_278
.LBB222_259:
	s_or_b32 exec_lo, exec_lo, s15
	s_and_b32 s16, s5, s8
	s_delay_alu instid0(SALU_CYCLE_1)
	s_and_saveexec_b32 s15, s16
	s_cbranch_execnz .LBB222_282
.LBB222_260:
	s_or_b32 exec_lo, exec_lo, s15
	s_and_b32 s16, s6, s8
	s_delay_alu instid0(SALU_CYCLE_1)
	s_and_saveexec_b32 s15, s16
	s_cbranch_execnz .LBB222_286
.LBB222_261:
	s_or_b32 exec_lo, exec_lo, s15
	s_and_b32 s15, s7, s8
	s_delay_alu instid0(SALU_CYCLE_1)
	s_and_saveexec_b32 s8, s15
	s_cbranch_execnz .LBB222_290
	s_branch .LBB222_294
.LBB222_262:
	v_cmp_ne_u32_e32 vcc_lo, 1, v73
	s_cbranch_vccnz .LBB222_264
; %bb.263:
	v_lshlrev_b64 v[26:27], 1, v[32:33]
	s_delay_alu instid0(VALU_DEP_1) | instskip(NEXT) | instid1(VALU_DEP_2)
	v_add_co_u32 v26, vcc_lo, v24, v26
	v_add_co_ci_u32_e32 v27, vcc_lo, v25, v27, vcc_lo
	flat_load_u16 v26, v[26:27]
	s_waitcnt vmcnt(0) lgkmcnt(0)
	v_mul_f16_e32 v26, v48, v26
	s_branch .LBB222_265
.LBB222_264:
	v_mov_b32_e32 v26, 0
.LBB222_265:
	v_pk_add_f16 v27, v16, v22
	v_pk_max_f16 v28, v72, v72
	v_pk_add_f16 v29, v17, v23
	s_delay_alu instid0(VALU_DEP_2) | instskip(NEXT) | instid1(VALU_DEP_1)
	v_pk_min_f16 v27, v28, v27
	v_pk_min_f16 v29, v27, v29
	v_lshlrev_b64 v[27:28], 1, v[32:33]
	s_delay_alu instid0(VALU_DEP_2) | instskip(NEXT) | instid1(VALU_DEP_1)
	v_lshrrev_b32_e32 v30, 16, v29
	v_min3_f16 v29, v26, v29, v30
	s_delay_alu instid0(VALU_DEP_3) | instskip(NEXT) | instid1(VALU_DEP_4)
	v_add_co_u32 v26, vcc_lo, v20, v27
	v_add_co_ci_u32_e32 v27, vcc_lo, v21, v28, vcc_lo
	global_store_b16 v[26:27], v29, off
	s_or_b32 exec_lo, exec_lo, s15
	s_and_b32 s16, s1, s8
	s_delay_alu instid0(SALU_CYCLE_1)
	s_and_saveexec_b32 s15, s16
	s_cbranch_execz .LBB222_256
.LBB222_266:
	v_cmp_ne_u32_e32 vcc_lo, 1, v73
	s_cbranch_vccnz .LBB222_268
; %bb.267:
	v_lshlrev_b64 v[26:27], 1, v[34:35]
	s_delay_alu instid0(VALU_DEP_1) | instskip(NEXT) | instid1(VALU_DEP_2)
	v_add_co_u32 v26, vcc_lo, v24, v26
	v_add_co_ci_u32_e32 v27, vcc_lo, v25, v27, vcc_lo
	flat_load_u16 v26, v[26:27]
	s_waitcnt vmcnt(0) lgkmcnt(0)
	v_mul_f16_e32 v26, v48, v26
	s_branch .LBB222_269
.LBB222_268:
	v_mov_b32_e32 v26, 0
.LBB222_269:
	v_pk_add_f16 v27, v18, v22
	v_pk_max_f16 v28, v71, v71
	v_pk_add_f16 v29, v19, v23
	s_delay_alu instid0(VALU_DEP_2) | instskip(NEXT) | instid1(VALU_DEP_1)
	v_pk_min_f16 v27, v28, v27
	v_pk_min_f16 v29, v27, v29
	v_lshlrev_b64 v[27:28], 1, v[34:35]
	s_delay_alu instid0(VALU_DEP_2) | instskip(NEXT) | instid1(VALU_DEP_1)
	v_lshrrev_b32_e32 v30, 16, v29
	v_min3_f16 v29, v26, v29, v30
	s_delay_alu instid0(VALU_DEP_3) | instskip(NEXT) | instid1(VALU_DEP_4)
	v_add_co_u32 v26, vcc_lo, v20, v27
	v_add_co_ci_u32_e32 v27, vcc_lo, v21, v28, vcc_lo
	global_store_b16 v[26:27], v29, off
	s_or_b32 exec_lo, exec_lo, s15
	s_and_b32 s16, s2, s8
	s_delay_alu instid0(SALU_CYCLE_1)
	s_and_saveexec_b32 s15, s16
	s_cbranch_execz .LBB222_257
.LBB222_270:
	v_cmp_ne_u32_e32 vcc_lo, 1, v73
	s_cbranch_vccnz .LBB222_272
; %bb.271:
	v_lshlrev_b64 v[26:27], 1, v[36:37]
	s_delay_alu instid0(VALU_DEP_1) | instskip(NEXT) | instid1(VALU_DEP_2)
	v_add_co_u32 v26, vcc_lo, v24, v26
	v_add_co_ci_u32_e32 v27, vcc_lo, v25, v27, vcc_lo
	flat_load_u16 v26, v[26:27]
	s_waitcnt vmcnt(0) lgkmcnt(0)
	v_mul_f16_e32 v26, v48, v26
	s_branch .LBB222_273
.LBB222_272:
	v_mov_b32_e32 v26, 0
.LBB222_273:
	v_pk_add_f16 v27, v12, v22
	v_pk_max_f16 v28, v70, v70
	v_pk_add_f16 v29, v13, v23
	s_delay_alu instid0(VALU_DEP_2) | instskip(NEXT) | instid1(VALU_DEP_1)
	v_pk_min_f16 v27, v28, v27
	v_pk_min_f16 v29, v27, v29
	v_lshlrev_b64 v[27:28], 1, v[36:37]
	s_delay_alu instid0(VALU_DEP_2) | instskip(NEXT) | instid1(VALU_DEP_1)
	v_lshrrev_b32_e32 v30, 16, v29
	v_min3_f16 v29, v26, v29, v30
	s_delay_alu instid0(VALU_DEP_3) | instskip(NEXT) | instid1(VALU_DEP_4)
	v_add_co_u32 v26, vcc_lo, v20, v27
	v_add_co_ci_u32_e32 v27, vcc_lo, v21, v28, vcc_lo
	global_store_b16 v[26:27], v29, off
	s_or_b32 exec_lo, exec_lo, s15
	s_and_b32 s16, s3, s8
	s_delay_alu instid0(SALU_CYCLE_1)
	s_and_saveexec_b32 s15, s16
	s_cbranch_execz .LBB222_258
.LBB222_274:
	v_cmp_ne_u32_e32 vcc_lo, 1, v73
	s_cbranch_vccnz .LBB222_276
; %bb.275:
	v_lshlrev_b64 v[26:27], 1, v[38:39]
	s_delay_alu instid0(VALU_DEP_1) | instskip(NEXT) | instid1(VALU_DEP_2)
	v_add_co_u32 v26, vcc_lo, v24, v26
	v_add_co_ci_u32_e32 v27, vcc_lo, v25, v27, vcc_lo
	flat_load_u16 v26, v[26:27]
	s_waitcnt vmcnt(0) lgkmcnt(0)
	v_mul_f16_e32 v26, v48, v26
	s_branch .LBB222_277
.LBB222_276:
	v_mov_b32_e32 v26, 0
.LBB222_277:
	v_pk_add_f16 v27, v14, v22
	v_pk_max_f16 v28, v69, v69
	v_pk_add_f16 v29, v15, v23
	s_delay_alu instid0(VALU_DEP_2) | instskip(NEXT) | instid1(VALU_DEP_1)
	v_pk_min_f16 v27, v28, v27
	v_pk_min_f16 v29, v27, v29
	v_lshlrev_b64 v[27:28], 1, v[38:39]
	s_delay_alu instid0(VALU_DEP_2) | instskip(NEXT) | instid1(VALU_DEP_1)
	v_lshrrev_b32_e32 v30, 16, v29
	v_min3_f16 v29, v26, v29, v30
	s_delay_alu instid0(VALU_DEP_3) | instskip(NEXT) | instid1(VALU_DEP_4)
	v_add_co_u32 v26, vcc_lo, v20, v27
	v_add_co_ci_u32_e32 v27, vcc_lo, v21, v28, vcc_lo
	global_store_b16 v[26:27], v29, off
	s_or_b32 exec_lo, exec_lo, s15
	s_and_b32 s16, s4, s8
	s_delay_alu instid0(SALU_CYCLE_1)
	s_and_saveexec_b32 s15, s16
	s_cbranch_execz .LBB222_259
.LBB222_278:
	v_cmp_ne_u32_e32 vcc_lo, 1, v73
	s_cbranch_vccnz .LBB222_280
; %bb.279:
	v_lshlrev_b64 v[26:27], 1, v[40:41]
	s_delay_alu instid0(VALU_DEP_1) | instskip(NEXT) | instid1(VALU_DEP_2)
	v_add_co_u32 v26, vcc_lo, v24, v26
	v_add_co_ci_u32_e32 v27, vcc_lo, v25, v27, vcc_lo
	flat_load_u16 v26, v[26:27]
	s_waitcnt vmcnt(0) lgkmcnt(0)
	v_mul_f16_e32 v26, v48, v26
	s_branch .LBB222_281
.LBB222_280:
	v_mov_b32_e32 v26, 0
.LBB222_281:
	v_pk_add_f16 v27, v8, v22
	v_pk_max_f16 v28, v68, v68
	v_pk_add_f16 v29, v9, v23
	s_delay_alu instid0(VALU_DEP_2) | instskip(NEXT) | instid1(VALU_DEP_1)
	v_pk_min_f16 v27, v28, v27
	v_pk_min_f16 v29, v27, v29
	v_lshlrev_b64 v[27:28], 1, v[40:41]
	s_delay_alu instid0(VALU_DEP_2) | instskip(NEXT) | instid1(VALU_DEP_1)
	v_lshrrev_b32_e32 v30, 16, v29
	v_min3_f16 v29, v26, v29, v30
	s_delay_alu instid0(VALU_DEP_3) | instskip(NEXT) | instid1(VALU_DEP_4)
	v_add_co_u32 v26, vcc_lo, v20, v27
	v_add_co_ci_u32_e32 v27, vcc_lo, v21, v28, vcc_lo
	global_store_b16 v[26:27], v29, off
	s_or_b32 exec_lo, exec_lo, s15
	s_and_b32 s16, s5, s8
	s_delay_alu instid0(SALU_CYCLE_1)
	s_and_saveexec_b32 s15, s16
	s_cbranch_execz .LBB222_260
.LBB222_282:
	v_cmp_ne_u32_e32 vcc_lo, 1, v73
	s_cbranch_vccnz .LBB222_284
; %bb.283:
	v_lshlrev_b64 v[26:27], 1, v[42:43]
	s_delay_alu instid0(VALU_DEP_1) | instskip(NEXT) | instid1(VALU_DEP_2)
	v_add_co_u32 v26, vcc_lo, v24, v26
	v_add_co_ci_u32_e32 v27, vcc_lo, v25, v27, vcc_lo
	flat_load_u16 v26, v[26:27]
	s_waitcnt vmcnt(0) lgkmcnt(0)
	v_mul_f16_e32 v26, v48, v26
	s_branch .LBB222_285
.LBB222_284:
	v_mov_b32_e32 v26, 0
.LBB222_285:
	v_pk_add_f16 v27, v10, v22
	v_pk_max_f16 v28, v67, v67
	v_pk_add_f16 v29, v11, v23
	s_delay_alu instid0(VALU_DEP_2) | instskip(NEXT) | instid1(VALU_DEP_1)
	v_pk_min_f16 v27, v28, v27
	v_pk_min_f16 v29, v27, v29
	v_lshlrev_b64 v[27:28], 1, v[42:43]
	s_delay_alu instid0(VALU_DEP_2) | instskip(NEXT) | instid1(VALU_DEP_1)
	v_lshrrev_b32_e32 v30, 16, v29
	v_min3_f16 v29, v26, v29, v30
	s_delay_alu instid0(VALU_DEP_3) | instskip(NEXT) | instid1(VALU_DEP_4)
	v_add_co_u32 v26, vcc_lo, v20, v27
	v_add_co_ci_u32_e32 v27, vcc_lo, v21, v28, vcc_lo
	global_store_b16 v[26:27], v29, off
	s_or_b32 exec_lo, exec_lo, s15
	s_and_b32 s16, s6, s8
	s_delay_alu instid0(SALU_CYCLE_1)
	s_and_saveexec_b32 s15, s16
	s_cbranch_execz .LBB222_261
.LBB222_286:
	v_cmp_ne_u32_e32 vcc_lo, 1, v73
	s_cbranch_vccnz .LBB222_288
; %bb.287:
	v_lshlrev_b64 v[26:27], 1, v[44:45]
	s_delay_alu instid0(VALU_DEP_1) | instskip(NEXT) | instid1(VALU_DEP_2)
	v_add_co_u32 v26, vcc_lo, v24, v26
	v_add_co_ci_u32_e32 v27, vcc_lo, v25, v27, vcc_lo
	flat_load_u16 v26, v[26:27]
	s_waitcnt vmcnt(0) lgkmcnt(0)
	v_mul_f16_e32 v26, v48, v26
	s_branch .LBB222_289
.LBB222_288:
	v_mov_b32_e32 v26, 0
.LBB222_289:
	v_pk_add_f16 v27, v0, v22
	v_pk_max_f16 v28, v66, v66
	v_pk_add_f16 v29, v1, v23
	s_delay_alu instid0(VALU_DEP_2) | instskip(NEXT) | instid1(VALU_DEP_1)
	v_pk_min_f16 v27, v28, v27
	v_pk_min_f16 v29, v27, v29
	v_lshlrev_b64 v[27:28], 1, v[44:45]
	s_delay_alu instid0(VALU_DEP_2) | instskip(NEXT) | instid1(VALU_DEP_1)
	v_lshrrev_b32_e32 v30, 16, v29
	v_min3_f16 v29, v26, v29, v30
	s_delay_alu instid0(VALU_DEP_3) | instskip(NEXT) | instid1(VALU_DEP_4)
	v_add_co_u32 v26, vcc_lo, v20, v27
	v_add_co_ci_u32_e32 v27, vcc_lo, v21, v28, vcc_lo
	global_store_b16 v[26:27], v29, off
	s_or_b32 exec_lo, exec_lo, s15
	s_and_b32 s15, s7, s8
	s_delay_alu instid0(SALU_CYCLE_1)
	s_and_saveexec_b32 s8, s15
	s_cbranch_execz .LBB222_294
.LBB222_290:
	v_cmp_ne_u32_e32 vcc_lo, 1, v73
	s_cbranch_vccnz .LBB222_292
; %bb.291:
	v_lshlrev_b64 v[26:27], 1, v[46:47]
	s_delay_alu instid0(VALU_DEP_1) | instskip(NEXT) | instid1(VALU_DEP_2)
	v_add_co_u32 v24, vcc_lo, v24, v26
	v_add_co_ci_u32_e32 v25, vcc_lo, v25, v27, vcc_lo
	flat_load_u16 v24, v[24:25]
	s_waitcnt vmcnt(0) lgkmcnt(0)
	v_mul_f16_e32 v24, v48, v24
	s_branch .LBB222_293
.LBB222_292:
	v_mov_b32_e32 v24, 0
.LBB222_293:
	v_pk_add_f16 v22, v2, v22
	v_pk_max_f16 v25, v65, v65
	v_pk_add_f16 v23, v3, v23
	s_delay_alu instid0(VALU_DEP_2) | instskip(NEXT) | instid1(VALU_DEP_1)
	v_pk_min_f16 v22, v25, v22
	v_pk_min_f16 v25, v22, v23
	v_lshlrev_b64 v[22:23], 1, v[46:47]
	s_delay_alu instid0(VALU_DEP_2) | instskip(NEXT) | instid1(VALU_DEP_2)
	v_lshrrev_b32_e32 v26, 16, v25
	v_add_co_u32 v20, vcc_lo, v20, v22
	s_delay_alu instid0(VALU_DEP_3) | instskip(NEXT) | instid1(VALU_DEP_3)
	v_add_co_ci_u32_e32 v21, vcc_lo, v21, v23, vcc_lo
	v_min3_f16 v24, v24, v25, v26
	global_store_b16 v[20:21], v24, off
.LBB222_294:
	s_or_b32 exec_lo, exec_lo, s8
	v_add_nc_u32_e32 v24, 0xc0, v81
	s_delay_alu instid0(VALU_DEP_1) | instskip(SKIP_2) | instid1(VALU_DEP_3)
	v_mad_i64_i32 v[20:21], null, v24, s14, 0
	v_mad_i64_i32 v[22:23], null, v24, s9, 0
	v_cmp_gt_i32_e64 s8, s17, v24
	v_lshlrev_b64 v[20:21], 1, v[20:21]
	s_delay_alu instid0(VALU_DEP_2) | instskip(NEXT) | instid1(VALU_DEP_3)
	s_and_b32 s16, s0, s8
	v_lshlrev_b64 v[24:25], 1, v[22:23]
	s_delay_alu instid0(VALU_DEP_2) | instskip(NEXT) | instid1(VALU_DEP_3)
	v_add_co_u32 v22, vcc_lo, s10, v20
	v_add_co_ci_u32_e32 v23, vcc_lo, s11, v21, vcc_lo
	s_delay_alu instid0(VALU_DEP_3) | instskip(NEXT) | instid1(VALU_DEP_4)
	v_add_co_u32 v20, vcc_lo, s12, v24
	v_add_co_ci_u32_e32 v21, vcc_lo, s13, v25, vcc_lo
	s_and_saveexec_b32 s15, s16
	s_cbranch_execnz .LBB222_302
; %bb.295:
	s_or_b32 exec_lo, exec_lo, s15
	s_and_b32 s16, s1, s8
	s_delay_alu instid0(SALU_CYCLE_1)
	s_and_saveexec_b32 s15, s16
	s_cbranch_execnz .LBB222_306
.LBB222_296:
	s_or_b32 exec_lo, exec_lo, s15
	s_and_b32 s16, s2, s8
	s_delay_alu instid0(SALU_CYCLE_1)
	s_and_saveexec_b32 s15, s16
	s_cbranch_execnz .LBB222_310
.LBB222_297:
	s_or_b32 exec_lo, exec_lo, s15
	s_and_b32 s16, s3, s8
	s_delay_alu instid0(SALU_CYCLE_1)
	s_and_saveexec_b32 s15, s16
	s_cbranch_execnz .LBB222_314
.LBB222_298:
	s_or_b32 exec_lo, exec_lo, s15
	s_and_b32 s16, s4, s8
	s_delay_alu instid0(SALU_CYCLE_1)
	s_and_saveexec_b32 s15, s16
	s_cbranch_execnz .LBB222_318
.LBB222_299:
	s_or_b32 exec_lo, exec_lo, s15
	s_and_b32 s16, s5, s8
	s_delay_alu instid0(SALU_CYCLE_1)
	s_and_saveexec_b32 s15, s16
	s_cbranch_execnz .LBB222_322
.LBB222_300:
	s_or_b32 exec_lo, exec_lo, s15
	s_and_b32 s16, s6, s8
	s_delay_alu instid0(SALU_CYCLE_1)
	s_and_saveexec_b32 s15, s16
	s_cbranch_execnz .LBB222_326
.LBB222_301:
	s_or_b32 exec_lo, exec_lo, s15
	s_and_b32 s15, s7, s8
	s_delay_alu instid0(SALU_CYCLE_1)
	s_and_saveexec_b32 s8, s15
	s_cbranch_execnz .LBB222_330
	s_branch .LBB222_334
.LBB222_302:
	v_cmp_ne_u32_e32 vcc_lo, 1, v73
	s_cbranch_vccnz .LBB222_304
; %bb.303:
	v_lshlrev_b64 v[24:25], 1, v[32:33]
	s_delay_alu instid0(VALU_DEP_1) | instskip(NEXT) | instid1(VALU_DEP_2)
	v_add_co_u32 v24, vcc_lo, v22, v24
	v_add_co_ci_u32_e32 v25, vcc_lo, v23, v25, vcc_lo
	flat_load_u16 v24, v[24:25]
	s_waitcnt vmcnt(0) lgkmcnt(0)
	v_mul_f16_e32 v24, v48, v24
	s_branch .LBB222_305
.LBB222_304:
	v_mov_b32_e32 v24, 0
.LBB222_305:
	v_pk_add_f16 v25, v16, v4
	v_pk_max_f16 v26, v64, v64
	v_pk_add_f16 v27, v17, v5
	s_delay_alu instid0(VALU_DEP_2) | instskip(NEXT) | instid1(VALU_DEP_1)
	v_pk_min_f16 v25, v26, v25
	v_pk_min_f16 v27, v25, v27
	v_lshlrev_b64 v[25:26], 1, v[32:33]
	s_delay_alu instid0(VALU_DEP_2) | instskip(NEXT) | instid1(VALU_DEP_1)
	v_lshrrev_b32_e32 v28, 16, v27
	v_min3_f16 v27, v24, v27, v28
	s_delay_alu instid0(VALU_DEP_3) | instskip(NEXT) | instid1(VALU_DEP_4)
	v_add_co_u32 v24, vcc_lo, v20, v25
	v_add_co_ci_u32_e32 v25, vcc_lo, v21, v26, vcc_lo
	global_store_b16 v[24:25], v27, off
	s_or_b32 exec_lo, exec_lo, s15
	s_and_b32 s16, s1, s8
	s_delay_alu instid0(SALU_CYCLE_1)
	s_and_saveexec_b32 s15, s16
	s_cbranch_execz .LBB222_296
.LBB222_306:
	v_cmp_ne_u32_e32 vcc_lo, 1, v73
	s_cbranch_vccnz .LBB222_308
; %bb.307:
	v_lshlrev_b64 v[24:25], 1, v[34:35]
	s_delay_alu instid0(VALU_DEP_1) | instskip(NEXT) | instid1(VALU_DEP_2)
	v_add_co_u32 v24, vcc_lo, v22, v24
	v_add_co_ci_u32_e32 v25, vcc_lo, v23, v25, vcc_lo
	flat_load_u16 v24, v[24:25]
	s_waitcnt vmcnt(0) lgkmcnt(0)
	v_mul_f16_e32 v24, v48, v24
	s_branch .LBB222_309
.LBB222_308:
	v_mov_b32_e32 v24, 0
.LBB222_309:
	v_pk_add_f16 v25, v18, v4
	v_pk_max_f16 v26, v63, v63
	v_pk_add_f16 v27, v19, v5
	s_delay_alu instid0(VALU_DEP_2) | instskip(NEXT) | instid1(VALU_DEP_1)
	v_pk_min_f16 v25, v26, v25
	v_pk_min_f16 v27, v25, v27
	v_lshlrev_b64 v[25:26], 1, v[34:35]
	s_delay_alu instid0(VALU_DEP_2) | instskip(NEXT) | instid1(VALU_DEP_1)
	v_lshrrev_b32_e32 v28, 16, v27
	v_min3_f16 v27, v24, v27, v28
	s_delay_alu instid0(VALU_DEP_3) | instskip(NEXT) | instid1(VALU_DEP_4)
	v_add_co_u32 v24, vcc_lo, v20, v25
	v_add_co_ci_u32_e32 v25, vcc_lo, v21, v26, vcc_lo
	global_store_b16 v[24:25], v27, off
	s_or_b32 exec_lo, exec_lo, s15
	s_and_b32 s16, s2, s8
	s_delay_alu instid0(SALU_CYCLE_1)
	s_and_saveexec_b32 s15, s16
	s_cbranch_execz .LBB222_297
.LBB222_310:
	v_cmp_ne_u32_e32 vcc_lo, 1, v73
	s_cbranch_vccnz .LBB222_312
; %bb.311:
	v_lshlrev_b64 v[24:25], 1, v[36:37]
	s_delay_alu instid0(VALU_DEP_1) | instskip(NEXT) | instid1(VALU_DEP_2)
	v_add_co_u32 v24, vcc_lo, v22, v24
	v_add_co_ci_u32_e32 v25, vcc_lo, v23, v25, vcc_lo
	flat_load_u16 v24, v[24:25]
	s_waitcnt vmcnt(0) lgkmcnt(0)
	v_mul_f16_e32 v24, v48, v24
	s_branch .LBB222_313
.LBB222_312:
	v_mov_b32_e32 v24, 0
.LBB222_313:
	v_pk_add_f16 v25, v12, v4
	v_pk_max_f16 v26, v62, v62
	v_pk_add_f16 v27, v13, v5
	s_delay_alu instid0(VALU_DEP_2) | instskip(NEXT) | instid1(VALU_DEP_1)
	v_pk_min_f16 v25, v26, v25
	v_pk_min_f16 v27, v25, v27
	v_lshlrev_b64 v[25:26], 1, v[36:37]
	s_delay_alu instid0(VALU_DEP_2) | instskip(NEXT) | instid1(VALU_DEP_1)
	v_lshrrev_b32_e32 v28, 16, v27
	v_min3_f16 v27, v24, v27, v28
	s_delay_alu instid0(VALU_DEP_3) | instskip(NEXT) | instid1(VALU_DEP_4)
	v_add_co_u32 v24, vcc_lo, v20, v25
	v_add_co_ci_u32_e32 v25, vcc_lo, v21, v26, vcc_lo
	global_store_b16 v[24:25], v27, off
	s_or_b32 exec_lo, exec_lo, s15
	s_and_b32 s16, s3, s8
	s_delay_alu instid0(SALU_CYCLE_1)
	s_and_saveexec_b32 s15, s16
	s_cbranch_execz .LBB222_298
.LBB222_314:
	v_cmp_ne_u32_e32 vcc_lo, 1, v73
	s_cbranch_vccnz .LBB222_316
; %bb.315:
	v_lshlrev_b64 v[24:25], 1, v[38:39]
	s_delay_alu instid0(VALU_DEP_1) | instskip(NEXT) | instid1(VALU_DEP_2)
	v_add_co_u32 v24, vcc_lo, v22, v24
	v_add_co_ci_u32_e32 v25, vcc_lo, v23, v25, vcc_lo
	flat_load_u16 v24, v[24:25]
	s_waitcnt vmcnt(0) lgkmcnt(0)
	v_mul_f16_e32 v24, v48, v24
	s_branch .LBB222_317
.LBB222_316:
	v_mov_b32_e32 v24, 0
.LBB222_317:
	v_pk_add_f16 v25, v14, v4
	v_pk_max_f16 v26, v61, v61
	v_pk_add_f16 v27, v15, v5
	s_delay_alu instid0(VALU_DEP_2) | instskip(NEXT) | instid1(VALU_DEP_1)
	v_pk_min_f16 v25, v26, v25
	v_pk_min_f16 v27, v25, v27
	v_lshlrev_b64 v[25:26], 1, v[38:39]
	s_delay_alu instid0(VALU_DEP_2) | instskip(NEXT) | instid1(VALU_DEP_1)
	v_lshrrev_b32_e32 v28, 16, v27
	v_min3_f16 v27, v24, v27, v28
	s_delay_alu instid0(VALU_DEP_3) | instskip(NEXT) | instid1(VALU_DEP_4)
	v_add_co_u32 v24, vcc_lo, v20, v25
	v_add_co_ci_u32_e32 v25, vcc_lo, v21, v26, vcc_lo
	global_store_b16 v[24:25], v27, off
	s_or_b32 exec_lo, exec_lo, s15
	s_and_b32 s16, s4, s8
	s_delay_alu instid0(SALU_CYCLE_1)
	s_and_saveexec_b32 s15, s16
	s_cbranch_execz .LBB222_299
.LBB222_318:
	v_cmp_ne_u32_e32 vcc_lo, 1, v73
	s_cbranch_vccnz .LBB222_320
; %bb.319:
	v_lshlrev_b64 v[24:25], 1, v[40:41]
	s_delay_alu instid0(VALU_DEP_1) | instskip(NEXT) | instid1(VALU_DEP_2)
	v_add_co_u32 v24, vcc_lo, v22, v24
	v_add_co_ci_u32_e32 v25, vcc_lo, v23, v25, vcc_lo
	flat_load_u16 v24, v[24:25]
	s_waitcnt vmcnt(0) lgkmcnt(0)
	v_mul_f16_e32 v24, v48, v24
	s_branch .LBB222_321
.LBB222_320:
	v_mov_b32_e32 v24, 0
.LBB222_321:
	v_pk_add_f16 v25, v8, v4
	v_pk_max_f16 v26, v60, v60
	v_pk_add_f16 v27, v9, v5
	s_delay_alu instid0(VALU_DEP_2) | instskip(NEXT) | instid1(VALU_DEP_1)
	v_pk_min_f16 v25, v26, v25
	v_pk_min_f16 v27, v25, v27
	v_lshlrev_b64 v[25:26], 1, v[40:41]
	s_delay_alu instid0(VALU_DEP_2) | instskip(NEXT) | instid1(VALU_DEP_1)
	v_lshrrev_b32_e32 v28, 16, v27
	v_min3_f16 v27, v24, v27, v28
	s_delay_alu instid0(VALU_DEP_3) | instskip(NEXT) | instid1(VALU_DEP_4)
	v_add_co_u32 v24, vcc_lo, v20, v25
	v_add_co_ci_u32_e32 v25, vcc_lo, v21, v26, vcc_lo
	global_store_b16 v[24:25], v27, off
	s_or_b32 exec_lo, exec_lo, s15
	s_and_b32 s16, s5, s8
	s_delay_alu instid0(SALU_CYCLE_1)
	s_and_saveexec_b32 s15, s16
	s_cbranch_execz .LBB222_300
.LBB222_322:
	v_cmp_ne_u32_e32 vcc_lo, 1, v73
	s_cbranch_vccnz .LBB222_324
; %bb.323:
	v_lshlrev_b64 v[24:25], 1, v[42:43]
	s_delay_alu instid0(VALU_DEP_1) | instskip(NEXT) | instid1(VALU_DEP_2)
	v_add_co_u32 v24, vcc_lo, v22, v24
	v_add_co_ci_u32_e32 v25, vcc_lo, v23, v25, vcc_lo
	flat_load_u16 v24, v[24:25]
	s_waitcnt vmcnt(0) lgkmcnt(0)
	v_mul_f16_e32 v24, v48, v24
	s_branch .LBB222_325
.LBB222_324:
	v_mov_b32_e32 v24, 0
.LBB222_325:
	v_pk_add_f16 v25, v10, v4
	v_pk_max_f16 v26, v59, v59
	v_pk_add_f16 v27, v11, v5
	s_delay_alu instid0(VALU_DEP_2) | instskip(NEXT) | instid1(VALU_DEP_1)
	v_pk_min_f16 v25, v26, v25
	v_pk_min_f16 v27, v25, v27
	v_lshlrev_b64 v[25:26], 1, v[42:43]
	s_delay_alu instid0(VALU_DEP_2) | instskip(NEXT) | instid1(VALU_DEP_1)
	v_lshrrev_b32_e32 v28, 16, v27
	v_min3_f16 v27, v24, v27, v28
	s_delay_alu instid0(VALU_DEP_3) | instskip(NEXT) | instid1(VALU_DEP_4)
	v_add_co_u32 v24, vcc_lo, v20, v25
	v_add_co_ci_u32_e32 v25, vcc_lo, v21, v26, vcc_lo
	global_store_b16 v[24:25], v27, off
	s_or_b32 exec_lo, exec_lo, s15
	s_and_b32 s16, s6, s8
	s_delay_alu instid0(SALU_CYCLE_1)
	s_and_saveexec_b32 s15, s16
	s_cbranch_execz .LBB222_301
.LBB222_326:
	v_cmp_ne_u32_e32 vcc_lo, 1, v73
	s_cbranch_vccnz .LBB222_328
; %bb.327:
	v_lshlrev_b64 v[24:25], 1, v[44:45]
	s_delay_alu instid0(VALU_DEP_1) | instskip(NEXT) | instid1(VALU_DEP_2)
	v_add_co_u32 v24, vcc_lo, v22, v24
	v_add_co_ci_u32_e32 v25, vcc_lo, v23, v25, vcc_lo
	flat_load_u16 v24, v[24:25]
	s_waitcnt vmcnt(0) lgkmcnt(0)
	v_mul_f16_e32 v24, v48, v24
	s_branch .LBB222_329
.LBB222_328:
	v_mov_b32_e32 v24, 0
.LBB222_329:
	v_pk_add_f16 v25, v0, v4
	v_pk_max_f16 v26, v58, v58
	v_pk_add_f16 v27, v1, v5
	s_delay_alu instid0(VALU_DEP_2) | instskip(NEXT) | instid1(VALU_DEP_1)
	v_pk_min_f16 v25, v26, v25
	v_pk_min_f16 v27, v25, v27
	v_lshlrev_b64 v[25:26], 1, v[44:45]
	s_delay_alu instid0(VALU_DEP_2) | instskip(NEXT) | instid1(VALU_DEP_1)
	v_lshrrev_b32_e32 v28, 16, v27
	v_min3_f16 v27, v24, v27, v28
	s_delay_alu instid0(VALU_DEP_3) | instskip(NEXT) | instid1(VALU_DEP_4)
	v_add_co_u32 v24, vcc_lo, v20, v25
	v_add_co_ci_u32_e32 v25, vcc_lo, v21, v26, vcc_lo
	global_store_b16 v[24:25], v27, off
	s_or_b32 exec_lo, exec_lo, s15
	s_and_b32 s15, s7, s8
	s_delay_alu instid0(SALU_CYCLE_1)
	s_and_saveexec_b32 s8, s15
	s_cbranch_execz .LBB222_334
.LBB222_330:
	v_cmp_ne_u32_e32 vcc_lo, 1, v73
	s_cbranch_vccnz .LBB222_332
; %bb.331:
	v_lshlrev_b64 v[24:25], 1, v[46:47]
	s_delay_alu instid0(VALU_DEP_1) | instskip(NEXT) | instid1(VALU_DEP_2)
	v_add_co_u32 v22, vcc_lo, v22, v24
	v_add_co_ci_u32_e32 v23, vcc_lo, v23, v25, vcc_lo
	flat_load_u16 v22, v[22:23]
	s_waitcnt vmcnt(0) lgkmcnt(0)
	v_mul_f16_e32 v22, v48, v22
	s_branch .LBB222_333
.LBB222_332:
	v_mov_b32_e32 v22, 0
.LBB222_333:
	v_pk_add_f16 v4, v2, v4
	v_pk_max_f16 v23, v57, v57
	v_pk_add_f16 v5, v3, v5
	s_delay_alu instid0(VALU_DEP_2) | instskip(NEXT) | instid1(VALU_DEP_1)
	v_pk_min_f16 v4, v23, v4
	v_pk_min_f16 v23, v4, v5
	v_lshlrev_b64 v[4:5], 1, v[46:47]
	s_delay_alu instid0(VALU_DEP_2) | instskip(NEXT) | instid1(VALU_DEP_2)
	v_lshrrev_b32_e32 v24, 16, v23
	v_add_co_u32 v4, vcc_lo, v20, v4
	s_delay_alu instid0(VALU_DEP_3) | instskip(NEXT) | instid1(VALU_DEP_3)
	v_add_co_ci_u32_e32 v5, vcc_lo, v21, v5, vcc_lo
	v_min3_f16 v22, v22, v23, v24
	global_store_b16 v[4:5], v22, off
.LBB222_334:
	s_or_b32 exec_lo, exec_lo, s8
	v_add_nc_u32_e32 v22, 0xe0, v81
	s_delay_alu instid0(VALU_DEP_1) | instskip(SKIP_2) | instid1(VALU_DEP_3)
	v_mad_i64_i32 v[4:5], null, v22, s14, 0
	v_mad_i64_i32 v[20:21], null, v22, s9, 0
	v_cmp_gt_i32_e64 s8, s17, v22
	v_lshlrev_b64 v[4:5], 1, v[4:5]
	s_delay_alu instid0(VALU_DEP_2) | instskip(NEXT) | instid1(VALU_DEP_3)
	s_and_b32 s9, s0, s8
	v_lshlrev_b64 v[20:21], 1, v[20:21]
	s_delay_alu instid0(VALU_DEP_2) | instskip(NEXT) | instid1(VALU_DEP_3)
	v_add_co_u32 v22, vcc_lo, s10, v4
	v_add_co_ci_u32_e32 v23, vcc_lo, s11, v5, vcc_lo
	s_delay_alu instid0(VALU_DEP_3) | instskip(NEXT) | instid1(VALU_DEP_4)
	v_add_co_u32 v20, vcc_lo, s12, v20
	v_add_co_ci_u32_e32 v21, vcc_lo, s13, v21, vcc_lo
	s_and_saveexec_b32 s0, s9
	s_cbranch_execnz .LBB222_343
; %bb.335:
	s_or_b32 exec_lo, exec_lo, s0
	s_and_b32 s1, s1, s8
	s_delay_alu instid0(SALU_CYCLE_1)
	s_and_saveexec_b32 s0, s1
	s_cbranch_execnz .LBB222_347
.LBB222_336:
	s_or_b32 exec_lo, exec_lo, s0
	s_and_b32 s1, s2, s8
	s_delay_alu instid0(SALU_CYCLE_1)
	s_and_saveexec_b32 s0, s1
	s_cbranch_execnz .LBB222_351
.LBB222_337:
	s_or_b32 exec_lo, exec_lo, s0
	s_and_b32 s1, s3, s8
	s_delay_alu instid0(SALU_CYCLE_1)
	s_and_saveexec_b32 s0, s1
	s_cbranch_execnz .LBB222_355
.LBB222_338:
	s_or_b32 exec_lo, exec_lo, s0
	s_and_b32 s1, s4, s8
	s_delay_alu instid0(SALU_CYCLE_1)
	s_and_saveexec_b32 s0, s1
	s_cbranch_execnz .LBB222_359
.LBB222_339:
	s_or_b32 exec_lo, exec_lo, s0
	s_and_b32 s1, s5, s8
	s_delay_alu instid0(SALU_CYCLE_1)
	s_and_saveexec_b32 s0, s1
	s_cbranch_execnz .LBB222_363
.LBB222_340:
	s_or_b32 exec_lo, exec_lo, s0
	s_and_b32 s1, s6, s8
	s_delay_alu instid0(SALU_CYCLE_1)
	s_and_saveexec_b32 s0, s1
	s_cbranch_execnz .LBB222_367
.LBB222_341:
	s_or_b32 exec_lo, exec_lo, s0
	s_and_b32 s0, s7, s8
	s_delay_alu instid0(SALU_CYCLE_1)
	s_and_saveexec_b32 s1, s0
	s_cbranch_execnz .LBB222_371
.LBB222_342:
	s_nop 0
	s_sendmsg sendmsg(MSG_DEALLOC_VGPRS)
	s_endpgm
.LBB222_343:
	v_cmp_ne_u32_e32 vcc_lo, 1, v73
	v_lshlrev_b64 v[4:5], 1, v[32:33]
	s_cbranch_vccnz .LBB222_345
; %bb.344:
	s_delay_alu instid0(VALU_DEP_1) | instskip(NEXT) | instid1(VALU_DEP_2)
	v_add_co_u32 v24, vcc_lo, v22, v4
	v_add_co_ci_u32_e32 v25, vcc_lo, v23, v5, vcc_lo
	flat_load_u16 v24, v[24:25]
	s_waitcnt vmcnt(0) lgkmcnt(0)
	v_mul_f16_e32 v24, v48, v24
	s_branch .LBB222_346
.LBB222_345:
	v_mov_b32_e32 v24, 0
.LBB222_346:
	v_pk_add_f16 v16, v16, v6
	v_pk_max_f16 v25, v56, v56
	v_pk_add_f16 v17, v17, v7
	v_add_co_u32 v4, vcc_lo, v20, v4
	v_add_co_ci_u32_e32 v5, vcc_lo, v21, v5, vcc_lo
	s_delay_alu instid0(VALU_DEP_4) | instskip(NEXT) | instid1(VALU_DEP_1)
	v_pk_min_f16 v16, v25, v16
	v_pk_min_f16 v16, v16, v17
	s_delay_alu instid0(VALU_DEP_1) | instskip(NEXT) | instid1(VALU_DEP_1)
	v_lshrrev_b32_e32 v17, 16, v16
	v_min3_f16 v16, v24, v16, v17
	global_store_b16 v[4:5], v16, off
	s_or_b32 exec_lo, exec_lo, s0
	s_and_b32 s1, s1, s8
	s_delay_alu instid0(SALU_CYCLE_1)
	s_and_saveexec_b32 s0, s1
	s_cbranch_execz .LBB222_336
.LBB222_347:
	v_cmp_ne_u32_e32 vcc_lo, 1, v73
	v_lshlrev_b64 v[4:5], 1, v[34:35]
	s_cbranch_vccnz .LBB222_349
; %bb.348:
	s_delay_alu instid0(VALU_DEP_1) | instskip(NEXT) | instid1(VALU_DEP_2)
	v_add_co_u32 v16, vcc_lo, v22, v4
	v_add_co_ci_u32_e32 v17, vcc_lo, v23, v5, vcc_lo
	flat_load_u16 v16, v[16:17]
	s_waitcnt vmcnt(0) lgkmcnt(0)
	v_mul_f16_e32 v16, v48, v16
	s_branch .LBB222_350
.LBB222_349:
	v_mov_b32_e32 v16, 0
.LBB222_350:
	v_pk_add_f16 v17, v18, v6
	v_pk_max_f16 v18, v55, v55
	v_pk_add_f16 v19, v19, v7
	v_add_co_u32 v4, vcc_lo, v20, v4
	v_add_co_ci_u32_e32 v5, vcc_lo, v21, v5, vcc_lo
	s_delay_alu instid0(VALU_DEP_4) | instskip(NEXT) | instid1(VALU_DEP_1)
	v_pk_min_f16 v17, v18, v17
	v_pk_min_f16 v17, v17, v19
	s_delay_alu instid0(VALU_DEP_1) | instskip(NEXT) | instid1(VALU_DEP_1)
	v_lshrrev_b32_e32 v18, 16, v17
	v_min3_f16 v16, v16, v17, v18
	global_store_b16 v[4:5], v16, off
	s_or_b32 exec_lo, exec_lo, s0
	s_and_b32 s1, s2, s8
	s_delay_alu instid0(SALU_CYCLE_1)
	s_and_saveexec_b32 s0, s1
	s_cbranch_execz .LBB222_337
.LBB222_351:
	v_cmp_ne_u32_e32 vcc_lo, 1, v73
	v_lshlrev_b64 v[4:5], 1, v[36:37]
	s_cbranch_vccnz .LBB222_353
; %bb.352:
	s_delay_alu instid0(VALU_DEP_1) | instskip(NEXT) | instid1(VALU_DEP_2)
	v_add_co_u32 v16, vcc_lo, v22, v4
	v_add_co_ci_u32_e32 v17, vcc_lo, v23, v5, vcc_lo
	flat_load_u16 v16, v[16:17]
	s_waitcnt vmcnt(0) lgkmcnt(0)
	v_mul_f16_e32 v16, v48, v16
	s_branch .LBB222_354
.LBB222_353:
	v_mov_b32_e32 v16, 0
.LBB222_354:
	v_pk_add_f16 v12, v12, v6
	v_pk_max_f16 v17, v54, v54
	v_pk_add_f16 v13, v13, v7
	v_add_co_u32 v4, vcc_lo, v20, v4
	v_add_co_ci_u32_e32 v5, vcc_lo, v21, v5, vcc_lo
	s_delay_alu instid0(VALU_DEP_4) | instskip(NEXT) | instid1(VALU_DEP_1)
	v_pk_min_f16 v12, v17, v12
	v_pk_min_f16 v12, v12, v13
	s_delay_alu instid0(VALU_DEP_1) | instskip(NEXT) | instid1(VALU_DEP_1)
	v_lshrrev_b32_e32 v13, 16, v12
	v_min3_f16 v12, v16, v12, v13
	global_store_b16 v[4:5], v12, off
	s_or_b32 exec_lo, exec_lo, s0
	s_and_b32 s1, s3, s8
	s_delay_alu instid0(SALU_CYCLE_1)
	s_and_saveexec_b32 s0, s1
	s_cbranch_execz .LBB222_338
.LBB222_355:
	v_cmp_ne_u32_e32 vcc_lo, 1, v73
	v_lshlrev_b64 v[4:5], 1, v[38:39]
	s_cbranch_vccnz .LBB222_357
; %bb.356:
	s_delay_alu instid0(VALU_DEP_1) | instskip(NEXT) | instid1(VALU_DEP_2)
	v_add_co_u32 v12, vcc_lo, v22, v4
	v_add_co_ci_u32_e32 v13, vcc_lo, v23, v5, vcc_lo
	flat_load_u16 v12, v[12:13]
	s_waitcnt vmcnt(0) lgkmcnt(0)
	v_mul_f16_e32 v12, v48, v12
	s_branch .LBB222_358
.LBB222_357:
	v_mov_b32_e32 v12, 0
.LBB222_358:
	v_pk_add_f16 v13, v14, v6
	v_pk_max_f16 v14, v53, v53
	v_pk_add_f16 v15, v15, v7
	v_add_co_u32 v4, vcc_lo, v20, v4
	v_add_co_ci_u32_e32 v5, vcc_lo, v21, v5, vcc_lo
	s_delay_alu instid0(VALU_DEP_4) | instskip(NEXT) | instid1(VALU_DEP_1)
	v_pk_min_f16 v13, v14, v13
	v_pk_min_f16 v13, v13, v15
	s_delay_alu instid0(VALU_DEP_1) | instskip(NEXT) | instid1(VALU_DEP_1)
	v_lshrrev_b32_e32 v14, 16, v13
	v_min3_f16 v12, v12, v13, v14
	global_store_b16 v[4:5], v12, off
	s_or_b32 exec_lo, exec_lo, s0
	s_and_b32 s1, s4, s8
	s_delay_alu instid0(SALU_CYCLE_1)
	s_and_saveexec_b32 s0, s1
	s_cbranch_execz .LBB222_339
.LBB222_359:
	v_cmp_ne_u32_e32 vcc_lo, 1, v73
	v_lshlrev_b64 v[4:5], 1, v[40:41]
	s_cbranch_vccnz .LBB222_361
; %bb.360:
	s_delay_alu instid0(VALU_DEP_1) | instskip(NEXT) | instid1(VALU_DEP_2)
	v_add_co_u32 v12, vcc_lo, v22, v4
	v_add_co_ci_u32_e32 v13, vcc_lo, v23, v5, vcc_lo
	flat_load_u16 v12, v[12:13]
	s_waitcnt vmcnt(0) lgkmcnt(0)
	v_mul_f16_e32 v12, v48, v12
	s_branch .LBB222_362
.LBB222_361:
	v_mov_b32_e32 v12, 0
.LBB222_362:
	v_pk_add_f16 v8, v8, v6
	v_pk_max_f16 v13, v52, v52
	v_pk_add_f16 v9, v9, v7
	v_add_co_u32 v4, vcc_lo, v20, v4
	v_add_co_ci_u32_e32 v5, vcc_lo, v21, v5, vcc_lo
	s_delay_alu instid0(VALU_DEP_4) | instskip(NEXT) | instid1(VALU_DEP_1)
	v_pk_min_f16 v8, v13, v8
	v_pk_min_f16 v8, v8, v9
	s_delay_alu instid0(VALU_DEP_1) | instskip(NEXT) | instid1(VALU_DEP_1)
	v_lshrrev_b32_e32 v9, 16, v8
	v_min3_f16 v8, v12, v8, v9
	global_store_b16 v[4:5], v8, off
	s_or_b32 exec_lo, exec_lo, s0
	s_and_b32 s1, s5, s8
	s_delay_alu instid0(SALU_CYCLE_1)
	s_and_saveexec_b32 s0, s1
	s_cbranch_execz .LBB222_340
.LBB222_363:
	v_cmp_ne_u32_e32 vcc_lo, 1, v73
	v_lshlrev_b64 v[4:5], 1, v[42:43]
	s_cbranch_vccnz .LBB222_365
; %bb.364:
	s_delay_alu instid0(VALU_DEP_1) | instskip(NEXT) | instid1(VALU_DEP_2)
	v_add_co_u32 v8, vcc_lo, v22, v4
	v_add_co_ci_u32_e32 v9, vcc_lo, v23, v5, vcc_lo
	flat_load_u16 v8, v[8:9]
	s_waitcnt vmcnt(0) lgkmcnt(0)
	v_mul_f16_e32 v8, v48, v8
	s_branch .LBB222_366
.LBB222_365:
	v_mov_b32_e32 v8, 0
.LBB222_366:
	v_pk_add_f16 v9, v10, v6
	v_pk_max_f16 v10, v51, v51
	v_pk_add_f16 v11, v11, v7
	v_add_co_u32 v4, vcc_lo, v20, v4
	v_add_co_ci_u32_e32 v5, vcc_lo, v21, v5, vcc_lo
	s_delay_alu instid0(VALU_DEP_4) | instskip(NEXT) | instid1(VALU_DEP_1)
	v_pk_min_f16 v9, v10, v9
	v_pk_min_f16 v9, v9, v11
	s_delay_alu instid0(VALU_DEP_1) | instskip(NEXT) | instid1(VALU_DEP_1)
	v_lshrrev_b32_e32 v10, 16, v9
	v_min3_f16 v8, v8, v9, v10
	global_store_b16 v[4:5], v8, off
	s_or_b32 exec_lo, exec_lo, s0
	s_and_b32 s1, s6, s8
	s_delay_alu instid0(SALU_CYCLE_1)
	s_and_saveexec_b32 s0, s1
	s_cbranch_execz .LBB222_341
.LBB222_367:
	v_cmp_ne_u32_e32 vcc_lo, 1, v73
	v_lshlrev_b64 v[4:5], 1, v[44:45]
	s_cbranch_vccnz .LBB222_369
; %bb.368:
	s_delay_alu instid0(VALU_DEP_1) | instskip(NEXT) | instid1(VALU_DEP_2)
	v_add_co_u32 v8, vcc_lo, v22, v4
	v_add_co_ci_u32_e32 v9, vcc_lo, v23, v5, vcc_lo
	flat_load_u16 v8, v[8:9]
	s_waitcnt vmcnt(0) lgkmcnt(0)
	v_mul_f16_e32 v8, v48, v8
	s_branch .LBB222_370
.LBB222_369:
	v_mov_b32_e32 v8, 0
.LBB222_370:
	v_pk_add_f16 v0, v0, v6
	v_pk_max_f16 v9, v50, v50
	v_pk_add_f16 v1, v1, v7
	s_delay_alu instid0(VALU_DEP_2) | instskip(NEXT) | instid1(VALU_DEP_1)
	v_pk_min_f16 v0, v9, v0
	v_pk_min_f16 v0, v0, v1
	s_delay_alu instid0(VALU_DEP_1) | instskip(NEXT) | instid1(VALU_DEP_1)
	v_lshrrev_b32_e32 v1, 16, v0
	v_min3_f16 v8, v8, v0, v1
	v_add_co_u32 v0, vcc_lo, v20, v4
	v_add_co_ci_u32_e32 v1, vcc_lo, v21, v5, vcc_lo
	global_store_b16 v[0:1], v8, off
	s_or_b32 exec_lo, exec_lo, s0
	s_and_b32 s0, s7, s8
	s_delay_alu instid0(SALU_CYCLE_1)
	s_and_saveexec_b32 s1, s0
	s_cbranch_execz .LBB222_342
.LBB222_371:
	v_cmp_ne_u32_e32 vcc_lo, 1, v73
	v_lshlrev_b64 v[0:1], 1, v[46:47]
	s_cbranch_vccnz .LBB222_373
; %bb.372:
	s_delay_alu instid0(VALU_DEP_1) | instskip(NEXT) | instid1(VALU_DEP_2)
	v_add_co_u32 v4, vcc_lo, v22, v0
	v_add_co_ci_u32_e32 v5, vcc_lo, v23, v1, vcc_lo
	flat_load_u16 v4, v[4:5]
	s_waitcnt vmcnt(0) lgkmcnt(0)
	v_mul_f16_e32 v4, v48, v4
	s_branch .LBB222_374
.LBB222_373:
	v_mov_b32_e32 v4, 0
.LBB222_374:
	v_pk_add_f16 v2, v2, v6
	v_pk_max_f16 v5, v49, v49
	v_pk_add_f16 v3, v3, v7
	v_add_co_u32 v0, vcc_lo, v20, v0
	v_add_co_ci_u32_e32 v1, vcc_lo, v21, v1, vcc_lo
	s_delay_alu instid0(VALU_DEP_4) | instskip(NEXT) | instid1(VALU_DEP_1)
	v_pk_min_f16 v2, v5, v2
	v_pk_min_f16 v2, v2, v3
	s_delay_alu instid0(VALU_DEP_1) | instskip(NEXT) | instid1(VALU_DEP_1)
	v_lshrrev_b32_e32 v3, 16, v2
	v_min3_f16 v2, v4, v2, v3
	global_store_b16 v[0:1], v2, off
	s_nop 0
	s_sendmsg sendmsg(MSG_DEALLOC_VGPRS)
	s_endpgm
	.section	.rodata,"a",@progbits
	.p2align	6, 0x0
	.amdhsa_kernel _ZN12_GLOBAL__N_120geam_min_plus_kernelIDF16_Dv2_DF16_S1_Li8ELi32ELi64ELi256ELi4ELi64ELi4ELi64ELi4ELc78ELc84ELb0ELb1ELb1EPKDF16_KS3_KPDF16_EEviiiT16_PT17_ilS9_ilS7_S9_ilPT18_ili26rocblas_geam_ex_operation_
		.amdhsa_group_segment_fixed_size 5120
		.amdhsa_private_segment_fixed_size 0
		.amdhsa_kernarg_size 136
		.amdhsa_user_sgpr_count 14
		.amdhsa_user_sgpr_dispatch_ptr 0
		.amdhsa_user_sgpr_queue_ptr 0
		.amdhsa_user_sgpr_kernarg_segment_ptr 1
		.amdhsa_user_sgpr_dispatch_id 0
		.amdhsa_user_sgpr_private_segment_size 0
		.amdhsa_wavefront_size32 1
		.amdhsa_uses_dynamic_stack 0
		.amdhsa_enable_private_segment 0
		.amdhsa_system_sgpr_workgroup_id_x 1
		.amdhsa_system_sgpr_workgroup_id_y 0
		.amdhsa_system_sgpr_workgroup_id_z 1
		.amdhsa_system_sgpr_workgroup_info 0
		.amdhsa_system_vgpr_workitem_id 1
		.amdhsa_next_free_vgpr 160
		.amdhsa_next_free_sgpr 30
		.amdhsa_reserve_vcc 1
		.amdhsa_float_round_mode_32 0
		.amdhsa_float_round_mode_16_64 0
		.amdhsa_float_denorm_mode_32 3
		.amdhsa_float_denorm_mode_16_64 3
		.amdhsa_dx10_clamp 1
		.amdhsa_ieee_mode 1
		.amdhsa_fp16_overflow 0
		.amdhsa_workgroup_processor_mode 1
		.amdhsa_memory_ordered 1
		.amdhsa_forward_progress 0
		.amdhsa_shared_vgpr_count 0
		.amdhsa_exception_fp_ieee_invalid_op 0
		.amdhsa_exception_fp_denorm_src 0
		.amdhsa_exception_fp_ieee_div_zero 0
		.amdhsa_exception_fp_ieee_overflow 0
		.amdhsa_exception_fp_ieee_underflow 0
		.amdhsa_exception_fp_ieee_inexact 0
		.amdhsa_exception_int_div_zero 0
	.end_amdhsa_kernel
	.section	.text._ZN12_GLOBAL__N_120geam_min_plus_kernelIDF16_Dv2_DF16_S1_Li8ELi32ELi64ELi256ELi4ELi64ELi4ELi64ELi4ELc78ELc84ELb0ELb1ELb1EPKDF16_KS3_KPDF16_EEviiiT16_PT17_ilS9_ilS7_S9_ilPT18_ili26rocblas_geam_ex_operation_,"axG",@progbits,_ZN12_GLOBAL__N_120geam_min_plus_kernelIDF16_Dv2_DF16_S1_Li8ELi32ELi64ELi256ELi4ELi64ELi4ELi64ELi4ELc78ELc84ELb0ELb1ELb1EPKDF16_KS3_KPDF16_EEviiiT16_PT17_ilS9_ilS7_S9_ilPT18_ili26rocblas_geam_ex_operation_,comdat
.Lfunc_end222:
	.size	_ZN12_GLOBAL__N_120geam_min_plus_kernelIDF16_Dv2_DF16_S1_Li8ELi32ELi64ELi256ELi4ELi64ELi4ELi64ELi4ELc78ELc84ELb0ELb1ELb1EPKDF16_KS3_KPDF16_EEviiiT16_PT17_ilS9_ilS7_S9_ilPT18_ili26rocblas_geam_ex_operation_, .Lfunc_end222-_ZN12_GLOBAL__N_120geam_min_plus_kernelIDF16_Dv2_DF16_S1_Li8ELi32ELi64ELi256ELi4ELi64ELi4ELi64ELi4ELc78ELc84ELb0ELb1ELb1EPKDF16_KS3_KPDF16_EEviiiT16_PT17_ilS9_ilS7_S9_ilPT18_ili26rocblas_geam_ex_operation_
                                        ; -- End function
	.section	.AMDGPU.csdata,"",@progbits
; Kernel info:
; codeLenInByte = 23524
; NumSgprs: 32
; NumVgprs: 160
; ScratchSize: 0
; MemoryBound: 0
; FloatMode: 240
; IeeeMode: 1
; LDSByteSize: 5120 bytes/workgroup (compile time only)
; SGPRBlocks: 3
; VGPRBlocks: 19
; NumSGPRsForWavesPerEU: 32
; NumVGPRsForWavesPerEU: 160
; Occupancy: 9
; WaveLimiterHint : 1
; COMPUTE_PGM_RSRC2:SCRATCH_EN: 0
; COMPUTE_PGM_RSRC2:USER_SGPR: 14
; COMPUTE_PGM_RSRC2:TRAP_HANDLER: 0
; COMPUTE_PGM_RSRC2:TGID_X_EN: 1
; COMPUTE_PGM_RSRC2:TGID_Y_EN: 0
; COMPUTE_PGM_RSRC2:TGID_Z_EN: 1
; COMPUTE_PGM_RSRC2:TIDIG_COMP_CNT: 1
	.section	.text._ZN12_GLOBAL__N_120geam_min_plus_kernelIDF16_Dv2_DF16_S1_Li8ELi32ELi64ELi256ELi4ELi64ELi4ELi64ELi4ELc78ELc84ELb1ELb1ELb1EDF16_KPKDF16_KPDF16_EEviiiT16_PT17_ilS9_ilS7_S9_ilPT18_ili26rocblas_geam_ex_operation_,"axG",@progbits,_ZN12_GLOBAL__N_120geam_min_plus_kernelIDF16_Dv2_DF16_S1_Li8ELi32ELi64ELi256ELi4ELi64ELi4ELi64ELi4ELc78ELc84ELb1ELb1ELb1EDF16_KPKDF16_KPDF16_EEviiiT16_PT17_ilS9_ilS7_S9_ilPT18_ili26rocblas_geam_ex_operation_,comdat
	.globl	_ZN12_GLOBAL__N_120geam_min_plus_kernelIDF16_Dv2_DF16_S1_Li8ELi32ELi64ELi256ELi4ELi64ELi4ELi64ELi4ELc78ELc84ELb1ELb1ELb1EDF16_KPKDF16_KPDF16_EEviiiT16_PT17_ilS9_ilS7_S9_ilPT18_ili26rocblas_geam_ex_operation_ ; -- Begin function _ZN12_GLOBAL__N_120geam_min_plus_kernelIDF16_Dv2_DF16_S1_Li8ELi32ELi64ELi256ELi4ELi64ELi4ELi64ELi4ELc78ELc84ELb1ELb1ELb1EDF16_KPKDF16_KPDF16_EEviiiT16_PT17_ilS9_ilS7_S9_ilPT18_ili26rocblas_geam_ex_operation_
	.p2align	8
	.type	_ZN12_GLOBAL__N_120geam_min_plus_kernelIDF16_Dv2_DF16_S1_Li8ELi32ELi64ELi256ELi4ELi64ELi4ELi64ELi4ELc78ELc84ELb1ELb1ELb1EDF16_KPKDF16_KPDF16_EEviiiT16_PT17_ilS9_ilS7_S9_ilPT18_ili26rocblas_geam_ex_operation_,@function
_ZN12_GLOBAL__N_120geam_min_plus_kernelIDF16_Dv2_DF16_S1_Li8ELi32ELi64ELi256ELi4ELi64ELi4ELi64ELi4ELc78ELc84ELb1ELb1ELb1EDF16_KPKDF16_KPDF16_EEviiiT16_PT17_ilS9_ilS7_S9_ilPT18_ili26rocblas_geam_ex_operation_: ; @_ZN12_GLOBAL__N_120geam_min_plus_kernelIDF16_Dv2_DF16_S1_Li8ELi32ELi64ELi256ELi4ELi64ELi4ELi64ELi4ELc78ELc84ELb1ELb1ELb1EDF16_KPKDF16_KPDF16_EEviiiT16_PT17_ilS9_ilS7_S9_ilPT18_ili26rocblas_geam_ex_operation_
; %bb.0:
	s_clause 0x1
	s_load_b128 s[16:19], s[0:1], 0x0
	s_load_b128 s[4:7], s[0:1], 0x20
	s_mov_b32 s2, s15
	s_mov_b32 s3, 0
	s_waitcnt lgkmcnt(0)
	v_cmp_eq_f16_e64 s10, s19, 0
	s_delay_alu instid0(VALU_DEP_1)
	s_and_b32 vcc_lo, exec_lo, s10
	s_cbranch_vccnz .LBB223_3
; %bb.1:
	s_load_b64 s[8:9], s[0:1], 0x10
	s_lshl_b64 s[12:13], s[2:3], 3
	s_waitcnt lgkmcnt(0)
	s_add_u32 s8, s8, s12
	s_addc_u32 s9, s9, s13
	s_lshl_b64 s[4:5], s[4:5], 1
	s_load_b64 s[8:9], s[8:9], 0x0
	s_waitcnt lgkmcnt(0)
	s_add_u32 s8, s8, s4
	s_addc_u32 s9, s9, s5
	s_and_not1_b32 vcc_lo, exec_lo, s10
	s_cbranch_vccnz .LBB223_4
.LBB223_2:
	s_mov_b64 s[20:21], 0
	s_and_not1_b32 vcc_lo, exec_lo, s3
	s_cbranch_vccz .LBB223_5
	s_branch .LBB223_6
.LBB223_3:
	s_mov_b64 s[8:9], 0
	s_and_not1_b32 vcc_lo, exec_lo, s10
	s_cbranch_vccz .LBB223_2
.LBB223_4:
	s_mov_b32 s3, -1
                                        ; implicit-def: $sgpr20_sgpr21
.LBB223_5:
	s_mov_b32 s3, 0
	s_load_b64 s[10:11], s[0:1], 0x38
	s_lshl_b64 s[4:5], s[2:3], 3
	s_delay_alu instid0(SALU_CYCLE_1) | instskip(SKIP_4) | instid1(SALU_CYCLE_1)
	s_add_u32 s4, s6, s4
	s_addc_u32 s5, s7, s5
	s_load_b64 s[4:5], s[4:5], 0x0
	s_waitcnt lgkmcnt(0)
	s_lshl_b64 s[6:7], s[10:11], 1
	s_add_u32 s20, s4, s6
	s_addc_u32 s21, s5, s7
.LBB223_6:
	s_clause 0x1
	s_load_b32 s19, s[0:1], 0x40
	s_load_b128 s[4:7], s[0:1], 0x58
	s_waitcnt lgkmcnt(0)
	v_cmp_eq_f16_e64 s10, s19, 0
	v_cmp_neq_f16_e64 s24, s19, 0
	s_delay_alu instid0(VALU_DEP_2)
	s_and_b32 vcc_lo, exec_lo, s10
	s_cbranch_vccnz .LBB223_8
; %bb.7:
	s_load_b64 s[10:11], s[0:1], 0x48
	s_lshl_b64 s[12:13], s[2:3], 3
	s_waitcnt lgkmcnt(0)
	s_add_u32 s10, s10, s12
	s_addc_u32 s11, s11, s13
	s_lshl_b64 s[4:5], s[4:5], 1
	s_load_b64 s[10:11], s[10:11], 0x0
	s_waitcnt lgkmcnt(0)
	s_add_u32 s10, s10, s4
	s_addc_u32 s11, s11, s5
	s_branch .LBB223_9
.LBB223_8:
	s_mov_b64 s[10:11], 0
.LBB223_9:
	s_load_b32 s22, s[0:1], 0x18
	s_lshl_b64 s[2:3], s[2:3], 3
	v_and_b32_e32 v40, 0x3ff, v0
	v_bfe_u32 v41, v0, 10, 10
	v_dual_mov_b32 v11, 0x7c00 :: v_dual_mov_b32 v10, 0x7c00
	s_waitcnt lgkmcnt(0)
	s_ashr_i32 s23, s22, 31
	s_add_u32 s4, s6, s2
	s_addc_u32 s5, s7, s3
	s_add_i32 s2, s16, -1
	s_delay_alu instid0(SALU_CYCLE_1) | instskip(NEXT) | instid1(SALU_CYCLE_1)
	s_ashr_i32 s3, s2, 31
	s_lshr_b32 s3, s3, 26
	s_delay_alu instid0(SALU_CYCLE_1) | instskip(NEXT) | instid1(SALU_CYCLE_1)
	s_add_i32 s2, s2, s3
	s_ashr_i32 s2, s2, 6
	s_delay_alu instid0(SALU_CYCLE_1) | instskip(SKIP_2) | instid1(VALU_DEP_1)
	s_add_i32 s6, s2, 1
	s_not_b32 s2, s2
	v_cvt_f32_u32_e32 v1, s6
	v_rcp_iflag_f32_e32 v1, v1
	s_waitcnt_depctr 0xfff
	v_mul_f32_e32 v1, 0x4f7ffffe, v1
	s_delay_alu instid0(VALU_DEP_1) | instskip(NEXT) | instid1(VALU_DEP_1)
	v_cvt_u32_f32_e32 v1, v1
	v_readfirstlane_b32 s3, v1
	v_lshl_add_u32 v1, v41, 3, v40
	s_delay_alu instid0(VALU_DEP_2) | instskip(NEXT) | instid1(VALU_DEP_1)
	s_mul_i32 s2, s2, s3
	v_and_b32_e32 v9, 63, v1
	s_mul_hi_u32 s2, s3, s2
	v_lshrrev_b32_e32 v42, 6, v1
	s_add_i32 s3, s3, s2
	s_delay_alu instid0(SALU_CYCLE_1) | instskip(NEXT) | instid1(SALU_CYCLE_1)
	s_mul_hi_u32 s2, s14, s3
	s_mul_i32 s3, s2, s6
	s_add_i32 s7, s2, 1
	s_sub_i32 s3, s14, s3
	s_delay_alu instid0(SALU_CYCLE_1)
	s_sub_i32 s12, s3, s6
	s_cmp_ge_u32 s3, s6
	s_cselect_b32 s2, s7, s2
	s_cselect_b32 s3, s12, s3
	s_add_i32 s7, s2, 1
	s_cmp_ge_u32 s3, s6
	s_load_b64 s[12:13], s[4:5], 0x0
	s_cselect_b32 s3, s7, s2
	s_delay_alu instid0(SALU_CYCLE_1) | instskip(SKIP_2) | instid1(SALU_CYCLE_1)
	s_mul_i32 s2, s3, s6
	v_cmp_le_i32_e64 s6, s18, v42
	s_sub_i32 s2, s14, s2
	s_lshl_b32 s25, s2, 6
	s_delay_alu instid0(SALU_CYCLE_1) | instskip(NEXT) | instid1(VALU_DEP_1)
	v_or_b32_e32 v0, s25, v9
	v_cmp_le_i32_e32 vcc_lo, s16, v0
	v_ashrrev_i32_e32 v1, 31, v0
	s_or_b32 s2, vcc_lo, s6
	s_delay_alu instid0(SALU_CYCLE_1) | instskip(NEXT) | instid1(SALU_CYCLE_1)
	s_xor_b32 s2, s2, -1
	s_and_saveexec_b32 s4, s2
	s_cbranch_execz .LBB223_11
; %bb.10:
	v_mad_i64_i32 v[2:3], null, s22, v42, 0
	v_lshlrev_b64 v[4:5], 1, v[0:1]
	s_delay_alu instid0(VALU_DEP_2) | instskip(NEXT) | instid1(VALU_DEP_1)
	v_lshlrev_b64 v[2:3], 1, v[2:3]
	v_add_co_u32 v2, s2, s8, v2
	s_delay_alu instid0(VALU_DEP_1) | instskip(NEXT) | instid1(VALU_DEP_2)
	v_add_co_ci_u32_e64 v3, s2, s9, v3, s2
	v_add_co_u32 v2, s2, v2, v4
	s_delay_alu instid0(VALU_DEP_1)
	v_add_co_ci_u32_e64 v3, s2, v3, v5, s2
	flat_load_u16 v11, v[2:3]
.LBB223_11:
	s_or_b32 exec_lo, exec_lo, s4
	s_load_b32 s14, s[0:1], 0x30
	s_lshl_b32 s26, s3, 8
	s_delay_alu instid0(SALU_CYCLE_1) | instskip(NEXT) | instid1(VALU_DEP_1)
	v_or_b32_e32 v2, s26, v9
	v_cmp_le_i32_e64 s2, s17, v2
	s_waitcnt lgkmcnt(0)
	v_mad_i64_i32 v[3:4], null, v42, s14, 0
	s_delay_alu instid0(VALU_DEP_1) | instskip(NEXT) | instid1(VALU_DEP_1)
	v_lshlrev_b64 v[3:4], 1, v[3:4]
	v_add_co_u32 v5, s3, s20, v3
	s_delay_alu instid0(VALU_DEP_1) | instskip(SKIP_2) | instid1(SALU_CYCLE_1)
	v_add_co_ci_u32_e64 v6, s3, s21, v4, s3
	v_ashrrev_i32_e32 v3, 31, v2
	s_or_b32 s3, s2, s6
	s_xor_b32 s3, s3, -1
	s_delay_alu instid0(SALU_CYCLE_1)
	s_and_saveexec_b32 s4, s3
	s_cbranch_execz .LBB223_13
; %bb.12:
	v_lshlrev_b64 v[7:8], 1, v[2:3]
	s_delay_alu instid0(VALU_DEP_1) | instskip(NEXT) | instid1(VALU_DEP_1)
	v_add_co_u32 v7, s3, v5, v7
	v_add_co_ci_u32_e64 v8, s3, v6, v8, s3
	flat_load_u16 v10, v[7:8]
.LBB223_13:
	s_or_b32 exec_lo, exec_lo, s4
	v_or_b32_e32 v4, 64, v2
	v_dual_mov_b32 v12, 0x7c00 :: v_dual_mov_b32 v13, 0x7c00
	s_delay_alu instid0(VALU_DEP_2) | instskip(NEXT) | instid1(VALU_DEP_1)
	v_cmp_le_i32_e64 s3, s17, v4
	s_or_b32 s4, s3, s6
	s_delay_alu instid0(SALU_CYCLE_1) | instskip(NEXT) | instid1(SALU_CYCLE_1)
	s_xor_b32 s4, s4, -1
	s_and_saveexec_b32 s5, s4
	s_cbranch_execz .LBB223_15
; %bb.14:
	v_lshlrev_b64 v[7:8], 1, v[2:3]
	s_delay_alu instid0(VALU_DEP_1) | instskip(NEXT) | instid1(VALU_DEP_1)
	v_add_co_u32 v7, s4, v5, v7
	v_add_co_ci_u32_e64 v8, s4, v6, v8, s4
	flat_load_u16 v13, v[7:8] offset:128
.LBB223_15:
	s_or_b32 exec_lo, exec_lo, s5
	v_or_b32_e32 v4, 0x80, v2
	s_ashr_i32 s15, s14, 31
	s_delay_alu instid0(VALU_DEP_1) | instskip(NEXT) | instid1(VALU_DEP_1)
	v_cmp_le_i32_e64 s4, s17, v4
	s_or_b32 s5, s4, s6
	s_delay_alu instid0(SALU_CYCLE_1) | instskip(NEXT) | instid1(SALU_CYCLE_1)
	s_xor_b32 s5, s5, -1
	s_and_saveexec_b32 s7, s5
	s_cbranch_execz .LBB223_17
; %bb.16:
	v_lshlrev_b64 v[7:8], 1, v[2:3]
	s_delay_alu instid0(VALU_DEP_1) | instskip(NEXT) | instid1(VALU_DEP_1)
	v_add_co_u32 v7, s5, v5, v7
	v_add_co_ci_u32_e64 v8, s5, v6, v8, s5
	flat_load_u16 v12, v[7:8] offset:256
.LBB223_17:
	s_or_b32 exec_lo, exec_lo, s7
	v_or_b32_e32 v4, 0xc0, v2
	v_mov_b32_e32 v14, 0x7c00
	s_delay_alu instid0(VALU_DEP_2) | instskip(SKIP_1) | instid1(VALU_DEP_2)
	v_cmp_le_i32_e64 s5, s17, v4
	v_mov_b32_e32 v4, 0x7c00
	s_or_b32 s6, s5, s6
	s_delay_alu instid0(SALU_CYCLE_1) | instskip(NEXT) | instid1(SALU_CYCLE_1)
	s_xor_b32 s6, s6, -1
	s_and_saveexec_b32 s7, s6
	s_cbranch_execz .LBB223_19
; %bb.18:
	v_lshlrev_b64 v[7:8], 1, v[2:3]
	s_delay_alu instid0(VALU_DEP_1) | instskip(NEXT) | instid1(VALU_DEP_1)
	v_add_co_u32 v5, s6, v5, v7
	v_add_co_ci_u32_e64 v6, s6, v6, v8, s6
	flat_load_u16 v14, v[5:6] offset:384
.LBB223_19:
	s_or_b32 exec_lo, exec_lo, s7
	v_add_nc_u32_e32 v5, 4, v42
	s_delay_alu instid0(VALU_DEP_1) | instskip(NEXT) | instid1(VALU_DEP_1)
	v_cmp_le_i32_e64 s6, s18, v5
	s_or_b32 s7, vcc_lo, s6
	s_delay_alu instid0(SALU_CYCLE_1) | instskip(NEXT) | instid1(SALU_CYCLE_1)
	s_xor_b32 s7, s7, -1
	s_and_saveexec_b32 s27, s7
	s_cbranch_execz .LBB223_21
; %bb.20:
	v_mad_i64_i32 v[6:7], null, s22, v5, 0
	v_lshlrev_b64 v[15:16], 1, v[0:1]
	s_delay_alu instid0(VALU_DEP_2) | instskip(NEXT) | instid1(VALU_DEP_1)
	v_lshlrev_b64 v[6:7], 1, v[6:7]
	v_add_co_u32 v4, s7, s8, v6
	s_delay_alu instid0(VALU_DEP_1) | instskip(NEXT) | instid1(VALU_DEP_2)
	v_add_co_ci_u32_e64 v7, s7, s9, v7, s7
	v_add_co_u32 v6, s7, v4, v15
	s_delay_alu instid0(VALU_DEP_1)
	v_add_co_ci_u32_e64 v7, s7, v7, v16, s7
	flat_load_u16 v4, v[6:7]
.LBB223_21:
	s_or_b32 exec_lo, exec_lo, s27
	v_mad_i64_i32 v[6:7], null, v5, s14, 0
	v_mov_b32_e32 v5, 0x7c00
	s_delay_alu instid0(VALU_DEP_2) | instskip(NEXT) | instid1(VALU_DEP_1)
	v_lshlrev_b64 v[6:7], 1, v[6:7]
	v_add_co_u32 v15, s7, s20, v6
	v_mov_b32_e32 v6, 0x7c00
	s_delay_alu instid0(VALU_DEP_3) | instskip(SKIP_1) | instid1(SALU_CYCLE_1)
	v_add_co_ci_u32_e64 v16, s7, s21, v7, s7
	s_or_b32 s7, s2, s6
	s_xor_b32 s7, s7, -1
	s_delay_alu instid0(SALU_CYCLE_1)
	s_and_saveexec_b32 s27, s7
	s_cbranch_execz .LBB223_23
; %bb.22:
	v_lshlrev_b64 v[6:7], 1, v[2:3]
	s_delay_alu instid0(VALU_DEP_1) | instskip(NEXT) | instid1(VALU_DEP_1)
	v_add_co_u32 v6, s7, v15, v6
	v_add_co_ci_u32_e64 v7, s7, v16, v7, s7
	flat_load_u16 v6, v[6:7]
.LBB223_23:
	s_or_b32 exec_lo, exec_lo, s27
	s_or_b32 s7, s3, s6
	s_delay_alu instid0(SALU_CYCLE_1) | instskip(NEXT) | instid1(SALU_CYCLE_1)
	s_xor_b32 s7, s7, -1
	s_and_saveexec_b32 s27, s7
	s_cbranch_execz .LBB223_25
; %bb.24:
	v_lshlrev_b64 v[7:8], 1, v[2:3]
	s_delay_alu instid0(VALU_DEP_1) | instskip(NEXT) | instid1(VALU_DEP_1)
	v_add_co_u32 v7, s7, v15, v7
	v_add_co_ci_u32_e64 v8, s7, v16, v8, s7
	flat_load_u16 v5, v[7:8] offset:128
.LBB223_25:
	s_or_b32 exec_lo, exec_lo, s27
	v_dual_mov_b32 v7, 0x7c00 :: v_dual_mov_b32 v8, 0x7c00
	s_or_b32 s7, s4, s6
	s_delay_alu instid0(SALU_CYCLE_1) | instskip(NEXT) | instid1(SALU_CYCLE_1)
	s_xor_b32 s7, s7, -1
	s_and_saveexec_b32 s27, s7
	s_cbranch_execz .LBB223_27
; %bb.26:
	v_lshlrev_b64 v[17:18], 1, v[2:3]
	s_delay_alu instid0(VALU_DEP_1) | instskip(NEXT) | instid1(VALU_DEP_1)
	v_add_co_u32 v17, s7, v15, v17
	v_add_co_ci_u32_e64 v18, s7, v16, v18, s7
	flat_load_u16 v8, v[17:18] offset:256
.LBB223_27:
	s_or_b32 exec_lo, exec_lo, s27
	s_or_b32 s6, s5, s6
	s_delay_alu instid0(SALU_CYCLE_1) | instskip(NEXT) | instid1(SALU_CYCLE_1)
	s_xor_b32 s6, s6, -1
	s_and_saveexec_b32 s7, s6
	s_cbranch_execz .LBB223_29
; %bb.28:
	v_lshlrev_b64 v[17:18], 1, v[2:3]
	s_delay_alu instid0(VALU_DEP_1) | instskip(NEXT) | instid1(VALU_DEP_1)
	v_add_co_u32 v15, s6, v15, v17
	v_add_co_ci_u32_e64 v16, s6, v16, v18, s6
	flat_load_u16 v7, v[15:16] offset:384
.LBB223_29:
	s_or_b32 exec_lo, exec_lo, s7
	v_lshlrev_b32_e32 v15, 1, v42
	v_lshlrev_b32_e32 v43, 3, v40
	;; [unrolled: 1-line block ×3, first 2 shown]
	s_cmp_lt_i32 s18, 9
	s_delay_alu instid0(VALU_DEP_3) | instskip(NEXT) | instid1(VALU_DEP_3)
	v_lshl_add_u32 v45, v9, 3, v15
	v_add_nc_u32_e32 v25, 0x1000, v43
	s_waitcnt vmcnt(0) lgkmcnt(0)
	ds_store_b16 v45, v10
	ds_store_b16 v45, v13 offset:512
	ds_store_b16 v45, v12 offset:1024
	;; [unrolled: 1-line block ×4, first 2 shown]
	s_waitcnt lgkmcnt(0)
	s_barrier
	buffer_gl0_inv
	ds_load_2addr_b64 v[9:12], v25 offset1:8
	ds_load_2addr_b64 v[13:16], v44 offset1:32
	ds_load_2addr_b64 v[17:20], v25 offset0:16 offset1:24
	ds_load_2addr_b64 v[21:24], v25 offset0:32 offset1:40
	;; [unrolled: 1-line block ×5, first 2 shown]
	s_waitcnt lgkmcnt(5)
	v_pk_add_f16 v38, v11, v13
	s_waitcnt lgkmcnt(4)
	v_pk_add_f16 v39, v17, v13
	;; [unrolled: 2-line block ×4, first 2 shown]
	v_pk_add_f16 v74, v12, v14
	v_pk_min_f16 v38, 0x7c00, v38 op_sel_hi:[0,1]
	v_pk_add_f16 v37, v9, v13
	v_pk_add_f16 v46, v19, v13
	;; [unrolled: 1-line block ×6, first 2 shown]
	v_pk_min_f16 v39, 0x7c00, v39 op_sel_hi:[0,1]
	v_pk_min_f16 v118, v38, v74
	v_pk_min_f16 v38, 0x7c00, v48 op_sel_hi:[0,1]
	v_pk_min_f16 v48, 0x7c00, v50 op_sel_hi:[0,1]
	v_pk_add_f16 v47, v21, v13
	v_pk_add_f16 v53, v17, v15
	;; [unrolled: 1-line block ×3, first 2 shown]
	s_waitcnt lgkmcnt(1)
	v_pk_add_f16 v59, v9, v29
	v_pk_add_f16 v60, v11, v29
	;; [unrolled: 1-line block ×13, first 2 shown]
	v_pk_min_f16 v37, 0x7c00, v37 op_sel_hi:[0,1]
	v_pk_min_f16 v46, 0x7c00, v46 op_sel_hi:[0,1]
	v_pk_min_f16 v117, v39, v75
	v_pk_min_f16 v39, 0x7c00, v49 op_sel_hi:[0,1]
	v_pk_min_f16 v106, v48, v80
	v_pk_min_f16 v48, 0x7c00, v55 op_sel_hi:[0,1]
	v_pk_add_f16 v58, v27, v15
	v_pk_add_f16 v66, v9, v31
	v_pk_add_f16 v67, v11, v31
	v_pk_add_f16 v83, v18, v16
	v_pk_add_f16 v84, v20, v16
	v_pk_add_f16 v89, v10, v30
	v_pk_add_f16 v90, v12, v30
	v_pk_add_f16 v91, v18, v30
	v_pk_add_f16 v92, v20, v30
	v_pk_add_f16 v93, v22, v30
	v_pk_add_f16 v107, v24, v30
	v_pk_add_f16 v108, v26, v30
	v_pk_add_f16 v30, v28, v30
	v_pk_min_f16 v119, v37, v73
	v_pk_min_f16 v116, v46, v76
	v_pk_min_f16 v37, 0x7c00, v47 op_sel_hi:[0,1]
	v_pk_min_f16 v47, v38, v78
	v_pk_min_f16 v46, v39, v79
	v_pk_min_f16 v38, 0x7c00, v53 op_sel_hi:[0,1]
	v_pk_min_f16 v39, 0x7c00, v54 op_sel_hi:[0,1]
	v_pk_min_f16 v101, v48, v85
	v_pk_min_f16 v48, 0x7c00, v60 op_sel_hi:[0,1]
	v_pk_min_f16 v29, 0x7c00, v29 op_sel_hi:[0,1]
	v_pk_add_f16 v51, v9, v15
	v_pk_add_f16 v52, v11, v15
	;; [unrolled: 1-line block ×14, first 2 shown]
	ds_load_2addr_b64 v[13:16], v44 offset0:192 offset1:224
	v_pk_min_f16 v103, v38, v83
	v_pk_min_f16 v102, v39, v84
	v_pk_min_f16 v38, 0x7c00, v58 op_sel_hi:[0,1]
	v_pk_min_f16 v39, 0x7c00, v59 op_sel_hi:[0,1]
	v_pk_min_f16 v96, v48, v90
	v_pk_min_f16 v90, v29, v30
	v_pk_min_f16 v29, 0x7c00, v66 op_sel_hi:[0,1]
	v_pk_min_f16 v30, 0x7c00, v67 op_sel_hi:[0,1]
	v_pk_add_f16 v68, v17, v31
	v_pk_add_f16 v69, v19, v31
	;; [unrolled: 1-line block ×6, first 2 shown]
	s_waitcnt lgkmcnt(1)
	v_pk_add_f16 v123, v17, v33
	v_pk_add_f16 v124, v19, v33
	v_pk_min_f16 v98, v38, v88
	v_pk_min_f16 v97, v39, v89
	;; [unrolled: 1-line block ×4, first 2 shown]
	v_pk_min_f16 v29, 0x7c00, v71 op_sel_hi:[0,1]
	v_pk_min_f16 v30, 0x7c00, v72 op_sel_hi:[0,1]
	v_pk_add_f16 v112, v18, v32
	v_pk_add_f16 v113, v20, v32
	;; [unrolled: 1-line block ×13, first 2 shown]
	v_pk_min_f16 v109, v37, v77
	v_pk_min_f16 v37, 0x7c00, v52 op_sel_hi:[0,1]
	v_pk_min_f16 v31, 0x7c00, v31 op_sel_hi:[0,1]
	v_pk_min_f16 v84, v29, v115
	v_pk_min_f16 v83, v30, v120
	v_pk_min_f16 v29, 0x7c00, v123 op_sel_hi:[0,1]
	v_pk_min_f16 v30, 0x7c00, v124 op_sel_hi:[0,1]
	v_pk_add_f16 v129, v11, v35
	v_pk_add_f16 v130, v17, v35
	v_pk_add_f16 v131, v19, v35
	v_pk_add_f16 v132, v21, v35
	v_pk_add_f16 v133, v23, v35
	v_pk_add_f16 v134, v25, v35
	v_pk_add_f16 v35, v27, v35
	v_pk_add_f16 v135, v10, v34
	v_pk_add_f16 v136, v12, v34
	v_pk_add_f16 v139, v22, v34
	v_pk_add_f16 v140, v24, v34
	v_pk_add_f16 v141, v26, v34
	v_pk_add_f16 v34, v28, v34
	v_pk_add_f16 v142, v10, v36
	v_pk_min_f16 v104, v37, v82
	v_pk_min_f16 v37, 0x7c00, v57 op_sel_hi:[0,1]
	v_pk_min_f16 v82, v31, v32
	v_pk_min_f16 v31, 0x7c00, v125 op_sel_hi:[0,1]
	v_pk_min_f16 v32, 0x7c00, v126 op_sel_hi:[0,1]
	v_pk_min_f16 v78, v29, v137
	v_pk_min_f16 v77, v30, v138
	v_pk_min_f16 v29, 0x7c00, v33 op_sel_hi:[0,1]
	v_pk_min_f16 v30, 0x7c00, v128 op_sel_hi:[0,1]
	v_pk_add_f16 v143, v12, v36
	v_pk_add_f16 v144, v18, v36
	;; [unrolled: 1-line block ×7, first 2 shown]
	v_pk_min_f16 v49, 0x7c00, v51 op_sel_hi:[0,1]
	v_pk_min_f16 v99, v37, v87
	v_pk_min_f16 v37, 0x7c00, v62 op_sel_hi:[0,1]
	v_pk_min_f16 v38, 0x7c00, v63 op_sel_hi:[0,1]
	v_pk_min_f16 v39, 0x7c00, v64 op_sel_hi:[0,1]
	v_pk_min_f16 v76, v31, v139
	v_pk_min_f16 v75, v32, v140
	v_pk_min_f16 v31, 0x7c00, v129 op_sel_hi:[0,1]
	v_pk_min_f16 v32, 0x7c00, v130 op_sel_hi:[0,1]
	;; [unrolled: 1-line block ×4, first 2 shown]
	v_pk_min_f16 v73, v29, v34
	s_waitcnt lgkmcnt(0)
	v_pk_add_f16 v29, v17, v13
	v_pk_min_f16 v71, v30, v142
	v_pk_add_f16 v30, v19, v13
	v_pk_add_f16 v149, v9, v13
	;; [unrolled: 1-line block ×4, first 2 shown]
	v_pk_min_f16 v105, v49, v81
	v_pk_min_f16 v49, 0x7c00, v56 op_sel_hi:[0,1]
	v_pk_min_f16 v94, v37, v92
	v_pk_min_f16 v93, v38, v93
	;; [unrolled: 1-line block ×3, first 2 shown]
	v_pk_min_f16 v37, 0x7c00, v68 op_sel_hi:[0,1]
	v_pk_min_f16 v38, 0x7c00, v69 op_sel_hi:[0,1]
	;; [unrolled: 1-line block ×3, first 2 shown]
	v_pk_min_f16 v70, v31, v143
	v_pk_add_f16 v31, v21, v13
	v_pk_min_f16 v69, v32, v144
	v_pk_add_f16 v32, v23, v13
	;; [unrolled: 2-line block ×3, first 2 shown]
	v_pk_min_f16 v29, 0x7c00, v29 op_sel_hi:[0,1]
	v_pk_min_f16 v30, 0x7c00, v30 op_sel_hi:[0,1]
	v_pk_add_f16 v13, v27, v13
	v_pk_min_f16 v64, v35, v36
	v_pk_add_f16 v34, v18, v14
	v_pk_add_f16 v35, v20, v14
	;; [unrolled: 1-line block ×6, first 2 shown]
	v_pk_min_f16 v100, v49, v86
	v_pk_min_f16 v49, 0x7c00, v61 op_sel_hi:[0,1]
	v_pk_min_f16 v87, v37, v112
	v_pk_min_f16 v37, 0x7c00, v121 op_sel_hi:[0,1]
	v_pk_add_f16 v17, v17, v15
	v_pk_min_f16 v13, 0x7c00, v13 op_sel_hi:[0,1]
	v_pk_min_f16 v9, 0x7c00, v9 op_sel_hi:[0,1]
	v_pk_add_f16 v36, v22, v14
	v_pk_min_f16 v61, v29, v34
	v_pk_add_f16 v29, v24, v14
	v_pk_min_f16 v60, v30, v35
	v_pk_add_f16 v30, v26, v14
	v_pk_add_f16 v14, v28, v14
	;; [unrolled: 1-line block ×3, first 2 shown]
	v_pk_min_f16 v48, 0x7c00, v65 op_sel_hi:[0,1]
	v_pk_min_f16 v86, v38, v113
	v_pk_min_f16 v38, 0x7c00, v122 op_sel_hi:[0,1]
	v_pk_min_f16 v81, v37, v135
	v_pk_min_f16 v37, 0x7c00, v127 op_sel_hi:[0,1]
	v_pk_add_f16 v19, v19, v15
	v_pk_min_f16 v11, 0x7c00, v11 op_sel_hi:[0,1]
	v_pk_min_f16 v17, 0x7c00, v17 op_sel_hi:[0,1]
	v_pk_add_f16 v21, v21, v15
	v_pk_add_f16 v23, v23, v15
	v_pk_min_f16 v56, v13, v14
	v_pk_add_f16 v13, v25, v15
	v_pk_min_f16 v55, v9, v10
	v_pk_add_f16 v9, v27, v15
	v_pk_add_f16 v10, v18, v16
	v_pk_min_f16 v95, v49, v91
	v_pk_min_f16 v91, v48, v108
	;; [unrolled: 1-line block ×5, first 2 shown]
	v_pk_min_f16 v37, 0x7c00, v132 op_sel_hi:[0,1]
	v_pk_min_f16 v38, 0x7c00, v133 op_sel_hi:[0,1]
	;; [unrolled: 1-line block ×9, first 2 shown]
	v_pk_min_f16 v54, v11, v12
	v_pk_min_f16 v11, 0x7c00, v21 op_sel_hi:[0,1]
	v_pk_min_f16 v12, 0x7c00, v23 op_sel_hi:[0,1]
	;; [unrolled: 1-line block ×4, first 2 shown]
	v_pk_min_f16 v53, v17, v10
	v_pk_add_f16 v10, v20, v16
	v_pk_add_f16 v14, v22, v16
	;; [unrolled: 1-line block ×5, first 2 shown]
	v_pk_min_f16 v67, v37, v146
	v_pk_min_f16 v66, v38, v147
	;; [unrolled: 1-line block ×13, first 2 shown]
	ds_store_b16 v45, v6 offset:2048
	ds_store_b16 v45, v5 offset:2560
	;; [unrolled: 1-line block ×5, first 2 shown]
	s_waitcnt lgkmcnt(0)
	s_barrier
	buffer_gl0_inv
	s_cbranch_scc1 .LBB223_52
; %bb.30:
	v_add_nc_u32_e32 v4, v44, v40
	v_lshlrev_b64 v[0:1], 1, v[0:1]
	v_or_b32_e32 v72, 0x1000, v45
	v_add_nc_u32_e32 v79, 0x1000, v43
	v_add_nc_u32_e32 v107, 0x1200, v45
	v_lshrrev_b32_e32 v4, 6, v4
	v_or_b32_e32 v108, 0x800, v45
	v_add_co_u32 v110, s6, s8, v0
	s_delay_alu instid0(VALU_DEP_1) | instskip(NEXT) | instid1(VALU_DEP_4)
	v_add_co_ci_u32_e64 v111, s6, s9, v1, s6
	v_add_nc_u32_e32 v8, 8, v4
	v_add_nc_u32_e32 v12, 12, v4
	v_lshlrev_b64 v[0:1], 1, v[2:3]
	v_lshl_add_u32 v112, v40, 3, 0x1200
	v_add_nc_u32_e32 v113, 0x800, v44
	v_mad_i64_i32 v[4:5], null, v8, s22, 0
	v_mad_i64_i32 v[6:7], null, v8, s14, 0
	;; [unrolled: 1-line block ×4, first 2 shown]
	v_add_co_u32 v114, s6, s20, v0
	v_lshlrev_b64 v[32:33], 1, v[4:5]
	v_lshlrev_b64 v[34:35], 1, v[6:7]
	;; [unrolled: 1-line block ×3, first 2 shown]
	v_add_co_ci_u32_e64 v115, s6, s21, v1, s6
	v_lshlrev_b64 v[38:39], 1, v[10:11]
	s_add_i32 s27, s18, -8
	s_lshl_b64 s[8:9], s[22:23], 4
	s_lshl_b64 s[14:15], s[14:15], 4
	s_mov_b32 s20, 0
	s_branch .LBB223_32
.LBB223_31:                             ;   in Loop: Header=BB223_32 Depth=1
	s_or_b32 exec_lo, exec_lo, s7
	ds_load_2addr_b64 v[125:128], v79 offset1:8
	ds_load_2addr_b64 v[84:87], v44 offset1:32
	ds_load_2addr_b64 v[129:132], v79 offset0:16 offset1:24
	ds_load_2addr_b64 v[133:136], v79 offset0:32 offset1:40
	;; [unrolled: 1-line block ×6, first 2 shown]
	v_pk_max_f16 v11, v82, v82
	v_pk_max_f16 v15, v80, v80
	;; [unrolled: 1-line block ×13, first 2 shown]
	s_waitcnt lgkmcnt(6)
	v_pk_add_f16 v80, v125, v84
	v_pk_add_f16 v81, v127, v84
	s_waitcnt lgkmcnt(5)
	v_pk_add_f16 v82, v129, v84
	v_pk_add_f16 v83, v131, v84
	v_pk_max_f16 v66, v66, v66
	v_pk_min_f16 v11, v11, v80
	v_pk_min_f16 v15, v15, v81
	;; [unrolled: 1-line block ×4, first 2 shown]
	v_pk_add_f16 v80, v125, v86
	v_pk_add_f16 v81, v127, v86
	;; [unrolled: 1-line block ×4, first 2 shown]
	v_pk_max_f16 v57, v57, v57
	v_pk_min_f16 v67, v67, v80
	v_pk_min_f16 v75, v75, v81
	;; [unrolled: 1-line block ×4, first 2 shown]
	s_waitcnt lgkmcnt(4)
	v_pk_add_f16 v80, v135, v86
	s_waitcnt lgkmcnt(3)
	v_pk_add_f16 v81, v137, v86
	v_pk_add_f16 v82, v139, v86
	s_waitcnt lgkmcnt(2)
	v_pk_add_f16 v83, v125, v141
	v_pk_max_f16 v65, v65, v65
	v_pk_min_f16 v62, v62, v80
	v_pk_min_f16 v70, v70, v81
	;; [unrolled: 1-line block ×4, first 2 shown]
	v_pk_add_f16 v80, v129, v141
	v_pk_add_f16 v81, v131, v141
	;; [unrolled: 1-line block ×3, first 2 shown]
	v_pk_max_f16 v63, v63, v63
	v_pk_add_f16 v83, v135, v141
	v_pk_max_f16 v61, v61, v61
	v_pk_add_f16 v88, v133, v84
	v_pk_add_f16 v89, v135, v84
	;; [unrolled: 1-line block ×4, first 2 shown]
	v_pk_max_f16 v74, v74, v74
	v_pk_min_f16 v57, v57, v80
	v_pk_min_f16 v65, v65, v81
	v_pk_min_f16 v63, v63, v82
	v_pk_min_f16 v61, v61, v83
	v_pk_add_f16 v80, v139, v141
	v_pk_max_f16 v52, v52, v52
	v_pk_add_f16 v81, v125, v143
	v_pk_max_f16 v60, v60, v60
	;; [unrolled: 2-line block ×4, first 2 shown]
	v_pk_min_f16 v74, v74, v84
	v_pk_add_f16 v84, v133, v86
	v_pk_max_f16 v69, v69, v69
	v_pk_min_f16 v52, v52, v80
	v_pk_min_f16 v60, v60, v81
	v_pk_min_f16 v58, v58, v82
	v_pk_min_f16 v56, v56, v83
	v_pk_add_f16 v80, v133, v143
	v_pk_max_f16 v47, v47, v47
	v_pk_add_f16 v81, v135, v143
	v_pk_max_f16 v55, v55, v55
	;; [unrolled: 2-line block ×4, first 2 shown]
	v_pk_min_f16 v69, v69, v84
	v_pk_add_f16 v84, v127, v141
	v_pk_max_f16 v64, v64, v64
	v_pk_min_f16 v80, v47, v80
	v_pk_min_f16 v55, v55, v81
	;; [unrolled: 1-line block ×4, first 2 shown]
	s_waitcnt lgkmcnt(1)
	v_pk_add_f16 v47, v127, v145
	v_pk_max_f16 v28, v28, v28
	v_pk_add_f16 v81, v129, v145
	v_pk_max_f16 v50, v50, v50
	;; [unrolled: 2-line block ×4, first 2 shown]
	v_pk_min_f16 v64, v64, v84
	v_pk_add_f16 v84, v137, v141
	v_pk_min_f16 v28, v28, v47
	v_pk_min_f16 v50, v50, v81
	;; [unrolled: 1-line block ×4, first 2 shown]
	v_pk_add_f16 v47, v139, v145
	v_pk_max_f16 v31, v31, v31
	v_pk_add_f16 v81, v125, v147
	v_pk_max_f16 v29, v29, v29
	;; [unrolled: 2-line block ×5, first 2 shown]
	v_pk_min_f16 v31, v31, v47
	v_pk_min_f16 v29, v29, v81
	;; [unrolled: 1-line block ×4, first 2 shown]
	v_pk_add_f16 v47, v133, v147
	v_pk_max_f16 v26, v26, v26
	v_pk_add_f16 v81, v135, v147
	v_pk_max_f16 v23, v23, v23
	v_pk_add_f16 v82, v137, v147
	v_pk_max_f16 v22, v22, v22
	v_pk_add_f16 v83, v139, v147
	v_pk_max_f16 v20, v20, v20
	v_pk_min_f16 v24, v24, v46
	v_pk_add_f16 v46, v131, v147
	v_pk_max_f16 v16, v16, v16
	v_pk_min_f16 v26, v26, v47
	v_pk_min_f16 v23, v23, v81
	;; [unrolled: 1-line block ×4, first 2 shown]
	s_waitcnt lgkmcnt(0)
	v_pk_add_f16 v47, v127, v149
	v_pk_max_f16 v21, v21, v21
	v_pk_add_f16 v81, v129, v149
	v_pk_max_f16 v18, v18, v18
	;; [unrolled: 2-line block ×4, first 2 shown]
	v_pk_min_f16 v16, v16, v46
	v_pk_add_f16 v46, v125, v149
	v_pk_max_f16 v10, v10, v10
	v_pk_min_f16 v21, v21, v47
	v_pk_min_f16 v18, v18, v81
	;; [unrolled: 1-line block ×4, first 2 shown]
	v_pk_add_f16 v47, v137, v149
	v_pk_max_f16 v13, v13, v13
	v_pk_add_f16 v81, v139, v149
	v_pk_max_f16 v9, v9, v9
	;; [unrolled: 2-line block ×4, first 2 shown]
	v_pk_min_f16 v10, v10, v46
	v_pk_add_f16 v46, v135, v149
	v_pk_max_f16 v4, v4, v4
	v_pk_min_f16 v13, v13, v47
	v_pk_min_f16 v9, v9, v81
	;; [unrolled: 1-line block ×4, first 2 shown]
	v_pk_add_f16 v47, v131, v151
	v_pk_max_f16 v7, v7, v7
	v_pk_add_f16 v81, v133, v151
	v_pk_max_f16 v5, v5, v5
	;; [unrolled: 2-line block ×4, first 2 shown]
	v_pk_max_f16 v78, v78, v78
	v_pk_min_f16 v4, v4, v46
	v_pk_add_f16 v46, v129, v151
	v_pk_max_f16 v2, v2, v2
	v_pk_min_f16 v7, v7, v47
	v_pk_min_f16 v5, v5, v81
	;; [unrolled: 1-line block ×4, first 2 shown]
	v_pk_add_f16 v47, v126, v85
	v_pk_add_f16 v81, v128, v85
	v_pk_add_f16 v82, v130, v85
	v_pk_add_f16 v83, v132, v85
	v_pk_min_f16 v76, v76, v88
	v_pk_min_f16 v77, v77, v89
	;; [unrolled: 1-line block ×4, first 2 shown]
	v_pk_add_f16 v46, v139, v151
	v_pk_max_f16 v0, v0, v0
	v_pk_min_f16 v119, v11, v47
	v_pk_min_f16 v118, v15, v81
	;; [unrolled: 1-line block ×4, first 2 shown]
	v_pk_add_f16 v11, v134, v85
	v_pk_add_f16 v15, v136, v85
	;; [unrolled: 1-line block ×5, first 2 shown]
	v_pk_min_f16 v0, v0, v46
	v_pk_min_f16 v109, v76, v11
	;; [unrolled: 1-line block ×6, first 2 shown]
	v_pk_add_f16 v11, v128, v87
	v_pk_add_f16 v15, v130, v87
	;; [unrolled: 1-line block ×5, first 2 shown]
	v_pk_max_f16 v59, v59, v59
	v_pk_min_f16 v104, v75, v11
	v_pk_min_f16 v103, v73, v15
	v_pk_min_f16 v102, v71, v17
	v_pk_min_f16 v101, v69, v19
	v_pk_min_f16 v100, v62, v67
	v_pk_add_f16 v11, v138, v87
	v_pk_add_f16 v15, v140, v87
	v_pk_add_f16 v17, v126, v142
	v_pk_add_f16 v19, v128, v142
	v_pk_add_f16 v62, v130, v142
	v_pk_min_f16 v59, v59, v84
	v_pk_add_f16 v84, v131, v143
	v_pk_max_f16 v54, v54, v54
	v_pk_min_f16 v99, v70, v11
	v_pk_min_f16 v98, v68, v15
	v_pk_min_f16 v97, v66, v17
	v_pk_min_f16 v96, v64, v19
	v_pk_min_f16 v95, v57, v62
	v_pk_add_f16 v11, v132, v142
	v_pk_add_f16 v15, v134, v142
	v_pk_add_f16 v17, v136, v142
	v_pk_add_f16 v19, v138, v142
	v_pk_add_f16 v57, v140, v142
	v_pk_min_f16 v54, v54, v84
	v_pk_add_f16 v84, v125, v145
	;; [unrolled: 13-line block ×3, first 2 shown]
	v_pk_max_f16 v30, v30, v30
	v_pk_min_f16 v89, v60, v11
	v_pk_min_f16 v88, v58, v15
	;; [unrolled: 1-line block ×5, first 2 shown]
	v_pk_add_f16 v11, v136, v144
	v_pk_add_f16 v15, v138, v144
	;; [unrolled: 1-line block ×5, first 2 shown]
	v_pk_min_f16 v30, v30, v84
	v_pk_min_f16 v84, v55, v11
	;; [unrolled: 1-line block ×6, first 2 shown]
	v_pk_add_f16 v11, v130, v146
	v_pk_add_f16 v15, v132, v146
	v_pk_add_f16 v17, v134, v146
	v_pk_add_f16 v19, v136, v146
	v_pk_add_f16 v28, v138, v146
	v_pk_min_f16 v78, v50, v11
	v_pk_min_f16 v77, v48, v15
	v_pk_min_f16 v76, v141, v17
	v_pk_min_f16 v75, v30, v19
	v_pk_min_f16 v74, v24, v28
	v_pk_add_f16 v11, v140, v146
	v_pk_add_f16 v15, v126, v148
	v_pk_add_f16 v17, v128, v148
	v_pk_add_f16 v19, v130, v148
	v_pk_add_f16 v24, v132, v148
	v_pk_min_f16 v73, v31, v11
	v_pk_min_f16 v71, v29, v15
	v_pk_min_f16 v70, v27, v17
	v_pk_min_f16 v69, v25, v19
	v_pk_min_f16 v68, v16, v24
	;; [unrolled: 10-line block ×5, first 2 shown]
	v_pk_add_f16 v2, v132, v152
	v_pk_add_f16 v4, v134, v152
	;; [unrolled: 1-line block ×5, first 2 shown]
	v_add_co_u32 v110, s6, v110, s8
	s_delay_alu instid0(VALU_DEP_1)
	v_add_co_ci_u32_e64 v111, s6, s9, v111, s6
	v_add_co_u32 v114, s6, v114, s14
	v_pk_min_f16 v52, v7, v2
	v_pk_min_f16 v51, v5, v4
	;; [unrolled: 1-line block ×5, first 2 shown]
	v_add_co_ci_u32_e64 v115, s6, s15, v115, s6
	s_add_i32 s20, s20, 8
	s_waitcnt vmcnt(0)
	ds_store_b16 v107, v120
	ds_store_b16 v108, v122
	ds_store_b16 v108, v121 offset:512
	ds_store_b16 v108, v124 offset:1024
	;; [unrolled: 1-line block ×3, first 2 shown]
	s_cmp_ge_i32 s20, s27
	s_waitcnt lgkmcnt(0)
	s_barrier
	buffer_gl0_inv
	s_cbranch_scc1 .LBB223_52
.LBB223_32:                             ; =>This Inner Loop Header: Depth=1
	v_dual_mov_b32 v122, 0x7c00 :: v_dual_add_nc_u32 v121, s20, v42
	s_delay_alu instid0(VALU_DEP_1) | instskip(NEXT) | instid1(VALU_DEP_1)
	v_dual_mov_b32 v123, 0x7c00 :: v_dual_add_nc_u32 v0, 8, v121
	v_cmp_le_i32_e64 s6, s18, v0
	s_delay_alu instid0(VALU_DEP_1) | instskip(NEXT) | instid1(SALU_CYCLE_1)
	s_or_b32 s7, vcc_lo, s6
	s_xor_b32 s7, s7, -1
	s_delay_alu instid0(SALU_CYCLE_1)
	s_and_saveexec_b32 s21, s7
	s_cbranch_execz .LBB223_34
; %bb.33:                               ;   in Loop: Header=BB223_32 Depth=1
	v_add_co_u32 v0, s7, v110, v32
	s_delay_alu instid0(VALU_DEP_1)
	v_add_co_ci_u32_e64 v1, s7, v111, v33, s7
	flat_load_u16 v123, v[0:1]
.LBB223_34:                             ;   in Loop: Header=BB223_32 Depth=1
	s_or_b32 exec_lo, exec_lo, s21
	s_or_b32 s7, s2, s6
	s_delay_alu instid0(SALU_CYCLE_1) | instskip(NEXT) | instid1(SALU_CYCLE_1)
	s_xor_b32 s7, s7, -1
	s_and_saveexec_b32 s21, s7
	s_cbranch_execz .LBB223_36
; %bb.35:                               ;   in Loop: Header=BB223_32 Depth=1
	v_add_co_u32 v0, s7, v114, v34
	s_delay_alu instid0(VALU_DEP_1)
	v_add_co_ci_u32_e64 v1, s7, v115, v35, s7
	flat_load_u16 v122, v[0:1]
.LBB223_36:                             ;   in Loop: Header=BB223_32 Depth=1
	s_or_b32 exec_lo, exec_lo, s21
	v_dual_mov_b32 v124, 0x7c00 :: v_dual_mov_b32 v125, 0x7c00
	s_or_b32 s7, s3, s6
	s_delay_alu instid0(SALU_CYCLE_1) | instskip(NEXT) | instid1(SALU_CYCLE_1)
	s_xor_b32 s7, s7, -1
	s_and_saveexec_b32 s21, s7
	s_cbranch_execz .LBB223_38
; %bb.37:                               ;   in Loop: Header=BB223_32 Depth=1
	v_add_co_u32 v0, s7, v114, v34
	s_delay_alu instid0(VALU_DEP_1)
	v_add_co_ci_u32_e64 v1, s7, v115, v35, s7
	flat_load_u16 v125, v[0:1] offset:128
.LBB223_38:                             ;   in Loop: Header=BB223_32 Depth=1
	s_or_b32 exec_lo, exec_lo, s21
	s_or_b32 s7, s4, s6
	s_delay_alu instid0(SALU_CYCLE_1) | instskip(NEXT) | instid1(SALU_CYCLE_1)
	s_xor_b32 s7, s7, -1
	s_and_saveexec_b32 s21, s7
	s_cbranch_execz .LBB223_40
; %bb.39:                               ;   in Loop: Header=BB223_32 Depth=1
	v_add_co_u32 v0, s7, v114, v34
	s_delay_alu instid0(VALU_DEP_1)
	v_add_co_ci_u32_e64 v1, s7, v115, v35, s7
	flat_load_u16 v124, v[0:1] offset:256
.LBB223_40:                             ;   in Loop: Header=BB223_32 Depth=1
	s_or_b32 exec_lo, exec_lo, s21
	v_mov_b32_e32 v120, 0x7c00
	v_mov_b32_e32 v126, 0x7c00
	s_or_b32 s6, s5, s6
	s_delay_alu instid0(SALU_CYCLE_1) | instskip(NEXT) | instid1(SALU_CYCLE_1)
	s_xor_b32 s6, s6, -1
	s_and_saveexec_b32 s7, s6
	s_cbranch_execz .LBB223_42
; %bb.41:                               ;   in Loop: Header=BB223_32 Depth=1
	v_add_co_u32 v0, s6, v114, v34
	s_delay_alu instid0(VALU_DEP_1)
	v_add_co_ci_u32_e64 v1, s6, v115, v35, s6
	flat_load_u16 v126, v[0:1] offset:384
.LBB223_42:                             ;   in Loop: Header=BB223_32 Depth=1
	s_or_b32 exec_lo, exec_lo, s7
	ds_load_2addr_b64 v[12:15], v112 offset1:8
	ds_load_2addr_b64 v[8:11], v112 offset0:16 offset1:24
	ds_load_2addr_b64 v[4:7], v112 offset0:32 offset1:40
	;; [unrolled: 1-line block ×3, first 2 shown]
	ds_load_2addr_b64 v[28:31], v113 offset1:32
	ds_load_2addr_b64 v[24:27], v113 offset0:64 offset1:96
	ds_load_2addr_b64 v[20:23], v113 offset0:128 offset1:160
	;; [unrolled: 1-line block ×3, first 2 shown]
	v_add_nc_u32_e32 v121, 12, v121
	s_waitcnt vmcnt(0) lgkmcnt(8)
	ds_store_b16 v72, v123
	ds_store_b16 v45, v122
	ds_store_b16 v45, v125 offset:512
	ds_store_b16 v45, v124 offset:1024
	;; [unrolled: 1-line block ×3, first 2 shown]
	s_waitcnt lgkmcnt(0)
	s_barrier
	buffer_gl0_inv
	v_cmp_le_i32_e64 s6, s18, v121
	s_delay_alu instid0(VALU_DEP_1) | instskip(NEXT) | instid1(SALU_CYCLE_1)
	s_or_b32 s7, vcc_lo, s6
	s_xor_b32 s7, s7, -1
	s_delay_alu instid0(SALU_CYCLE_1) | instskip(NEXT) | instid1(SALU_CYCLE_1)
	s_and_saveexec_b32 s21, s7
	s_xor_b32 s21, exec_lo, s21
	s_cbranch_execz .LBB223_44
; %bb.43:                               ;   in Loop: Header=BB223_32 Depth=1
	v_add_co_u32 v120, s7, v110, v38
	s_delay_alu instid0(VALU_DEP_1)
	v_add_co_ci_u32_e64 v121, s7, v111, v39, s7
	flat_load_u16 v120, v[120:121]
.LBB223_44:                             ;   in Loop: Header=BB223_32 Depth=1
	s_or_b32 exec_lo, exec_lo, s21
	v_dual_mov_b32 v121, 0x7c00 :: v_dual_mov_b32 v122, 0x7c00
	s_or_b32 s7, s2, s6
	s_delay_alu instid0(SALU_CYCLE_1) | instskip(NEXT) | instid1(SALU_CYCLE_1)
	s_xor_b32 s7, s7, -1
	s_and_saveexec_b32 s21, s7
	s_cbranch_execz .LBB223_46
; %bb.45:                               ;   in Loop: Header=BB223_32 Depth=1
	v_add_co_u32 v122, s7, v114, v36
	s_delay_alu instid0(VALU_DEP_1)
	v_add_co_ci_u32_e64 v123, s7, v115, v37, s7
	flat_load_u16 v122, v[122:123]
.LBB223_46:                             ;   in Loop: Header=BB223_32 Depth=1
	s_or_b32 exec_lo, exec_lo, s21
	s_or_b32 s7, s3, s6
	s_delay_alu instid0(SALU_CYCLE_1) | instskip(NEXT) | instid1(SALU_CYCLE_1)
	s_xor_b32 s7, s7, -1
	s_and_saveexec_b32 s21, s7
	s_cbranch_execz .LBB223_48
; %bb.47:                               ;   in Loop: Header=BB223_32 Depth=1
	v_add_co_u32 v123, s7, v114, v36
	s_delay_alu instid0(VALU_DEP_1)
	v_add_co_ci_u32_e64 v124, s7, v115, v37, s7
	flat_load_u16 v121, v[123:124] offset:128
.LBB223_48:                             ;   in Loop: Header=BB223_32 Depth=1
	s_or_b32 exec_lo, exec_lo, s21
	v_dual_mov_b32 v123, 0x7c00 :: v_dual_mov_b32 v124, 0x7c00
	s_or_b32 s7, s4, s6
	s_delay_alu instid0(SALU_CYCLE_1) | instskip(NEXT) | instid1(SALU_CYCLE_1)
	s_xor_b32 s7, s7, -1
	s_and_saveexec_b32 s21, s7
	s_cbranch_execz .LBB223_50
; %bb.49:                               ;   in Loop: Header=BB223_32 Depth=1
	v_add_co_u32 v124, s7, v114, v36
	s_delay_alu instid0(VALU_DEP_1)
	v_add_co_ci_u32_e64 v125, s7, v115, v37, s7
	flat_load_u16 v124, v[124:125] offset:256
.LBB223_50:                             ;   in Loop: Header=BB223_32 Depth=1
	s_or_b32 exec_lo, exec_lo, s21
	v_pk_add_f16 v125, v12, v28
	v_pk_max_f16 v119, v119, v119
	v_pk_add_f16 v126, v14, v28
	v_pk_max_f16 v118, v118, v118
	;; [unrolled: 2-line block ×3, first 2 shown]
	v_pk_min_f16 v119, v119, v125
	v_pk_add_f16 v125, v10, v28
	v_pk_min_f16 v118, v118, v126
	v_pk_max_f16 v116, v116, v116
	v_pk_min_f16 v117, v117, v127
	v_pk_add_f16 v126, v4, v28
	v_pk_add_f16 v127, v6, v28
	;; [unrolled: 1-line block ×4, first 2 shown]
	v_pk_max_f16 v106, v106, v106
	v_pk_max_f16 v109, v109, v109
	;; [unrolled: 1-line block ×4, first 2 shown]
	v_pk_min_f16 v116, v116, v125
	v_pk_min_f16 v28, v106, v28
	v_pk_add_f16 v106, v12, v30
	v_pk_max_f16 v105, v105, v105
	v_pk_add_f16 v125, v14, v30
	v_pk_max_f16 v104, v104, v104
	v_pk_min_f16 v109, v109, v126
	v_pk_min_f16 v47, v47, v127
	;; [unrolled: 1-line block ×3, first 2 shown]
	v_pk_add_f16 v126, v8, v30
	v_pk_max_f16 v103, v103, v103
	v_pk_add_f16 v127, v10, v30
	v_pk_max_f16 v102, v102, v102
	v_pk_add_f16 v128, v4, v30
	v_pk_min_f16 v105, v105, v106
	v_pk_min_f16 v104, v104, v125
	v_pk_add_f16 v106, v6, v30
	v_pk_max_f16 v100, v100, v100
	v_pk_add_f16 v125, v0, v30
	v_pk_max_f16 v99, v99, v99
	;; [unrolled: 2-line block ×3, first 2 shown]
	v_pk_min_f16 v103, v103, v126
	v_pk_min_f16 v102, v102, v127
	v_pk_add_f16 v126, v12, v24
	v_pk_max_f16 v97, v97, v97
	v_pk_add_f16 v127, v14, v24
	v_pk_max_f16 v96, v96, v96
	v_pk_min_f16 v100, v100, v106
	v_pk_min_f16 v99, v99, v125
	;; [unrolled: 1-line block ×3, first 2 shown]
	v_pk_add_f16 v98, v8, v24
	v_pk_max_f16 v95, v95, v95
	v_pk_add_f16 v106, v10, v24
	v_pk_max_f16 v94, v94, v94
	;; [unrolled: 2-line block ×3, first 2 shown]
	v_pk_min_f16 v97, v97, v126
	v_pk_min_f16 v96, v96, v127
	v_pk_add_f16 v126, v6, v24
	v_pk_max_f16 v92, v92, v92
	v_pk_add_f16 v127, v0, v24
	v_pk_min_f16 v95, v95, v98
	v_pk_min_f16 v94, v94, v106
	;; [unrolled: 1-line block ×3, first 2 shown]
	v_pk_add_f16 v24, v2, v24
	v_pk_max_f16 v90, v90, v90
	v_pk_add_f16 v98, v12, v26
	v_pk_max_f16 v89, v89, v89
	v_pk_add_f16 v106, v14, v26
	v_pk_max_f16 v88, v88, v88
	v_pk_add_f16 v125, v8, v26
	v_pk_max_f16 v87, v87, v87
	v_pk_min_f16 v92, v92, v126
	v_pk_add_f16 v126, v10, v26
	v_pk_min_f16 v24, v90, v24
	v_pk_min_f16 v89, v89, v98
	v_pk_min_f16 v88, v88, v106
	v_pk_min_f16 v87, v87, v125
	v_pk_add_f16 v90, v4, v26
	v_pk_max_f16 v85, v85, v85
	v_pk_add_f16 v98, v6, v26
	v_pk_max_f16 v84, v84, v84
	;; [unrolled: 2-line block ×5, first 2 shown]
	v_pk_max_f16 v101, v101, v101
	v_pk_max_f16 v91, v91, v91
	v_pk_min_f16 v85, v85, v90
	v_pk_min_f16 v84, v84, v98
	;; [unrolled: 1-line block ×5, first 2 shown]
	v_pk_add_f16 v82, v8, v20
	v_pk_max_f16 v78, v78, v78
	v_pk_add_f16 v83, v10, v20
	v_pk_max_f16 v77, v77, v77
	;; [unrolled: 2-line block ×4, first 2 shown]
	v_pk_min_f16 v101, v101, v128
	v_pk_min_f16 v91, v91, v127
	v_pk_add_f16 v81, v14, v20
	v_pk_min_f16 v127, v78, v82
	v_pk_min_f16 v128, v77, v83
	;; [unrolled: 1-line block ×4, first 2 shown]
	v_pk_add_f16 v75, v0, v20
	v_pk_add_f16 v20, v2, v20
	v_pk_max_f16 v73, v73, v73
	v_pk_add_f16 v76, v12, v22
	v_pk_max_f16 v71, v71, v71
	;; [unrolled: 2-line block ×4, first 2 shown]
	v_pk_min_f16 v20, v73, v20
	v_pk_min_f16 v130, v71, v76
	;; [unrolled: 1-line block ×3, first 2 shown]
	v_pk_add_f16 v70, v4, v22
	v_pk_min_f16 v132, v69, v78
	v_pk_add_f16 v69, v10, v22
	v_pk_max_f16 v67, v67, v67
	v_pk_add_f16 v71, v6, v22
	v_pk_add_f16 v73, v0, v22
	;; [unrolled: 1-line block ×3, first 2 shown]
	v_pk_max_f16 v64, v64, v64
	v_pk_max_f16 v66, v66, v66
	;; [unrolled: 1-line block ×3, first 2 shown]
	v_pk_min_f16 v134, v67, v70
	v_pk_max_f16 v63, v63, v63
	v_pk_min_f16 v137, v64, v22
	v_pk_add_f16 v22, v12, v16
	v_pk_add_f16 v67, v4, v16
	v_pk_max_f16 v59, v59, v59
	v_pk_min_f16 v135, v66, v71
	v_pk_min_f16 v136, v65, v73
	v_pk_add_f16 v64, v14, v16
	v_pk_add_f16 v65, v8, v16
	;; [unrolled: 1-line block ×3, first 2 shown]
	v_pk_min_f16 v138, v63, v22
	v_pk_min_f16 v142, v59, v67
	v_pk_add_f16 v22, v6, v16
	v_pk_max_f16 v58, v58, v58
	v_pk_add_f16 v59, v0, v16
	v_pk_add_f16 v16, v2, v16
	v_pk_max_f16 v56, v56, v56
	v_pk_add_f16 v12, v12, v18
	v_pk_max_f16 v55, v55, v55
	v_pk_min_f16 v143, v58, v22
	v_pk_add_f16 v4, v4, v18
	v_pk_min_f16 v145, v56, v16
	v_pk_max_f16 v16, v51, v51
	v_pk_add_f16 v6, v6, v18
	v_pk_max_f16 v22, v50, v50
	v_pk_add_f16 v14, v14, v18
	v_pk_max_f16 v54, v54, v54
	v_pk_min_f16 v146, v55, v12
	v_pk_add_f16 v8, v8, v18
	v_pk_max_f16 v12, v53, v53
	v_pk_min_f16 v150, v16, v4
	v_pk_min_f16 v151, v22, v6
	v_pk_add_f16 v2, v2, v18
	v_pk_max_f16 v4, v48, v48
	v_pk_add_f16 v6, v13, v29
	v_pk_max_f16 v86, v86, v86
	v_pk_max_f16 v80, v80, v80
	v_pk_min_f16 v147, v54, v14
	v_pk_add_f16 v10, v10, v18
	v_pk_max_f16 v14, v52, v52
	v_pk_min_f16 v148, v12, v8
	v_pk_add_f16 v8, v15, v29
	v_pk_min_f16 v152, v4, v2
	v_pk_min_f16 v82, v119, v6
	v_pk_add_f16 v2, v5, v29
	v_pk_add_f16 v6, v1, v29
	v_pk_min_f16 v86, v86, v126
	v_pk_min_f16 v126, v80, v81
	v_pk_max_f16 v74, v74, v74
	v_pk_min_f16 v149, v14, v10
	v_pk_add_f16 v10, v9, v29
	v_pk_min_f16 v80, v118, v8
	v_pk_add_f16 v4, v7, v29
	v_pk_add_f16 v8, v3, v29
	v_pk_min_f16 v83, v109, v2
	v_pk_min_f16 v78, v46, v6
	v_pk_add_f16 v2, v15, v31
	v_pk_add_f16 v6, v11, v31
	v_pk_min_f16 v129, v74, v75
	v_pk_max_f16 v68, v68, v68
	v_pk_max_f16 v60, v60, v60
	v_pk_min_f16 v77, v117, v10
	v_pk_add_f16 v10, v13, v31
	v_pk_min_f16 v81, v47, v4
	v_pk_min_f16 v74, v28, v8
	v_pk_add_f16 v4, v9, v31
	v_pk_add_f16 v8, v5, v31
	v_pk_min_f16 v75, v104, v2
	v_pk_min_f16 v71, v102, v6
	v_pk_add_f16 v2, v1, v31
	v_pk_add_f16 v6, v13, v25
	v_pk_min_f16 v133, v68, v69
	v_pk_max_f16 v62, v62, v62
	v_pk_max_f16 v61, v61, v61
	v_pk_min_f16 v141, v60, v66
	v_pk_min_f16 v67, v105, v10
	v_pk_add_f16 v10, v7, v31
	v_pk_min_f16 v73, v103, v4
	v_pk_min_f16 v69, v101, v8
	v_pk_add_f16 v4, v3, v31
	v_pk_add_f16 v8, v15, v25
	v_pk_min_f16 v70, v99, v2
	v_pk_min_f16 v66, v97, v6
	v_pk_add_f16 v2, v11, v25
	v_pk_add_f16 v6, v7, v25
	v_pk_min_f16 v139, v62, v64
	v_pk_min_f16 v140, v61, v65
	v_pk_max_f16 v57, v57, v57
	v_pk_min_f16 v62, v100, v10
	v_pk_add_f16 v10, v9, v25
	v_pk_min_f16 v68, v30, v4
	v_pk_min_f16 v64, v96, v8
	v_pk_add_f16 v4, v5, v25
	v_pk_add_f16 v8, v1, v25
	v_pk_min_f16 v65, v94, v2
	v_pk_min_f16 v61, v92, v6
	v_pk_add_f16 v2, v13, v27
	;; [unrolled: 4-line block ×3, first 2 shown]
	v_pk_min_f16 v63, v93, v4
	v_pk_min_f16 v59, v91, v8
	v_pk_add_f16 v4, v15, v27
	v_pk_add_f16 v8, v11, v27
	v_pk_min_f16 v60, v89, v2
	v_pk_min_f16 v56, v87, v6
	v_pk_add_f16 v2, v7, v27
	v_pk_add_f16 v6, v3, v27
	;; [unrolled: 1-line block ×3, first 2 shown]
	v_pk_max_f16 v49, v49, v49
	v_pk_min_f16 v52, v24, v10
	v_pk_add_f16 v10, v5, v27
	v_pk_min_f16 v58, v88, v4
	v_pk_min_f16 v54, v86, v8
	v_pk_add_f16 v4, v1, v27
	v_pk_add_f16 v8, v13, v21
	v_pk_min_f16 v55, v84, v2
	v_pk_min_f16 v51, v26, v6
	v_pk_add_f16 v2, v9, v21
	;; [unrolled: 4-line block ×3, first 2 shown]
	v_pk_min_f16 v53, v90, v4
	v_pk_min_f16 v49, v98, v8
	v_pk_add_f16 v4, v11, v21
	v_pk_add_f16 v8, v7, v21
	v_pk_min_f16 v50, v127, v2
	v_pk_min_f16 v46, v106, v6
	v_pk_add_f16 v2, v3, v21
	v_pk_add_f16 v6, v15, v23
	v_pk_min_f16 v28, v126, v10
	v_pk_add_f16 v10, v1, v21
	v_pk_min_f16 v48, v128, v4
	v_pk_min_f16 v30, v125, v8
	v_pk_add_f16 v4, v13, v23
	v_pk_add_f16 v8, v9, v23
	v_pk_min_f16 v31, v20, v2
	v_pk_min_f16 v27, v131, v6
	v_pk_add_f16 v2, v5, v23
	v_pk_add_f16 v6, v1, v23
	;; [unrolled: 1-line block ×3, first 2 shown]
	v_pk_min_f16 v24, v129, v10
	v_pk_add_f16 v10, v11, v23
	v_pk_min_f16 v29, v130, v4
	v_pk_min_f16 v25, v132, v8
	v_pk_add_f16 v4, v7, v23
	v_pk_add_f16 v8, v3, v23
	v_pk_min_f16 v26, v134, v2
	v_pk_min_f16 v22, v136, v6
	v_pk_add_f16 v2, v15, v17
	v_pk_add_f16 v6, v11, v17
	v_pk_min_f16 v16, v133, v10
	v_pk_add_f16 v10, v13, v17
	v_pk_min_f16 v23, v135, v4
	v_pk_min_f16 v20, v137, v8
	v_pk_add_f16 v4, v9, v17
	v_pk_add_f16 v8, v5, v17
	;; [unrolled: 1-line block ×3, first 2 shown]
	v_pk_min_f16 v21, v139, v2
	v_pk_min_f16 v14, v141, v6
	v_pk_add_f16 v2, v1, v17
	v_pk_add_f16 v6, v3, v17
	;; [unrolled: 1-line block ×4, first 2 shown]
	v_pk_min_f16 v76, v116, v12
	v_pk_min_f16 v12, v142, v8
	v_pk_add_f16 v8, v13, v19
	v_pk_min_f16 v13, v144, v2
	v_pk_min_f16 v9, v145, v6
	;; [unrolled: 1-line block ×4, first 2 shown]
	v_pk_add_f16 v11, v11, v19
	v_pk_add_f16 v5, v5, v19
	;; [unrolled: 1-line block ×5, first 2 shown]
	v_pk_min_f16 v10, v138, v10
	v_pk_min_f16 v18, v140, v4
	;; [unrolled: 1-line block ×9, first 2 shown]
	s_or_b32 s6, s5, s6
	s_delay_alu instid0(SALU_CYCLE_1) | instskip(NEXT) | instid1(SALU_CYCLE_1)
	s_xor_b32 s6, s6, -1
	s_and_saveexec_b32 s7, s6
	s_cbranch_execz .LBB223_31
; %bb.51:                               ;   in Loop: Header=BB223_32 Depth=1
	v_add_co_u32 v84, s6, v114, v36
	s_delay_alu instid0(VALU_DEP_1)
	v_add_co_ci_u32_e64 v85, s6, v115, v37, s6
	flat_load_u16 v123, v[84:85] offset:384
	s_branch .LBB223_31
.LBB223_52:
	s_clause 0x2
	s_load_b32 s14, s[0:1], 0x50
	s_load_b32 s9, s[0:1], 0x68
	s_load_b64 s[2:3], s[0:1], 0x70
	v_add_nc_u32_e32 v0, 0x1000, v43
	v_add_nc_u32_e32 v79, s26, v41
	;; [unrolled: 1-line block ×4, first 2 shown]
	ds_load_2addr_b64 v[16:19], v0 offset0:64 offset1:72
	ds_load_2addr_b64 v[12:15], v0 offset0:80 offset1:88
	;; [unrolled: 1-line block ×4, first 2 shown]
	ds_load_2addr_b64 v[28:31], v4 offset1:32
	ds_load_2addr_b64 v[24:27], v4 offset0:64 offset1:96
	ds_load_2addr_b64 v[20:23], v4 offset0:128 offset1:160
	;; [unrolled: 1-line block ×3, first 2 shown]
	v_cmp_gt_i32_e64 s0, s16, v32
	v_cmp_gt_i32_e64 s8, s17, v79
	v_ashrrev_i32_e32 v33, 31, v32
	v_cndmask_b32_e64 v72, 0, 1, s24
	s_waitcnt lgkmcnt(0)
	v_mad_i64_i32 v[34:35], null, v79, s14, 0
	v_mad_i64_i32 v[36:37], null, v79, s9, 0
	s_lshl_b64 s[2:3], s[2:3], 1
	s_delay_alu instid0(SALU_CYCLE_1) | instskip(SKIP_1) | instid1(VALU_DEP_2)
	s_add_u32 s12, s12, s2
	s_addc_u32 s13, s13, s3
	v_lshlrev_b64 v[34:35], 1, v[34:35]
	s_and_b32 s1, s0, s8
	s_delay_alu instid0(VALU_DEP_2) | instskip(NEXT) | instid1(VALU_DEP_2)
	v_lshlrev_b64 v[36:37], 1, v[36:37]
	v_add_co_u32 v110, vcc_lo, s10, v34
	s_delay_alu instid0(VALU_DEP_3) | instskip(NEXT) | instid1(VALU_DEP_3)
	v_add_co_ci_u32_e32 v111, vcc_lo, s11, v35, vcc_lo
	v_add_co_u32 v107, vcc_lo, s12, v36
	s_delay_alu instid0(VALU_DEP_4) | instskip(SKIP_1) | instid1(SALU_CYCLE_1)
	v_add_co_ci_u32_e32 v108, vcc_lo, s13, v37, vcc_lo
	s_and_saveexec_b32 s2, s1
	s_xor_b32 s1, exec_lo, s2
	s_cbranch_execz .LBB223_57
; %bb.53:
	s_and_not1_b32 vcc_lo, exec_lo, s24
	s_cbranch_vccnz .LBB223_55
; %bb.54:
	v_lshlrev_b64 v[34:35], 1, v[32:33]
	s_delay_alu instid0(VALU_DEP_1) | instskip(NEXT) | instid1(VALU_DEP_2)
	v_add_co_u32 v34, vcc_lo, v110, v34
	v_add_co_ci_u32_e32 v35, vcc_lo, v111, v35, vcc_lo
	flat_load_u16 v34, v[34:35]
	s_waitcnt vmcnt(0) lgkmcnt(0)
	v_mul_f16_e32 v34, s19, v34
	s_branch .LBB223_56
.LBB223_55:
	v_mov_b32_e32 v34, 0
.LBB223_56:
	v_pk_add_f16 v35, v16, v28
	v_pk_max_f16 v36, v119, v119
	v_pk_add_f16 v37, v17, v29
	s_delay_alu instid0(VALU_DEP_2) | instskip(NEXT) | instid1(VALU_DEP_1)
	v_pk_min_f16 v35, v36, v35
	v_pk_min_f16 v37, v35, v37
	v_lshlrev_b64 v[35:36], 1, v[32:33]
	s_delay_alu instid0(VALU_DEP_2) | instskip(NEXT) | instid1(VALU_DEP_1)
	v_lshrrev_b32_e32 v38, 16, v37
	v_min3_f16 v37, v34, v37, v38
	s_delay_alu instid0(VALU_DEP_3) | instskip(NEXT) | instid1(VALU_DEP_4)
	v_add_co_u32 v34, vcc_lo, v107, v35
	v_add_co_ci_u32_e32 v35, vcc_lo, v108, v36, vcc_lo
	global_store_b16 v[34:35], v37, off
.LBB223_57:
	s_or_b32 exec_lo, exec_lo, s1
	v_add_nc_u32_e32 v34, 8, v32
	s_delay_alu instid0(VALU_DEP_1) | instskip(SKIP_1) | instid1(VALU_DEP_2)
	v_cmp_gt_i32_e64 s1, s16, v34
	v_ashrrev_i32_e32 v35, 31, v34
	s_and_b32 s3, s1, s8
	s_delay_alu instid0(SALU_CYCLE_1)
	s_and_saveexec_b32 s2, s3
	s_cbranch_execz .LBB223_62
; %bb.58:
	v_cmp_ne_u32_e32 vcc_lo, 1, v72
	s_cbranch_vccnz .LBB223_60
; %bb.59:
	v_lshlrev_b64 v[36:37], 1, v[34:35]
	s_delay_alu instid0(VALU_DEP_1) | instskip(NEXT) | instid1(VALU_DEP_2)
	v_add_co_u32 v36, vcc_lo, v110, v36
	v_add_co_ci_u32_e32 v37, vcc_lo, v111, v37, vcc_lo
	flat_load_u16 v36, v[36:37]
	s_waitcnt vmcnt(0) lgkmcnt(0)
	v_mul_f16_e32 v36, s19, v36
	s_branch .LBB223_61
.LBB223_60:
	v_mov_b32_e32 v36, 0
.LBB223_61:
	v_pk_add_f16 v37, v18, v28
	v_pk_max_f16 v38, v118, v118
	v_pk_add_f16 v39, v19, v29
	s_delay_alu instid0(VALU_DEP_2) | instskip(NEXT) | instid1(VALU_DEP_1)
	v_pk_min_f16 v37, v38, v37
	v_pk_min_f16 v39, v37, v39
	v_lshlrev_b64 v[37:38], 1, v[34:35]
	s_delay_alu instid0(VALU_DEP_2) | instskip(NEXT) | instid1(VALU_DEP_1)
	v_lshrrev_b32_e32 v40, 16, v39
	v_min3_f16 v39, v36, v39, v40
	s_delay_alu instid0(VALU_DEP_3) | instskip(NEXT) | instid1(VALU_DEP_4)
	v_add_co_u32 v36, vcc_lo, v107, v37
	v_add_co_ci_u32_e32 v37, vcc_lo, v108, v38, vcc_lo
	global_store_b16 v[36:37], v39, off
.LBB223_62:
	s_or_b32 exec_lo, exec_lo, s2
	v_add_nc_u32_e32 v36, 16, v32
	s_delay_alu instid0(VALU_DEP_1) | instskip(SKIP_1) | instid1(VALU_DEP_2)
	v_cmp_gt_i32_e64 s2, s16, v36
	v_ashrrev_i32_e32 v37, 31, v36
	s_and_b32 s4, s2, s8
	s_delay_alu instid0(SALU_CYCLE_1)
	s_and_saveexec_b32 s3, s4
	s_cbranch_execz .LBB223_67
; %bb.63:
	v_cmp_ne_u32_e32 vcc_lo, 1, v72
	s_cbranch_vccnz .LBB223_65
; %bb.64:
	v_lshlrev_b64 v[38:39], 1, v[36:37]
	s_delay_alu instid0(VALU_DEP_1) | instskip(NEXT) | instid1(VALU_DEP_2)
	v_add_co_u32 v38, vcc_lo, v110, v38
	v_add_co_ci_u32_e32 v39, vcc_lo, v111, v39, vcc_lo
	flat_load_u16 v38, v[38:39]
	s_waitcnt vmcnt(0) lgkmcnt(0)
	v_mul_f16_e32 v38, s19, v38
	s_branch .LBB223_66
.LBB223_65:
	v_mov_b32_e32 v38, 0
.LBB223_66:
	v_pk_add_f16 v39, v12, v28
	v_pk_max_f16 v40, v117, v117
	v_pk_add_f16 v41, v13, v29
	s_delay_alu instid0(VALU_DEP_2) | instskip(NEXT) | instid1(VALU_DEP_1)
	v_pk_min_f16 v39, v40, v39
	v_pk_min_f16 v41, v39, v41
	v_lshlrev_b64 v[39:40], 1, v[36:37]
	s_delay_alu instid0(VALU_DEP_2) | instskip(NEXT) | instid1(VALU_DEP_1)
	v_lshrrev_b32_e32 v42, 16, v41
	v_min3_f16 v41, v38, v41, v42
	s_delay_alu instid0(VALU_DEP_3) | instskip(NEXT) | instid1(VALU_DEP_4)
	v_add_co_u32 v38, vcc_lo, v107, v39
	v_add_co_ci_u32_e32 v39, vcc_lo, v108, v40, vcc_lo
	global_store_b16 v[38:39], v41, off
.LBB223_67:
	;; [unrolled: 39-line block ×4, first 2 shown]
	s_or_b32 exec_lo, exec_lo, s5
	v_add_nc_u32_e32 v42, 40, v32
	s_delay_alu instid0(VALU_DEP_1) | instskip(SKIP_1) | instid1(VALU_DEP_2)
	v_cmp_gt_i32_e64 s5, s16, v42
	v_ashrrev_i32_e32 v43, 31, v42
	s_and_b32 s7, s5, s8
	s_delay_alu instid0(SALU_CYCLE_1)
	s_and_saveexec_b32 s6, s7
	s_cbranch_execz .LBB223_82
; %bb.78:
	v_cmp_ne_u32_e32 vcc_lo, 1, v72
	s_cbranch_vccnz .LBB223_80
; %bb.79:
	v_lshlrev_b64 v[44:45], 1, v[42:43]
	s_delay_alu instid0(VALU_DEP_1) | instskip(NEXT) | instid1(VALU_DEP_2)
	v_add_co_u32 v44, vcc_lo, v110, v44
	v_add_co_ci_u32_e32 v45, vcc_lo, v111, v45, vcc_lo
	flat_load_u16 v44, v[44:45]
	s_waitcnt vmcnt(0) lgkmcnt(0)
	v_mul_f16_e32 v44, s19, v44
	s_branch .LBB223_81
.LBB223_80:
	v_mov_b32_e32 v44, 0
.LBB223_81:
	v_pk_add_f16 v45, v10, v28
	v_pk_max_f16 v47, v47, v47
	v_pk_add_f16 v109, v11, v29
	v_lshlrev_b64 v[112:113], 1, v[42:43]
	s_delay_alu instid0(VALU_DEP_3) | instskip(NEXT) | instid1(VALU_DEP_1)
	v_pk_min_f16 v45, v47, v45
	v_pk_min_f16 v45, v45, v109
	s_delay_alu instid0(VALU_DEP_1) | instskip(NEXT) | instid1(VALU_DEP_1)
	v_lshrrev_b32_e32 v47, 16, v45
	v_min3_f16 v47, v44, v45, v47
	v_add_co_u32 v44, vcc_lo, v107, v112
	v_add_co_ci_u32_e32 v45, vcc_lo, v108, v113, vcc_lo
	global_store_b16 v[44:45], v47, off
.LBB223_82:
	s_or_b32 exec_lo, exec_lo, s6
	v_add_nc_u32_e32 v44, 48, v32
	s_delay_alu instid0(VALU_DEP_1) | instskip(SKIP_1) | instid1(VALU_DEP_2)
	v_cmp_gt_i32_e64 s6, s16, v44
	v_ashrrev_i32_e32 v45, 31, v44
	s_and_b32 s15, s6, s8
	s_delay_alu instid0(SALU_CYCLE_1)
	s_and_saveexec_b32 s7, s15
	s_cbranch_execz .LBB223_87
; %bb.83:
	v_cmp_ne_u32_e32 vcc_lo, 1, v72
	s_cbranch_vccnz .LBB223_85
; %bb.84:
	v_lshlrev_b64 v[112:113], 1, v[44:45]
	s_delay_alu instid0(VALU_DEP_1) | instskip(NEXT) | instid1(VALU_DEP_2)
	v_add_co_u32 v112, vcc_lo, v110, v112
	v_add_co_ci_u32_e32 v113, vcc_lo, v111, v113, vcc_lo
	flat_load_u16 v47, v[112:113]
	s_waitcnt vmcnt(0) lgkmcnt(0)
	v_mul_f16_e32 v47, s19, v47
	s_branch .LBB223_86
.LBB223_85:
	v_mov_b32_e32 v47, 0
.LBB223_86:
	v_pk_add_f16 v109, v0, v28
	v_pk_max_f16 v46, v46, v46
	v_pk_add_f16 v112, v1, v29
	s_delay_alu instid0(VALU_DEP_2) | instskip(NEXT) | instid1(VALU_DEP_1)
	v_pk_min_f16 v46, v46, v109
	v_pk_min_f16 v46, v46, v112
	v_lshlrev_b64 v[112:113], 1, v[44:45]
	s_delay_alu instid0(VALU_DEP_2) | instskip(NEXT) | instid1(VALU_DEP_1)
	v_lshrrev_b32_e32 v109, 16, v46
	v_min3_f16 v109, v47, v46, v109
	s_delay_alu instid0(VALU_DEP_3) | instskip(NEXT) | instid1(VALU_DEP_4)
	v_add_co_u32 v46, vcc_lo, v107, v112
	v_add_co_ci_u32_e32 v47, vcc_lo, v108, v113, vcc_lo
	global_store_b16 v[46:47], v109, off
.LBB223_87:
	s_or_b32 exec_lo, exec_lo, s7
	v_add_nc_u32_e32 v46, 56, v32
	s_delay_alu instid0(VALU_DEP_1) | instskip(SKIP_1) | instid1(VALU_DEP_2)
	v_cmp_gt_i32_e64 s7, s16, v46
	v_ashrrev_i32_e32 v47, 31, v46
	s_and_b32 s15, s7, s8
	s_delay_alu instid0(SALU_CYCLE_1)
	s_and_saveexec_b32 s8, s15
	s_cbranch_execz .LBB223_92
; %bb.88:
	v_cmp_ne_u32_e32 vcc_lo, 1, v72
	s_cbranch_vccnz .LBB223_90
; %bb.89:
	v_lshlrev_b64 v[112:113], 1, v[46:47]
	s_delay_alu instid0(VALU_DEP_1) | instskip(NEXT) | instid1(VALU_DEP_2)
	v_add_co_u32 v109, vcc_lo, v110, v112
	v_add_co_ci_u32_e32 v110, vcc_lo, v111, v113, vcc_lo
	flat_load_u16 v109, v[109:110]
	s_waitcnt vmcnt(0) lgkmcnt(0)
	v_mul_f16_e32 v109, s19, v109
	s_branch .LBB223_91
.LBB223_90:
	v_mov_b32_e32 v109, 0
.LBB223_91:
	v_pk_add_f16 v28, v2, v28
	v_pk_max_f16 v106, v106, v106
	v_pk_add_f16 v29, v3, v29
	s_delay_alu instid0(VALU_DEP_2) | instskip(NEXT) | instid1(VALU_DEP_1)
	v_pk_min_f16 v28, v106, v28
	v_pk_min_f16 v106, v28, v29
	v_lshlrev_b64 v[28:29], 1, v[46:47]
	s_delay_alu instid0(VALU_DEP_2) | instskip(NEXT) | instid1(VALU_DEP_2)
	v_lshrrev_b32_e32 v110, 16, v106
	v_add_co_u32 v28, vcc_lo, v107, v28
	s_delay_alu instid0(VALU_DEP_3) | instskip(NEXT) | instid1(VALU_DEP_3)
	v_add_co_ci_u32_e32 v29, vcc_lo, v108, v29, vcc_lo
	v_min3_f16 v106, v109, v106, v110
	global_store_b16 v[28:29], v106, off
.LBB223_92:
	s_or_b32 exec_lo, exec_lo, s8
	v_add_nc_u32_e32 v108, 32, v79
	s_delay_alu instid0(VALU_DEP_1) | instskip(SKIP_2) | instid1(VALU_DEP_3)
	v_mad_i64_i32 v[28:29], null, v108, s14, 0
	v_mad_i64_i32 v[106:107], null, v108, s9, 0
	v_cmp_gt_i32_e64 s8, s17, v108
	v_lshlrev_b64 v[28:29], 1, v[28:29]
	s_delay_alu instid0(VALU_DEP_2) | instskip(NEXT) | instid1(VALU_DEP_3)
	s_and_b32 s16, s0, s8
	v_lshlrev_b64 v[108:109], 1, v[106:107]
	s_delay_alu instid0(VALU_DEP_2) | instskip(NEXT) | instid1(VALU_DEP_3)
	v_add_co_u32 v106, vcc_lo, s10, v28
	v_add_co_ci_u32_e32 v107, vcc_lo, s11, v29, vcc_lo
	s_delay_alu instid0(VALU_DEP_3) | instskip(NEXT) | instid1(VALU_DEP_4)
	v_add_co_u32 v28, vcc_lo, s12, v108
	v_add_co_ci_u32_e32 v29, vcc_lo, s13, v109, vcc_lo
	s_and_saveexec_b32 s15, s16
	s_cbranch_execnz .LBB223_100
; %bb.93:
	s_or_b32 exec_lo, exec_lo, s15
	s_and_b32 s16, s1, s8
	s_delay_alu instid0(SALU_CYCLE_1)
	s_and_saveexec_b32 s15, s16
	s_cbranch_execnz .LBB223_104
.LBB223_94:
	s_or_b32 exec_lo, exec_lo, s15
	s_and_b32 s16, s2, s8
	s_delay_alu instid0(SALU_CYCLE_1)
	s_and_saveexec_b32 s15, s16
	s_cbranch_execnz .LBB223_108
.LBB223_95:
	s_or_b32 exec_lo, exec_lo, s15
	s_and_b32 s16, s3, s8
	s_delay_alu instid0(SALU_CYCLE_1)
	s_and_saveexec_b32 s15, s16
	s_cbranch_execnz .LBB223_112
.LBB223_96:
	s_or_b32 exec_lo, exec_lo, s15
	s_and_b32 s16, s4, s8
	s_delay_alu instid0(SALU_CYCLE_1)
	s_and_saveexec_b32 s15, s16
	s_cbranch_execnz .LBB223_116
.LBB223_97:
	s_or_b32 exec_lo, exec_lo, s15
	s_and_b32 s16, s5, s8
	s_delay_alu instid0(SALU_CYCLE_1)
	s_and_saveexec_b32 s15, s16
	s_cbranch_execnz .LBB223_120
.LBB223_98:
	s_or_b32 exec_lo, exec_lo, s15
	s_and_b32 s16, s6, s8
	s_delay_alu instid0(SALU_CYCLE_1)
	s_and_saveexec_b32 s15, s16
	s_cbranch_execnz .LBB223_124
.LBB223_99:
	s_or_b32 exec_lo, exec_lo, s15
	s_and_b32 s15, s7, s8
	s_delay_alu instid0(SALU_CYCLE_1)
	s_and_saveexec_b32 s8, s15
	s_cbranch_execnz .LBB223_128
	s_branch .LBB223_132
.LBB223_100:
	v_cmp_ne_u32_e32 vcc_lo, 1, v72
	s_cbranch_vccnz .LBB223_102
; %bb.101:
	v_lshlrev_b64 v[108:109], 1, v[32:33]
	s_delay_alu instid0(VALU_DEP_1) | instskip(NEXT) | instid1(VALU_DEP_2)
	v_add_co_u32 v108, vcc_lo, v106, v108
	v_add_co_ci_u32_e32 v109, vcc_lo, v107, v109, vcc_lo
	flat_load_u16 v108, v[108:109]
	s_waitcnt vmcnt(0) lgkmcnt(0)
	v_mul_f16_e32 v108, s19, v108
	s_branch .LBB223_103
.LBB223_102:
	v_mov_b32_e32 v108, 0
.LBB223_103:
	v_pk_add_f16 v109, v16, v30
	v_pk_max_f16 v105, v105, v105
	v_pk_add_f16 v110, v17, v31
	s_delay_alu instid0(VALU_DEP_2) | instskip(NEXT) | instid1(VALU_DEP_1)
	v_pk_min_f16 v105, v105, v109
	v_pk_min_f16 v105, v105, v110
	v_lshlrev_b64 v[109:110], 1, v[32:33]
	s_delay_alu instid0(VALU_DEP_2) | instskip(NEXT) | instid1(VALU_DEP_1)
	v_lshrrev_b32_e32 v111, 16, v105
	v_min3_f16 v105, v108, v105, v111
	s_delay_alu instid0(VALU_DEP_3) | instskip(NEXT) | instid1(VALU_DEP_4)
	v_add_co_u32 v108, vcc_lo, v28, v109
	v_add_co_ci_u32_e32 v109, vcc_lo, v29, v110, vcc_lo
	global_store_b16 v[108:109], v105, off
	s_or_b32 exec_lo, exec_lo, s15
	s_and_b32 s16, s1, s8
	s_delay_alu instid0(SALU_CYCLE_1)
	s_and_saveexec_b32 s15, s16
	s_cbranch_execz .LBB223_94
.LBB223_104:
	v_cmp_ne_u32_e32 vcc_lo, 1, v72
	s_cbranch_vccnz .LBB223_106
; %bb.105:
	v_lshlrev_b64 v[108:109], 1, v[34:35]
	s_delay_alu instid0(VALU_DEP_1) | instskip(NEXT) | instid1(VALU_DEP_2)
	v_add_co_u32 v108, vcc_lo, v106, v108
	v_add_co_ci_u32_e32 v109, vcc_lo, v107, v109, vcc_lo
	flat_load_u16 v105, v[108:109]
	s_waitcnt vmcnt(0) lgkmcnt(0)
	v_mul_f16_e32 v105, s19, v105
	s_branch .LBB223_107
.LBB223_106:
	v_mov_b32_e32 v105, 0
.LBB223_107:
	v_pk_add_f16 v108, v18, v30
	v_pk_max_f16 v104, v104, v104
	v_pk_add_f16 v109, v19, v31
	s_delay_alu instid0(VALU_DEP_2) | instskip(NEXT) | instid1(VALU_DEP_1)
	v_pk_min_f16 v104, v104, v108
	v_pk_min_f16 v104, v104, v109
	v_lshlrev_b64 v[108:109], 1, v[34:35]
	s_delay_alu instid0(VALU_DEP_2) | instskip(NEXT) | instid1(VALU_DEP_1)
	v_lshrrev_b32_e32 v110, 16, v104
	v_min3_f16 v110, v105, v104, v110
	s_delay_alu instid0(VALU_DEP_3) | instskip(NEXT) | instid1(VALU_DEP_4)
	v_add_co_u32 v104, vcc_lo, v28, v108
	v_add_co_ci_u32_e32 v105, vcc_lo, v29, v109, vcc_lo
	global_store_b16 v[104:105], v110, off
	s_or_b32 exec_lo, exec_lo, s15
	s_and_b32 s16, s2, s8
	s_delay_alu instid0(SALU_CYCLE_1)
	s_and_saveexec_b32 s15, s16
	s_cbranch_execz .LBB223_95
.LBB223_108:
	v_cmp_ne_u32_e32 vcc_lo, 1, v72
	s_cbranch_vccnz .LBB223_110
; %bb.109:
	v_lshlrev_b64 v[104:105], 1, v[36:37]
	s_delay_alu instid0(VALU_DEP_1) | instskip(NEXT) | instid1(VALU_DEP_2)
	v_add_co_u32 v104, vcc_lo, v106, v104
	v_add_co_ci_u32_e32 v105, vcc_lo, v107, v105, vcc_lo
	flat_load_u16 v104, v[104:105]
	s_waitcnt vmcnt(0) lgkmcnt(0)
	v_mul_f16_e32 v104, s19, v104
	s_branch .LBB223_111
.LBB223_110:
	v_mov_b32_e32 v104, 0
.LBB223_111:
	v_pk_add_f16 v105, v12, v30
	v_pk_max_f16 v103, v103, v103
	v_pk_add_f16 v108, v13, v31
	s_delay_alu instid0(VALU_DEP_2) | instskip(NEXT) | instid1(VALU_DEP_1)
	v_pk_min_f16 v103, v103, v105
	v_pk_min_f16 v103, v103, v108
	v_lshlrev_b64 v[108:109], 1, v[36:37]
	s_delay_alu instid0(VALU_DEP_2) | instskip(NEXT) | instid1(VALU_DEP_1)
	v_lshrrev_b32_e32 v105, 16, v103
	v_min3_f16 v105, v104, v103, v105
	s_delay_alu instid0(VALU_DEP_3) | instskip(NEXT) | instid1(VALU_DEP_4)
	v_add_co_u32 v103, vcc_lo, v28, v108
	v_add_co_ci_u32_e32 v104, vcc_lo, v29, v109, vcc_lo
	global_store_b16 v[103:104], v105, off
	s_or_b32 exec_lo, exec_lo, s15
	s_and_b32 s16, s3, s8
	s_delay_alu instid0(SALU_CYCLE_1)
	s_and_saveexec_b32 s15, s16
	s_cbranch_execz .LBB223_96
.LBB223_112:
	v_cmp_ne_u32_e32 vcc_lo, 1, v72
	s_cbranch_vccnz .LBB223_114
; %bb.113:
	v_lshlrev_b64 v[103:104], 1, v[38:39]
	s_delay_alu instid0(VALU_DEP_1) | instskip(NEXT) | instid1(VALU_DEP_2)
	v_add_co_u32 v103, vcc_lo, v106, v103
	v_add_co_ci_u32_e32 v104, vcc_lo, v107, v104, vcc_lo
	flat_load_u16 v103, v[103:104]
	s_waitcnt vmcnt(0) lgkmcnt(0)
	v_mul_f16_e32 v103, s19, v103
	s_branch .LBB223_115
.LBB223_114:
	v_mov_b32_e32 v103, 0
.LBB223_115:
	v_pk_add_f16 v104, v14, v30
	v_pk_max_f16 v102, v102, v102
	v_pk_add_f16 v105, v15, v31
	s_delay_alu instid0(VALU_DEP_2) | instskip(NEXT) | instid1(VALU_DEP_1)
	v_pk_min_f16 v102, v102, v104
	v_pk_min_f16 v102, v102, v105
	v_lshlrev_b64 v[104:105], 1, v[38:39]
	s_delay_alu instid0(VALU_DEP_2) | instskip(NEXT) | instid1(VALU_DEP_1)
	v_lshrrev_b32_e32 v108, 16, v102
	v_min3_f16 v108, v103, v102, v108
	s_delay_alu instid0(VALU_DEP_3) | instskip(NEXT) | instid1(VALU_DEP_4)
	v_add_co_u32 v102, vcc_lo, v28, v104
	v_add_co_ci_u32_e32 v103, vcc_lo, v29, v105, vcc_lo
	global_store_b16 v[102:103], v108, off
	s_or_b32 exec_lo, exec_lo, s15
	s_and_b32 s16, s4, s8
	s_delay_alu instid0(SALU_CYCLE_1)
	s_and_saveexec_b32 s15, s16
	s_cbranch_execz .LBB223_97
.LBB223_116:
	v_cmp_ne_u32_e32 vcc_lo, 1, v72
	s_cbranch_vccnz .LBB223_118
; %bb.117:
	v_lshlrev_b64 v[102:103], 1, v[40:41]
	s_delay_alu instid0(VALU_DEP_1) | instskip(NEXT) | instid1(VALU_DEP_2)
	v_add_co_u32 v102, vcc_lo, v106, v102
	v_add_co_ci_u32_e32 v103, vcc_lo, v107, v103, vcc_lo
	flat_load_u16 v102, v[102:103]
	s_waitcnt vmcnt(0) lgkmcnt(0)
	v_mul_f16_e32 v102, s19, v102
	s_branch .LBB223_119
.LBB223_118:
	v_mov_b32_e32 v102, 0
.LBB223_119:
	v_pk_add_f16 v103, v8, v30
	v_pk_max_f16 v101, v101, v101
	v_pk_add_f16 v104, v9, v31
	s_delay_alu instid0(VALU_DEP_2) | instskip(NEXT) | instid1(VALU_DEP_1)
	v_pk_min_f16 v101, v101, v103
	v_pk_min_f16 v101, v101, v104
	v_lshlrev_b64 v[103:104], 1, v[40:41]
	s_delay_alu instid0(VALU_DEP_2) | instskip(NEXT) | instid1(VALU_DEP_1)
	v_lshrrev_b32_e32 v105, 16, v101
	v_min3_f16 v105, v102, v101, v105
	s_delay_alu instid0(VALU_DEP_3) | instskip(NEXT) | instid1(VALU_DEP_4)
	v_add_co_u32 v101, vcc_lo, v28, v103
	v_add_co_ci_u32_e32 v102, vcc_lo, v29, v104, vcc_lo
	global_store_b16 v[101:102], v105, off
	s_or_b32 exec_lo, exec_lo, s15
	s_and_b32 s16, s5, s8
	s_delay_alu instid0(SALU_CYCLE_1)
	s_and_saveexec_b32 s15, s16
	s_cbranch_execz .LBB223_98
.LBB223_120:
	v_cmp_ne_u32_e32 vcc_lo, 1, v72
	s_cbranch_vccnz .LBB223_122
; %bb.121:
	v_lshlrev_b64 v[101:102], 1, v[42:43]
	s_delay_alu instid0(VALU_DEP_1) | instskip(NEXT) | instid1(VALU_DEP_2)
	v_add_co_u32 v101, vcc_lo, v106, v101
	v_add_co_ci_u32_e32 v102, vcc_lo, v107, v102, vcc_lo
	flat_load_u16 v101, v[101:102]
	s_waitcnt vmcnt(0) lgkmcnt(0)
	v_mul_f16_e32 v101, s19, v101
	s_branch .LBB223_123
.LBB223_122:
	v_mov_b32_e32 v101, 0
.LBB223_123:
	v_pk_add_f16 v102, v10, v30
	v_pk_max_f16 v100, v100, v100
	v_pk_add_f16 v103, v11, v31
	s_delay_alu instid0(VALU_DEP_2) | instskip(NEXT) | instid1(VALU_DEP_1)
	v_pk_min_f16 v100, v100, v102
	v_pk_min_f16 v100, v100, v103
	v_lshlrev_b64 v[102:103], 1, v[42:43]
	s_delay_alu instid0(VALU_DEP_2) | instskip(NEXT) | instid1(VALU_DEP_1)
	v_lshrrev_b32_e32 v104, 16, v100
	v_min3_f16 v104, v101, v100, v104
	s_delay_alu instid0(VALU_DEP_3) | instskip(NEXT) | instid1(VALU_DEP_4)
	v_add_co_u32 v100, vcc_lo, v28, v102
	v_add_co_ci_u32_e32 v101, vcc_lo, v29, v103, vcc_lo
	global_store_b16 v[100:101], v104, off
	s_or_b32 exec_lo, exec_lo, s15
	s_and_b32 s16, s6, s8
	s_delay_alu instid0(SALU_CYCLE_1)
	s_and_saveexec_b32 s15, s16
	s_cbranch_execz .LBB223_99
.LBB223_124:
	v_cmp_ne_u32_e32 vcc_lo, 1, v72
	s_cbranch_vccnz .LBB223_126
; %bb.125:
	v_lshlrev_b64 v[100:101], 1, v[44:45]
	s_delay_alu instid0(VALU_DEP_1) | instskip(NEXT) | instid1(VALU_DEP_2)
	v_add_co_u32 v100, vcc_lo, v106, v100
	v_add_co_ci_u32_e32 v101, vcc_lo, v107, v101, vcc_lo
	flat_load_u16 v100, v[100:101]
	s_waitcnt vmcnt(0) lgkmcnt(0)
	v_mul_f16_e32 v100, s19, v100
	s_branch .LBB223_127
.LBB223_126:
	v_mov_b32_e32 v100, 0
.LBB223_127:
	v_pk_add_f16 v101, v0, v30
	v_pk_max_f16 v99, v99, v99
	v_pk_add_f16 v102, v1, v31
	s_delay_alu instid0(VALU_DEP_2) | instskip(NEXT) | instid1(VALU_DEP_1)
	v_pk_min_f16 v99, v99, v101
	v_pk_min_f16 v99, v99, v102
	v_lshlrev_b64 v[101:102], 1, v[44:45]
	s_delay_alu instid0(VALU_DEP_2) | instskip(NEXT) | instid1(VALU_DEP_1)
	v_lshrrev_b32_e32 v103, 16, v99
	v_min3_f16 v103, v100, v99, v103
	s_delay_alu instid0(VALU_DEP_3) | instskip(NEXT) | instid1(VALU_DEP_4)
	v_add_co_u32 v99, vcc_lo, v28, v101
	v_add_co_ci_u32_e32 v100, vcc_lo, v29, v102, vcc_lo
	global_store_b16 v[99:100], v103, off
	s_or_b32 exec_lo, exec_lo, s15
	s_and_b32 s15, s7, s8
	s_delay_alu instid0(SALU_CYCLE_1)
	s_and_saveexec_b32 s8, s15
	s_cbranch_execz .LBB223_132
.LBB223_128:
	v_cmp_ne_u32_e32 vcc_lo, 1, v72
	s_cbranch_vccnz .LBB223_130
; %bb.129:
	v_lshlrev_b64 v[99:100], 1, v[46:47]
	s_delay_alu instid0(VALU_DEP_1) | instskip(NEXT) | instid1(VALU_DEP_2)
	v_add_co_u32 v99, vcc_lo, v106, v99
	v_add_co_ci_u32_e32 v100, vcc_lo, v107, v100, vcc_lo
	flat_load_u16 v99, v[99:100]
	s_waitcnt vmcnt(0) lgkmcnt(0)
	v_mul_f16_e32 v99, s19, v99
	s_branch .LBB223_131
.LBB223_130:
	v_mov_b32_e32 v99, 0
.LBB223_131:
	v_pk_add_f16 v30, v2, v30
	v_pk_max_f16 v98, v98, v98
	v_pk_add_f16 v31, v3, v31
	s_delay_alu instid0(VALU_DEP_2) | instskip(NEXT) | instid1(VALU_DEP_1)
	v_pk_min_f16 v30, v98, v30
	v_pk_min_f16 v98, v30, v31
	v_lshlrev_b64 v[30:31], 1, v[46:47]
	s_delay_alu instid0(VALU_DEP_2) | instskip(NEXT) | instid1(VALU_DEP_2)
	v_lshrrev_b32_e32 v100, 16, v98
	v_add_co_u32 v28, vcc_lo, v28, v30
	s_delay_alu instid0(VALU_DEP_3) | instskip(NEXT) | instid1(VALU_DEP_3)
	v_add_co_ci_u32_e32 v29, vcc_lo, v29, v31, vcc_lo
	v_min3_f16 v98, v99, v98, v100
	global_store_b16 v[28:29], v98, off
.LBB223_132:
	s_or_b32 exec_lo, exec_lo, s8
	v_add_nc_u32_e32 v98, 64, v79
	s_delay_alu instid0(VALU_DEP_1) | instskip(SKIP_2) | instid1(VALU_DEP_3)
	v_mad_i64_i32 v[28:29], null, v98, s14, 0
	v_mad_i64_i32 v[30:31], null, v98, s9, 0
	v_cmp_gt_i32_e64 s8, s17, v98
	v_lshlrev_b64 v[28:29], 1, v[28:29]
	s_delay_alu instid0(VALU_DEP_2) | instskip(NEXT) | instid1(VALU_DEP_3)
	s_and_b32 s16, s0, s8
	v_lshlrev_b64 v[98:99], 1, v[30:31]
	s_delay_alu instid0(VALU_DEP_2) | instskip(NEXT) | instid1(VALU_DEP_3)
	v_add_co_u32 v30, vcc_lo, s10, v28
	v_add_co_ci_u32_e32 v31, vcc_lo, s11, v29, vcc_lo
	s_delay_alu instid0(VALU_DEP_3) | instskip(NEXT) | instid1(VALU_DEP_4)
	v_add_co_u32 v28, vcc_lo, s12, v98
	v_add_co_ci_u32_e32 v29, vcc_lo, s13, v99, vcc_lo
	s_and_saveexec_b32 s15, s16
	s_cbranch_execnz .LBB223_140
; %bb.133:
	s_or_b32 exec_lo, exec_lo, s15
	s_and_b32 s16, s1, s8
	s_delay_alu instid0(SALU_CYCLE_1)
	s_and_saveexec_b32 s15, s16
	s_cbranch_execnz .LBB223_144
.LBB223_134:
	s_or_b32 exec_lo, exec_lo, s15
	s_and_b32 s16, s2, s8
	s_delay_alu instid0(SALU_CYCLE_1)
	s_and_saveexec_b32 s15, s16
	s_cbranch_execnz .LBB223_148
.LBB223_135:
	s_or_b32 exec_lo, exec_lo, s15
	s_and_b32 s16, s3, s8
	s_delay_alu instid0(SALU_CYCLE_1)
	s_and_saveexec_b32 s15, s16
	s_cbranch_execnz .LBB223_152
.LBB223_136:
	s_or_b32 exec_lo, exec_lo, s15
	s_and_b32 s16, s4, s8
	s_delay_alu instid0(SALU_CYCLE_1)
	s_and_saveexec_b32 s15, s16
	s_cbranch_execnz .LBB223_156
.LBB223_137:
	s_or_b32 exec_lo, exec_lo, s15
	s_and_b32 s16, s5, s8
	s_delay_alu instid0(SALU_CYCLE_1)
	s_and_saveexec_b32 s15, s16
	s_cbranch_execnz .LBB223_160
.LBB223_138:
	s_or_b32 exec_lo, exec_lo, s15
	s_and_b32 s16, s6, s8
	s_delay_alu instid0(SALU_CYCLE_1)
	s_and_saveexec_b32 s15, s16
	s_cbranch_execnz .LBB223_164
.LBB223_139:
	s_or_b32 exec_lo, exec_lo, s15
	s_and_b32 s15, s7, s8
	s_delay_alu instid0(SALU_CYCLE_1)
	s_and_saveexec_b32 s8, s15
	s_cbranch_execnz .LBB223_168
	s_branch .LBB223_172
.LBB223_140:
	v_cmp_ne_u32_e32 vcc_lo, 1, v72
	s_cbranch_vccnz .LBB223_142
; %bb.141:
	v_lshlrev_b64 v[98:99], 1, v[32:33]
	s_delay_alu instid0(VALU_DEP_1) | instskip(NEXT) | instid1(VALU_DEP_2)
	v_add_co_u32 v98, vcc_lo, v30, v98
	v_add_co_ci_u32_e32 v99, vcc_lo, v31, v99, vcc_lo
	flat_load_u16 v98, v[98:99]
	s_waitcnt vmcnt(0) lgkmcnt(0)
	v_mul_f16_e32 v98, s19, v98
	s_branch .LBB223_143
.LBB223_142:
	v_mov_b32_e32 v98, 0
.LBB223_143:
	v_pk_add_f16 v99, v16, v24
	v_pk_max_f16 v97, v97, v97
	v_pk_add_f16 v100, v17, v25
	s_delay_alu instid0(VALU_DEP_2) | instskip(NEXT) | instid1(VALU_DEP_1)
	v_pk_min_f16 v97, v97, v99
	v_pk_min_f16 v97, v97, v100
	v_lshlrev_b64 v[99:100], 1, v[32:33]
	s_delay_alu instid0(VALU_DEP_2) | instskip(NEXT) | instid1(VALU_DEP_1)
	v_lshrrev_b32_e32 v101, 16, v97
	v_min3_f16 v101, v98, v97, v101
	s_delay_alu instid0(VALU_DEP_3) | instskip(NEXT) | instid1(VALU_DEP_4)
	v_add_co_u32 v97, vcc_lo, v28, v99
	v_add_co_ci_u32_e32 v98, vcc_lo, v29, v100, vcc_lo
	global_store_b16 v[97:98], v101, off
	s_or_b32 exec_lo, exec_lo, s15
	s_and_b32 s16, s1, s8
	s_delay_alu instid0(SALU_CYCLE_1)
	s_and_saveexec_b32 s15, s16
	s_cbranch_execz .LBB223_134
.LBB223_144:
	v_cmp_ne_u32_e32 vcc_lo, 1, v72
	s_cbranch_vccnz .LBB223_146
; %bb.145:
	v_lshlrev_b64 v[97:98], 1, v[34:35]
	s_delay_alu instid0(VALU_DEP_1) | instskip(NEXT) | instid1(VALU_DEP_2)
	v_add_co_u32 v97, vcc_lo, v30, v97
	v_add_co_ci_u32_e32 v98, vcc_lo, v31, v98, vcc_lo
	flat_load_u16 v97, v[97:98]
	s_waitcnt vmcnt(0) lgkmcnt(0)
	v_mul_f16_e32 v97, s19, v97
	s_branch .LBB223_147
.LBB223_146:
	v_mov_b32_e32 v97, 0
.LBB223_147:
	v_pk_add_f16 v98, v18, v24
	v_pk_max_f16 v96, v96, v96
	v_pk_add_f16 v99, v19, v25
	s_delay_alu instid0(VALU_DEP_2) | instskip(NEXT) | instid1(VALU_DEP_1)
	v_pk_min_f16 v96, v96, v98
	v_pk_min_f16 v96, v96, v99
	v_lshlrev_b64 v[98:99], 1, v[34:35]
	s_delay_alu instid0(VALU_DEP_2) | instskip(NEXT) | instid1(VALU_DEP_1)
	v_lshrrev_b32_e32 v100, 16, v96
	v_min3_f16 v100, v97, v96, v100
	s_delay_alu instid0(VALU_DEP_3) | instskip(NEXT) | instid1(VALU_DEP_4)
	v_add_co_u32 v96, vcc_lo, v28, v98
	v_add_co_ci_u32_e32 v97, vcc_lo, v29, v99, vcc_lo
	global_store_b16 v[96:97], v100, off
	s_or_b32 exec_lo, exec_lo, s15
	s_and_b32 s16, s2, s8
	s_delay_alu instid0(SALU_CYCLE_1)
	s_and_saveexec_b32 s15, s16
	s_cbranch_execz .LBB223_135
.LBB223_148:
	v_cmp_ne_u32_e32 vcc_lo, 1, v72
	s_cbranch_vccnz .LBB223_150
; %bb.149:
	v_lshlrev_b64 v[96:97], 1, v[36:37]
	s_delay_alu instid0(VALU_DEP_1) | instskip(NEXT) | instid1(VALU_DEP_2)
	v_add_co_u32 v96, vcc_lo, v30, v96
	v_add_co_ci_u32_e32 v97, vcc_lo, v31, v97, vcc_lo
	flat_load_u16 v96, v[96:97]
	s_waitcnt vmcnt(0) lgkmcnt(0)
	v_mul_f16_e32 v96, s19, v96
	s_branch .LBB223_151
.LBB223_150:
	v_mov_b32_e32 v96, 0
.LBB223_151:
	v_pk_add_f16 v97, v12, v24
	v_pk_max_f16 v95, v95, v95
	v_pk_add_f16 v98, v13, v25
	s_delay_alu instid0(VALU_DEP_2) | instskip(NEXT) | instid1(VALU_DEP_1)
	v_pk_min_f16 v95, v95, v97
	v_pk_min_f16 v95, v95, v98
	v_lshlrev_b64 v[97:98], 1, v[36:37]
	s_delay_alu instid0(VALU_DEP_2) | instskip(NEXT) | instid1(VALU_DEP_1)
	v_lshrrev_b32_e32 v99, 16, v95
	v_min3_f16 v99, v96, v95, v99
	s_delay_alu instid0(VALU_DEP_3) | instskip(NEXT) | instid1(VALU_DEP_4)
	v_add_co_u32 v95, vcc_lo, v28, v97
	v_add_co_ci_u32_e32 v96, vcc_lo, v29, v98, vcc_lo
	global_store_b16 v[95:96], v99, off
	s_or_b32 exec_lo, exec_lo, s15
	s_and_b32 s16, s3, s8
	s_delay_alu instid0(SALU_CYCLE_1)
	s_and_saveexec_b32 s15, s16
	s_cbranch_execz .LBB223_136
.LBB223_152:
	v_cmp_ne_u32_e32 vcc_lo, 1, v72
	s_cbranch_vccnz .LBB223_154
; %bb.153:
	v_lshlrev_b64 v[95:96], 1, v[38:39]
	s_delay_alu instid0(VALU_DEP_1) | instskip(NEXT) | instid1(VALU_DEP_2)
	v_add_co_u32 v95, vcc_lo, v30, v95
	v_add_co_ci_u32_e32 v96, vcc_lo, v31, v96, vcc_lo
	flat_load_u16 v95, v[95:96]
	s_waitcnt vmcnt(0) lgkmcnt(0)
	v_mul_f16_e32 v95, s19, v95
	s_branch .LBB223_155
.LBB223_154:
	v_mov_b32_e32 v95, 0
.LBB223_155:
	v_pk_add_f16 v96, v14, v24
	v_pk_max_f16 v94, v94, v94
	v_pk_add_f16 v97, v15, v25
	s_delay_alu instid0(VALU_DEP_2) | instskip(NEXT) | instid1(VALU_DEP_1)
	v_pk_min_f16 v94, v94, v96
	v_pk_min_f16 v94, v94, v97
	v_lshlrev_b64 v[96:97], 1, v[38:39]
	s_delay_alu instid0(VALU_DEP_2) | instskip(NEXT) | instid1(VALU_DEP_1)
	v_lshrrev_b32_e32 v98, 16, v94
	v_min3_f16 v98, v95, v94, v98
	s_delay_alu instid0(VALU_DEP_3) | instskip(NEXT) | instid1(VALU_DEP_4)
	v_add_co_u32 v94, vcc_lo, v28, v96
	v_add_co_ci_u32_e32 v95, vcc_lo, v29, v97, vcc_lo
	global_store_b16 v[94:95], v98, off
	s_or_b32 exec_lo, exec_lo, s15
	s_and_b32 s16, s4, s8
	s_delay_alu instid0(SALU_CYCLE_1)
	s_and_saveexec_b32 s15, s16
	s_cbranch_execz .LBB223_137
.LBB223_156:
	v_cmp_ne_u32_e32 vcc_lo, 1, v72
	s_cbranch_vccnz .LBB223_158
; %bb.157:
	v_lshlrev_b64 v[94:95], 1, v[40:41]
	s_delay_alu instid0(VALU_DEP_1) | instskip(NEXT) | instid1(VALU_DEP_2)
	v_add_co_u32 v94, vcc_lo, v30, v94
	v_add_co_ci_u32_e32 v95, vcc_lo, v31, v95, vcc_lo
	flat_load_u16 v94, v[94:95]
	s_waitcnt vmcnt(0) lgkmcnt(0)
	v_mul_f16_e32 v94, s19, v94
	s_branch .LBB223_159
.LBB223_158:
	v_mov_b32_e32 v94, 0
.LBB223_159:
	v_pk_add_f16 v95, v8, v24
	v_pk_max_f16 v93, v93, v93
	v_pk_add_f16 v96, v9, v25
	s_delay_alu instid0(VALU_DEP_2) | instskip(NEXT) | instid1(VALU_DEP_1)
	v_pk_min_f16 v93, v93, v95
	v_pk_min_f16 v93, v93, v96
	v_lshlrev_b64 v[95:96], 1, v[40:41]
	s_delay_alu instid0(VALU_DEP_2) | instskip(NEXT) | instid1(VALU_DEP_1)
	v_lshrrev_b32_e32 v97, 16, v93
	v_min3_f16 v97, v94, v93, v97
	s_delay_alu instid0(VALU_DEP_3) | instskip(NEXT) | instid1(VALU_DEP_4)
	v_add_co_u32 v93, vcc_lo, v28, v95
	v_add_co_ci_u32_e32 v94, vcc_lo, v29, v96, vcc_lo
	global_store_b16 v[93:94], v97, off
	s_or_b32 exec_lo, exec_lo, s15
	s_and_b32 s16, s5, s8
	s_delay_alu instid0(SALU_CYCLE_1)
	s_and_saveexec_b32 s15, s16
	s_cbranch_execz .LBB223_138
.LBB223_160:
	v_cmp_ne_u32_e32 vcc_lo, 1, v72
	s_cbranch_vccnz .LBB223_162
; %bb.161:
	v_lshlrev_b64 v[93:94], 1, v[42:43]
	s_delay_alu instid0(VALU_DEP_1) | instskip(NEXT) | instid1(VALU_DEP_2)
	v_add_co_u32 v93, vcc_lo, v30, v93
	v_add_co_ci_u32_e32 v94, vcc_lo, v31, v94, vcc_lo
	flat_load_u16 v93, v[93:94]
	s_waitcnt vmcnt(0) lgkmcnt(0)
	v_mul_f16_e32 v93, s19, v93
	s_branch .LBB223_163
.LBB223_162:
	v_mov_b32_e32 v93, 0
.LBB223_163:
	v_pk_add_f16 v94, v10, v24
	v_pk_max_f16 v92, v92, v92
	v_pk_add_f16 v95, v11, v25
	s_delay_alu instid0(VALU_DEP_2) | instskip(NEXT) | instid1(VALU_DEP_1)
	v_pk_min_f16 v92, v92, v94
	v_pk_min_f16 v92, v92, v95
	v_lshlrev_b64 v[94:95], 1, v[42:43]
	s_delay_alu instid0(VALU_DEP_2) | instskip(NEXT) | instid1(VALU_DEP_1)
	v_lshrrev_b32_e32 v96, 16, v92
	v_min3_f16 v96, v93, v92, v96
	s_delay_alu instid0(VALU_DEP_3) | instskip(NEXT) | instid1(VALU_DEP_4)
	v_add_co_u32 v92, vcc_lo, v28, v94
	v_add_co_ci_u32_e32 v93, vcc_lo, v29, v95, vcc_lo
	global_store_b16 v[92:93], v96, off
	s_or_b32 exec_lo, exec_lo, s15
	s_and_b32 s16, s6, s8
	s_delay_alu instid0(SALU_CYCLE_1)
	s_and_saveexec_b32 s15, s16
	s_cbranch_execz .LBB223_139
.LBB223_164:
	v_cmp_ne_u32_e32 vcc_lo, 1, v72
	s_cbranch_vccnz .LBB223_166
; %bb.165:
	v_lshlrev_b64 v[92:93], 1, v[44:45]
	s_delay_alu instid0(VALU_DEP_1) | instskip(NEXT) | instid1(VALU_DEP_2)
	v_add_co_u32 v92, vcc_lo, v30, v92
	v_add_co_ci_u32_e32 v93, vcc_lo, v31, v93, vcc_lo
	flat_load_u16 v92, v[92:93]
	s_waitcnt vmcnt(0) lgkmcnt(0)
	v_mul_f16_e32 v92, s19, v92
	s_branch .LBB223_167
.LBB223_166:
	v_mov_b32_e32 v92, 0
.LBB223_167:
	v_pk_add_f16 v93, v0, v24
	v_pk_max_f16 v91, v91, v91
	v_pk_add_f16 v94, v1, v25
	s_delay_alu instid0(VALU_DEP_2) | instskip(NEXT) | instid1(VALU_DEP_1)
	v_pk_min_f16 v91, v91, v93
	v_pk_min_f16 v91, v91, v94
	v_lshlrev_b64 v[93:94], 1, v[44:45]
	s_delay_alu instid0(VALU_DEP_2) | instskip(NEXT) | instid1(VALU_DEP_1)
	v_lshrrev_b32_e32 v95, 16, v91
	v_min3_f16 v95, v92, v91, v95
	s_delay_alu instid0(VALU_DEP_3) | instskip(NEXT) | instid1(VALU_DEP_4)
	v_add_co_u32 v91, vcc_lo, v28, v93
	v_add_co_ci_u32_e32 v92, vcc_lo, v29, v94, vcc_lo
	global_store_b16 v[91:92], v95, off
	s_or_b32 exec_lo, exec_lo, s15
	s_and_b32 s15, s7, s8
	s_delay_alu instid0(SALU_CYCLE_1)
	s_and_saveexec_b32 s8, s15
	s_cbranch_execz .LBB223_172
.LBB223_168:
	v_cmp_ne_u32_e32 vcc_lo, 1, v72
	s_cbranch_vccnz .LBB223_170
; %bb.169:
	v_lshlrev_b64 v[91:92], 1, v[46:47]
	s_delay_alu instid0(VALU_DEP_1) | instskip(NEXT) | instid1(VALU_DEP_2)
	v_add_co_u32 v30, vcc_lo, v30, v91
	v_add_co_ci_u32_e32 v31, vcc_lo, v31, v92, vcc_lo
	flat_load_u16 v30, v[30:31]
	s_waitcnt vmcnt(0) lgkmcnt(0)
	v_mul_f16_e32 v30, s19, v30
	s_branch .LBB223_171
.LBB223_170:
	v_mov_b32_e32 v30, 0
.LBB223_171:
	v_pk_add_f16 v24, v2, v24
	v_pk_max_f16 v31, v90, v90
	v_pk_add_f16 v25, v3, v25
	s_delay_alu instid0(VALU_DEP_2) | instskip(NEXT) | instid1(VALU_DEP_1)
	v_pk_min_f16 v24, v31, v24
	v_pk_min_f16 v31, v24, v25
	v_lshlrev_b64 v[24:25], 1, v[46:47]
	s_delay_alu instid0(VALU_DEP_2) | instskip(NEXT) | instid1(VALU_DEP_2)
	v_lshrrev_b32_e32 v90, 16, v31
	v_add_co_u32 v24, vcc_lo, v28, v24
	s_delay_alu instid0(VALU_DEP_3) | instskip(NEXT) | instid1(VALU_DEP_3)
	v_add_co_ci_u32_e32 v25, vcc_lo, v29, v25, vcc_lo
	v_min3_f16 v30, v30, v31, v90
	global_store_b16 v[24:25], v30, off
.LBB223_172:
	s_or_b32 exec_lo, exec_lo, s8
	v_add_nc_u32_e32 v30, 0x60, v79
	s_delay_alu instid0(VALU_DEP_1) | instskip(SKIP_2) | instid1(VALU_DEP_3)
	v_mad_i64_i32 v[24:25], null, v30, s14, 0
	v_mad_i64_i32 v[28:29], null, v30, s9, 0
	v_cmp_gt_i32_e64 s8, s17, v30
	v_lshlrev_b64 v[24:25], 1, v[24:25]
	s_delay_alu instid0(VALU_DEP_2) | instskip(NEXT) | instid1(VALU_DEP_3)
	s_and_b32 s16, s0, s8
	v_lshlrev_b64 v[30:31], 1, v[28:29]
	s_delay_alu instid0(VALU_DEP_2) | instskip(NEXT) | instid1(VALU_DEP_3)
	v_add_co_u32 v28, vcc_lo, s10, v24
	v_add_co_ci_u32_e32 v29, vcc_lo, s11, v25, vcc_lo
	s_delay_alu instid0(VALU_DEP_3) | instskip(NEXT) | instid1(VALU_DEP_4)
	v_add_co_u32 v24, vcc_lo, s12, v30
	v_add_co_ci_u32_e32 v25, vcc_lo, s13, v31, vcc_lo
	s_and_saveexec_b32 s15, s16
	s_cbranch_execnz .LBB223_180
; %bb.173:
	s_or_b32 exec_lo, exec_lo, s15
	s_and_b32 s16, s1, s8
	s_delay_alu instid0(SALU_CYCLE_1)
	s_and_saveexec_b32 s15, s16
	s_cbranch_execnz .LBB223_184
.LBB223_174:
	s_or_b32 exec_lo, exec_lo, s15
	s_and_b32 s16, s2, s8
	s_delay_alu instid0(SALU_CYCLE_1)
	s_and_saveexec_b32 s15, s16
	s_cbranch_execnz .LBB223_188
.LBB223_175:
	s_or_b32 exec_lo, exec_lo, s15
	s_and_b32 s16, s3, s8
	s_delay_alu instid0(SALU_CYCLE_1)
	s_and_saveexec_b32 s15, s16
	s_cbranch_execnz .LBB223_192
.LBB223_176:
	s_or_b32 exec_lo, exec_lo, s15
	s_and_b32 s16, s4, s8
	s_delay_alu instid0(SALU_CYCLE_1)
	s_and_saveexec_b32 s15, s16
	s_cbranch_execnz .LBB223_196
.LBB223_177:
	s_or_b32 exec_lo, exec_lo, s15
	s_and_b32 s16, s5, s8
	s_delay_alu instid0(SALU_CYCLE_1)
	s_and_saveexec_b32 s15, s16
	s_cbranch_execnz .LBB223_200
.LBB223_178:
	s_or_b32 exec_lo, exec_lo, s15
	s_and_b32 s16, s6, s8
	s_delay_alu instid0(SALU_CYCLE_1)
	s_and_saveexec_b32 s15, s16
	s_cbranch_execnz .LBB223_204
.LBB223_179:
	s_or_b32 exec_lo, exec_lo, s15
	s_and_b32 s15, s7, s8
	s_delay_alu instid0(SALU_CYCLE_1)
	s_and_saveexec_b32 s8, s15
	s_cbranch_execnz .LBB223_208
	s_branch .LBB223_212
.LBB223_180:
	v_cmp_ne_u32_e32 vcc_lo, 1, v72
	s_cbranch_vccnz .LBB223_182
; %bb.181:
	v_lshlrev_b64 v[30:31], 1, v[32:33]
	s_delay_alu instid0(VALU_DEP_1) | instskip(NEXT) | instid1(VALU_DEP_2)
	v_add_co_u32 v30, vcc_lo, v28, v30
	v_add_co_ci_u32_e32 v31, vcc_lo, v29, v31, vcc_lo
	flat_load_u16 v30, v[30:31]
	s_waitcnt vmcnt(0) lgkmcnt(0)
	v_mul_f16_e32 v30, s19, v30
	s_branch .LBB223_183
.LBB223_182:
	v_mov_b32_e32 v30, 0
.LBB223_183:
	v_pk_add_f16 v31, v16, v26
	v_pk_max_f16 v89, v89, v89
	v_pk_add_f16 v90, v17, v27
	s_delay_alu instid0(VALU_DEP_2) | instskip(NEXT) | instid1(VALU_DEP_1)
	v_pk_min_f16 v31, v89, v31
	v_pk_min_f16 v31, v31, v90
	v_lshlrev_b64 v[89:90], 1, v[32:33]
	s_delay_alu instid0(VALU_DEP_2) | instskip(NEXT) | instid1(VALU_DEP_1)
	v_lshrrev_b32_e32 v91, 16, v31
	v_min3_f16 v91, v30, v31, v91
	s_delay_alu instid0(VALU_DEP_3) | instskip(NEXT) | instid1(VALU_DEP_4)
	v_add_co_u32 v30, vcc_lo, v24, v89
	v_add_co_ci_u32_e32 v31, vcc_lo, v25, v90, vcc_lo
	global_store_b16 v[30:31], v91, off
	s_or_b32 exec_lo, exec_lo, s15
	s_and_b32 s16, s1, s8
	s_delay_alu instid0(SALU_CYCLE_1)
	s_and_saveexec_b32 s15, s16
	s_cbranch_execz .LBB223_174
.LBB223_184:
	v_cmp_ne_u32_e32 vcc_lo, 1, v72
	s_cbranch_vccnz .LBB223_186
; %bb.185:
	v_lshlrev_b64 v[30:31], 1, v[34:35]
	s_delay_alu instid0(VALU_DEP_1) | instskip(NEXT) | instid1(VALU_DEP_2)
	v_add_co_u32 v30, vcc_lo, v28, v30
	v_add_co_ci_u32_e32 v31, vcc_lo, v29, v31, vcc_lo
	flat_load_u16 v30, v[30:31]
	s_waitcnt vmcnt(0) lgkmcnt(0)
	v_mul_f16_e32 v30, s19, v30
	s_branch .LBB223_187
.LBB223_186:
	v_mov_b32_e32 v30, 0
.LBB223_187:
	v_pk_add_f16 v31, v18, v26
	v_pk_max_f16 v88, v88, v88
	v_pk_add_f16 v89, v19, v27
	s_delay_alu instid0(VALU_DEP_2) | instskip(NEXT) | instid1(VALU_DEP_1)
	v_pk_min_f16 v31, v88, v31
	v_pk_min_f16 v31, v31, v89
	v_lshlrev_b64 v[88:89], 1, v[34:35]
	s_delay_alu instid0(VALU_DEP_2) | instskip(NEXT) | instid1(VALU_DEP_1)
	v_lshrrev_b32_e32 v90, 16, v31
	v_min3_f16 v90, v30, v31, v90
	s_delay_alu instid0(VALU_DEP_3) | instskip(NEXT) | instid1(VALU_DEP_4)
	v_add_co_u32 v30, vcc_lo, v24, v88
	v_add_co_ci_u32_e32 v31, vcc_lo, v25, v89, vcc_lo
	global_store_b16 v[30:31], v90, off
	s_or_b32 exec_lo, exec_lo, s15
	s_and_b32 s16, s2, s8
	s_delay_alu instid0(SALU_CYCLE_1)
	s_and_saveexec_b32 s15, s16
	s_cbranch_execz .LBB223_175
.LBB223_188:
	v_cmp_ne_u32_e32 vcc_lo, 1, v72
	s_cbranch_vccnz .LBB223_190
; %bb.189:
	v_lshlrev_b64 v[30:31], 1, v[36:37]
	s_delay_alu instid0(VALU_DEP_1) | instskip(NEXT) | instid1(VALU_DEP_2)
	v_add_co_u32 v30, vcc_lo, v28, v30
	v_add_co_ci_u32_e32 v31, vcc_lo, v29, v31, vcc_lo
	flat_load_u16 v30, v[30:31]
	s_waitcnt vmcnt(0) lgkmcnt(0)
	v_mul_f16_e32 v30, s19, v30
	s_branch .LBB223_191
.LBB223_190:
	v_mov_b32_e32 v30, 0
.LBB223_191:
	v_pk_add_f16 v31, v12, v26
	v_pk_max_f16 v87, v87, v87
	v_pk_add_f16 v88, v13, v27
	s_delay_alu instid0(VALU_DEP_2) | instskip(NEXT) | instid1(VALU_DEP_1)
	v_pk_min_f16 v31, v87, v31
	v_pk_min_f16 v31, v31, v88
	v_lshlrev_b64 v[87:88], 1, v[36:37]
	s_delay_alu instid0(VALU_DEP_2) | instskip(NEXT) | instid1(VALU_DEP_1)
	v_lshrrev_b32_e32 v89, 16, v31
	v_min3_f16 v89, v30, v31, v89
	s_delay_alu instid0(VALU_DEP_3) | instskip(NEXT) | instid1(VALU_DEP_4)
	v_add_co_u32 v30, vcc_lo, v24, v87
	v_add_co_ci_u32_e32 v31, vcc_lo, v25, v88, vcc_lo
	global_store_b16 v[30:31], v89, off
	s_or_b32 exec_lo, exec_lo, s15
	s_and_b32 s16, s3, s8
	s_delay_alu instid0(SALU_CYCLE_1)
	s_and_saveexec_b32 s15, s16
	s_cbranch_execz .LBB223_176
.LBB223_192:
	v_cmp_ne_u32_e32 vcc_lo, 1, v72
	s_cbranch_vccnz .LBB223_194
; %bb.193:
	v_lshlrev_b64 v[30:31], 1, v[38:39]
	s_delay_alu instid0(VALU_DEP_1) | instskip(NEXT) | instid1(VALU_DEP_2)
	v_add_co_u32 v30, vcc_lo, v28, v30
	v_add_co_ci_u32_e32 v31, vcc_lo, v29, v31, vcc_lo
	flat_load_u16 v30, v[30:31]
	s_waitcnt vmcnt(0) lgkmcnt(0)
	v_mul_f16_e32 v30, s19, v30
	s_branch .LBB223_195
.LBB223_194:
	v_mov_b32_e32 v30, 0
.LBB223_195:
	v_pk_add_f16 v31, v14, v26
	v_pk_max_f16 v86, v86, v86
	v_pk_add_f16 v87, v15, v27
	s_delay_alu instid0(VALU_DEP_2) | instskip(NEXT) | instid1(VALU_DEP_1)
	v_pk_min_f16 v31, v86, v31
	v_pk_min_f16 v31, v31, v87
	v_lshlrev_b64 v[86:87], 1, v[38:39]
	s_delay_alu instid0(VALU_DEP_2) | instskip(NEXT) | instid1(VALU_DEP_1)
	v_lshrrev_b32_e32 v88, 16, v31
	v_min3_f16 v88, v30, v31, v88
	s_delay_alu instid0(VALU_DEP_3) | instskip(NEXT) | instid1(VALU_DEP_4)
	v_add_co_u32 v30, vcc_lo, v24, v86
	v_add_co_ci_u32_e32 v31, vcc_lo, v25, v87, vcc_lo
	global_store_b16 v[30:31], v88, off
	s_or_b32 exec_lo, exec_lo, s15
	s_and_b32 s16, s4, s8
	s_delay_alu instid0(SALU_CYCLE_1)
	s_and_saveexec_b32 s15, s16
	s_cbranch_execz .LBB223_177
.LBB223_196:
	v_cmp_ne_u32_e32 vcc_lo, 1, v72
	s_cbranch_vccnz .LBB223_198
; %bb.197:
	v_lshlrev_b64 v[30:31], 1, v[40:41]
	s_delay_alu instid0(VALU_DEP_1) | instskip(NEXT) | instid1(VALU_DEP_2)
	v_add_co_u32 v30, vcc_lo, v28, v30
	v_add_co_ci_u32_e32 v31, vcc_lo, v29, v31, vcc_lo
	flat_load_u16 v30, v[30:31]
	s_waitcnt vmcnt(0) lgkmcnt(0)
	v_mul_f16_e32 v30, s19, v30
	s_branch .LBB223_199
.LBB223_198:
	v_mov_b32_e32 v30, 0
.LBB223_199:
	v_pk_add_f16 v31, v8, v26
	v_pk_max_f16 v85, v85, v85
	v_pk_add_f16 v86, v9, v27
	s_delay_alu instid0(VALU_DEP_2) | instskip(NEXT) | instid1(VALU_DEP_1)
	v_pk_min_f16 v31, v85, v31
	v_pk_min_f16 v31, v31, v86
	v_lshlrev_b64 v[85:86], 1, v[40:41]
	s_delay_alu instid0(VALU_DEP_2) | instskip(NEXT) | instid1(VALU_DEP_1)
	v_lshrrev_b32_e32 v87, 16, v31
	v_min3_f16 v87, v30, v31, v87
	s_delay_alu instid0(VALU_DEP_3) | instskip(NEXT) | instid1(VALU_DEP_4)
	v_add_co_u32 v30, vcc_lo, v24, v85
	v_add_co_ci_u32_e32 v31, vcc_lo, v25, v86, vcc_lo
	global_store_b16 v[30:31], v87, off
	s_or_b32 exec_lo, exec_lo, s15
	s_and_b32 s16, s5, s8
	s_delay_alu instid0(SALU_CYCLE_1)
	s_and_saveexec_b32 s15, s16
	s_cbranch_execz .LBB223_178
.LBB223_200:
	v_cmp_ne_u32_e32 vcc_lo, 1, v72
	s_cbranch_vccnz .LBB223_202
; %bb.201:
	v_lshlrev_b64 v[30:31], 1, v[42:43]
	s_delay_alu instid0(VALU_DEP_1) | instskip(NEXT) | instid1(VALU_DEP_2)
	v_add_co_u32 v30, vcc_lo, v28, v30
	v_add_co_ci_u32_e32 v31, vcc_lo, v29, v31, vcc_lo
	flat_load_u16 v30, v[30:31]
	s_waitcnt vmcnt(0) lgkmcnt(0)
	v_mul_f16_e32 v30, s19, v30
	s_branch .LBB223_203
.LBB223_202:
	v_mov_b32_e32 v30, 0
.LBB223_203:
	v_pk_add_f16 v31, v10, v26
	v_pk_max_f16 v84, v84, v84
	v_pk_add_f16 v85, v11, v27
	s_delay_alu instid0(VALU_DEP_2) | instskip(NEXT) | instid1(VALU_DEP_1)
	v_pk_min_f16 v31, v84, v31
	v_pk_min_f16 v31, v31, v85
	v_lshlrev_b64 v[84:85], 1, v[42:43]
	s_delay_alu instid0(VALU_DEP_2) | instskip(NEXT) | instid1(VALU_DEP_1)
	v_lshrrev_b32_e32 v86, 16, v31
	v_min3_f16 v86, v30, v31, v86
	s_delay_alu instid0(VALU_DEP_3) | instskip(NEXT) | instid1(VALU_DEP_4)
	v_add_co_u32 v30, vcc_lo, v24, v84
	v_add_co_ci_u32_e32 v31, vcc_lo, v25, v85, vcc_lo
	global_store_b16 v[30:31], v86, off
	s_or_b32 exec_lo, exec_lo, s15
	s_and_b32 s16, s6, s8
	s_delay_alu instid0(SALU_CYCLE_1)
	s_and_saveexec_b32 s15, s16
	s_cbranch_execz .LBB223_179
.LBB223_204:
	v_cmp_ne_u32_e32 vcc_lo, 1, v72
	s_cbranch_vccnz .LBB223_206
; %bb.205:
	v_lshlrev_b64 v[30:31], 1, v[44:45]
	s_delay_alu instid0(VALU_DEP_1) | instskip(NEXT) | instid1(VALU_DEP_2)
	v_add_co_u32 v30, vcc_lo, v28, v30
	v_add_co_ci_u32_e32 v31, vcc_lo, v29, v31, vcc_lo
	flat_load_u16 v30, v[30:31]
	s_waitcnt vmcnt(0) lgkmcnt(0)
	v_mul_f16_e32 v30, s19, v30
	s_branch .LBB223_207
.LBB223_206:
	v_mov_b32_e32 v30, 0
.LBB223_207:
	v_pk_add_f16 v31, v0, v26
	v_pk_max_f16 v83, v83, v83
	v_pk_add_f16 v84, v1, v27
	s_delay_alu instid0(VALU_DEP_2) | instskip(NEXT) | instid1(VALU_DEP_1)
	v_pk_min_f16 v31, v83, v31
	v_pk_min_f16 v31, v31, v84
	v_lshlrev_b64 v[83:84], 1, v[44:45]
	s_delay_alu instid0(VALU_DEP_2) | instskip(NEXT) | instid1(VALU_DEP_1)
	v_lshrrev_b32_e32 v85, 16, v31
	v_min3_f16 v85, v30, v31, v85
	s_delay_alu instid0(VALU_DEP_3) | instskip(NEXT) | instid1(VALU_DEP_4)
	v_add_co_u32 v30, vcc_lo, v24, v83
	v_add_co_ci_u32_e32 v31, vcc_lo, v25, v84, vcc_lo
	global_store_b16 v[30:31], v85, off
	s_or_b32 exec_lo, exec_lo, s15
	s_and_b32 s15, s7, s8
	s_delay_alu instid0(SALU_CYCLE_1)
	s_and_saveexec_b32 s8, s15
	s_cbranch_execz .LBB223_212
.LBB223_208:
	v_cmp_ne_u32_e32 vcc_lo, 1, v72
	s_cbranch_vccnz .LBB223_210
; %bb.209:
	v_lshlrev_b64 v[30:31], 1, v[46:47]
	s_delay_alu instid0(VALU_DEP_1) | instskip(NEXT) | instid1(VALU_DEP_2)
	v_add_co_u32 v28, vcc_lo, v28, v30
	v_add_co_ci_u32_e32 v29, vcc_lo, v29, v31, vcc_lo
	flat_load_u16 v28, v[28:29]
	s_waitcnt vmcnt(0) lgkmcnt(0)
	v_mul_f16_e32 v28, s19, v28
	s_branch .LBB223_211
.LBB223_210:
	v_mov_b32_e32 v28, 0
.LBB223_211:
	v_pk_add_f16 v26, v2, v26
	v_pk_max_f16 v29, v82, v82
	v_pk_add_f16 v27, v3, v27
	s_delay_alu instid0(VALU_DEP_2) | instskip(NEXT) | instid1(VALU_DEP_1)
	v_pk_min_f16 v26, v29, v26
	v_pk_min_f16 v29, v26, v27
	v_lshlrev_b64 v[26:27], 1, v[46:47]
	s_delay_alu instid0(VALU_DEP_2) | instskip(NEXT) | instid1(VALU_DEP_2)
	v_lshrrev_b32_e32 v30, 16, v29
	v_add_co_u32 v24, vcc_lo, v24, v26
	s_delay_alu instid0(VALU_DEP_3) | instskip(NEXT) | instid1(VALU_DEP_3)
	v_add_co_ci_u32_e32 v25, vcc_lo, v25, v27, vcc_lo
	v_min3_f16 v28, v28, v29, v30
	global_store_b16 v[24:25], v28, off
.LBB223_212:
	s_or_b32 exec_lo, exec_lo, s8
	v_add_nc_u32_e32 v28, 0x80, v79
	s_delay_alu instid0(VALU_DEP_1) | instskip(SKIP_2) | instid1(VALU_DEP_3)
	v_mad_i64_i32 v[24:25], null, v28, s14, 0
	v_mad_i64_i32 v[26:27], null, v28, s9, 0
	v_cmp_gt_i32_e64 s8, s17, v28
	v_lshlrev_b64 v[24:25], 1, v[24:25]
	s_delay_alu instid0(VALU_DEP_2) | instskip(NEXT) | instid1(VALU_DEP_3)
	s_and_b32 s16, s0, s8
	v_lshlrev_b64 v[28:29], 1, v[26:27]
	s_delay_alu instid0(VALU_DEP_2) | instskip(NEXT) | instid1(VALU_DEP_3)
	v_add_co_u32 v26, vcc_lo, s10, v24
	v_add_co_ci_u32_e32 v27, vcc_lo, s11, v25, vcc_lo
	s_delay_alu instid0(VALU_DEP_3) | instskip(NEXT) | instid1(VALU_DEP_4)
	v_add_co_u32 v24, vcc_lo, s12, v28
	v_add_co_ci_u32_e32 v25, vcc_lo, s13, v29, vcc_lo
	s_and_saveexec_b32 s15, s16
	s_cbranch_execnz .LBB223_220
; %bb.213:
	s_or_b32 exec_lo, exec_lo, s15
	s_and_b32 s16, s1, s8
	s_delay_alu instid0(SALU_CYCLE_1)
	s_and_saveexec_b32 s15, s16
	s_cbranch_execnz .LBB223_224
.LBB223_214:
	s_or_b32 exec_lo, exec_lo, s15
	s_and_b32 s16, s2, s8
	s_delay_alu instid0(SALU_CYCLE_1)
	s_and_saveexec_b32 s15, s16
	s_cbranch_execnz .LBB223_228
.LBB223_215:
	s_or_b32 exec_lo, exec_lo, s15
	s_and_b32 s16, s3, s8
	s_delay_alu instid0(SALU_CYCLE_1)
	s_and_saveexec_b32 s15, s16
	s_cbranch_execnz .LBB223_232
.LBB223_216:
	s_or_b32 exec_lo, exec_lo, s15
	s_and_b32 s16, s4, s8
	s_delay_alu instid0(SALU_CYCLE_1)
	s_and_saveexec_b32 s15, s16
	s_cbranch_execnz .LBB223_236
.LBB223_217:
	s_or_b32 exec_lo, exec_lo, s15
	s_and_b32 s16, s5, s8
	s_delay_alu instid0(SALU_CYCLE_1)
	s_and_saveexec_b32 s15, s16
	s_cbranch_execnz .LBB223_240
.LBB223_218:
	s_or_b32 exec_lo, exec_lo, s15
	s_and_b32 s16, s6, s8
	s_delay_alu instid0(SALU_CYCLE_1)
	s_and_saveexec_b32 s15, s16
	s_cbranch_execnz .LBB223_244
.LBB223_219:
	s_or_b32 exec_lo, exec_lo, s15
	s_and_b32 s15, s7, s8
	s_delay_alu instid0(SALU_CYCLE_1)
	s_and_saveexec_b32 s8, s15
	s_cbranch_execnz .LBB223_248
	s_branch .LBB223_252
.LBB223_220:
	v_cmp_ne_u32_e32 vcc_lo, 1, v72
	s_cbranch_vccnz .LBB223_222
; %bb.221:
	v_lshlrev_b64 v[28:29], 1, v[32:33]
	s_delay_alu instid0(VALU_DEP_1) | instskip(NEXT) | instid1(VALU_DEP_2)
	v_add_co_u32 v28, vcc_lo, v26, v28
	v_add_co_ci_u32_e32 v29, vcc_lo, v27, v29, vcc_lo
	flat_load_u16 v28, v[28:29]
	s_waitcnt vmcnt(0) lgkmcnt(0)
	v_mul_f16_e32 v28, s19, v28
	s_branch .LBB223_223
.LBB223_222:
	v_mov_b32_e32 v28, 0
.LBB223_223:
	v_pk_add_f16 v29, v16, v20
	v_pk_max_f16 v30, v81, v81
	v_pk_add_f16 v31, v17, v21
	s_delay_alu instid0(VALU_DEP_2) | instskip(NEXT) | instid1(VALU_DEP_1)
	v_pk_min_f16 v29, v30, v29
	v_pk_min_f16 v31, v29, v31
	v_lshlrev_b64 v[29:30], 1, v[32:33]
	s_delay_alu instid0(VALU_DEP_2) | instskip(NEXT) | instid1(VALU_DEP_1)
	v_lshrrev_b32_e32 v81, 16, v31
	v_min3_f16 v31, v28, v31, v81
	s_delay_alu instid0(VALU_DEP_3) | instskip(NEXT) | instid1(VALU_DEP_4)
	v_add_co_u32 v28, vcc_lo, v24, v29
	v_add_co_ci_u32_e32 v29, vcc_lo, v25, v30, vcc_lo
	global_store_b16 v[28:29], v31, off
	s_or_b32 exec_lo, exec_lo, s15
	s_and_b32 s16, s1, s8
	s_delay_alu instid0(SALU_CYCLE_1)
	s_and_saveexec_b32 s15, s16
	s_cbranch_execz .LBB223_214
.LBB223_224:
	v_cmp_ne_u32_e32 vcc_lo, 1, v72
	s_cbranch_vccnz .LBB223_226
; %bb.225:
	v_lshlrev_b64 v[28:29], 1, v[34:35]
	s_delay_alu instid0(VALU_DEP_1) | instskip(NEXT) | instid1(VALU_DEP_2)
	v_add_co_u32 v28, vcc_lo, v26, v28
	v_add_co_ci_u32_e32 v29, vcc_lo, v27, v29, vcc_lo
	flat_load_u16 v28, v[28:29]
	s_waitcnt vmcnt(0) lgkmcnt(0)
	v_mul_f16_e32 v28, s19, v28
	s_branch .LBB223_227
.LBB223_226:
	v_mov_b32_e32 v28, 0
.LBB223_227:
	v_pk_add_f16 v29, v18, v20
	v_pk_max_f16 v30, v80, v80
	v_pk_add_f16 v31, v19, v21
	s_delay_alu instid0(VALU_DEP_2) | instskip(NEXT) | instid1(VALU_DEP_1)
	v_pk_min_f16 v29, v30, v29
	v_pk_min_f16 v31, v29, v31
	v_lshlrev_b64 v[29:30], 1, v[34:35]
	s_delay_alu instid0(VALU_DEP_2) | instskip(NEXT) | instid1(VALU_DEP_1)
	v_lshrrev_b32_e32 v80, 16, v31
	v_min3_f16 v31, v28, v31, v80
	s_delay_alu instid0(VALU_DEP_3) | instskip(NEXT) | instid1(VALU_DEP_4)
	v_add_co_u32 v28, vcc_lo, v24, v29
	v_add_co_ci_u32_e32 v29, vcc_lo, v25, v30, vcc_lo
	global_store_b16 v[28:29], v31, off
	s_or_b32 exec_lo, exec_lo, s15
	s_and_b32 s16, s2, s8
	s_delay_alu instid0(SALU_CYCLE_1)
	s_and_saveexec_b32 s15, s16
	s_cbranch_execz .LBB223_215
.LBB223_228:
	v_cmp_ne_u32_e32 vcc_lo, 1, v72
	s_cbranch_vccnz .LBB223_230
; %bb.229:
	v_lshlrev_b64 v[28:29], 1, v[36:37]
	s_delay_alu instid0(VALU_DEP_1) | instskip(NEXT) | instid1(VALU_DEP_2)
	v_add_co_u32 v28, vcc_lo, v26, v28
	v_add_co_ci_u32_e32 v29, vcc_lo, v27, v29, vcc_lo
	flat_load_u16 v28, v[28:29]
	s_waitcnt vmcnt(0) lgkmcnt(0)
	v_mul_f16_e32 v28, s19, v28
	s_branch .LBB223_231
.LBB223_230:
	v_mov_b32_e32 v28, 0
.LBB223_231:
	v_pk_add_f16 v29, v12, v20
	v_pk_max_f16 v30, v78, v78
	v_pk_add_f16 v31, v13, v21
	s_delay_alu instid0(VALU_DEP_2) | instskip(NEXT) | instid1(VALU_DEP_1)
	v_pk_min_f16 v29, v30, v29
	v_pk_min_f16 v31, v29, v31
	v_lshlrev_b64 v[29:30], 1, v[36:37]
	s_delay_alu instid0(VALU_DEP_2) | instskip(NEXT) | instid1(VALU_DEP_1)
	v_lshrrev_b32_e32 v78, 16, v31
	v_min3_f16 v31, v28, v31, v78
	s_delay_alu instid0(VALU_DEP_3) | instskip(NEXT) | instid1(VALU_DEP_4)
	v_add_co_u32 v28, vcc_lo, v24, v29
	v_add_co_ci_u32_e32 v29, vcc_lo, v25, v30, vcc_lo
	global_store_b16 v[28:29], v31, off
	s_or_b32 exec_lo, exec_lo, s15
	s_and_b32 s16, s3, s8
	s_delay_alu instid0(SALU_CYCLE_1)
	s_and_saveexec_b32 s15, s16
	s_cbranch_execz .LBB223_216
.LBB223_232:
	v_cmp_ne_u32_e32 vcc_lo, 1, v72
	s_cbranch_vccnz .LBB223_234
; %bb.233:
	v_lshlrev_b64 v[28:29], 1, v[38:39]
	s_delay_alu instid0(VALU_DEP_1) | instskip(NEXT) | instid1(VALU_DEP_2)
	v_add_co_u32 v28, vcc_lo, v26, v28
	v_add_co_ci_u32_e32 v29, vcc_lo, v27, v29, vcc_lo
	flat_load_u16 v28, v[28:29]
	s_waitcnt vmcnt(0) lgkmcnt(0)
	v_mul_f16_e32 v28, s19, v28
	s_branch .LBB223_235
.LBB223_234:
	v_mov_b32_e32 v28, 0
.LBB223_235:
	v_pk_add_f16 v29, v14, v20
	v_pk_max_f16 v30, v77, v77
	v_pk_add_f16 v31, v15, v21
	s_delay_alu instid0(VALU_DEP_2) | instskip(NEXT) | instid1(VALU_DEP_1)
	v_pk_min_f16 v29, v30, v29
	v_pk_min_f16 v31, v29, v31
	v_lshlrev_b64 v[29:30], 1, v[38:39]
	s_delay_alu instid0(VALU_DEP_2) | instskip(NEXT) | instid1(VALU_DEP_1)
	v_lshrrev_b32_e32 v77, 16, v31
	v_min3_f16 v31, v28, v31, v77
	s_delay_alu instid0(VALU_DEP_3) | instskip(NEXT) | instid1(VALU_DEP_4)
	v_add_co_u32 v28, vcc_lo, v24, v29
	v_add_co_ci_u32_e32 v29, vcc_lo, v25, v30, vcc_lo
	global_store_b16 v[28:29], v31, off
	s_or_b32 exec_lo, exec_lo, s15
	s_and_b32 s16, s4, s8
	s_delay_alu instid0(SALU_CYCLE_1)
	s_and_saveexec_b32 s15, s16
	s_cbranch_execz .LBB223_217
.LBB223_236:
	v_cmp_ne_u32_e32 vcc_lo, 1, v72
	s_cbranch_vccnz .LBB223_238
; %bb.237:
	v_lshlrev_b64 v[28:29], 1, v[40:41]
	s_delay_alu instid0(VALU_DEP_1) | instskip(NEXT) | instid1(VALU_DEP_2)
	v_add_co_u32 v28, vcc_lo, v26, v28
	v_add_co_ci_u32_e32 v29, vcc_lo, v27, v29, vcc_lo
	flat_load_u16 v28, v[28:29]
	s_waitcnt vmcnt(0) lgkmcnt(0)
	v_mul_f16_e32 v28, s19, v28
	s_branch .LBB223_239
.LBB223_238:
	v_mov_b32_e32 v28, 0
.LBB223_239:
	v_pk_add_f16 v29, v8, v20
	v_pk_max_f16 v30, v76, v76
	v_pk_add_f16 v31, v9, v21
	s_delay_alu instid0(VALU_DEP_2) | instskip(NEXT) | instid1(VALU_DEP_1)
	v_pk_min_f16 v29, v30, v29
	v_pk_min_f16 v31, v29, v31
	v_lshlrev_b64 v[29:30], 1, v[40:41]
	s_delay_alu instid0(VALU_DEP_2) | instskip(NEXT) | instid1(VALU_DEP_1)
	v_lshrrev_b32_e32 v76, 16, v31
	v_min3_f16 v31, v28, v31, v76
	s_delay_alu instid0(VALU_DEP_3) | instskip(NEXT) | instid1(VALU_DEP_4)
	v_add_co_u32 v28, vcc_lo, v24, v29
	v_add_co_ci_u32_e32 v29, vcc_lo, v25, v30, vcc_lo
	global_store_b16 v[28:29], v31, off
	s_or_b32 exec_lo, exec_lo, s15
	s_and_b32 s16, s5, s8
	s_delay_alu instid0(SALU_CYCLE_1)
	s_and_saveexec_b32 s15, s16
	s_cbranch_execz .LBB223_218
.LBB223_240:
	v_cmp_ne_u32_e32 vcc_lo, 1, v72
	s_cbranch_vccnz .LBB223_242
; %bb.241:
	v_lshlrev_b64 v[28:29], 1, v[42:43]
	s_delay_alu instid0(VALU_DEP_1) | instskip(NEXT) | instid1(VALU_DEP_2)
	v_add_co_u32 v28, vcc_lo, v26, v28
	v_add_co_ci_u32_e32 v29, vcc_lo, v27, v29, vcc_lo
	flat_load_u16 v28, v[28:29]
	s_waitcnt vmcnt(0) lgkmcnt(0)
	v_mul_f16_e32 v28, s19, v28
	s_branch .LBB223_243
.LBB223_242:
	v_mov_b32_e32 v28, 0
.LBB223_243:
	v_pk_add_f16 v29, v10, v20
	v_pk_max_f16 v30, v75, v75
	v_pk_add_f16 v31, v11, v21
	s_delay_alu instid0(VALU_DEP_2) | instskip(NEXT) | instid1(VALU_DEP_1)
	v_pk_min_f16 v29, v30, v29
	v_pk_min_f16 v31, v29, v31
	v_lshlrev_b64 v[29:30], 1, v[42:43]
	s_delay_alu instid0(VALU_DEP_2) | instskip(NEXT) | instid1(VALU_DEP_1)
	v_lshrrev_b32_e32 v75, 16, v31
	v_min3_f16 v31, v28, v31, v75
	s_delay_alu instid0(VALU_DEP_3) | instskip(NEXT) | instid1(VALU_DEP_4)
	v_add_co_u32 v28, vcc_lo, v24, v29
	v_add_co_ci_u32_e32 v29, vcc_lo, v25, v30, vcc_lo
	global_store_b16 v[28:29], v31, off
	s_or_b32 exec_lo, exec_lo, s15
	s_and_b32 s16, s6, s8
	s_delay_alu instid0(SALU_CYCLE_1)
	s_and_saveexec_b32 s15, s16
	s_cbranch_execz .LBB223_219
.LBB223_244:
	v_cmp_ne_u32_e32 vcc_lo, 1, v72
	s_cbranch_vccnz .LBB223_246
; %bb.245:
	v_lshlrev_b64 v[28:29], 1, v[44:45]
	s_delay_alu instid0(VALU_DEP_1) | instskip(NEXT) | instid1(VALU_DEP_2)
	v_add_co_u32 v28, vcc_lo, v26, v28
	v_add_co_ci_u32_e32 v29, vcc_lo, v27, v29, vcc_lo
	flat_load_u16 v28, v[28:29]
	s_waitcnt vmcnt(0) lgkmcnt(0)
	v_mul_f16_e32 v28, s19, v28
	s_branch .LBB223_247
.LBB223_246:
	v_mov_b32_e32 v28, 0
.LBB223_247:
	v_pk_add_f16 v29, v0, v20
	v_pk_max_f16 v30, v74, v74
	v_pk_add_f16 v31, v1, v21
	s_delay_alu instid0(VALU_DEP_2) | instskip(NEXT) | instid1(VALU_DEP_1)
	v_pk_min_f16 v29, v30, v29
	v_pk_min_f16 v31, v29, v31
	v_lshlrev_b64 v[29:30], 1, v[44:45]
	s_delay_alu instid0(VALU_DEP_2) | instskip(NEXT) | instid1(VALU_DEP_1)
	v_lshrrev_b32_e32 v74, 16, v31
	v_min3_f16 v31, v28, v31, v74
	s_delay_alu instid0(VALU_DEP_3) | instskip(NEXT) | instid1(VALU_DEP_4)
	v_add_co_u32 v28, vcc_lo, v24, v29
	v_add_co_ci_u32_e32 v29, vcc_lo, v25, v30, vcc_lo
	global_store_b16 v[28:29], v31, off
	s_or_b32 exec_lo, exec_lo, s15
	s_and_b32 s15, s7, s8
	s_delay_alu instid0(SALU_CYCLE_1)
	s_and_saveexec_b32 s8, s15
	s_cbranch_execz .LBB223_252
.LBB223_248:
	v_cmp_ne_u32_e32 vcc_lo, 1, v72
	s_cbranch_vccnz .LBB223_250
; %bb.249:
	v_lshlrev_b64 v[28:29], 1, v[46:47]
	s_delay_alu instid0(VALU_DEP_1) | instskip(NEXT) | instid1(VALU_DEP_2)
	v_add_co_u32 v26, vcc_lo, v26, v28
	v_add_co_ci_u32_e32 v27, vcc_lo, v27, v29, vcc_lo
	flat_load_u16 v26, v[26:27]
	s_waitcnt vmcnt(0) lgkmcnt(0)
	v_mul_f16_e32 v26, s19, v26
	s_branch .LBB223_251
.LBB223_250:
	v_mov_b32_e32 v26, 0
.LBB223_251:
	v_pk_add_f16 v20, v2, v20
	v_pk_max_f16 v27, v73, v73
	v_pk_add_f16 v21, v3, v21
	s_delay_alu instid0(VALU_DEP_2) | instskip(NEXT) | instid1(VALU_DEP_1)
	v_pk_min_f16 v20, v27, v20
	v_pk_min_f16 v27, v20, v21
	v_lshlrev_b64 v[20:21], 1, v[46:47]
	s_delay_alu instid0(VALU_DEP_2) | instskip(NEXT) | instid1(VALU_DEP_2)
	v_lshrrev_b32_e32 v28, 16, v27
	v_add_co_u32 v20, vcc_lo, v24, v20
	s_delay_alu instid0(VALU_DEP_3) | instskip(NEXT) | instid1(VALU_DEP_3)
	v_add_co_ci_u32_e32 v21, vcc_lo, v25, v21, vcc_lo
	v_min3_f16 v26, v26, v27, v28
	global_store_b16 v[20:21], v26, off
.LBB223_252:
	s_or_b32 exec_lo, exec_lo, s8
	v_add_nc_u32_e32 v26, 0xa0, v79
	s_delay_alu instid0(VALU_DEP_1) | instskip(SKIP_2) | instid1(VALU_DEP_3)
	v_mad_i64_i32 v[20:21], null, v26, s14, 0
	v_mad_i64_i32 v[24:25], null, v26, s9, 0
	v_cmp_gt_i32_e64 s8, s17, v26
	v_lshlrev_b64 v[20:21], 1, v[20:21]
	s_delay_alu instid0(VALU_DEP_2) | instskip(NEXT) | instid1(VALU_DEP_3)
	s_and_b32 s16, s0, s8
	v_lshlrev_b64 v[26:27], 1, v[24:25]
	s_delay_alu instid0(VALU_DEP_2) | instskip(NEXT) | instid1(VALU_DEP_3)
	v_add_co_u32 v24, vcc_lo, s10, v20
	v_add_co_ci_u32_e32 v25, vcc_lo, s11, v21, vcc_lo
	s_delay_alu instid0(VALU_DEP_3) | instskip(NEXT) | instid1(VALU_DEP_4)
	v_add_co_u32 v20, vcc_lo, s12, v26
	v_add_co_ci_u32_e32 v21, vcc_lo, s13, v27, vcc_lo
	s_and_saveexec_b32 s15, s16
	s_cbranch_execnz .LBB223_260
; %bb.253:
	s_or_b32 exec_lo, exec_lo, s15
	s_and_b32 s16, s1, s8
	s_delay_alu instid0(SALU_CYCLE_1)
	s_and_saveexec_b32 s15, s16
	s_cbranch_execnz .LBB223_264
.LBB223_254:
	s_or_b32 exec_lo, exec_lo, s15
	s_and_b32 s16, s2, s8
	s_delay_alu instid0(SALU_CYCLE_1)
	s_and_saveexec_b32 s15, s16
	s_cbranch_execnz .LBB223_268
.LBB223_255:
	s_or_b32 exec_lo, exec_lo, s15
	s_and_b32 s16, s3, s8
	s_delay_alu instid0(SALU_CYCLE_1)
	s_and_saveexec_b32 s15, s16
	s_cbranch_execnz .LBB223_272
.LBB223_256:
	s_or_b32 exec_lo, exec_lo, s15
	s_and_b32 s16, s4, s8
	s_delay_alu instid0(SALU_CYCLE_1)
	s_and_saveexec_b32 s15, s16
	s_cbranch_execnz .LBB223_276
.LBB223_257:
	s_or_b32 exec_lo, exec_lo, s15
	s_and_b32 s16, s5, s8
	s_delay_alu instid0(SALU_CYCLE_1)
	s_and_saveexec_b32 s15, s16
	s_cbranch_execnz .LBB223_280
.LBB223_258:
	s_or_b32 exec_lo, exec_lo, s15
	s_and_b32 s16, s6, s8
	s_delay_alu instid0(SALU_CYCLE_1)
	s_and_saveexec_b32 s15, s16
	s_cbranch_execnz .LBB223_284
.LBB223_259:
	s_or_b32 exec_lo, exec_lo, s15
	s_and_b32 s15, s7, s8
	s_delay_alu instid0(SALU_CYCLE_1)
	s_and_saveexec_b32 s8, s15
	s_cbranch_execnz .LBB223_288
	s_branch .LBB223_292
.LBB223_260:
	v_cmp_ne_u32_e32 vcc_lo, 1, v72
	s_cbranch_vccnz .LBB223_262
; %bb.261:
	v_lshlrev_b64 v[26:27], 1, v[32:33]
	s_delay_alu instid0(VALU_DEP_1) | instskip(NEXT) | instid1(VALU_DEP_2)
	v_add_co_u32 v26, vcc_lo, v24, v26
	v_add_co_ci_u32_e32 v27, vcc_lo, v25, v27, vcc_lo
	flat_load_u16 v26, v[26:27]
	s_waitcnt vmcnt(0) lgkmcnt(0)
	v_mul_f16_e32 v26, s19, v26
	s_branch .LBB223_263
.LBB223_262:
	v_mov_b32_e32 v26, 0
.LBB223_263:
	v_pk_add_f16 v27, v16, v22
	v_pk_max_f16 v28, v71, v71
	v_pk_add_f16 v29, v17, v23
	s_delay_alu instid0(VALU_DEP_2) | instskip(NEXT) | instid1(VALU_DEP_1)
	v_pk_min_f16 v27, v28, v27
	v_pk_min_f16 v29, v27, v29
	v_lshlrev_b64 v[27:28], 1, v[32:33]
	s_delay_alu instid0(VALU_DEP_2) | instskip(NEXT) | instid1(VALU_DEP_1)
	v_lshrrev_b32_e32 v30, 16, v29
	v_min3_f16 v29, v26, v29, v30
	s_delay_alu instid0(VALU_DEP_3) | instskip(NEXT) | instid1(VALU_DEP_4)
	v_add_co_u32 v26, vcc_lo, v20, v27
	v_add_co_ci_u32_e32 v27, vcc_lo, v21, v28, vcc_lo
	global_store_b16 v[26:27], v29, off
	s_or_b32 exec_lo, exec_lo, s15
	s_and_b32 s16, s1, s8
	s_delay_alu instid0(SALU_CYCLE_1)
	s_and_saveexec_b32 s15, s16
	s_cbranch_execz .LBB223_254
.LBB223_264:
	v_cmp_ne_u32_e32 vcc_lo, 1, v72
	s_cbranch_vccnz .LBB223_266
; %bb.265:
	v_lshlrev_b64 v[26:27], 1, v[34:35]
	s_delay_alu instid0(VALU_DEP_1) | instskip(NEXT) | instid1(VALU_DEP_2)
	v_add_co_u32 v26, vcc_lo, v24, v26
	v_add_co_ci_u32_e32 v27, vcc_lo, v25, v27, vcc_lo
	flat_load_u16 v26, v[26:27]
	s_waitcnt vmcnt(0) lgkmcnt(0)
	v_mul_f16_e32 v26, s19, v26
	s_branch .LBB223_267
.LBB223_266:
	v_mov_b32_e32 v26, 0
.LBB223_267:
	v_pk_add_f16 v27, v18, v22
	v_pk_max_f16 v28, v70, v70
	v_pk_add_f16 v29, v19, v23
	s_delay_alu instid0(VALU_DEP_2) | instskip(NEXT) | instid1(VALU_DEP_1)
	v_pk_min_f16 v27, v28, v27
	v_pk_min_f16 v29, v27, v29
	v_lshlrev_b64 v[27:28], 1, v[34:35]
	s_delay_alu instid0(VALU_DEP_2) | instskip(NEXT) | instid1(VALU_DEP_1)
	v_lshrrev_b32_e32 v30, 16, v29
	v_min3_f16 v29, v26, v29, v30
	s_delay_alu instid0(VALU_DEP_3) | instskip(NEXT) | instid1(VALU_DEP_4)
	v_add_co_u32 v26, vcc_lo, v20, v27
	v_add_co_ci_u32_e32 v27, vcc_lo, v21, v28, vcc_lo
	global_store_b16 v[26:27], v29, off
	s_or_b32 exec_lo, exec_lo, s15
	s_and_b32 s16, s2, s8
	s_delay_alu instid0(SALU_CYCLE_1)
	s_and_saveexec_b32 s15, s16
	s_cbranch_execz .LBB223_255
.LBB223_268:
	v_cmp_ne_u32_e32 vcc_lo, 1, v72
	s_cbranch_vccnz .LBB223_270
; %bb.269:
	v_lshlrev_b64 v[26:27], 1, v[36:37]
	s_delay_alu instid0(VALU_DEP_1) | instskip(NEXT) | instid1(VALU_DEP_2)
	v_add_co_u32 v26, vcc_lo, v24, v26
	v_add_co_ci_u32_e32 v27, vcc_lo, v25, v27, vcc_lo
	flat_load_u16 v26, v[26:27]
	s_waitcnt vmcnt(0) lgkmcnt(0)
	v_mul_f16_e32 v26, s19, v26
	s_branch .LBB223_271
.LBB223_270:
	v_mov_b32_e32 v26, 0
.LBB223_271:
	v_pk_add_f16 v27, v12, v22
	v_pk_max_f16 v28, v69, v69
	v_pk_add_f16 v29, v13, v23
	s_delay_alu instid0(VALU_DEP_2) | instskip(NEXT) | instid1(VALU_DEP_1)
	v_pk_min_f16 v27, v28, v27
	v_pk_min_f16 v29, v27, v29
	v_lshlrev_b64 v[27:28], 1, v[36:37]
	s_delay_alu instid0(VALU_DEP_2) | instskip(NEXT) | instid1(VALU_DEP_1)
	v_lshrrev_b32_e32 v30, 16, v29
	v_min3_f16 v29, v26, v29, v30
	s_delay_alu instid0(VALU_DEP_3) | instskip(NEXT) | instid1(VALU_DEP_4)
	v_add_co_u32 v26, vcc_lo, v20, v27
	v_add_co_ci_u32_e32 v27, vcc_lo, v21, v28, vcc_lo
	global_store_b16 v[26:27], v29, off
	s_or_b32 exec_lo, exec_lo, s15
	s_and_b32 s16, s3, s8
	s_delay_alu instid0(SALU_CYCLE_1)
	s_and_saveexec_b32 s15, s16
	s_cbranch_execz .LBB223_256
.LBB223_272:
	v_cmp_ne_u32_e32 vcc_lo, 1, v72
	s_cbranch_vccnz .LBB223_274
; %bb.273:
	v_lshlrev_b64 v[26:27], 1, v[38:39]
	s_delay_alu instid0(VALU_DEP_1) | instskip(NEXT) | instid1(VALU_DEP_2)
	v_add_co_u32 v26, vcc_lo, v24, v26
	v_add_co_ci_u32_e32 v27, vcc_lo, v25, v27, vcc_lo
	flat_load_u16 v26, v[26:27]
	s_waitcnt vmcnt(0) lgkmcnt(0)
	v_mul_f16_e32 v26, s19, v26
	s_branch .LBB223_275
.LBB223_274:
	v_mov_b32_e32 v26, 0
.LBB223_275:
	v_pk_add_f16 v27, v14, v22
	v_pk_max_f16 v28, v68, v68
	v_pk_add_f16 v29, v15, v23
	s_delay_alu instid0(VALU_DEP_2) | instskip(NEXT) | instid1(VALU_DEP_1)
	v_pk_min_f16 v27, v28, v27
	v_pk_min_f16 v29, v27, v29
	v_lshlrev_b64 v[27:28], 1, v[38:39]
	s_delay_alu instid0(VALU_DEP_2) | instskip(NEXT) | instid1(VALU_DEP_1)
	v_lshrrev_b32_e32 v30, 16, v29
	v_min3_f16 v29, v26, v29, v30
	s_delay_alu instid0(VALU_DEP_3) | instskip(NEXT) | instid1(VALU_DEP_4)
	v_add_co_u32 v26, vcc_lo, v20, v27
	v_add_co_ci_u32_e32 v27, vcc_lo, v21, v28, vcc_lo
	global_store_b16 v[26:27], v29, off
	s_or_b32 exec_lo, exec_lo, s15
	s_and_b32 s16, s4, s8
	s_delay_alu instid0(SALU_CYCLE_1)
	s_and_saveexec_b32 s15, s16
	s_cbranch_execz .LBB223_257
.LBB223_276:
	v_cmp_ne_u32_e32 vcc_lo, 1, v72
	s_cbranch_vccnz .LBB223_278
; %bb.277:
	v_lshlrev_b64 v[26:27], 1, v[40:41]
	s_delay_alu instid0(VALU_DEP_1) | instskip(NEXT) | instid1(VALU_DEP_2)
	v_add_co_u32 v26, vcc_lo, v24, v26
	v_add_co_ci_u32_e32 v27, vcc_lo, v25, v27, vcc_lo
	flat_load_u16 v26, v[26:27]
	s_waitcnt vmcnt(0) lgkmcnt(0)
	v_mul_f16_e32 v26, s19, v26
	s_branch .LBB223_279
.LBB223_278:
	v_mov_b32_e32 v26, 0
.LBB223_279:
	v_pk_add_f16 v27, v8, v22
	v_pk_max_f16 v28, v67, v67
	v_pk_add_f16 v29, v9, v23
	s_delay_alu instid0(VALU_DEP_2) | instskip(NEXT) | instid1(VALU_DEP_1)
	v_pk_min_f16 v27, v28, v27
	v_pk_min_f16 v29, v27, v29
	v_lshlrev_b64 v[27:28], 1, v[40:41]
	s_delay_alu instid0(VALU_DEP_2) | instskip(NEXT) | instid1(VALU_DEP_1)
	v_lshrrev_b32_e32 v30, 16, v29
	v_min3_f16 v29, v26, v29, v30
	s_delay_alu instid0(VALU_DEP_3) | instskip(NEXT) | instid1(VALU_DEP_4)
	v_add_co_u32 v26, vcc_lo, v20, v27
	v_add_co_ci_u32_e32 v27, vcc_lo, v21, v28, vcc_lo
	global_store_b16 v[26:27], v29, off
	s_or_b32 exec_lo, exec_lo, s15
	s_and_b32 s16, s5, s8
	s_delay_alu instid0(SALU_CYCLE_1)
	s_and_saveexec_b32 s15, s16
	s_cbranch_execz .LBB223_258
.LBB223_280:
	v_cmp_ne_u32_e32 vcc_lo, 1, v72
	s_cbranch_vccnz .LBB223_282
; %bb.281:
	v_lshlrev_b64 v[26:27], 1, v[42:43]
	s_delay_alu instid0(VALU_DEP_1) | instskip(NEXT) | instid1(VALU_DEP_2)
	v_add_co_u32 v26, vcc_lo, v24, v26
	v_add_co_ci_u32_e32 v27, vcc_lo, v25, v27, vcc_lo
	flat_load_u16 v26, v[26:27]
	s_waitcnt vmcnt(0) lgkmcnt(0)
	v_mul_f16_e32 v26, s19, v26
	s_branch .LBB223_283
.LBB223_282:
	v_mov_b32_e32 v26, 0
.LBB223_283:
	v_pk_add_f16 v27, v10, v22
	v_pk_max_f16 v28, v66, v66
	v_pk_add_f16 v29, v11, v23
	s_delay_alu instid0(VALU_DEP_2) | instskip(NEXT) | instid1(VALU_DEP_1)
	v_pk_min_f16 v27, v28, v27
	v_pk_min_f16 v29, v27, v29
	v_lshlrev_b64 v[27:28], 1, v[42:43]
	s_delay_alu instid0(VALU_DEP_2) | instskip(NEXT) | instid1(VALU_DEP_1)
	v_lshrrev_b32_e32 v30, 16, v29
	v_min3_f16 v29, v26, v29, v30
	s_delay_alu instid0(VALU_DEP_3) | instskip(NEXT) | instid1(VALU_DEP_4)
	v_add_co_u32 v26, vcc_lo, v20, v27
	v_add_co_ci_u32_e32 v27, vcc_lo, v21, v28, vcc_lo
	global_store_b16 v[26:27], v29, off
	s_or_b32 exec_lo, exec_lo, s15
	s_and_b32 s16, s6, s8
	s_delay_alu instid0(SALU_CYCLE_1)
	s_and_saveexec_b32 s15, s16
	s_cbranch_execz .LBB223_259
.LBB223_284:
	v_cmp_ne_u32_e32 vcc_lo, 1, v72
	s_cbranch_vccnz .LBB223_286
; %bb.285:
	v_lshlrev_b64 v[26:27], 1, v[44:45]
	s_delay_alu instid0(VALU_DEP_1) | instskip(NEXT) | instid1(VALU_DEP_2)
	v_add_co_u32 v26, vcc_lo, v24, v26
	v_add_co_ci_u32_e32 v27, vcc_lo, v25, v27, vcc_lo
	flat_load_u16 v26, v[26:27]
	s_waitcnt vmcnt(0) lgkmcnt(0)
	v_mul_f16_e32 v26, s19, v26
	s_branch .LBB223_287
.LBB223_286:
	v_mov_b32_e32 v26, 0
.LBB223_287:
	v_pk_add_f16 v27, v0, v22
	v_pk_max_f16 v28, v65, v65
	v_pk_add_f16 v29, v1, v23
	s_delay_alu instid0(VALU_DEP_2) | instskip(NEXT) | instid1(VALU_DEP_1)
	v_pk_min_f16 v27, v28, v27
	v_pk_min_f16 v29, v27, v29
	v_lshlrev_b64 v[27:28], 1, v[44:45]
	s_delay_alu instid0(VALU_DEP_2) | instskip(NEXT) | instid1(VALU_DEP_1)
	v_lshrrev_b32_e32 v30, 16, v29
	v_min3_f16 v29, v26, v29, v30
	s_delay_alu instid0(VALU_DEP_3) | instskip(NEXT) | instid1(VALU_DEP_4)
	v_add_co_u32 v26, vcc_lo, v20, v27
	v_add_co_ci_u32_e32 v27, vcc_lo, v21, v28, vcc_lo
	global_store_b16 v[26:27], v29, off
	s_or_b32 exec_lo, exec_lo, s15
	s_and_b32 s15, s7, s8
	s_delay_alu instid0(SALU_CYCLE_1)
	s_and_saveexec_b32 s8, s15
	s_cbranch_execz .LBB223_292
.LBB223_288:
	v_cmp_ne_u32_e32 vcc_lo, 1, v72
	s_cbranch_vccnz .LBB223_290
; %bb.289:
	v_lshlrev_b64 v[26:27], 1, v[46:47]
	s_delay_alu instid0(VALU_DEP_1) | instskip(NEXT) | instid1(VALU_DEP_2)
	v_add_co_u32 v24, vcc_lo, v24, v26
	v_add_co_ci_u32_e32 v25, vcc_lo, v25, v27, vcc_lo
	flat_load_u16 v24, v[24:25]
	s_waitcnt vmcnt(0) lgkmcnt(0)
	v_mul_f16_e32 v24, s19, v24
	s_branch .LBB223_291
.LBB223_290:
	v_mov_b32_e32 v24, 0
.LBB223_291:
	v_pk_add_f16 v22, v2, v22
	v_pk_max_f16 v25, v64, v64
	v_pk_add_f16 v23, v3, v23
	s_delay_alu instid0(VALU_DEP_2) | instskip(NEXT) | instid1(VALU_DEP_1)
	v_pk_min_f16 v22, v25, v22
	v_pk_min_f16 v25, v22, v23
	v_lshlrev_b64 v[22:23], 1, v[46:47]
	s_delay_alu instid0(VALU_DEP_2) | instskip(NEXT) | instid1(VALU_DEP_2)
	v_lshrrev_b32_e32 v26, 16, v25
	v_add_co_u32 v20, vcc_lo, v20, v22
	s_delay_alu instid0(VALU_DEP_3) | instskip(NEXT) | instid1(VALU_DEP_3)
	v_add_co_ci_u32_e32 v21, vcc_lo, v21, v23, vcc_lo
	v_min3_f16 v24, v24, v25, v26
	global_store_b16 v[20:21], v24, off
.LBB223_292:
	s_or_b32 exec_lo, exec_lo, s8
	v_add_nc_u32_e32 v24, 0xc0, v79
	s_delay_alu instid0(VALU_DEP_1) | instskip(SKIP_2) | instid1(VALU_DEP_3)
	v_mad_i64_i32 v[20:21], null, v24, s14, 0
	v_mad_i64_i32 v[22:23], null, v24, s9, 0
	v_cmp_gt_i32_e64 s8, s17, v24
	v_lshlrev_b64 v[20:21], 1, v[20:21]
	s_delay_alu instid0(VALU_DEP_2) | instskip(NEXT) | instid1(VALU_DEP_3)
	s_and_b32 s16, s0, s8
	v_lshlrev_b64 v[24:25], 1, v[22:23]
	s_delay_alu instid0(VALU_DEP_2) | instskip(NEXT) | instid1(VALU_DEP_3)
	v_add_co_u32 v22, vcc_lo, s10, v20
	v_add_co_ci_u32_e32 v23, vcc_lo, s11, v21, vcc_lo
	s_delay_alu instid0(VALU_DEP_3) | instskip(NEXT) | instid1(VALU_DEP_4)
	v_add_co_u32 v20, vcc_lo, s12, v24
	v_add_co_ci_u32_e32 v21, vcc_lo, s13, v25, vcc_lo
	s_and_saveexec_b32 s15, s16
	s_cbranch_execnz .LBB223_300
; %bb.293:
	s_or_b32 exec_lo, exec_lo, s15
	s_and_b32 s16, s1, s8
	s_delay_alu instid0(SALU_CYCLE_1)
	s_and_saveexec_b32 s15, s16
	s_cbranch_execnz .LBB223_304
.LBB223_294:
	s_or_b32 exec_lo, exec_lo, s15
	s_and_b32 s16, s2, s8
	s_delay_alu instid0(SALU_CYCLE_1)
	s_and_saveexec_b32 s15, s16
	s_cbranch_execnz .LBB223_308
.LBB223_295:
	s_or_b32 exec_lo, exec_lo, s15
	s_and_b32 s16, s3, s8
	s_delay_alu instid0(SALU_CYCLE_1)
	s_and_saveexec_b32 s15, s16
	s_cbranch_execnz .LBB223_312
.LBB223_296:
	s_or_b32 exec_lo, exec_lo, s15
	s_and_b32 s16, s4, s8
	s_delay_alu instid0(SALU_CYCLE_1)
	s_and_saveexec_b32 s15, s16
	s_cbranch_execnz .LBB223_316
.LBB223_297:
	s_or_b32 exec_lo, exec_lo, s15
	s_and_b32 s16, s5, s8
	s_delay_alu instid0(SALU_CYCLE_1)
	s_and_saveexec_b32 s15, s16
	s_cbranch_execnz .LBB223_320
.LBB223_298:
	s_or_b32 exec_lo, exec_lo, s15
	s_and_b32 s16, s6, s8
	s_delay_alu instid0(SALU_CYCLE_1)
	s_and_saveexec_b32 s15, s16
	s_cbranch_execnz .LBB223_324
.LBB223_299:
	s_or_b32 exec_lo, exec_lo, s15
	s_and_b32 s15, s7, s8
	s_delay_alu instid0(SALU_CYCLE_1)
	s_and_saveexec_b32 s8, s15
	s_cbranch_execnz .LBB223_328
	s_branch .LBB223_332
.LBB223_300:
	v_cmp_ne_u32_e32 vcc_lo, 1, v72
	s_cbranch_vccnz .LBB223_302
; %bb.301:
	v_lshlrev_b64 v[24:25], 1, v[32:33]
	s_delay_alu instid0(VALU_DEP_1) | instskip(NEXT) | instid1(VALU_DEP_2)
	v_add_co_u32 v24, vcc_lo, v22, v24
	v_add_co_ci_u32_e32 v25, vcc_lo, v23, v25, vcc_lo
	flat_load_u16 v24, v[24:25]
	s_waitcnt vmcnt(0) lgkmcnt(0)
	v_mul_f16_e32 v24, s19, v24
	s_branch .LBB223_303
.LBB223_302:
	v_mov_b32_e32 v24, 0
.LBB223_303:
	v_pk_add_f16 v25, v16, v4
	v_pk_max_f16 v26, v63, v63
	v_pk_add_f16 v27, v17, v5
	s_delay_alu instid0(VALU_DEP_2) | instskip(NEXT) | instid1(VALU_DEP_1)
	v_pk_min_f16 v25, v26, v25
	v_pk_min_f16 v27, v25, v27
	v_lshlrev_b64 v[25:26], 1, v[32:33]
	s_delay_alu instid0(VALU_DEP_2) | instskip(NEXT) | instid1(VALU_DEP_1)
	v_lshrrev_b32_e32 v28, 16, v27
	v_min3_f16 v27, v24, v27, v28
	s_delay_alu instid0(VALU_DEP_3) | instskip(NEXT) | instid1(VALU_DEP_4)
	v_add_co_u32 v24, vcc_lo, v20, v25
	v_add_co_ci_u32_e32 v25, vcc_lo, v21, v26, vcc_lo
	global_store_b16 v[24:25], v27, off
	s_or_b32 exec_lo, exec_lo, s15
	s_and_b32 s16, s1, s8
	s_delay_alu instid0(SALU_CYCLE_1)
	s_and_saveexec_b32 s15, s16
	s_cbranch_execz .LBB223_294
.LBB223_304:
	v_cmp_ne_u32_e32 vcc_lo, 1, v72
	s_cbranch_vccnz .LBB223_306
; %bb.305:
	v_lshlrev_b64 v[24:25], 1, v[34:35]
	s_delay_alu instid0(VALU_DEP_1) | instskip(NEXT) | instid1(VALU_DEP_2)
	v_add_co_u32 v24, vcc_lo, v22, v24
	v_add_co_ci_u32_e32 v25, vcc_lo, v23, v25, vcc_lo
	flat_load_u16 v24, v[24:25]
	s_waitcnt vmcnt(0) lgkmcnt(0)
	v_mul_f16_e32 v24, s19, v24
	s_branch .LBB223_307
.LBB223_306:
	v_mov_b32_e32 v24, 0
.LBB223_307:
	v_pk_add_f16 v25, v18, v4
	v_pk_max_f16 v26, v62, v62
	v_pk_add_f16 v27, v19, v5
	s_delay_alu instid0(VALU_DEP_2) | instskip(NEXT) | instid1(VALU_DEP_1)
	v_pk_min_f16 v25, v26, v25
	v_pk_min_f16 v27, v25, v27
	v_lshlrev_b64 v[25:26], 1, v[34:35]
	s_delay_alu instid0(VALU_DEP_2) | instskip(NEXT) | instid1(VALU_DEP_1)
	v_lshrrev_b32_e32 v28, 16, v27
	v_min3_f16 v27, v24, v27, v28
	s_delay_alu instid0(VALU_DEP_3) | instskip(NEXT) | instid1(VALU_DEP_4)
	v_add_co_u32 v24, vcc_lo, v20, v25
	v_add_co_ci_u32_e32 v25, vcc_lo, v21, v26, vcc_lo
	global_store_b16 v[24:25], v27, off
	s_or_b32 exec_lo, exec_lo, s15
	s_and_b32 s16, s2, s8
	s_delay_alu instid0(SALU_CYCLE_1)
	s_and_saveexec_b32 s15, s16
	s_cbranch_execz .LBB223_295
.LBB223_308:
	v_cmp_ne_u32_e32 vcc_lo, 1, v72
	s_cbranch_vccnz .LBB223_310
; %bb.309:
	v_lshlrev_b64 v[24:25], 1, v[36:37]
	s_delay_alu instid0(VALU_DEP_1) | instskip(NEXT) | instid1(VALU_DEP_2)
	v_add_co_u32 v24, vcc_lo, v22, v24
	v_add_co_ci_u32_e32 v25, vcc_lo, v23, v25, vcc_lo
	flat_load_u16 v24, v[24:25]
	s_waitcnt vmcnt(0) lgkmcnt(0)
	v_mul_f16_e32 v24, s19, v24
	s_branch .LBB223_311
.LBB223_310:
	v_mov_b32_e32 v24, 0
.LBB223_311:
	v_pk_add_f16 v25, v12, v4
	v_pk_max_f16 v26, v61, v61
	v_pk_add_f16 v27, v13, v5
	s_delay_alu instid0(VALU_DEP_2) | instskip(NEXT) | instid1(VALU_DEP_1)
	v_pk_min_f16 v25, v26, v25
	v_pk_min_f16 v27, v25, v27
	v_lshlrev_b64 v[25:26], 1, v[36:37]
	s_delay_alu instid0(VALU_DEP_2) | instskip(NEXT) | instid1(VALU_DEP_1)
	v_lshrrev_b32_e32 v28, 16, v27
	v_min3_f16 v27, v24, v27, v28
	s_delay_alu instid0(VALU_DEP_3) | instskip(NEXT) | instid1(VALU_DEP_4)
	v_add_co_u32 v24, vcc_lo, v20, v25
	v_add_co_ci_u32_e32 v25, vcc_lo, v21, v26, vcc_lo
	global_store_b16 v[24:25], v27, off
	s_or_b32 exec_lo, exec_lo, s15
	s_and_b32 s16, s3, s8
	s_delay_alu instid0(SALU_CYCLE_1)
	s_and_saveexec_b32 s15, s16
	s_cbranch_execz .LBB223_296
.LBB223_312:
	v_cmp_ne_u32_e32 vcc_lo, 1, v72
	s_cbranch_vccnz .LBB223_314
; %bb.313:
	v_lshlrev_b64 v[24:25], 1, v[38:39]
	s_delay_alu instid0(VALU_DEP_1) | instskip(NEXT) | instid1(VALU_DEP_2)
	v_add_co_u32 v24, vcc_lo, v22, v24
	v_add_co_ci_u32_e32 v25, vcc_lo, v23, v25, vcc_lo
	flat_load_u16 v24, v[24:25]
	s_waitcnt vmcnt(0) lgkmcnt(0)
	v_mul_f16_e32 v24, s19, v24
	s_branch .LBB223_315
.LBB223_314:
	v_mov_b32_e32 v24, 0
.LBB223_315:
	v_pk_add_f16 v25, v14, v4
	v_pk_max_f16 v26, v60, v60
	v_pk_add_f16 v27, v15, v5
	s_delay_alu instid0(VALU_DEP_2) | instskip(NEXT) | instid1(VALU_DEP_1)
	v_pk_min_f16 v25, v26, v25
	v_pk_min_f16 v27, v25, v27
	v_lshlrev_b64 v[25:26], 1, v[38:39]
	s_delay_alu instid0(VALU_DEP_2) | instskip(NEXT) | instid1(VALU_DEP_1)
	v_lshrrev_b32_e32 v28, 16, v27
	v_min3_f16 v27, v24, v27, v28
	s_delay_alu instid0(VALU_DEP_3) | instskip(NEXT) | instid1(VALU_DEP_4)
	v_add_co_u32 v24, vcc_lo, v20, v25
	v_add_co_ci_u32_e32 v25, vcc_lo, v21, v26, vcc_lo
	global_store_b16 v[24:25], v27, off
	s_or_b32 exec_lo, exec_lo, s15
	s_and_b32 s16, s4, s8
	s_delay_alu instid0(SALU_CYCLE_1)
	s_and_saveexec_b32 s15, s16
	s_cbranch_execz .LBB223_297
.LBB223_316:
	v_cmp_ne_u32_e32 vcc_lo, 1, v72
	s_cbranch_vccnz .LBB223_318
; %bb.317:
	v_lshlrev_b64 v[24:25], 1, v[40:41]
	s_delay_alu instid0(VALU_DEP_1) | instskip(NEXT) | instid1(VALU_DEP_2)
	v_add_co_u32 v24, vcc_lo, v22, v24
	v_add_co_ci_u32_e32 v25, vcc_lo, v23, v25, vcc_lo
	flat_load_u16 v24, v[24:25]
	s_waitcnt vmcnt(0) lgkmcnt(0)
	v_mul_f16_e32 v24, s19, v24
	s_branch .LBB223_319
.LBB223_318:
	v_mov_b32_e32 v24, 0
.LBB223_319:
	v_pk_add_f16 v25, v8, v4
	v_pk_max_f16 v26, v59, v59
	v_pk_add_f16 v27, v9, v5
	s_delay_alu instid0(VALU_DEP_2) | instskip(NEXT) | instid1(VALU_DEP_1)
	v_pk_min_f16 v25, v26, v25
	v_pk_min_f16 v27, v25, v27
	v_lshlrev_b64 v[25:26], 1, v[40:41]
	s_delay_alu instid0(VALU_DEP_2) | instskip(NEXT) | instid1(VALU_DEP_1)
	v_lshrrev_b32_e32 v28, 16, v27
	v_min3_f16 v27, v24, v27, v28
	s_delay_alu instid0(VALU_DEP_3) | instskip(NEXT) | instid1(VALU_DEP_4)
	v_add_co_u32 v24, vcc_lo, v20, v25
	v_add_co_ci_u32_e32 v25, vcc_lo, v21, v26, vcc_lo
	global_store_b16 v[24:25], v27, off
	s_or_b32 exec_lo, exec_lo, s15
	s_and_b32 s16, s5, s8
	s_delay_alu instid0(SALU_CYCLE_1)
	s_and_saveexec_b32 s15, s16
	s_cbranch_execz .LBB223_298
.LBB223_320:
	v_cmp_ne_u32_e32 vcc_lo, 1, v72
	s_cbranch_vccnz .LBB223_322
; %bb.321:
	v_lshlrev_b64 v[24:25], 1, v[42:43]
	s_delay_alu instid0(VALU_DEP_1) | instskip(NEXT) | instid1(VALU_DEP_2)
	v_add_co_u32 v24, vcc_lo, v22, v24
	v_add_co_ci_u32_e32 v25, vcc_lo, v23, v25, vcc_lo
	flat_load_u16 v24, v[24:25]
	s_waitcnt vmcnt(0) lgkmcnt(0)
	v_mul_f16_e32 v24, s19, v24
	s_branch .LBB223_323
.LBB223_322:
	v_mov_b32_e32 v24, 0
.LBB223_323:
	v_pk_add_f16 v25, v10, v4
	v_pk_max_f16 v26, v58, v58
	v_pk_add_f16 v27, v11, v5
	s_delay_alu instid0(VALU_DEP_2) | instskip(NEXT) | instid1(VALU_DEP_1)
	v_pk_min_f16 v25, v26, v25
	v_pk_min_f16 v27, v25, v27
	v_lshlrev_b64 v[25:26], 1, v[42:43]
	s_delay_alu instid0(VALU_DEP_2) | instskip(NEXT) | instid1(VALU_DEP_1)
	v_lshrrev_b32_e32 v28, 16, v27
	v_min3_f16 v27, v24, v27, v28
	s_delay_alu instid0(VALU_DEP_3) | instskip(NEXT) | instid1(VALU_DEP_4)
	v_add_co_u32 v24, vcc_lo, v20, v25
	v_add_co_ci_u32_e32 v25, vcc_lo, v21, v26, vcc_lo
	global_store_b16 v[24:25], v27, off
	s_or_b32 exec_lo, exec_lo, s15
	s_and_b32 s16, s6, s8
	s_delay_alu instid0(SALU_CYCLE_1)
	s_and_saveexec_b32 s15, s16
	s_cbranch_execz .LBB223_299
.LBB223_324:
	v_cmp_ne_u32_e32 vcc_lo, 1, v72
	s_cbranch_vccnz .LBB223_326
; %bb.325:
	v_lshlrev_b64 v[24:25], 1, v[44:45]
	s_delay_alu instid0(VALU_DEP_1) | instskip(NEXT) | instid1(VALU_DEP_2)
	v_add_co_u32 v24, vcc_lo, v22, v24
	v_add_co_ci_u32_e32 v25, vcc_lo, v23, v25, vcc_lo
	flat_load_u16 v24, v[24:25]
	s_waitcnt vmcnt(0) lgkmcnt(0)
	v_mul_f16_e32 v24, s19, v24
	s_branch .LBB223_327
.LBB223_326:
	v_mov_b32_e32 v24, 0
.LBB223_327:
	v_pk_add_f16 v25, v0, v4
	v_pk_max_f16 v26, v57, v57
	v_pk_add_f16 v27, v1, v5
	s_delay_alu instid0(VALU_DEP_2) | instskip(NEXT) | instid1(VALU_DEP_1)
	v_pk_min_f16 v25, v26, v25
	v_pk_min_f16 v27, v25, v27
	v_lshlrev_b64 v[25:26], 1, v[44:45]
	s_delay_alu instid0(VALU_DEP_2) | instskip(NEXT) | instid1(VALU_DEP_1)
	v_lshrrev_b32_e32 v28, 16, v27
	v_min3_f16 v27, v24, v27, v28
	s_delay_alu instid0(VALU_DEP_3) | instskip(NEXT) | instid1(VALU_DEP_4)
	v_add_co_u32 v24, vcc_lo, v20, v25
	v_add_co_ci_u32_e32 v25, vcc_lo, v21, v26, vcc_lo
	global_store_b16 v[24:25], v27, off
	s_or_b32 exec_lo, exec_lo, s15
	s_and_b32 s15, s7, s8
	s_delay_alu instid0(SALU_CYCLE_1)
	s_and_saveexec_b32 s8, s15
	s_cbranch_execz .LBB223_332
.LBB223_328:
	v_cmp_ne_u32_e32 vcc_lo, 1, v72
	s_cbranch_vccnz .LBB223_330
; %bb.329:
	v_lshlrev_b64 v[24:25], 1, v[46:47]
	s_delay_alu instid0(VALU_DEP_1) | instskip(NEXT) | instid1(VALU_DEP_2)
	v_add_co_u32 v22, vcc_lo, v22, v24
	v_add_co_ci_u32_e32 v23, vcc_lo, v23, v25, vcc_lo
	flat_load_u16 v22, v[22:23]
	s_waitcnt vmcnt(0) lgkmcnt(0)
	v_mul_f16_e32 v22, s19, v22
	s_branch .LBB223_331
.LBB223_330:
	v_mov_b32_e32 v22, 0
.LBB223_331:
	v_pk_add_f16 v4, v2, v4
	v_pk_max_f16 v23, v56, v56
	v_pk_add_f16 v5, v3, v5
	s_delay_alu instid0(VALU_DEP_2) | instskip(NEXT) | instid1(VALU_DEP_1)
	v_pk_min_f16 v4, v23, v4
	v_pk_min_f16 v23, v4, v5
	v_lshlrev_b64 v[4:5], 1, v[46:47]
	s_delay_alu instid0(VALU_DEP_2) | instskip(NEXT) | instid1(VALU_DEP_2)
	v_lshrrev_b32_e32 v24, 16, v23
	v_add_co_u32 v4, vcc_lo, v20, v4
	s_delay_alu instid0(VALU_DEP_3) | instskip(NEXT) | instid1(VALU_DEP_3)
	v_add_co_ci_u32_e32 v5, vcc_lo, v21, v5, vcc_lo
	v_min3_f16 v22, v22, v23, v24
	global_store_b16 v[4:5], v22, off
.LBB223_332:
	s_or_b32 exec_lo, exec_lo, s8
	v_add_nc_u32_e32 v22, 0xe0, v79
	s_delay_alu instid0(VALU_DEP_1) | instskip(SKIP_2) | instid1(VALU_DEP_3)
	v_mad_i64_i32 v[4:5], null, v22, s14, 0
	v_mad_i64_i32 v[20:21], null, v22, s9, 0
	v_cmp_gt_i32_e64 s8, s17, v22
	v_lshlrev_b64 v[4:5], 1, v[4:5]
	s_delay_alu instid0(VALU_DEP_2) | instskip(NEXT) | instid1(VALU_DEP_3)
	s_and_b32 s9, s0, s8
	v_lshlrev_b64 v[20:21], 1, v[20:21]
	s_delay_alu instid0(VALU_DEP_2) | instskip(NEXT) | instid1(VALU_DEP_3)
	v_add_co_u32 v22, vcc_lo, s10, v4
	v_add_co_ci_u32_e32 v23, vcc_lo, s11, v5, vcc_lo
	s_delay_alu instid0(VALU_DEP_3) | instskip(NEXT) | instid1(VALU_DEP_4)
	v_add_co_u32 v20, vcc_lo, s12, v20
	v_add_co_ci_u32_e32 v21, vcc_lo, s13, v21, vcc_lo
	s_and_saveexec_b32 s0, s9
	s_cbranch_execnz .LBB223_341
; %bb.333:
	s_or_b32 exec_lo, exec_lo, s0
	s_and_b32 s1, s1, s8
	s_delay_alu instid0(SALU_CYCLE_1)
	s_and_saveexec_b32 s0, s1
	s_cbranch_execnz .LBB223_345
.LBB223_334:
	s_or_b32 exec_lo, exec_lo, s0
	s_and_b32 s1, s2, s8
	s_delay_alu instid0(SALU_CYCLE_1)
	s_and_saveexec_b32 s0, s1
	s_cbranch_execnz .LBB223_349
.LBB223_335:
	s_or_b32 exec_lo, exec_lo, s0
	s_and_b32 s1, s3, s8
	s_delay_alu instid0(SALU_CYCLE_1)
	s_and_saveexec_b32 s0, s1
	s_cbranch_execnz .LBB223_353
.LBB223_336:
	s_or_b32 exec_lo, exec_lo, s0
	s_and_b32 s1, s4, s8
	s_delay_alu instid0(SALU_CYCLE_1)
	s_and_saveexec_b32 s0, s1
	s_cbranch_execnz .LBB223_357
.LBB223_337:
	s_or_b32 exec_lo, exec_lo, s0
	s_and_b32 s1, s5, s8
	s_delay_alu instid0(SALU_CYCLE_1)
	s_and_saveexec_b32 s0, s1
	s_cbranch_execnz .LBB223_361
.LBB223_338:
	s_or_b32 exec_lo, exec_lo, s0
	s_and_b32 s1, s6, s8
	s_delay_alu instid0(SALU_CYCLE_1)
	s_and_saveexec_b32 s0, s1
	s_cbranch_execnz .LBB223_365
.LBB223_339:
	s_or_b32 exec_lo, exec_lo, s0
	s_and_b32 s0, s7, s8
	s_delay_alu instid0(SALU_CYCLE_1)
	s_and_saveexec_b32 s1, s0
	s_cbranch_execnz .LBB223_369
.LBB223_340:
	s_nop 0
	s_sendmsg sendmsg(MSG_DEALLOC_VGPRS)
	s_endpgm
.LBB223_341:
	v_cmp_ne_u32_e32 vcc_lo, 1, v72
	v_lshlrev_b64 v[4:5], 1, v[32:33]
	s_cbranch_vccnz .LBB223_343
; %bb.342:
	s_delay_alu instid0(VALU_DEP_1) | instskip(NEXT) | instid1(VALU_DEP_2)
	v_add_co_u32 v24, vcc_lo, v22, v4
	v_add_co_ci_u32_e32 v25, vcc_lo, v23, v5, vcc_lo
	flat_load_u16 v24, v[24:25]
	s_waitcnt vmcnt(0) lgkmcnt(0)
	v_mul_f16_e32 v24, s19, v24
	s_branch .LBB223_344
.LBB223_343:
	v_mov_b32_e32 v24, 0
.LBB223_344:
	v_pk_add_f16 v16, v16, v6
	v_pk_max_f16 v25, v55, v55
	v_pk_add_f16 v17, v17, v7
	v_add_co_u32 v4, vcc_lo, v20, v4
	v_add_co_ci_u32_e32 v5, vcc_lo, v21, v5, vcc_lo
	s_delay_alu instid0(VALU_DEP_4) | instskip(NEXT) | instid1(VALU_DEP_1)
	v_pk_min_f16 v16, v25, v16
	v_pk_min_f16 v16, v16, v17
	s_delay_alu instid0(VALU_DEP_1) | instskip(NEXT) | instid1(VALU_DEP_1)
	v_lshrrev_b32_e32 v17, 16, v16
	v_min3_f16 v16, v24, v16, v17
	global_store_b16 v[4:5], v16, off
	s_or_b32 exec_lo, exec_lo, s0
	s_and_b32 s1, s1, s8
	s_delay_alu instid0(SALU_CYCLE_1)
	s_and_saveexec_b32 s0, s1
	s_cbranch_execz .LBB223_334
.LBB223_345:
	v_cmp_ne_u32_e32 vcc_lo, 1, v72
	v_lshlrev_b64 v[4:5], 1, v[34:35]
	s_cbranch_vccnz .LBB223_347
; %bb.346:
	s_delay_alu instid0(VALU_DEP_1) | instskip(NEXT) | instid1(VALU_DEP_2)
	v_add_co_u32 v16, vcc_lo, v22, v4
	v_add_co_ci_u32_e32 v17, vcc_lo, v23, v5, vcc_lo
	flat_load_u16 v16, v[16:17]
	s_waitcnt vmcnt(0) lgkmcnt(0)
	v_mul_f16_e32 v16, s19, v16
	s_branch .LBB223_348
.LBB223_347:
	v_mov_b32_e32 v16, 0
.LBB223_348:
	v_pk_add_f16 v17, v18, v6
	v_pk_max_f16 v18, v54, v54
	v_pk_add_f16 v19, v19, v7
	v_add_co_u32 v4, vcc_lo, v20, v4
	v_add_co_ci_u32_e32 v5, vcc_lo, v21, v5, vcc_lo
	s_delay_alu instid0(VALU_DEP_4) | instskip(NEXT) | instid1(VALU_DEP_1)
	v_pk_min_f16 v17, v18, v17
	v_pk_min_f16 v17, v17, v19
	s_delay_alu instid0(VALU_DEP_1) | instskip(NEXT) | instid1(VALU_DEP_1)
	v_lshrrev_b32_e32 v18, 16, v17
	v_min3_f16 v16, v16, v17, v18
	global_store_b16 v[4:5], v16, off
	s_or_b32 exec_lo, exec_lo, s0
	s_and_b32 s1, s2, s8
	s_delay_alu instid0(SALU_CYCLE_1)
	s_and_saveexec_b32 s0, s1
	s_cbranch_execz .LBB223_335
.LBB223_349:
	v_cmp_ne_u32_e32 vcc_lo, 1, v72
	v_lshlrev_b64 v[4:5], 1, v[36:37]
	s_cbranch_vccnz .LBB223_351
; %bb.350:
	s_delay_alu instid0(VALU_DEP_1) | instskip(NEXT) | instid1(VALU_DEP_2)
	v_add_co_u32 v16, vcc_lo, v22, v4
	v_add_co_ci_u32_e32 v17, vcc_lo, v23, v5, vcc_lo
	flat_load_u16 v16, v[16:17]
	s_waitcnt vmcnt(0) lgkmcnt(0)
	v_mul_f16_e32 v16, s19, v16
	s_branch .LBB223_352
.LBB223_351:
	v_mov_b32_e32 v16, 0
.LBB223_352:
	v_pk_add_f16 v12, v12, v6
	v_pk_max_f16 v17, v53, v53
	v_pk_add_f16 v13, v13, v7
	v_add_co_u32 v4, vcc_lo, v20, v4
	v_add_co_ci_u32_e32 v5, vcc_lo, v21, v5, vcc_lo
	s_delay_alu instid0(VALU_DEP_4) | instskip(NEXT) | instid1(VALU_DEP_1)
	v_pk_min_f16 v12, v17, v12
	v_pk_min_f16 v12, v12, v13
	s_delay_alu instid0(VALU_DEP_1) | instskip(NEXT) | instid1(VALU_DEP_1)
	v_lshrrev_b32_e32 v13, 16, v12
	v_min3_f16 v12, v16, v12, v13
	global_store_b16 v[4:5], v12, off
	s_or_b32 exec_lo, exec_lo, s0
	s_and_b32 s1, s3, s8
	s_delay_alu instid0(SALU_CYCLE_1)
	s_and_saveexec_b32 s0, s1
	s_cbranch_execz .LBB223_336
.LBB223_353:
	v_cmp_ne_u32_e32 vcc_lo, 1, v72
	v_lshlrev_b64 v[4:5], 1, v[38:39]
	s_cbranch_vccnz .LBB223_355
; %bb.354:
	s_delay_alu instid0(VALU_DEP_1) | instskip(NEXT) | instid1(VALU_DEP_2)
	v_add_co_u32 v12, vcc_lo, v22, v4
	v_add_co_ci_u32_e32 v13, vcc_lo, v23, v5, vcc_lo
	flat_load_u16 v12, v[12:13]
	s_waitcnt vmcnt(0) lgkmcnt(0)
	v_mul_f16_e32 v12, s19, v12
	s_branch .LBB223_356
.LBB223_355:
	v_mov_b32_e32 v12, 0
.LBB223_356:
	v_pk_add_f16 v13, v14, v6
	v_pk_max_f16 v14, v52, v52
	v_pk_add_f16 v15, v15, v7
	v_add_co_u32 v4, vcc_lo, v20, v4
	v_add_co_ci_u32_e32 v5, vcc_lo, v21, v5, vcc_lo
	s_delay_alu instid0(VALU_DEP_4) | instskip(NEXT) | instid1(VALU_DEP_1)
	v_pk_min_f16 v13, v14, v13
	v_pk_min_f16 v13, v13, v15
	s_delay_alu instid0(VALU_DEP_1) | instskip(NEXT) | instid1(VALU_DEP_1)
	v_lshrrev_b32_e32 v14, 16, v13
	v_min3_f16 v12, v12, v13, v14
	global_store_b16 v[4:5], v12, off
	s_or_b32 exec_lo, exec_lo, s0
	s_and_b32 s1, s4, s8
	s_delay_alu instid0(SALU_CYCLE_1)
	s_and_saveexec_b32 s0, s1
	s_cbranch_execz .LBB223_337
.LBB223_357:
	v_cmp_ne_u32_e32 vcc_lo, 1, v72
	v_lshlrev_b64 v[4:5], 1, v[40:41]
	s_cbranch_vccnz .LBB223_359
; %bb.358:
	s_delay_alu instid0(VALU_DEP_1) | instskip(NEXT) | instid1(VALU_DEP_2)
	v_add_co_u32 v12, vcc_lo, v22, v4
	v_add_co_ci_u32_e32 v13, vcc_lo, v23, v5, vcc_lo
	flat_load_u16 v12, v[12:13]
	s_waitcnt vmcnt(0) lgkmcnt(0)
	v_mul_f16_e32 v12, s19, v12
	s_branch .LBB223_360
.LBB223_359:
	v_mov_b32_e32 v12, 0
.LBB223_360:
	v_pk_add_f16 v8, v8, v6
	v_pk_max_f16 v13, v51, v51
	v_pk_add_f16 v9, v9, v7
	v_add_co_u32 v4, vcc_lo, v20, v4
	v_add_co_ci_u32_e32 v5, vcc_lo, v21, v5, vcc_lo
	s_delay_alu instid0(VALU_DEP_4) | instskip(NEXT) | instid1(VALU_DEP_1)
	v_pk_min_f16 v8, v13, v8
	v_pk_min_f16 v8, v8, v9
	s_delay_alu instid0(VALU_DEP_1) | instskip(NEXT) | instid1(VALU_DEP_1)
	v_lshrrev_b32_e32 v9, 16, v8
	v_min3_f16 v8, v12, v8, v9
	global_store_b16 v[4:5], v8, off
	s_or_b32 exec_lo, exec_lo, s0
	s_and_b32 s1, s5, s8
	s_delay_alu instid0(SALU_CYCLE_1)
	s_and_saveexec_b32 s0, s1
	s_cbranch_execz .LBB223_338
.LBB223_361:
	v_cmp_ne_u32_e32 vcc_lo, 1, v72
	v_lshlrev_b64 v[4:5], 1, v[42:43]
	s_cbranch_vccnz .LBB223_363
; %bb.362:
	s_delay_alu instid0(VALU_DEP_1) | instskip(NEXT) | instid1(VALU_DEP_2)
	v_add_co_u32 v8, vcc_lo, v22, v4
	v_add_co_ci_u32_e32 v9, vcc_lo, v23, v5, vcc_lo
	flat_load_u16 v8, v[8:9]
	s_waitcnt vmcnt(0) lgkmcnt(0)
	v_mul_f16_e32 v8, s19, v8
	s_branch .LBB223_364
.LBB223_363:
	v_mov_b32_e32 v8, 0
.LBB223_364:
	v_pk_add_f16 v9, v10, v6
	v_pk_max_f16 v10, v50, v50
	v_pk_add_f16 v11, v11, v7
	v_add_co_u32 v4, vcc_lo, v20, v4
	v_add_co_ci_u32_e32 v5, vcc_lo, v21, v5, vcc_lo
	s_delay_alu instid0(VALU_DEP_4) | instskip(NEXT) | instid1(VALU_DEP_1)
	v_pk_min_f16 v9, v10, v9
	v_pk_min_f16 v9, v9, v11
	s_delay_alu instid0(VALU_DEP_1) | instskip(NEXT) | instid1(VALU_DEP_1)
	v_lshrrev_b32_e32 v10, 16, v9
	v_min3_f16 v8, v8, v9, v10
	global_store_b16 v[4:5], v8, off
	s_or_b32 exec_lo, exec_lo, s0
	s_and_b32 s1, s6, s8
	s_delay_alu instid0(SALU_CYCLE_1)
	s_and_saveexec_b32 s0, s1
	s_cbranch_execz .LBB223_339
.LBB223_365:
	v_cmp_ne_u32_e32 vcc_lo, 1, v72
	v_lshlrev_b64 v[4:5], 1, v[44:45]
	s_cbranch_vccnz .LBB223_367
; %bb.366:
	s_delay_alu instid0(VALU_DEP_1) | instskip(NEXT) | instid1(VALU_DEP_2)
	v_add_co_u32 v8, vcc_lo, v22, v4
	v_add_co_ci_u32_e32 v9, vcc_lo, v23, v5, vcc_lo
	flat_load_u16 v8, v[8:9]
	s_waitcnt vmcnt(0) lgkmcnt(0)
	v_mul_f16_e32 v8, s19, v8
	s_branch .LBB223_368
.LBB223_367:
	v_mov_b32_e32 v8, 0
.LBB223_368:
	v_pk_add_f16 v0, v0, v6
	v_pk_max_f16 v9, v49, v49
	v_pk_add_f16 v1, v1, v7
	s_delay_alu instid0(VALU_DEP_2) | instskip(NEXT) | instid1(VALU_DEP_1)
	v_pk_min_f16 v0, v9, v0
	v_pk_min_f16 v0, v0, v1
	s_delay_alu instid0(VALU_DEP_1) | instskip(NEXT) | instid1(VALU_DEP_1)
	v_lshrrev_b32_e32 v1, 16, v0
	v_min3_f16 v8, v8, v0, v1
	v_add_co_u32 v0, vcc_lo, v20, v4
	v_add_co_ci_u32_e32 v1, vcc_lo, v21, v5, vcc_lo
	global_store_b16 v[0:1], v8, off
	s_or_b32 exec_lo, exec_lo, s0
	s_and_b32 s0, s7, s8
	s_delay_alu instid0(SALU_CYCLE_1)
	s_and_saveexec_b32 s1, s0
	s_cbranch_execz .LBB223_340
.LBB223_369:
	v_cmp_ne_u32_e32 vcc_lo, 1, v72
	v_lshlrev_b64 v[0:1], 1, v[46:47]
	s_cbranch_vccnz .LBB223_371
; %bb.370:
	s_delay_alu instid0(VALU_DEP_1) | instskip(NEXT) | instid1(VALU_DEP_2)
	v_add_co_u32 v4, vcc_lo, v22, v0
	v_add_co_ci_u32_e32 v5, vcc_lo, v23, v1, vcc_lo
	flat_load_u16 v4, v[4:5]
	s_waitcnt vmcnt(0) lgkmcnt(0)
	v_mul_f16_e32 v4, s19, v4
	s_branch .LBB223_372
.LBB223_371:
	v_mov_b32_e32 v4, 0
.LBB223_372:
	v_pk_add_f16 v2, v2, v6
	v_pk_max_f16 v5, v48, v48
	v_pk_add_f16 v3, v3, v7
	v_add_co_u32 v0, vcc_lo, v20, v0
	v_add_co_ci_u32_e32 v1, vcc_lo, v21, v1, vcc_lo
	s_delay_alu instid0(VALU_DEP_4) | instskip(NEXT) | instid1(VALU_DEP_1)
	v_pk_min_f16 v2, v5, v2
	v_pk_min_f16 v2, v2, v3
	s_delay_alu instid0(VALU_DEP_1) | instskip(NEXT) | instid1(VALU_DEP_1)
	v_lshrrev_b32_e32 v3, 16, v2
	v_min3_f16 v2, v4, v2, v3
	global_store_b16 v[0:1], v2, off
	s_nop 0
	s_sendmsg sendmsg(MSG_DEALLOC_VGPRS)
	s_endpgm
	.section	.rodata,"a",@progbits
	.p2align	6, 0x0
	.amdhsa_kernel _ZN12_GLOBAL__N_120geam_min_plus_kernelIDF16_Dv2_DF16_S1_Li8ELi32ELi64ELi256ELi4ELi64ELi4ELi64ELi4ELc78ELc84ELb1ELb1ELb1EDF16_KPKDF16_KPDF16_EEviiiT16_PT17_ilS9_ilS7_S9_ilPT18_ili26rocblas_geam_ex_operation_
		.amdhsa_group_segment_fixed_size 5120
		.amdhsa_private_segment_fixed_size 0
		.amdhsa_kernarg_size 128
		.amdhsa_user_sgpr_count 14
		.amdhsa_user_sgpr_dispatch_ptr 0
		.amdhsa_user_sgpr_queue_ptr 0
		.amdhsa_user_sgpr_kernarg_segment_ptr 1
		.amdhsa_user_sgpr_dispatch_id 0
		.amdhsa_user_sgpr_private_segment_size 0
		.amdhsa_wavefront_size32 1
		.amdhsa_uses_dynamic_stack 0
		.amdhsa_enable_private_segment 0
		.amdhsa_system_sgpr_workgroup_id_x 1
		.amdhsa_system_sgpr_workgroup_id_y 0
		.amdhsa_system_sgpr_workgroup_id_z 1
		.amdhsa_system_sgpr_workgroup_info 0
		.amdhsa_system_vgpr_workitem_id 1
		.amdhsa_next_free_vgpr 153
		.amdhsa_next_free_sgpr 28
		.amdhsa_reserve_vcc 1
		.amdhsa_float_round_mode_32 0
		.amdhsa_float_round_mode_16_64 0
		.amdhsa_float_denorm_mode_32 3
		.amdhsa_float_denorm_mode_16_64 3
		.amdhsa_dx10_clamp 1
		.amdhsa_ieee_mode 1
		.amdhsa_fp16_overflow 0
		.amdhsa_workgroup_processor_mode 1
		.amdhsa_memory_ordered 1
		.amdhsa_forward_progress 0
		.amdhsa_shared_vgpr_count 0
		.amdhsa_exception_fp_ieee_invalid_op 0
		.amdhsa_exception_fp_denorm_src 0
		.amdhsa_exception_fp_ieee_div_zero 0
		.amdhsa_exception_fp_ieee_overflow 0
		.amdhsa_exception_fp_ieee_underflow 0
		.amdhsa_exception_fp_ieee_inexact 0
		.amdhsa_exception_int_div_zero 0
	.end_amdhsa_kernel
	.section	.text._ZN12_GLOBAL__N_120geam_min_plus_kernelIDF16_Dv2_DF16_S1_Li8ELi32ELi64ELi256ELi4ELi64ELi4ELi64ELi4ELc78ELc84ELb1ELb1ELb1EDF16_KPKDF16_KPDF16_EEviiiT16_PT17_ilS9_ilS7_S9_ilPT18_ili26rocblas_geam_ex_operation_,"axG",@progbits,_ZN12_GLOBAL__N_120geam_min_plus_kernelIDF16_Dv2_DF16_S1_Li8ELi32ELi64ELi256ELi4ELi64ELi4ELi64ELi4ELc78ELc84ELb1ELb1ELb1EDF16_KPKDF16_KPDF16_EEviiiT16_PT17_ilS9_ilS7_S9_ilPT18_ili26rocblas_geam_ex_operation_,comdat
.Lfunc_end223:
	.size	_ZN12_GLOBAL__N_120geam_min_plus_kernelIDF16_Dv2_DF16_S1_Li8ELi32ELi64ELi256ELi4ELi64ELi4ELi64ELi4ELc78ELc84ELb1ELb1ELb1EDF16_KPKDF16_KPDF16_EEviiiT16_PT17_ilS9_ilS7_S9_ilPT18_ili26rocblas_geam_ex_operation_, .Lfunc_end223-_ZN12_GLOBAL__N_120geam_min_plus_kernelIDF16_Dv2_DF16_S1_Li8ELi32ELi64ELi256ELi4ELi64ELi4ELi64ELi4ELc78ELc84ELb1ELb1ELb1EDF16_KPKDF16_KPDF16_EEviiiT16_PT17_ilS9_ilS7_S9_ilPT18_ili26rocblas_geam_ex_operation_
                                        ; -- End function
	.section	.AMDGPU.csdata,"",@progbits
; Kernel info:
; codeLenInByte = 22952
; NumSgprs: 30
; NumVgprs: 153
; ScratchSize: 0
; MemoryBound: 0
; FloatMode: 240
; IeeeMode: 1
; LDSByteSize: 5120 bytes/workgroup (compile time only)
; SGPRBlocks: 3
; VGPRBlocks: 19
; NumSGPRsForWavesPerEU: 30
; NumVGPRsForWavesPerEU: 153
; Occupancy: 9
; WaveLimiterHint : 1
; COMPUTE_PGM_RSRC2:SCRATCH_EN: 0
; COMPUTE_PGM_RSRC2:USER_SGPR: 14
; COMPUTE_PGM_RSRC2:TRAP_HANDLER: 0
; COMPUTE_PGM_RSRC2:TGID_X_EN: 1
; COMPUTE_PGM_RSRC2:TGID_Y_EN: 0
; COMPUTE_PGM_RSRC2:TGID_Z_EN: 1
; COMPUTE_PGM_RSRC2:TIDIG_COMP_CNT: 1
	.section	.text._ZN12_GLOBAL__N_120geam_min_plus_kernelIDF16_Dv2_DF16_S1_Li8ELi32ELi64ELi256ELi4ELi64ELi4ELi64ELi4ELc78ELc84ELb0ELb1ELb1EDF16_KPKDF16_KPDF16_EEviiiT16_PT17_ilS9_ilS7_S9_ilPT18_ili26rocblas_geam_ex_operation_,"axG",@progbits,_ZN12_GLOBAL__N_120geam_min_plus_kernelIDF16_Dv2_DF16_S1_Li8ELi32ELi64ELi256ELi4ELi64ELi4ELi64ELi4ELc78ELc84ELb0ELb1ELb1EDF16_KPKDF16_KPDF16_EEviiiT16_PT17_ilS9_ilS7_S9_ilPT18_ili26rocblas_geam_ex_operation_,comdat
	.globl	_ZN12_GLOBAL__N_120geam_min_plus_kernelIDF16_Dv2_DF16_S1_Li8ELi32ELi64ELi256ELi4ELi64ELi4ELi64ELi4ELc78ELc84ELb0ELb1ELb1EDF16_KPKDF16_KPDF16_EEviiiT16_PT17_ilS9_ilS7_S9_ilPT18_ili26rocblas_geam_ex_operation_ ; -- Begin function _ZN12_GLOBAL__N_120geam_min_plus_kernelIDF16_Dv2_DF16_S1_Li8ELi32ELi64ELi256ELi4ELi64ELi4ELi64ELi4ELc78ELc84ELb0ELb1ELb1EDF16_KPKDF16_KPDF16_EEviiiT16_PT17_ilS9_ilS7_S9_ilPT18_ili26rocblas_geam_ex_operation_
	.p2align	8
	.type	_ZN12_GLOBAL__N_120geam_min_plus_kernelIDF16_Dv2_DF16_S1_Li8ELi32ELi64ELi256ELi4ELi64ELi4ELi64ELi4ELc78ELc84ELb0ELb1ELb1EDF16_KPKDF16_KPDF16_EEviiiT16_PT17_ilS9_ilS7_S9_ilPT18_ili26rocblas_geam_ex_operation_,@function
_ZN12_GLOBAL__N_120geam_min_plus_kernelIDF16_Dv2_DF16_S1_Li8ELi32ELi64ELi256ELi4ELi64ELi4ELi64ELi4ELc78ELc84ELb0ELb1ELb1EDF16_KPKDF16_KPDF16_EEviiiT16_PT17_ilS9_ilS7_S9_ilPT18_ili26rocblas_geam_ex_operation_: ; @_ZN12_GLOBAL__N_120geam_min_plus_kernelIDF16_Dv2_DF16_S1_Li8ELi32ELi64ELi256ELi4ELi64ELi4ELi64ELi4ELc78ELc84ELb0ELb1ELb1EDF16_KPKDF16_KPDF16_EEviiiT16_PT17_ilS9_ilS7_S9_ilPT18_ili26rocblas_geam_ex_operation_
; %bb.0:
	s_clause 0x1
	s_load_b128 s[16:19], s[0:1], 0x0
	s_load_b128 s[4:7], s[0:1], 0x20
	s_mov_b32 s2, s15
	s_mov_b32 s3, 0
	s_mov_b64 s[20:21], 0
	s_waitcnt lgkmcnt(0)
	v_cmp_eq_f16_e64 s27, s19, 0
	v_cmp_neq_f16_e64 s8, s19, 0
	s_delay_alu instid0(VALU_DEP_2)
	s_and_b32 vcc_lo, exec_lo, s27
	s_cbranch_vccnz .LBB224_2
; %bb.1:
	s_load_b64 s[10:11], s[0:1], 0x10
	s_lshl_b64 s[12:13], s[2:3], 3
	s_waitcnt lgkmcnt(0)
	s_add_u32 s10, s10, s12
	s_addc_u32 s11, s11, s13
	s_lshl_b64 s[4:5], s[4:5], 1
	s_load_b64 s[10:11], s[10:11], 0x0
	s_waitcnt lgkmcnt(0)
	s_add_u32 s20, s10, s4
	s_addc_u32 s21, s11, s5
.LBB224_2:
	s_delay_alu instid0(VALU_DEP_1)
	s_and_b32 vcc_lo, exec_lo, s8
	s_cbranch_vccz .LBB224_4
; %bb.3:
	s_lshl_b64 s[4:5], s[2:3], 3
	s_load_b64 s[8:9], s[0:1], 0x38
	s_add_u32 s4, s6, s4
	s_addc_u32 s5, s7, s5
	s_load_b64 s[4:5], s[4:5], 0x0
	s_waitcnt lgkmcnt(0)
	s_lshl_b64 s[6:7], s[8:9], 1
	s_delay_alu instid0(SALU_CYCLE_1)
	s_add_u32 s8, s4, s6
	s_addc_u32 s9, s5, s7
	s_and_not1_b32 vcc_lo, exec_lo, s3
	s_cbranch_vccz .LBB224_5
	s_branch .LBB224_6
.LBB224_4:
	s_mov_b32 s3, -1
                                        ; implicit-def: $sgpr8_sgpr9
.LBB224_5:
	s_mov_b32 s3, 0
	s_mov_b64 s[8:9], 0
.LBB224_6:
	s_clause 0x1
	s_load_b32 s24, s[0:1], 0x40
	s_load_b128 s[4:7], s[0:1], 0x58
	s_waitcnt lgkmcnt(0)
	v_cmp_eq_f16_e64 s10, s24, 0
	v_cmp_neq_f16_e64 s25, s24, 0
	s_delay_alu instid0(VALU_DEP_2)
	s_and_b32 vcc_lo, exec_lo, s10
	s_cbranch_vccnz .LBB224_8
; %bb.7:
	s_load_b64 s[10:11], s[0:1], 0x48
	s_lshl_b64 s[12:13], s[2:3], 3
	s_waitcnt lgkmcnt(0)
	s_add_u32 s10, s10, s12
	s_addc_u32 s11, s11, s13
	s_lshl_b64 s[4:5], s[4:5], 1
	s_load_b64 s[10:11], s[10:11], 0x0
	s_waitcnt lgkmcnt(0)
	s_add_u32 s10, s10, s4
	s_addc_u32 s11, s11, s5
	s_branch .LBB224_9
.LBB224_8:
	s_mov_b64 s[10:11], 0
.LBB224_9:
	s_load_b32 s22, s[0:1], 0x18
	s_lshl_b64 s[2:3], s[2:3], 3
	v_and_b32_e32 v44, 0x3ff, v0
	v_bfe_u32 v45, v0, 10, 10
                                        ; implicit-def: $vgpr16
	s_delay_alu instid0(VALU_DEP_1) | instskip(NEXT) | instid1(VALU_DEP_1)
	v_lshl_add_u32 v0, v45, 3, v44
	v_and_b32_e32 v15, 63, v0
	v_lshrrev_b32_e32 v46, 6, v0
	s_waitcnt lgkmcnt(0)
	s_ashr_i32 s23, s22, 31
	s_add_u32 s4, s6, s2
	s_addc_u32 s5, s7, s3
	s_add_i32 s2, s16, -1
	s_delay_alu instid0(SALU_CYCLE_1) | instskip(NEXT) | instid1(SALU_CYCLE_1)
	s_ashr_i32 s3, s2, 31
	s_lshr_b32 s3, s3, 26
	s_delay_alu instid0(SALU_CYCLE_1) | instskip(NEXT) | instid1(SALU_CYCLE_1)
	s_add_i32 s3, s2, s3
	s_ashr_i32 s3, s3, 6
	s_delay_alu instid0(SALU_CYCLE_1) | instskip(SKIP_2) | instid1(VALU_DEP_1)
	s_add_i32 s6, s3, 1
	s_not_b32 s3, s3
	v_cvt_f32_u32_e32 v1, s6
	v_rcp_iflag_f32_e32 v1, v1
	s_waitcnt_depctr 0xfff
	v_mul_f32_e32 v1, 0x4f7ffffe, v1
	s_delay_alu instid0(VALU_DEP_1) | instskip(NEXT) | instid1(VALU_DEP_1)
	v_cvt_u32_f32_e32 v1, v1
	v_readfirstlane_b32 s7, v1
	s_delay_alu instid0(VALU_DEP_1) | instskip(NEXT) | instid1(SALU_CYCLE_1)
	s_mul_i32 s3, s3, s7
	s_mul_hi_u32 s3, s7, s3
	s_delay_alu instid0(SALU_CYCLE_1) | instskip(NEXT) | instid1(SALU_CYCLE_1)
	s_add_i32 s7, s7, s3
	s_mul_hi_u32 s3, s14, s7
	s_delay_alu instid0(SALU_CYCLE_1) | instskip(SKIP_2) | instid1(SALU_CYCLE_1)
	s_mul_i32 s7, s3, s6
	s_add_i32 s12, s3, 1
	s_sub_i32 s7, s14, s7
	s_sub_i32 s13, s7, s6
	s_cmp_ge_u32 s7, s6
	s_cselect_b32 s3, s12, s3
	s_cselect_b32 s7, s13, s7
	s_add_i32 s12, s3, 1
	s_cmp_ge_u32 s7, s6
	s_cselect_b32 s3, s12, s3
	s_load_b64 s[12:13], s[4:5], 0x0
	s_mul_i32 s6, s3, s6
	s_add_i32 s29, s18, -1
	s_sub_i32 s6, s14, s6
	v_min_i32_e32 v2, s29, v46
	s_lshl_b32 s26, s6, 6
	v_cmp_le_i32_e64 s6, s18, v46
	v_or_b32_e32 v0, s26, v15
	s_delay_alu instid0(VALU_DEP_3) | instskip(NEXT) | instid1(VALU_DEP_2)
	v_ashrrev_i32_e32 v3, 31, v2
	v_cmp_le_i32_e32 vcc_lo, s16, v0
	v_min_i32_e32 v0, s2, v0
	s_or_b32 s4, vcc_lo, s6
	s_delay_alu instid0(VALU_DEP_1) | instskip(SKIP_1) | instid1(SALU_CYCLE_1)
	v_ashrrev_i32_e32 v1, 31, v0
	s_or_b32 s2, s27, s4
	s_xor_b32 s2, s2, -1
	s_delay_alu instid0(SALU_CYCLE_1) | instskip(NEXT) | instid1(SALU_CYCLE_1)
	s_and_saveexec_b32 s5, s2
	s_xor_b32 s5, exec_lo, s5
	s_cbranch_execz .LBB224_11
; %bb.10:
	v_mad_i64_i32 v[4:5], null, s22, v2, 0
	v_lshlrev_b64 v[6:7], 1, v[0:1]
	s_delay_alu instid0(VALU_DEP_2) | instskip(NEXT) | instid1(VALU_DEP_1)
	v_lshlrev_b64 v[4:5], 1, v[4:5]
	v_add_co_u32 v4, s2, s20, v4
	s_delay_alu instid0(VALU_DEP_1) | instskip(NEXT) | instid1(VALU_DEP_2)
	v_add_co_ci_u32_e64 v5, s2, s21, v5, s2
	v_add_co_u32 v4, s2, v4, v6
	s_delay_alu instid0(VALU_DEP_1)
	v_add_co_ci_u32_e64 v5, s2, v5, v7, s2
	flat_load_u16 v4, v[4:5]
	s_waitcnt vmcnt(0) lgkmcnt(0)
	v_mul_f16_e32 v16, s19, v4
.LBB224_11:
	s_and_not1_saveexec_b32 s2, s5
; %bb.12:
	v_cndmask_b32_e64 v16, 0, 0x7c00, s4
; %bb.13:
	s_or_b32 exec_lo, exec_lo, s2
	s_load_b32 s30, s[0:1], 0x30
	s_lshl_b32 s28, s3, 8
	s_waitcnt lgkmcnt(0)
	s_ashr_i32 s14, s30, 31
	v_mul_lo_u32 v5, v3, s30
	v_mad_u64_u32 v[3:4], null, v2, s30, 0
	v_mul_lo_u32 v6, v2, s14
	v_or_b32_e32 v2, s28, v15
	s_delay_alu instid0(VALU_DEP_1) | instskip(NEXT) | instid1(VALU_DEP_3)
	v_cmp_le_i32_e64 s2, s17, v2
	v_add3_u32 v4, v4, v6, v5
	s_delay_alu instid0(VALU_DEP_2) | instskip(NEXT) | instid1(VALU_DEP_1)
	s_or_b32 s4, s2, s6
	v_lshlrev_b64 v[3:4], 1, v[3:4]
	v_cndmask_b32_e64 v17, 0, 0x7c00, s4
	s_delay_alu instid0(VALU_DEP_2) | instskip(NEXT) | instid1(VALU_DEP_1)
	v_add_co_u32 v10, s3, s8, v3
	v_add_co_ci_u32_e64 v11, s3, s9, v4, s3
	v_ashrrev_i32_e32 v3, 31, v2
	s_or_b32 s3, s27, s4
	s_delay_alu instid0(SALU_CYCLE_1) | instskip(NEXT) | instid1(SALU_CYCLE_1)
	s_xor_b32 s3, s3, -1
	s_and_saveexec_b32 s4, s3
	s_cbranch_execz .LBB224_15
; %bb.14:
	v_lshlrev_b64 v[4:5], 1, v[2:3]
	s_delay_alu instid0(VALU_DEP_1) | instskip(NEXT) | instid1(VALU_DEP_1)
	v_add_co_u32 v4, s3, v10, v4
	v_add_co_ci_u32_e64 v5, s3, v11, v5, s3
	flat_load_u16 v4, v[4:5]
	s_waitcnt vmcnt(0) lgkmcnt(0)
	v_mul_f16_e32 v17, s19, v4
.LBB224_15:
	s_or_b32 exec_lo, exec_lo, s4
	v_or_b32_e32 v4, 64, v2
	s_add_i32 s7, s17, -1
	s_delay_alu instid0(VALU_DEP_1) | instskip(SKIP_1) | instid1(VALU_DEP_2)
	v_cmp_le_i32_e64 s3, s17, v4
	v_min_i32_e32 v4, s7, v4
	s_or_b32 s4, s3, s6
	s_delay_alu instid0(VALU_DEP_1) | instskip(SKIP_2) | instid1(SALU_CYCLE_1)
	v_ashrrev_i32_e32 v5, 31, v4
	v_cndmask_b32_e64 v18, 0, 0x7c00, s4
	s_or_b32 s4, s27, s4
	s_xor_b32 s4, s4, -1
	s_delay_alu instid0(SALU_CYCLE_1)
	s_and_saveexec_b32 s5, s4
	s_cbranch_execz .LBB224_17
; %bb.16:
	v_lshlrev_b64 v[6:7], 1, v[4:5]
	s_delay_alu instid0(VALU_DEP_1) | instskip(NEXT) | instid1(VALU_DEP_1)
	v_add_co_u32 v6, s4, v10, v6
	v_add_co_ci_u32_e64 v7, s4, v11, v7, s4
	flat_load_u16 v6, v[6:7]
	s_waitcnt vmcnt(0) lgkmcnt(0)
	v_mul_f16_e32 v18, s19, v6
.LBB224_17:
	s_or_b32 exec_lo, exec_lo, s5
	v_or_b32_e32 v6, 0x80, v2
	s_delay_alu instid0(VALU_DEP_1) | instskip(SKIP_1) | instid1(VALU_DEP_2)
	v_cmp_le_i32_e64 s4, s17, v6
	v_min_i32_e32 v6, s7, v6
	s_or_b32 s5, s4, s6
	s_delay_alu instid0(VALU_DEP_1) | instskip(SKIP_2) | instid1(SALU_CYCLE_1)
	v_ashrrev_i32_e32 v7, 31, v6
	v_cndmask_b32_e64 v19, 0, 0x7c00, s5
	s_or_b32 s5, s27, s5
	s_xor_b32 s5, s5, -1
	s_delay_alu instid0(SALU_CYCLE_1)
	s_and_saveexec_b32 s15, s5
	s_cbranch_execz .LBB224_19
; %bb.18:
	v_lshlrev_b64 v[8:9], 1, v[6:7]
	s_delay_alu instid0(VALU_DEP_1) | instskip(NEXT) | instid1(VALU_DEP_1)
	v_add_co_u32 v8, s5, v10, v8
	v_add_co_ci_u32_e64 v9, s5, v11, v9, s5
	flat_load_u16 v8, v[8:9]
	s_waitcnt vmcnt(0) lgkmcnt(0)
	v_mul_f16_e32 v19, s19, v8
.LBB224_19:
	s_or_b32 exec_lo, exec_lo, s15
	v_or_b32_e32 v8, 0xc0, v2
	s_delay_alu instid0(VALU_DEP_1) | instskip(SKIP_1) | instid1(VALU_DEP_2)
	v_cmp_le_i32_e64 s5, s17, v8
	v_min_i32_e32 v8, s7, v8
	s_or_b32 s6, s5, s6
	s_delay_alu instid0(VALU_DEP_1) | instskip(SKIP_2) | instid1(SALU_CYCLE_1)
	v_ashrrev_i32_e32 v9, 31, v8
	v_cndmask_b32_e64 v20, 0, 0x7c00, s6
	s_or_b32 s6, s27, s6
	s_xor_b32 s6, s6, -1
	s_delay_alu instid0(SALU_CYCLE_1)
	s_and_saveexec_b32 s7, s6
	s_cbranch_execz .LBB224_21
; %bb.20:
	v_lshlrev_b64 v[12:13], 1, v[8:9]
	s_delay_alu instid0(VALU_DEP_1) | instskip(NEXT) | instid1(VALU_DEP_1)
	v_add_co_u32 v10, s6, v10, v12
	v_add_co_ci_u32_e64 v11, s6, v11, v13, s6
	flat_load_u16 v10, v[10:11]
	s_waitcnt vmcnt(0) lgkmcnt(0)
	v_mul_f16_e32 v20, s19, v10
.LBB224_21:
	s_or_b32 exec_lo, exec_lo, s7
	v_add_nc_u32_e32 v10, 4, v46
	s_delay_alu instid0(VALU_DEP_1) | instskip(SKIP_1) | instid1(VALU_DEP_2)
	v_cmp_le_i32_e64 s6, s18, v10
	v_min_i32_e32 v11, s29, v10
                                        ; implicit-def: $vgpr10
	s_or_b32 s15, vcc_lo, s6
	s_delay_alu instid0(VALU_DEP_1) | instskip(SKIP_1) | instid1(SALU_CYCLE_1)
	v_ashrrev_i32_e32 v12, 31, v11
	s_or_b32 s7, s27, s15
	s_xor_b32 s7, s7, -1
	s_delay_alu instid0(SALU_CYCLE_1) | instskip(NEXT) | instid1(SALU_CYCLE_1)
	s_and_saveexec_b32 s31, s7
	s_xor_b32 s31, exec_lo, s31
	s_cbranch_execz .LBB224_23
; %bb.22:
	v_mad_i64_i32 v[13:14], null, s22, v11, 0
	v_lshlrev_b64 v[21:22], 1, v[0:1]
	s_delay_alu instid0(VALU_DEP_2) | instskip(NEXT) | instid1(VALU_DEP_1)
	v_lshlrev_b64 v[13:14], 1, v[13:14]
	v_add_co_u32 v10, s7, s20, v13
	s_delay_alu instid0(VALU_DEP_1) | instskip(NEXT) | instid1(VALU_DEP_2)
	v_add_co_ci_u32_e64 v14, s7, s21, v14, s7
	v_add_co_u32 v13, s7, v10, v21
	s_delay_alu instid0(VALU_DEP_1)
	v_add_co_ci_u32_e64 v14, s7, v14, v22, s7
	flat_load_u16 v10, v[13:14]
	s_waitcnt vmcnt(0) lgkmcnt(0)
	v_mul_f16_e32 v10, s19, v10
.LBB224_23:
	s_and_not1_saveexec_b32 s7, s31
; %bb.24:
	v_cndmask_b32_e64 v10, 0, 0x7c00, s15
; %bb.25:
	s_or_b32 exec_lo, exec_lo, s7
	v_mul_lo_u32 v14, v12, s30
	v_mul_lo_u32 v21, v11, s14
	v_mad_u64_u32 v[12:13], null, v11, s30, 0
	s_delay_alu instid0(VALU_DEP_1) | instskip(NEXT) | instid1(VALU_DEP_1)
	v_add3_u32 v13, v13, v21, v14
	v_lshlrev_b64 v[11:12], 1, v[12:13]
	s_delay_alu instid0(VALU_DEP_1) | instskip(NEXT) | instid1(VALU_DEP_1)
	v_add_co_u32 v21, s7, s8, v11
	v_add_co_ci_u32_e64 v22, s7, s9, v12, s7
	s_or_b32 s7, s2, s6
	s_delay_alu instid0(SALU_CYCLE_1) | instskip(SKIP_1) | instid1(SALU_CYCLE_1)
	v_cndmask_b32_e64 v11, 0, 0x7c00, s7
	s_or_b32 s7, s27, s7
	s_xor_b32 s7, s7, -1
	s_delay_alu instid0(SALU_CYCLE_1)
	s_and_saveexec_b32 s14, s7
	s_cbranch_execz .LBB224_27
; %bb.26:
	v_lshlrev_b64 v[11:12], 1, v[2:3]
	s_delay_alu instid0(VALU_DEP_1) | instskip(NEXT) | instid1(VALU_DEP_1)
	v_add_co_u32 v11, s7, v21, v11
	v_add_co_ci_u32_e64 v12, s7, v22, v12, s7
	flat_load_u16 v11, v[11:12]
	s_waitcnt vmcnt(0) lgkmcnt(0)
	v_mul_f16_e32 v11, s19, v11
.LBB224_27:
	s_or_b32 exec_lo, exec_lo, s14
	s_or_b32 s7, s3, s6
	s_delay_alu instid0(SALU_CYCLE_1) | instskip(SKIP_1) | instid1(SALU_CYCLE_1)
	v_cndmask_b32_e64 v12, 0, 0x7c00, s7
	s_or_b32 s7, s27, s7
	s_xor_b32 s7, s7, -1
	s_delay_alu instid0(SALU_CYCLE_1)
	s_and_saveexec_b32 s14, s7
	s_cbranch_execz .LBB224_29
; %bb.28:
	v_lshlrev_b64 v[12:13], 1, v[4:5]
	s_delay_alu instid0(VALU_DEP_1) | instskip(NEXT) | instid1(VALU_DEP_1)
	v_add_co_u32 v12, s7, v21, v12
	v_add_co_ci_u32_e64 v13, s7, v22, v13, s7
	flat_load_u16 v12, v[12:13]
	s_waitcnt vmcnt(0) lgkmcnt(0)
	v_mul_f16_e32 v12, s19, v12
.LBB224_29:
	s_or_b32 exec_lo, exec_lo, s14
	;; [unrolled: 18-line block ×4, first 2 shown]
	v_lshlrev_b32_e32 v21, 1, v46
	v_lshlrev_b32_e32 v47, 3, v44
	;; [unrolled: 1-line block ×3, first 2 shown]
	s_cmp_lt_i32 s18, 9
	s_delay_alu instid0(VALU_DEP_3) | instskip(NEXT) | instid1(VALU_DEP_3)
	v_lshl_add_u32 v80, v15, 3, v21
	v_add_nc_u32_e32 v31, 0x1000, v47
	ds_store_b16 v80, v17
	ds_store_b16 v80, v18 offset:512
	ds_store_b16 v80, v19 offset:1024
	;; [unrolled: 1-line block ×4, first 2 shown]
	s_waitcnt lgkmcnt(0)
	s_barrier
	buffer_gl0_inv
	ds_load_2addr_b64 v[15:18], v31 offset1:8
	ds_load_2addr_b64 v[19:22], v72 offset1:32
	ds_load_2addr_b64 v[23:26], v31 offset0:16 offset1:24
	ds_load_2addr_b64 v[27:30], v31 offset0:32 offset1:40
	;; [unrolled: 1-line block ×5, first 2 shown]
	s_waitcnt lgkmcnt(5)
	v_pk_add_f16 v43, v15, v19
	s_waitcnt lgkmcnt(4)
	v_pk_add_f16 v49, v23, v19
	v_pk_add_f16 v48, v17, v19
	s_waitcnt lgkmcnt(2)
	v_pk_add_f16 v53, v31, v19
	v_pk_add_f16 v81, v24, v20
	;; [unrolled: 1-line block ×3, first 2 shown]
	v_pk_min_f16 v49, 0x7c00, v49 op_sel_hi:[0,1]
	v_pk_add_f16 v52, v29, v19
	v_pk_add_f16 v58, v25, v21
	s_waitcnt lgkmcnt(1)
	v_pk_add_f16 v63, v15, v35
	v_pk_add_f16 v64, v17, v35
	;; [unrolled: 1-line block ×11, first 2 shown]
	v_pk_min_f16 v43, 0x7c00, v43 op_sel_hi:[0,1]
	v_pk_min_f16 v48, 0x7c00, v48 op_sel_hi:[0,1]
	v_pk_min_f16 v119, v49, v81
	v_pk_min_f16 v49, 0x7c00, v53 op_sel_hi:[0,1]
	v_pk_add_f16 v56, v17, v21
	v_pk_add_f16 v57, v23, v21
	;; [unrolled: 1-line block ×15, first 2 shown]
	v_pk_min_f16 v121, v43, v78
	v_pk_min_f16 v120, v48, v79
	v_pk_min_f16 v43, 0x7c00, v51 op_sel_hi:[0,1]
	v_pk_min_f16 v48, 0x7c00, v52 op_sel_hi:[0,1]
	v_pk_min_f16 v107, v49, v85
	v_pk_min_f16 v49, 0x7c00, v58 op_sel_hi:[0,1]
	v_pk_min_f16 v35, 0x7c00, v35 op_sel_hi:[0,1]
	v_pk_add_f16 v50, v25, v19
	v_pk_add_f16 v54, v33, v19
	;; [unrolled: 1-line block ×20, first 2 shown]
	ds_load_2addr_b64 v[19:22], v72 offset0:192 offset1:224
	v_pk_min_f16 v114, v43, v83
	v_pk_min_f16 v108, v48, v84
	v_pk_min_f16 v43, 0x7c00, v56 op_sel_hi:[0,1]
	v_pk_min_f16 v48, 0x7c00, v57 op_sel_hi:[0,1]
	v_pk_min_f16 v102, v49, v90
	v_pk_min_f16 v90, v35, v36
	v_pk_min_f16 v35, 0x7c00, v70 op_sel_hi:[0,1]
	v_pk_min_f16 v36, 0x7c00, v71 op_sel_hi:[0,1]
	v_pk_add_f16 v73, v23, v37
	v_pk_add_f16 v74, v25, v37
	;; [unrolled: 1-line block ×6, first 2 shown]
	s_waitcnt lgkmcnt(1)
	v_pk_add_f16 v128, v23, v39
	v_pk_add_f16 v129, v25, v39
	v_pk_min_f16 v50, 0x7c00, v50 op_sel_hi:[0,1]
	v_pk_min_f16 v104, v43, v88
	v_pk_min_f16 v103, v48, v89
	;; [unrolled: 1-line block ×4, first 2 shown]
	v_pk_min_f16 v35, 0x7c00, v76 op_sel_hi:[0,1]
	v_pk_min_f16 v36, 0x7c00, v77 op_sel_hi:[0,1]
	v_pk_add_f16 v117, v24, v38
	v_pk_add_f16 v122, v26, v38
	;; [unrolled: 1-line block ×13, first 2 shown]
	v_pk_min_f16 v118, v50, v82
	v_pk_min_f16 v50, 0x7c00, v54 op_sel_hi:[0,1]
	v_pk_min_f16 v51, 0x7c00, v55 op_sel_hi:[0,1]
	;; [unrolled: 1-line block ×5, first 2 shown]
	v_pk_min_f16 v84, v35, v124
	v_pk_min_f16 v83, v36, v125
	v_pk_min_f16 v35, 0x7c00, v128 op_sel_hi:[0,1]
	v_pk_min_f16 v36, 0x7c00, v129 op_sel_hi:[0,1]
	v_pk_add_f16 v134, v17, v41
	v_pk_add_f16 v135, v23, v41
	;; [unrolled: 1-line block ×14, first 2 shown]
	v_pk_min_f16 v106, v50, v86
	v_pk_min_f16 v105, v51, v87
	v_pk_min_f16 v50, 0x7c00, v59 op_sel_hi:[0,1]
	v_pk_min_f16 v51, 0x7c00, v60 op_sel_hi:[0,1]
	v_pk_min_f16 v48, 0x7c00, v62 op_sel_hi:[0,1]
	v_pk_min_f16 v99, v43, v93
	v_pk_min_f16 v97, v49, v95
	v_pk_min_f16 v43, 0x7c00, v66 op_sel_hi:[0,1]
	v_pk_min_f16 v49, 0x7c00, v68 op_sel_hi:[0,1]
	v_pk_min_f16 v82, v37, v38
	v_pk_min_f16 v37, 0x7c00, v130 op_sel_hi:[0,1]
	v_pk_min_f16 v38, 0x7c00, v131 op_sel_hi:[0,1]
	v_pk_min_f16 v78, v35, v142
	v_pk_min_f16 v77, v36, v143
	v_pk_min_f16 v35, 0x7c00, v39 op_sel_hi:[0,1]
	v_pk_min_f16 v36, 0x7c00, v133 op_sel_hi:[0,1]
	v_pk_add_f16 v148, v18, v42
	v_pk_add_f16 v149, v24, v42
	;; [unrolled: 1-line block ×7, first 2 shown]
	v_pk_min_f16 v101, v50, v91
	v_pk_min_f16 v100, v51, v92
	v_pk_min_f16 v50, 0x7c00, v64 op_sel_hi:[0,1]
	v_pk_min_f16 v98, v48, v94
	v_pk_min_f16 v94, v43, v110
	;; [unrolled: 1-line block ×3, first 2 shown]
	v_pk_min_f16 v43, 0x7c00, v73 op_sel_hi:[0,1]
	v_pk_min_f16 v49, 0x7c00, v75 op_sel_hi:[0,1]
	v_pk_min_f16 v76, v37, v144
	v_pk_min_f16 v75, v38, v145
	v_pk_min_f16 v37, 0x7c00, v134 op_sel_hi:[0,1]
	v_pk_min_f16 v38, 0x7c00, v135 op_sel_hi:[0,1]
	;; [unrolled: 1-line block ×4, first 2 shown]
	v_pk_min_f16 v73, v35, v40
	s_waitcnt lgkmcnt(0)
	v_pk_add_f16 v35, v23, v19
	v_pk_min_f16 v71, v36, v147
	v_pk_add_f16 v36, v25, v19
	v_pk_add_f16 v154, v15, v19
	;; [unrolled: 1-line block ×4, first 2 shown]
	v_pk_min_f16 v96, v50, v96
	v_pk_min_f16 v48, 0x7c00, v67 op_sel_hi:[0,1]
	v_pk_min_f16 v50, 0x7c00, v69 op_sel_hi:[0,1]
	v_pk_min_f16 v70, v37, v148
	v_pk_add_f16 v37, v27, v19
	v_pk_min_f16 v69, v38, v149
	v_pk_add_f16 v38, v29, v19
	;; [unrolled: 2-line block ×3, first 2 shown]
	v_pk_min_f16 v35, 0x7c00, v35 op_sel_hi:[0,1]
	v_pk_min_f16 v36, 0x7c00, v36 op_sel_hi:[0,1]
	v_pk_add_f16 v19, v33, v19
	v_pk_min_f16 v64, v41, v42
	v_pk_add_f16 v40, v24, v20
	v_pk_add_f16 v41, v26, v20
	;; [unrolled: 1-line block ×6, first 2 shown]
	v_pk_min_f16 v93, v48, v111
	v_pk_min_f16 v48, 0x7c00, v74 op_sel_hi:[0,1]
	v_pk_min_f16 v87, v43, v117
	v_pk_min_f16 v43, 0x7c00, v126 op_sel_hi:[0,1]
	v_pk_add_f16 v23, v23, v21
	v_pk_min_f16 v19, 0x7c00, v19 op_sel_hi:[0,1]
	v_pk_min_f16 v15, 0x7c00, v15 op_sel_hi:[0,1]
	v_pk_add_f16 v42, v28, v20
	v_pk_min_f16 v61, v35, v40
	v_pk_add_f16 v35, v30, v20
	v_pk_min_f16 v60, v36, v41
	v_pk_add_f16 v36, v32, v20
	v_pk_add_f16 v20, v34, v20
	;; [unrolled: 1-line block ×3, first 2 shown]
	v_pk_min_f16 v51, 0x7c00, v65 op_sel_hi:[0,1]
	v_pk_min_f16 v86, v48, v122
	v_pk_min_f16 v48, 0x7c00, v127 op_sel_hi:[0,1]
	v_pk_min_f16 v81, v43, v140
	v_pk_min_f16 v43, 0x7c00, v132 op_sel_hi:[0,1]
	v_pk_add_f16 v25, v25, v21
	v_pk_min_f16 v17, 0x7c00, v17 op_sel_hi:[0,1]
	v_pk_min_f16 v23, 0x7c00, v23 op_sel_hi:[0,1]
	v_pk_add_f16 v27, v27, v21
	v_pk_add_f16 v29, v29, v21
	v_pk_min_f16 v56, v19, v20
	v_pk_add_f16 v19, v31, v21
	v_pk_min_f16 v55, v15, v16
	v_pk_add_f16 v15, v33, v21
	v_pk_add_f16 v16, v24, v22
	v_pk_min_f16 v95, v51, v109
	v_pk_min_f16 v91, v50, v113
	;; [unrolled: 1-line block ×5, first 2 shown]
	v_pk_min_f16 v43, 0x7c00, v137 op_sel_hi:[0,1]
	v_pk_min_f16 v48, 0x7c00, v138 op_sel_hi:[0,1]
	;; [unrolled: 1-line block ×9, first 2 shown]
	v_pk_min_f16 v54, v17, v18
	v_pk_min_f16 v17, 0x7c00, v27 op_sel_hi:[0,1]
	v_pk_min_f16 v18, 0x7c00, v29 op_sel_hi:[0,1]
	;; [unrolled: 1-line block ×4, first 2 shown]
	v_pk_min_f16 v53, v23, v16
	v_pk_add_f16 v16, v26, v22
	v_pk_add_f16 v20, v28, v22
	;; [unrolled: 1-line block ×5, first 2 shown]
	v_pk_min_f16 v67, v43, v151
	v_pk_min_f16 v66, v48, v152
	;; [unrolled: 1-line block ×13, first 2 shown]
	ds_store_b16 v80, v11 offset:2048
	ds_store_b16 v80, v12 offset:2560
	;; [unrolled: 1-line block ×5, first 2 shown]
	s_waitcnt lgkmcnt(0)
	s_barrier
	buffer_gl0_inv
	s_cbranch_scc1 .LBB224_56
; %bb.34:
	v_add_nc_u32_e32 v10, v72, v44
	v_lshlrev_b64 v[32:33], 1, v[2:3]
	v_lshlrev_b64 v[0:1], 1, v[0:1]
	;; [unrolled: 1-line block ×4, first 2 shown]
	v_lshrrev_b32_e32 v10, 6, v10
	v_lshlrev_b64 v[42:43], 1, v[8:9]
	v_or_b32_e32 v109, 0x1000, v80
	v_add_co_u32 v115, s6, s20, v0
	s_delay_alu instid0(VALU_DEP_4)
	v_add_nc_u32_e32 v11, 12, v10
	v_add_nc_u32_e32 v12, 8, v10
	;; [unrolled: 1-line block ×4, first 2 shown]
	v_or_b32_e32 v112, 0x800, v80
	v_mad_i64_i32 v[2:3], null, v11, s22, 0
	v_mad_i64_i32 v[10:11], null, v12, s22, 0
	v_lshl_add_u32 v113, v44, 3, 0x1200
	v_add_co_ci_u32_e64 v116, s6, s21, v1, s6
	v_add_nc_u32_e32 v117, 0x800, v72
	v_lshlrev_b64 v[38:39], 1, v[2:3]
	s_add_i32 s20, s18, -8
	v_lshlrev_b64 v[40:41], 1, v[10:11]
	s_lshl_b64 s[14:15], s[22:23], 4
	s_mov_b32 s21, 0
	s_branch .LBB224_36
.LBB224_35:                             ;   in Loop: Header=BB224_36 Depth=1
	s_or_b32 exec_lo, exec_lo, s7
	ds_load_2addr_b64 v[126:129], v110 offset1:8
	ds_load_2addr_b64 v[87:90], v72 offset1:32
	ds_load_2addr_b64 v[130:133], v110 offset0:16 offset1:24
	ds_load_2addr_b64 v[134:137], v110 offset0:32 offset1:40
	;; [unrolled: 1-line block ×6, first 2 shown]
	v_pk_max_f16 v11, v85, v85
	v_pk_max_f16 v15, v83, v83
	;; [unrolled: 1-line block ×13, first 2 shown]
	s_waitcnt lgkmcnt(6)
	v_pk_add_f16 v83, v126, v87
	v_pk_add_f16 v84, v128, v87
	s_waitcnt lgkmcnt(5)
	v_pk_add_f16 v85, v130, v87
	v_pk_add_f16 v86, v132, v87
	s_waitcnt lgkmcnt(4)
	v_pk_add_f16 v91, v134, v87
	v_pk_add_f16 v92, v136, v87
	s_waitcnt lgkmcnt(3)
	v_pk_add_f16 v93, v138, v87
	v_pk_add_f16 v87, v140, v87
	v_pk_min_f16 v11, v11, v83
	v_pk_min_f16 v15, v15, v84
	;; [unrolled: 1-line block ×5, first 2 shown]
	v_pk_add_f16 v83, v126, v89
	v_pk_add_f16 v84, v128, v89
	;; [unrolled: 1-line block ×5, first 2 shown]
	v_pk_min_f16 v70, v70, v83
	v_pk_min_f16 v78, v78, v84
	;; [unrolled: 1-line block ×5, first 2 shown]
	v_pk_add_f16 v83, v136, v89
	v_pk_add_f16 v84, v138, v89
	v_pk_max_f16 v74, v74, v74
	v_pk_add_f16 v85, v140, v89
	v_pk_max_f16 v71, v71, v71
	s_waitcnt lgkmcnt(2)
	v_pk_add_f16 v86, v126, v142
	v_pk_max_f16 v69, v69, v69
	v_pk_add_f16 v87, v128, v142
	v_pk_max_f16 v67, v67, v67
	v_pk_min_f16 v65, v65, v83
	v_pk_min_f16 v74, v74, v84
	v_pk_min_f16 v71, v71, v85
	v_pk_min_f16 v69, v69, v86
	v_pk_min_f16 v67, v67, v87
	v_pk_add_f16 v83, v130, v142
	v_pk_max_f16 v60, v60, v60
	v_pk_add_f16 v84, v132, v142
	v_pk_max_f16 v68, v68, v68
	v_pk_add_f16 v85, v134, v142
	v_pk_max_f16 v66, v66, v66
	v_pk_add_f16 v86, v136, v142
	v_pk_max_f16 v64, v64, v64
	v_pk_add_f16 v87, v138, v142
	v_pk_max_f16 v62, v62, v62
	v_pk_min_f16 v60, v60, v83
	v_pk_min_f16 v68, v68, v84
	v_pk_min_f16 v66, v66, v85
	v_pk_min_f16 v64, v64, v86
	v_pk_min_f16 v62, v62, v87
	v_pk_add_f16 v83, v140, v142
	v_pk_max_f16 v55, v55, v55
	v_pk_add_f16 v84, v126, v144
	v_pk_max_f16 v63, v63, v63
	v_pk_add_f16 v85, v128, v144
	v_pk_max_f16 v61, v61, v61
	;; [unrolled: 15-line block ×3, first 2 shown]
	v_pk_add_f16 v86, v140, v144
	v_pk_max_f16 v54, v54, v54
	s_waitcnt lgkmcnt(1)
	v_pk_add_f16 v87, v126, v146
	v_pk_max_f16 v52, v52, v52
	v_pk_min_f16 v50, v50, v83
	v_pk_min_f16 v58, v58, v84
	v_pk_min_f16 v56, v56, v85
	v_pk_min_f16 v54, v54, v86
	v_pk_min_f16 v52, v52, v87
	v_pk_add_f16 v83, v128, v146
	v_pk_max_f16 v29, v29, v29
	v_pk_add_f16 v84, v130, v146
	v_pk_max_f16 v53, v53, v53
	v_pk_add_f16 v85, v132, v146
	v_pk_max_f16 v51, v51, v51
	v_pk_add_f16 v86, v134, v146
	v_pk_max_f16 v49, v49, v49
	v_pk_add_f16 v87, v136, v146
	v_pk_max_f16 v31, v31, v31
	v_pk_min_f16 v29, v29, v83
	v_pk_min_f16 v53, v53, v84
	v_pk_min_f16 v51, v51, v85
	v_pk_min_f16 v49, v49, v86
	v_pk_min_f16 v31, v31, v87
	v_pk_add_f16 v83, v138, v146
	v_pk_max_f16 v24, v24, v24
	v_pk_add_f16 v84, v140, v146
	v_pk_max_f16 v48, v48, v48
	v_pk_add_f16 v85, v126, v148
	v_pk_max_f16 v30, v30, v30
	v_pk_add_f16 v86, v128, v148
	v_pk_max_f16 v28, v28, v28
	;; [unrolled: 15-line block ×3, first 2 shown]
	v_pk_add_f16 v87, v140, v148
	v_pk_max_f16 v21, v21, v21
	v_pk_min_f16 v18, v18, v83
	v_pk_min_f16 v27, v27, v84
	;; [unrolled: 1-line block ×5, first 2 shown]
	s_waitcnt lgkmcnt(0)
	v_pk_add_f16 v83, v126, v150
	v_pk_max_f16 v10, v10, v10
	v_pk_add_f16 v84, v128, v150
	v_pk_max_f16 v22, v22, v22
	;; [unrolled: 2-line block ×5, first 2 shown]
	v_pk_min_f16 v10, v10, v83
	v_pk_min_f16 v22, v22, v84
	;; [unrolled: 1-line block ×5, first 2 shown]
	v_pk_add_f16 v83, v136, v150
	v_pk_max_f16 v6, v6, v6
	v_pk_add_f16 v84, v138, v150
	v_pk_max_f16 v13, v13, v13
	v_pk_add_f16 v85, v140, v150
	v_pk_max_f16 v12, v12, v12
	v_pk_add_f16 v86, v126, v152
	v_pk_max_f16 v9, v9, v9
	v_pk_add_f16 v87, v128, v152
	v_pk_max_f16 v8, v8, v8
	v_pk_min_f16 v6, v6, v83
	v_pk_min_f16 v13, v13, v84
	;; [unrolled: 1-line block ×5, first 2 shown]
	v_pk_add_f16 v83, v130, v152
	v_pk_max_f16 v2, v2, v2
	v_pk_add_f16 v84, v132, v152
	v_pk_max_f16 v7, v7, v7
	;; [unrolled: 2-line block ×5, first 2 shown]
	v_pk_max_f16 v82, v82, v82
	v_pk_min_f16 v2, v2, v83
	v_pk_min_f16 v7, v7, v84
	;; [unrolled: 1-line block ×5, first 2 shown]
	v_pk_add_f16 v83, v140, v152
	v_pk_max_f16 v1, v1, v1
	v_pk_add_f16 v84, v127, v88
	v_pk_add_f16 v85, v129, v88
	;; [unrolled: 1-line block ×4, first 2 shown]
	v_pk_min_f16 v79, v79, v91
	v_pk_min_f16 v81, v81, v92
	;; [unrolled: 1-line block ×8, first 2 shown]
	v_pk_add_f16 v11, v135, v88
	v_pk_add_f16 v15, v137, v88
	v_pk_add_f16 v17, v139, v88
	v_pk_add_f16 v19, v141, v88
	v_pk_add_f16 v83, v127, v90
	v_pk_min_f16 v114, v79, v11
	v_pk_min_f16 v108, v81, v15
	v_pk_min_f16 v107, v82, v17
	v_pk_min_f16 v106, v77, v19
	v_pk_min_f16 v105, v70, v83
	v_pk_add_f16 v11, v129, v90
	v_pk_add_f16 v15, v131, v90
	v_pk_add_f16 v17, v133, v90
	v_pk_add_f16 v19, v135, v90
	v_pk_add_f16 v70, v137, v90
	v_pk_min_f16 v104, v78, v11
	v_pk_min_f16 v103, v76, v15
	v_pk_min_f16 v102, v75, v17
	v_pk_min_f16 v101, v73, v19
	v_pk_min_f16 v100, v65, v70
	;; [unrolled: 10-line block ×11, first 2 shown]
	v_pk_add_f16 v2, v133, v153
	v_pk_add_f16 v6, v135, v153
	;; [unrolled: 1-line block ×5, first 2 shown]
	v_add_co_u32 v115, s6, v115, s14
	v_pk_min_f16 v52, v7, v2
	v_pk_min_f16 v51, v5, v6
	;; [unrolled: 1-line block ×5, first 2 shown]
	v_add_co_ci_u32_e64 v116, s6, s15, v116, s6
	s_add_i32 s21, s21, 8
	ds_store_b16 v111, v122
	ds_store_b16 v112, v123
	ds_store_b16 v112, v124 offset:512
	ds_store_b16 v112, v125 offset:1024
	ds_store_b16 v112, v0 offset:1536
	s_cmp_ge_i32 s21, s20
	s_waitcnt lgkmcnt(0)
	s_barrier
	buffer_gl0_inv
	s_cbranch_scc1 .LBB224_56
.LBB224_36:                             ; =>This Inner Loop Header: Depth=1
	v_add_nc_u32_e32 v122, s21, v46
	s_delay_alu instid0(VALU_DEP_1) | instskip(NEXT) | instid1(VALU_DEP_1)
	v_add_nc_u32_e32 v0, 8, v122
	v_cmp_le_i32_e64 s6, s18, v0
	s_delay_alu instid0(VALU_DEP_1) | instskip(NEXT) | instid1(SALU_CYCLE_1)
	s_or_b32 s7, vcc_lo, s6
	v_cndmask_b32_e64 v123, 0, 0x7c00, s7
	s_or_b32 s7, s27, s7
	s_delay_alu instid0(SALU_CYCLE_1) | instskip(NEXT) | instid1(SALU_CYCLE_1)
	s_xor_b32 s7, s7, -1
	s_and_saveexec_b32 s22, s7
	s_cbranch_execz .LBB224_38
; %bb.37:                               ;   in Loop: Header=BB224_36 Depth=1
	v_add_co_u32 v1, s7, v115, v40
	s_delay_alu instid0(VALU_DEP_1)
	v_add_co_ci_u32_e64 v2, s7, v116, v41, s7
	flat_load_u16 v1, v[1:2]
	s_waitcnt vmcnt(0) lgkmcnt(0)
	v_mul_f16_e32 v123, s19, v1
.LBB224_38:                             ;   in Loop: Header=BB224_36 Depth=1
	s_or_b32 exec_lo, exec_lo, s22
	v_min_i32_e32 v2, s29, v0
	s_delay_alu instid0(VALU_DEP_1) | instskip(NEXT) | instid1(VALU_DEP_1)
	v_mad_i64_i32 v[0:1], null, v2, s30, 0
	v_lshlrev_b64 v[0:1], 1, v[0:1]
	s_delay_alu instid0(VALU_DEP_1) | instskip(NEXT) | instid1(VALU_DEP_1)
	v_add_co_u32 v0, s7, s8, v0
	v_add_co_ci_u32_e64 v1, s7, s9, v1, s7
	s_or_b32 s7, s2, s6
	s_delay_alu instid0(SALU_CYCLE_1) | instskip(SKIP_1) | instid1(SALU_CYCLE_1)
	v_cndmask_b32_e64 v124, 0, 0x7c00, s7
	s_or_b32 s7, s27, s7
	s_xor_b32 s7, s7, -1
	s_delay_alu instid0(SALU_CYCLE_1)
	s_and_saveexec_b32 s22, s7
	s_cbranch_execz .LBB224_40
; %bb.39:                               ;   in Loop: Header=BB224_36 Depth=1
	v_add_co_u32 v2, s7, v0, v32
	s_delay_alu instid0(VALU_DEP_1)
	v_add_co_ci_u32_e64 v3, s7, v1, v33, s7
	flat_load_u16 v2, v[2:3]
	s_waitcnt vmcnt(0) lgkmcnt(0)
	v_mul_f16_e32 v124, s19, v2
.LBB224_40:                             ;   in Loop: Header=BB224_36 Depth=1
	s_or_b32 exec_lo, exec_lo, s22
	s_or_b32 s7, s3, s6
	s_delay_alu instid0(SALU_CYCLE_1) | instskip(SKIP_1) | instid1(SALU_CYCLE_1)
	v_cndmask_b32_e64 v125, 0, 0x7c00, s7
	s_or_b32 s7, s27, s7
	s_xor_b32 s7, s7, -1
	s_delay_alu instid0(SALU_CYCLE_1)
	s_and_saveexec_b32 s22, s7
	s_cbranch_execz .LBB224_42
; %bb.41:                               ;   in Loop: Header=BB224_36 Depth=1
	v_add_co_u32 v2, s7, v0, v34
	s_delay_alu instid0(VALU_DEP_1)
	v_add_co_ci_u32_e64 v3, s7, v1, v35, s7
	flat_load_u16 v2, v[2:3]
	s_waitcnt vmcnt(0) lgkmcnt(0)
	v_mul_f16_e32 v125, s19, v2
.LBB224_42:                             ;   in Loop: Header=BB224_36 Depth=1
	s_or_b32 exec_lo, exec_lo, s22
	;; [unrolled: 17-line block ×4, first 2 shown]
	ds_load_2addr_b64 v[12:15], v113 offset1:8
	ds_load_2addr_b64 v[8:11], v113 offset0:16 offset1:24
	ds_load_2addr_b64 v[4:7], v113 offset0:32 offset1:40
	;; [unrolled: 1-line block ×3, first 2 shown]
	ds_load_2addr_b64 v[28:31], v117 offset1:32
	ds_load_2addr_b64 v[24:27], v117 offset0:64 offset1:96
	ds_load_2addr_b64 v[20:23], v117 offset0:128 offset1:160
	;; [unrolled: 1-line block ×3, first 2 shown]
	v_add_nc_u32_e32 v128, 12, v122
	ds_store_b16 v109, v123
	ds_store_b16 v80, v124
	ds_store_b16 v80, v125 offset:512
	ds_store_b16 v80, v126 offset:1024
	;; [unrolled: 1-line block ×3, first 2 shown]
	s_waitcnt lgkmcnt(0)
	s_barrier
	buffer_gl0_inv
	v_cmp_le_i32_e64 s6, s18, v128
	s_delay_alu instid0(VALU_DEP_1) | instskip(NEXT) | instid1(SALU_CYCLE_1)
	s_or_b32 s7, vcc_lo, s6
	v_cndmask_b32_e64 v122, 0, 0x7c00, s7
	s_or_b32 s7, s27, s7
	s_delay_alu instid0(SALU_CYCLE_1) | instskip(NEXT) | instid1(SALU_CYCLE_1)
	s_xor_b32 s7, s7, -1
	s_and_saveexec_b32 s22, s7
	s_delay_alu instid0(SALU_CYCLE_1)
	s_xor_b32 s22, exec_lo, s22
	s_cbranch_execz .LBB224_48
; %bb.47:                               ;   in Loop: Header=BB224_36 Depth=1
	v_add_co_u32 v122, s7, v115, v38
	s_delay_alu instid0(VALU_DEP_1)
	v_add_co_ci_u32_e64 v123, s7, v116, v39, s7
	flat_load_u16 v122, v[122:123]
	s_waitcnt vmcnt(0) lgkmcnt(0)
	v_mul_f16_e32 v122, s19, v122
.LBB224_48:                             ;   in Loop: Header=BB224_36 Depth=1
	s_or_b32 exec_lo, exec_lo, s22
	v_min_i32_e32 v125, s29, v128
	s_delay_alu instid0(VALU_DEP_1) | instskip(NEXT) | instid1(VALU_DEP_1)
	v_mad_i64_i32 v[123:124], null, v125, s30, 0
	v_lshlrev_b64 v[123:124], 1, v[123:124]
	s_delay_alu instid0(VALU_DEP_1) | instskip(NEXT) | instid1(VALU_DEP_1)
	v_add_co_u32 v126, s7, s8, v123
	v_add_co_ci_u32_e64 v127, s7, s9, v124, s7
	s_or_b32 s7, s2, s6
	s_delay_alu instid0(SALU_CYCLE_1) | instskip(SKIP_1) | instid1(SALU_CYCLE_1)
	v_cndmask_b32_e64 v123, 0, 0x7c00, s7
	s_or_b32 s7, s27, s7
	s_xor_b32 s7, s7, -1
	s_delay_alu instid0(SALU_CYCLE_1)
	s_and_saveexec_b32 s22, s7
	s_cbranch_execz .LBB224_50
; %bb.49:                               ;   in Loop: Header=BB224_36 Depth=1
	v_add_co_u32 v123, s7, v126, v32
	s_delay_alu instid0(VALU_DEP_1)
	v_add_co_ci_u32_e64 v124, s7, v127, v33, s7
	flat_load_u16 v123, v[123:124]
	s_waitcnt vmcnt(0) lgkmcnt(0)
	v_mul_f16_e32 v123, s19, v123
.LBB224_50:                             ;   in Loop: Header=BB224_36 Depth=1
	s_or_b32 exec_lo, exec_lo, s22
	s_or_b32 s7, s3, s6
	s_delay_alu instid0(SALU_CYCLE_1) | instskip(SKIP_1) | instid1(SALU_CYCLE_1)
	v_cndmask_b32_e64 v124, 0, 0x7c00, s7
	s_or_b32 s7, s27, s7
	s_xor_b32 s7, s7, -1
	s_delay_alu instid0(SALU_CYCLE_1)
	s_and_saveexec_b32 s22, s7
	s_cbranch_execz .LBB224_52
; %bb.51:                               ;   in Loop: Header=BB224_36 Depth=1
	v_add_co_u32 v124, s7, v126, v34
	s_delay_alu instid0(VALU_DEP_1)
	v_add_co_ci_u32_e64 v125, s7, v127, v35, s7
	flat_load_u16 v124, v[124:125]
	s_waitcnt vmcnt(0) lgkmcnt(0)
	v_mul_f16_e32 v124, s19, v124
.LBB224_52:                             ;   in Loop: Header=BB224_36 Depth=1
	s_or_b32 exec_lo, exec_lo, s22
	s_or_b32 s7, s4, s6
	s_delay_alu instid0(SALU_CYCLE_1) | instskip(SKIP_1) | instid1(SALU_CYCLE_1)
	v_cndmask_b32_e64 v125, 0, 0x7c00, s7
	s_or_b32 s7, s27, s7
	s_xor_b32 s7, s7, -1
	s_delay_alu instid0(SALU_CYCLE_1)
	s_and_saveexec_b32 s22, s7
	s_cbranch_execz .LBB224_54
; %bb.53:                               ;   in Loop: Header=BB224_36 Depth=1
	v_add_co_u32 v128, s7, v126, v36
	s_delay_alu instid0(VALU_DEP_1)
	v_add_co_ci_u32_e64 v129, s7, v127, v37, s7
	flat_load_u16 v125, v[128:129]
	s_waitcnt vmcnt(0) lgkmcnt(0)
	v_mul_f16_e32 v125, s19, v125
.LBB224_54:                             ;   in Loop: Header=BB224_36 Depth=1
	s_or_b32 exec_lo, exec_lo, s22
	v_pk_add_f16 v128, v12, v28
	v_pk_max_f16 v121, v121, v121
	v_pk_add_f16 v129, v14, v28
	v_pk_max_f16 v120, v120, v120
	;; [unrolled: 2-line block ×3, first 2 shown]
	v_pk_min_f16 v121, v121, v128
	v_pk_add_f16 v128, v10, v28
	v_pk_min_f16 v120, v120, v129
	v_pk_max_f16 v118, v118, v118
	v_pk_min_f16 v119, v119, v130
	v_pk_add_f16 v129, v4, v28
	v_pk_max_f16 v114, v114, v114
	v_pk_add_f16 v130, v6, v28
	v_pk_add_f16 v131, v0, v28
	;; [unrolled: 1-line block ×3, first 2 shown]
	v_pk_max_f16 v106, v106, v106
	v_pk_max_f16 v108, v108, v108
	;; [unrolled: 1-line block ×3, first 2 shown]
	v_pk_min_f16 v118, v118, v128
	v_pk_min_f16 v114, v114, v129
	;; [unrolled: 1-line block ×3, first 2 shown]
	v_pk_add_f16 v106, v12, v30
	v_pk_max_f16 v105, v105, v105
	v_pk_add_f16 v128, v14, v30
	v_pk_max_f16 v104, v104, v104
	;; [unrolled: 2-line block ×3, first 2 shown]
	v_pk_min_f16 v108, v108, v130
	v_pk_min_f16 v107, v107, v131
	v_pk_add_f16 v130, v10, v30
	v_pk_max_f16 v102, v102, v102
	v_pk_add_f16 v131, v4, v30
	v_pk_min_f16 v105, v105, v106
	v_pk_min_f16 v104, v104, v128
	;; [unrolled: 1-line block ×3, first 2 shown]
	v_pk_add_f16 v106, v6, v30
	v_pk_max_f16 v100, v100, v100
	v_pk_add_f16 v128, v0, v30
	v_pk_add_f16 v30, v2, v30
	v_pk_max_f16 v98, v98, v98
	v_pk_add_f16 v129, v12, v24
	v_pk_max_f16 v97, v97, v97
	v_pk_min_f16 v102, v102, v130
	v_pk_max_f16 v99, v99, v99
	v_pk_add_f16 v130, v14, v24
	v_pk_max_f16 v96, v96, v96
	v_pk_min_f16 v100, v100, v106
	v_pk_min_f16 v30, v98, v30
	;; [unrolled: 1-line block ×3, first 2 shown]
	v_pk_add_f16 v98, v8, v24
	v_pk_max_f16 v95, v95, v95
	v_pk_add_f16 v106, v10, v24
	v_pk_max_f16 v94, v94, v94
	;; [unrolled: 2-line block ×3, first 2 shown]
	v_pk_min_f16 v99, v99, v128
	v_pk_min_f16 v96, v96, v130
	v_pk_add_f16 v128, v4, v24
	v_pk_max_f16 v93, v93, v93
	v_pk_add_f16 v130, v0, v24
	v_pk_min_f16 v95, v95, v98
	v_pk_min_f16 v94, v94, v106
	;; [unrolled: 1-line block ×3, first 2 shown]
	v_pk_add_f16 v24, v2, v24
	v_pk_max_f16 v90, v90, v90
	v_pk_add_f16 v98, v12, v26
	v_pk_max_f16 v89, v89, v89
	;; [unrolled: 2-line block ×4, first 2 shown]
	v_pk_min_f16 v93, v93, v128
	v_pk_add_f16 v128, v8, v26
	v_pk_max_f16 v87, v87, v87
	v_pk_min_f16 v24, v90, v24
	v_pk_min_f16 v89, v89, v98
	v_pk_min_f16 v88, v88, v106
	v_pk_min_f16 v90, v86, v129
	v_pk_add_f16 v86, v4, v26
	v_pk_max_f16 v85, v85, v85
	v_pk_add_f16 v98, v6, v26
	v_pk_max_f16 v84, v84, v84
	;; [unrolled: 2-line block ×4, first 2 shown]
	v_pk_max_f16 v101, v101, v101
	v_pk_min_f16 v87, v87, v128
	v_pk_add_f16 v128, v12, v20
	v_pk_max_f16 v81, v81, v81
	v_pk_min_f16 v129, v85, v86
	v_pk_min_f16 v98, v84, v98
	;; [unrolled: 1-line block ×4, first 2 shown]
	v_pk_add_f16 v82, v8, v20
	v_pk_max_f16 v78, v78, v78
	v_pk_add_f16 v83, v10, v20
	v_pk_max_f16 v77, v77, v77
	;; [unrolled: 2-line block ×4, first 2 shown]
	v_pk_min_f16 v101, v101, v131
	v_pk_min_f16 v128, v81, v128
	v_pk_add_f16 v81, v14, v20
	v_pk_min_f16 v131, v78, v82
	v_pk_min_f16 v132, v77, v83
	;; [unrolled: 1-line block ×4, first 2 shown]
	v_pk_add_f16 v75, v0, v20
	v_pk_add_f16 v20, v2, v20
	v_pk_max_f16 v73, v73, v73
	v_pk_add_f16 v76, v12, v22
	v_pk_max_f16 v71, v71, v71
	;; [unrolled: 2-line block ×4, first 2 shown]
	v_pk_min_f16 v20, v73, v20
	v_pk_min_f16 v136, v71, v76
	v_pk_min_f16 v137, v70, v77
	v_pk_max_f16 v68, v68, v68
	v_pk_min_f16 v138, v69, v78
	v_pk_add_f16 v69, v10, v22
	v_pk_add_f16 v70, v4, v22
	;; [unrolled: 1-line block ×5, first 2 shown]
	v_pk_max_f16 v64, v64, v64
	v_pk_max_f16 v67, v67, v67
	;; [unrolled: 1-line block ×4, first 2 shown]
	v_pk_min_f16 v139, v68, v69
	v_pk_min_f16 v22, v64, v22
	v_pk_add_f16 v64, v12, v16
	v_pk_add_f16 v68, v4, v16
	v_pk_max_f16 v59, v59, v59
	v_pk_add_f16 v12, v12, v18
	v_pk_max_f16 v55, v55, v55
	v_pk_min_f16 v140, v67, v70
	v_pk_min_f16 v141, v66, v71
	;; [unrolled: 1-line block ×3, first 2 shown]
	v_pk_add_f16 v65, v14, v16
	v_pk_add_f16 v66, v8, v16
	;; [unrolled: 1-line block ×3, first 2 shown]
	v_pk_max_f16 v60, v60, v60
	v_pk_min_f16 v147, v59, v68
	v_pk_add_f16 v59, v6, v16
	v_pk_add_f16 v14, v14, v18
	v_pk_max_f16 v54, v54, v54
	v_pk_min_f16 v151, v55, v12
	v_pk_add_f16 v8, v8, v18
	v_pk_max_f16 v12, v53, v53
	v_pk_add_f16 v6, v6, v18
	v_pk_max_f16 v50, v50, v50
	v_pk_min_f16 v146, v60, v67
	v_pk_add_f16 v60, v0, v16
	v_pk_add_f16 v16, v2, v16
	v_pk_min_f16 v152, v54, v14
	v_pk_add_f16 v10, v10, v18
	v_pk_max_f16 v14, v52, v52
	v_pk_min_f16 v153, v12, v8
	v_pk_min_f16 v155, v50, v6
	v_pk_add_f16 v2, v2, v18
	v_pk_max_f16 v6, v48, v48
	v_pk_add_f16 v8, v13, v29
	v_pk_max_f16 v91, v91, v91
	v_pk_max_f16 v79, v79, v79
	v_pk_min_f16 v154, v14, v10
	v_pk_add_f16 v10, v15, v29
	v_pk_add_f16 v12, v9, v29
	v_pk_min_f16 v156, v6, v2
	v_pk_min_f16 v85, v121, v8
	v_pk_add_f16 v2, v5, v29
	v_pk_add_f16 v8, v1, v29
	v_pk_min_f16 v91, v91, v130
	v_pk_min_f16 v130, v79, v81
	v_pk_max_f16 v74, v74, v74
	v_pk_min_f16 v83, v120, v10
	v_pk_min_f16 v81, v119, v12
	v_pk_add_f16 v6, v7, v29
	v_pk_add_f16 v10, v3, v29
	;; [unrolled: 1-line block ×3, first 2 shown]
	v_pk_min_f16 v86, v114, v2
	v_pk_min_f16 v82, v107, v8
	v_pk_add_f16 v2, v15, v31
	v_pk_add_f16 v8, v11, v31
	v_pk_min_f16 v135, v74, v75
	v_pk_max_f16 v62, v62, v62
	v_pk_min_f16 v84, v108, v6
	v_pk_min_f16 v77, v28, v10
	;; [unrolled: 1-line block ×3, first 2 shown]
	v_pk_add_f16 v6, v9, v31
	v_pk_add_f16 v10, v5, v31
	;; [unrolled: 1-line block ×3, first 2 shown]
	v_pk_min_f16 v78, v104, v2
	v_pk_min_f16 v75, v102, v8
	v_pk_add_f16 v2, v1, v31
	v_pk_add_f16 v8, v13, v25
	v_pk_max_f16 v63, v63, v63
	v_pk_min_f16 v144, v62, v65
	v_pk_max_f16 v57, v57, v57
	v_pk_min_f16 v76, v103, v6
	v_pk_min_f16 v73, v101, v10
	;; [unrolled: 1-line block ×3, first 2 shown]
	v_pk_add_f16 v6, v3, v31
	v_pk_add_f16 v10, v15, v25
	;; [unrolled: 1-line block ×3, first 2 shown]
	v_pk_min_f16 v74, v99, v2
	v_pk_min_f16 v69, v97, v8
	v_pk_add_f16 v2, v11, v25
	v_pk_add_f16 v8, v7, v25
	v_pk_max_f16 v61, v61, v61
	v_pk_min_f16 v143, v63, v64
	v_pk_max_f16 v58, v58, v58
	v_pk_min_f16 v149, v57, v60
	v_pk_min_f16 v71, v30, v6
	;; [unrolled: 1-line block ×4, first 2 shown]
	v_pk_add_f16 v6, v5, v25
	v_pk_add_f16 v10, v1, v25
	;; [unrolled: 1-line block ×3, first 2 shown]
	v_pk_min_f16 v68, v94, v2
	v_pk_min_f16 v64, v92, v8
	v_pk_add_f16 v2, v13, v27
	v_pk_add_f16 v8, v9, v27
	v_pk_min_f16 v145, v61, v66
	v_pk_min_f16 v148, v58, v59
	;; [unrolled: 1-line block ×5, first 2 shown]
	v_pk_add_f16 v6, v15, v27
	v_pk_add_f16 v10, v11, v27
	;; [unrolled: 1-line block ×3, first 2 shown]
	v_pk_min_f16 v63, v89, v2
	v_pk_min_f16 v59, v87, v8
	v_pk_add_f16 v2, v7, v27
	v_pk_add_f16 v8, v3, v27
	v_pk_max_f16 v56, v56, v56
	v_pk_add_f16 v0, v0, v18
	v_pk_max_f16 v49, v49, v49
	v_pk_min_f16 v61, v88, v6
	v_pk_min_f16 v57, v90, v10
	v_pk_min_f16 v50, v129, v12
	v_pk_add_f16 v6, v1, v27
	v_pk_add_f16 v10, v13, v21
	;; [unrolled: 1-line block ×3, first 2 shown]
	v_pk_min_f16 v58, v98, v2
	v_pk_min_f16 v54, v26, v8
	v_pk_add_f16 v2, v9, v21
	v_pk_add_f16 v8, v5, v21
	v_pk_min_f16 v150, v56, v16
	v_pk_min_f16 v0, v49, v0
	v_pk_add_f16 v14, v11, v29
	v_pk_min_f16 v56, v106, v6
	v_pk_min_f16 v52, v128, v10
	;; [unrolled: 1-line block ×3, first 2 shown]
	v_pk_add_f16 v6, v11, v21
	v_pk_add_f16 v10, v7, v21
	;; [unrolled: 1-line block ×3, first 2 shown]
	v_pk_min_f16 v53, v131, v2
	v_pk_min_f16 v49, v133, v8
	v_pk_add_f16 v2, v3, v21
	v_pk_add_f16 v8, v15, v23
	v_pk_max_f16 v16, v51, v51
	v_pk_min_f16 v51, v132, v6
	v_pk_min_f16 v31, v134, v10
	;; [unrolled: 1-line block ×3, first 2 shown]
	v_pk_add_f16 v6, v13, v23
	v_pk_add_f16 v10, v9, v23
	;; [unrolled: 1-line block ×3, first 2 shown]
	v_pk_min_f16 v48, v20, v2
	v_pk_min_f16 v28, v137, v8
	v_pk_add_f16 v2, v5, v23
	v_pk_add_f16 v8, v1, v23
	;; [unrolled: 1-line block ×3, first 2 shown]
	v_pk_min_f16 v30, v136, v6
	v_pk_min_f16 v26, v138, v10
	;; [unrolled: 1-line block ×3, first 2 shown]
	v_pk_add_f16 v6, v7, v23
	v_pk_add_f16 v10, v3, v23
	;; [unrolled: 1-line block ×3, first 2 shown]
	v_pk_min_f16 v27, v140, v2
	v_pk_min_f16 v23, v142, v8
	v_pk_add_f16 v2, v15, v17
	v_pk_add_f16 v8, v11, v17
	v_pk_min_f16 v4, v16, v4
	v_pk_min_f16 v25, v141, v6
	;; [unrolled: 1-line block ×4, first 2 shown]
	v_pk_add_f16 v6, v9, v17
	v_pk_add_f16 v12, v5, v17
	;; [unrolled: 1-line block ×3, first 2 shown]
	v_pk_min_f16 v22, v144, v2
	v_pk_min_f16 v16, v146, v8
	v_pk_add_f16 v2, v1, v17
	v_pk_add_f16 v8, v3, v17
	;; [unrolled: 1-line block ×4, first 2 shown]
	v_pk_min_f16 v79, v118, v14
	v_pk_min_f16 v20, v145, v6
	;; [unrolled: 1-line block ×4, first 2 shown]
	v_pk_add_f16 v87, v9, v19
	v_pk_min_f16 v12, v150, v8
	v_pk_min_f16 v9, v151, v17
	;; [unrolled: 1-line block ×3, first 2 shown]
	v_pk_add_f16 v11, v11, v19
	v_pk_add_f16 v5, v5, v19
	v_pk_add_f16 v15, v7, v19
	v_pk_add_f16 v1, v1, v19
	v_pk_add_f16 v17, v3, v19
	s_or_b32 s6, s5, s6
	v_pk_min_f16 v13, v149, v2
	v_pk_min_f16 v2, v153, v87
	;; [unrolled: 1-line block ×7, first 2 shown]
	v_cndmask_b32_e64 v0, 0, 0x7c00, s6
	s_or_b32 s6, s27, s6
	s_delay_alu instid0(SALU_CYCLE_1) | instskip(NEXT) | instid1(SALU_CYCLE_1)
	s_xor_b32 s6, s6, -1
	s_and_saveexec_b32 s7, s6
	s_cbranch_execz .LBB224_35
; %bb.55:                               ;   in Loop: Header=BB224_36 Depth=1
	v_add_co_u32 v87, s6, v126, v42
	s_delay_alu instid0(VALU_DEP_1)
	v_add_co_ci_u32_e64 v88, s6, v127, v43, s6
	flat_load_u16 v0, v[87:88]
	s_waitcnt vmcnt(0) lgkmcnt(0)
	v_mul_f16_e32 v0, s19, v0
	s_branch .LBB224_35
.LBB224_56:
	s_clause 0x2
	s_load_b32 s14, s[0:1], 0x50
	s_load_b32 s9, s[0:1], 0x68
	s_load_b64 s[2:3], s[0:1], 0x70
	v_add_nc_u32_e32 v0, 0x1000, v47
	v_add_nc_u32_e32 v80, s28, v45
	;; [unrolled: 1-line block ×4, first 2 shown]
	ds_load_2addr_b64 v[16:19], v0 offset0:64 offset1:72
	ds_load_2addr_b64 v[12:15], v0 offset0:80 offset1:88
	;; [unrolled: 1-line block ×4, first 2 shown]
	ds_load_2addr_b64 v[28:31], v4 offset1:32
	ds_load_2addr_b64 v[24:27], v4 offset0:64 offset1:96
	ds_load_2addr_b64 v[20:23], v4 offset0:128 offset1:160
	;; [unrolled: 1-line block ×3, first 2 shown]
	v_cmp_gt_i32_e64 s0, s16, v32
	v_cmp_gt_i32_e64 s8, s17, v80
	v_ashrrev_i32_e32 v33, 31, v32
	v_cndmask_b32_e64 v72, 0, 1, s25
	s_waitcnt lgkmcnt(0)
	v_mad_i64_i32 v[34:35], null, v80, s14, 0
	v_mad_i64_i32 v[36:37], null, v80, s9, 0
	s_lshl_b64 s[2:3], s[2:3], 1
	s_delay_alu instid0(SALU_CYCLE_1) | instskip(SKIP_1) | instid1(VALU_DEP_2)
	s_add_u32 s12, s12, s2
	s_addc_u32 s13, s13, s3
	v_lshlrev_b64 v[34:35], 1, v[34:35]
	s_and_b32 s1, s0, s8
	s_delay_alu instid0(VALU_DEP_2) | instskip(NEXT) | instid1(VALU_DEP_2)
	v_lshlrev_b64 v[36:37], 1, v[36:37]
	v_add_co_u32 v111, vcc_lo, s10, v34
	s_delay_alu instid0(VALU_DEP_3) | instskip(NEXT) | instid1(VALU_DEP_3)
	v_add_co_ci_u32_e32 v112, vcc_lo, s11, v35, vcc_lo
	v_add_co_u32 v109, vcc_lo, s12, v36
	s_delay_alu instid0(VALU_DEP_4) | instskip(SKIP_1) | instid1(SALU_CYCLE_1)
	v_add_co_ci_u32_e32 v110, vcc_lo, s13, v37, vcc_lo
	s_and_saveexec_b32 s2, s1
	s_xor_b32 s1, exec_lo, s2
	s_cbranch_execz .LBB224_61
; %bb.57:
	s_and_not1_b32 vcc_lo, exec_lo, s25
	s_cbranch_vccnz .LBB224_59
; %bb.58:
	v_lshlrev_b64 v[34:35], 1, v[32:33]
	s_delay_alu instid0(VALU_DEP_1) | instskip(NEXT) | instid1(VALU_DEP_2)
	v_add_co_u32 v34, vcc_lo, v111, v34
	v_add_co_ci_u32_e32 v35, vcc_lo, v112, v35, vcc_lo
	flat_load_u16 v34, v[34:35]
	s_waitcnt vmcnt(0) lgkmcnt(0)
	v_mul_f16_e32 v34, s24, v34
	s_branch .LBB224_60
.LBB224_59:
	v_mov_b32_e32 v34, 0
.LBB224_60:
	v_pk_add_f16 v35, v16, v28
	v_pk_max_f16 v36, v121, v121
	v_pk_add_f16 v37, v17, v29
	s_delay_alu instid0(VALU_DEP_2) | instskip(NEXT) | instid1(VALU_DEP_1)
	v_pk_min_f16 v35, v36, v35
	v_pk_min_f16 v37, v35, v37
	v_lshlrev_b64 v[35:36], 1, v[32:33]
	s_delay_alu instid0(VALU_DEP_2) | instskip(NEXT) | instid1(VALU_DEP_1)
	v_lshrrev_b32_e32 v38, 16, v37
	v_min3_f16 v37, v34, v37, v38
	s_delay_alu instid0(VALU_DEP_3) | instskip(NEXT) | instid1(VALU_DEP_4)
	v_add_co_u32 v34, vcc_lo, v109, v35
	v_add_co_ci_u32_e32 v35, vcc_lo, v110, v36, vcc_lo
	global_store_b16 v[34:35], v37, off
.LBB224_61:
	s_or_b32 exec_lo, exec_lo, s1
	v_add_nc_u32_e32 v34, 8, v32
	s_delay_alu instid0(VALU_DEP_1) | instskip(SKIP_1) | instid1(VALU_DEP_2)
	v_cmp_gt_i32_e64 s1, s16, v34
	v_ashrrev_i32_e32 v35, 31, v34
	s_and_b32 s3, s1, s8
	s_delay_alu instid0(SALU_CYCLE_1)
	s_and_saveexec_b32 s2, s3
	s_cbranch_execz .LBB224_66
; %bb.62:
	v_cmp_ne_u32_e32 vcc_lo, 1, v72
	s_cbranch_vccnz .LBB224_64
; %bb.63:
	v_lshlrev_b64 v[36:37], 1, v[34:35]
	s_delay_alu instid0(VALU_DEP_1) | instskip(NEXT) | instid1(VALU_DEP_2)
	v_add_co_u32 v36, vcc_lo, v111, v36
	v_add_co_ci_u32_e32 v37, vcc_lo, v112, v37, vcc_lo
	flat_load_u16 v36, v[36:37]
	s_waitcnt vmcnt(0) lgkmcnt(0)
	v_mul_f16_e32 v36, s24, v36
	s_branch .LBB224_65
.LBB224_64:
	v_mov_b32_e32 v36, 0
.LBB224_65:
	v_pk_add_f16 v37, v18, v28
	v_pk_max_f16 v38, v120, v120
	v_pk_add_f16 v39, v19, v29
	s_delay_alu instid0(VALU_DEP_2) | instskip(NEXT) | instid1(VALU_DEP_1)
	v_pk_min_f16 v37, v38, v37
	v_pk_min_f16 v39, v37, v39
	v_lshlrev_b64 v[37:38], 1, v[34:35]
	s_delay_alu instid0(VALU_DEP_2) | instskip(NEXT) | instid1(VALU_DEP_1)
	v_lshrrev_b32_e32 v40, 16, v39
	v_min3_f16 v39, v36, v39, v40
	s_delay_alu instid0(VALU_DEP_3) | instskip(NEXT) | instid1(VALU_DEP_4)
	v_add_co_u32 v36, vcc_lo, v109, v37
	v_add_co_ci_u32_e32 v37, vcc_lo, v110, v38, vcc_lo
	global_store_b16 v[36:37], v39, off
.LBB224_66:
	s_or_b32 exec_lo, exec_lo, s2
	v_add_nc_u32_e32 v36, 16, v32
	s_delay_alu instid0(VALU_DEP_1) | instskip(SKIP_1) | instid1(VALU_DEP_2)
	v_cmp_gt_i32_e64 s2, s16, v36
	v_ashrrev_i32_e32 v37, 31, v36
	s_and_b32 s4, s2, s8
	s_delay_alu instid0(SALU_CYCLE_1)
	s_and_saveexec_b32 s3, s4
	s_cbranch_execz .LBB224_71
; %bb.67:
	v_cmp_ne_u32_e32 vcc_lo, 1, v72
	s_cbranch_vccnz .LBB224_69
; %bb.68:
	v_lshlrev_b64 v[38:39], 1, v[36:37]
	s_delay_alu instid0(VALU_DEP_1) | instskip(NEXT) | instid1(VALU_DEP_2)
	v_add_co_u32 v38, vcc_lo, v111, v38
	v_add_co_ci_u32_e32 v39, vcc_lo, v112, v39, vcc_lo
	flat_load_u16 v38, v[38:39]
	s_waitcnt vmcnt(0) lgkmcnt(0)
	v_mul_f16_e32 v38, s24, v38
	s_branch .LBB224_70
.LBB224_69:
	v_mov_b32_e32 v38, 0
.LBB224_70:
	v_pk_add_f16 v39, v12, v28
	v_pk_max_f16 v40, v119, v119
	v_pk_add_f16 v41, v13, v29
	s_delay_alu instid0(VALU_DEP_2) | instskip(NEXT) | instid1(VALU_DEP_1)
	v_pk_min_f16 v39, v40, v39
	v_pk_min_f16 v41, v39, v41
	v_lshlrev_b64 v[39:40], 1, v[36:37]
	s_delay_alu instid0(VALU_DEP_2) | instskip(NEXT) | instid1(VALU_DEP_1)
	v_lshrrev_b32_e32 v42, 16, v41
	v_min3_f16 v41, v38, v41, v42
	s_delay_alu instid0(VALU_DEP_3) | instskip(NEXT) | instid1(VALU_DEP_4)
	v_add_co_u32 v38, vcc_lo, v109, v39
	v_add_co_ci_u32_e32 v39, vcc_lo, v110, v40, vcc_lo
	global_store_b16 v[38:39], v41, off
.LBB224_71:
	;; [unrolled: 39-line block ×6, first 2 shown]
	s_or_b32 exec_lo, exec_lo, s7
	v_add_nc_u32_e32 v46, 56, v32
	s_delay_alu instid0(VALU_DEP_1) | instskip(SKIP_1) | instid1(VALU_DEP_2)
	v_cmp_gt_i32_e64 s7, s16, v46
	v_ashrrev_i32_e32 v47, 31, v46
	s_and_b32 s15, s7, s8
	s_delay_alu instid0(SALU_CYCLE_1)
	s_and_saveexec_b32 s8, s15
	s_cbranch_execz .LBB224_96
; %bb.92:
	v_cmp_ne_u32_e32 vcc_lo, 1, v72
	s_cbranch_vccnz .LBB224_94
; %bb.93:
	v_lshlrev_b64 v[107:108], 1, v[46:47]
	s_delay_alu instid0(VALU_DEP_1) | instskip(NEXT) | instid1(VALU_DEP_2)
	v_add_co_u32 v107, vcc_lo, v111, v107
	v_add_co_ci_u32_e32 v108, vcc_lo, v112, v108, vcc_lo
	flat_load_u16 v107, v[107:108]
	s_waitcnt vmcnt(0) lgkmcnt(0)
	v_mul_f16_e32 v107, s24, v107
	s_branch .LBB224_95
.LBB224_94:
	v_mov_b32_e32 v107, 0
.LBB224_95:
	v_pk_add_f16 v28, v2, v28
	v_pk_max_f16 v106, v106, v106
	v_pk_add_f16 v29, v3, v29
	s_delay_alu instid0(VALU_DEP_2) | instskip(NEXT) | instid1(VALU_DEP_1)
	v_pk_min_f16 v28, v106, v28
	v_pk_min_f16 v106, v28, v29
	v_lshlrev_b64 v[28:29], 1, v[46:47]
	s_delay_alu instid0(VALU_DEP_2) | instskip(NEXT) | instid1(VALU_DEP_2)
	v_lshrrev_b32_e32 v108, 16, v106
	v_add_co_u32 v28, vcc_lo, v109, v28
	s_delay_alu instid0(VALU_DEP_3) | instskip(NEXT) | instid1(VALU_DEP_3)
	v_add_co_ci_u32_e32 v29, vcc_lo, v110, v29, vcc_lo
	v_min3_f16 v106, v107, v106, v108
	global_store_b16 v[28:29], v106, off
.LBB224_96:
	s_or_b32 exec_lo, exec_lo, s8
	v_add_nc_u32_e32 v108, 32, v80
	s_delay_alu instid0(VALU_DEP_1) | instskip(SKIP_2) | instid1(VALU_DEP_3)
	v_mad_i64_i32 v[28:29], null, v108, s14, 0
	v_mad_i64_i32 v[106:107], null, v108, s9, 0
	v_cmp_gt_i32_e64 s8, s17, v108
	v_lshlrev_b64 v[28:29], 1, v[28:29]
	s_delay_alu instid0(VALU_DEP_2) | instskip(NEXT) | instid1(VALU_DEP_3)
	s_and_b32 s16, s0, s8
	v_lshlrev_b64 v[108:109], 1, v[106:107]
	s_delay_alu instid0(VALU_DEP_2) | instskip(NEXT) | instid1(VALU_DEP_3)
	v_add_co_u32 v106, vcc_lo, s10, v28
	v_add_co_ci_u32_e32 v107, vcc_lo, s11, v29, vcc_lo
	s_delay_alu instid0(VALU_DEP_3) | instskip(NEXT) | instid1(VALU_DEP_4)
	v_add_co_u32 v28, vcc_lo, s12, v108
	v_add_co_ci_u32_e32 v29, vcc_lo, s13, v109, vcc_lo
	s_and_saveexec_b32 s15, s16
	s_cbranch_execnz .LBB224_104
; %bb.97:
	s_or_b32 exec_lo, exec_lo, s15
	s_and_b32 s16, s1, s8
	s_delay_alu instid0(SALU_CYCLE_1)
	s_and_saveexec_b32 s15, s16
	s_cbranch_execnz .LBB224_108
.LBB224_98:
	s_or_b32 exec_lo, exec_lo, s15
	s_and_b32 s16, s2, s8
	s_delay_alu instid0(SALU_CYCLE_1)
	s_and_saveexec_b32 s15, s16
	s_cbranch_execnz .LBB224_112
.LBB224_99:
	s_or_b32 exec_lo, exec_lo, s15
	s_and_b32 s16, s3, s8
	s_delay_alu instid0(SALU_CYCLE_1)
	s_and_saveexec_b32 s15, s16
	s_cbranch_execnz .LBB224_116
.LBB224_100:
	s_or_b32 exec_lo, exec_lo, s15
	s_and_b32 s16, s4, s8
	s_delay_alu instid0(SALU_CYCLE_1)
	s_and_saveexec_b32 s15, s16
	s_cbranch_execnz .LBB224_120
.LBB224_101:
	s_or_b32 exec_lo, exec_lo, s15
	s_and_b32 s16, s5, s8
	s_delay_alu instid0(SALU_CYCLE_1)
	s_and_saveexec_b32 s15, s16
	s_cbranch_execnz .LBB224_124
.LBB224_102:
	s_or_b32 exec_lo, exec_lo, s15
	s_and_b32 s16, s6, s8
	s_delay_alu instid0(SALU_CYCLE_1)
	s_and_saveexec_b32 s15, s16
	s_cbranch_execnz .LBB224_128
.LBB224_103:
	s_or_b32 exec_lo, exec_lo, s15
	s_and_b32 s15, s7, s8
	s_delay_alu instid0(SALU_CYCLE_1)
	s_and_saveexec_b32 s8, s15
	s_cbranch_execnz .LBB224_132
	s_branch .LBB224_136
.LBB224_104:
	v_cmp_ne_u32_e32 vcc_lo, 1, v72
	s_cbranch_vccnz .LBB224_106
; %bb.105:
	v_lshlrev_b64 v[108:109], 1, v[32:33]
	s_delay_alu instid0(VALU_DEP_1) | instskip(NEXT) | instid1(VALU_DEP_2)
	v_add_co_u32 v108, vcc_lo, v106, v108
	v_add_co_ci_u32_e32 v109, vcc_lo, v107, v109, vcc_lo
	flat_load_u16 v108, v[108:109]
	s_waitcnt vmcnt(0) lgkmcnt(0)
	v_mul_f16_e32 v108, s24, v108
	s_branch .LBB224_107
.LBB224_106:
	v_mov_b32_e32 v108, 0
.LBB224_107:
	v_pk_add_f16 v109, v16, v30
	v_pk_max_f16 v105, v105, v105
	v_pk_add_f16 v110, v17, v31
	s_delay_alu instid0(VALU_DEP_2) | instskip(NEXT) | instid1(VALU_DEP_1)
	v_pk_min_f16 v105, v105, v109
	v_pk_min_f16 v105, v105, v110
	v_lshlrev_b64 v[109:110], 1, v[32:33]
	s_delay_alu instid0(VALU_DEP_2) | instskip(NEXT) | instid1(VALU_DEP_1)
	v_lshrrev_b32_e32 v111, 16, v105
	v_min3_f16 v105, v108, v105, v111
	s_delay_alu instid0(VALU_DEP_3) | instskip(NEXT) | instid1(VALU_DEP_4)
	v_add_co_u32 v108, vcc_lo, v28, v109
	v_add_co_ci_u32_e32 v109, vcc_lo, v29, v110, vcc_lo
	global_store_b16 v[108:109], v105, off
	s_or_b32 exec_lo, exec_lo, s15
	s_and_b32 s16, s1, s8
	s_delay_alu instid0(SALU_CYCLE_1)
	s_and_saveexec_b32 s15, s16
	s_cbranch_execz .LBB224_98
.LBB224_108:
	v_cmp_ne_u32_e32 vcc_lo, 1, v72
	s_cbranch_vccnz .LBB224_110
; %bb.109:
	v_lshlrev_b64 v[108:109], 1, v[34:35]
	s_delay_alu instid0(VALU_DEP_1) | instskip(NEXT) | instid1(VALU_DEP_2)
	v_add_co_u32 v108, vcc_lo, v106, v108
	v_add_co_ci_u32_e32 v109, vcc_lo, v107, v109, vcc_lo
	flat_load_u16 v105, v[108:109]
	s_waitcnt vmcnt(0) lgkmcnt(0)
	v_mul_f16_e32 v105, s24, v105
	s_branch .LBB224_111
.LBB224_110:
	v_mov_b32_e32 v105, 0
.LBB224_111:
	v_pk_add_f16 v108, v18, v30
	v_pk_max_f16 v104, v104, v104
	v_pk_add_f16 v109, v19, v31
	s_delay_alu instid0(VALU_DEP_2) | instskip(NEXT) | instid1(VALU_DEP_1)
	v_pk_min_f16 v104, v104, v108
	v_pk_min_f16 v104, v104, v109
	v_lshlrev_b64 v[108:109], 1, v[34:35]
	s_delay_alu instid0(VALU_DEP_2) | instskip(NEXT) | instid1(VALU_DEP_1)
	v_lshrrev_b32_e32 v110, 16, v104
	v_min3_f16 v110, v105, v104, v110
	s_delay_alu instid0(VALU_DEP_3) | instskip(NEXT) | instid1(VALU_DEP_4)
	v_add_co_u32 v104, vcc_lo, v28, v108
	v_add_co_ci_u32_e32 v105, vcc_lo, v29, v109, vcc_lo
	global_store_b16 v[104:105], v110, off
	s_or_b32 exec_lo, exec_lo, s15
	s_and_b32 s16, s2, s8
	s_delay_alu instid0(SALU_CYCLE_1)
	s_and_saveexec_b32 s15, s16
	s_cbranch_execz .LBB224_99
.LBB224_112:
	v_cmp_ne_u32_e32 vcc_lo, 1, v72
	s_cbranch_vccnz .LBB224_114
; %bb.113:
	v_lshlrev_b64 v[104:105], 1, v[36:37]
	s_delay_alu instid0(VALU_DEP_1) | instskip(NEXT) | instid1(VALU_DEP_2)
	v_add_co_u32 v104, vcc_lo, v106, v104
	v_add_co_ci_u32_e32 v105, vcc_lo, v107, v105, vcc_lo
	flat_load_u16 v104, v[104:105]
	s_waitcnt vmcnt(0) lgkmcnt(0)
	v_mul_f16_e32 v104, s24, v104
	s_branch .LBB224_115
.LBB224_114:
	v_mov_b32_e32 v104, 0
.LBB224_115:
	v_pk_add_f16 v105, v12, v30
	v_pk_max_f16 v103, v103, v103
	v_pk_add_f16 v108, v13, v31
	s_delay_alu instid0(VALU_DEP_2) | instskip(NEXT) | instid1(VALU_DEP_1)
	v_pk_min_f16 v103, v103, v105
	v_pk_min_f16 v103, v103, v108
	v_lshlrev_b64 v[108:109], 1, v[36:37]
	s_delay_alu instid0(VALU_DEP_2) | instskip(NEXT) | instid1(VALU_DEP_1)
	v_lshrrev_b32_e32 v105, 16, v103
	v_min3_f16 v105, v104, v103, v105
	s_delay_alu instid0(VALU_DEP_3) | instskip(NEXT) | instid1(VALU_DEP_4)
	v_add_co_u32 v103, vcc_lo, v28, v108
	v_add_co_ci_u32_e32 v104, vcc_lo, v29, v109, vcc_lo
	global_store_b16 v[103:104], v105, off
	s_or_b32 exec_lo, exec_lo, s15
	s_and_b32 s16, s3, s8
	s_delay_alu instid0(SALU_CYCLE_1)
	s_and_saveexec_b32 s15, s16
	s_cbranch_execz .LBB224_100
.LBB224_116:
	v_cmp_ne_u32_e32 vcc_lo, 1, v72
	s_cbranch_vccnz .LBB224_118
; %bb.117:
	v_lshlrev_b64 v[103:104], 1, v[38:39]
	s_delay_alu instid0(VALU_DEP_1) | instskip(NEXT) | instid1(VALU_DEP_2)
	v_add_co_u32 v103, vcc_lo, v106, v103
	v_add_co_ci_u32_e32 v104, vcc_lo, v107, v104, vcc_lo
	flat_load_u16 v103, v[103:104]
	s_waitcnt vmcnt(0) lgkmcnt(0)
	v_mul_f16_e32 v103, s24, v103
	s_branch .LBB224_119
.LBB224_118:
	v_mov_b32_e32 v103, 0
.LBB224_119:
	v_pk_add_f16 v104, v14, v30
	v_pk_max_f16 v102, v102, v102
	v_pk_add_f16 v105, v15, v31
	s_delay_alu instid0(VALU_DEP_2) | instskip(NEXT) | instid1(VALU_DEP_1)
	v_pk_min_f16 v102, v102, v104
	v_pk_min_f16 v102, v102, v105
	v_lshlrev_b64 v[104:105], 1, v[38:39]
	s_delay_alu instid0(VALU_DEP_2) | instskip(NEXT) | instid1(VALU_DEP_1)
	v_lshrrev_b32_e32 v108, 16, v102
	v_min3_f16 v108, v103, v102, v108
	s_delay_alu instid0(VALU_DEP_3) | instskip(NEXT) | instid1(VALU_DEP_4)
	v_add_co_u32 v102, vcc_lo, v28, v104
	v_add_co_ci_u32_e32 v103, vcc_lo, v29, v105, vcc_lo
	global_store_b16 v[102:103], v108, off
	s_or_b32 exec_lo, exec_lo, s15
	s_and_b32 s16, s4, s8
	s_delay_alu instid0(SALU_CYCLE_1)
	s_and_saveexec_b32 s15, s16
	s_cbranch_execz .LBB224_101
.LBB224_120:
	v_cmp_ne_u32_e32 vcc_lo, 1, v72
	s_cbranch_vccnz .LBB224_122
; %bb.121:
	v_lshlrev_b64 v[102:103], 1, v[40:41]
	s_delay_alu instid0(VALU_DEP_1) | instskip(NEXT) | instid1(VALU_DEP_2)
	v_add_co_u32 v102, vcc_lo, v106, v102
	v_add_co_ci_u32_e32 v103, vcc_lo, v107, v103, vcc_lo
	flat_load_u16 v102, v[102:103]
	s_waitcnt vmcnt(0) lgkmcnt(0)
	v_mul_f16_e32 v102, s24, v102
	s_branch .LBB224_123
.LBB224_122:
	v_mov_b32_e32 v102, 0
.LBB224_123:
	v_pk_add_f16 v103, v8, v30
	v_pk_max_f16 v101, v101, v101
	v_pk_add_f16 v104, v9, v31
	s_delay_alu instid0(VALU_DEP_2) | instskip(NEXT) | instid1(VALU_DEP_1)
	v_pk_min_f16 v101, v101, v103
	v_pk_min_f16 v101, v101, v104
	v_lshlrev_b64 v[103:104], 1, v[40:41]
	s_delay_alu instid0(VALU_DEP_2) | instskip(NEXT) | instid1(VALU_DEP_1)
	v_lshrrev_b32_e32 v105, 16, v101
	v_min3_f16 v105, v102, v101, v105
	s_delay_alu instid0(VALU_DEP_3) | instskip(NEXT) | instid1(VALU_DEP_4)
	v_add_co_u32 v101, vcc_lo, v28, v103
	v_add_co_ci_u32_e32 v102, vcc_lo, v29, v104, vcc_lo
	global_store_b16 v[101:102], v105, off
	s_or_b32 exec_lo, exec_lo, s15
	s_and_b32 s16, s5, s8
	s_delay_alu instid0(SALU_CYCLE_1)
	s_and_saveexec_b32 s15, s16
	s_cbranch_execz .LBB224_102
.LBB224_124:
	v_cmp_ne_u32_e32 vcc_lo, 1, v72
	s_cbranch_vccnz .LBB224_126
; %bb.125:
	v_lshlrev_b64 v[101:102], 1, v[42:43]
	s_delay_alu instid0(VALU_DEP_1) | instskip(NEXT) | instid1(VALU_DEP_2)
	v_add_co_u32 v101, vcc_lo, v106, v101
	v_add_co_ci_u32_e32 v102, vcc_lo, v107, v102, vcc_lo
	flat_load_u16 v101, v[101:102]
	s_waitcnt vmcnt(0) lgkmcnt(0)
	v_mul_f16_e32 v101, s24, v101
	s_branch .LBB224_127
.LBB224_126:
	v_mov_b32_e32 v101, 0
.LBB224_127:
	v_pk_add_f16 v102, v10, v30
	v_pk_max_f16 v100, v100, v100
	v_pk_add_f16 v103, v11, v31
	s_delay_alu instid0(VALU_DEP_2) | instskip(NEXT) | instid1(VALU_DEP_1)
	v_pk_min_f16 v100, v100, v102
	v_pk_min_f16 v100, v100, v103
	v_lshlrev_b64 v[102:103], 1, v[42:43]
	s_delay_alu instid0(VALU_DEP_2) | instskip(NEXT) | instid1(VALU_DEP_1)
	v_lshrrev_b32_e32 v104, 16, v100
	v_min3_f16 v104, v101, v100, v104
	s_delay_alu instid0(VALU_DEP_3) | instskip(NEXT) | instid1(VALU_DEP_4)
	v_add_co_u32 v100, vcc_lo, v28, v102
	v_add_co_ci_u32_e32 v101, vcc_lo, v29, v103, vcc_lo
	global_store_b16 v[100:101], v104, off
	s_or_b32 exec_lo, exec_lo, s15
	s_and_b32 s16, s6, s8
	s_delay_alu instid0(SALU_CYCLE_1)
	s_and_saveexec_b32 s15, s16
	s_cbranch_execz .LBB224_103
.LBB224_128:
	v_cmp_ne_u32_e32 vcc_lo, 1, v72
	s_cbranch_vccnz .LBB224_130
; %bb.129:
	v_lshlrev_b64 v[100:101], 1, v[44:45]
	s_delay_alu instid0(VALU_DEP_1) | instskip(NEXT) | instid1(VALU_DEP_2)
	v_add_co_u32 v100, vcc_lo, v106, v100
	v_add_co_ci_u32_e32 v101, vcc_lo, v107, v101, vcc_lo
	flat_load_u16 v100, v[100:101]
	s_waitcnt vmcnt(0) lgkmcnt(0)
	v_mul_f16_e32 v100, s24, v100
	s_branch .LBB224_131
.LBB224_130:
	v_mov_b32_e32 v100, 0
.LBB224_131:
	v_pk_add_f16 v101, v0, v30
	v_pk_max_f16 v99, v99, v99
	v_pk_add_f16 v102, v1, v31
	s_delay_alu instid0(VALU_DEP_2) | instskip(NEXT) | instid1(VALU_DEP_1)
	v_pk_min_f16 v99, v99, v101
	v_pk_min_f16 v99, v99, v102
	v_lshlrev_b64 v[101:102], 1, v[44:45]
	s_delay_alu instid0(VALU_DEP_2) | instskip(NEXT) | instid1(VALU_DEP_1)
	v_lshrrev_b32_e32 v103, 16, v99
	v_min3_f16 v103, v100, v99, v103
	s_delay_alu instid0(VALU_DEP_3) | instskip(NEXT) | instid1(VALU_DEP_4)
	v_add_co_u32 v99, vcc_lo, v28, v101
	v_add_co_ci_u32_e32 v100, vcc_lo, v29, v102, vcc_lo
	global_store_b16 v[99:100], v103, off
	s_or_b32 exec_lo, exec_lo, s15
	s_and_b32 s15, s7, s8
	s_delay_alu instid0(SALU_CYCLE_1)
	s_and_saveexec_b32 s8, s15
	s_cbranch_execz .LBB224_136
.LBB224_132:
	v_cmp_ne_u32_e32 vcc_lo, 1, v72
	s_cbranch_vccnz .LBB224_134
; %bb.133:
	v_lshlrev_b64 v[99:100], 1, v[46:47]
	s_delay_alu instid0(VALU_DEP_1) | instskip(NEXT) | instid1(VALU_DEP_2)
	v_add_co_u32 v99, vcc_lo, v106, v99
	v_add_co_ci_u32_e32 v100, vcc_lo, v107, v100, vcc_lo
	flat_load_u16 v99, v[99:100]
	s_waitcnt vmcnt(0) lgkmcnt(0)
	v_mul_f16_e32 v99, s24, v99
	s_branch .LBB224_135
.LBB224_134:
	v_mov_b32_e32 v99, 0
.LBB224_135:
	v_pk_add_f16 v30, v2, v30
	v_pk_max_f16 v98, v98, v98
	v_pk_add_f16 v31, v3, v31
	s_delay_alu instid0(VALU_DEP_2) | instskip(NEXT) | instid1(VALU_DEP_1)
	v_pk_min_f16 v30, v98, v30
	v_pk_min_f16 v98, v30, v31
	v_lshlrev_b64 v[30:31], 1, v[46:47]
	s_delay_alu instid0(VALU_DEP_2) | instskip(NEXT) | instid1(VALU_DEP_2)
	v_lshrrev_b32_e32 v100, 16, v98
	v_add_co_u32 v28, vcc_lo, v28, v30
	s_delay_alu instid0(VALU_DEP_3) | instskip(NEXT) | instid1(VALU_DEP_3)
	v_add_co_ci_u32_e32 v29, vcc_lo, v29, v31, vcc_lo
	v_min3_f16 v98, v99, v98, v100
	global_store_b16 v[28:29], v98, off
.LBB224_136:
	s_or_b32 exec_lo, exec_lo, s8
	v_add_nc_u32_e32 v98, 64, v80
	s_delay_alu instid0(VALU_DEP_1) | instskip(SKIP_2) | instid1(VALU_DEP_3)
	v_mad_i64_i32 v[28:29], null, v98, s14, 0
	v_mad_i64_i32 v[30:31], null, v98, s9, 0
	v_cmp_gt_i32_e64 s8, s17, v98
	v_lshlrev_b64 v[28:29], 1, v[28:29]
	s_delay_alu instid0(VALU_DEP_2) | instskip(NEXT) | instid1(VALU_DEP_3)
	s_and_b32 s16, s0, s8
	v_lshlrev_b64 v[98:99], 1, v[30:31]
	s_delay_alu instid0(VALU_DEP_2) | instskip(NEXT) | instid1(VALU_DEP_3)
	v_add_co_u32 v30, vcc_lo, s10, v28
	v_add_co_ci_u32_e32 v31, vcc_lo, s11, v29, vcc_lo
	s_delay_alu instid0(VALU_DEP_3) | instskip(NEXT) | instid1(VALU_DEP_4)
	v_add_co_u32 v28, vcc_lo, s12, v98
	v_add_co_ci_u32_e32 v29, vcc_lo, s13, v99, vcc_lo
	s_and_saveexec_b32 s15, s16
	s_cbranch_execnz .LBB224_144
; %bb.137:
	s_or_b32 exec_lo, exec_lo, s15
	s_and_b32 s16, s1, s8
	s_delay_alu instid0(SALU_CYCLE_1)
	s_and_saveexec_b32 s15, s16
	s_cbranch_execnz .LBB224_148
.LBB224_138:
	s_or_b32 exec_lo, exec_lo, s15
	s_and_b32 s16, s2, s8
	s_delay_alu instid0(SALU_CYCLE_1)
	s_and_saveexec_b32 s15, s16
	s_cbranch_execnz .LBB224_152
.LBB224_139:
	s_or_b32 exec_lo, exec_lo, s15
	s_and_b32 s16, s3, s8
	s_delay_alu instid0(SALU_CYCLE_1)
	s_and_saveexec_b32 s15, s16
	s_cbranch_execnz .LBB224_156
.LBB224_140:
	s_or_b32 exec_lo, exec_lo, s15
	s_and_b32 s16, s4, s8
	s_delay_alu instid0(SALU_CYCLE_1)
	s_and_saveexec_b32 s15, s16
	s_cbranch_execnz .LBB224_160
.LBB224_141:
	s_or_b32 exec_lo, exec_lo, s15
	s_and_b32 s16, s5, s8
	s_delay_alu instid0(SALU_CYCLE_1)
	s_and_saveexec_b32 s15, s16
	s_cbranch_execnz .LBB224_164
.LBB224_142:
	s_or_b32 exec_lo, exec_lo, s15
	s_and_b32 s16, s6, s8
	s_delay_alu instid0(SALU_CYCLE_1)
	s_and_saveexec_b32 s15, s16
	s_cbranch_execnz .LBB224_168
.LBB224_143:
	s_or_b32 exec_lo, exec_lo, s15
	s_and_b32 s15, s7, s8
	s_delay_alu instid0(SALU_CYCLE_1)
	s_and_saveexec_b32 s8, s15
	s_cbranch_execnz .LBB224_172
	s_branch .LBB224_176
.LBB224_144:
	v_cmp_ne_u32_e32 vcc_lo, 1, v72
	s_cbranch_vccnz .LBB224_146
; %bb.145:
	v_lshlrev_b64 v[98:99], 1, v[32:33]
	s_delay_alu instid0(VALU_DEP_1) | instskip(NEXT) | instid1(VALU_DEP_2)
	v_add_co_u32 v98, vcc_lo, v30, v98
	v_add_co_ci_u32_e32 v99, vcc_lo, v31, v99, vcc_lo
	flat_load_u16 v98, v[98:99]
	s_waitcnt vmcnt(0) lgkmcnt(0)
	v_mul_f16_e32 v98, s24, v98
	s_branch .LBB224_147
.LBB224_146:
	v_mov_b32_e32 v98, 0
.LBB224_147:
	v_pk_add_f16 v99, v16, v24
	v_pk_max_f16 v97, v97, v97
	v_pk_add_f16 v100, v17, v25
	s_delay_alu instid0(VALU_DEP_2) | instskip(NEXT) | instid1(VALU_DEP_1)
	v_pk_min_f16 v97, v97, v99
	v_pk_min_f16 v97, v97, v100
	v_lshlrev_b64 v[99:100], 1, v[32:33]
	s_delay_alu instid0(VALU_DEP_2) | instskip(NEXT) | instid1(VALU_DEP_1)
	v_lshrrev_b32_e32 v101, 16, v97
	v_min3_f16 v101, v98, v97, v101
	s_delay_alu instid0(VALU_DEP_3) | instskip(NEXT) | instid1(VALU_DEP_4)
	v_add_co_u32 v97, vcc_lo, v28, v99
	v_add_co_ci_u32_e32 v98, vcc_lo, v29, v100, vcc_lo
	global_store_b16 v[97:98], v101, off
	s_or_b32 exec_lo, exec_lo, s15
	s_and_b32 s16, s1, s8
	s_delay_alu instid0(SALU_CYCLE_1)
	s_and_saveexec_b32 s15, s16
	s_cbranch_execz .LBB224_138
.LBB224_148:
	v_cmp_ne_u32_e32 vcc_lo, 1, v72
	s_cbranch_vccnz .LBB224_150
; %bb.149:
	v_lshlrev_b64 v[97:98], 1, v[34:35]
	s_delay_alu instid0(VALU_DEP_1) | instskip(NEXT) | instid1(VALU_DEP_2)
	v_add_co_u32 v97, vcc_lo, v30, v97
	v_add_co_ci_u32_e32 v98, vcc_lo, v31, v98, vcc_lo
	flat_load_u16 v97, v[97:98]
	s_waitcnt vmcnt(0) lgkmcnt(0)
	v_mul_f16_e32 v97, s24, v97
	s_branch .LBB224_151
.LBB224_150:
	v_mov_b32_e32 v97, 0
.LBB224_151:
	v_pk_add_f16 v98, v18, v24
	v_pk_max_f16 v96, v96, v96
	v_pk_add_f16 v99, v19, v25
	s_delay_alu instid0(VALU_DEP_2) | instskip(NEXT) | instid1(VALU_DEP_1)
	v_pk_min_f16 v96, v96, v98
	v_pk_min_f16 v96, v96, v99
	v_lshlrev_b64 v[98:99], 1, v[34:35]
	s_delay_alu instid0(VALU_DEP_2) | instskip(NEXT) | instid1(VALU_DEP_1)
	v_lshrrev_b32_e32 v100, 16, v96
	v_min3_f16 v100, v97, v96, v100
	s_delay_alu instid0(VALU_DEP_3) | instskip(NEXT) | instid1(VALU_DEP_4)
	v_add_co_u32 v96, vcc_lo, v28, v98
	v_add_co_ci_u32_e32 v97, vcc_lo, v29, v99, vcc_lo
	global_store_b16 v[96:97], v100, off
	s_or_b32 exec_lo, exec_lo, s15
	s_and_b32 s16, s2, s8
	s_delay_alu instid0(SALU_CYCLE_1)
	s_and_saveexec_b32 s15, s16
	s_cbranch_execz .LBB224_139
.LBB224_152:
	v_cmp_ne_u32_e32 vcc_lo, 1, v72
	s_cbranch_vccnz .LBB224_154
; %bb.153:
	v_lshlrev_b64 v[96:97], 1, v[36:37]
	s_delay_alu instid0(VALU_DEP_1) | instskip(NEXT) | instid1(VALU_DEP_2)
	v_add_co_u32 v96, vcc_lo, v30, v96
	v_add_co_ci_u32_e32 v97, vcc_lo, v31, v97, vcc_lo
	flat_load_u16 v96, v[96:97]
	s_waitcnt vmcnt(0) lgkmcnt(0)
	v_mul_f16_e32 v96, s24, v96
	s_branch .LBB224_155
.LBB224_154:
	v_mov_b32_e32 v96, 0
.LBB224_155:
	v_pk_add_f16 v97, v12, v24
	v_pk_max_f16 v95, v95, v95
	v_pk_add_f16 v98, v13, v25
	s_delay_alu instid0(VALU_DEP_2) | instskip(NEXT) | instid1(VALU_DEP_1)
	v_pk_min_f16 v95, v95, v97
	v_pk_min_f16 v95, v95, v98
	v_lshlrev_b64 v[97:98], 1, v[36:37]
	s_delay_alu instid0(VALU_DEP_2) | instskip(NEXT) | instid1(VALU_DEP_1)
	v_lshrrev_b32_e32 v99, 16, v95
	v_min3_f16 v99, v96, v95, v99
	s_delay_alu instid0(VALU_DEP_3) | instskip(NEXT) | instid1(VALU_DEP_4)
	v_add_co_u32 v95, vcc_lo, v28, v97
	v_add_co_ci_u32_e32 v96, vcc_lo, v29, v98, vcc_lo
	global_store_b16 v[95:96], v99, off
	s_or_b32 exec_lo, exec_lo, s15
	s_and_b32 s16, s3, s8
	s_delay_alu instid0(SALU_CYCLE_1)
	s_and_saveexec_b32 s15, s16
	s_cbranch_execz .LBB224_140
.LBB224_156:
	v_cmp_ne_u32_e32 vcc_lo, 1, v72
	s_cbranch_vccnz .LBB224_158
; %bb.157:
	v_lshlrev_b64 v[95:96], 1, v[38:39]
	s_delay_alu instid0(VALU_DEP_1) | instskip(NEXT) | instid1(VALU_DEP_2)
	v_add_co_u32 v95, vcc_lo, v30, v95
	v_add_co_ci_u32_e32 v96, vcc_lo, v31, v96, vcc_lo
	flat_load_u16 v95, v[95:96]
	s_waitcnt vmcnt(0) lgkmcnt(0)
	v_mul_f16_e32 v95, s24, v95
	s_branch .LBB224_159
.LBB224_158:
	v_mov_b32_e32 v95, 0
.LBB224_159:
	v_pk_add_f16 v96, v14, v24
	v_pk_max_f16 v94, v94, v94
	v_pk_add_f16 v97, v15, v25
	s_delay_alu instid0(VALU_DEP_2) | instskip(NEXT) | instid1(VALU_DEP_1)
	v_pk_min_f16 v94, v94, v96
	v_pk_min_f16 v94, v94, v97
	v_lshlrev_b64 v[96:97], 1, v[38:39]
	s_delay_alu instid0(VALU_DEP_2) | instskip(NEXT) | instid1(VALU_DEP_1)
	v_lshrrev_b32_e32 v98, 16, v94
	v_min3_f16 v98, v95, v94, v98
	s_delay_alu instid0(VALU_DEP_3) | instskip(NEXT) | instid1(VALU_DEP_4)
	v_add_co_u32 v94, vcc_lo, v28, v96
	v_add_co_ci_u32_e32 v95, vcc_lo, v29, v97, vcc_lo
	global_store_b16 v[94:95], v98, off
	s_or_b32 exec_lo, exec_lo, s15
	s_and_b32 s16, s4, s8
	s_delay_alu instid0(SALU_CYCLE_1)
	s_and_saveexec_b32 s15, s16
	s_cbranch_execz .LBB224_141
.LBB224_160:
	v_cmp_ne_u32_e32 vcc_lo, 1, v72
	s_cbranch_vccnz .LBB224_162
; %bb.161:
	v_lshlrev_b64 v[94:95], 1, v[40:41]
	s_delay_alu instid0(VALU_DEP_1) | instskip(NEXT) | instid1(VALU_DEP_2)
	v_add_co_u32 v94, vcc_lo, v30, v94
	v_add_co_ci_u32_e32 v95, vcc_lo, v31, v95, vcc_lo
	flat_load_u16 v94, v[94:95]
	s_waitcnt vmcnt(0) lgkmcnt(0)
	v_mul_f16_e32 v94, s24, v94
	s_branch .LBB224_163
.LBB224_162:
	v_mov_b32_e32 v94, 0
.LBB224_163:
	v_pk_add_f16 v95, v8, v24
	v_pk_max_f16 v93, v93, v93
	v_pk_add_f16 v96, v9, v25
	s_delay_alu instid0(VALU_DEP_2) | instskip(NEXT) | instid1(VALU_DEP_1)
	v_pk_min_f16 v93, v93, v95
	v_pk_min_f16 v93, v93, v96
	v_lshlrev_b64 v[95:96], 1, v[40:41]
	s_delay_alu instid0(VALU_DEP_2) | instskip(NEXT) | instid1(VALU_DEP_1)
	v_lshrrev_b32_e32 v97, 16, v93
	v_min3_f16 v97, v94, v93, v97
	s_delay_alu instid0(VALU_DEP_3) | instskip(NEXT) | instid1(VALU_DEP_4)
	v_add_co_u32 v93, vcc_lo, v28, v95
	v_add_co_ci_u32_e32 v94, vcc_lo, v29, v96, vcc_lo
	global_store_b16 v[93:94], v97, off
	s_or_b32 exec_lo, exec_lo, s15
	s_and_b32 s16, s5, s8
	s_delay_alu instid0(SALU_CYCLE_1)
	s_and_saveexec_b32 s15, s16
	s_cbranch_execz .LBB224_142
.LBB224_164:
	v_cmp_ne_u32_e32 vcc_lo, 1, v72
	s_cbranch_vccnz .LBB224_166
; %bb.165:
	v_lshlrev_b64 v[93:94], 1, v[42:43]
	s_delay_alu instid0(VALU_DEP_1) | instskip(NEXT) | instid1(VALU_DEP_2)
	v_add_co_u32 v93, vcc_lo, v30, v93
	v_add_co_ci_u32_e32 v94, vcc_lo, v31, v94, vcc_lo
	flat_load_u16 v93, v[93:94]
	s_waitcnt vmcnt(0) lgkmcnt(0)
	v_mul_f16_e32 v93, s24, v93
	s_branch .LBB224_167
.LBB224_166:
	v_mov_b32_e32 v93, 0
.LBB224_167:
	v_pk_add_f16 v94, v10, v24
	v_pk_max_f16 v92, v92, v92
	v_pk_add_f16 v95, v11, v25
	s_delay_alu instid0(VALU_DEP_2) | instskip(NEXT) | instid1(VALU_DEP_1)
	v_pk_min_f16 v92, v92, v94
	v_pk_min_f16 v92, v92, v95
	v_lshlrev_b64 v[94:95], 1, v[42:43]
	s_delay_alu instid0(VALU_DEP_2) | instskip(NEXT) | instid1(VALU_DEP_1)
	v_lshrrev_b32_e32 v96, 16, v92
	v_min3_f16 v96, v93, v92, v96
	s_delay_alu instid0(VALU_DEP_3) | instskip(NEXT) | instid1(VALU_DEP_4)
	v_add_co_u32 v92, vcc_lo, v28, v94
	v_add_co_ci_u32_e32 v93, vcc_lo, v29, v95, vcc_lo
	global_store_b16 v[92:93], v96, off
	s_or_b32 exec_lo, exec_lo, s15
	s_and_b32 s16, s6, s8
	s_delay_alu instid0(SALU_CYCLE_1)
	s_and_saveexec_b32 s15, s16
	s_cbranch_execz .LBB224_143
.LBB224_168:
	v_cmp_ne_u32_e32 vcc_lo, 1, v72
	s_cbranch_vccnz .LBB224_170
; %bb.169:
	v_lshlrev_b64 v[92:93], 1, v[44:45]
	s_delay_alu instid0(VALU_DEP_1) | instskip(NEXT) | instid1(VALU_DEP_2)
	v_add_co_u32 v92, vcc_lo, v30, v92
	v_add_co_ci_u32_e32 v93, vcc_lo, v31, v93, vcc_lo
	flat_load_u16 v92, v[92:93]
	s_waitcnt vmcnt(0) lgkmcnt(0)
	v_mul_f16_e32 v92, s24, v92
	s_branch .LBB224_171
.LBB224_170:
	v_mov_b32_e32 v92, 0
.LBB224_171:
	v_pk_add_f16 v93, v0, v24
	v_pk_max_f16 v91, v91, v91
	v_pk_add_f16 v94, v1, v25
	s_delay_alu instid0(VALU_DEP_2) | instskip(NEXT) | instid1(VALU_DEP_1)
	v_pk_min_f16 v91, v91, v93
	v_pk_min_f16 v91, v91, v94
	v_lshlrev_b64 v[93:94], 1, v[44:45]
	s_delay_alu instid0(VALU_DEP_2) | instskip(NEXT) | instid1(VALU_DEP_1)
	v_lshrrev_b32_e32 v95, 16, v91
	v_min3_f16 v95, v92, v91, v95
	s_delay_alu instid0(VALU_DEP_3) | instskip(NEXT) | instid1(VALU_DEP_4)
	v_add_co_u32 v91, vcc_lo, v28, v93
	v_add_co_ci_u32_e32 v92, vcc_lo, v29, v94, vcc_lo
	global_store_b16 v[91:92], v95, off
	s_or_b32 exec_lo, exec_lo, s15
	s_and_b32 s15, s7, s8
	s_delay_alu instid0(SALU_CYCLE_1)
	s_and_saveexec_b32 s8, s15
	s_cbranch_execz .LBB224_176
.LBB224_172:
	v_cmp_ne_u32_e32 vcc_lo, 1, v72
	s_cbranch_vccnz .LBB224_174
; %bb.173:
	v_lshlrev_b64 v[91:92], 1, v[46:47]
	s_delay_alu instid0(VALU_DEP_1) | instskip(NEXT) | instid1(VALU_DEP_2)
	v_add_co_u32 v30, vcc_lo, v30, v91
	v_add_co_ci_u32_e32 v31, vcc_lo, v31, v92, vcc_lo
	flat_load_u16 v30, v[30:31]
	s_waitcnt vmcnt(0) lgkmcnt(0)
	v_mul_f16_e32 v30, s24, v30
	s_branch .LBB224_175
.LBB224_174:
	v_mov_b32_e32 v30, 0
.LBB224_175:
	v_pk_add_f16 v24, v2, v24
	v_pk_max_f16 v31, v90, v90
	v_pk_add_f16 v25, v3, v25
	s_delay_alu instid0(VALU_DEP_2) | instskip(NEXT) | instid1(VALU_DEP_1)
	v_pk_min_f16 v24, v31, v24
	v_pk_min_f16 v31, v24, v25
	v_lshlrev_b64 v[24:25], 1, v[46:47]
	s_delay_alu instid0(VALU_DEP_2) | instskip(NEXT) | instid1(VALU_DEP_2)
	v_lshrrev_b32_e32 v90, 16, v31
	v_add_co_u32 v24, vcc_lo, v28, v24
	s_delay_alu instid0(VALU_DEP_3) | instskip(NEXT) | instid1(VALU_DEP_3)
	v_add_co_ci_u32_e32 v25, vcc_lo, v29, v25, vcc_lo
	v_min3_f16 v30, v30, v31, v90
	global_store_b16 v[24:25], v30, off
.LBB224_176:
	s_or_b32 exec_lo, exec_lo, s8
	v_add_nc_u32_e32 v30, 0x60, v80
	s_delay_alu instid0(VALU_DEP_1) | instskip(SKIP_2) | instid1(VALU_DEP_3)
	v_mad_i64_i32 v[24:25], null, v30, s14, 0
	v_mad_i64_i32 v[28:29], null, v30, s9, 0
	v_cmp_gt_i32_e64 s8, s17, v30
	v_lshlrev_b64 v[24:25], 1, v[24:25]
	s_delay_alu instid0(VALU_DEP_2) | instskip(NEXT) | instid1(VALU_DEP_3)
	s_and_b32 s16, s0, s8
	v_lshlrev_b64 v[30:31], 1, v[28:29]
	s_delay_alu instid0(VALU_DEP_2) | instskip(NEXT) | instid1(VALU_DEP_3)
	v_add_co_u32 v28, vcc_lo, s10, v24
	v_add_co_ci_u32_e32 v29, vcc_lo, s11, v25, vcc_lo
	s_delay_alu instid0(VALU_DEP_3) | instskip(NEXT) | instid1(VALU_DEP_4)
	v_add_co_u32 v24, vcc_lo, s12, v30
	v_add_co_ci_u32_e32 v25, vcc_lo, s13, v31, vcc_lo
	s_and_saveexec_b32 s15, s16
	s_cbranch_execnz .LBB224_184
; %bb.177:
	s_or_b32 exec_lo, exec_lo, s15
	s_and_b32 s16, s1, s8
	s_delay_alu instid0(SALU_CYCLE_1)
	s_and_saveexec_b32 s15, s16
	s_cbranch_execnz .LBB224_188
.LBB224_178:
	s_or_b32 exec_lo, exec_lo, s15
	s_and_b32 s16, s2, s8
	s_delay_alu instid0(SALU_CYCLE_1)
	s_and_saveexec_b32 s15, s16
	s_cbranch_execnz .LBB224_192
.LBB224_179:
	s_or_b32 exec_lo, exec_lo, s15
	s_and_b32 s16, s3, s8
	s_delay_alu instid0(SALU_CYCLE_1)
	s_and_saveexec_b32 s15, s16
	s_cbranch_execnz .LBB224_196
.LBB224_180:
	s_or_b32 exec_lo, exec_lo, s15
	s_and_b32 s16, s4, s8
	s_delay_alu instid0(SALU_CYCLE_1)
	s_and_saveexec_b32 s15, s16
	s_cbranch_execnz .LBB224_200
.LBB224_181:
	s_or_b32 exec_lo, exec_lo, s15
	s_and_b32 s16, s5, s8
	s_delay_alu instid0(SALU_CYCLE_1)
	s_and_saveexec_b32 s15, s16
	s_cbranch_execnz .LBB224_204
.LBB224_182:
	s_or_b32 exec_lo, exec_lo, s15
	s_and_b32 s16, s6, s8
	s_delay_alu instid0(SALU_CYCLE_1)
	s_and_saveexec_b32 s15, s16
	s_cbranch_execnz .LBB224_208
.LBB224_183:
	s_or_b32 exec_lo, exec_lo, s15
	s_and_b32 s15, s7, s8
	s_delay_alu instid0(SALU_CYCLE_1)
	s_and_saveexec_b32 s8, s15
	s_cbranch_execnz .LBB224_212
	s_branch .LBB224_216
.LBB224_184:
	v_cmp_ne_u32_e32 vcc_lo, 1, v72
	s_cbranch_vccnz .LBB224_186
; %bb.185:
	v_lshlrev_b64 v[30:31], 1, v[32:33]
	s_delay_alu instid0(VALU_DEP_1) | instskip(NEXT) | instid1(VALU_DEP_2)
	v_add_co_u32 v30, vcc_lo, v28, v30
	v_add_co_ci_u32_e32 v31, vcc_lo, v29, v31, vcc_lo
	flat_load_u16 v30, v[30:31]
	s_waitcnt vmcnt(0) lgkmcnt(0)
	v_mul_f16_e32 v30, s24, v30
	s_branch .LBB224_187
.LBB224_186:
	v_mov_b32_e32 v30, 0
.LBB224_187:
	v_pk_add_f16 v31, v16, v26
	v_pk_max_f16 v89, v89, v89
	v_pk_add_f16 v90, v17, v27
	s_delay_alu instid0(VALU_DEP_2) | instskip(NEXT) | instid1(VALU_DEP_1)
	v_pk_min_f16 v31, v89, v31
	v_pk_min_f16 v31, v31, v90
	v_lshlrev_b64 v[89:90], 1, v[32:33]
	s_delay_alu instid0(VALU_DEP_2) | instskip(NEXT) | instid1(VALU_DEP_1)
	v_lshrrev_b32_e32 v91, 16, v31
	v_min3_f16 v91, v30, v31, v91
	s_delay_alu instid0(VALU_DEP_3) | instskip(NEXT) | instid1(VALU_DEP_4)
	v_add_co_u32 v30, vcc_lo, v24, v89
	v_add_co_ci_u32_e32 v31, vcc_lo, v25, v90, vcc_lo
	global_store_b16 v[30:31], v91, off
	s_or_b32 exec_lo, exec_lo, s15
	s_and_b32 s16, s1, s8
	s_delay_alu instid0(SALU_CYCLE_1)
	s_and_saveexec_b32 s15, s16
	s_cbranch_execz .LBB224_178
.LBB224_188:
	v_cmp_ne_u32_e32 vcc_lo, 1, v72
	s_cbranch_vccnz .LBB224_190
; %bb.189:
	v_lshlrev_b64 v[30:31], 1, v[34:35]
	s_delay_alu instid0(VALU_DEP_1) | instskip(NEXT) | instid1(VALU_DEP_2)
	v_add_co_u32 v30, vcc_lo, v28, v30
	v_add_co_ci_u32_e32 v31, vcc_lo, v29, v31, vcc_lo
	flat_load_u16 v30, v[30:31]
	s_waitcnt vmcnt(0) lgkmcnt(0)
	v_mul_f16_e32 v30, s24, v30
	s_branch .LBB224_191
.LBB224_190:
	v_mov_b32_e32 v30, 0
.LBB224_191:
	v_pk_add_f16 v31, v18, v26
	v_pk_max_f16 v88, v88, v88
	v_pk_add_f16 v89, v19, v27
	s_delay_alu instid0(VALU_DEP_2) | instskip(NEXT) | instid1(VALU_DEP_1)
	v_pk_min_f16 v31, v88, v31
	v_pk_min_f16 v31, v31, v89
	v_lshlrev_b64 v[88:89], 1, v[34:35]
	s_delay_alu instid0(VALU_DEP_2) | instskip(NEXT) | instid1(VALU_DEP_1)
	v_lshrrev_b32_e32 v90, 16, v31
	v_min3_f16 v90, v30, v31, v90
	s_delay_alu instid0(VALU_DEP_3) | instskip(NEXT) | instid1(VALU_DEP_4)
	v_add_co_u32 v30, vcc_lo, v24, v88
	v_add_co_ci_u32_e32 v31, vcc_lo, v25, v89, vcc_lo
	global_store_b16 v[30:31], v90, off
	s_or_b32 exec_lo, exec_lo, s15
	s_and_b32 s16, s2, s8
	s_delay_alu instid0(SALU_CYCLE_1)
	s_and_saveexec_b32 s15, s16
	s_cbranch_execz .LBB224_179
.LBB224_192:
	v_cmp_ne_u32_e32 vcc_lo, 1, v72
	s_cbranch_vccnz .LBB224_194
; %bb.193:
	v_lshlrev_b64 v[30:31], 1, v[36:37]
	s_delay_alu instid0(VALU_DEP_1) | instskip(NEXT) | instid1(VALU_DEP_2)
	v_add_co_u32 v30, vcc_lo, v28, v30
	v_add_co_ci_u32_e32 v31, vcc_lo, v29, v31, vcc_lo
	flat_load_u16 v30, v[30:31]
	s_waitcnt vmcnt(0) lgkmcnt(0)
	v_mul_f16_e32 v30, s24, v30
	s_branch .LBB224_195
.LBB224_194:
	v_mov_b32_e32 v30, 0
.LBB224_195:
	v_pk_add_f16 v31, v12, v26
	v_pk_max_f16 v87, v87, v87
	v_pk_add_f16 v88, v13, v27
	s_delay_alu instid0(VALU_DEP_2) | instskip(NEXT) | instid1(VALU_DEP_1)
	v_pk_min_f16 v31, v87, v31
	v_pk_min_f16 v31, v31, v88
	v_lshlrev_b64 v[87:88], 1, v[36:37]
	s_delay_alu instid0(VALU_DEP_2) | instskip(NEXT) | instid1(VALU_DEP_1)
	v_lshrrev_b32_e32 v89, 16, v31
	v_min3_f16 v89, v30, v31, v89
	s_delay_alu instid0(VALU_DEP_3) | instskip(NEXT) | instid1(VALU_DEP_4)
	v_add_co_u32 v30, vcc_lo, v24, v87
	v_add_co_ci_u32_e32 v31, vcc_lo, v25, v88, vcc_lo
	global_store_b16 v[30:31], v89, off
	s_or_b32 exec_lo, exec_lo, s15
	s_and_b32 s16, s3, s8
	s_delay_alu instid0(SALU_CYCLE_1)
	s_and_saveexec_b32 s15, s16
	s_cbranch_execz .LBB224_180
.LBB224_196:
	v_cmp_ne_u32_e32 vcc_lo, 1, v72
	s_cbranch_vccnz .LBB224_198
; %bb.197:
	v_lshlrev_b64 v[30:31], 1, v[38:39]
	s_delay_alu instid0(VALU_DEP_1) | instskip(NEXT) | instid1(VALU_DEP_2)
	v_add_co_u32 v30, vcc_lo, v28, v30
	v_add_co_ci_u32_e32 v31, vcc_lo, v29, v31, vcc_lo
	flat_load_u16 v30, v[30:31]
	s_waitcnt vmcnt(0) lgkmcnt(0)
	v_mul_f16_e32 v30, s24, v30
	s_branch .LBB224_199
.LBB224_198:
	v_mov_b32_e32 v30, 0
.LBB224_199:
	v_pk_add_f16 v31, v14, v26
	v_pk_max_f16 v86, v86, v86
	v_pk_add_f16 v87, v15, v27
	s_delay_alu instid0(VALU_DEP_2) | instskip(NEXT) | instid1(VALU_DEP_1)
	v_pk_min_f16 v31, v86, v31
	v_pk_min_f16 v31, v31, v87
	v_lshlrev_b64 v[86:87], 1, v[38:39]
	s_delay_alu instid0(VALU_DEP_2) | instskip(NEXT) | instid1(VALU_DEP_1)
	v_lshrrev_b32_e32 v88, 16, v31
	v_min3_f16 v88, v30, v31, v88
	s_delay_alu instid0(VALU_DEP_3) | instskip(NEXT) | instid1(VALU_DEP_4)
	v_add_co_u32 v30, vcc_lo, v24, v86
	v_add_co_ci_u32_e32 v31, vcc_lo, v25, v87, vcc_lo
	global_store_b16 v[30:31], v88, off
	s_or_b32 exec_lo, exec_lo, s15
	s_and_b32 s16, s4, s8
	s_delay_alu instid0(SALU_CYCLE_1)
	s_and_saveexec_b32 s15, s16
	s_cbranch_execz .LBB224_181
.LBB224_200:
	v_cmp_ne_u32_e32 vcc_lo, 1, v72
	s_cbranch_vccnz .LBB224_202
; %bb.201:
	v_lshlrev_b64 v[30:31], 1, v[40:41]
	s_delay_alu instid0(VALU_DEP_1) | instskip(NEXT) | instid1(VALU_DEP_2)
	v_add_co_u32 v30, vcc_lo, v28, v30
	v_add_co_ci_u32_e32 v31, vcc_lo, v29, v31, vcc_lo
	flat_load_u16 v30, v[30:31]
	s_waitcnt vmcnt(0) lgkmcnt(0)
	v_mul_f16_e32 v30, s24, v30
	s_branch .LBB224_203
.LBB224_202:
	v_mov_b32_e32 v30, 0
.LBB224_203:
	v_pk_add_f16 v31, v8, v26
	v_pk_max_f16 v85, v85, v85
	v_pk_add_f16 v86, v9, v27
	s_delay_alu instid0(VALU_DEP_2) | instskip(NEXT) | instid1(VALU_DEP_1)
	v_pk_min_f16 v31, v85, v31
	v_pk_min_f16 v31, v31, v86
	v_lshlrev_b64 v[85:86], 1, v[40:41]
	s_delay_alu instid0(VALU_DEP_2) | instskip(NEXT) | instid1(VALU_DEP_1)
	v_lshrrev_b32_e32 v87, 16, v31
	v_min3_f16 v87, v30, v31, v87
	s_delay_alu instid0(VALU_DEP_3) | instskip(NEXT) | instid1(VALU_DEP_4)
	v_add_co_u32 v30, vcc_lo, v24, v85
	v_add_co_ci_u32_e32 v31, vcc_lo, v25, v86, vcc_lo
	global_store_b16 v[30:31], v87, off
	s_or_b32 exec_lo, exec_lo, s15
	s_and_b32 s16, s5, s8
	s_delay_alu instid0(SALU_CYCLE_1)
	s_and_saveexec_b32 s15, s16
	s_cbranch_execz .LBB224_182
.LBB224_204:
	v_cmp_ne_u32_e32 vcc_lo, 1, v72
	s_cbranch_vccnz .LBB224_206
; %bb.205:
	v_lshlrev_b64 v[30:31], 1, v[42:43]
	s_delay_alu instid0(VALU_DEP_1) | instskip(NEXT) | instid1(VALU_DEP_2)
	v_add_co_u32 v30, vcc_lo, v28, v30
	v_add_co_ci_u32_e32 v31, vcc_lo, v29, v31, vcc_lo
	flat_load_u16 v30, v[30:31]
	s_waitcnt vmcnt(0) lgkmcnt(0)
	v_mul_f16_e32 v30, s24, v30
	s_branch .LBB224_207
.LBB224_206:
	v_mov_b32_e32 v30, 0
.LBB224_207:
	v_pk_add_f16 v31, v10, v26
	v_pk_max_f16 v84, v84, v84
	v_pk_add_f16 v85, v11, v27
	s_delay_alu instid0(VALU_DEP_2) | instskip(NEXT) | instid1(VALU_DEP_1)
	v_pk_min_f16 v31, v84, v31
	v_pk_min_f16 v31, v31, v85
	v_lshlrev_b64 v[84:85], 1, v[42:43]
	s_delay_alu instid0(VALU_DEP_2) | instskip(NEXT) | instid1(VALU_DEP_1)
	v_lshrrev_b32_e32 v86, 16, v31
	v_min3_f16 v86, v30, v31, v86
	s_delay_alu instid0(VALU_DEP_3) | instskip(NEXT) | instid1(VALU_DEP_4)
	v_add_co_u32 v30, vcc_lo, v24, v84
	v_add_co_ci_u32_e32 v31, vcc_lo, v25, v85, vcc_lo
	global_store_b16 v[30:31], v86, off
	s_or_b32 exec_lo, exec_lo, s15
	s_and_b32 s16, s6, s8
	s_delay_alu instid0(SALU_CYCLE_1)
	s_and_saveexec_b32 s15, s16
	s_cbranch_execz .LBB224_183
.LBB224_208:
	v_cmp_ne_u32_e32 vcc_lo, 1, v72
	s_cbranch_vccnz .LBB224_210
; %bb.209:
	v_lshlrev_b64 v[30:31], 1, v[44:45]
	s_delay_alu instid0(VALU_DEP_1) | instskip(NEXT) | instid1(VALU_DEP_2)
	v_add_co_u32 v30, vcc_lo, v28, v30
	v_add_co_ci_u32_e32 v31, vcc_lo, v29, v31, vcc_lo
	flat_load_u16 v30, v[30:31]
	s_waitcnt vmcnt(0) lgkmcnt(0)
	v_mul_f16_e32 v30, s24, v30
	s_branch .LBB224_211
.LBB224_210:
	v_mov_b32_e32 v30, 0
.LBB224_211:
	v_pk_add_f16 v31, v0, v26
	v_pk_max_f16 v83, v83, v83
	v_pk_add_f16 v84, v1, v27
	s_delay_alu instid0(VALU_DEP_2) | instskip(NEXT) | instid1(VALU_DEP_1)
	v_pk_min_f16 v31, v83, v31
	v_pk_min_f16 v31, v31, v84
	v_lshlrev_b64 v[83:84], 1, v[44:45]
	s_delay_alu instid0(VALU_DEP_2) | instskip(NEXT) | instid1(VALU_DEP_1)
	v_lshrrev_b32_e32 v85, 16, v31
	v_min3_f16 v85, v30, v31, v85
	s_delay_alu instid0(VALU_DEP_3) | instskip(NEXT) | instid1(VALU_DEP_4)
	v_add_co_u32 v30, vcc_lo, v24, v83
	v_add_co_ci_u32_e32 v31, vcc_lo, v25, v84, vcc_lo
	global_store_b16 v[30:31], v85, off
	s_or_b32 exec_lo, exec_lo, s15
	s_and_b32 s15, s7, s8
	s_delay_alu instid0(SALU_CYCLE_1)
	s_and_saveexec_b32 s8, s15
	s_cbranch_execz .LBB224_216
.LBB224_212:
	v_cmp_ne_u32_e32 vcc_lo, 1, v72
	s_cbranch_vccnz .LBB224_214
; %bb.213:
	v_lshlrev_b64 v[30:31], 1, v[46:47]
	s_delay_alu instid0(VALU_DEP_1) | instskip(NEXT) | instid1(VALU_DEP_2)
	v_add_co_u32 v28, vcc_lo, v28, v30
	v_add_co_ci_u32_e32 v29, vcc_lo, v29, v31, vcc_lo
	flat_load_u16 v28, v[28:29]
	s_waitcnt vmcnt(0) lgkmcnt(0)
	v_mul_f16_e32 v28, s24, v28
	s_branch .LBB224_215
.LBB224_214:
	v_mov_b32_e32 v28, 0
.LBB224_215:
	v_pk_add_f16 v26, v2, v26
	v_pk_max_f16 v29, v82, v82
	v_pk_add_f16 v27, v3, v27
	s_delay_alu instid0(VALU_DEP_2) | instskip(NEXT) | instid1(VALU_DEP_1)
	v_pk_min_f16 v26, v29, v26
	v_pk_min_f16 v29, v26, v27
	v_lshlrev_b64 v[26:27], 1, v[46:47]
	s_delay_alu instid0(VALU_DEP_2) | instskip(NEXT) | instid1(VALU_DEP_2)
	v_lshrrev_b32_e32 v30, 16, v29
	v_add_co_u32 v24, vcc_lo, v24, v26
	s_delay_alu instid0(VALU_DEP_3) | instskip(NEXT) | instid1(VALU_DEP_3)
	v_add_co_ci_u32_e32 v25, vcc_lo, v25, v27, vcc_lo
	v_min3_f16 v28, v28, v29, v30
	global_store_b16 v[24:25], v28, off
.LBB224_216:
	s_or_b32 exec_lo, exec_lo, s8
	v_add_nc_u32_e32 v28, 0x80, v80
	s_delay_alu instid0(VALU_DEP_1) | instskip(SKIP_2) | instid1(VALU_DEP_3)
	v_mad_i64_i32 v[24:25], null, v28, s14, 0
	v_mad_i64_i32 v[26:27], null, v28, s9, 0
	v_cmp_gt_i32_e64 s8, s17, v28
	v_lshlrev_b64 v[24:25], 1, v[24:25]
	s_delay_alu instid0(VALU_DEP_2) | instskip(NEXT) | instid1(VALU_DEP_3)
	s_and_b32 s16, s0, s8
	v_lshlrev_b64 v[28:29], 1, v[26:27]
	s_delay_alu instid0(VALU_DEP_2) | instskip(NEXT) | instid1(VALU_DEP_3)
	v_add_co_u32 v26, vcc_lo, s10, v24
	v_add_co_ci_u32_e32 v27, vcc_lo, s11, v25, vcc_lo
	s_delay_alu instid0(VALU_DEP_3) | instskip(NEXT) | instid1(VALU_DEP_4)
	v_add_co_u32 v24, vcc_lo, s12, v28
	v_add_co_ci_u32_e32 v25, vcc_lo, s13, v29, vcc_lo
	s_and_saveexec_b32 s15, s16
	s_cbranch_execnz .LBB224_224
; %bb.217:
	s_or_b32 exec_lo, exec_lo, s15
	s_and_b32 s16, s1, s8
	s_delay_alu instid0(SALU_CYCLE_1)
	s_and_saveexec_b32 s15, s16
	s_cbranch_execnz .LBB224_228
.LBB224_218:
	s_or_b32 exec_lo, exec_lo, s15
	s_and_b32 s16, s2, s8
	s_delay_alu instid0(SALU_CYCLE_1)
	s_and_saveexec_b32 s15, s16
	s_cbranch_execnz .LBB224_232
.LBB224_219:
	s_or_b32 exec_lo, exec_lo, s15
	s_and_b32 s16, s3, s8
	s_delay_alu instid0(SALU_CYCLE_1)
	s_and_saveexec_b32 s15, s16
	s_cbranch_execnz .LBB224_236
.LBB224_220:
	s_or_b32 exec_lo, exec_lo, s15
	s_and_b32 s16, s4, s8
	s_delay_alu instid0(SALU_CYCLE_1)
	s_and_saveexec_b32 s15, s16
	s_cbranch_execnz .LBB224_240
.LBB224_221:
	s_or_b32 exec_lo, exec_lo, s15
	s_and_b32 s16, s5, s8
	s_delay_alu instid0(SALU_CYCLE_1)
	s_and_saveexec_b32 s15, s16
	s_cbranch_execnz .LBB224_244
.LBB224_222:
	s_or_b32 exec_lo, exec_lo, s15
	s_and_b32 s16, s6, s8
	s_delay_alu instid0(SALU_CYCLE_1)
	s_and_saveexec_b32 s15, s16
	s_cbranch_execnz .LBB224_248
.LBB224_223:
	s_or_b32 exec_lo, exec_lo, s15
	s_and_b32 s15, s7, s8
	s_delay_alu instid0(SALU_CYCLE_1)
	s_and_saveexec_b32 s8, s15
	s_cbranch_execnz .LBB224_252
	s_branch .LBB224_256
.LBB224_224:
	v_cmp_ne_u32_e32 vcc_lo, 1, v72
	s_cbranch_vccnz .LBB224_226
; %bb.225:
	v_lshlrev_b64 v[28:29], 1, v[32:33]
	s_delay_alu instid0(VALU_DEP_1) | instskip(NEXT) | instid1(VALU_DEP_2)
	v_add_co_u32 v28, vcc_lo, v26, v28
	v_add_co_ci_u32_e32 v29, vcc_lo, v27, v29, vcc_lo
	flat_load_u16 v28, v[28:29]
	s_waitcnt vmcnt(0) lgkmcnt(0)
	v_mul_f16_e32 v28, s24, v28
	s_branch .LBB224_227
.LBB224_226:
	v_mov_b32_e32 v28, 0
.LBB224_227:
	v_pk_add_f16 v29, v16, v20
	v_pk_max_f16 v30, v81, v81
	v_pk_add_f16 v31, v17, v21
	s_delay_alu instid0(VALU_DEP_2) | instskip(NEXT) | instid1(VALU_DEP_1)
	v_pk_min_f16 v29, v30, v29
	v_pk_min_f16 v31, v29, v31
	v_lshlrev_b64 v[29:30], 1, v[32:33]
	s_delay_alu instid0(VALU_DEP_2) | instskip(NEXT) | instid1(VALU_DEP_1)
	v_lshrrev_b32_e32 v81, 16, v31
	v_min3_f16 v31, v28, v31, v81
	s_delay_alu instid0(VALU_DEP_3) | instskip(NEXT) | instid1(VALU_DEP_4)
	v_add_co_u32 v28, vcc_lo, v24, v29
	v_add_co_ci_u32_e32 v29, vcc_lo, v25, v30, vcc_lo
	global_store_b16 v[28:29], v31, off
	s_or_b32 exec_lo, exec_lo, s15
	s_and_b32 s16, s1, s8
	s_delay_alu instid0(SALU_CYCLE_1)
	s_and_saveexec_b32 s15, s16
	s_cbranch_execz .LBB224_218
.LBB224_228:
	v_cmp_ne_u32_e32 vcc_lo, 1, v72
	s_cbranch_vccnz .LBB224_230
; %bb.229:
	v_lshlrev_b64 v[28:29], 1, v[34:35]
	s_delay_alu instid0(VALU_DEP_1) | instskip(NEXT) | instid1(VALU_DEP_2)
	v_add_co_u32 v28, vcc_lo, v26, v28
	v_add_co_ci_u32_e32 v29, vcc_lo, v27, v29, vcc_lo
	flat_load_u16 v28, v[28:29]
	s_waitcnt vmcnt(0) lgkmcnt(0)
	v_mul_f16_e32 v28, s24, v28
	s_branch .LBB224_231
.LBB224_230:
	v_mov_b32_e32 v28, 0
.LBB224_231:
	v_pk_add_f16 v29, v18, v20
	v_pk_max_f16 v30, v79, v79
	v_pk_add_f16 v31, v19, v21
	s_delay_alu instid0(VALU_DEP_2) | instskip(NEXT) | instid1(VALU_DEP_1)
	v_pk_min_f16 v29, v30, v29
	v_pk_min_f16 v31, v29, v31
	v_lshlrev_b64 v[29:30], 1, v[34:35]
	s_delay_alu instid0(VALU_DEP_2) | instskip(NEXT) | instid1(VALU_DEP_1)
	v_lshrrev_b32_e32 v79, 16, v31
	v_min3_f16 v31, v28, v31, v79
	s_delay_alu instid0(VALU_DEP_3) | instskip(NEXT) | instid1(VALU_DEP_4)
	v_add_co_u32 v28, vcc_lo, v24, v29
	v_add_co_ci_u32_e32 v29, vcc_lo, v25, v30, vcc_lo
	global_store_b16 v[28:29], v31, off
	s_or_b32 exec_lo, exec_lo, s15
	s_and_b32 s16, s2, s8
	s_delay_alu instid0(SALU_CYCLE_1)
	s_and_saveexec_b32 s15, s16
	s_cbranch_execz .LBB224_219
.LBB224_232:
	v_cmp_ne_u32_e32 vcc_lo, 1, v72
	s_cbranch_vccnz .LBB224_234
; %bb.233:
	v_lshlrev_b64 v[28:29], 1, v[36:37]
	s_delay_alu instid0(VALU_DEP_1) | instskip(NEXT) | instid1(VALU_DEP_2)
	v_add_co_u32 v28, vcc_lo, v26, v28
	v_add_co_ci_u32_e32 v29, vcc_lo, v27, v29, vcc_lo
	flat_load_u16 v28, v[28:29]
	s_waitcnt vmcnt(0) lgkmcnt(0)
	v_mul_f16_e32 v28, s24, v28
	s_branch .LBB224_235
.LBB224_234:
	v_mov_b32_e32 v28, 0
.LBB224_235:
	v_pk_add_f16 v29, v12, v20
	v_pk_max_f16 v30, v78, v78
	v_pk_add_f16 v31, v13, v21
	s_delay_alu instid0(VALU_DEP_2) | instskip(NEXT) | instid1(VALU_DEP_1)
	v_pk_min_f16 v29, v30, v29
	v_pk_min_f16 v31, v29, v31
	v_lshlrev_b64 v[29:30], 1, v[36:37]
	s_delay_alu instid0(VALU_DEP_2) | instskip(NEXT) | instid1(VALU_DEP_1)
	v_lshrrev_b32_e32 v78, 16, v31
	v_min3_f16 v31, v28, v31, v78
	s_delay_alu instid0(VALU_DEP_3) | instskip(NEXT) | instid1(VALU_DEP_4)
	v_add_co_u32 v28, vcc_lo, v24, v29
	v_add_co_ci_u32_e32 v29, vcc_lo, v25, v30, vcc_lo
	global_store_b16 v[28:29], v31, off
	s_or_b32 exec_lo, exec_lo, s15
	s_and_b32 s16, s3, s8
	s_delay_alu instid0(SALU_CYCLE_1)
	s_and_saveexec_b32 s15, s16
	s_cbranch_execz .LBB224_220
.LBB224_236:
	v_cmp_ne_u32_e32 vcc_lo, 1, v72
	s_cbranch_vccnz .LBB224_238
; %bb.237:
	v_lshlrev_b64 v[28:29], 1, v[38:39]
	s_delay_alu instid0(VALU_DEP_1) | instskip(NEXT) | instid1(VALU_DEP_2)
	v_add_co_u32 v28, vcc_lo, v26, v28
	v_add_co_ci_u32_e32 v29, vcc_lo, v27, v29, vcc_lo
	flat_load_u16 v28, v[28:29]
	s_waitcnt vmcnt(0) lgkmcnt(0)
	v_mul_f16_e32 v28, s24, v28
	s_branch .LBB224_239
.LBB224_238:
	v_mov_b32_e32 v28, 0
.LBB224_239:
	v_pk_add_f16 v29, v14, v20
	v_pk_max_f16 v30, v77, v77
	v_pk_add_f16 v31, v15, v21
	s_delay_alu instid0(VALU_DEP_2) | instskip(NEXT) | instid1(VALU_DEP_1)
	v_pk_min_f16 v29, v30, v29
	v_pk_min_f16 v31, v29, v31
	v_lshlrev_b64 v[29:30], 1, v[38:39]
	s_delay_alu instid0(VALU_DEP_2) | instskip(NEXT) | instid1(VALU_DEP_1)
	v_lshrrev_b32_e32 v77, 16, v31
	v_min3_f16 v31, v28, v31, v77
	s_delay_alu instid0(VALU_DEP_3) | instskip(NEXT) | instid1(VALU_DEP_4)
	v_add_co_u32 v28, vcc_lo, v24, v29
	v_add_co_ci_u32_e32 v29, vcc_lo, v25, v30, vcc_lo
	global_store_b16 v[28:29], v31, off
	s_or_b32 exec_lo, exec_lo, s15
	s_and_b32 s16, s4, s8
	s_delay_alu instid0(SALU_CYCLE_1)
	s_and_saveexec_b32 s15, s16
	s_cbranch_execz .LBB224_221
.LBB224_240:
	v_cmp_ne_u32_e32 vcc_lo, 1, v72
	s_cbranch_vccnz .LBB224_242
; %bb.241:
	v_lshlrev_b64 v[28:29], 1, v[40:41]
	s_delay_alu instid0(VALU_DEP_1) | instskip(NEXT) | instid1(VALU_DEP_2)
	v_add_co_u32 v28, vcc_lo, v26, v28
	v_add_co_ci_u32_e32 v29, vcc_lo, v27, v29, vcc_lo
	flat_load_u16 v28, v[28:29]
	s_waitcnt vmcnt(0) lgkmcnt(0)
	v_mul_f16_e32 v28, s24, v28
	s_branch .LBB224_243
.LBB224_242:
	v_mov_b32_e32 v28, 0
.LBB224_243:
	v_pk_add_f16 v29, v8, v20
	v_pk_max_f16 v30, v76, v76
	v_pk_add_f16 v31, v9, v21
	s_delay_alu instid0(VALU_DEP_2) | instskip(NEXT) | instid1(VALU_DEP_1)
	v_pk_min_f16 v29, v30, v29
	v_pk_min_f16 v31, v29, v31
	v_lshlrev_b64 v[29:30], 1, v[40:41]
	s_delay_alu instid0(VALU_DEP_2) | instskip(NEXT) | instid1(VALU_DEP_1)
	v_lshrrev_b32_e32 v76, 16, v31
	v_min3_f16 v31, v28, v31, v76
	s_delay_alu instid0(VALU_DEP_3) | instskip(NEXT) | instid1(VALU_DEP_4)
	v_add_co_u32 v28, vcc_lo, v24, v29
	v_add_co_ci_u32_e32 v29, vcc_lo, v25, v30, vcc_lo
	global_store_b16 v[28:29], v31, off
	s_or_b32 exec_lo, exec_lo, s15
	s_and_b32 s16, s5, s8
	s_delay_alu instid0(SALU_CYCLE_1)
	s_and_saveexec_b32 s15, s16
	s_cbranch_execz .LBB224_222
.LBB224_244:
	v_cmp_ne_u32_e32 vcc_lo, 1, v72
	s_cbranch_vccnz .LBB224_246
; %bb.245:
	v_lshlrev_b64 v[28:29], 1, v[42:43]
	s_delay_alu instid0(VALU_DEP_1) | instskip(NEXT) | instid1(VALU_DEP_2)
	v_add_co_u32 v28, vcc_lo, v26, v28
	v_add_co_ci_u32_e32 v29, vcc_lo, v27, v29, vcc_lo
	flat_load_u16 v28, v[28:29]
	s_waitcnt vmcnt(0) lgkmcnt(0)
	v_mul_f16_e32 v28, s24, v28
	s_branch .LBB224_247
.LBB224_246:
	v_mov_b32_e32 v28, 0
.LBB224_247:
	v_pk_add_f16 v29, v10, v20
	v_pk_max_f16 v30, v75, v75
	v_pk_add_f16 v31, v11, v21
	s_delay_alu instid0(VALU_DEP_2) | instskip(NEXT) | instid1(VALU_DEP_1)
	v_pk_min_f16 v29, v30, v29
	v_pk_min_f16 v31, v29, v31
	v_lshlrev_b64 v[29:30], 1, v[42:43]
	s_delay_alu instid0(VALU_DEP_2) | instskip(NEXT) | instid1(VALU_DEP_1)
	v_lshrrev_b32_e32 v75, 16, v31
	v_min3_f16 v31, v28, v31, v75
	s_delay_alu instid0(VALU_DEP_3) | instskip(NEXT) | instid1(VALU_DEP_4)
	v_add_co_u32 v28, vcc_lo, v24, v29
	v_add_co_ci_u32_e32 v29, vcc_lo, v25, v30, vcc_lo
	global_store_b16 v[28:29], v31, off
	s_or_b32 exec_lo, exec_lo, s15
	s_and_b32 s16, s6, s8
	s_delay_alu instid0(SALU_CYCLE_1)
	s_and_saveexec_b32 s15, s16
	s_cbranch_execz .LBB224_223
.LBB224_248:
	v_cmp_ne_u32_e32 vcc_lo, 1, v72
	s_cbranch_vccnz .LBB224_250
; %bb.249:
	v_lshlrev_b64 v[28:29], 1, v[44:45]
	s_delay_alu instid0(VALU_DEP_1) | instskip(NEXT) | instid1(VALU_DEP_2)
	v_add_co_u32 v28, vcc_lo, v26, v28
	v_add_co_ci_u32_e32 v29, vcc_lo, v27, v29, vcc_lo
	flat_load_u16 v28, v[28:29]
	s_waitcnt vmcnt(0) lgkmcnt(0)
	v_mul_f16_e32 v28, s24, v28
	s_branch .LBB224_251
.LBB224_250:
	v_mov_b32_e32 v28, 0
.LBB224_251:
	v_pk_add_f16 v29, v0, v20
	v_pk_max_f16 v30, v74, v74
	v_pk_add_f16 v31, v1, v21
	s_delay_alu instid0(VALU_DEP_2) | instskip(NEXT) | instid1(VALU_DEP_1)
	v_pk_min_f16 v29, v30, v29
	v_pk_min_f16 v31, v29, v31
	v_lshlrev_b64 v[29:30], 1, v[44:45]
	s_delay_alu instid0(VALU_DEP_2) | instskip(NEXT) | instid1(VALU_DEP_1)
	v_lshrrev_b32_e32 v74, 16, v31
	v_min3_f16 v31, v28, v31, v74
	s_delay_alu instid0(VALU_DEP_3) | instskip(NEXT) | instid1(VALU_DEP_4)
	v_add_co_u32 v28, vcc_lo, v24, v29
	v_add_co_ci_u32_e32 v29, vcc_lo, v25, v30, vcc_lo
	global_store_b16 v[28:29], v31, off
	s_or_b32 exec_lo, exec_lo, s15
	s_and_b32 s15, s7, s8
	s_delay_alu instid0(SALU_CYCLE_1)
	s_and_saveexec_b32 s8, s15
	s_cbranch_execz .LBB224_256
.LBB224_252:
	v_cmp_ne_u32_e32 vcc_lo, 1, v72
	s_cbranch_vccnz .LBB224_254
; %bb.253:
	v_lshlrev_b64 v[28:29], 1, v[46:47]
	s_delay_alu instid0(VALU_DEP_1) | instskip(NEXT) | instid1(VALU_DEP_2)
	v_add_co_u32 v26, vcc_lo, v26, v28
	v_add_co_ci_u32_e32 v27, vcc_lo, v27, v29, vcc_lo
	flat_load_u16 v26, v[26:27]
	s_waitcnt vmcnt(0) lgkmcnt(0)
	v_mul_f16_e32 v26, s24, v26
	s_branch .LBB224_255
.LBB224_254:
	v_mov_b32_e32 v26, 0
.LBB224_255:
	v_pk_add_f16 v20, v2, v20
	v_pk_max_f16 v27, v73, v73
	v_pk_add_f16 v21, v3, v21
	s_delay_alu instid0(VALU_DEP_2) | instskip(NEXT) | instid1(VALU_DEP_1)
	v_pk_min_f16 v20, v27, v20
	v_pk_min_f16 v27, v20, v21
	v_lshlrev_b64 v[20:21], 1, v[46:47]
	s_delay_alu instid0(VALU_DEP_2) | instskip(NEXT) | instid1(VALU_DEP_2)
	v_lshrrev_b32_e32 v28, 16, v27
	v_add_co_u32 v20, vcc_lo, v24, v20
	s_delay_alu instid0(VALU_DEP_3) | instskip(NEXT) | instid1(VALU_DEP_3)
	v_add_co_ci_u32_e32 v21, vcc_lo, v25, v21, vcc_lo
	v_min3_f16 v26, v26, v27, v28
	global_store_b16 v[20:21], v26, off
.LBB224_256:
	s_or_b32 exec_lo, exec_lo, s8
	v_add_nc_u32_e32 v26, 0xa0, v80
	s_delay_alu instid0(VALU_DEP_1) | instskip(SKIP_2) | instid1(VALU_DEP_3)
	v_mad_i64_i32 v[20:21], null, v26, s14, 0
	v_mad_i64_i32 v[24:25], null, v26, s9, 0
	v_cmp_gt_i32_e64 s8, s17, v26
	v_lshlrev_b64 v[20:21], 1, v[20:21]
	s_delay_alu instid0(VALU_DEP_2) | instskip(NEXT) | instid1(VALU_DEP_3)
	s_and_b32 s16, s0, s8
	v_lshlrev_b64 v[26:27], 1, v[24:25]
	s_delay_alu instid0(VALU_DEP_2) | instskip(NEXT) | instid1(VALU_DEP_3)
	v_add_co_u32 v24, vcc_lo, s10, v20
	v_add_co_ci_u32_e32 v25, vcc_lo, s11, v21, vcc_lo
	s_delay_alu instid0(VALU_DEP_3) | instskip(NEXT) | instid1(VALU_DEP_4)
	v_add_co_u32 v20, vcc_lo, s12, v26
	v_add_co_ci_u32_e32 v21, vcc_lo, s13, v27, vcc_lo
	s_and_saveexec_b32 s15, s16
	s_cbranch_execnz .LBB224_264
; %bb.257:
	s_or_b32 exec_lo, exec_lo, s15
	s_and_b32 s16, s1, s8
	s_delay_alu instid0(SALU_CYCLE_1)
	s_and_saveexec_b32 s15, s16
	s_cbranch_execnz .LBB224_268
.LBB224_258:
	s_or_b32 exec_lo, exec_lo, s15
	s_and_b32 s16, s2, s8
	s_delay_alu instid0(SALU_CYCLE_1)
	s_and_saveexec_b32 s15, s16
	s_cbranch_execnz .LBB224_272
.LBB224_259:
	s_or_b32 exec_lo, exec_lo, s15
	s_and_b32 s16, s3, s8
	s_delay_alu instid0(SALU_CYCLE_1)
	s_and_saveexec_b32 s15, s16
	s_cbranch_execnz .LBB224_276
.LBB224_260:
	s_or_b32 exec_lo, exec_lo, s15
	s_and_b32 s16, s4, s8
	s_delay_alu instid0(SALU_CYCLE_1)
	s_and_saveexec_b32 s15, s16
	s_cbranch_execnz .LBB224_280
.LBB224_261:
	s_or_b32 exec_lo, exec_lo, s15
	s_and_b32 s16, s5, s8
	s_delay_alu instid0(SALU_CYCLE_1)
	s_and_saveexec_b32 s15, s16
	s_cbranch_execnz .LBB224_284
.LBB224_262:
	s_or_b32 exec_lo, exec_lo, s15
	s_and_b32 s16, s6, s8
	s_delay_alu instid0(SALU_CYCLE_1)
	s_and_saveexec_b32 s15, s16
	s_cbranch_execnz .LBB224_288
.LBB224_263:
	s_or_b32 exec_lo, exec_lo, s15
	s_and_b32 s15, s7, s8
	s_delay_alu instid0(SALU_CYCLE_1)
	s_and_saveexec_b32 s8, s15
	s_cbranch_execnz .LBB224_292
	s_branch .LBB224_296
.LBB224_264:
	v_cmp_ne_u32_e32 vcc_lo, 1, v72
	s_cbranch_vccnz .LBB224_266
; %bb.265:
	v_lshlrev_b64 v[26:27], 1, v[32:33]
	s_delay_alu instid0(VALU_DEP_1) | instskip(NEXT) | instid1(VALU_DEP_2)
	v_add_co_u32 v26, vcc_lo, v24, v26
	v_add_co_ci_u32_e32 v27, vcc_lo, v25, v27, vcc_lo
	flat_load_u16 v26, v[26:27]
	s_waitcnt vmcnt(0) lgkmcnt(0)
	v_mul_f16_e32 v26, s24, v26
	s_branch .LBB224_267
.LBB224_266:
	v_mov_b32_e32 v26, 0
.LBB224_267:
	v_pk_add_f16 v27, v16, v22
	v_pk_max_f16 v28, v71, v71
	v_pk_add_f16 v29, v17, v23
	s_delay_alu instid0(VALU_DEP_2) | instskip(NEXT) | instid1(VALU_DEP_1)
	v_pk_min_f16 v27, v28, v27
	v_pk_min_f16 v29, v27, v29
	v_lshlrev_b64 v[27:28], 1, v[32:33]
	s_delay_alu instid0(VALU_DEP_2) | instskip(NEXT) | instid1(VALU_DEP_1)
	v_lshrrev_b32_e32 v30, 16, v29
	v_min3_f16 v29, v26, v29, v30
	s_delay_alu instid0(VALU_DEP_3) | instskip(NEXT) | instid1(VALU_DEP_4)
	v_add_co_u32 v26, vcc_lo, v20, v27
	v_add_co_ci_u32_e32 v27, vcc_lo, v21, v28, vcc_lo
	global_store_b16 v[26:27], v29, off
	s_or_b32 exec_lo, exec_lo, s15
	s_and_b32 s16, s1, s8
	s_delay_alu instid0(SALU_CYCLE_1)
	s_and_saveexec_b32 s15, s16
	s_cbranch_execz .LBB224_258
.LBB224_268:
	v_cmp_ne_u32_e32 vcc_lo, 1, v72
	s_cbranch_vccnz .LBB224_270
; %bb.269:
	v_lshlrev_b64 v[26:27], 1, v[34:35]
	s_delay_alu instid0(VALU_DEP_1) | instskip(NEXT) | instid1(VALU_DEP_2)
	v_add_co_u32 v26, vcc_lo, v24, v26
	v_add_co_ci_u32_e32 v27, vcc_lo, v25, v27, vcc_lo
	flat_load_u16 v26, v[26:27]
	s_waitcnt vmcnt(0) lgkmcnt(0)
	v_mul_f16_e32 v26, s24, v26
	s_branch .LBB224_271
.LBB224_270:
	v_mov_b32_e32 v26, 0
.LBB224_271:
	v_pk_add_f16 v27, v18, v22
	v_pk_max_f16 v28, v70, v70
	v_pk_add_f16 v29, v19, v23
	s_delay_alu instid0(VALU_DEP_2) | instskip(NEXT) | instid1(VALU_DEP_1)
	v_pk_min_f16 v27, v28, v27
	v_pk_min_f16 v29, v27, v29
	v_lshlrev_b64 v[27:28], 1, v[34:35]
	s_delay_alu instid0(VALU_DEP_2) | instskip(NEXT) | instid1(VALU_DEP_1)
	v_lshrrev_b32_e32 v30, 16, v29
	v_min3_f16 v29, v26, v29, v30
	s_delay_alu instid0(VALU_DEP_3) | instskip(NEXT) | instid1(VALU_DEP_4)
	v_add_co_u32 v26, vcc_lo, v20, v27
	v_add_co_ci_u32_e32 v27, vcc_lo, v21, v28, vcc_lo
	global_store_b16 v[26:27], v29, off
	s_or_b32 exec_lo, exec_lo, s15
	s_and_b32 s16, s2, s8
	s_delay_alu instid0(SALU_CYCLE_1)
	s_and_saveexec_b32 s15, s16
	s_cbranch_execz .LBB224_259
.LBB224_272:
	v_cmp_ne_u32_e32 vcc_lo, 1, v72
	s_cbranch_vccnz .LBB224_274
; %bb.273:
	v_lshlrev_b64 v[26:27], 1, v[36:37]
	s_delay_alu instid0(VALU_DEP_1) | instskip(NEXT) | instid1(VALU_DEP_2)
	v_add_co_u32 v26, vcc_lo, v24, v26
	v_add_co_ci_u32_e32 v27, vcc_lo, v25, v27, vcc_lo
	flat_load_u16 v26, v[26:27]
	s_waitcnt vmcnt(0) lgkmcnt(0)
	v_mul_f16_e32 v26, s24, v26
	s_branch .LBB224_275
.LBB224_274:
	v_mov_b32_e32 v26, 0
.LBB224_275:
	v_pk_add_f16 v27, v12, v22
	v_pk_max_f16 v28, v69, v69
	v_pk_add_f16 v29, v13, v23
	s_delay_alu instid0(VALU_DEP_2) | instskip(NEXT) | instid1(VALU_DEP_1)
	v_pk_min_f16 v27, v28, v27
	v_pk_min_f16 v29, v27, v29
	v_lshlrev_b64 v[27:28], 1, v[36:37]
	s_delay_alu instid0(VALU_DEP_2) | instskip(NEXT) | instid1(VALU_DEP_1)
	v_lshrrev_b32_e32 v30, 16, v29
	v_min3_f16 v29, v26, v29, v30
	s_delay_alu instid0(VALU_DEP_3) | instskip(NEXT) | instid1(VALU_DEP_4)
	v_add_co_u32 v26, vcc_lo, v20, v27
	v_add_co_ci_u32_e32 v27, vcc_lo, v21, v28, vcc_lo
	global_store_b16 v[26:27], v29, off
	s_or_b32 exec_lo, exec_lo, s15
	s_and_b32 s16, s3, s8
	s_delay_alu instid0(SALU_CYCLE_1)
	s_and_saveexec_b32 s15, s16
	s_cbranch_execz .LBB224_260
.LBB224_276:
	v_cmp_ne_u32_e32 vcc_lo, 1, v72
	s_cbranch_vccnz .LBB224_278
; %bb.277:
	v_lshlrev_b64 v[26:27], 1, v[38:39]
	s_delay_alu instid0(VALU_DEP_1) | instskip(NEXT) | instid1(VALU_DEP_2)
	v_add_co_u32 v26, vcc_lo, v24, v26
	v_add_co_ci_u32_e32 v27, vcc_lo, v25, v27, vcc_lo
	flat_load_u16 v26, v[26:27]
	s_waitcnt vmcnt(0) lgkmcnt(0)
	v_mul_f16_e32 v26, s24, v26
	s_branch .LBB224_279
.LBB224_278:
	v_mov_b32_e32 v26, 0
.LBB224_279:
	v_pk_add_f16 v27, v14, v22
	v_pk_max_f16 v28, v68, v68
	v_pk_add_f16 v29, v15, v23
	s_delay_alu instid0(VALU_DEP_2) | instskip(NEXT) | instid1(VALU_DEP_1)
	v_pk_min_f16 v27, v28, v27
	v_pk_min_f16 v29, v27, v29
	v_lshlrev_b64 v[27:28], 1, v[38:39]
	s_delay_alu instid0(VALU_DEP_2) | instskip(NEXT) | instid1(VALU_DEP_1)
	v_lshrrev_b32_e32 v30, 16, v29
	v_min3_f16 v29, v26, v29, v30
	s_delay_alu instid0(VALU_DEP_3) | instskip(NEXT) | instid1(VALU_DEP_4)
	v_add_co_u32 v26, vcc_lo, v20, v27
	v_add_co_ci_u32_e32 v27, vcc_lo, v21, v28, vcc_lo
	global_store_b16 v[26:27], v29, off
	s_or_b32 exec_lo, exec_lo, s15
	s_and_b32 s16, s4, s8
	s_delay_alu instid0(SALU_CYCLE_1)
	s_and_saveexec_b32 s15, s16
	s_cbranch_execz .LBB224_261
.LBB224_280:
	v_cmp_ne_u32_e32 vcc_lo, 1, v72
	s_cbranch_vccnz .LBB224_282
; %bb.281:
	v_lshlrev_b64 v[26:27], 1, v[40:41]
	s_delay_alu instid0(VALU_DEP_1) | instskip(NEXT) | instid1(VALU_DEP_2)
	v_add_co_u32 v26, vcc_lo, v24, v26
	v_add_co_ci_u32_e32 v27, vcc_lo, v25, v27, vcc_lo
	flat_load_u16 v26, v[26:27]
	s_waitcnt vmcnt(0) lgkmcnt(0)
	v_mul_f16_e32 v26, s24, v26
	s_branch .LBB224_283
.LBB224_282:
	v_mov_b32_e32 v26, 0
.LBB224_283:
	v_pk_add_f16 v27, v8, v22
	v_pk_max_f16 v28, v67, v67
	v_pk_add_f16 v29, v9, v23
	s_delay_alu instid0(VALU_DEP_2) | instskip(NEXT) | instid1(VALU_DEP_1)
	v_pk_min_f16 v27, v28, v27
	v_pk_min_f16 v29, v27, v29
	v_lshlrev_b64 v[27:28], 1, v[40:41]
	s_delay_alu instid0(VALU_DEP_2) | instskip(NEXT) | instid1(VALU_DEP_1)
	v_lshrrev_b32_e32 v30, 16, v29
	v_min3_f16 v29, v26, v29, v30
	s_delay_alu instid0(VALU_DEP_3) | instskip(NEXT) | instid1(VALU_DEP_4)
	v_add_co_u32 v26, vcc_lo, v20, v27
	v_add_co_ci_u32_e32 v27, vcc_lo, v21, v28, vcc_lo
	global_store_b16 v[26:27], v29, off
	s_or_b32 exec_lo, exec_lo, s15
	s_and_b32 s16, s5, s8
	s_delay_alu instid0(SALU_CYCLE_1)
	s_and_saveexec_b32 s15, s16
	s_cbranch_execz .LBB224_262
.LBB224_284:
	v_cmp_ne_u32_e32 vcc_lo, 1, v72
	s_cbranch_vccnz .LBB224_286
; %bb.285:
	v_lshlrev_b64 v[26:27], 1, v[42:43]
	s_delay_alu instid0(VALU_DEP_1) | instskip(NEXT) | instid1(VALU_DEP_2)
	v_add_co_u32 v26, vcc_lo, v24, v26
	v_add_co_ci_u32_e32 v27, vcc_lo, v25, v27, vcc_lo
	flat_load_u16 v26, v[26:27]
	s_waitcnt vmcnt(0) lgkmcnt(0)
	v_mul_f16_e32 v26, s24, v26
	s_branch .LBB224_287
.LBB224_286:
	v_mov_b32_e32 v26, 0
.LBB224_287:
	v_pk_add_f16 v27, v10, v22
	v_pk_max_f16 v28, v66, v66
	v_pk_add_f16 v29, v11, v23
	s_delay_alu instid0(VALU_DEP_2) | instskip(NEXT) | instid1(VALU_DEP_1)
	v_pk_min_f16 v27, v28, v27
	v_pk_min_f16 v29, v27, v29
	v_lshlrev_b64 v[27:28], 1, v[42:43]
	s_delay_alu instid0(VALU_DEP_2) | instskip(NEXT) | instid1(VALU_DEP_1)
	v_lshrrev_b32_e32 v30, 16, v29
	v_min3_f16 v29, v26, v29, v30
	s_delay_alu instid0(VALU_DEP_3) | instskip(NEXT) | instid1(VALU_DEP_4)
	v_add_co_u32 v26, vcc_lo, v20, v27
	v_add_co_ci_u32_e32 v27, vcc_lo, v21, v28, vcc_lo
	global_store_b16 v[26:27], v29, off
	s_or_b32 exec_lo, exec_lo, s15
	s_and_b32 s16, s6, s8
	s_delay_alu instid0(SALU_CYCLE_1)
	s_and_saveexec_b32 s15, s16
	s_cbranch_execz .LBB224_263
.LBB224_288:
	v_cmp_ne_u32_e32 vcc_lo, 1, v72
	s_cbranch_vccnz .LBB224_290
; %bb.289:
	v_lshlrev_b64 v[26:27], 1, v[44:45]
	s_delay_alu instid0(VALU_DEP_1) | instskip(NEXT) | instid1(VALU_DEP_2)
	v_add_co_u32 v26, vcc_lo, v24, v26
	v_add_co_ci_u32_e32 v27, vcc_lo, v25, v27, vcc_lo
	flat_load_u16 v26, v[26:27]
	s_waitcnt vmcnt(0) lgkmcnt(0)
	v_mul_f16_e32 v26, s24, v26
	s_branch .LBB224_291
.LBB224_290:
	v_mov_b32_e32 v26, 0
.LBB224_291:
	v_pk_add_f16 v27, v0, v22
	v_pk_max_f16 v28, v65, v65
	v_pk_add_f16 v29, v1, v23
	s_delay_alu instid0(VALU_DEP_2) | instskip(NEXT) | instid1(VALU_DEP_1)
	v_pk_min_f16 v27, v28, v27
	v_pk_min_f16 v29, v27, v29
	v_lshlrev_b64 v[27:28], 1, v[44:45]
	s_delay_alu instid0(VALU_DEP_2) | instskip(NEXT) | instid1(VALU_DEP_1)
	v_lshrrev_b32_e32 v30, 16, v29
	v_min3_f16 v29, v26, v29, v30
	s_delay_alu instid0(VALU_DEP_3) | instskip(NEXT) | instid1(VALU_DEP_4)
	v_add_co_u32 v26, vcc_lo, v20, v27
	v_add_co_ci_u32_e32 v27, vcc_lo, v21, v28, vcc_lo
	global_store_b16 v[26:27], v29, off
	s_or_b32 exec_lo, exec_lo, s15
	s_and_b32 s15, s7, s8
	s_delay_alu instid0(SALU_CYCLE_1)
	s_and_saveexec_b32 s8, s15
	s_cbranch_execz .LBB224_296
.LBB224_292:
	v_cmp_ne_u32_e32 vcc_lo, 1, v72
	s_cbranch_vccnz .LBB224_294
; %bb.293:
	v_lshlrev_b64 v[26:27], 1, v[46:47]
	s_delay_alu instid0(VALU_DEP_1) | instskip(NEXT) | instid1(VALU_DEP_2)
	v_add_co_u32 v24, vcc_lo, v24, v26
	v_add_co_ci_u32_e32 v25, vcc_lo, v25, v27, vcc_lo
	flat_load_u16 v24, v[24:25]
	s_waitcnt vmcnt(0) lgkmcnt(0)
	v_mul_f16_e32 v24, s24, v24
	s_branch .LBB224_295
.LBB224_294:
	v_mov_b32_e32 v24, 0
.LBB224_295:
	v_pk_add_f16 v22, v2, v22
	v_pk_max_f16 v25, v64, v64
	v_pk_add_f16 v23, v3, v23
	s_delay_alu instid0(VALU_DEP_2) | instskip(NEXT) | instid1(VALU_DEP_1)
	v_pk_min_f16 v22, v25, v22
	v_pk_min_f16 v25, v22, v23
	v_lshlrev_b64 v[22:23], 1, v[46:47]
	s_delay_alu instid0(VALU_DEP_2) | instskip(NEXT) | instid1(VALU_DEP_2)
	v_lshrrev_b32_e32 v26, 16, v25
	v_add_co_u32 v20, vcc_lo, v20, v22
	s_delay_alu instid0(VALU_DEP_3) | instskip(NEXT) | instid1(VALU_DEP_3)
	v_add_co_ci_u32_e32 v21, vcc_lo, v21, v23, vcc_lo
	v_min3_f16 v24, v24, v25, v26
	global_store_b16 v[20:21], v24, off
.LBB224_296:
	s_or_b32 exec_lo, exec_lo, s8
	v_add_nc_u32_e32 v24, 0xc0, v80
	s_delay_alu instid0(VALU_DEP_1) | instskip(SKIP_2) | instid1(VALU_DEP_3)
	v_mad_i64_i32 v[20:21], null, v24, s14, 0
	v_mad_i64_i32 v[22:23], null, v24, s9, 0
	v_cmp_gt_i32_e64 s8, s17, v24
	v_lshlrev_b64 v[20:21], 1, v[20:21]
	s_delay_alu instid0(VALU_DEP_2) | instskip(NEXT) | instid1(VALU_DEP_3)
	s_and_b32 s16, s0, s8
	v_lshlrev_b64 v[24:25], 1, v[22:23]
	s_delay_alu instid0(VALU_DEP_2) | instskip(NEXT) | instid1(VALU_DEP_3)
	v_add_co_u32 v22, vcc_lo, s10, v20
	v_add_co_ci_u32_e32 v23, vcc_lo, s11, v21, vcc_lo
	s_delay_alu instid0(VALU_DEP_3) | instskip(NEXT) | instid1(VALU_DEP_4)
	v_add_co_u32 v20, vcc_lo, s12, v24
	v_add_co_ci_u32_e32 v21, vcc_lo, s13, v25, vcc_lo
	s_and_saveexec_b32 s15, s16
	s_cbranch_execnz .LBB224_304
; %bb.297:
	s_or_b32 exec_lo, exec_lo, s15
	s_and_b32 s16, s1, s8
	s_delay_alu instid0(SALU_CYCLE_1)
	s_and_saveexec_b32 s15, s16
	s_cbranch_execnz .LBB224_308
.LBB224_298:
	s_or_b32 exec_lo, exec_lo, s15
	s_and_b32 s16, s2, s8
	s_delay_alu instid0(SALU_CYCLE_1)
	s_and_saveexec_b32 s15, s16
	s_cbranch_execnz .LBB224_312
.LBB224_299:
	s_or_b32 exec_lo, exec_lo, s15
	s_and_b32 s16, s3, s8
	s_delay_alu instid0(SALU_CYCLE_1)
	s_and_saveexec_b32 s15, s16
	s_cbranch_execnz .LBB224_316
.LBB224_300:
	s_or_b32 exec_lo, exec_lo, s15
	s_and_b32 s16, s4, s8
	s_delay_alu instid0(SALU_CYCLE_1)
	s_and_saveexec_b32 s15, s16
	s_cbranch_execnz .LBB224_320
.LBB224_301:
	s_or_b32 exec_lo, exec_lo, s15
	s_and_b32 s16, s5, s8
	s_delay_alu instid0(SALU_CYCLE_1)
	s_and_saveexec_b32 s15, s16
	s_cbranch_execnz .LBB224_324
.LBB224_302:
	s_or_b32 exec_lo, exec_lo, s15
	s_and_b32 s16, s6, s8
	s_delay_alu instid0(SALU_CYCLE_1)
	s_and_saveexec_b32 s15, s16
	s_cbranch_execnz .LBB224_328
.LBB224_303:
	s_or_b32 exec_lo, exec_lo, s15
	s_and_b32 s15, s7, s8
	s_delay_alu instid0(SALU_CYCLE_1)
	s_and_saveexec_b32 s8, s15
	s_cbranch_execnz .LBB224_332
	s_branch .LBB224_336
.LBB224_304:
	v_cmp_ne_u32_e32 vcc_lo, 1, v72
	s_cbranch_vccnz .LBB224_306
; %bb.305:
	v_lshlrev_b64 v[24:25], 1, v[32:33]
	s_delay_alu instid0(VALU_DEP_1) | instskip(NEXT) | instid1(VALU_DEP_2)
	v_add_co_u32 v24, vcc_lo, v22, v24
	v_add_co_ci_u32_e32 v25, vcc_lo, v23, v25, vcc_lo
	flat_load_u16 v24, v[24:25]
	s_waitcnt vmcnt(0) lgkmcnt(0)
	v_mul_f16_e32 v24, s24, v24
	s_branch .LBB224_307
.LBB224_306:
	v_mov_b32_e32 v24, 0
.LBB224_307:
	v_pk_add_f16 v25, v16, v4
	v_pk_max_f16 v26, v63, v63
	v_pk_add_f16 v27, v17, v5
	s_delay_alu instid0(VALU_DEP_2) | instskip(NEXT) | instid1(VALU_DEP_1)
	v_pk_min_f16 v25, v26, v25
	v_pk_min_f16 v27, v25, v27
	v_lshlrev_b64 v[25:26], 1, v[32:33]
	s_delay_alu instid0(VALU_DEP_2) | instskip(NEXT) | instid1(VALU_DEP_1)
	v_lshrrev_b32_e32 v28, 16, v27
	v_min3_f16 v27, v24, v27, v28
	s_delay_alu instid0(VALU_DEP_3) | instskip(NEXT) | instid1(VALU_DEP_4)
	v_add_co_u32 v24, vcc_lo, v20, v25
	v_add_co_ci_u32_e32 v25, vcc_lo, v21, v26, vcc_lo
	global_store_b16 v[24:25], v27, off
	s_or_b32 exec_lo, exec_lo, s15
	s_and_b32 s16, s1, s8
	s_delay_alu instid0(SALU_CYCLE_1)
	s_and_saveexec_b32 s15, s16
	s_cbranch_execz .LBB224_298
.LBB224_308:
	v_cmp_ne_u32_e32 vcc_lo, 1, v72
	s_cbranch_vccnz .LBB224_310
; %bb.309:
	v_lshlrev_b64 v[24:25], 1, v[34:35]
	s_delay_alu instid0(VALU_DEP_1) | instskip(NEXT) | instid1(VALU_DEP_2)
	v_add_co_u32 v24, vcc_lo, v22, v24
	v_add_co_ci_u32_e32 v25, vcc_lo, v23, v25, vcc_lo
	flat_load_u16 v24, v[24:25]
	s_waitcnt vmcnt(0) lgkmcnt(0)
	v_mul_f16_e32 v24, s24, v24
	s_branch .LBB224_311
.LBB224_310:
	v_mov_b32_e32 v24, 0
.LBB224_311:
	v_pk_add_f16 v25, v18, v4
	v_pk_max_f16 v26, v62, v62
	v_pk_add_f16 v27, v19, v5
	s_delay_alu instid0(VALU_DEP_2) | instskip(NEXT) | instid1(VALU_DEP_1)
	v_pk_min_f16 v25, v26, v25
	v_pk_min_f16 v27, v25, v27
	v_lshlrev_b64 v[25:26], 1, v[34:35]
	s_delay_alu instid0(VALU_DEP_2) | instskip(NEXT) | instid1(VALU_DEP_1)
	v_lshrrev_b32_e32 v28, 16, v27
	v_min3_f16 v27, v24, v27, v28
	s_delay_alu instid0(VALU_DEP_3) | instskip(NEXT) | instid1(VALU_DEP_4)
	v_add_co_u32 v24, vcc_lo, v20, v25
	v_add_co_ci_u32_e32 v25, vcc_lo, v21, v26, vcc_lo
	global_store_b16 v[24:25], v27, off
	s_or_b32 exec_lo, exec_lo, s15
	s_and_b32 s16, s2, s8
	s_delay_alu instid0(SALU_CYCLE_1)
	s_and_saveexec_b32 s15, s16
	s_cbranch_execz .LBB224_299
.LBB224_312:
	v_cmp_ne_u32_e32 vcc_lo, 1, v72
	s_cbranch_vccnz .LBB224_314
; %bb.313:
	v_lshlrev_b64 v[24:25], 1, v[36:37]
	s_delay_alu instid0(VALU_DEP_1) | instskip(NEXT) | instid1(VALU_DEP_2)
	v_add_co_u32 v24, vcc_lo, v22, v24
	v_add_co_ci_u32_e32 v25, vcc_lo, v23, v25, vcc_lo
	flat_load_u16 v24, v[24:25]
	s_waitcnt vmcnt(0) lgkmcnt(0)
	v_mul_f16_e32 v24, s24, v24
	s_branch .LBB224_315
.LBB224_314:
	v_mov_b32_e32 v24, 0
.LBB224_315:
	v_pk_add_f16 v25, v12, v4
	v_pk_max_f16 v26, v61, v61
	v_pk_add_f16 v27, v13, v5
	s_delay_alu instid0(VALU_DEP_2) | instskip(NEXT) | instid1(VALU_DEP_1)
	v_pk_min_f16 v25, v26, v25
	v_pk_min_f16 v27, v25, v27
	v_lshlrev_b64 v[25:26], 1, v[36:37]
	s_delay_alu instid0(VALU_DEP_2) | instskip(NEXT) | instid1(VALU_DEP_1)
	v_lshrrev_b32_e32 v28, 16, v27
	v_min3_f16 v27, v24, v27, v28
	s_delay_alu instid0(VALU_DEP_3) | instskip(NEXT) | instid1(VALU_DEP_4)
	v_add_co_u32 v24, vcc_lo, v20, v25
	v_add_co_ci_u32_e32 v25, vcc_lo, v21, v26, vcc_lo
	global_store_b16 v[24:25], v27, off
	s_or_b32 exec_lo, exec_lo, s15
	s_and_b32 s16, s3, s8
	s_delay_alu instid0(SALU_CYCLE_1)
	s_and_saveexec_b32 s15, s16
	s_cbranch_execz .LBB224_300
.LBB224_316:
	v_cmp_ne_u32_e32 vcc_lo, 1, v72
	s_cbranch_vccnz .LBB224_318
; %bb.317:
	v_lshlrev_b64 v[24:25], 1, v[38:39]
	s_delay_alu instid0(VALU_DEP_1) | instskip(NEXT) | instid1(VALU_DEP_2)
	v_add_co_u32 v24, vcc_lo, v22, v24
	v_add_co_ci_u32_e32 v25, vcc_lo, v23, v25, vcc_lo
	flat_load_u16 v24, v[24:25]
	s_waitcnt vmcnt(0) lgkmcnt(0)
	v_mul_f16_e32 v24, s24, v24
	s_branch .LBB224_319
.LBB224_318:
	v_mov_b32_e32 v24, 0
.LBB224_319:
	v_pk_add_f16 v25, v14, v4
	v_pk_max_f16 v26, v60, v60
	v_pk_add_f16 v27, v15, v5
	s_delay_alu instid0(VALU_DEP_2) | instskip(NEXT) | instid1(VALU_DEP_1)
	v_pk_min_f16 v25, v26, v25
	v_pk_min_f16 v27, v25, v27
	v_lshlrev_b64 v[25:26], 1, v[38:39]
	s_delay_alu instid0(VALU_DEP_2) | instskip(NEXT) | instid1(VALU_DEP_1)
	v_lshrrev_b32_e32 v28, 16, v27
	v_min3_f16 v27, v24, v27, v28
	s_delay_alu instid0(VALU_DEP_3) | instskip(NEXT) | instid1(VALU_DEP_4)
	v_add_co_u32 v24, vcc_lo, v20, v25
	v_add_co_ci_u32_e32 v25, vcc_lo, v21, v26, vcc_lo
	global_store_b16 v[24:25], v27, off
	s_or_b32 exec_lo, exec_lo, s15
	s_and_b32 s16, s4, s8
	s_delay_alu instid0(SALU_CYCLE_1)
	s_and_saveexec_b32 s15, s16
	s_cbranch_execz .LBB224_301
.LBB224_320:
	v_cmp_ne_u32_e32 vcc_lo, 1, v72
	s_cbranch_vccnz .LBB224_322
; %bb.321:
	v_lshlrev_b64 v[24:25], 1, v[40:41]
	s_delay_alu instid0(VALU_DEP_1) | instskip(NEXT) | instid1(VALU_DEP_2)
	v_add_co_u32 v24, vcc_lo, v22, v24
	v_add_co_ci_u32_e32 v25, vcc_lo, v23, v25, vcc_lo
	flat_load_u16 v24, v[24:25]
	s_waitcnt vmcnt(0) lgkmcnt(0)
	v_mul_f16_e32 v24, s24, v24
	s_branch .LBB224_323
.LBB224_322:
	v_mov_b32_e32 v24, 0
.LBB224_323:
	v_pk_add_f16 v25, v8, v4
	v_pk_max_f16 v26, v59, v59
	v_pk_add_f16 v27, v9, v5
	s_delay_alu instid0(VALU_DEP_2) | instskip(NEXT) | instid1(VALU_DEP_1)
	v_pk_min_f16 v25, v26, v25
	v_pk_min_f16 v27, v25, v27
	v_lshlrev_b64 v[25:26], 1, v[40:41]
	s_delay_alu instid0(VALU_DEP_2) | instskip(NEXT) | instid1(VALU_DEP_1)
	v_lshrrev_b32_e32 v28, 16, v27
	v_min3_f16 v27, v24, v27, v28
	s_delay_alu instid0(VALU_DEP_3) | instskip(NEXT) | instid1(VALU_DEP_4)
	v_add_co_u32 v24, vcc_lo, v20, v25
	v_add_co_ci_u32_e32 v25, vcc_lo, v21, v26, vcc_lo
	global_store_b16 v[24:25], v27, off
	s_or_b32 exec_lo, exec_lo, s15
	s_and_b32 s16, s5, s8
	s_delay_alu instid0(SALU_CYCLE_1)
	s_and_saveexec_b32 s15, s16
	s_cbranch_execz .LBB224_302
.LBB224_324:
	v_cmp_ne_u32_e32 vcc_lo, 1, v72
	s_cbranch_vccnz .LBB224_326
; %bb.325:
	v_lshlrev_b64 v[24:25], 1, v[42:43]
	s_delay_alu instid0(VALU_DEP_1) | instskip(NEXT) | instid1(VALU_DEP_2)
	v_add_co_u32 v24, vcc_lo, v22, v24
	v_add_co_ci_u32_e32 v25, vcc_lo, v23, v25, vcc_lo
	flat_load_u16 v24, v[24:25]
	s_waitcnt vmcnt(0) lgkmcnt(0)
	v_mul_f16_e32 v24, s24, v24
	s_branch .LBB224_327
.LBB224_326:
	v_mov_b32_e32 v24, 0
.LBB224_327:
	v_pk_add_f16 v25, v10, v4
	v_pk_max_f16 v26, v58, v58
	v_pk_add_f16 v27, v11, v5
	s_delay_alu instid0(VALU_DEP_2) | instskip(NEXT) | instid1(VALU_DEP_1)
	v_pk_min_f16 v25, v26, v25
	v_pk_min_f16 v27, v25, v27
	v_lshlrev_b64 v[25:26], 1, v[42:43]
	s_delay_alu instid0(VALU_DEP_2) | instskip(NEXT) | instid1(VALU_DEP_1)
	v_lshrrev_b32_e32 v28, 16, v27
	v_min3_f16 v27, v24, v27, v28
	s_delay_alu instid0(VALU_DEP_3) | instskip(NEXT) | instid1(VALU_DEP_4)
	v_add_co_u32 v24, vcc_lo, v20, v25
	v_add_co_ci_u32_e32 v25, vcc_lo, v21, v26, vcc_lo
	global_store_b16 v[24:25], v27, off
	s_or_b32 exec_lo, exec_lo, s15
	s_and_b32 s16, s6, s8
	s_delay_alu instid0(SALU_CYCLE_1)
	s_and_saveexec_b32 s15, s16
	s_cbranch_execz .LBB224_303
.LBB224_328:
	v_cmp_ne_u32_e32 vcc_lo, 1, v72
	s_cbranch_vccnz .LBB224_330
; %bb.329:
	v_lshlrev_b64 v[24:25], 1, v[44:45]
	s_delay_alu instid0(VALU_DEP_1) | instskip(NEXT) | instid1(VALU_DEP_2)
	v_add_co_u32 v24, vcc_lo, v22, v24
	v_add_co_ci_u32_e32 v25, vcc_lo, v23, v25, vcc_lo
	flat_load_u16 v24, v[24:25]
	s_waitcnt vmcnt(0) lgkmcnt(0)
	v_mul_f16_e32 v24, s24, v24
	s_branch .LBB224_331
.LBB224_330:
	v_mov_b32_e32 v24, 0
.LBB224_331:
	v_pk_add_f16 v25, v0, v4
	v_pk_max_f16 v26, v57, v57
	v_pk_add_f16 v27, v1, v5
	s_delay_alu instid0(VALU_DEP_2) | instskip(NEXT) | instid1(VALU_DEP_1)
	v_pk_min_f16 v25, v26, v25
	v_pk_min_f16 v27, v25, v27
	v_lshlrev_b64 v[25:26], 1, v[44:45]
	s_delay_alu instid0(VALU_DEP_2) | instskip(NEXT) | instid1(VALU_DEP_1)
	v_lshrrev_b32_e32 v28, 16, v27
	v_min3_f16 v27, v24, v27, v28
	s_delay_alu instid0(VALU_DEP_3) | instskip(NEXT) | instid1(VALU_DEP_4)
	v_add_co_u32 v24, vcc_lo, v20, v25
	v_add_co_ci_u32_e32 v25, vcc_lo, v21, v26, vcc_lo
	global_store_b16 v[24:25], v27, off
	s_or_b32 exec_lo, exec_lo, s15
	s_and_b32 s15, s7, s8
	s_delay_alu instid0(SALU_CYCLE_1)
	s_and_saveexec_b32 s8, s15
	s_cbranch_execz .LBB224_336
.LBB224_332:
	v_cmp_ne_u32_e32 vcc_lo, 1, v72
	s_cbranch_vccnz .LBB224_334
; %bb.333:
	v_lshlrev_b64 v[24:25], 1, v[46:47]
	s_delay_alu instid0(VALU_DEP_1) | instskip(NEXT) | instid1(VALU_DEP_2)
	v_add_co_u32 v22, vcc_lo, v22, v24
	v_add_co_ci_u32_e32 v23, vcc_lo, v23, v25, vcc_lo
	flat_load_u16 v22, v[22:23]
	s_waitcnt vmcnt(0) lgkmcnt(0)
	v_mul_f16_e32 v22, s24, v22
	s_branch .LBB224_335
.LBB224_334:
	v_mov_b32_e32 v22, 0
.LBB224_335:
	v_pk_add_f16 v4, v2, v4
	v_pk_max_f16 v23, v56, v56
	v_pk_add_f16 v5, v3, v5
	s_delay_alu instid0(VALU_DEP_2) | instskip(NEXT) | instid1(VALU_DEP_1)
	v_pk_min_f16 v4, v23, v4
	v_pk_min_f16 v23, v4, v5
	v_lshlrev_b64 v[4:5], 1, v[46:47]
	s_delay_alu instid0(VALU_DEP_2) | instskip(NEXT) | instid1(VALU_DEP_2)
	v_lshrrev_b32_e32 v24, 16, v23
	v_add_co_u32 v4, vcc_lo, v20, v4
	s_delay_alu instid0(VALU_DEP_3) | instskip(NEXT) | instid1(VALU_DEP_3)
	v_add_co_ci_u32_e32 v5, vcc_lo, v21, v5, vcc_lo
	v_min3_f16 v22, v22, v23, v24
	global_store_b16 v[4:5], v22, off
.LBB224_336:
	s_or_b32 exec_lo, exec_lo, s8
	v_add_nc_u32_e32 v22, 0xe0, v80
	s_delay_alu instid0(VALU_DEP_1) | instskip(SKIP_2) | instid1(VALU_DEP_3)
	v_mad_i64_i32 v[4:5], null, v22, s14, 0
	v_mad_i64_i32 v[20:21], null, v22, s9, 0
	v_cmp_gt_i32_e64 s8, s17, v22
	v_lshlrev_b64 v[4:5], 1, v[4:5]
	s_delay_alu instid0(VALU_DEP_2) | instskip(NEXT) | instid1(VALU_DEP_3)
	s_and_b32 s9, s0, s8
	v_lshlrev_b64 v[20:21], 1, v[20:21]
	s_delay_alu instid0(VALU_DEP_2) | instskip(NEXT) | instid1(VALU_DEP_3)
	v_add_co_u32 v22, vcc_lo, s10, v4
	v_add_co_ci_u32_e32 v23, vcc_lo, s11, v5, vcc_lo
	s_delay_alu instid0(VALU_DEP_3) | instskip(NEXT) | instid1(VALU_DEP_4)
	v_add_co_u32 v20, vcc_lo, s12, v20
	v_add_co_ci_u32_e32 v21, vcc_lo, s13, v21, vcc_lo
	s_and_saveexec_b32 s0, s9
	s_cbranch_execnz .LBB224_345
; %bb.337:
	s_or_b32 exec_lo, exec_lo, s0
	s_and_b32 s1, s1, s8
	s_delay_alu instid0(SALU_CYCLE_1)
	s_and_saveexec_b32 s0, s1
	s_cbranch_execnz .LBB224_349
.LBB224_338:
	s_or_b32 exec_lo, exec_lo, s0
	s_and_b32 s1, s2, s8
	s_delay_alu instid0(SALU_CYCLE_1)
	s_and_saveexec_b32 s0, s1
	s_cbranch_execnz .LBB224_353
.LBB224_339:
	s_or_b32 exec_lo, exec_lo, s0
	s_and_b32 s1, s3, s8
	s_delay_alu instid0(SALU_CYCLE_1)
	s_and_saveexec_b32 s0, s1
	s_cbranch_execnz .LBB224_357
.LBB224_340:
	s_or_b32 exec_lo, exec_lo, s0
	s_and_b32 s1, s4, s8
	s_delay_alu instid0(SALU_CYCLE_1)
	s_and_saveexec_b32 s0, s1
	s_cbranch_execnz .LBB224_361
.LBB224_341:
	s_or_b32 exec_lo, exec_lo, s0
	s_and_b32 s1, s5, s8
	s_delay_alu instid0(SALU_CYCLE_1)
	s_and_saveexec_b32 s0, s1
	s_cbranch_execnz .LBB224_365
.LBB224_342:
	s_or_b32 exec_lo, exec_lo, s0
	s_and_b32 s1, s6, s8
	s_delay_alu instid0(SALU_CYCLE_1)
	s_and_saveexec_b32 s0, s1
	s_cbranch_execnz .LBB224_369
.LBB224_343:
	s_or_b32 exec_lo, exec_lo, s0
	s_and_b32 s0, s7, s8
	s_delay_alu instid0(SALU_CYCLE_1)
	s_and_saveexec_b32 s1, s0
	s_cbranch_execnz .LBB224_373
.LBB224_344:
	s_nop 0
	s_sendmsg sendmsg(MSG_DEALLOC_VGPRS)
	s_endpgm
.LBB224_345:
	v_cmp_ne_u32_e32 vcc_lo, 1, v72
	v_lshlrev_b64 v[4:5], 1, v[32:33]
	s_cbranch_vccnz .LBB224_347
; %bb.346:
	s_delay_alu instid0(VALU_DEP_1) | instskip(NEXT) | instid1(VALU_DEP_2)
	v_add_co_u32 v24, vcc_lo, v22, v4
	v_add_co_ci_u32_e32 v25, vcc_lo, v23, v5, vcc_lo
	flat_load_u16 v24, v[24:25]
	s_waitcnt vmcnt(0) lgkmcnt(0)
	v_mul_f16_e32 v24, s24, v24
	s_branch .LBB224_348
.LBB224_347:
	v_mov_b32_e32 v24, 0
.LBB224_348:
	v_pk_add_f16 v16, v16, v6
	v_pk_max_f16 v25, v55, v55
	v_pk_add_f16 v17, v17, v7
	v_add_co_u32 v4, vcc_lo, v20, v4
	v_add_co_ci_u32_e32 v5, vcc_lo, v21, v5, vcc_lo
	s_delay_alu instid0(VALU_DEP_4) | instskip(NEXT) | instid1(VALU_DEP_1)
	v_pk_min_f16 v16, v25, v16
	v_pk_min_f16 v16, v16, v17
	s_delay_alu instid0(VALU_DEP_1) | instskip(NEXT) | instid1(VALU_DEP_1)
	v_lshrrev_b32_e32 v17, 16, v16
	v_min3_f16 v16, v24, v16, v17
	global_store_b16 v[4:5], v16, off
	s_or_b32 exec_lo, exec_lo, s0
	s_and_b32 s1, s1, s8
	s_delay_alu instid0(SALU_CYCLE_1)
	s_and_saveexec_b32 s0, s1
	s_cbranch_execz .LBB224_338
.LBB224_349:
	v_cmp_ne_u32_e32 vcc_lo, 1, v72
	v_lshlrev_b64 v[4:5], 1, v[34:35]
	s_cbranch_vccnz .LBB224_351
; %bb.350:
	s_delay_alu instid0(VALU_DEP_1) | instskip(NEXT) | instid1(VALU_DEP_2)
	v_add_co_u32 v16, vcc_lo, v22, v4
	v_add_co_ci_u32_e32 v17, vcc_lo, v23, v5, vcc_lo
	flat_load_u16 v16, v[16:17]
	s_waitcnt vmcnt(0) lgkmcnt(0)
	v_mul_f16_e32 v16, s24, v16
	s_branch .LBB224_352
.LBB224_351:
	v_mov_b32_e32 v16, 0
.LBB224_352:
	v_pk_add_f16 v17, v18, v6
	v_pk_max_f16 v18, v54, v54
	v_pk_add_f16 v19, v19, v7
	v_add_co_u32 v4, vcc_lo, v20, v4
	v_add_co_ci_u32_e32 v5, vcc_lo, v21, v5, vcc_lo
	s_delay_alu instid0(VALU_DEP_4) | instskip(NEXT) | instid1(VALU_DEP_1)
	v_pk_min_f16 v17, v18, v17
	v_pk_min_f16 v17, v17, v19
	s_delay_alu instid0(VALU_DEP_1) | instskip(NEXT) | instid1(VALU_DEP_1)
	v_lshrrev_b32_e32 v18, 16, v17
	v_min3_f16 v16, v16, v17, v18
	global_store_b16 v[4:5], v16, off
	s_or_b32 exec_lo, exec_lo, s0
	s_and_b32 s1, s2, s8
	s_delay_alu instid0(SALU_CYCLE_1)
	s_and_saveexec_b32 s0, s1
	s_cbranch_execz .LBB224_339
.LBB224_353:
	v_cmp_ne_u32_e32 vcc_lo, 1, v72
	v_lshlrev_b64 v[4:5], 1, v[36:37]
	s_cbranch_vccnz .LBB224_355
; %bb.354:
	s_delay_alu instid0(VALU_DEP_1) | instskip(NEXT) | instid1(VALU_DEP_2)
	v_add_co_u32 v16, vcc_lo, v22, v4
	v_add_co_ci_u32_e32 v17, vcc_lo, v23, v5, vcc_lo
	flat_load_u16 v16, v[16:17]
	s_waitcnt vmcnt(0) lgkmcnt(0)
	v_mul_f16_e32 v16, s24, v16
	s_branch .LBB224_356
.LBB224_355:
	v_mov_b32_e32 v16, 0
.LBB224_356:
	v_pk_add_f16 v12, v12, v6
	v_pk_max_f16 v17, v53, v53
	v_pk_add_f16 v13, v13, v7
	v_add_co_u32 v4, vcc_lo, v20, v4
	v_add_co_ci_u32_e32 v5, vcc_lo, v21, v5, vcc_lo
	s_delay_alu instid0(VALU_DEP_4) | instskip(NEXT) | instid1(VALU_DEP_1)
	v_pk_min_f16 v12, v17, v12
	v_pk_min_f16 v12, v12, v13
	s_delay_alu instid0(VALU_DEP_1) | instskip(NEXT) | instid1(VALU_DEP_1)
	v_lshrrev_b32_e32 v13, 16, v12
	v_min3_f16 v12, v16, v12, v13
	global_store_b16 v[4:5], v12, off
	s_or_b32 exec_lo, exec_lo, s0
	s_and_b32 s1, s3, s8
	s_delay_alu instid0(SALU_CYCLE_1)
	s_and_saveexec_b32 s0, s1
	s_cbranch_execz .LBB224_340
.LBB224_357:
	v_cmp_ne_u32_e32 vcc_lo, 1, v72
	v_lshlrev_b64 v[4:5], 1, v[38:39]
	s_cbranch_vccnz .LBB224_359
; %bb.358:
	s_delay_alu instid0(VALU_DEP_1) | instskip(NEXT) | instid1(VALU_DEP_2)
	v_add_co_u32 v12, vcc_lo, v22, v4
	v_add_co_ci_u32_e32 v13, vcc_lo, v23, v5, vcc_lo
	flat_load_u16 v12, v[12:13]
	s_waitcnt vmcnt(0) lgkmcnt(0)
	v_mul_f16_e32 v12, s24, v12
	s_branch .LBB224_360
.LBB224_359:
	v_mov_b32_e32 v12, 0
.LBB224_360:
	v_pk_add_f16 v13, v14, v6
	v_pk_max_f16 v14, v52, v52
	v_pk_add_f16 v15, v15, v7
	v_add_co_u32 v4, vcc_lo, v20, v4
	v_add_co_ci_u32_e32 v5, vcc_lo, v21, v5, vcc_lo
	s_delay_alu instid0(VALU_DEP_4) | instskip(NEXT) | instid1(VALU_DEP_1)
	v_pk_min_f16 v13, v14, v13
	v_pk_min_f16 v13, v13, v15
	s_delay_alu instid0(VALU_DEP_1) | instskip(NEXT) | instid1(VALU_DEP_1)
	v_lshrrev_b32_e32 v14, 16, v13
	v_min3_f16 v12, v12, v13, v14
	global_store_b16 v[4:5], v12, off
	s_or_b32 exec_lo, exec_lo, s0
	s_and_b32 s1, s4, s8
	s_delay_alu instid0(SALU_CYCLE_1)
	s_and_saveexec_b32 s0, s1
	s_cbranch_execz .LBB224_341
.LBB224_361:
	v_cmp_ne_u32_e32 vcc_lo, 1, v72
	v_lshlrev_b64 v[4:5], 1, v[40:41]
	s_cbranch_vccnz .LBB224_363
; %bb.362:
	s_delay_alu instid0(VALU_DEP_1) | instskip(NEXT) | instid1(VALU_DEP_2)
	v_add_co_u32 v12, vcc_lo, v22, v4
	v_add_co_ci_u32_e32 v13, vcc_lo, v23, v5, vcc_lo
	flat_load_u16 v12, v[12:13]
	s_waitcnt vmcnt(0) lgkmcnt(0)
	v_mul_f16_e32 v12, s24, v12
	s_branch .LBB224_364
.LBB224_363:
	v_mov_b32_e32 v12, 0
.LBB224_364:
	v_pk_add_f16 v8, v8, v6
	v_pk_max_f16 v13, v51, v51
	v_pk_add_f16 v9, v9, v7
	v_add_co_u32 v4, vcc_lo, v20, v4
	v_add_co_ci_u32_e32 v5, vcc_lo, v21, v5, vcc_lo
	s_delay_alu instid0(VALU_DEP_4) | instskip(NEXT) | instid1(VALU_DEP_1)
	v_pk_min_f16 v8, v13, v8
	v_pk_min_f16 v8, v8, v9
	s_delay_alu instid0(VALU_DEP_1) | instskip(NEXT) | instid1(VALU_DEP_1)
	v_lshrrev_b32_e32 v9, 16, v8
	v_min3_f16 v8, v12, v8, v9
	global_store_b16 v[4:5], v8, off
	s_or_b32 exec_lo, exec_lo, s0
	s_and_b32 s1, s5, s8
	s_delay_alu instid0(SALU_CYCLE_1)
	s_and_saveexec_b32 s0, s1
	s_cbranch_execz .LBB224_342
.LBB224_365:
	v_cmp_ne_u32_e32 vcc_lo, 1, v72
	v_lshlrev_b64 v[4:5], 1, v[42:43]
	s_cbranch_vccnz .LBB224_367
; %bb.366:
	s_delay_alu instid0(VALU_DEP_1) | instskip(NEXT) | instid1(VALU_DEP_2)
	v_add_co_u32 v8, vcc_lo, v22, v4
	v_add_co_ci_u32_e32 v9, vcc_lo, v23, v5, vcc_lo
	flat_load_u16 v8, v[8:9]
	s_waitcnt vmcnt(0) lgkmcnt(0)
	v_mul_f16_e32 v8, s24, v8
	s_branch .LBB224_368
.LBB224_367:
	v_mov_b32_e32 v8, 0
.LBB224_368:
	v_pk_add_f16 v9, v10, v6
	v_pk_max_f16 v10, v50, v50
	v_pk_add_f16 v11, v11, v7
	v_add_co_u32 v4, vcc_lo, v20, v4
	v_add_co_ci_u32_e32 v5, vcc_lo, v21, v5, vcc_lo
	s_delay_alu instid0(VALU_DEP_4) | instskip(NEXT) | instid1(VALU_DEP_1)
	v_pk_min_f16 v9, v10, v9
	v_pk_min_f16 v9, v9, v11
	s_delay_alu instid0(VALU_DEP_1) | instskip(NEXT) | instid1(VALU_DEP_1)
	v_lshrrev_b32_e32 v10, 16, v9
	v_min3_f16 v8, v8, v9, v10
	global_store_b16 v[4:5], v8, off
	s_or_b32 exec_lo, exec_lo, s0
	s_and_b32 s1, s6, s8
	s_delay_alu instid0(SALU_CYCLE_1)
	s_and_saveexec_b32 s0, s1
	s_cbranch_execz .LBB224_343
.LBB224_369:
	v_cmp_ne_u32_e32 vcc_lo, 1, v72
	v_lshlrev_b64 v[4:5], 1, v[44:45]
	s_cbranch_vccnz .LBB224_371
; %bb.370:
	s_delay_alu instid0(VALU_DEP_1) | instskip(NEXT) | instid1(VALU_DEP_2)
	v_add_co_u32 v8, vcc_lo, v22, v4
	v_add_co_ci_u32_e32 v9, vcc_lo, v23, v5, vcc_lo
	flat_load_u16 v8, v[8:9]
	s_waitcnt vmcnt(0) lgkmcnt(0)
	v_mul_f16_e32 v8, s24, v8
	s_branch .LBB224_372
.LBB224_371:
	v_mov_b32_e32 v8, 0
.LBB224_372:
	v_pk_add_f16 v0, v0, v6
	v_pk_max_f16 v9, v49, v49
	v_pk_add_f16 v1, v1, v7
	s_delay_alu instid0(VALU_DEP_2) | instskip(NEXT) | instid1(VALU_DEP_1)
	v_pk_min_f16 v0, v9, v0
	v_pk_min_f16 v0, v0, v1
	s_delay_alu instid0(VALU_DEP_1) | instskip(NEXT) | instid1(VALU_DEP_1)
	v_lshrrev_b32_e32 v1, 16, v0
	v_min3_f16 v8, v8, v0, v1
	v_add_co_u32 v0, vcc_lo, v20, v4
	v_add_co_ci_u32_e32 v1, vcc_lo, v21, v5, vcc_lo
	global_store_b16 v[0:1], v8, off
	s_or_b32 exec_lo, exec_lo, s0
	s_and_b32 s0, s7, s8
	s_delay_alu instid0(SALU_CYCLE_1)
	s_and_saveexec_b32 s1, s0
	s_cbranch_execz .LBB224_344
.LBB224_373:
	v_cmp_ne_u32_e32 vcc_lo, 1, v72
	v_lshlrev_b64 v[0:1], 1, v[46:47]
	s_cbranch_vccnz .LBB224_375
; %bb.374:
	s_delay_alu instid0(VALU_DEP_1) | instskip(NEXT) | instid1(VALU_DEP_2)
	v_add_co_u32 v4, vcc_lo, v22, v0
	v_add_co_ci_u32_e32 v5, vcc_lo, v23, v1, vcc_lo
	flat_load_u16 v4, v[4:5]
	s_waitcnt vmcnt(0) lgkmcnt(0)
	v_mul_f16_e32 v4, s24, v4
	s_branch .LBB224_376
.LBB224_375:
	v_mov_b32_e32 v4, 0
.LBB224_376:
	v_pk_add_f16 v2, v2, v6
	v_pk_max_f16 v5, v48, v48
	v_pk_add_f16 v3, v3, v7
	v_add_co_u32 v0, vcc_lo, v20, v0
	v_add_co_ci_u32_e32 v1, vcc_lo, v21, v1, vcc_lo
	s_delay_alu instid0(VALU_DEP_4) | instskip(NEXT) | instid1(VALU_DEP_1)
	v_pk_min_f16 v2, v5, v2
	v_pk_min_f16 v2, v2, v3
	s_delay_alu instid0(VALU_DEP_1) | instskip(NEXT) | instid1(VALU_DEP_1)
	v_lshrrev_b32_e32 v3, 16, v2
	v_min3_f16 v2, v4, v2, v3
	global_store_b16 v[0:1], v2, off
	s_nop 0
	s_sendmsg sendmsg(MSG_DEALLOC_VGPRS)
	s_endpgm
	.section	.rodata,"a",@progbits
	.p2align	6, 0x0
	.amdhsa_kernel _ZN12_GLOBAL__N_120geam_min_plus_kernelIDF16_Dv2_DF16_S1_Li8ELi32ELi64ELi256ELi4ELi64ELi4ELi64ELi4ELc78ELc84ELb0ELb1ELb1EDF16_KPKDF16_KPDF16_EEviiiT16_PT17_ilS9_ilS7_S9_ilPT18_ili26rocblas_geam_ex_operation_
		.amdhsa_group_segment_fixed_size 5120
		.amdhsa_private_segment_fixed_size 0
		.amdhsa_kernarg_size 128
		.amdhsa_user_sgpr_count 14
		.amdhsa_user_sgpr_dispatch_ptr 0
		.amdhsa_user_sgpr_queue_ptr 0
		.amdhsa_user_sgpr_kernarg_segment_ptr 1
		.amdhsa_user_sgpr_dispatch_id 0
		.amdhsa_user_sgpr_private_segment_size 0
		.amdhsa_wavefront_size32 1
		.amdhsa_uses_dynamic_stack 0
		.amdhsa_enable_private_segment 0
		.amdhsa_system_sgpr_workgroup_id_x 1
		.amdhsa_system_sgpr_workgroup_id_y 0
		.amdhsa_system_sgpr_workgroup_id_z 1
		.amdhsa_system_sgpr_workgroup_info 0
		.amdhsa_system_vgpr_workitem_id 1
		.amdhsa_next_free_vgpr 158
		.amdhsa_next_free_sgpr 32
		.amdhsa_reserve_vcc 1
		.amdhsa_float_round_mode_32 0
		.amdhsa_float_round_mode_16_64 0
		.amdhsa_float_denorm_mode_32 3
		.amdhsa_float_denorm_mode_16_64 3
		.amdhsa_dx10_clamp 1
		.amdhsa_ieee_mode 1
		.amdhsa_fp16_overflow 0
		.amdhsa_workgroup_processor_mode 1
		.amdhsa_memory_ordered 1
		.amdhsa_forward_progress 0
		.amdhsa_shared_vgpr_count 0
		.amdhsa_exception_fp_ieee_invalid_op 0
		.amdhsa_exception_fp_denorm_src 0
		.amdhsa_exception_fp_ieee_div_zero 0
		.amdhsa_exception_fp_ieee_overflow 0
		.amdhsa_exception_fp_ieee_underflow 0
		.amdhsa_exception_fp_ieee_inexact 0
		.amdhsa_exception_int_div_zero 0
	.end_amdhsa_kernel
	.section	.text._ZN12_GLOBAL__N_120geam_min_plus_kernelIDF16_Dv2_DF16_S1_Li8ELi32ELi64ELi256ELi4ELi64ELi4ELi64ELi4ELc78ELc84ELb0ELb1ELb1EDF16_KPKDF16_KPDF16_EEviiiT16_PT17_ilS9_ilS7_S9_ilPT18_ili26rocblas_geam_ex_operation_,"axG",@progbits,_ZN12_GLOBAL__N_120geam_min_plus_kernelIDF16_Dv2_DF16_S1_Li8ELi32ELi64ELi256ELi4ELi64ELi4ELi64ELi4ELc78ELc84ELb0ELb1ELb1EDF16_KPKDF16_KPDF16_EEviiiT16_PT17_ilS9_ilS7_S9_ilPT18_ili26rocblas_geam_ex_operation_,comdat
.Lfunc_end224:
	.size	_ZN12_GLOBAL__N_120geam_min_plus_kernelIDF16_Dv2_DF16_S1_Li8ELi32ELi64ELi256ELi4ELi64ELi4ELi64ELi4ELc78ELc84ELb0ELb1ELb1EDF16_KPKDF16_KPDF16_EEviiiT16_PT17_ilS9_ilS7_S9_ilPT18_ili26rocblas_geam_ex_operation_, .Lfunc_end224-_ZN12_GLOBAL__N_120geam_min_plus_kernelIDF16_Dv2_DF16_S1_Li8ELi32ELi64ELi256ELi4ELi64ELi4ELi64ELi4ELc78ELc84ELb0ELb1ELb1EDF16_KPKDF16_KPDF16_EEviiiT16_PT17_ilS9_ilS7_S9_ilPT18_ili26rocblas_geam_ex_operation_
                                        ; -- End function
	.section	.AMDGPU.csdata,"",@progbits
; Kernel info:
; codeLenInByte = 23512
; NumSgprs: 34
; NumVgprs: 158
; ScratchSize: 0
; MemoryBound: 0
; FloatMode: 240
; IeeeMode: 1
; LDSByteSize: 5120 bytes/workgroup (compile time only)
; SGPRBlocks: 4
; VGPRBlocks: 19
; NumSGPRsForWavesPerEU: 34
; NumVGPRsForWavesPerEU: 158
; Occupancy: 9
; WaveLimiterHint : 1
; COMPUTE_PGM_RSRC2:SCRATCH_EN: 0
; COMPUTE_PGM_RSRC2:USER_SGPR: 14
; COMPUTE_PGM_RSRC2:TRAP_HANDLER: 0
; COMPUTE_PGM_RSRC2:TGID_X_EN: 1
; COMPUTE_PGM_RSRC2:TGID_Y_EN: 0
; COMPUTE_PGM_RSRC2:TGID_Z_EN: 1
; COMPUTE_PGM_RSRC2:TIDIG_COMP_CNT: 1
	.section	.text._ZN12_GLOBAL__N_120geam_min_plus_kernelIDF16_Dv2_DF16_S1_Li8ELi32ELi64ELi256ELi4ELi4ELi64ELi64ELi4ELc84ELc84ELb0ELb0ELb1EPKDF16_KS3_KPDF16_EEviiiT16_PT17_ilS9_ilS7_S9_ilPT18_ili26rocblas_geam_ex_operation_,"axG",@progbits,_ZN12_GLOBAL__N_120geam_min_plus_kernelIDF16_Dv2_DF16_S1_Li8ELi32ELi64ELi256ELi4ELi4ELi64ELi64ELi4ELc84ELc84ELb0ELb0ELb1EPKDF16_KS3_KPDF16_EEviiiT16_PT17_ilS9_ilS7_S9_ilPT18_ili26rocblas_geam_ex_operation_,comdat
	.globl	_ZN12_GLOBAL__N_120geam_min_plus_kernelIDF16_Dv2_DF16_S1_Li8ELi32ELi64ELi256ELi4ELi4ELi64ELi64ELi4ELc84ELc84ELb0ELb0ELb1EPKDF16_KS3_KPDF16_EEviiiT16_PT17_ilS9_ilS7_S9_ilPT18_ili26rocblas_geam_ex_operation_ ; -- Begin function _ZN12_GLOBAL__N_120geam_min_plus_kernelIDF16_Dv2_DF16_S1_Li8ELi32ELi64ELi256ELi4ELi4ELi64ELi64ELi4ELc84ELc84ELb0ELb0ELb1EPKDF16_KS3_KPDF16_EEviiiT16_PT17_ilS9_ilS7_S9_ilPT18_ili26rocblas_geam_ex_operation_
	.p2align	8
	.type	_ZN12_GLOBAL__N_120geam_min_plus_kernelIDF16_Dv2_DF16_S1_Li8ELi32ELi64ELi256ELi4ELi4ELi64ELi64ELi4ELc84ELc84ELb0ELb0ELb1EPKDF16_KS3_KPDF16_EEviiiT16_PT17_ilS9_ilS7_S9_ilPT18_ili26rocblas_geam_ex_operation_,@function
_ZN12_GLOBAL__N_120geam_min_plus_kernelIDF16_Dv2_DF16_S1_Li8ELi32ELi64ELi256ELi4ELi4ELi64ELi64ELi4ELc84ELc84ELb0ELb0ELb1EPKDF16_KS3_KPDF16_EEviiiT16_PT17_ilS9_ilS7_S9_ilPT18_ili26rocblas_geam_ex_operation_: ; @_ZN12_GLOBAL__N_120geam_min_plus_kernelIDF16_Dv2_DF16_S1_Li8ELi32ELi64ELi256ELi4ELi4ELi64ELi64ELi4ELc84ELc84ELb0ELb0ELb1EPKDF16_KS3_KPDF16_EEviiiT16_PT17_ilS9_ilS7_S9_ilPT18_ili26rocblas_geam_ex_operation_
; %bb.0:
	s_clause 0x1
	s_load_b128 s[4:7], s[0:1], 0x10
	s_load_b128 s[8:11], s[0:1], 0x28
	s_mov_b32 s20, s15
	s_mov_b32 s21, 0
	v_mov_b32_e32 v1, 0
	s_lshl_b64 s[2:3], s[20:21], 1
	s_mov_b64 s[12:13], 0
	s_waitcnt lgkmcnt(0)
	s_add_u32 s4, s4, s2
	s_addc_u32 s5, s5, s3
	global_load_u16 v40, v1, s[4:5]
	s_clause 0x1
	s_load_b128 s[16:19], s[0:1], 0x40
	s_load_b64 s[22:23], s[0:1], 0x50
	s_waitcnt lgkmcnt(0)
	s_add_u32 s2, s18, s2
	s_addc_u32 s3, s19, s3
	s_mov_b64 s[18:19], 0
	s_waitcnt vmcnt(0)
	v_cmp_eq_f16_e32 vcc_lo, 0, v40
	v_cmp_neq_f16_e64 s4, 0, v40
	s_cbranch_vccnz .LBB225_2
; %bb.1:
	s_lshl_b64 s[18:19], s[20:21], 3
	s_delay_alu instid0(SALU_CYCLE_1)
	s_add_u32 s6, s6, s18
	s_addc_u32 s7, s7, s19
	s_lshl_b64 s[8:9], s[8:9], 1
	s_load_b64 s[6:7], s[6:7], 0x0
	s_waitcnt lgkmcnt(0)
	s_add_u32 s18, s6, s8
	s_addc_u32 s19, s7, s9
.LBB225_2:
	global_load_u16 v48, v1, s[2:3]
	v_cndmask_b32_e64 v1, 0, 1, s4
	s_and_not1_b32 vcc_lo, exec_lo, s4
	s_delay_alu instid0(VALU_DEP_1)
	v_cmp_ne_u32_e64 s3, 1, v1
	s_cbranch_vccnz .LBB225_4
; %bb.3:
	s_lshl_b64 s[6:7], s[20:21], 3
	s_delay_alu instid0(SALU_CYCLE_1)
	s_add_u32 s6, s10, s6
	s_addc_u32 s7, s11, s7
	s_lshl_b64 s[8:9], s[16:17], 1
	s_load_b64 s[6:7], s[6:7], 0x0
	s_waitcnt lgkmcnt(0)
	s_add_u32 s12, s6, s8
	s_addc_u32 s13, s7, s9
.LBB225_4:
	s_load_b128 s[8:11], s[0:1], 0x60
	s_waitcnt vmcnt(0)
	v_cmp_eq_f16_e32 vcc_lo, 0, v48
	s_and_b32 s2, exec_lo, vcc_lo
	s_delay_alu instid0(SALU_CYCLE_1)
	s_mov_b32 vcc_lo, s2
	s_cbranch_vccnz .LBB225_6
; %bb.5:
	s_lshl_b64 s[6:7], s[20:21], 3
	s_delay_alu instid0(SALU_CYCLE_1)
	s_add_u32 s6, s22, s6
	s_addc_u32 s7, s23, s7
	s_waitcnt lgkmcnt(0)
	s_lshl_b64 s[8:9], s[8:9], 1
	s_load_b64 s[6:7], s[6:7], 0x0
	s_waitcnt lgkmcnt(0)
	s_add_u32 s6, s6, s8
	s_addc_u32 s7, s7, s9
	s_branch .LBB225_7
.LBB225_6:
	s_mov_b64 s[6:7], 0
.LBB225_7:
	s_clause 0x1
	s_load_b32 s5, s[0:1], 0x0
	s_load_b32 s16, s[0:1], 0x20
	s_waitcnt lgkmcnt(0)
	s_lshl_b64 s[8:9], s[20:21], 3
	v_and_b32_e32 v38, 0x3ff, v0
	s_add_u32 s8, s10, s8
	s_addc_u32 s9, s11, s9
	v_bfe_u32 v39, v0, 10, 10
	s_delay_alu instid0(VALU_DEP_1) | instskip(NEXT) | instid1(VALU_DEP_1)
	v_lshl_add_u32 v0, v39, 3, v38
	v_lshrrev_b32_e32 v6, 2, v0
	s_add_i32 s5, s5, -1
	s_delay_alu instid0(SALU_CYCLE_1) | instskip(NEXT) | instid1(SALU_CYCLE_1)
	s_ashr_i32 s10, s5, 31
	s_lshr_b32 s10, s10, 26
	s_delay_alu instid0(SALU_CYCLE_1) | instskip(NEXT) | instid1(SALU_CYCLE_1)
	s_add_i32 s5, s5, s10
	s_ashr_i32 s5, s5, 6
	s_delay_alu instid0(SALU_CYCLE_1) | instskip(SKIP_2) | instid1(VALU_DEP_1)
	s_add_i32 s10, s5, 1
	s_not_b32 s5, s5
	v_cvt_f32_u32_e32 v1, s10
	v_rcp_iflag_f32_e32 v1, v1
	s_waitcnt_depctr 0xfff
	v_mul_f32_e32 v1, 0x4f7ffffe, v1
	s_delay_alu instid0(VALU_DEP_1) | instskip(NEXT) | instid1(VALU_DEP_1)
	v_cvt_u32_f32_e32 v1, v1
	v_readfirstlane_b32 s11, v1
	v_and_b32_e32 v1, 3, v38
	s_delay_alu instid0(VALU_DEP_2) | instskip(NEXT) | instid1(VALU_DEP_1)
	s_mul_i32 s5, s5, s11
	v_lshlrev_b32_e32 v4, 1, v1
	s_mul_hi_u32 s5, s11, s5
	s_delay_alu instid0(SALU_CYCLE_1) | instskip(NEXT) | instid1(SALU_CYCLE_1)
	s_add_i32 s11, s11, s5
	s_mul_hi_u32 s5, s14, s11
	s_delay_alu instid0(SALU_CYCLE_1) | instskip(SKIP_2) | instid1(SALU_CYCLE_1)
	s_mul_i32 s11, s5, s10
	s_add_i32 s15, s5, 1
	s_sub_i32 s11, s14, s11
	s_sub_i32 s17, s11, s10
	s_cmp_ge_u32 s11, s10
	s_cselect_b32 s5, s15, s5
	s_cselect_b32 s11, s17, s11
	s_add_i32 s15, s5, 1
	s_cmp_ge_u32 s11, s10
	s_cselect_b32 s11, s15, s5
	s_and_b32 vcc_lo, exec_lo, s3
	s_mul_i32 s17, s11, s10
	s_delay_alu instid0(SALU_CYCLE_1) | instskip(NEXT) | instid1(SALU_CYCLE_1)
	s_sub_i32 s5, s14, s17
	s_lshl_b32 s5, s5, 6
	s_delay_alu instid0(SALU_CYCLE_1)
	v_add_nc_u32_e32 v8, s5, v6
	s_cbranch_vccnz .LBB225_9
; %bb.8:
	s_delay_alu instid0(VALU_DEP_1) | instskip(NEXT) | instid1(VALU_DEP_1)
	v_mad_i64_i32 v[1:2], null, v8, s16, 0
	v_lshlrev_b64 v[1:2], 1, v[1:2]
	s_delay_alu instid0(VALU_DEP_1) | instskip(NEXT) | instid1(VALU_DEP_2)
	v_add_co_u32 v1, vcc_lo, s18, v1
	v_add_co_ci_u32_e32 v2, vcc_lo, s19, v2, vcc_lo
	s_delay_alu instid0(VALU_DEP_2) | instskip(NEXT) | instid1(VALU_DEP_2)
	v_add_co_u32 v1, vcc_lo, v1, v4
	v_add_co_ci_u32_e32 v2, vcc_lo, 0, v2, vcc_lo
	flat_load_u16 v1, v[1:2]
	s_waitcnt vmcnt(0) lgkmcnt(0)
	v_mul_f16_e32 v2, v40, v1
	s_branch .LBB225_10
.LBB225_9:
	v_mov_b32_e32 v2, 0
.LBB225_10:
	s_load_b32 s10, s[0:1], 0x38
	v_lshrrev_b32_e32 v5, 6, v0
	v_and_b32_e32 v7, 63, v0
	s_lshl_b32 s15, s11, 8
	s_delay_alu instid0(VALU_DEP_1) | instid1(SALU_CYCLE_1)
	v_or_b32_e32 v0, s15, v7
	s_delay_alu instid0(VALU_DEP_1) | instskip(SKIP_3) | instid1(VALU_DEP_1)
	v_ashrrev_i32_e32 v1, 31, v0
	s_waitcnt lgkmcnt(0)
	v_mad_i64_i32 v[9:10], null, s10, v5, 0
	s_ashr_i32 s11, s10, 31
	v_lshlrev_b64 v[9:10], 1, v[9:10]
	s_delay_alu instid0(VALU_DEP_1) | instskip(NEXT) | instid1(VALU_DEP_2)
	v_add_co_u32 v9, vcc_lo, s12, v9
	v_add_co_ci_u32_e32 v10, vcc_lo, s13, v10, vcc_lo
	s_and_b32 vcc_lo, exec_lo, s3
	s_cbranch_vccnz .LBB225_14
; %bb.11:
	v_lshlrev_b64 v[11:12], 1, v[0:1]
	s_delay_alu instid0(VALU_DEP_1) | instskip(NEXT) | instid1(VALU_DEP_2)
	v_add_co_u32 v11, vcc_lo, v9, v11
	v_add_co_ci_u32_e32 v12, vcc_lo, v10, v12, vcc_lo
	s_clause 0x1
	flat_load_u16 v3, v[11:12]
	flat_load_u16 v11, v[11:12] offset:128
	s_waitcnt vmcnt(1) lgkmcnt(1)
	v_mul_f16_e32 v3, v40, v3
	s_waitcnt vmcnt(0) lgkmcnt(0)
	v_mul_f16_e32 v14, v40, v11
	s_and_b32 vcc_lo, exec_lo, s3
	s_cbranch_vccnz .LBB225_15
.LBB225_12:
	v_lshlrev_b64 v[11:12], 1, v[0:1]
	s_delay_alu instid0(VALU_DEP_1) | instskip(NEXT) | instid1(VALU_DEP_2)
	v_add_co_u32 v9, vcc_lo, v9, v11
	v_add_co_ci_u32_e32 v10, vcc_lo, v10, v12, vcc_lo
	s_clause 0x1
	flat_load_u16 v11, v[9:10] offset:256
	flat_load_u16 v9, v[9:10] offset:384
	s_waitcnt vmcnt(1) lgkmcnt(1)
	v_mul_f16_e32 v15, v40, v11
	s_waitcnt vmcnt(0) lgkmcnt(0)
	v_mul_f16_e32 v16, v40, v9
	s_and_b32 vcc_lo, exec_lo, s3
	s_cbranch_vccnz .LBB225_16
.LBB225_13:
	v_mad_i64_i32 v[9:10], null, v8, s16, 0
	s_delay_alu instid0(VALU_DEP_1) | instskip(NEXT) | instid1(VALU_DEP_1)
	v_lshlrev_b64 v[8:9], 1, v[9:10]
	v_add_co_u32 v8, vcc_lo, s18, v8
	s_delay_alu instid0(VALU_DEP_2) | instskip(NEXT) | instid1(VALU_DEP_2)
	v_add_co_ci_u32_e32 v9, vcc_lo, s19, v9, vcc_lo
	v_add_co_u32 v8, vcc_lo, v8, v4
	s_delay_alu instid0(VALU_DEP_2)
	v_add_co_ci_u32_e32 v9, vcc_lo, 0, v9, vcc_lo
	flat_load_u16 v8, v[8:9] offset:8
	s_waitcnt vmcnt(0) lgkmcnt(0)
	v_mul_f16_e32 v8, v40, v8
	s_branch .LBB225_17
.LBB225_14:
	v_dual_mov_b32 v3, 0 :: v_dual_mov_b32 v14, 0
	s_and_b32 vcc_lo, exec_lo, s3
	s_cbranch_vccz .LBB225_12
.LBB225_15:
	v_dual_mov_b32 v15, 0 :: v_dual_mov_b32 v16, 0
	s_and_b32 vcc_lo, exec_lo, s3
	s_cbranch_vccz .LBB225_13
.LBB225_16:
	v_mov_b32_e32 v8, 0
.LBB225_17:
	v_add_nc_u32_e32 v11, 4, v5
	s_delay_alu instid0(VALU_DEP_1) | instskip(NEXT) | instid1(VALU_DEP_1)
	v_mad_i64_i32 v[9:10], null, s10, v11, 0
	v_lshlrev_b64 v[9:10], 1, v[9:10]
	s_delay_alu instid0(VALU_DEP_1) | instskip(NEXT) | instid1(VALU_DEP_2)
	v_add_co_u32 v11, vcc_lo, s12, v9
	v_add_co_ci_u32_e32 v12, vcc_lo, s13, v10, vcc_lo
	s_and_b32 vcc_lo, exec_lo, s3
	s_cbranch_vccnz .LBB225_20
; %bb.18:
	v_lshlrev_b64 v[9:10], 1, v[0:1]
	s_delay_alu instid0(VALU_DEP_1) | instskip(NEXT) | instid1(VALU_DEP_2)
	v_add_co_u32 v9, vcc_lo, v11, v9
	v_add_co_ci_u32_e32 v10, vcc_lo, v12, v10, vcc_lo
	s_clause 0x1
	flat_load_u16 v13, v[9:10]
	flat_load_u16 v10, v[9:10] offset:128
	s_waitcnt vmcnt(1) lgkmcnt(1)
	v_mul_f16_e32 v9, v40, v13
	s_waitcnt vmcnt(0) lgkmcnt(0)
	v_mul_f16_e32 v10, v40, v10
	s_and_b32 vcc_lo, exec_lo, s3
	s_cbranch_vccnz .LBB225_21
.LBB225_19:
	v_lshlrev_b64 v[0:1], 1, v[0:1]
	s_delay_alu instid0(VALU_DEP_1) | instskip(NEXT) | instid1(VALU_DEP_2)
	v_add_co_u32 v0, vcc_lo, v11, v0
	v_add_co_ci_u32_e32 v1, vcc_lo, v12, v1, vcc_lo
	s_clause 0x1
	flat_load_u16 v11, v[0:1] offset:256
	flat_load_u16 v0, v[0:1] offset:384
	s_waitcnt vmcnt(1) lgkmcnt(1)
	v_mul_f16_e32 v11, v40, v11
	s_waitcnt vmcnt(0) lgkmcnt(0)
	v_mul_f16_e32 v12, v40, v0
	s_branch .LBB225_22
.LBB225_20:
	v_dual_mov_b32 v9, 0 :: v_dual_mov_b32 v10, 0
	s_and_b32 vcc_lo, exec_lo, s3
	s_cbranch_vccz .LBB225_19
.LBB225_21:
	v_dual_mov_b32 v11, 0 :: v_dual_mov_b32 v12, 0
.LBB225_22:
	v_lshlrev_b32_e32 v0, 1, v5
	v_lshlrev_b32_e32 v41, 3, v38
	;; [unrolled: 1-line block ×3, first 2 shown]
	v_lshl_or_b32 v13, v6, 3, v4
	s_load_b64 s[8:9], s[8:9], 0x0
	v_lshl_add_u32 v43, v7, 3, v0
	v_add_nc_u32_e32 v0, 0x1000, v41
	s_load_b32 s20, s[0:1], 0x8
	ds_store_b16 v43, v3
	ds_store_b16 v43, v14 offset:512
	ds_store_b16 v43, v15 offset:1024
	;; [unrolled: 1-line block ×4, first 2 shown]
	s_waitcnt lgkmcnt(0)
	s_barrier
	buffer_gl0_inv
	ds_load_2addr_b64 v[14:17], v0 offset1:8
	ds_load_2addr_b64 v[18:21], v42 offset1:32
	ds_load_2addr_b64 v[22:25], v0 offset0:16 offset1:24
	ds_load_2addr_b64 v[26:29], v0 offset0:32 offset1:40
	;; [unrolled: 1-line block ×5, first 2 shown]
	s_cmp_lt_i32 s20, 9
	s_waitcnt lgkmcnt(5)
	v_pk_add_f16 v45, v16, v18
	v_pk_add_f16 v76, v17, v19
	s_waitcnt lgkmcnt(3)
	v_pk_add_f16 v50, v28, v18
	v_pk_add_f16 v44, v14, v18
	s_waitcnt lgkmcnt(2)
	v_pk_add_f16 v52, v2, v18
	v_pk_min_f16 v45, 0x7c00, v45 op_sel_hi:[0,1]
	v_pk_add_f16 v80, v29, v19
	v_pk_add_f16 v46, v22, v18
	;; [unrolled: 1-line block ×4, first 2 shown]
	v_pk_min_f16 v115, v45, v76
	v_pk_min_f16 v45, 0x7c00, v50 op_sel_hi:[0,1]
	v_pk_add_f16 v82, v3, v19
	v_pk_min_f16 v44, 0x7c00, v44 op_sel_hi:[0,1]
	v_pk_add_f16 v51, v0, v18
	v_pk_add_f16 v60, v2, v20
	v_pk_min_f16 v109, v45, v80
	v_pk_min_f16 v45, 0x7c00, v52 op_sel_hi:[0,1]
	s_waitcnt lgkmcnt(1)
	v_pk_add_f16 v61, v14, v30
	v_pk_add_f16 v62, v16, v30
	;; [unrolled: 1-line block ×10, first 2 shown]
	v_pk_min_f16 v116, v44, v75
	v_pk_min_f16 v44, 0x7c00, v46 op_sel_hi:[0,1]
	v_pk_min_f16 v106, v45, v82
	v_pk_min_f16 v45, 0x7c00, v56 op_sel_hi:[0,1]
	v_pk_add_f16 v55, v22, v20
	v_pk_add_f16 v71, v24, v32
	;; [unrolled: 1-line block ×12, first 2 shown]
	v_pk_min_f16 v114, v44, v77
	v_pk_min_f16 v44, 0x7c00, v51 op_sel_hi:[0,1]
	v_pk_min_f16 v102, v45, v86
	v_pk_min_f16 v45, 0x7c00, v60 op_sel_hi:[0,1]
	v_pk_min_f16 v30, 0x7c00, v30 op_sel_hi:[0,1]
	v_pk_add_f16 v47, v24, v18
	v_pk_add_f16 v68, v14, v32
	;; [unrolled: 1-line block ×10, first 2 shown]
	v_pk_min_f16 v108, v44, v81
	v_pk_min_f16 v44, 0x7c00, v55 op_sel_hi:[0,1]
	v_pk_min_f16 v98, v45, v90
	v_pk_min_f16 v90, v30, v31
	v_pk_min_f16 v31, 0x7c00, v71 op_sel_hi:[0,1]
	v_pk_add_f16 v53, v14, v20
	v_pk_add_f16 v57, v26, v20
	;; [unrolled: 1-line block ×10, first 2 shown]
	s_waitcnt lgkmcnt(0)
	v_pk_add_f16 v127, v24, v34
	v_pk_min_f16 v46, 0x7c00, v47 op_sel_hi:[0,1]
	v_pk_min_f16 v103, v44, v85
	v_pk_min_f16 v30, 0x7c00, v70 op_sel_hi:[0,1]
	v_pk_min_f16 v85, v31, v120
	v_pk_min_f16 v31, 0x7c00, v32 op_sel_hi:[0,1]
	v_pk_add_f16 v58, v28, v20
	v_pk_add_f16 v83, v15, v21
	;; [unrolled: 1-line block ×6, first 2 shown]
	v_pk_min_f16 v113, v46, v78
	v_pk_min_f16 v46, 0x7c00, v53 op_sel_hi:[0,1]
	v_pk_min_f16 v44, 0x7c00, v57 op_sel_hi:[0,1]
	v_pk_min_f16 v86, v30, v119
	v_pk_min_f16 v30, 0x7c00, v74 op_sel_hi:[0,1]
	v_pk_min_f16 v81, v31, v33
	v_pk_min_f16 v31, 0x7c00, v127 op_sel_hi:[0,1]
	v_pk_add_f16 v49, v26, v18
	v_pk_add_f16 v54, v16, v20
	;; [unrolled: 1-line block ×9, first 2 shown]
	ds_load_2addr_b64 v[18:21], v42 offset0:192 offset1:224
	v_pk_add_f16 v138, v15, v35
	v_pk_add_f16 v143, v29, v35
	v_pk_min_f16 v105, v46, v83
	v_pk_min_f16 v46, 0x7c00, v58 op_sel_hi:[0,1]
	v_pk_min_f16 v101, v44, v87
	v_pk_min_f16 v44, 0x7c00, v61 op_sel_hi:[0,1]
	;; [unrolled: 2-line block ×4, first 2 shown]
	v_pk_add_f16 v125, v16, v34
	v_pk_add_f16 v131, v14, v36
	;; [unrolled: 1-line block ×5, first 2 shown]
	v_pk_min_f16 v100, v46, v88
	v_pk_min_f16 v45, 0x7c00, v62 op_sel_hi:[0,1]
	v_pk_min_f16 v46, 0x7c00, v63 op_sel_hi:[0,1]
	v_pk_min_f16 v97, v44, v91
	v_pk_min_f16 v44, 0x7c00, v65 op_sel_hi:[0,1]
	v_pk_min_f16 v80, v30, v138
	;; [unrolled: 2-line block ×3, first 2 shown]
	v_pk_min_f16 v31, 0x7c00, v132 op_sel_hi:[0,1]
	v_pk_add_f16 v126, v22, v34
	v_pk_add_f16 v130, v0, v34
	;; [unrolled: 1-line block ×11, first 2 shown]
	v_pk_min_f16 v47, 0x7c00, v49 op_sel_hi:[0,1]
	v_pk_min_f16 v96, v45, v92
	v_pk_min_f16 v95, v46, v93
	v_pk_min_f16 v45, 0x7c00, v66 op_sel_hi:[0,1]
	v_pk_min_f16 v93, v44, v107
	v_pk_min_f16 v44, 0x7c00, v67 op_sel_hi:[0,1]
	v_pk_min_f16 v32, 0x7c00, v125 op_sel_hi:[0,1]
	v_pk_min_f16 v76, v30, v142
	v_pk_min_f16 v30, 0x7c00, v131 op_sel_hi:[0,1]
	v_pk_min_f16 v71, v31, v146
	v_pk_min_f16 v31, 0x7c00, v136 op_sel_hi:[0,1]
	v_pk_add_f16 v140, v23, v35
	v_pk_add_f16 v144, v1, v35
	;; [unrolled: 1-line block ×8, first 2 shown]
	v_pk_min_f16 v112, v47, v79
	v_pk_min_f16 v92, v45, v110
	v_pk_min_f16 v45, 0x7c00, v69 op_sel_hi:[0,1]
	v_pk_min_f16 v91, v44, v111
	v_pk_min_f16 v44, 0x7c00, v72 op_sel_hi:[0,1]
	v_pk_min_f16 v79, v32, v139
	v_pk_min_f16 v32, 0x7c00, v130 op_sel_hi:[0,1]
	v_pk_min_f16 v33, 0x7c00, v34 op_sel_hi:[0,1]
	v_pk_min_f16 v72, v30, v145
	v_pk_min_f16 v30, 0x7c00, v133 op_sel_hi:[0,1]
	v_pk_min_f16 v67, v31, v150
	v_pk_min_f16 v31, 0x7c00, v36 op_sel_hi:[0,1]
	s_waitcnt lgkmcnt(0)
	v_pk_add_f16 v152, v14, v18
	v_pk_add_f16 v153, v16, v18
	;; [unrolled: 1-line block ×7, first 2 shown]
	v_pk_min_f16 v47, 0x7c00, v54 op_sel_hi:[0,1]
	v_pk_min_f16 v88, v45, v118
	v_pk_min_f16 v45, 0x7c00, v73 op_sel_hi:[0,1]
	v_pk_min_f16 v74, v32, v144
	v_pk_min_f16 v73, v33, v35
	v_pk_min_f16 v32, 0x7c00, v134 op_sel_hi:[0,1]
	v_pk_min_f16 v33, 0x7c00, v135 op_sel_hi:[0,1]
	v_pk_min_f16 v70, v30, v147
	v_pk_min_f16 v30, 0x7c00, v137 op_sel_hi:[0,1]
	v_pk_min_f16 v65, v31, v37
	v_pk_add_f16 v31, v0, v18
	v_pk_add_f16 v18, v2, v18
	v_pk_add_f16 v16, v16, v20
	v_pk_add_f16 v154, v15, v19
	v_pk_add_f16 v155, v17, v19
	v_pk_add_f16 v15, v15, v21
	v_pk_add_f16 v22, v22, v20
	v_pk_add_f16 v24, v24, v20
	v_pk_add_f16 v158, v23, v19
	v_pk_add_f16 v159, v25, v19
	v_pk_add_f16 v26, v26, v20
	v_pk_add_f16 v28, v28, v20
	v_pk_add_f16 v162, v27, v19
	v_pk_add_f16 v163, v29, v19
	v_pk_min_f16 v104, v47, v84
	v_pk_min_f16 v47, 0x7c00, v59 op_sel_hi:[0,1]
	v_pk_min_f16 v46, 0x7c00, v68 op_sel_hi:[0,1]
	v_pk_min_f16 v69, v32, v148
	v_pk_min_f16 v68, v33, v149
	v_pk_min_f16 v32, 0x7c00, v152 op_sel_hi:[0,1]
	v_pk_min_f16 v33, 0x7c00, v153 op_sel_hi:[0,1]
	v_pk_min_f16 v66, v30, v151
	v_pk_min_f16 v30, 0x7c00, v156 op_sel_hi:[0,1]
	v_pk_add_f16 v34, v1, v19
	v_pk_min_f16 v18, 0x7c00, v18 op_sel_hi:[0,1]
	v_pk_add_f16 v19, v3, v19
	;; [unrolled: 2-line block ×3, first 2 shown]
	v_pk_add_f16 v2, v2, v20
	v_pk_add_f16 v17, v17, v21
	;; [unrolled: 1-line block ×6, first 2 shown]
	v_pk_min_f16 v99, v47, v89
	v_pk_min_f16 v47, 0x7c00, v64 op_sel_hi:[0,1]
	v_pk_min_f16 v84, v44, v121
	v_pk_min_f16 v44, 0x7c00, v126 op_sel_hi:[0,1]
	v_pk_min_f16 v64, v32, v154
	v_pk_min_f16 v63, v33, v155
	;; [unrolled: 1-line block ×3, first 2 shown]
	v_pk_min_f16 v30, 0x7c00, v157 op_sel_hi:[0,1]
	v_pk_min_f16 v32, 0x7c00, v160 op_sel_hi:[0,1]
	;; [unrolled: 1-line block ×6, first 2 shown]
	v_pk_min_f16 v57, v18, v19
	v_pk_min_f16 v56, v14, v15
	v_pk_min_f16 v14, 0x7c00, v24 op_sel_hi:[0,1]
	v_pk_min_f16 v15, 0x7c00, v26 op_sel_hi:[0,1]
	;; [unrolled: 1-line block ×5, first 2 shown]
	v_pk_add_f16 v1, v1, v21
	v_pk_add_f16 v3, v3, v21
	v_pk_min_f16 v94, v47, v94
	v_pk_min_f16 v89, v46, v117
	;; [unrolled: 1-line block ×15, first 2 shown]
	ds_store_b16 v43, v9 offset:2048
	ds_store_b16 v43, v10 offset:2560
	;; [unrolled: 1-line block ×5, first 2 shown]
	s_waitcnt lgkmcnt(0)
	s_barrier
	buffer_gl0_inv
	s_cbranch_scc1 .LBB225_40
; %bb.23:
	v_lshl_add_u32 v0, s14, 6, v6
	s_lshl_b32 s14, s17, 6
	v_add_nc_u32_e32 v3, 12, v5
	v_add_nc_u32_e32 v9, 8, v5
	;; [unrolled: 1-line block ×3, first 2 shown]
	v_subrev_nc_u32_e32 v2, s14, v0
	v_add_nc_u32_e32 v45, 0x1000, v41
	v_mad_i64_i32 v[5:6], null, v3, s10, 0
	v_add_nc_u32_e32 v46, 0x1200, v13
	s_delay_alu instid0(VALU_DEP_4) | instskip(SKIP_4) | instid1(VALU_DEP_4)
	v_mad_i64_i32 v[0:1], null, s16, v2, 0
	v_add_nc_u32_e32 v2, s15, v7
	v_mad_i64_i32 v[7:8], null, v9, s10, 0
	v_lshlrev_b64 v[32:33], 1, v[5:6]
	v_or_b32_e32 v47, 0x800, v43
	v_ashrrev_i32_e32 v3, 31, v2
	v_lshlrev_b64 v[0:1], 1, v[0:1]
	v_lshl_add_u32 v87, v38, 3, 0x1200
	v_lshl_add_u32 v107, v39, 3, 0x800
	v_lshlrev_b64 v[36:37], 1, v[7:8]
	s_add_i32 s14, s20, -8
	s_lshl_b64 s[10:11], s[10:11], 4
	v_add_co_u32 v4, vcc_lo, v0, v4
	v_add_co_ci_u32_e32 v9, vcc_lo, 0, v1, vcc_lo
	v_lshlrev_b64 v[0:1], 1, v[2:3]
	s_delay_alu instid0(VALU_DEP_3) | instskip(NEXT) | instid1(VALU_DEP_3)
	v_add_co_u32 v2, vcc_lo, v4, s18
	v_add_co_ci_u32_e32 v3, vcc_lo, s19, v9, vcc_lo
	s_and_b32 s4, exec_lo, s4
	s_delay_alu instid0(VALU_DEP_2) | instskip(NEXT) | instid1(VALU_DEP_2)
	v_add_co_u32 v34, vcc_lo, v2, 16
	v_add_co_ci_u32_e32 v35, vcc_lo, 0, v3, vcc_lo
	v_add_co_u32 v110, vcc_lo, s12, v0
	v_add_co_ci_u32_e32 v111, vcc_lo, s13, v1, vcc_lo
	s_mov_b32 s12, 0
	s_branch .LBB225_26
.LBB225_24:                             ;   in Loop: Header=BB225_26 Depth=1
	v_add_co_u32 v0, vcc_lo, v110, v32
	v_add_co_ci_u32_e32 v1, vcc_lo, v111, v33, vcc_lo
	s_clause 0x1
	flat_load_u16 v11, v[0:1] offset:256
	flat_load_u16 v1, v[0:1] offset:384
	s_waitcnt vmcnt(1) lgkmcnt(1)
	v_mul_f16_e32 v0, v40, v11
	s_waitcnt vmcnt(0) lgkmcnt(0)
	v_mul_f16_e32 v1, v40, v1
.LBB225_25:                             ;   in Loop: Header=BB225_26 Depth=1
	ds_load_2addr_b64 v[120:123], v45 offset1:8
	ds_load_2addr_b64 v[88:91], v42 offset1:32
	ds_load_2addr_b64 v[124:127], v45 offset0:16 offset1:24
	ds_load_2addr_b64 v[128:131], v45 offset0:32 offset1:40
	;; [unrolled: 1-line block ×6, first 2 shown]
	v_pk_max_f16 v11, v84, v84
	v_pk_max_f16 v17, v82, v82
	;; [unrolled: 1-line block ×13, first 2 shown]
	s_waitcnt lgkmcnt(6)
	v_pk_add_f16 v83, v120, v88
	v_pk_add_f16 v84, v122, v88
	s_waitcnt lgkmcnt(5)
	v_pk_add_f16 v85, v124, v88
	v_pk_add_f16 v86, v126, v88
	;; [unrolled: 3-line block ×4, first 2 shown]
	v_pk_min_f16 v11, v11, v83
	v_pk_min_f16 v17, v17, v84
	;; [unrolled: 1-line block ×5, first 2 shown]
	v_pk_add_f16 v83, v120, v90
	v_pk_add_f16 v84, v122, v90
	;; [unrolled: 1-line block ×5, first 2 shown]
	v_pk_min_f16 v71, v71, v83
	v_pk_min_f16 v78, v78, v84
	;; [unrolled: 1-line block ×5, first 2 shown]
	v_pk_add_f16 v83, v130, v90
	v_pk_add_f16 v84, v132, v90
	v_pk_max_f16 v74, v74, v74
	v_pk_add_f16 v85, v134, v90
	v_pk_max_f16 v72, v72, v72
	s_waitcnt lgkmcnt(2)
	v_pk_add_f16 v86, v120, v136
	v_pk_max_f16 v70, v70, v70
	v_pk_add_f16 v88, v122, v136
	v_pk_max_f16 v68, v68, v68
	v_pk_min_f16 v66, v66, v83
	v_pk_min_f16 v74, v74, v84
	v_pk_min_f16 v72, v72, v85
	v_pk_min_f16 v70, v70, v86
	v_pk_min_f16 v68, v68, v88
	v_pk_add_f16 v83, v124, v136
	v_pk_max_f16 v61, v61, v61
	v_pk_add_f16 v84, v126, v136
	v_pk_max_f16 v69, v69, v69
	v_pk_add_f16 v85, v128, v136
	v_pk_max_f16 v67, v67, v67
	v_pk_add_f16 v86, v130, v136
	v_pk_max_f16 v65, v65, v65
	v_pk_add_f16 v88, v132, v136
	v_pk_max_f16 v63, v63, v63
	v_pk_min_f16 v61, v61, v83
	v_pk_min_f16 v69, v69, v84
	v_pk_min_f16 v67, v67, v85
	v_pk_min_f16 v65, v65, v86
	v_pk_min_f16 v63, v63, v88
	v_pk_add_f16 v83, v134, v136
	v_pk_max_f16 v56, v56, v56
	v_pk_add_f16 v84, v120, v138
	v_pk_max_f16 v64, v64, v64
	v_pk_add_f16 v85, v122, v138
	v_pk_max_f16 v62, v62, v62
	;; [unrolled: 15-line block ×3, first 2 shown]
	v_pk_add_f16 v86, v134, v138
	v_pk_max_f16 v55, v55, v55
	s_waitcnt lgkmcnt(1)
	v_pk_add_f16 v88, v120, v140
	v_pk_max_f16 v53, v53, v53
	v_pk_min_f16 v51, v51, v83
	v_pk_min_f16 v59, v59, v84
	v_pk_min_f16 v57, v57, v85
	v_pk_min_f16 v55, v55, v86
	v_pk_min_f16 v53, v53, v88
	v_pk_add_f16 v83, v122, v140
	v_pk_max_f16 v29, v29, v29
	v_pk_add_f16 v84, v124, v140
	v_pk_max_f16 v54, v54, v54
	v_pk_add_f16 v85, v126, v140
	v_pk_max_f16 v52, v52, v52
	v_pk_add_f16 v86, v128, v140
	v_pk_max_f16 v50, v50, v50
	v_pk_add_f16 v88, v130, v140
	v_pk_max_f16 v31, v31, v31
	v_pk_min_f16 v29, v29, v83
	v_pk_min_f16 v54, v54, v84
	v_pk_min_f16 v52, v52, v85
	v_pk_min_f16 v50, v50, v86
	v_pk_min_f16 v31, v31, v88
	v_pk_add_f16 v83, v132, v140
	v_pk_max_f16 v24, v24, v24
	v_pk_add_f16 v84, v134, v140
	v_pk_max_f16 v49, v49, v49
	v_pk_add_f16 v85, v120, v142
	v_pk_max_f16 v30, v30, v30
	v_pk_add_f16 v86, v122, v142
	v_pk_max_f16 v28, v28, v28
	v_pk_add_f16 v88, v124, v142
	v_pk_max_f16 v26, v26, v26
	v_pk_min_f16 v24, v24, v83
	v_pk_min_f16 v49, v49, v84
	v_pk_min_f16 v30, v30, v85
	v_pk_min_f16 v28, v28, v86
	v_pk_min_f16 v26, v26, v88
	v_pk_add_f16 v83, v126, v142
	v_pk_max_f16 v18, v18, v18
	v_pk_add_f16 v84, v128, v142
	v_pk_max_f16 v27, v27, v27
	v_pk_add_f16 v85, v130, v142
	v_pk_max_f16 v25, v25, v25
	v_pk_add_f16 v86, v132, v142
	v_pk_max_f16 v23, v23, v23
	v_pk_add_f16 v88, v134, v142
	v_pk_max_f16 v21, v21, v21
	v_pk_min_f16 v18, v18, v83
	v_pk_min_f16 v27, v27, v84
	;; [unrolled: 1-line block ×5, first 2 shown]
	s_waitcnt lgkmcnt(0)
	v_pk_add_f16 v83, v120, v144
	v_pk_max_f16 v12, v12, v12
	v_pk_add_f16 v84, v122, v144
	v_pk_max_f16 v22, v22, v22
	;; [unrolled: 2-line block ×5, first 2 shown]
	v_pk_min_f16 v12, v12, v83
	v_pk_min_f16 v22, v22, v84
	;; [unrolled: 1-line block ×5, first 2 shown]
	v_pk_add_f16 v83, v130, v144
	v_pk_max_f16 v6, v6, v6
	v_pk_add_f16 v84, v132, v144
	v_pk_max_f16 v15, v15, v15
	v_pk_add_f16 v85, v134, v144
	v_pk_max_f16 v13, v13, v13
	v_pk_add_f16 v86, v120, v146
	v_pk_max_f16 v10, v10, v10
	v_pk_add_f16 v88, v122, v146
	v_pk_max_f16 v8, v8, v8
	v_pk_min_f16 v6, v6, v83
	v_pk_min_f16 v15, v15, v84
	;; [unrolled: 1-line block ×5, first 2 shown]
	v_pk_add_f16 v83, v124, v146
	v_pk_max_f16 v4, v4, v4
	v_pk_add_f16 v84, v126, v146
	v_pk_max_f16 v9, v9, v9
	;; [unrolled: 2-line block ×5, first 2 shown]
	v_pk_max_f16 v81, v81, v81
	v_pk_min_f16 v4, v4, v83
	v_pk_min_f16 v9, v9, v84
	v_pk_min_f16 v7, v7, v85
	v_pk_min_f16 v5, v5, v86
	v_pk_min_f16 v3, v3, v88
	v_pk_add_f16 v83, v134, v146
	v_pk_max_f16 v2, v2, v2
	v_pk_add_f16 v84, v121, v89
	v_pk_add_f16 v85, v123, v89
	;; [unrolled: 1-line block ×4, first 2 shown]
	v_pk_min_f16 v80, v80, v92
	v_pk_min_f16 v82, v82, v93
	;; [unrolled: 1-line block ×8, first 2 shown]
	v_pk_add_f16 v11, v129, v89
	v_pk_add_f16 v17, v131, v89
	v_pk_add_f16 v19, v133, v89
	v_pk_add_f16 v79, v135, v89
	v_pk_add_f16 v83, v121, v91
	v_pk_min_f16 v112, v80, v11
	v_pk_min_f16 v109, v82, v17
	v_pk_min_f16 v108, v81, v19
	v_pk_min_f16 v106, v77, v79
	v_pk_min_f16 v105, v71, v83
	v_pk_add_f16 v11, v123, v91
	v_pk_add_f16 v17, v125, v91
	v_pk_add_f16 v19, v127, v91
	v_pk_add_f16 v71, v129, v91
	v_pk_add_f16 v77, v131, v91
	v_pk_min_f16 v104, v78, v11
	v_pk_min_f16 v103, v76, v17
	v_pk_min_f16 v102, v75, v19
	v_pk_min_f16 v101, v73, v71
	v_pk_min_f16 v100, v66, v77
	;; [unrolled: 10-line block ×11, first 2 shown]
	v_pk_add_f16 v4, v127, v147
	v_pk_add_f16 v6, v129, v147
	;; [unrolled: 1-line block ×5, first 2 shown]
	v_add_co_u32 v34, vcc_lo, v34, 16
	v_add_co_ci_u32_e32 v35, vcc_lo, 0, v35, vcc_lo
	v_add_co_u32 v110, vcc_lo, v110, s10
	v_pk_min_f16 v53, v9, v4
	v_pk_min_f16 v52, v7, v6
	;; [unrolled: 1-line block ×5, first 2 shown]
	v_add_co_ci_u32_e32 v111, vcc_lo, s11, v111, vcc_lo
	s_add_i32 s12, s12, 8
	ds_store_b16 v46, v117
	ds_store_b16 v47, v118
	ds_store_b16 v47, v119 offset:512
	ds_store_b16 v47, v0 offset:1024
	;; [unrolled: 1-line block ×3, first 2 shown]
	s_cmp_ge_i32 s12, s14
	s_waitcnt lgkmcnt(0)
	s_barrier
	buffer_gl0_inv
	s_cbranch_scc1 .LBB225_40
.LBB225_26:                             ; =>This Inner Loop Header: Depth=1
	v_mov_b32_e32 v117, 0
	s_and_b32 vcc_lo, exec_lo, s3
	s_cbranch_vccnz .LBB225_28
; %bb.27:                               ;   in Loop: Header=BB225_26 Depth=1
	flat_load_u16 v0, v[34:35]
	s_waitcnt vmcnt(0) lgkmcnt(0)
	v_mul_f16_e32 v117, v40, v0
.LBB225_28:                             ;   in Loop: Header=BB225_26 Depth=1
	s_and_b32 vcc_lo, exec_lo, s3
	s_cbranch_vccnz .LBB225_31
; %bb.29:                               ;   in Loop: Header=BB225_26 Depth=1
	v_add_co_u32 v0, vcc_lo, v110, v36
	v_add_co_ci_u32_e32 v1, vcc_lo, v111, v37, vcc_lo
	s_clause 0x1
	flat_load_u16 v2, v[0:1]
	flat_load_u16 v0, v[0:1] offset:128
	s_waitcnt vmcnt(1) lgkmcnt(1)
	v_mul_f16_e32 v118, v40, v2
	s_waitcnt vmcnt(0) lgkmcnt(0)
	v_mul_f16_e32 v119, v40, v0
	s_and_b32 vcc_lo, exec_lo, s3
	s_cbranch_vccnz .LBB225_32
.LBB225_30:                             ;   in Loop: Header=BB225_26 Depth=1
	v_add_co_u32 v0, vcc_lo, v110, v36
	v_add_co_ci_u32_e32 v1, vcc_lo, v111, v37, vcc_lo
	s_clause 0x1
	flat_load_u16 v2, v[0:1] offset:256
	flat_load_u16 v0, v[0:1] offset:384
	s_waitcnt vmcnt(1) lgkmcnt(1)
	v_mul_f16_e32 v120, v40, v2
	s_waitcnt vmcnt(0) lgkmcnt(0)
	v_mul_f16_e32 v121, v40, v0
	s_branch .LBB225_33
.LBB225_31:                             ;   in Loop: Header=BB225_26 Depth=1
	v_dual_mov_b32 v118, 0 :: v_dual_mov_b32 v119, 0
	s_and_b32 vcc_lo, exec_lo, s3
	s_cbranch_vccz .LBB225_30
.LBB225_32:                             ;   in Loop: Header=BB225_26 Depth=1
	v_dual_mov_b32 v120, 0 :: v_dual_mov_b32 v121, 0
.LBB225_33:                             ;   in Loop: Header=BB225_26 Depth=1
	ds_load_2addr_b64 v[12:15], v87 offset1:8
	ds_load_2addr_b64 v[8:11], v87 offset0:16 offset1:24
	ds_load_2addr_b64 v[4:7], v87 offset0:32 offset1:40
	;; [unrolled: 1-line block ×3, first 2 shown]
	ds_load_2addr_b64 v[28:31], v107 offset1:32
	ds_load_2addr_b64 v[24:27], v107 offset0:64 offset1:96
	ds_load_2addr_b64 v[20:23], v107 offset0:128 offset1:160
	;; [unrolled: 1-line block ×3, first 2 shown]
	s_mov_b32 vcc_lo, s4
	ds_store_b16 v44, v117
	ds_store_b16 v43, v118
	ds_store_b16 v43, v119 offset:512
	ds_store_b16 v43, v120 offset:1024
	;; [unrolled: 1-line block ×3, first 2 shown]
	s_waitcnt lgkmcnt(0)
	s_barrier
	buffer_gl0_inv
	s_cbranch_vccz .LBB225_36
; %bb.34:                               ;   in Loop: Header=BB225_26 Depth=1
	flat_load_u16 v117, v[34:35] offset:8
	s_waitcnt vmcnt(0) lgkmcnt(0)
	v_mul_f16_e32 v117, v40, v117
	s_and_b32 vcc_lo, exec_lo, s3
	s_cbranch_vccnz .LBB225_37
.LBB225_35:                             ;   in Loop: Header=BB225_26 Depth=1
	v_add_co_u32 v118, vcc_lo, v110, v32
	v_add_co_ci_u32_e32 v119, vcc_lo, v111, v33, vcc_lo
	s_clause 0x1
	flat_load_u16 v120, v[118:119]
	flat_load_u16 v119, v[118:119] offset:128
	s_waitcnt vmcnt(1) lgkmcnt(1)
	v_mul_f16_e32 v118, v40, v120
	s_waitcnt vmcnt(0) lgkmcnt(0)
	v_mul_f16_e32 v119, v40, v119
	s_branch .LBB225_38
.LBB225_36:                             ;   in Loop: Header=BB225_26 Depth=1
	v_mov_b32_e32 v117, 0
	s_and_b32 vcc_lo, exec_lo, s3
	s_cbranch_vccz .LBB225_35
.LBB225_37:                             ;   in Loop: Header=BB225_26 Depth=1
	v_dual_mov_b32 v118, 0 :: v_dual_mov_b32 v119, 0
.LBB225_38:                             ;   in Loop: Header=BB225_26 Depth=1
	v_pk_add_f16 v120, v12, v28
	v_pk_max_f16 v116, v116, v116
	v_pk_add_f16 v121, v14, v28
	v_pk_max_f16 v115, v115, v115
	;; [unrolled: 2-line block ×3, first 2 shown]
	v_pk_min_f16 v116, v116, v120
	v_pk_add_f16 v120, v10, v28
	v_pk_min_f16 v115, v115, v121
	v_pk_max_f16 v113, v113, v113
	v_pk_min_f16 v114, v114, v122
	v_pk_add_f16 v121, v4, v28
	v_pk_max_f16 v112, v112, v112
	v_pk_add_f16 v122, v6, v28
	v_pk_add_f16 v123, v0, v28
	;; [unrolled: 1-line block ×3, first 2 shown]
	v_pk_max_f16 v106, v106, v106
	v_pk_max_f16 v109, v109, v109
	;; [unrolled: 1-line block ×3, first 2 shown]
	v_pk_min_f16 v113, v113, v120
	v_pk_min_f16 v112, v112, v121
	;; [unrolled: 1-line block ×3, first 2 shown]
	v_pk_add_f16 v106, v12, v30
	v_pk_max_f16 v105, v105, v105
	v_pk_add_f16 v120, v14, v30
	v_pk_max_f16 v104, v104, v104
	;; [unrolled: 2-line block ×3, first 2 shown]
	v_pk_min_f16 v109, v109, v122
	v_pk_min_f16 v108, v108, v123
	v_pk_add_f16 v122, v10, v30
	v_pk_max_f16 v102, v102, v102
	v_pk_add_f16 v123, v4, v30
	v_pk_min_f16 v105, v105, v106
	v_pk_min_f16 v104, v104, v120
	;; [unrolled: 1-line block ×3, first 2 shown]
	v_pk_add_f16 v106, v6, v30
	v_pk_max_f16 v100, v100, v100
	v_pk_add_f16 v120, v0, v30
	v_pk_add_f16 v30, v2, v30
	v_pk_max_f16 v98, v98, v98
	v_pk_add_f16 v121, v12, v24
	v_pk_max_f16 v97, v97, v97
	v_pk_min_f16 v102, v102, v122
	v_pk_max_f16 v99, v99, v99
	v_pk_add_f16 v122, v14, v24
	v_pk_max_f16 v96, v96, v96
	v_pk_min_f16 v100, v100, v106
	v_pk_min_f16 v30, v98, v30
	;; [unrolled: 1-line block ×3, first 2 shown]
	v_pk_add_f16 v98, v8, v24
	v_pk_max_f16 v95, v95, v95
	v_pk_add_f16 v106, v10, v24
	v_pk_max_f16 v94, v94, v94
	;; [unrolled: 2-line block ×3, first 2 shown]
	v_pk_min_f16 v99, v99, v120
	v_pk_min_f16 v96, v96, v122
	v_pk_add_f16 v120, v4, v24
	v_pk_max_f16 v93, v93, v93
	v_pk_add_f16 v122, v0, v24
	v_pk_min_f16 v95, v95, v98
	v_pk_min_f16 v94, v94, v106
	;; [unrolled: 1-line block ×3, first 2 shown]
	v_pk_add_f16 v24, v2, v24
	v_pk_max_f16 v90, v90, v90
	v_pk_add_f16 v98, v12, v26
	v_pk_max_f16 v89, v89, v89
	v_pk_add_f16 v106, v14, v26
	v_pk_max_f16 v88, v88, v88
	v_pk_add_f16 v121, v10, v26
	v_pk_max_f16 v85, v85, v85
	v_pk_min_f16 v93, v93, v120
	v_pk_add_f16 v120, v8, v26
	v_pk_min_f16 v24, v90, v24
	v_pk_min_f16 v89, v89, v98
	;; [unrolled: 1-line block ×4, first 2 shown]
	v_pk_add_f16 v85, v4, v26
	v_pk_add_f16 v98, v6, v26
	;; [unrolled: 1-line block ×3, first 2 shown]
	v_pk_max_f16 v82, v82, v82
	v_pk_add_f16 v26, v2, v26
	v_pk_max_f16 v81, v81, v81
	v_pk_max_f16 v101, v101, v101
	;; [unrolled: 1-line block ×5, first 2 shown]
	v_pk_min_f16 v106, v82, v106
	v_pk_min_f16 v26, v81, v26
	v_pk_add_f16 v81, v8, v20
	v_pk_max_f16 v78, v78, v78
	v_pk_add_f16 v82, v10, v20
	v_pk_max_f16 v77, v77, v77
	v_pk_min_f16 v101, v101, v123
	v_pk_min_f16 v86, v86, v120
	v_pk_add_f16 v120, v12, v20
	v_pk_max_f16 v80, v80, v80
	v_pk_min_f16 v121, v84, v85
	v_pk_min_f16 v98, v83, v98
	v_pk_add_f16 v83, v4, v20
	v_pk_max_f16 v76, v76, v76
	v_pk_add_f16 v84, v6, v20
	v_pk_max_f16 v75, v75, v75
	v_pk_min_f16 v123, v78, v81
	v_pk_min_f16 v124, v77, v82
	v_pk_add_f16 v77, v14, v22
	v_pk_max_f16 v71, v71, v71
	v_pk_add_f16 v78, v8, v22
	v_pk_max_f16 v70, v70, v70
	v_pk_min_f16 v120, v80, v120
	v_pk_add_f16 v80, v14, v20
	v_pk_min_f16 v125, v76, v83
	v_pk_min_f16 v126, v75, v84
	v_pk_add_f16 v75, v0, v20
	v_pk_add_f16 v20, v2, v20
	v_pk_max_f16 v73, v73, v73
	v_pk_add_f16 v76, v12, v22
	v_pk_max_f16 v72, v72, v72
	v_pk_min_f16 v129, v71, v77
	v_pk_min_f16 v130, v70, v78
	v_pk_add_f16 v70, v10, v22
	v_pk_max_f16 v69, v69, v69
	v_pk_add_f16 v71, v4, v22
	v_pk_max_f16 v68, v68, v68
	v_pk_min_f16 v20, v73, v20
	v_pk_min_f16 v128, v72, v76
	v_pk_add_f16 v72, v6, v22
	v_pk_max_f16 v67, v67, v67
	v_pk_add_f16 v73, v0, v22
	v_pk_max_f16 v66, v66, v66
	v_pk_add_f16 v22, v2, v22
	v_pk_max_f16 v65, v65, v65
	v_pk_min_f16 v131, v69, v70
	v_pk_min_f16 v132, v68, v71
	v_pk_add_f16 v68, v10, v16
	v_pk_max_f16 v61, v61, v61
	v_pk_add_f16 v69, v4, v16
	v_pk_max_f16 v60, v60, v60
	v_pk_min_f16 v133, v67, v72
	v_pk_min_f16 v134, v66, v73
	;; [unrolled: 1-line block ×3, first 2 shown]
	v_pk_add_f16 v65, v12, v16
	v_pk_add_f16 v66, v14, v16
	;; [unrolled: 1-line block ×3, first 2 shown]
	v_pk_min_f16 v138, v61, v68
	v_pk_min_f16 v139, v60, v69
	v_pk_add_f16 v60, v6, v16
	v_pk_add_f16 v61, v0, v16
	;; [unrolled: 1-line block ×3, first 2 shown]
	v_pk_max_f16 v57, v57, v57
	v_pk_add_f16 v12, v12, v18
	v_pk_max_f16 v56, v56, v56
	v_pk_add_f16 v14, v14, v18
	v_pk_max_f16 v55, v55, v55
	v_pk_min_f16 v142, v57, v16
	v_pk_add_f16 v8, v8, v18
	v_pk_min_f16 v143, v56, v12
	v_pk_max_f16 v12, v54, v54
	v_pk_add_f16 v4, v4, v18
	v_pk_max_f16 v16, v52, v52
	v_pk_min_f16 v144, v55, v14
	v_pk_add_f16 v10, v10, v18
	v_pk_max_f16 v14, v53, v53
	v_pk_add_f16 v6, v6, v18
	v_pk_max_f16 v51, v51, v51
	v_pk_min_f16 v145, v12, v8
	v_pk_min_f16 v147, v16, v4
	v_pk_add_f16 v2, v2, v18
	v_pk_max_f16 v4, v49, v49
	v_pk_add_f16 v8, v15, v29
	v_pk_max_f16 v91, v91, v91
	v_pk_max_f16 v79, v79, v79
	v_pk_min_f16 v146, v14, v10
	v_pk_min_f16 v148, v51, v6
	v_pk_add_f16 v6, v13, v29
	v_pk_add_f16 v10, v9, v29
	v_pk_min_f16 v2, v4, v2
	v_pk_min_f16 v82, v115, v8
	v_pk_add_f16 v4, v5, v29
	v_pk_add_f16 v8, v1, v29
	v_pk_min_f16 v91, v91, v122
	v_pk_min_f16 v122, v79, v80
	v_pk_max_f16 v74, v74, v74
	v_pk_add_f16 v12, v11, v29
	v_pk_min_f16 v84, v116, v6
	v_pk_min_f16 v80, v114, v10
	v_pk_add_f16 v6, v7, v29
	v_pk_add_f16 v10, v3, v29
	v_pk_min_f16 v85, v112, v4
	v_pk_min_f16 v81, v108, v8
	v_pk_add_f16 v4, v15, v31
	;; [unrolled: 4-line block ×3, first 2 shown]
	v_pk_min_f16 v83, v109, v6
	v_pk_min_f16 v77, v28, v10
	v_pk_add_f16 v6, v9, v31
	v_pk_add_f16 v10, v5, v31
	v_pk_min_f16 v78, v104, v4
	v_pk_min_f16 v75, v102, v8
	v_pk_add_f16 v4, v1, v31
	v_pk_add_f16 v8, v13, v25
	v_pk_max_f16 v64, v64, v64
	v_pk_max_f16 v63, v63, v63
	v_pk_min_f16 v71, v105, v12
	v_pk_add_f16 v12, v7, v31
	v_pk_min_f16 v76, v103, v6
	v_pk_min_f16 v73, v101, v10
	v_pk_add_f16 v6, v3, v31
	v_pk_add_f16 v10, v15, v25
	v_pk_min_f16 v74, v99, v4
	v_pk_min_f16 v70, v97, v8
	v_pk_add_f16 v4, v11, v25
	v_pk_add_f16 v8, v7, v25
	v_pk_max_f16 v62, v62, v62
	v_pk_min_f16 v135, v64, v65
	v_pk_min_f16 v136, v63, v66
	v_pk_max_f16 v59, v59, v59
	v_pk_max_f16 v58, v58, v58
	v_pk_min_f16 v66, v100, v12
	v_pk_add_f16 v12, v9, v25
	v_pk_min_f16 v72, v30, v6
	v_pk_min_f16 v68, v96, v10
	v_pk_add_f16 v6, v5, v25
	v_pk_add_f16 v10, v1, v25
	v_pk_min_f16 v69, v94, v4
	v_pk_min_f16 v65, v92, v8
	v_pk_add_f16 v4, v13, v27
	v_pk_add_f16 v8, v9, v27
	v_pk_min_f16 v137, v62, v67
	v_pk_min_f16 v140, v59, v60
	;; [unrolled: 1-line block ×4, first 2 shown]
	v_pk_add_f16 v12, v3, v25
	v_pk_min_f16 v67, v93, v6
	v_pk_min_f16 v63, v91, v10
	v_pk_add_f16 v6, v15, v27
	v_pk_add_f16 v10, v11, v27
	v_pk_min_f16 v64, v89, v4
	v_pk_min_f16 v60, v86, v8
	v_pk_add_f16 v4, v7, v27
	v_pk_add_f16 v8, v3, v27
	v_pk_add_f16 v0, v0, v18
	v_pk_max_f16 v50, v50, v50
	v_pk_min_f16 v56, v24, v12
	v_pk_add_f16 v12, v5, v27
	v_pk_min_f16 v62, v88, v6
	v_pk_min_f16 v58, v90, v10
	v_pk_add_f16 v6, v1, v27
	v_pk_add_f16 v10, v13, v21
	v_pk_min_f16 v59, v98, v4
	v_pk_min_f16 v55, v26, v8
	v_pk_add_f16 v4, v9, v21
	;; [unrolled: 4-line block ×3, first 2 shown]
	v_pk_min_f16 v57, v106, v6
	v_pk_min_f16 v53, v120, v10
	v_pk_add_f16 v6, v11, v21
	v_pk_add_f16 v10, v7, v21
	v_pk_min_f16 v54, v123, v4
	v_pk_min_f16 v50, v125, v8
	v_pk_add_f16 v4, v3, v21
	v_pk_add_f16 v8, v15, v23
	v_pk_min_f16 v29, v122, v12
	v_pk_add_f16 v12, v1, v21
	v_pk_min_f16 v52, v124, v6
	v_pk_min_f16 v31, v126, v10
	v_pk_add_f16 v6, v13, v23
	v_pk_add_f16 v10, v9, v23
	v_pk_min_f16 v49, v20, v4
	v_pk_min_f16 v28, v129, v8
	v_pk_add_f16 v4, v5, v23
	v_pk_add_f16 v8, v1, v23
	v_pk_min_f16 v24, v127, v12
	v_pk_add_f16 v12, v11, v23
	;; [unrolled: 10-line block ×3, first 2 shown]
	v_pk_min_f16 v25, v133, v6
	v_pk_min_f16 v21, v22, v10
	v_pk_add_f16 v6, v9, v17
	v_pk_add_f16 v10, v5, v17
	;; [unrolled: 1-line block ×3, first 2 shown]
	v_pk_min_f16 v22, v136, v4
	v_pk_min_f16 v16, v138, v8
	v_pk_add_f16 v4, v1, v17
	v_pk_add_f16 v8, v3, v17
	;; [unrolled: 1-line block ×4, first 2 shown]
	v_pk_min_f16 v14, v139, v10
	v_pk_add_f16 v10, v13, v19
	v_pk_min_f16 v15, v141, v4
	v_pk_min_f16 v13, v142, v8
	;; [unrolled: 1-line block ×4, first 2 shown]
	v_pk_add_f16 v9, v11, v19
	v_pk_add_f16 v5, v5, v19
	;; [unrolled: 1-line block ×5, first 2 shown]
	v_pk_min_f16 v12, v135, v12
	v_pk_min_f16 v20, v137, v6
	;; [unrolled: 1-line block ×9, first 2 shown]
	s_and_b32 vcc_lo, exec_lo, s3
	s_cbranch_vccz .LBB225_24
; %bb.39:                               ;   in Loop: Header=BB225_26 Depth=1
	v_dual_mov_b32 v0, 0 :: v_dual_mov_b32 v1, 0
	s_branch .LBB225_25
.LBB225_40:
	s_load_b32 s10, s[0:1], 0x58
	v_dual_mov_b32 v34, 0 :: v_dual_add_nc_u32 v87, s15, v39
	ds_load_b64 v[28:29], v41 offset:4608
	ds_load_b64 v[46:47], v42 offset:2048
	v_add_nc_u32_e32 v44, s5, v38
	v_cmp_neq_f16_e64 s3, 0, v48
	v_mov_b32_e32 v32, 0
	s_delay_alu instid0(VALU_DEP_3) | instskip(NEXT) | instid1(VALU_DEP_3)
	v_ashrrev_i32_e32 v45, 31, v44
	s_and_b32 vcc_lo, exec_lo, s3
	s_delay_alu instid0(VALU_DEP_1) | instskip(SKIP_2) | instid1(VALU_DEP_1)
	v_lshlrev_b64 v[30:31], 1, v[44:45]
	s_waitcnt lgkmcnt(0)
	v_mad_i64_i32 v[0:1], null, v87, s10, 0
	v_lshlrev_b64 v[0:1], 1, v[0:1]
	s_delay_alu instid0(VALU_DEP_1) | instskip(NEXT) | instid1(VALU_DEP_1)
	v_add_co_u32 v107, s4, s6, v0
	v_add_co_ci_u32_e64 v110, s4, s7, v1, s4
	s_cbranch_vccz .LBB225_42
; %bb.41:
	s_delay_alu instid0(VALU_DEP_2) | instskip(NEXT) | instid1(VALU_DEP_2)
	v_add_co_u32 v0, vcc_lo, v107, v30
	v_add_co_ci_u32_e32 v1, vcc_lo, v110, v31, vcc_lo
	flat_load_u16 v0, v[0:1]
	s_waitcnt vmcnt(0) lgkmcnt(0)
	v_mul_f16_e32 v32, v48, v0
.LBB225_42:
	s_clause 0x1
	s_load_b32 s4, s[0:1], 0x70
	s_load_b64 s[12:13], s[0:1], 0x78
	v_add_nc_u32_e32 v0, 0x1000, v41
	v_pk_add_f16 v1, v28, v46
	v_pk_max_f16 v2, v116, v116
	v_add_nc_u32_e32 v12, 0x800, v42
	ds_load_b64 v[24:25], v41 offset:5056
	ds_load_b64 v[26:27], v42 offset:3840
	ds_load_2addr_b64 v[8:11], v0 offset0:72 offset1:80
	ds_load_2addr_b64 v[4:7], v0 offset0:88 offset1:96
	v_pk_min_f16 v36, v2, v1
	ds_load_2addr_b64 v[0:3], v0 offset0:104 offset1:112
	ds_load_2addr_b64 v[20:23], v12 offset0:32 offset1:64
	;; [unrolled: 1-line block ×4, first 2 shown]
	v_pk_add_f16 v33, v29, v47
	v_add_nc_u32_e32 v35, 8, v44
	v_cndmask_b32_e64 v39, 0, 1, s3
	s_delay_alu instid0(VALU_DEP_3) | instskip(NEXT) | instid1(VALU_DEP_3)
	v_pk_min_f16 v33, v36, v33
	v_ashrrev_i32_e32 v36, 31, v35
	s_delay_alu instid0(VALU_DEP_3)
	v_cmp_ne_u32_e64 s0, 1, v39
	s_waitcnt lgkmcnt(0)
	v_mad_i64_i32 v[37:38], null, v87, s4, 0
	s_lshl_b64 s[12:13], s[12:13], 1
	v_lshrrev_b32_e32 v39, 16, v33
	s_add_u32 s1, s8, s12
	s_addc_u32 s5, s9, s13
	s_delay_alu instid0(VALU_DEP_1) | instskip(NEXT) | instid1(VALU_DEP_3)
	v_min3_f16 v39, v32, v33, v39
	v_lshlrev_b64 v[37:38], 1, v[37:38]
	v_lshlrev_b64 v[32:33], 1, v[35:36]
	s_delay_alu instid0(VALU_DEP_2) | instskip(NEXT) | instid1(VALU_DEP_3)
	v_add_co_u32 v111, vcc_lo, s1, v37
	v_add_co_ci_u32_e32 v116, vcc_lo, s5, v38, vcc_lo
	s_delay_alu instid0(VALU_DEP_2) | instskip(NEXT) | instid1(VALU_DEP_2)
	v_add_co_u32 v37, vcc_lo, v111, v30
	v_add_co_ci_u32_e32 v38, vcc_lo, v116, v31, vcc_lo
	s_and_not1_b32 vcc_lo, exec_lo, s3
	global_store_b16 v[37:38], v39, off
	s_cbranch_vccnz .LBB225_44
; %bb.43:
	v_add_co_u32 v34, vcc_lo, v107, v32
	v_add_co_ci_u32_e32 v35, vcc_lo, v110, v33, vcc_lo
	flat_load_u16 v34, v[34:35]
	s_waitcnt vmcnt(0) lgkmcnt(0)
	v_mul_f16_e32 v34, v48, v34
.LBB225_44:
	v_pk_add_f16 v35, v8, v46
	v_pk_max_f16 v36, v115, v115
	v_pk_add_f16 v37, v9, v47
	v_add_co_u32 v38, vcc_lo, v111, v32
	v_add_co_ci_u32_e32 v39, vcc_lo, v116, v33, vcc_lo
	s_delay_alu instid0(VALU_DEP_4) | instskip(SKIP_2) | instid1(VALU_DEP_2)
	v_pk_min_f16 v36, v36, v35
	v_add_nc_u32_e32 v35, 16, v44
	s_and_b32 vcc_lo, exec_lo, s0
	v_pk_min_f16 v40, v36, v37
	s_delay_alu instid0(VALU_DEP_2) | instskip(SKIP_1) | instid1(VALU_DEP_3)
	v_ashrrev_i32_e32 v36, 31, v35
	v_mov_b32_e32 v37, 0
	v_lshrrev_b32_e32 v41, 16, v40
	s_delay_alu instid0(VALU_DEP_1) | instskip(NEXT) | instid1(VALU_DEP_4)
	v_min3_f16 v40, v34, v40, v41
	v_lshlrev_b64 v[34:35], 1, v[35:36]
	v_mov_b32_e32 v36, 0
	global_store_b16 v[38:39], v40, off
	s_cbranch_vccnz .LBB225_46
; %bb.45:
	v_add_co_u32 v38, vcc_lo, v107, v34
	v_add_co_ci_u32_e32 v39, vcc_lo, v110, v35, vcc_lo
	flat_load_u16 v36, v[38:39]
	s_waitcnt vmcnt(0) lgkmcnt(0)
	v_mul_f16_e32 v36, v48, v36
.LBB225_46:
	v_pk_add_f16 v38, v10, v46
	v_pk_max_f16 v39, v114, v114
	v_pk_add_f16 v40, v11, v47
	v_add_co_u32 v42, vcc_lo, v111, v34
	v_add_co_ci_u32_e32 v43, vcc_lo, v116, v35, vcc_lo
	s_delay_alu instid0(VALU_DEP_4) | instskip(SKIP_2) | instid1(VALU_DEP_2)
	v_pk_min_f16 v39, v39, v38
	v_add_nc_u32_e32 v38, 24, v44
	s_and_b32 vcc_lo, exec_lo, s0
	v_pk_min_f16 v40, v39, v40
	s_delay_alu instid0(VALU_DEP_2) | instskip(NEXT) | instid1(VALU_DEP_2)
	v_ashrrev_i32_e32 v39, 31, v38
	v_lshrrev_b32_e32 v41, 16, v40
	s_delay_alu instid0(VALU_DEP_1) | instskip(NEXT) | instid1(VALU_DEP_3)
	v_min3_f16 v36, v36, v40, v41
	v_lshlrev_b64 v[40:41], 1, v[38:39]
	global_store_b16 v[42:43], v36, off
	s_cbranch_vccnz .LBB225_48
; %bb.47:
	v_add_co_u32 v36, vcc_lo, v107, v40
	v_add_co_ci_u32_e32 v37, vcc_lo, v110, v41, vcc_lo
	flat_load_u16 v36, v[36:37]
	s_waitcnt vmcnt(0) lgkmcnt(0)
	v_mul_f16_e32 v37, v48, v36
.LBB225_48:
	v_pk_add_f16 v36, v4, v46
	v_pk_max_f16 v38, v113, v113
	v_pk_add_f16 v39, v5, v47
	v_add_co_u32 v113, vcc_lo, v111, v40
	v_add_co_ci_u32_e32 v114, vcc_lo, v116, v41, vcc_lo
	s_delay_alu instid0(VALU_DEP_4) | instskip(SKIP_2) | instid1(VALU_DEP_2)
	v_pk_min_f16 v36, v38, v36
	v_add_nc_u32_e32 v38, 32, v44
	s_and_b32 vcc_lo, exec_lo, s0
	v_pk_min_f16 v42, v36, v39
	v_mov_b32_e32 v36, 0
	s_delay_alu instid0(VALU_DEP_2) | instskip(NEXT) | instid1(VALU_DEP_1)
	v_lshrrev_b32_e32 v43, 16, v42
	v_min3_f16 v45, v37, v42, v43
	v_mov_b32_e32 v37, 0
	v_ashrrev_i32_e32 v39, 31, v38
	global_store_b16 v[113:114], v45, off
	v_lshlrev_b64 v[42:43], 1, v[38:39]
	s_cbranch_vccnz .LBB225_50
; %bb.49:
	s_delay_alu instid0(VALU_DEP_1) | instskip(NEXT) | instid1(VALU_DEP_2)
	v_add_co_u32 v37, vcc_lo, v107, v42
	v_add_co_ci_u32_e32 v38, vcc_lo, v110, v43, vcc_lo
	flat_load_u16 v37, v[37:38]
	s_waitcnt vmcnt(0) lgkmcnt(0)
	v_mul_f16_e32 v37, v48, v37
.LBB225_50:
	v_pk_add_f16 v38, v6, v46
	v_pk_max_f16 v39, v112, v112
	v_pk_add_f16 v45, v7, v47
	s_delay_alu instid0(VALU_DEP_4) | instskip(SKIP_1) | instid1(VALU_DEP_4)
	v_add_co_u32 v112, vcc_lo, v111, v42
	v_add_co_ci_u32_e32 v113, vcc_lo, v116, v43, vcc_lo
	v_pk_min_f16 v39, v39, v38
	v_add_nc_u32_e32 v38, 40, v44
	s_and_b32 vcc_lo, exec_lo, s0
	s_delay_alu instid0(VALU_DEP_2) | instskip(NEXT) | instid1(VALU_DEP_2)
	v_pk_min_f16 v45, v39, v45
	v_ashrrev_i32_e32 v39, 31, v38
	s_delay_alu instid0(VALU_DEP_2) | instskip(NEXT) | instid1(VALU_DEP_2)
	v_lshrrev_b32_e32 v114, 16, v45
	v_lshlrev_b64 v[38:39], 1, v[38:39]
	s_delay_alu instid0(VALU_DEP_2)
	v_min3_f16 v37, v37, v45, v114
	global_store_b16 v[112:113], v37, off
	s_cbranch_vccnz .LBB225_52
; %bb.51:
	v_add_co_u32 v36, vcc_lo, v107, v38
	v_add_co_ci_u32_e32 v37, vcc_lo, v110, v39, vcc_lo
	flat_load_u16 v36, v[36:37]
	s_waitcnt vmcnt(0) lgkmcnt(0)
	v_mul_f16_e32 v36, v48, v36
.LBB225_52:
	v_pk_add_f16 v37, v0, v46
	v_pk_max_f16 v45, v109, v109
	v_pk_add_f16 v109, v1, v47
	v_add_nc_u32_e32 v112, 48, v44
	v_add_co_u32 v114, vcc_lo, v111, v38
	s_delay_alu instid0(VALU_DEP_4) | instskip(SKIP_2) | instid1(VALU_DEP_2)
	v_pk_min_f16 v37, v45, v37
	v_add_co_ci_u32_e32 v115, vcc_lo, v116, v39, vcc_lo
	s_and_b32 vcc_lo, exec_lo, s0
	v_pk_min_f16 v37, v37, v109
	v_mov_b32_e32 v109, 0
	v_ashrrev_i32_e32 v113, 31, v112
	s_delay_alu instid0(VALU_DEP_3) | instskip(NEXT) | instid1(VALU_DEP_1)
	v_lshrrev_b32_e32 v45, 16, v37
	v_min3_f16 v117, v36, v37, v45
	s_delay_alu instid0(VALU_DEP_3)
	v_lshlrev_b64 v[36:37], 1, v[112:113]
	v_mov_b32_e32 v45, 0
	global_store_b16 v[114:115], v117, off
	s_cbranch_vccnz .LBB225_54
; %bb.53:
	v_add_co_u32 v112, vcc_lo, v107, v36
	v_add_co_ci_u32_e32 v113, vcc_lo, v110, v37, vcc_lo
	flat_load_u16 v45, v[112:113]
	s_waitcnt vmcnt(0) lgkmcnt(0)
	v_mul_f16_e32 v45, v48, v45
.LBB225_54:
	v_pk_add_f16 v112, v2, v46
	v_pk_max_f16 v108, v108, v108
	v_pk_add_f16 v113, v3, v47
	v_add_co_u32 v114, vcc_lo, v111, v36
	v_add_co_ci_u32_e32 v115, vcc_lo, v116, v37, vcc_lo
	s_delay_alu instid0(VALU_DEP_4) | instskip(SKIP_2) | instid1(VALU_DEP_2)
	v_pk_min_f16 v108, v108, v112
	v_add_nc_u32_e32 v112, 56, v44
	s_and_b32 vcc_lo, exec_lo, s0
	v_pk_min_f16 v44, v108, v113
	s_delay_alu instid0(VALU_DEP_2) | instskip(NEXT) | instid1(VALU_DEP_2)
	v_ashrrev_i32_e32 v113, 31, v112
	v_lshrrev_b32_e32 v108, 16, v44
	s_delay_alu instid0(VALU_DEP_1) | instskip(NEXT) | instid1(VALU_DEP_3)
	v_min3_f16 v108, v45, v44, v108
	v_lshlrev_b64 v[44:45], 1, v[112:113]
	global_store_b16 v[114:115], v108, off
	s_cbranch_vccnz .LBB225_56
; %bb.55:
	v_add_co_u32 v107, vcc_lo, v107, v44
	v_add_co_ci_u32_e32 v108, vcc_lo, v110, v45, vcc_lo
	flat_load_u16 v107, v[107:108]
	s_waitcnt vmcnt(0) lgkmcnt(0)
	v_mul_f16_e32 v109, v48, v107
.LBB225_56:
	v_add_nc_u32_e32 v108, 32, v87
	v_pk_add_f16 v46, v24, v46
	v_pk_max_f16 v110, v106, v106
	v_pk_add_f16 v47, v25, v47
	s_delay_alu instid0(VALU_DEP_4) | instskip(NEXT) | instid1(VALU_DEP_3)
	v_mad_i64_i32 v[106:107], null, v108, s10, 0
	v_pk_min_f16 v46, v110, v46
	v_add_co_u32 v110, vcc_lo, v111, v44
	v_add_co_ci_u32_e32 v111, vcc_lo, v116, v45, vcc_lo
	s_delay_alu instid0(VALU_DEP_3) | instskip(SKIP_2) | instid1(VALU_DEP_3)
	v_pk_min_f16 v112, v46, v47
	v_lshlrev_b64 v[46:47], 1, v[106:107]
	v_mov_b32_e32 v107, 0
	v_lshrrev_b32_e32 v106, 16, v112
	s_delay_alu instid0(VALU_DEP_3) | instskip(NEXT) | instid1(VALU_DEP_4)
	v_add_co_u32 v46, vcc_lo, s6, v46
	v_add_co_ci_u32_e32 v47, vcc_lo, s7, v47, vcc_lo
	s_delay_alu instid0(VALU_DEP_3)
	v_min3_f16 v106, v109, v112, v106
	v_mov_b32_e32 v109, 0
	s_and_b32 vcc_lo, exec_lo, s0
	global_store_b16 v[110:111], v106, off
	s_cbranch_vccnz .LBB225_58
; %bb.57:
	v_add_co_u32 v109, vcc_lo, v46, v30
	v_add_co_ci_u32_e32 v110, vcc_lo, v47, v31, vcc_lo
	flat_load_u16 v106, v[109:110]
	s_waitcnt vmcnt(0) lgkmcnt(0)
	v_mul_f16_e32 v109, v48, v106
.LBB225_58:
	v_pk_add_f16 v110, v28, v20
	v_pk_max_f16 v111, v105, v105
	v_mad_i64_i32 v[105:106], null, v108, s4, 0
	v_pk_add_f16 v108, v29, v21
	s_delay_alu instid0(VALU_DEP_3) | instskip(NEXT) | instid1(VALU_DEP_3)
	v_pk_min_f16 v110, v111, v110
	v_lshlrev_b64 v[105:106], 1, v[105:106]
	s_delay_alu instid0(VALU_DEP_2) | instskip(NEXT) | instid1(VALU_DEP_2)
	v_pk_min_f16 v108, v110, v108
	v_add_co_u32 v105, vcc_lo, s1, v105
	s_delay_alu instid0(VALU_DEP_2) | instskip(NEXT) | instid1(VALU_DEP_4)
	v_lshrrev_b32_e32 v110, 16, v108
	v_add_co_ci_u32_e32 v106, vcc_lo, s5, v106, vcc_lo
	s_delay_alu instid0(VALU_DEP_2) | instskip(NEXT) | instid1(VALU_DEP_4)
	v_min3_f16 v110, v109, v108, v110
	v_add_co_u32 v108, vcc_lo, v105, v30
	s_delay_alu instid0(VALU_DEP_3)
	v_add_co_ci_u32_e32 v109, vcc_lo, v106, v31, vcc_lo
	s_and_b32 vcc_lo, exec_lo, s0
	global_store_b16 v[108:109], v110, off
	s_cbranch_vccnz .LBB225_60
; %bb.59:
	v_add_co_u32 v107, vcc_lo, v46, v32
	v_add_co_ci_u32_e32 v108, vcc_lo, v47, v33, vcc_lo
	flat_load_u16 v107, v[107:108]
	s_waitcnt vmcnt(0) lgkmcnt(0)
	v_mul_f16_e32 v107, v48, v107
.LBB225_60:
	v_pk_add_f16 v108, v8, v20
	v_pk_max_f16 v104, v104, v104
	v_pk_add_f16 v109, v9, v21
	s_delay_alu instid0(VALU_DEP_2) | instskip(SKIP_1) | instid1(VALU_DEP_2)
	v_pk_min_f16 v104, v104, v108
	v_add_co_u32 v108, vcc_lo, v105, v32
	v_pk_min_f16 v104, v104, v109
	v_add_co_ci_u32_e32 v109, vcc_lo, v106, v33, vcc_lo
	s_and_b32 vcc_lo, exec_lo, s0
	s_delay_alu instid0(VALU_DEP_2) | instskip(NEXT) | instid1(VALU_DEP_1)
	v_lshrrev_b32_e32 v110, 16, v104
	v_min3_f16 v110, v107, v104, v110
	v_dual_mov_b32 v104, 0 :: v_dual_mov_b32 v107, 0
	global_store_b16 v[108:109], v110, off
	s_cbranch_vccnz .LBB225_62
; %bb.61:
	v_add_co_u32 v107, vcc_lo, v46, v34
	v_add_co_ci_u32_e32 v108, vcc_lo, v47, v35, vcc_lo
	flat_load_u16 v107, v[107:108]
	s_waitcnt vmcnt(0) lgkmcnt(0)
	v_mul_f16_e32 v107, v48, v107
.LBB225_62:
	v_pk_add_f16 v108, v10, v20
	v_pk_max_f16 v103, v103, v103
	v_pk_add_f16 v109, v11, v21
	s_delay_alu instid0(VALU_DEP_2) | instskip(NEXT) | instid1(VALU_DEP_1)
	v_pk_min_f16 v103, v103, v108
	v_pk_min_f16 v103, v103, v109
	s_delay_alu instid0(VALU_DEP_1) | instskip(NEXT) | instid1(VALU_DEP_1)
	v_lshrrev_b32_e32 v108, 16, v103
	v_min3_f16 v103, v107, v103, v108
	v_add_co_u32 v107, vcc_lo, v105, v34
	v_add_co_ci_u32_e32 v108, vcc_lo, v106, v35, vcc_lo
	s_and_b32 vcc_lo, exec_lo, s0
	global_store_b16 v[107:108], v103, off
	s_cbranch_vccnz .LBB225_64
; %bb.63:
	v_add_co_u32 v103, vcc_lo, v46, v40
	v_add_co_ci_u32_e32 v104, vcc_lo, v47, v41, vcc_lo
	flat_load_u16 v103, v[103:104]
	s_waitcnt vmcnt(0) lgkmcnt(0)
	v_mul_f16_e32 v104, v48, v103
.LBB225_64:
	v_pk_add_f16 v103, v4, v20
	v_pk_max_f16 v102, v102, v102
	v_pk_add_f16 v107, v5, v21
	s_delay_alu instid0(VALU_DEP_2) | instskip(NEXT) | instid1(VALU_DEP_1)
	v_pk_min_f16 v102, v102, v103
	v_pk_min_f16 v102, v102, v107
	v_add_co_u32 v107, vcc_lo, v105, v40
	v_add_co_ci_u32_e32 v108, vcc_lo, v106, v41, vcc_lo
	s_delay_alu instid0(VALU_DEP_3) | instskip(SKIP_1) | instid1(VALU_DEP_1)
	v_lshrrev_b32_e32 v103, 16, v102
	s_and_b32 vcc_lo, exec_lo, s0
	v_min3_f16 v104, v104, v102, v103
	v_dual_mov_b32 v102, 0 :: v_dual_mov_b32 v103, 0
	global_store_b16 v[107:108], v104, off
	s_cbranch_vccnz .LBB225_66
; %bb.65:
	v_add_co_u32 v103, vcc_lo, v46, v42
	v_add_co_ci_u32_e32 v104, vcc_lo, v47, v43, vcc_lo
	flat_load_u16 v103, v[103:104]
	s_waitcnt vmcnt(0) lgkmcnt(0)
	v_mul_f16_e32 v103, v48, v103
.LBB225_66:
	v_pk_add_f16 v104, v6, v20
	v_pk_max_f16 v101, v101, v101
	v_pk_add_f16 v107, v7, v21
	s_delay_alu instid0(VALU_DEP_2) | instskip(NEXT) | instid1(VALU_DEP_1)
	v_pk_min_f16 v101, v101, v104
	v_pk_min_f16 v101, v101, v107
	s_delay_alu instid0(VALU_DEP_1) | instskip(NEXT) | instid1(VALU_DEP_1)
	v_lshrrev_b32_e32 v104, 16, v101
	v_min3_f16 v101, v103, v101, v104
	v_add_co_u32 v103, vcc_lo, v105, v42
	v_add_co_ci_u32_e32 v104, vcc_lo, v106, v43, vcc_lo
	s_and_b32 vcc_lo, exec_lo, s0
	global_store_b16 v[103:104], v101, off
	s_cbranch_vccnz .LBB225_68
; %bb.67:
	v_add_co_u32 v101, vcc_lo, v46, v38
	v_add_co_ci_u32_e32 v102, vcc_lo, v47, v39, vcc_lo
	flat_load_u16 v101, v[101:102]
	s_waitcnt vmcnt(0) lgkmcnt(0)
	v_mul_f16_e32 v102, v48, v101
.LBB225_68:
	v_pk_add_f16 v101, v0, v20
	v_pk_max_f16 v100, v100, v100
	v_pk_add_f16 v103, v1, v21
	s_delay_alu instid0(VALU_DEP_2) | instskip(NEXT) | instid1(VALU_DEP_1)
	v_pk_min_f16 v100, v100, v101
	v_pk_min_f16 v100, v100, v103
	v_add_co_u32 v103, vcc_lo, v105, v38
	v_add_co_ci_u32_e32 v104, vcc_lo, v106, v39, vcc_lo
	s_delay_alu instid0(VALU_DEP_3) | instskip(SKIP_1) | instid1(VALU_DEP_1)
	v_lshrrev_b32_e32 v101, 16, v100
	s_and_b32 vcc_lo, exec_lo, s0
	v_min3_f16 v102, v102, v100, v101
	v_dual_mov_b32 v100, 0 :: v_dual_mov_b32 v101, 0
	global_store_b16 v[103:104], v102, off
	s_cbranch_vccnz .LBB225_70
; %bb.69:
	v_add_co_u32 v101, vcc_lo, v46, v36
	v_add_co_ci_u32_e32 v102, vcc_lo, v47, v37, vcc_lo
	flat_load_u16 v101, v[101:102]
	s_waitcnt vmcnt(0) lgkmcnt(0)
	v_mul_f16_e32 v101, v48, v101
.LBB225_70:
	v_pk_add_f16 v102, v2, v20
	v_pk_max_f16 v99, v99, v99
	v_pk_add_f16 v103, v3, v21
	s_delay_alu instid0(VALU_DEP_2) | instskip(NEXT) | instid1(VALU_DEP_1)
	v_pk_min_f16 v99, v99, v102
	v_pk_min_f16 v99, v99, v103
	s_delay_alu instid0(VALU_DEP_1) | instskip(NEXT) | instid1(VALU_DEP_1)
	v_lshrrev_b32_e32 v102, 16, v99
	v_min3_f16 v99, v101, v99, v102
	v_add_co_u32 v101, vcc_lo, v105, v36
	v_add_co_ci_u32_e32 v102, vcc_lo, v106, v37, vcc_lo
	s_and_b32 vcc_lo, exec_lo, s0
	global_store_b16 v[101:102], v99, off
	s_cbranch_vccnz .LBB225_72
; %bb.71:
	v_add_co_u32 v46, vcc_lo, v46, v44
	v_add_co_ci_u32_e32 v47, vcc_lo, v47, v45, vcc_lo
	flat_load_u16 v46, v[46:47]
	s_waitcnt vmcnt(0) lgkmcnt(0)
	v_mul_f16_e32 v100, v48, v46
.LBB225_72:
	v_add_nc_u32_e32 v46, 64, v87
	v_pk_add_f16 v20, v24, v20
	v_pk_max_f16 v47, v98, v98
	v_pk_add_f16 v21, v25, v21
	v_add_co_u32 v101, vcc_lo, v105, v44
	v_mad_i64_i32 v[98:99], null, v46, s10, 0
	s_delay_alu instid0(VALU_DEP_4) | instskip(SKIP_1) | instid1(VALU_DEP_2)
	v_pk_min_f16 v20, v47, v20
	v_add_co_ci_u32_e32 v102, vcc_lo, v106, v45, vcc_lo
	v_pk_min_f16 v47, v20, v21
	s_delay_alu instid0(VALU_DEP_4) | instskip(SKIP_1) | instid1(VALU_DEP_3)
	v_lshlrev_b64 v[20:21], 1, v[98:99]
	v_mov_b32_e32 v99, 0
	v_lshrrev_b32_e32 v98, 16, v47
	s_delay_alu instid0(VALU_DEP_3) | instskip(NEXT) | instid1(VALU_DEP_4)
	v_add_co_u32 v20, vcc_lo, s6, v20
	v_add_co_ci_u32_e32 v21, vcc_lo, s7, v21, vcc_lo
	s_delay_alu instid0(VALU_DEP_3)
	v_min3_f16 v47, v100, v47, v98
	v_mov_b32_e32 v98, 0
	s_and_b32 vcc_lo, exec_lo, s0
	global_store_b16 v[101:102], v47, off
	s_cbranch_vccnz .LBB225_74
; %bb.73:
	v_add_co_u32 v99, vcc_lo, v20, v30
	v_add_co_ci_u32_e32 v100, vcc_lo, v21, v31, vcc_lo
	flat_load_u16 v47, v[99:100]
	s_waitcnt vmcnt(0) lgkmcnt(0)
	v_mul_f16_e32 v99, v48, v47
.LBB225_74:
	v_pk_add_f16 v47, v28, v22
	v_pk_max_f16 v97, v97, v97
	v_mad_i64_i32 v[100:101], null, v46, s4, 0
	v_pk_add_f16 v46, v29, v23
	s_delay_alu instid0(VALU_DEP_3) | instskip(NEXT) | instid1(VALU_DEP_1)
	v_pk_min_f16 v47, v97, v47
	v_pk_min_f16 v97, v47, v46
	s_delay_alu instid0(VALU_DEP_4) | instskip(NEXT) | instid1(VALU_DEP_2)
	v_lshlrev_b64 v[46:47], 1, v[100:101]
	v_lshrrev_b32_e32 v100, 16, v97
	s_delay_alu instid0(VALU_DEP_2) | instskip(NEXT) | instid1(VALU_DEP_3)
	v_add_co_u32 v46, vcc_lo, s1, v46
	v_add_co_ci_u32_e32 v47, vcc_lo, s5, v47, vcc_lo
	s_delay_alu instid0(VALU_DEP_3) | instskip(NEXT) | instid1(VALU_DEP_3)
	v_min3_f16 v97, v99, v97, v100
	v_add_co_u32 v99, vcc_lo, v46, v30
	s_delay_alu instid0(VALU_DEP_3)
	v_add_co_ci_u32_e32 v100, vcc_lo, v47, v31, vcc_lo
	s_and_b32 vcc_lo, exec_lo, s0
	global_store_b16 v[99:100], v97, off
	s_cbranch_vccnz .LBB225_76
; %bb.75:
	v_add_co_u32 v97, vcc_lo, v20, v32
	v_add_co_ci_u32_e32 v98, vcc_lo, v21, v33, vcc_lo
	flat_load_u16 v97, v[97:98]
	s_waitcnt vmcnt(0) lgkmcnt(0)
	v_mul_f16_e32 v98, v48, v97
.LBB225_76:
	v_pk_add_f16 v97, v8, v22
	v_pk_max_f16 v96, v96, v96
	v_pk_add_f16 v99, v9, v23
	s_delay_alu instid0(VALU_DEP_2) | instskip(NEXT) | instid1(VALU_DEP_1)
	v_pk_min_f16 v96, v96, v97
	v_pk_min_f16 v96, v96, v99
	v_add_co_u32 v99, vcc_lo, v46, v32
	v_add_co_ci_u32_e32 v100, vcc_lo, v47, v33, vcc_lo
	s_delay_alu instid0(VALU_DEP_3) | instskip(SKIP_1) | instid1(VALU_DEP_1)
	v_lshrrev_b32_e32 v97, 16, v96
	s_and_b32 vcc_lo, exec_lo, s0
	v_min3_f16 v98, v98, v96, v97
	v_dual_mov_b32 v96, 0 :: v_dual_mov_b32 v97, 0
	global_store_b16 v[99:100], v98, off
	s_cbranch_vccnz .LBB225_78
; %bb.77:
	v_add_co_u32 v97, vcc_lo, v20, v34
	v_add_co_ci_u32_e32 v98, vcc_lo, v21, v35, vcc_lo
	flat_load_u16 v97, v[97:98]
	s_waitcnt vmcnt(0) lgkmcnt(0)
	v_mul_f16_e32 v97, v48, v97
.LBB225_78:
	v_pk_add_f16 v98, v10, v22
	v_pk_max_f16 v95, v95, v95
	v_pk_add_f16 v99, v11, v23
	s_delay_alu instid0(VALU_DEP_2) | instskip(NEXT) | instid1(VALU_DEP_1)
	v_pk_min_f16 v95, v95, v98
	v_pk_min_f16 v95, v95, v99
	s_delay_alu instid0(VALU_DEP_1) | instskip(NEXT) | instid1(VALU_DEP_1)
	v_lshrrev_b32_e32 v98, 16, v95
	v_min3_f16 v95, v97, v95, v98
	v_add_co_u32 v97, vcc_lo, v46, v34
	v_add_co_ci_u32_e32 v98, vcc_lo, v47, v35, vcc_lo
	s_and_b32 vcc_lo, exec_lo, s0
	global_store_b16 v[97:98], v95, off
	s_cbranch_vccnz .LBB225_80
; %bb.79:
	v_add_co_u32 v95, vcc_lo, v20, v40
	v_add_co_ci_u32_e32 v96, vcc_lo, v21, v41, vcc_lo
	flat_load_u16 v95, v[95:96]
	s_waitcnt vmcnt(0) lgkmcnt(0)
	v_mul_f16_e32 v96, v48, v95
.LBB225_80:
	v_pk_add_f16 v95, v4, v22
	v_pk_max_f16 v94, v94, v94
	v_pk_add_f16 v97, v5, v23
	s_delay_alu instid0(VALU_DEP_2) | instskip(NEXT) | instid1(VALU_DEP_1)
	v_pk_min_f16 v94, v94, v95
	v_pk_min_f16 v94, v94, v97
	v_add_co_u32 v97, vcc_lo, v46, v40
	v_add_co_ci_u32_e32 v98, vcc_lo, v47, v41, vcc_lo
	s_delay_alu instid0(VALU_DEP_3) | instskip(SKIP_1) | instid1(VALU_DEP_1)
	v_lshrrev_b32_e32 v95, 16, v94
	s_and_b32 vcc_lo, exec_lo, s0
	v_min3_f16 v96, v96, v94, v95
	v_dual_mov_b32 v94, 0 :: v_dual_mov_b32 v95, 0
	global_store_b16 v[97:98], v96, off
	s_cbranch_vccnz .LBB225_82
; %bb.81:
	v_add_co_u32 v95, vcc_lo, v20, v42
	v_add_co_ci_u32_e32 v96, vcc_lo, v21, v43, vcc_lo
	flat_load_u16 v95, v[95:96]
	s_waitcnt vmcnt(0) lgkmcnt(0)
	v_mul_f16_e32 v95, v48, v95
.LBB225_82:
	v_pk_add_f16 v96, v6, v22
	v_pk_max_f16 v93, v93, v93
	v_pk_add_f16 v97, v7, v23
	s_delay_alu instid0(VALU_DEP_2) | instskip(NEXT) | instid1(VALU_DEP_1)
	v_pk_min_f16 v93, v93, v96
	v_pk_min_f16 v93, v93, v97
	s_delay_alu instid0(VALU_DEP_1) | instskip(NEXT) | instid1(VALU_DEP_1)
	v_lshrrev_b32_e32 v96, 16, v93
	v_min3_f16 v93, v95, v93, v96
	v_add_co_u32 v95, vcc_lo, v46, v42
	;; [unrolled: 43-line block ×3, first 2 shown]
	v_add_co_ci_u32_e32 v94, vcc_lo, v47, v37, vcc_lo
	s_and_b32 vcc_lo, exec_lo, s0
	global_store_b16 v[93:94], v91, off
	s_cbranch_vccnz .LBB225_88
; %bb.87:
	v_add_co_u32 v20, vcc_lo, v20, v44
	v_add_co_ci_u32_e32 v21, vcc_lo, v21, v45, vcc_lo
	flat_load_u16 v20, v[20:21]
	s_waitcnt vmcnt(0) lgkmcnt(0)
	v_mul_f16_e32 v92, v48, v20
.LBB225_88:
	v_pk_add_f16 v22, v24, v22
	v_pk_max_f16 v90, v90, v90
	v_pk_add_f16 v23, v25, v23
	v_add_nc_u32_e32 v91, 0x60, v87
	s_delay_alu instid0(VALU_DEP_3) | instskip(NEXT) | instid1(VALU_DEP_1)
	v_pk_min_f16 v22, v90, v22
	v_pk_min_f16 v90, v22, v23
	v_add_co_u32 v22, vcc_lo, v46, v44
	v_add_co_ci_u32_e32 v23, vcc_lo, v47, v45, vcc_lo
	s_delay_alu instid0(VALU_DEP_3) | instskip(SKIP_1) | instid1(VALU_DEP_2)
	v_lshrrev_b32_e32 v46, 16, v90
	v_mov_b32_e32 v47, 0
	v_min3_f16 v90, v92, v90, v46
	v_mov_b32_e32 v46, 0
	v_mad_i64_i32 v[20:21], null, v91, s10, 0
	global_store_b16 v[22:23], v90, off
	v_lshlrev_b64 v[20:21], 1, v[20:21]
	s_delay_alu instid0(VALU_DEP_1) | instskip(NEXT) | instid1(VALU_DEP_2)
	v_add_co_u32 v20, vcc_lo, s6, v20
	v_add_co_ci_u32_e32 v21, vcc_lo, s7, v21, vcc_lo
	s_and_b32 vcc_lo, exec_lo, s0
	s_cbranch_vccnz .LBB225_90
; %bb.89:
	s_delay_alu instid0(VALU_DEP_2) | instskip(NEXT) | instid1(VALU_DEP_2)
	v_add_co_u32 v22, vcc_lo, v20, v30
	v_add_co_ci_u32_e32 v23, vcc_lo, v21, v31, vcc_lo
	flat_load_u16 v22, v[22:23]
	s_waitcnt vmcnt(0) lgkmcnt(0)
	v_mul_f16_e32 v47, v48, v22
.LBB225_90:
	v_pk_add_f16 v90, v28, v16
	v_pk_max_f16 v89, v89, v89
	v_mad_i64_i32 v[22:23], null, v91, s4, 0
	v_pk_add_f16 v91, v29, v17
	s_delay_alu instid0(VALU_DEP_3) | instskip(NEXT) | instid1(VALU_DEP_3)
	v_pk_min_f16 v89, v89, v90
	v_lshlrev_b64 v[22:23], 1, v[22:23]
	s_delay_alu instid0(VALU_DEP_2) | instskip(NEXT) | instid1(VALU_DEP_2)
	v_pk_min_f16 v89, v89, v91
	v_add_co_u32 v22, vcc_lo, s1, v22
	s_delay_alu instid0(VALU_DEP_2) | instskip(NEXT) | instid1(VALU_DEP_4)
	v_lshrrev_b32_e32 v90, 16, v89
	v_add_co_ci_u32_e32 v23, vcc_lo, s5, v23, vcc_lo
	s_delay_alu instid0(VALU_DEP_2) | instskip(NEXT) | instid1(VALU_DEP_4)
	v_min3_f16 v47, v47, v89, v90
	v_add_co_u32 v89, vcc_lo, v22, v30
	s_delay_alu instid0(VALU_DEP_3)
	v_add_co_ci_u32_e32 v90, vcc_lo, v23, v31, vcc_lo
	s_and_b32 vcc_lo, exec_lo, s0
	global_store_b16 v[89:90], v47, off
	s_cbranch_vccnz .LBB225_92
; %bb.91:
	v_add_co_u32 v46, vcc_lo, v20, v32
	v_add_co_ci_u32_e32 v47, vcc_lo, v21, v33, vcc_lo
	flat_load_u16 v46, v[46:47]
	s_waitcnt vmcnt(0) lgkmcnt(0)
	v_mul_f16_e32 v46, v48, v46
.LBB225_92:
	v_pk_add_f16 v47, v8, v16
	v_pk_max_f16 v88, v88, v88
	v_pk_add_f16 v89, v9, v17
	s_delay_alu instid0(VALU_DEP_2) | instskip(SKIP_1) | instid1(VALU_DEP_2)
	v_pk_min_f16 v47, v88, v47
	v_add_co_u32 v88, vcc_lo, v22, v32
	v_pk_min_f16 v47, v47, v89
	v_add_co_ci_u32_e32 v89, vcc_lo, v23, v33, vcc_lo
	s_and_b32 vcc_lo, exec_lo, s0
	s_delay_alu instid0(VALU_DEP_2) | instskip(NEXT) | instid1(VALU_DEP_1)
	v_lshrrev_b32_e32 v90, 16, v47
	v_min3_f16 v90, v46, v47, v90
	v_dual_mov_b32 v46, 0 :: v_dual_mov_b32 v47, 0
	global_store_b16 v[88:89], v90, off
	s_cbranch_vccnz .LBB225_94
; %bb.93:
	v_add_co_u32 v88, vcc_lo, v20, v34
	v_add_co_ci_u32_e32 v89, vcc_lo, v21, v35, vcc_lo
	flat_load_u16 v47, v[88:89]
	s_waitcnt vmcnt(0) lgkmcnt(0)
	v_mul_f16_e32 v47, v48, v47
.LBB225_94:
	v_pk_add_f16 v88, v10, v16
	v_pk_max_f16 v86, v86, v86
	v_pk_add_f16 v89, v11, v17
	s_delay_alu instid0(VALU_DEP_2) | instskip(NEXT) | instid1(VALU_DEP_1)
	v_pk_min_f16 v86, v86, v88
	v_pk_min_f16 v86, v86, v89
	s_delay_alu instid0(VALU_DEP_1) | instskip(NEXT) | instid1(VALU_DEP_1)
	v_lshrrev_b32_e32 v88, 16, v86
	v_min3_f16 v47, v47, v86, v88
	v_add_co_u32 v88, vcc_lo, v22, v34
	v_add_co_ci_u32_e32 v89, vcc_lo, v23, v35, vcc_lo
	s_and_b32 vcc_lo, exec_lo, s0
	global_store_b16 v[88:89], v47, off
	s_cbranch_vccnz .LBB225_96
; %bb.95:
	v_add_co_u32 v46, vcc_lo, v20, v40
	v_add_co_ci_u32_e32 v47, vcc_lo, v21, v41, vcc_lo
	flat_load_u16 v46, v[46:47]
	s_waitcnt vmcnt(0) lgkmcnt(0)
	v_mul_f16_e32 v46, v48, v46
.LBB225_96:
	v_pk_add_f16 v47, v4, v16
	v_pk_max_f16 v85, v85, v85
	v_pk_add_f16 v86, v5, v17
	s_delay_alu instid0(VALU_DEP_2) | instskip(SKIP_1) | instid1(VALU_DEP_2)
	v_pk_min_f16 v47, v85, v47
	v_add_co_u32 v85, vcc_lo, v22, v40
	v_pk_min_f16 v47, v47, v86
	v_add_co_ci_u32_e32 v86, vcc_lo, v23, v41, vcc_lo
	s_and_b32 vcc_lo, exec_lo, s0
	s_delay_alu instid0(VALU_DEP_2) | instskip(NEXT) | instid1(VALU_DEP_1)
	v_lshrrev_b32_e32 v88, 16, v47
	v_min3_f16 v88, v46, v47, v88
	v_dual_mov_b32 v46, 0 :: v_dual_mov_b32 v47, 0
	global_store_b16 v[85:86], v88, off
	s_cbranch_vccnz .LBB225_98
; %bb.97:
	v_add_co_u32 v85, vcc_lo, v20, v42
	v_add_co_ci_u32_e32 v86, vcc_lo, v21, v43, vcc_lo
	flat_load_u16 v47, v[85:86]
	s_waitcnt vmcnt(0) lgkmcnt(0)
	v_mul_f16_e32 v47, v48, v47
.LBB225_98:
	v_pk_add_f16 v85, v6, v16
	v_pk_max_f16 v84, v84, v84
	v_pk_add_f16 v86, v7, v17
	s_delay_alu instid0(VALU_DEP_2) | instskip(NEXT) | instid1(VALU_DEP_1)
	v_pk_min_f16 v84, v84, v85
	v_pk_min_f16 v84, v84, v86
	s_delay_alu instid0(VALU_DEP_1) | instskip(NEXT) | instid1(VALU_DEP_1)
	v_lshrrev_b32_e32 v85, 16, v84
	v_min3_f16 v47, v47, v84, v85
	v_add_co_u32 v84, vcc_lo, v22, v42
	;; [unrolled: 43-line block ×3, first 2 shown]
	v_add_co_ci_u32_e32 v83, vcc_lo, v23, v37, vcc_lo
	s_and_b32 vcc_lo, exec_lo, s0
	global_store_b16 v[82:83], v47, off
	s_cbranch_vccnz .LBB225_104
; %bb.103:
	v_add_co_u32 v20, vcc_lo, v20, v44
	v_add_co_ci_u32_e32 v21, vcc_lo, v21, v45, vcc_lo
	flat_load_u16 v20, v[20:21]
	s_waitcnt vmcnt(0) lgkmcnt(0)
	v_mul_f16_e32 v46, v48, v20
.LBB225_104:
	v_add_nc_u32_e32 v20, 0x80, v87
	v_pk_add_f16 v16, v24, v16
	v_pk_max_f16 v21, v81, v81
	v_pk_add_f16 v17, v25, v17
	s_delay_alu instid0(VALU_DEP_4) | instskip(NEXT) | instid1(VALU_DEP_3)
	v_mad_i64_i32 v[81:82], null, v20, s10, 0
	v_pk_min_f16 v16, v21, v16
	s_delay_alu instid0(VALU_DEP_1) | instskip(NEXT) | instid1(VALU_DEP_3)
	v_pk_min_f16 v21, v16, v17
	v_lshlrev_b64 v[16:17], 1, v[81:82]
	v_add_co_u32 v81, vcc_lo, v22, v44
	v_add_co_ci_u32_e32 v82, vcc_lo, v23, v45, vcc_lo
	v_mov_b32_e32 v23, 0
	v_lshrrev_b32_e32 v22, 16, v21
	v_add_co_u32 v16, vcc_lo, s6, v16
	v_add_co_ci_u32_e32 v17, vcc_lo, s7, v17, vcc_lo
	s_delay_alu instid0(VALU_DEP_3)
	v_min3_f16 v21, v46, v21, v22
	v_mov_b32_e32 v22, 0
	s_and_b32 vcc_lo, exec_lo, s0
	global_store_b16 v[81:82], v21, off
	s_cbranch_vccnz .LBB225_106
; %bb.105:
	v_add_co_u32 v46, vcc_lo, v16, v30
	v_add_co_ci_u32_e32 v47, vcc_lo, v17, v31, vcc_lo
	flat_load_u16 v21, v[46:47]
	s_waitcnt vmcnt(0) lgkmcnt(0)
	v_mul_f16_e32 v23, v48, v21
.LBB225_106:
	v_pk_add_f16 v21, v28, v18
	v_pk_max_f16 v80, v80, v80
	v_mad_i64_i32 v[46:47], null, v20, s4, 0
	v_pk_add_f16 v20, v29, v19
	s_delay_alu instid0(VALU_DEP_3) | instskip(NEXT) | instid1(VALU_DEP_1)
	v_pk_min_f16 v21, v80, v21
	v_pk_min_f16 v80, v21, v20
	s_delay_alu instid0(VALU_DEP_4) | instskip(NEXT) | instid1(VALU_DEP_2)
	v_lshlrev_b64 v[20:21], 1, v[46:47]
	v_lshrrev_b32_e32 v46, 16, v80
	s_delay_alu instid0(VALU_DEP_2) | instskip(NEXT) | instid1(VALU_DEP_3)
	v_add_co_u32 v20, vcc_lo, s1, v20
	v_add_co_ci_u32_e32 v21, vcc_lo, s5, v21, vcc_lo
	s_delay_alu instid0(VALU_DEP_3) | instskip(NEXT) | instid1(VALU_DEP_3)
	v_min3_f16 v23, v23, v80, v46
	v_add_co_u32 v46, vcc_lo, v20, v30
	s_delay_alu instid0(VALU_DEP_3)
	v_add_co_ci_u32_e32 v47, vcc_lo, v21, v31, vcc_lo
	s_and_b32 vcc_lo, exec_lo, s0
	global_store_b16 v[46:47], v23, off
	s_cbranch_vccnz .LBB225_108
; %bb.107:
	v_add_co_u32 v22, vcc_lo, v16, v32
	v_add_co_ci_u32_e32 v23, vcc_lo, v17, v33, vcc_lo
	flat_load_u16 v22, v[22:23]
	s_waitcnt vmcnt(0) lgkmcnt(0)
	v_mul_f16_e32 v22, v48, v22
.LBB225_108:
	v_pk_add_f16 v23, v8, v18
	v_pk_max_f16 v46, v79, v79
	v_pk_add_f16 v47, v9, v19
	s_delay_alu instid0(VALU_DEP_2) | instskip(SKIP_1) | instid1(VALU_DEP_2)
	v_pk_min_f16 v23, v46, v23
	v_add_co_u32 v46, vcc_lo, v20, v32
	v_pk_min_f16 v23, v23, v47
	v_add_co_ci_u32_e32 v47, vcc_lo, v21, v33, vcc_lo
	s_and_b32 vcc_lo, exec_lo, s0
	s_delay_alu instid0(VALU_DEP_2) | instskip(NEXT) | instid1(VALU_DEP_1)
	v_lshrrev_b32_e32 v79, 16, v23
	v_min3_f16 v79, v22, v23, v79
	v_dual_mov_b32 v22, 0 :: v_dual_mov_b32 v23, 0
	global_store_b16 v[46:47], v79, off
	s_cbranch_vccnz .LBB225_110
; %bb.109:
	v_add_co_u32 v46, vcc_lo, v16, v34
	v_add_co_ci_u32_e32 v47, vcc_lo, v17, v35, vcc_lo
	flat_load_u16 v23, v[46:47]
	s_waitcnt vmcnt(0) lgkmcnt(0)
	v_mul_f16_e32 v23, v48, v23
.LBB225_110:
	v_pk_add_f16 v46, v10, v18
	v_pk_max_f16 v47, v78, v78
	v_pk_add_f16 v78, v11, v19
	s_delay_alu instid0(VALU_DEP_2) | instskip(NEXT) | instid1(VALU_DEP_1)
	v_pk_min_f16 v46, v47, v46
	v_pk_min_f16 v46, v46, v78
	s_delay_alu instid0(VALU_DEP_1) | instskip(NEXT) | instid1(VALU_DEP_1)
	v_lshrrev_b32_e32 v47, 16, v46
	v_min3_f16 v23, v23, v46, v47
	v_add_co_u32 v46, vcc_lo, v20, v34
	v_add_co_ci_u32_e32 v47, vcc_lo, v21, v35, vcc_lo
	s_and_b32 vcc_lo, exec_lo, s0
	global_store_b16 v[46:47], v23, off
	s_cbranch_vccnz .LBB225_112
; %bb.111:
	v_add_co_u32 v22, vcc_lo, v16, v40
	v_add_co_ci_u32_e32 v23, vcc_lo, v17, v41, vcc_lo
	flat_load_u16 v22, v[22:23]
	s_waitcnt vmcnt(0) lgkmcnt(0)
	v_mul_f16_e32 v22, v48, v22
.LBB225_112:
	v_pk_add_f16 v23, v4, v18
	v_pk_max_f16 v46, v77, v77
	v_pk_add_f16 v47, v5, v19
	s_delay_alu instid0(VALU_DEP_2) | instskip(SKIP_1) | instid1(VALU_DEP_2)
	v_pk_min_f16 v23, v46, v23
	v_add_co_u32 v46, vcc_lo, v20, v40
	v_pk_min_f16 v23, v23, v47
	v_add_co_ci_u32_e32 v47, vcc_lo, v21, v41, vcc_lo
	s_and_b32 vcc_lo, exec_lo, s0
	s_delay_alu instid0(VALU_DEP_2) | instskip(NEXT) | instid1(VALU_DEP_1)
	v_lshrrev_b32_e32 v77, 16, v23
	v_min3_f16 v77, v22, v23, v77
	v_dual_mov_b32 v22, 0 :: v_dual_mov_b32 v23, 0
	global_store_b16 v[46:47], v77, off
	s_cbranch_vccnz .LBB225_114
; %bb.113:
	v_add_co_u32 v46, vcc_lo, v16, v42
	v_add_co_ci_u32_e32 v47, vcc_lo, v17, v43, vcc_lo
	flat_load_u16 v23, v[46:47]
	s_waitcnt vmcnt(0) lgkmcnt(0)
	v_mul_f16_e32 v23, v48, v23
.LBB225_114:
	v_pk_add_f16 v46, v6, v18
	v_pk_max_f16 v47, v76, v76
	v_pk_add_f16 v76, v7, v19
	s_delay_alu instid0(VALU_DEP_2) | instskip(NEXT) | instid1(VALU_DEP_1)
	v_pk_min_f16 v46, v47, v46
	v_pk_min_f16 v46, v46, v76
	s_delay_alu instid0(VALU_DEP_1) | instskip(NEXT) | instid1(VALU_DEP_1)
	v_lshrrev_b32_e32 v47, 16, v46
	v_min3_f16 v23, v23, v46, v47
	v_add_co_u32 v46, vcc_lo, v20, v42
	;; [unrolled: 43-line block ×3, first 2 shown]
	v_add_co_ci_u32_e32 v47, vcc_lo, v21, v37, vcc_lo
	s_and_b32 vcc_lo, exec_lo, s0
	global_store_b16 v[46:47], v23, off
	s_cbranch_vccnz .LBB225_120
; %bb.119:
	v_add_co_u32 v16, vcc_lo, v16, v44
	v_add_co_ci_u32_e32 v17, vcc_lo, v17, v45, vcc_lo
	flat_load_u16 v16, v[16:17]
	s_waitcnt vmcnt(0) lgkmcnt(0)
	v_mul_f16_e32 v22, v48, v16
.LBB225_120:
	v_pk_add_f16 v18, v24, v18
	v_pk_max_f16 v46, v73, v73
	v_pk_add_f16 v19, v25, v19
	v_add_nc_u32_e32 v23, 0xa0, v87
	s_delay_alu instid0(VALU_DEP_3) | instskip(NEXT) | instid1(VALU_DEP_1)
	v_pk_min_f16 v18, v46, v18
	v_pk_min_f16 v46, v18, v19
	v_add_co_u32 v18, vcc_lo, v20, v44
	v_add_co_ci_u32_e32 v19, vcc_lo, v21, v45, vcc_lo
	s_delay_alu instid0(VALU_DEP_3) | instskip(SKIP_1) | instid1(VALU_DEP_2)
	v_lshrrev_b32_e32 v20, 16, v46
	v_mov_b32_e32 v21, 0
	v_min3_f16 v22, v22, v46, v20
	v_mov_b32_e32 v20, 0
	v_mad_i64_i32 v[16:17], null, v23, s10, 0
	global_store_b16 v[18:19], v22, off
	v_lshlrev_b64 v[16:17], 1, v[16:17]
	s_delay_alu instid0(VALU_DEP_1) | instskip(NEXT) | instid1(VALU_DEP_2)
	v_add_co_u32 v16, vcc_lo, s6, v16
	v_add_co_ci_u32_e32 v17, vcc_lo, s7, v17, vcc_lo
	s_and_b32 vcc_lo, exec_lo, s0
	s_cbranch_vccnz .LBB225_122
; %bb.121:
	s_delay_alu instid0(VALU_DEP_2) | instskip(NEXT) | instid1(VALU_DEP_2)
	v_add_co_u32 v18, vcc_lo, v16, v30
	v_add_co_ci_u32_e32 v19, vcc_lo, v17, v31, vcc_lo
	flat_load_u16 v18, v[18:19]
	s_waitcnt vmcnt(0) lgkmcnt(0)
	v_mul_f16_e32 v21, v48, v18
.LBB225_122:
	v_pk_add_f16 v22, v28, v12
	v_pk_max_f16 v46, v72, v72
	v_mad_i64_i32 v[18:19], null, v23, s4, 0
	v_pk_add_f16 v23, v29, v13
	s_delay_alu instid0(VALU_DEP_3) | instskip(NEXT) | instid1(VALU_DEP_3)
	v_pk_min_f16 v22, v46, v22
	v_lshlrev_b64 v[18:19], 1, v[18:19]
	s_delay_alu instid0(VALU_DEP_2) | instskip(NEXT) | instid1(VALU_DEP_2)
	v_pk_min_f16 v22, v22, v23
	v_add_co_u32 v18, vcc_lo, s1, v18
	s_delay_alu instid0(VALU_DEP_2) | instskip(NEXT) | instid1(VALU_DEP_4)
	v_lshrrev_b32_e32 v23, 16, v22
	v_add_co_ci_u32_e32 v19, vcc_lo, s5, v19, vcc_lo
	s_delay_alu instid0(VALU_DEP_2) | instskip(NEXT) | instid1(VALU_DEP_4)
	v_min3_f16 v23, v21, v22, v23
	v_add_co_u32 v21, vcc_lo, v18, v30
	s_delay_alu instid0(VALU_DEP_3)
	v_add_co_ci_u32_e32 v22, vcc_lo, v19, v31, vcc_lo
	s_and_b32 vcc_lo, exec_lo, s0
	global_store_b16 v[21:22], v23, off
	s_cbranch_vccnz .LBB225_124
; %bb.123:
	v_add_co_u32 v20, vcc_lo, v16, v32
	v_add_co_ci_u32_e32 v21, vcc_lo, v17, v33, vcc_lo
	flat_load_u16 v20, v[20:21]
	s_waitcnt vmcnt(0) lgkmcnt(0)
	v_mul_f16_e32 v20, v48, v20
.LBB225_124:
	v_pk_add_f16 v21, v8, v12
	v_pk_max_f16 v22, v71, v71
	v_pk_add_f16 v23, v9, v13
	s_delay_alu instid0(VALU_DEP_2) | instskip(SKIP_1) | instid1(VALU_DEP_2)
	v_pk_min_f16 v21, v22, v21
	v_add_co_u32 v22, vcc_lo, v18, v32
	v_pk_min_f16 v21, v21, v23
	v_add_co_ci_u32_e32 v23, vcc_lo, v19, v33, vcc_lo
	s_and_b32 vcc_lo, exec_lo, s0
	s_delay_alu instid0(VALU_DEP_2) | instskip(NEXT) | instid1(VALU_DEP_1)
	v_lshrrev_b32_e32 v46, 16, v21
	v_min3_f16 v46, v20, v21, v46
	v_dual_mov_b32 v20, 0 :: v_dual_mov_b32 v21, 0
	global_store_b16 v[22:23], v46, off
	s_cbranch_vccnz .LBB225_126
; %bb.125:
	v_add_co_u32 v21, vcc_lo, v16, v34
	v_add_co_ci_u32_e32 v22, vcc_lo, v17, v35, vcc_lo
	flat_load_u16 v21, v[21:22]
	s_waitcnt vmcnt(0) lgkmcnt(0)
	v_mul_f16_e32 v21, v48, v21
.LBB225_126:
	v_pk_add_f16 v22, v10, v12
	v_pk_max_f16 v23, v70, v70
	v_pk_add_f16 v46, v11, v13
	s_delay_alu instid0(VALU_DEP_2) | instskip(NEXT) | instid1(VALU_DEP_1)
	v_pk_min_f16 v22, v23, v22
	v_pk_min_f16 v22, v22, v46
	s_delay_alu instid0(VALU_DEP_1) | instskip(NEXT) | instid1(VALU_DEP_1)
	v_lshrrev_b32_e32 v23, 16, v22
	v_min3_f16 v23, v21, v22, v23
	v_add_co_u32 v21, vcc_lo, v18, v34
	v_add_co_ci_u32_e32 v22, vcc_lo, v19, v35, vcc_lo
	s_and_b32 vcc_lo, exec_lo, s0
	global_store_b16 v[21:22], v23, off
	s_cbranch_vccnz .LBB225_128
; %bb.127:
	v_add_co_u32 v20, vcc_lo, v16, v40
	v_add_co_ci_u32_e32 v21, vcc_lo, v17, v41, vcc_lo
	flat_load_u16 v20, v[20:21]
	s_waitcnt vmcnt(0) lgkmcnt(0)
	v_mul_f16_e32 v20, v48, v20
.LBB225_128:
	v_pk_add_f16 v21, v4, v12
	v_pk_max_f16 v22, v69, v69
	v_pk_add_f16 v23, v5, v13
	s_delay_alu instid0(VALU_DEP_2) | instskip(SKIP_1) | instid1(VALU_DEP_2)
	v_pk_min_f16 v21, v22, v21
	v_add_co_u32 v22, vcc_lo, v18, v40
	v_pk_min_f16 v21, v21, v23
	v_add_co_ci_u32_e32 v23, vcc_lo, v19, v41, vcc_lo
	s_and_b32 vcc_lo, exec_lo, s0
	s_delay_alu instid0(VALU_DEP_2) | instskip(NEXT) | instid1(VALU_DEP_1)
	v_lshrrev_b32_e32 v46, 16, v21
	v_min3_f16 v46, v20, v21, v46
	v_dual_mov_b32 v20, 0 :: v_dual_mov_b32 v21, 0
	global_store_b16 v[22:23], v46, off
	s_cbranch_vccnz .LBB225_130
; %bb.129:
	v_add_co_u32 v21, vcc_lo, v16, v42
	v_add_co_ci_u32_e32 v22, vcc_lo, v17, v43, vcc_lo
	flat_load_u16 v21, v[21:22]
	s_waitcnt vmcnt(0) lgkmcnt(0)
	v_mul_f16_e32 v21, v48, v21
.LBB225_130:
	v_pk_add_f16 v22, v6, v12
	v_pk_max_f16 v23, v68, v68
	v_pk_add_f16 v46, v7, v13
	s_delay_alu instid0(VALU_DEP_2) | instskip(NEXT) | instid1(VALU_DEP_1)
	v_pk_min_f16 v22, v23, v22
	v_pk_min_f16 v22, v22, v46
	s_delay_alu instid0(VALU_DEP_1) | instskip(NEXT) | instid1(VALU_DEP_1)
	v_lshrrev_b32_e32 v23, 16, v22
	v_min3_f16 v23, v21, v22, v23
	v_add_co_u32 v21, vcc_lo, v18, v42
	;; [unrolled: 43-line block ×3, first 2 shown]
	v_add_co_ci_u32_e32 v22, vcc_lo, v19, v37, vcc_lo
	s_and_b32 vcc_lo, exec_lo, s0
	global_store_b16 v[21:22], v23, off
	s_cbranch_vccnz .LBB225_136
; %bb.135:
	v_add_co_u32 v16, vcc_lo, v16, v44
	v_add_co_ci_u32_e32 v17, vcc_lo, v17, v45, vcc_lo
	flat_load_u16 v16, v[16:17]
	s_waitcnt vmcnt(0) lgkmcnt(0)
	v_mul_f16_e32 v20, v48, v16
.LBB225_136:
	v_add_nc_u32_e32 v16, 0xc0, v87
	v_pk_add_f16 v12, v24, v12
	v_pk_max_f16 v17, v65, v65
	v_pk_add_f16 v13, v25, v13
	s_delay_alu instid0(VALU_DEP_4) | instskip(NEXT) | instid1(VALU_DEP_3)
	v_mad_i64_i32 v[21:22], null, v16, s10, 0
	v_pk_min_f16 v12, v17, v12
	s_delay_alu instid0(VALU_DEP_1) | instskip(NEXT) | instid1(VALU_DEP_3)
	v_pk_min_f16 v17, v12, v13
	v_lshlrev_b64 v[12:13], 1, v[21:22]
	v_add_co_u32 v21, vcc_lo, v18, v44
	v_add_co_ci_u32_e32 v22, vcc_lo, v19, v45, vcc_lo
	v_mov_b32_e32 v19, 0
	v_lshrrev_b32_e32 v18, 16, v17
	v_add_co_u32 v12, vcc_lo, s6, v12
	v_add_co_ci_u32_e32 v13, vcc_lo, s7, v13, vcc_lo
	s_delay_alu instid0(VALU_DEP_3)
	v_min3_f16 v17, v20, v17, v18
	v_mov_b32_e32 v18, 0
	s_and_b32 vcc_lo, exec_lo, s0
	global_store_b16 v[21:22], v17, off
	s_cbranch_vccnz .LBB225_138
; %bb.137:
	v_add_co_u32 v19, vcc_lo, v12, v30
	v_add_co_ci_u32_e32 v20, vcc_lo, v13, v31, vcc_lo
	flat_load_u16 v17, v[19:20]
	s_waitcnt vmcnt(0) lgkmcnt(0)
	v_mul_f16_e32 v19, v48, v17
.LBB225_138:
	v_pk_add_f16 v17, v28, v14
	v_pk_max_f16 v22, v64, v64
	v_mad_i64_i32 v[20:21], null, v16, s4, 0
	v_pk_add_f16 v16, v29, v15
	s_delay_alu instid0(VALU_DEP_3) | instskip(NEXT) | instid1(VALU_DEP_1)
	v_pk_min_f16 v17, v22, v17
	v_pk_min_f16 v22, v17, v16
	s_delay_alu instid0(VALU_DEP_4) | instskip(NEXT) | instid1(VALU_DEP_2)
	v_lshlrev_b64 v[16:17], 1, v[20:21]
	v_lshrrev_b32_e32 v20, 16, v22
	s_delay_alu instid0(VALU_DEP_2) | instskip(NEXT) | instid1(VALU_DEP_3)
	v_add_co_u32 v16, vcc_lo, s1, v16
	v_add_co_ci_u32_e32 v17, vcc_lo, s5, v17, vcc_lo
	s_delay_alu instid0(VALU_DEP_3) | instskip(NEXT) | instid1(VALU_DEP_3)
	v_min3_f16 v21, v19, v22, v20
	v_add_co_u32 v19, vcc_lo, v16, v30
	s_delay_alu instid0(VALU_DEP_3)
	v_add_co_ci_u32_e32 v20, vcc_lo, v17, v31, vcc_lo
	s_and_b32 vcc_lo, exec_lo, s0
	global_store_b16 v[19:20], v21, off
	s_cbranch_vccnz .LBB225_140
; %bb.139:
	v_add_co_u32 v18, vcc_lo, v12, v32
	v_add_co_ci_u32_e32 v19, vcc_lo, v13, v33, vcc_lo
	flat_load_u16 v18, v[18:19]
	s_waitcnt vmcnt(0) lgkmcnt(0)
	v_mul_f16_e32 v18, v48, v18
.LBB225_140:
	v_pk_add_f16 v19, v8, v14
	v_pk_max_f16 v20, v63, v63
	v_pk_add_f16 v21, v9, v15
	s_delay_alu instid0(VALU_DEP_2) | instskip(SKIP_1) | instid1(VALU_DEP_2)
	v_pk_min_f16 v19, v20, v19
	v_add_co_u32 v20, vcc_lo, v16, v32
	v_pk_min_f16 v19, v19, v21
	v_add_co_ci_u32_e32 v21, vcc_lo, v17, v33, vcc_lo
	s_and_b32 vcc_lo, exec_lo, s0
	s_delay_alu instid0(VALU_DEP_2) | instskip(NEXT) | instid1(VALU_DEP_1)
	v_lshrrev_b32_e32 v22, 16, v19
	v_min3_f16 v22, v18, v19, v22
	v_dual_mov_b32 v18, 0 :: v_dual_mov_b32 v19, 0
	global_store_b16 v[20:21], v22, off
	s_cbranch_vccnz .LBB225_142
; %bb.141:
	v_add_co_u32 v19, vcc_lo, v12, v34
	v_add_co_ci_u32_e32 v20, vcc_lo, v13, v35, vcc_lo
	flat_load_u16 v19, v[19:20]
	s_waitcnt vmcnt(0) lgkmcnt(0)
	v_mul_f16_e32 v19, v48, v19
.LBB225_142:
	v_pk_add_f16 v20, v10, v14
	v_pk_max_f16 v21, v62, v62
	v_pk_add_f16 v22, v11, v15
	s_delay_alu instid0(VALU_DEP_2) | instskip(NEXT) | instid1(VALU_DEP_1)
	v_pk_min_f16 v20, v21, v20
	v_pk_min_f16 v20, v20, v22
	s_delay_alu instid0(VALU_DEP_1) | instskip(NEXT) | instid1(VALU_DEP_1)
	v_lshrrev_b32_e32 v21, 16, v20
	v_min3_f16 v21, v19, v20, v21
	v_add_co_u32 v19, vcc_lo, v16, v34
	v_add_co_ci_u32_e32 v20, vcc_lo, v17, v35, vcc_lo
	s_and_b32 vcc_lo, exec_lo, s0
	global_store_b16 v[19:20], v21, off
	s_cbranch_vccnz .LBB225_144
; %bb.143:
	v_add_co_u32 v18, vcc_lo, v12, v40
	v_add_co_ci_u32_e32 v19, vcc_lo, v13, v41, vcc_lo
	flat_load_u16 v18, v[18:19]
	s_waitcnt vmcnt(0) lgkmcnt(0)
	v_mul_f16_e32 v18, v48, v18
.LBB225_144:
	v_pk_add_f16 v19, v4, v14
	v_pk_max_f16 v20, v61, v61
	v_pk_add_f16 v21, v5, v15
	s_delay_alu instid0(VALU_DEP_2) | instskip(SKIP_1) | instid1(VALU_DEP_2)
	v_pk_min_f16 v19, v20, v19
	v_add_co_u32 v20, vcc_lo, v16, v40
	v_pk_min_f16 v19, v19, v21
	v_add_co_ci_u32_e32 v21, vcc_lo, v17, v41, vcc_lo
	s_and_b32 vcc_lo, exec_lo, s0
	s_delay_alu instid0(VALU_DEP_2) | instskip(NEXT) | instid1(VALU_DEP_1)
	v_lshrrev_b32_e32 v22, 16, v19
	v_min3_f16 v22, v18, v19, v22
	v_dual_mov_b32 v18, 0 :: v_dual_mov_b32 v19, 0
	global_store_b16 v[20:21], v22, off
	s_cbranch_vccnz .LBB225_146
; %bb.145:
	v_add_co_u32 v19, vcc_lo, v12, v42
	v_add_co_ci_u32_e32 v20, vcc_lo, v13, v43, vcc_lo
	flat_load_u16 v19, v[19:20]
	s_waitcnt vmcnt(0) lgkmcnt(0)
	v_mul_f16_e32 v19, v48, v19
.LBB225_146:
	v_pk_add_f16 v20, v6, v14
	v_pk_max_f16 v21, v60, v60
	v_pk_add_f16 v22, v7, v15
	s_delay_alu instid0(VALU_DEP_2) | instskip(NEXT) | instid1(VALU_DEP_1)
	v_pk_min_f16 v20, v21, v20
	v_pk_min_f16 v20, v20, v22
	s_delay_alu instid0(VALU_DEP_1) | instskip(NEXT) | instid1(VALU_DEP_1)
	v_lshrrev_b32_e32 v21, 16, v20
	v_min3_f16 v21, v19, v20, v21
	v_add_co_u32 v19, vcc_lo, v16, v42
	;; [unrolled: 43-line block ×3, first 2 shown]
	v_add_co_ci_u32_e32 v20, vcc_lo, v17, v37, vcc_lo
	s_and_b32 vcc_lo, exec_lo, s0
	global_store_b16 v[19:20], v21, off
	s_cbranch_vccnz .LBB225_152
; %bb.151:
	v_add_co_u32 v12, vcc_lo, v12, v44
	v_add_co_ci_u32_e32 v13, vcc_lo, v13, v45, vcc_lo
	flat_load_u16 v12, v[12:13]
	s_waitcnt vmcnt(0) lgkmcnt(0)
	v_mul_f16_e32 v18, v48, v12
.LBB225_152:
	v_pk_add_f16 v14, v24, v14
	v_pk_max_f16 v20, v57, v57
	v_pk_add_f16 v15, v25, v15
	v_add_nc_u32_e32 v19, 0xe0, v87
	s_delay_alu instid0(VALU_DEP_3) | instskip(NEXT) | instid1(VALU_DEP_1)
	v_pk_min_f16 v14, v20, v14
	v_pk_min_f16 v20, v14, v15
	v_add_co_u32 v14, vcc_lo, v16, v44
	v_add_co_ci_u32_e32 v15, vcc_lo, v17, v45, vcc_lo
	s_delay_alu instid0(VALU_DEP_3) | instskip(SKIP_1) | instid1(VALU_DEP_2)
	v_lshrrev_b32_e32 v16, 16, v20
	v_mov_b32_e32 v17, 0
	v_min3_f16 v18, v18, v20, v16
	v_mov_b32_e32 v16, 0
	v_mad_i64_i32 v[12:13], null, v19, s10, 0
	global_store_b16 v[14:15], v18, off
	v_lshlrev_b64 v[12:13], 1, v[12:13]
	s_delay_alu instid0(VALU_DEP_1) | instskip(NEXT) | instid1(VALU_DEP_2)
	v_add_co_u32 v12, vcc_lo, s6, v12
	v_add_co_ci_u32_e32 v13, vcc_lo, s7, v13, vcc_lo
	s_and_b32 vcc_lo, exec_lo, s0
	s_cbranch_vccnz .LBB225_154
; %bb.153:
	s_delay_alu instid0(VALU_DEP_2) | instskip(NEXT) | instid1(VALU_DEP_2)
	v_add_co_u32 v14, vcc_lo, v12, v30
	v_add_co_ci_u32_e32 v15, vcc_lo, v13, v31, vcc_lo
	flat_load_u16 v14, v[14:15]
	s_waitcnt vmcnt(0) lgkmcnt(0)
	v_mul_f16_e32 v17, v48, v14
.LBB225_154:
	v_pk_add_f16 v18, v28, v26
	v_pk_max_f16 v20, v56, v56
	v_mad_i64_i32 v[14:15], null, v19, s4, 0
	v_pk_add_f16 v19, v29, v27
	s_delay_alu instid0(VALU_DEP_3) | instskip(NEXT) | instid1(VALU_DEP_3)
	v_pk_min_f16 v18, v20, v18
	v_lshlrev_b64 v[14:15], 1, v[14:15]
	s_delay_alu instid0(VALU_DEP_2) | instskip(NEXT) | instid1(VALU_DEP_2)
	v_pk_min_f16 v18, v18, v19
	v_add_co_u32 v14, vcc_lo, s1, v14
	s_delay_alu instid0(VALU_DEP_2) | instskip(NEXT) | instid1(VALU_DEP_4)
	v_lshrrev_b32_e32 v19, 16, v18
	v_add_co_ci_u32_e32 v15, vcc_lo, s5, v15, vcc_lo
	s_delay_alu instid0(VALU_DEP_2) | instskip(NEXT) | instid1(VALU_DEP_4)
	v_min3_f16 v19, v17, v18, v19
	v_add_co_u32 v17, vcc_lo, v14, v30
	s_delay_alu instid0(VALU_DEP_3)
	v_add_co_ci_u32_e32 v18, vcc_lo, v15, v31, vcc_lo
	s_and_b32 vcc_lo, exec_lo, s0
	global_store_b16 v[17:18], v19, off
	s_cbranch_vccnz .LBB225_156
; %bb.155:
	v_add_co_u32 v16, vcc_lo, v12, v32
	v_add_co_ci_u32_e32 v17, vcc_lo, v13, v33, vcc_lo
	flat_load_u16 v16, v[16:17]
	s_waitcnt vmcnt(0) lgkmcnt(0)
	v_mul_f16_e32 v16, v48, v16
.LBB225_156:
	v_pk_add_f16 v8, v8, v26
	v_pk_max_f16 v17, v55, v55
	v_pk_add_f16 v9, v9, v27
	s_delay_alu instid0(VALU_DEP_2) | instskip(SKIP_2) | instid1(VALU_DEP_3)
	v_pk_min_f16 v8, v17, v8
	v_add_co_u32 v17, vcc_lo, v14, v32
	v_add_co_ci_u32_e32 v18, vcc_lo, v15, v33, vcc_lo
	v_pk_min_f16 v8, v8, v9
	s_and_b32 vcc_lo, exec_lo, s0
	s_delay_alu instid0(VALU_DEP_1) | instskip(NEXT) | instid1(VALU_DEP_1)
	v_lshrrev_b32_e32 v9, 16, v8
	v_min3_f16 v16, v16, v8, v9
	v_dual_mov_b32 v8, 0 :: v_dual_mov_b32 v9, 0
	global_store_b16 v[17:18], v16, off
	s_cbranch_vccnz .LBB225_158
; %bb.157:
	v_add_co_u32 v16, vcc_lo, v12, v34
	v_add_co_ci_u32_e32 v17, vcc_lo, v13, v35, vcc_lo
	flat_load_u16 v9, v[16:17]
	s_waitcnt vmcnt(0) lgkmcnt(0)
	v_mul_f16_e32 v9, v48, v9
.LBB225_158:
	v_pk_add_f16 v10, v10, v26
	v_pk_max_f16 v16, v54, v54
	v_pk_add_f16 v11, v11, v27
	s_delay_alu instid0(VALU_DEP_2) | instskip(NEXT) | instid1(VALU_DEP_1)
	v_pk_min_f16 v10, v16, v10
	v_pk_min_f16 v10, v10, v11
	s_delay_alu instid0(VALU_DEP_1) | instskip(NEXT) | instid1(VALU_DEP_1)
	v_lshrrev_b32_e32 v11, 16, v10
	v_min3_f16 v11, v9, v10, v11
	v_add_co_u32 v9, vcc_lo, v14, v34
	v_add_co_ci_u32_e32 v10, vcc_lo, v15, v35, vcc_lo
	s_and_b32 vcc_lo, exec_lo, s0
	global_store_b16 v[9:10], v11, off
	s_cbranch_vccnz .LBB225_160
; %bb.159:
	v_add_co_u32 v8, vcc_lo, v12, v40
	v_add_co_ci_u32_e32 v9, vcc_lo, v13, v41, vcc_lo
	flat_load_u16 v8, v[8:9]
	s_waitcnt vmcnt(0) lgkmcnt(0)
	v_mul_f16_e32 v8, v48, v8
.LBB225_160:
	v_pk_add_f16 v4, v4, v26
	v_pk_max_f16 v9, v53, v53
	v_pk_add_f16 v5, v5, v27
	s_delay_alu instid0(VALU_DEP_2) | instskip(SKIP_2) | instid1(VALU_DEP_3)
	v_pk_min_f16 v4, v9, v4
	v_add_co_u32 v9, vcc_lo, v14, v40
	v_add_co_ci_u32_e32 v10, vcc_lo, v15, v41, vcc_lo
	v_pk_min_f16 v4, v4, v5
	s_and_b32 vcc_lo, exec_lo, s0
	s_delay_alu instid0(VALU_DEP_1) | instskip(NEXT) | instid1(VALU_DEP_1)
	v_lshrrev_b32_e32 v5, 16, v4
	v_min3_f16 v8, v8, v4, v5
	v_dual_mov_b32 v4, 0 :: v_dual_mov_b32 v5, 0
	global_store_b16 v[9:10], v8, off
	s_cbranch_vccnz .LBB225_162
; %bb.161:
	v_add_co_u32 v8, vcc_lo, v12, v42
	v_add_co_ci_u32_e32 v9, vcc_lo, v13, v43, vcc_lo
	flat_load_u16 v5, v[8:9]
	s_waitcnt vmcnt(0) lgkmcnt(0)
	v_mul_f16_e32 v5, v48, v5
.LBB225_162:
	v_pk_add_f16 v6, v6, v26
	v_pk_max_f16 v8, v52, v52
	v_pk_add_f16 v7, v7, v27
	s_delay_alu instid0(VALU_DEP_2) | instskip(NEXT) | instid1(VALU_DEP_1)
	v_pk_min_f16 v6, v8, v6
	v_pk_min_f16 v6, v6, v7
	s_delay_alu instid0(VALU_DEP_1) | instskip(NEXT) | instid1(VALU_DEP_1)
	v_lshrrev_b32_e32 v7, 16, v6
	v_min3_f16 v7, v5, v6, v7
	v_add_co_u32 v5, vcc_lo, v14, v42
	v_add_co_ci_u32_e32 v6, vcc_lo, v15, v43, vcc_lo
	s_and_b32 vcc_lo, exec_lo, s0
	global_store_b16 v[5:6], v7, off
	s_cbranch_vccnz .LBB225_164
; %bb.163:
	v_add_co_u32 v4, vcc_lo, v12, v38
	v_add_co_ci_u32_e32 v5, vcc_lo, v13, v39, vcc_lo
	flat_load_u16 v4, v[4:5]
	s_waitcnt vmcnt(0) lgkmcnt(0)
	v_mul_f16_e32 v4, v48, v4
.LBB225_164:
	v_pk_add_f16 v0, v0, v26
	v_pk_max_f16 v5, v51, v51
	v_pk_add_f16 v2, v2, v26
	v_pk_max_f16 v6, v50, v50
	v_pk_add_f16 v1, v1, v27
	v_pk_add_f16 v3, v3, v27
	v_pk_min_f16 v0, v5, v0
	s_delay_alu instid0(VALU_DEP_4) | instskip(NEXT) | instid1(VALU_DEP_2)
	v_pk_min_f16 v2, v6, v2
	v_pk_min_f16 v0, v0, v1
	s_delay_alu instid0(VALU_DEP_2) | instskip(NEXT) | instid1(VALU_DEP_2)
	v_pk_min_f16 v1, v2, v3
	v_lshrrev_b32_e32 v2, 16, v0
	s_delay_alu instid0(VALU_DEP_2) | instskip(NEXT) | instid1(VALU_DEP_2)
	v_lshrrev_b32_e32 v3, 16, v1
	v_min3_f16 v4, v4, v0, v2
	s_delay_alu instid0(VALU_DEP_2) | instskip(SKIP_2) | instid1(VALU_DEP_3)
	v_min_f16_e32 v0, v1, v3
	v_add_co_u32 v1, vcc_lo, v14, v38
	v_add_co_ci_u32_e32 v2, vcc_lo, v15, v39, vcc_lo
	v_max_f16_e32 v0, v0, v0
	s_mov_b32 vcc_lo, s2
	global_store_b16 v[1:2], v4, off
	s_cbranch_vccz .LBB225_167
; %bb.165:
	v_add_co_u32 v1, vcc_lo, v14, v36
	v_min_f16_e32 v3, 0, v0
	v_add_co_ci_u32_e32 v2, vcc_lo, v15, v37, vcc_lo
	s_mov_b32 s0, 0
	global_store_b16 v[1:2], v3, off
	s_cbranch_execz .LBB225_168
; %bb.166:
	v_mov_b32_e32 v0, s0
	s_branch .LBB225_169
.LBB225_167:
	s_mov_b32 s0, -1
.LBB225_168:
	v_add_co_u32 v1, vcc_lo, v12, v36
	v_add_co_ci_u32_e32 v2, vcc_lo, v13, v37, vcc_lo
	flat_load_u16 v1, v[1:2]
	s_waitcnt vmcnt(0) lgkmcnt(0)
	v_mul_f16_e32 v3, v48, v1
	v_add_co_u32 v1, vcc_lo, v14, v36
	v_add_co_ci_u32_e32 v2, vcc_lo, v15, v37, vcc_lo
	s_delay_alu instid0(VALU_DEP_3)
	v_min_f16_e32 v0, v3, v0
	v_add_co_u32 v3, vcc_lo, v12, v44
	v_add_co_ci_u32_e32 v4, vcc_lo, v13, v45, vcc_lo
	global_store_b16 v[1:2], v0, off
	flat_load_u16 v0, v[3:4]
	s_waitcnt vmcnt(0) lgkmcnt(0)
	v_mul_f16_e32 v0, v48, v0
.LBB225_169:
	v_pk_add_f16 v1, v24, v26
	v_pk_max_f16 v2, v49, v49
	v_pk_add_f16 v3, v25, v27
	s_delay_alu instid0(VALU_DEP_2) | instskip(NEXT) | instid1(VALU_DEP_1)
	v_pk_min_f16 v1, v2, v1
	v_pk_min_f16 v1, v1, v3
	s_delay_alu instid0(VALU_DEP_1) | instskip(NEXT) | instid1(VALU_DEP_1)
	v_lshrrev_b32_e32 v2, 16, v1
	v_min3_f16 v2, v0, v1, v2
	v_add_co_u32 v0, vcc_lo, v14, v44
	v_add_co_ci_u32_e32 v1, vcc_lo, v15, v45, vcc_lo
	global_store_b16 v[0:1], v2, off
	s_nop 0
	s_sendmsg sendmsg(MSG_DEALLOC_VGPRS)
	s_endpgm
	.section	.rodata,"a",@progbits
	.p2align	6, 0x0
	.amdhsa_kernel _ZN12_GLOBAL__N_120geam_min_plus_kernelIDF16_Dv2_DF16_S1_Li8ELi32ELi64ELi256ELi4ELi4ELi64ELi64ELi4ELc84ELc84ELb0ELb0ELb1EPKDF16_KS3_KPDF16_EEviiiT16_PT17_ilS9_ilS7_S9_ilPT18_ili26rocblas_geam_ex_operation_
		.amdhsa_group_segment_fixed_size 5120
		.amdhsa_private_segment_fixed_size 0
		.amdhsa_kernarg_size 136
		.amdhsa_user_sgpr_count 14
		.amdhsa_user_sgpr_dispatch_ptr 0
		.amdhsa_user_sgpr_queue_ptr 0
		.amdhsa_user_sgpr_kernarg_segment_ptr 1
		.amdhsa_user_sgpr_dispatch_id 0
		.amdhsa_user_sgpr_private_segment_size 0
		.amdhsa_wavefront_size32 1
		.amdhsa_uses_dynamic_stack 0
		.amdhsa_enable_private_segment 0
		.amdhsa_system_sgpr_workgroup_id_x 1
		.amdhsa_system_sgpr_workgroup_id_y 0
		.amdhsa_system_sgpr_workgroup_id_z 1
		.amdhsa_system_sgpr_workgroup_info 0
		.amdhsa_system_vgpr_workitem_id 1
		.amdhsa_next_free_vgpr 164
		.amdhsa_next_free_sgpr 24
		.amdhsa_reserve_vcc 1
		.amdhsa_float_round_mode_32 0
		.amdhsa_float_round_mode_16_64 0
		.amdhsa_float_denorm_mode_32 3
		.amdhsa_float_denorm_mode_16_64 3
		.amdhsa_dx10_clamp 1
		.amdhsa_ieee_mode 1
		.amdhsa_fp16_overflow 0
		.amdhsa_workgroup_processor_mode 1
		.amdhsa_memory_ordered 1
		.amdhsa_forward_progress 0
		.amdhsa_shared_vgpr_count 0
		.amdhsa_exception_fp_ieee_invalid_op 0
		.amdhsa_exception_fp_denorm_src 0
		.amdhsa_exception_fp_ieee_div_zero 0
		.amdhsa_exception_fp_ieee_overflow 0
		.amdhsa_exception_fp_ieee_underflow 0
		.amdhsa_exception_fp_ieee_inexact 0
		.amdhsa_exception_int_div_zero 0
	.end_amdhsa_kernel
	.section	.text._ZN12_GLOBAL__N_120geam_min_plus_kernelIDF16_Dv2_DF16_S1_Li8ELi32ELi64ELi256ELi4ELi4ELi64ELi64ELi4ELc84ELc84ELb0ELb0ELb1EPKDF16_KS3_KPDF16_EEviiiT16_PT17_ilS9_ilS7_S9_ilPT18_ili26rocblas_geam_ex_operation_,"axG",@progbits,_ZN12_GLOBAL__N_120geam_min_plus_kernelIDF16_Dv2_DF16_S1_Li8ELi32ELi64ELi256ELi4ELi4ELi64ELi64ELi4ELc84ELc84ELb0ELb0ELb1EPKDF16_KS3_KPDF16_EEviiiT16_PT17_ilS9_ilS7_S9_ilPT18_ili26rocblas_geam_ex_operation_,comdat
.Lfunc_end225:
	.size	_ZN12_GLOBAL__N_120geam_min_plus_kernelIDF16_Dv2_DF16_S1_Li8ELi32ELi64ELi256ELi4ELi4ELi64ELi64ELi4ELc84ELc84ELb0ELb0ELb1EPKDF16_KS3_KPDF16_EEviiiT16_PT17_ilS9_ilS7_S9_ilPT18_ili26rocblas_geam_ex_operation_, .Lfunc_end225-_ZN12_GLOBAL__N_120geam_min_plus_kernelIDF16_Dv2_DF16_S1_Li8ELi32ELi64ELi256ELi4ELi4ELi64ELi64ELi4ELc84ELc84ELb0ELb0ELb1EPKDF16_KS3_KPDF16_EEviiiT16_PT17_ilS9_ilS7_S9_ilPT18_ili26rocblas_geam_ex_operation_
                                        ; -- End function
	.section	.AMDGPU.csdata,"",@progbits
; Kernel info:
; codeLenInByte = 18440
; NumSgprs: 26
; NumVgprs: 164
; ScratchSize: 0
; MemoryBound: 0
; FloatMode: 240
; IeeeMode: 1
; LDSByteSize: 5120 bytes/workgroup (compile time only)
; SGPRBlocks: 3
; VGPRBlocks: 20
; NumSGPRsForWavesPerEU: 26
; NumVGPRsForWavesPerEU: 164
; Occupancy: 9
; WaveLimiterHint : 1
; COMPUTE_PGM_RSRC2:SCRATCH_EN: 0
; COMPUTE_PGM_RSRC2:USER_SGPR: 14
; COMPUTE_PGM_RSRC2:TRAP_HANDLER: 0
; COMPUTE_PGM_RSRC2:TGID_X_EN: 1
; COMPUTE_PGM_RSRC2:TGID_Y_EN: 0
; COMPUTE_PGM_RSRC2:TGID_Z_EN: 1
; COMPUTE_PGM_RSRC2:TIDIG_COMP_CNT: 1
	.section	.text._ZN12_GLOBAL__N_120geam_min_plus_kernelIDF16_Dv2_DF16_S1_Li8ELi32ELi64ELi256ELi4ELi4ELi64ELi64ELi4ELc84ELc84ELb1ELb0ELb1EDF16_KPKDF16_KPDF16_EEviiiT16_PT17_ilS9_ilS7_S9_ilPT18_ili26rocblas_geam_ex_operation_,"axG",@progbits,_ZN12_GLOBAL__N_120geam_min_plus_kernelIDF16_Dv2_DF16_S1_Li8ELi32ELi64ELi256ELi4ELi4ELi64ELi64ELi4ELc84ELc84ELb1ELb0ELb1EDF16_KPKDF16_KPDF16_EEviiiT16_PT17_ilS9_ilS7_S9_ilPT18_ili26rocblas_geam_ex_operation_,comdat
	.globl	_ZN12_GLOBAL__N_120geam_min_plus_kernelIDF16_Dv2_DF16_S1_Li8ELi32ELi64ELi256ELi4ELi4ELi64ELi64ELi4ELc84ELc84ELb1ELb0ELb1EDF16_KPKDF16_KPDF16_EEviiiT16_PT17_ilS9_ilS7_S9_ilPT18_ili26rocblas_geam_ex_operation_ ; -- Begin function _ZN12_GLOBAL__N_120geam_min_plus_kernelIDF16_Dv2_DF16_S1_Li8ELi32ELi64ELi256ELi4ELi4ELi64ELi64ELi4ELc84ELc84ELb1ELb0ELb1EDF16_KPKDF16_KPDF16_EEviiiT16_PT17_ilS9_ilS7_S9_ilPT18_ili26rocblas_geam_ex_operation_
	.p2align	8
	.type	_ZN12_GLOBAL__N_120geam_min_plus_kernelIDF16_Dv2_DF16_S1_Li8ELi32ELi64ELi256ELi4ELi4ELi64ELi64ELi4ELc84ELc84ELb1ELb0ELb1EDF16_KPKDF16_KPDF16_EEviiiT16_PT17_ilS9_ilS7_S9_ilPT18_ili26rocblas_geam_ex_operation_,@function
_ZN12_GLOBAL__N_120geam_min_plus_kernelIDF16_Dv2_DF16_S1_Li8ELi32ELi64ELi256ELi4ELi4ELi64ELi64ELi4ELc84ELc84ELb1ELb0ELb1EDF16_KPKDF16_KPDF16_EEviiiT16_PT17_ilS9_ilS7_S9_ilPT18_ili26rocblas_geam_ex_operation_: ; @_ZN12_GLOBAL__N_120geam_min_plus_kernelIDF16_Dv2_DF16_S1_Li8ELi32ELi64ELi256ELi4ELi4ELi64ELi64ELi4ELc84ELc84ELb1ELb0ELb1EDF16_KPKDF16_KPDF16_EEviiiT16_PT17_ilS9_ilS7_S9_ilPT18_ili26rocblas_geam_ex_operation_
; %bb.0:
	s_clause 0x1
	s_load_b64 s[8:9], s[0:1], 0x8
	s_load_b128 s[4:7], s[0:1], 0x20
	s_mov_b32 s16, s15
	s_mov_b32 s17, 0
	s_waitcnt lgkmcnt(0)
	v_cmp_eq_f16_e64 s2, s9, 0
	s_delay_alu instid0(VALU_DEP_1)
	s_and_b32 vcc_lo, exec_lo, s2
	s_cbranch_vccnz .LBB226_3
; %bb.1:
	s_load_b64 s[10:11], s[0:1], 0x10
	s_lshl_b64 s[12:13], s[16:17], 3
	s_waitcnt lgkmcnt(0)
	s_add_u32 s10, s10, s12
	s_addc_u32 s11, s11, s13
	s_lshl_b64 s[4:5], s[4:5], 1
	s_load_b64 s[10:11], s[10:11], 0x0
	s_waitcnt lgkmcnt(0)
	s_add_u32 s10, s10, s4
	s_addc_u32 s11, s11, s5
	s_and_not1_b32 vcc_lo, exec_lo, s2
	s_cbranch_vccnz .LBB226_4
.LBB226_2:
	s_mov_b64 s[12:13], 0
	s_and_not1_b32 vcc_lo, exec_lo, s17
	s_cbranch_vccz .LBB226_5
	s_branch .LBB226_6
.LBB226_3:
	s_mov_b64 s[10:11], 0
	s_and_not1_b32 vcc_lo, exec_lo, s2
	s_cbranch_vccz .LBB226_2
.LBB226_4:
	s_mov_b32 s17, -1
                                        ; implicit-def: $sgpr12_sgpr13
.LBB226_5:
	s_mov_b32 s17, 0
	s_load_b64 s[4:5], s[0:1], 0x38
	s_lshl_b64 s[2:3], s[16:17], 3
	s_delay_alu instid0(SALU_CYCLE_1) | instskip(SKIP_4) | instid1(SALU_CYCLE_1)
	s_add_u32 s2, s6, s2
	s_addc_u32 s3, s7, s3
	s_load_b64 s[2:3], s[2:3], 0x0
	s_waitcnt lgkmcnt(0)
	s_lshl_b64 s[4:5], s[4:5], 1
	s_add_u32 s12, s2, s4
	s_addc_u32 s13, s3, s5
.LBB226_6:
	s_clause 0x1
	s_load_b32 s15, s[0:1], 0x40
	s_load_b128 s[4:7], s[0:1], 0x58
	s_waitcnt lgkmcnt(0)
	v_cmp_eq_f16_e64 s2, s15, 0
	s_delay_alu instid0(VALU_DEP_1) | instskip(NEXT) | instid1(SALU_CYCLE_1)
	s_and_b32 s2, exec_lo, s2
	s_mov_b32 vcc_lo, s2
	s_cbranch_vccnz .LBB226_8
; %bb.7:
	s_load_b64 s[18:19], s[0:1], 0x48
	s_lshl_b64 s[20:21], s[16:17], 3
	s_waitcnt lgkmcnt(0)
	s_add_u32 s18, s18, s20
	s_addc_u32 s19, s19, s21
	s_lshl_b64 s[4:5], s[4:5], 1
	s_load_b64 s[18:19], s[18:19], 0x0
	s_waitcnt lgkmcnt(0)
	s_add_u32 s4, s18, s4
	s_addc_u32 s5, s19, s5
	s_branch .LBB226_9
.LBB226_8:
	s_mov_b64 s[4:5], 0
.LBB226_9:
	s_load_b32 s3, s[0:1], 0x0
	s_lshl_b64 s[18:19], s[16:17], 3
	v_bfe_u32 v163, v0, 10, 10
	s_add_u32 s6, s6, s18
	s_addc_u32 s7, s7, s19
	v_and_b32_e32 v162, 0x3ff, v0
	s_clause 0x1
	s_load_b32 s9, s[0:1], 0x18
	s_load_b32 s16, s[0:1], 0x30
	v_lshlrev_b32_e32 v161, 3, v163
	v_and_b32_e32 v5, 3, v162
	v_lshlrev_b32_e32 v164, 3, v162
	s_delay_alu instid0(VALU_DEP_3) | instskip(NEXT) | instid1(VALU_DEP_3)
	v_add_nc_u32_e32 v2, v161, v162
	v_lshlrev_b32_e32 v5, 1, v5
	s_delay_alu instid0(VALU_DEP_2) | instskip(SKIP_4) | instid1(SALU_CYCLE_1)
	v_lshrrev_b32_e32 v15, 2, v2
	v_lshrrev_b32_e32 v4, 6, v2
	v_and_b32_e32 v16, 63, v2
	s_waitcnt lgkmcnt(0)
	s_add_i32 s3, s3, -1
	s_ashr_i32 s17, s3, 31
	v_add_nc_u32_e32 v17, 4, v4
	s_lshr_b32 s17, s17, 26
	s_delay_alu instid0(SALU_CYCLE_1) | instskip(NEXT) | instid1(SALU_CYCLE_1)
	s_add_i32 s3, s3, s17
	s_ashr_i32 s3, s3, 6
	s_delay_alu instid0(SALU_CYCLE_1) | instskip(SKIP_2) | instid1(VALU_DEP_1)
	s_add_i32 s17, s3, 1
	s_not_b32 s3, s3
	v_cvt_f32_u32_e32 v1, s17
	v_rcp_iflag_f32_e32 v1, v1
	s_waitcnt_depctr 0xfff
	v_mul_f32_e32 v1, 0x4f7ffffe, v1
	s_delay_alu instid0(VALU_DEP_1) | instskip(NEXT) | instid1(VALU_DEP_1)
	v_cvt_u32_f32_e32 v1, v1
	v_readfirstlane_b32 s18, v1
	v_mad_i64_i32 v[0:1], null, s16, v4, 0
	s_delay_alu instid0(VALU_DEP_2) | instskip(NEXT) | instid1(SALU_CYCLE_1)
	s_mul_i32 s3, s3, s18
	s_mul_hi_u32 s3, s18, s3
	s_delay_alu instid0(VALU_DEP_1) | instskip(SKIP_1) | instid1(SALU_CYCLE_1)
	v_lshlrev_b64 v[0:1], 1, v[0:1]
	s_add_i32 s18, s18, s3
	s_mul_hi_u32 s3, s14, s18
	s_delay_alu instid0(SALU_CYCLE_1)
	s_mul_i32 s18, s3, s17
	s_add_i32 s19, s3, 1
	s_sub_i32 s18, s14, s18
	v_add_co_u32 v11, vcc_lo, s12, v0
	s_sub_i32 s20, s18, s17
	s_cmp_ge_u32 s18, s17
	v_add_co_ci_u32_e32 v12, vcc_lo, s13, v1, vcc_lo
	s_cselect_b32 s3, s19, s3
	s_cselect_b32 s18, s20, s18
	s_add_i32 s19, s3, 1
	s_cmp_ge_u32 s18, s17
	s_cselect_b32 s18, s19, s3
	s_delay_alu instid0(SALU_CYCLE_1) | instskip(NEXT) | instid1(SALU_CYCLE_1)
	s_mul_i32 s3, s18, s17
	s_sub_i32 s3, s14, s3
	s_lshl_b32 s14, s18, 8
	s_lshl_b32 s3, s3, 6
	s_cmp_lt_i32 s8, 9
	v_add_nc_u32_e32 v9, s3, v15
	s_delay_alu instid0(VALU_DEP_1) | instskip(SKIP_1) | instid1(VALU_DEP_1)
	v_mad_i64_i32 v[2:3], null, v9, s9, 0
	v_or_b32_e32 v9, s14, v16
	v_ashrrev_i32_e32 v10, 31, v9
	s_delay_alu instid0(VALU_DEP_3) | instskip(NEXT) | instid1(VALU_DEP_2)
	v_lshlrev_b64 v[2:3], 1, v[2:3]
	v_lshlrev_b64 v[0:1], 1, v[9:10]
	s_delay_alu instid0(VALU_DEP_2) | instskip(NEXT) | instid1(VALU_DEP_3)
	v_add_co_u32 v13, vcc_lo, s10, v2
	v_add_co_ci_u32_e32 v14, vcc_lo, s11, v3, vcc_lo
	s_delay_alu instid0(VALU_DEP_3) | instskip(NEXT) | instid1(VALU_DEP_4)
	v_add_co_u32 v9, vcc_lo, v11, v0
	v_add_co_ci_u32_e32 v10, vcc_lo, v12, v1, vcc_lo
	s_delay_alu instid0(VALU_DEP_4) | instskip(NEXT) | instid1(VALU_DEP_4)
	v_add_co_u32 v11, vcc_lo, v13, v5
	v_add_co_ci_u32_e32 v12, vcc_lo, 0, v14, vcc_lo
	v_mad_i64_i32 v[13:14], null, s16, v17, 0
	s_clause 0x2
	flat_load_u16 v17, v[9:10]
	flat_load_u16 v18, v[9:10] offset:128
	flat_load_u16 v19, v[9:10] offset:256
	flat_load_u16 v20, v[11:12]
	flat_load_u16 v21, v[9:10] offset:384
	v_lshlrev_b64 v[9:10], 1, v[13:14]
	v_lshl_or_b32 v14, v15, 3, v5
	s_delay_alu instid0(VALU_DEP_2) | instskip(NEXT) | instid1(VALU_DEP_3)
	v_add_co_u32 v9, vcc_lo, s12, v9
	v_add_co_ci_u32_e32 v10, vcc_lo, s13, v10, vcc_lo
	s_delay_alu instid0(VALU_DEP_2) | instskip(NEXT) | instid1(VALU_DEP_2)
	v_add_co_u32 v9, vcc_lo, v9, v0
	v_add_co_ci_u32_e32 v10, vcc_lo, v10, v1, vcc_lo
	s_clause 0x2
	flat_load_u16 v47, v[9:10]
	flat_load_u16 v48, v[9:10] offset:128
	flat_load_u16 v49, v[9:10] offset:256
	;; [unrolled: 1-line block ×4, first 2 shown]
	v_lshlrev_b32_e32 v10, 1, v4
	v_add_nc_u32_e32 v11, 0x1000, v164
	s_load_b64 s[6:7], s[6:7], 0x0
	s_delay_alu instid0(VALU_DEP_2)
	v_lshl_add_u32 v165, v16, 3, v10
	s_waitcnt vmcnt(9) lgkmcnt(0)
	ds_store_b16 v165, v17
	s_waitcnt vmcnt(8)
	ds_store_b16 v165, v18 offset:512
	s_waitcnt vmcnt(7)
	ds_store_b16 v165, v19 offset:1024
	;; [unrolled: 2-line block ×4, first 2 shown]
	s_waitcnt vmcnt(0) lgkmcnt(0)
	s_barrier
	buffer_gl0_inv
	ds_load_2addr_b64 v[15:18], v11 offset1:8
	ds_load_2addr_b64 v[19:22], v161 offset1:32
	ds_load_2addr_b64 v[23:26], v11 offset0:16 offset1:24
	ds_load_2addr_b64 v[27:30], v11 offset0:32 offset1:40
	;; [unrolled: 1-line block ×6, first 2 shown]
	ds_store_b16 v165, v47 offset:2048
	ds_store_b16 v165, v48 offset:2560
	ds_store_b16 v165, v49 offset:3072
	s_waitcnt lgkmcnt(9)
	v_pk_add_f16 v11, v15, v19
	v_pk_add_f16 v47, v17, v19
	s_waitcnt lgkmcnt(8)
	v_pk_add_f16 v48, v23, v19
	v_pk_add_f16 v49, v25, v19
	;; [unrolled: 3-line block ×4, first 2 shown]
	v_pk_add_f16 v53, v15, v21
	v_pk_add_f16 v54, v17, v21
	;; [unrolled: 1-line block ×8, first 2 shown]
	s_waitcnt lgkmcnt(5)
	v_pk_add_f16 v60, v15, v35
	v_pk_add_f16 v61, v17, v35
	;; [unrolled: 1-line block ×32, first 2 shown]
	s_waitcnt lgkmcnt(4)
	v_pk_add_f16 v36, v15, v39
	v_pk_add_f16 v38, v17, v39
	;; [unrolled: 1-line block ×16, first 2 shown]
	s_waitcnt lgkmcnt(3)
	v_pk_add_f16 v105, v15, v43
	v_pk_add_f16 v106, v17, v43
	;; [unrolled: 1-line block ×64, first 2 shown]
	v_pk_min_f16 v11, 0x7c00, v11 op_sel_hi:[0,1]
	v_pk_min_f16 v34, 0x7c00, v47 op_sel_hi:[0,1]
	;; [unrolled: 1-line block ×64, first 2 shown]
	v_pk_min_f16 v155, v11, v74
	v_pk_min_f16 v34, v34, v75
	;; [unrolled: 1-line block ×64, first 2 shown]
	ds_store_b16 v14, v12 offset:4608
	ds_store_b16 v165, v13 offset:3584
	scratch_store_b32 off, v165, off offset:300 ; 4-byte Folded Spill
	s_waitcnt lgkmcnt(0)
	s_waitcnt_vscnt null, 0x0
	s_barrier
	buffer_gl0_inv
	s_cbranch_scc1 .LBB226_13
; %bb.10:
	v_dual_mov_b32 v17, v22 :: v_dual_add_nc_u32 v6, 0x1000, v14
	scratch_store_b32 off, v163, off offset:352 ; 4-byte Folded Spill
	v_add_nc_u32_e32 v18, 8, v4
	v_add_co_u32 v20, vcc_lo, v2, v5
	s_clause 0x1
	scratch_store_b32 off, v6, off offset:308
	scratch_store_b32 off, v164, off offset:356
	v_add_nc_u32_e32 v6, 0x1000, v164
	v_add_co_ci_u32_e32 v21, vcc_lo, 0, v3, vcc_lo
	v_mad_i64_i32 v[2:3], null, v18, s16, 0
	scratch_store_b32 off, v6, off offset:312 ; 4-byte Folded Spill
	v_add_nc_u32_e32 v6, 0x1200, v14
	v_dual_mov_b32 v16, v29 :: v_dual_add_nc_u32 v19, 12, v4
	v_add_co_u32 v18, vcc_lo, s12, v0
	scratch_store_b32 off, v6, off offset:316 ; 4-byte Folded Spill
	scratch_load_b32 v6, off, off offset:300 ; 4-byte Folded Reload
	v_mad_i64_i32 v[4:5], null, v19, s16, 0
	v_add_co_ci_u32_e32 v19, vcc_lo, s13, v1, vcc_lo
	v_lshlrev_b64 v[0:1], 1, v[2:3]
	v_add_co_u32 v20, vcc_lo, v20, s10
	v_add_co_ci_u32_e32 v21, vcc_lo, s11, v21, vcc_lo
	s_ashr_i32 s17, s16, 31
	s_add_i32 s10, s8, -8
	s_lshl_b64 s[8:9], s[16:17], 4
	s_mov_b32 s11, 0
	s_waitcnt vmcnt(0)
	v_or_b32_e32 v6, 0x800, v6
	s_clause 0x1
	scratch_store_b32 off, v6, off offset:320
	scratch_store_b32 off, v162, off offset:348
	v_lshl_add_u32 v6, v162, 3, 0x1200
	scratch_store_b64 off, v[0:1], off offset:332 ; 8-byte Folded Spill
	v_lshlrev_b64 v[0:1], 1, v[4:5]
	v_add_co_u32 v4, vcc_lo, v20, 16
	scratch_store_b32 off, v6, off offset:324 ; 4-byte Folded Spill
	v_add_nc_u32_e32 v6, 0x800, v161
	v_add_co_ci_u32_e32 v5, vcc_lo, 0, v21, vcc_lo
	s_clause 0x2
	scratch_store_b64 off, v[0:1], off offset:340
	scratch_store_b32 off, v161, off offset:304
	scratch_store_b32 off, v6, off offset:328
.LBB226_11:                             ; =>This Inner Loop Header: Depth=1
	s_clause 0x1
	scratch_load_b32 v0, off, off offset:324
	scratch_load_b32 v1, off, off offset:328
	v_pk_max_f16 v23, v149, v149
	v_pk_max_f16 v149, v53, v53
	;; [unrolled: 1-line block ×61, first 2 shown]
	s_add_i32 s11, s11, 8
	s_delay_alu instid0(SALU_CYCLE_1)
	s_cmp_ge_i32 s11, s10
	s_waitcnt vmcnt(1)
	ds_load_2addr_b64 v[187:190], v0 offset0:48 offset1:56
	s_waitcnt vmcnt(0)
	ds_load_2addr_b64 v[128:131], v1 offset0:192 offset1:224
	ds_load_2addr_b64 v[204:207], v0 offset1:8
	ds_load_2addr_b64 v[193:196], v0 offset0:32 offset1:40
	ds_load_2addr_b64 v[200:203], v0 offset0:16 offset1:24
	;; [unrolled: 1-line block ×4, first 2 shown]
	ds_load_2addr_b64 v[208:211], v1 offset1:32
	s_waitcnt lgkmcnt(6)
	v_pk_add_f16 v2, v189, v130
	s_waitcnt lgkmcnt(5)
	v_pk_add_f16 v0, v206, v130
	;; [unrolled: 2-line block ×3, first 2 shown]
	s_clause 0x1
	scratch_store_b32 off, v2, off offset:60
	scratch_store_b32 off, v0, off offset:108
	v_pk_add_f16 v2, v190, v131
	v_pk_add_f16 v0, v207, v131
	s_waitcnt lgkmcnt(1)
	v_pk_add_f16 v170, v200, v182
	s_waitcnt lgkmcnt(0)
	v_pk_add_f16 v225, v200, v210
	v_pk_add_f16 v227, v200, v208
	s_clause 0x1
	scratch_store_b32 off, v2, off
	scratch_store_b32 off, v0, off offset:24
	v_pk_add_f16 v2, v187, v130
	v_pk_add_f16 v0, v204, v130
	;; [unrolled: 1-line block ×5, first 2 shown]
	scratch_store_b32 off, v2, off offset:68 ; 4-byte Folded Spill
	v_pk_add_f16 v2, v188, v131
	scratch_store_b32 off, v0, off offset:116 ; 4-byte Folded Spill
	v_pk_add_f16 v0, v205, v131
	v_pk_add_f16 v165, v190, v211
	v_pk_add_f16 v197, v189, v208
	scratch_store_b32 off, v2, off offset:4 ; 4-byte Folded Spill
	v_pk_add_f16 v2, v195, v130
	scratch_store_b32 off, v0, off offset:28 ; 4-byte Folded Spill
	v_pk_add_f16 v0, v189, v128
	v_pk_add_f16 v175, v190, v209
	v_pk_add_f16 v164, v187, v182
	;; [unrolled: 6-line block ×10, first 2 shown]
	v_pk_add_f16 v171, v206, v182
	v_pk_add_f16 v176, v195, v180
	scratch_store_b32 off, v0, off offset:156 ; 4-byte Folded Spill
	v_pk_add_f16 v0, v203, v129
	v_pk_add_f16 v178, v193, v180
	v_pk_add_f16 v185, v206, v180
	v_pk_add_f16 v156, v207, v181
	v_pk_add_f16 v130, v205, v181
	scratch_store_b32 off, v0, off offset:48 ; 4-byte Folded Spill
	v_pk_add_f16 v0, v200, v128
	v_pk_add_f16 v221, v195, v210
	v_pk_add_f16 v222, v193, v210
	;; [unrolled: 6-line block ×3, first 2 shown]
	v_pk_add_f16 v228, v206, v210
	v_pk_add_f16 v230, v206, v208
	scratch_store_b32 off, v0, off offset:52 ; 4-byte Folded Spill
	v_pk_add_f16 v0, v206, v128
	v_pk_min_f16 v20, v76, v20
	v_pk_min_f16 v36, v36, v199
	v_pk_min_f16 v37, v37, v223
	v_pk_min_f16 v38, v38, v226
	scratch_store_b32 off, v0, off offset:172 ; 4-byte Folded Spill
	v_pk_add_f16 v0, v207, v129
	v_pk_min_f16 v39, v39, v227
	v_pk_min_f16 v34, v34, v230
	;; [unrolled: 1-line block ×3, first 2 shown]
	scratch_store_b32 off, v0, off offset:56 ; 4-byte Folded Spill
	v_pk_add_f16 v0, v204, v128
	scratch_store_b32 off, v0, off offset:180 ; 4-byte Folded Spill
	v_pk_add_f16 v0, v205, v129
	;; [unrolled: 2-line block ×19, first 2 shown]
	v_pk_add_f16 v189, v201, v211
	scratch_store_b32 off, v0, off offset:252 ; 4-byte Folded Spill
	v_pk_add_f16 v0, v190, v161
	scratch_store_b32 off, v0, off offset:136 ; 4-byte Folded Spill
	v_pk_add_f16 v0, v187, v160
	v_pk_add_f16 v187, v203, v209
	scratch_store_b32 off, v0, off offset:260 ; 4-byte Folded Spill
	v_pk_add_f16 v0, v188, v161
	v_pk_min_f16 v38, v38, v187
	scratch_store_b32 off, v0, off offset:144 ; 4-byte Folded Spill
	v_pk_add_f16 v0, v195, v160
	v_pk_add_f16 v195, v205, v211
	scratch_store_b32 off, v0, off offset:268 ; 4-byte Folded Spill
	v_pk_add_f16 v0, v196, v161
	scratch_store_b32 off, v0, off offset:152 ; 4-byte Folded Spill
	v_pk_add_f16 v0, v193, v160
	v_pk_add_f16 v193, v207, v209
	scratch_store_b32 off, v0, off offset:276 ; 4-byte Folded Spill
	v_pk_add_f16 v0, v194, v161
	v_pk_min_f16 v34, v34, v193
	scratch_store_b32 off, v0, off offset:160 ; 4-byte Folded Spill
	v_pk_add_f16 v0, v203, v161
	scratch_store_b32 off, v0, off offset:168 ; 4-byte Folded Spill
	v_pk_add_f16 v0, v200, v160
	;; [unrolled: 2-line block ×13, first 2 shown]
	v_pk_add_f16 v183, v200, v180
	v_pk_add_f16 v180, v196, v209
	scratch_store_b32 off, v0, off offset:256 ; 4-byte Folded Spill
	v_pk_add_f16 v0, v190, v181
	v_pk_add_f16 v190, v201, v209
	v_pk_min_f16 v36, v36, v180
	scratch_store_b32 off, v0, off offset:264 ; 4-byte Folded Spill
	v_pk_add_f16 v0, v188, v181
	v_pk_add_f16 v188, v203, v211
	v_pk_min_f16 v39, v39, v190
	scratch_store_b32 off, v0, off offset:272 ; 4-byte Folded Spill
	v_pk_add_f16 v0, v196, v181
	scratch_store_b32 off, v0, off offset:280 ; 4-byte Folded Spill
	v_pk_add_f16 v0, v194, v181
	v_pk_add_f16 v194, v207, v211
	scratch_store_b32 off, v0, off offset:284 ; 4-byte Folded Spill
	v_pk_add_f16 v0, v203, v181
	scratch_store_b32 off, v0, off offset:292 ; 4-byte Folded Spill
	v_pk_add_f16 v0, v201, v181
	v_pk_add_f16 v181, v196, v211
	;; [unrolled: 1-line block ×3, first 2 shown]
	scratch_store_b32 off, v0, off offset:296 ; 4-byte Folded Spill
	scratch_load_b64 v[0:1], off, off offset:332 ; 8-byte Folded Reload
	s_waitcnt vmcnt(0)
	v_add_co_u32 v200, vcc_lo, v18, v0
	v_add_co_ci_u32_e32 v201, vcc_lo, v19, v1, vcc_lo
	s_clause 0x3
	flat_load_u16 v202, v[200:201] offset:384
	flat_load_u16 v203, v[200:201] offset:256
	;; [unrolled: 1-line block ×3, first 2 shown]
	flat_load_u16 v200, v[200:201]
	flat_load_u16 v201, v[4:5]
	scratch_load_b32 v0, off, off offset:308 ; 4-byte Folded Reload
	s_waitcnt vmcnt(0) lgkmcnt(0)
	ds_store_b16 v0, v201
	scratch_load_b32 v0, off, off offset:300 ; 4-byte Folded Reload
	s_waitcnt vmcnt(0)
	ds_store_b16 v0, v200
	ds_store_b16 v0, v204 offset:512
	ds_store_b16 v0, v203 offset:1024
	;; [unrolled: 1-line block ×3, first 2 shown]
	s_waitcnt lgkmcnt(0)
	s_waitcnt_vscnt null, 0x0
	s_barrier
	buffer_gl0_inv
	s_clause 0x2
	scratch_load_b32 v15, off, off offset:304
	scratch_load_b32 v53, off, off offset:60
	;; [unrolled: 1-line block ×3, first 2 shown]
	s_waitcnt vmcnt(2)
	ds_load_2addr_b64 v[205:208], v15 offset1:32
	s_waitcnt vmcnt(1)
	v_pk_min_f16 v41, v41, v53
	scratch_load_b32 v53, off, off offset:68 ; 4-byte Folded Reload
	s_waitcnt vmcnt(1)
	ds_load_2addr_b64 v[201:204], v0 offset1:8
	ds_load_2addr_b64 v[209:212], v0 offset0:16 offset1:24
	ds_load_2addr_b64 v[213:216], v0 offset0:32 offset1:40
	;; [unrolled: 1-line block ×3, first 2 shown]
	v_dual_mov_b32 v1, v52 :: v_dual_mov_b32 v0, v58
	s_delay_alu instid0(VALU_DEP_1)
	v_pk_max_f16 v0, v0, v0
	s_waitcnt lgkmcnt(3)
	v_pk_add_f16 v200, v201, v205
	v_pk_add_f16 v232, v203, v205
	s_waitcnt lgkmcnt(2)
	v_pk_add_f16 v233, v209, v205
	v_pk_add_f16 v234, v211, v205
	;; [unrolled: 3-line block ×4, first 2 shown]
	v_pk_add_f16 v239, v201, v207
	v_pk_add_f16 v240, v203, v207
	;; [unrolled: 1-line block ×24, first 2 shown]
	ds_load_2addr_b64 v[205:208], v15 offset0:64 offset1:96
	v_pk_min_f16 v34, v34, v232
	v_pk_min_f16 v39, v39, v233
	;; [unrolled: 1-line block ×10, first 2 shown]
	s_waitcnt lgkmcnt(0)
	v_pk_add_f16 v2, v201, v205
	v_pk_add_f16 v3, v203, v205
	;; [unrolled: 1-line block ×32, first 2 shown]
	ds_load_2addr_b64 v[205:208], v15 offset0:128 offset1:160
	s_waitcnt lgkmcnt(0)
	v_pk_add_f16 v117, v201, v205
	v_pk_add_f16 v63, v203, v205
	;; [unrolled: 1-line block ×32, first 2 shown]
	ds_load_2addr_b64 v[205:208], v15 offset0:192 offset1:224
	v_pk_max_f16 v15, v150, v150
	v_pk_max_f16 v150, v1, v1
	s_waitcnt lgkmcnt(0)
	v_pk_add_f16 v1, v217, v205
	v_pk_add_f16 v113, v201, v205
	;; [unrolled: 1-line block ×32, first 2 shown]
	s_waitcnt vmcnt(0)
	v_pk_min_f16 v42, v42, v53
	scratch_load_b32 v53, off, off offset:76 ; 4-byte Folded Reload
	s_waitcnt vmcnt(0)
	v_pk_min_f16 v32, v32, v53
	scratch_load_b32 v53, off, off offset:84 ; 4-byte Folded Reload
	;; [unrolled: 3-line block ×27, first 2 shown]
	s_waitcnt vmcnt(0)
	v_pk_min_f16 v76, v77, v53
	v_pk_min_f16 v77, v78, v157
	;; [unrolled: 1-line block ×4, first 2 shown]
	scratch_load_b32 v21, off, off          ; 4-byte Folded Reload
	v_pk_min_f16 v80, v81, v164
	v_pk_min_f16 v81, v82, v166
	;; [unrolled: 1-line block ×51, first 2 shown]
	s_delay_alu instid0(VALU_DEP_1)
	v_pk_min_f16 v94, v3, v31
	s_waitcnt vmcnt(0)
	v_pk_min_f16 v41, v41, v21
	scratch_load_b32 v21, off, off offset:4 ; 4-byte Folded Reload
	v_pk_min_f16 v41, v41, v207
	s_waitcnt vmcnt(0)
	v_pk_min_f16 v42, v42, v21
	scratch_load_b32 v21, off, off offset:8 ; 4-byte Folded Reload
	;; [unrolled: 4-line block ×8, first 2 shown]
	s_waitcnt vmcnt(0)
	v_pk_min_f16 v153, v153, v21
	scratch_load_b32 v21, off, off offset:36 ; 4-byte Folded Reload
	s_waitcnt vmcnt(0)
	v_pk_min_f16 v152, v152, v21
	scratch_load_b32 v21, off, off offset:40 ; 4-byte Folded Reload
	v_pk_min_f16 v1, v152, v1
	s_delay_alu instid0(VALU_DEP_1) | instskip(SKIP_4) | instid1(VALU_DEP_1)
	v_pk_min_f16 v152, v1, v219
	s_waitcnt vmcnt(0)
	v_pk_min_f16 v151, v151, v21
	scratch_load_b32 v21, off, off offset:44 ; 4-byte Folded Reload
	v_pk_min_f16 v47, v151, v47
	v_pk_min_f16 v151, v47, v45
	s_waitcnt vmcnt(0)
	v_pk_min_f16 v150, v150, v21
	scratch_load_b32 v21, off, off offset:48 ; 4-byte Folded Reload
	v_pk_min_f16 v46, v150, v46
	;; [unrolled: 5-line block ×4, first 2 shown]
	v_pk_min_f16 v148, v22, v212
	s_delay_alu instid0(VALU_DEP_2)
	v_pk_min_f16 v54, v109, v107
	s_waitcnt vmcnt(0)
	v_pk_min_f16 v147, v147, v21
	scratch_load_b32 v21, off, off offset:64 ; 4-byte Folded Reload
	s_waitcnt vmcnt(0)
	v_pk_min_f16 v146, v146, v21
	scratch_load_b32 v21, off, off offset:72 ; 4-byte Folded Reload
	;; [unrolled: 3-line block ×3, first 2 shown]
	v_pk_min_f16 v11, v11, v132
	s_delay_alu instid0(VALU_DEP_1)
	v_pk_min_f16 v11, v11, v115
	s_waitcnt vmcnt(0)
	v_pk_min_f16 v0, v0, v21
	scratch_load_b32 v21, off, off offset:88 ; 4-byte Folded Reload
	v_pk_min_f16 v0, v0, v66
	v_pk_min_f16 v66, v146, v113
	v_pk_min_f16 v113, v147, v114
	v_pk_min_f16 v114, v153, v205
	v_pk_min_f16 v147, v40, v214
	v_pk_min_f16 v146, v42, v218
	v_pk_min_f16 v56, v66, v111
	v_pk_min_f16 v55, v113, v112
	v_pk_min_f16 v153, v114, v206
	s_waitcnt vmcnt(0)
	v_pk_min_f16 v17, v17, v21
	scratch_load_b32 v21, off, off offset:96 ; 4-byte Folded Reload
	v_pk_min_f16 v17, v17, v127
	s_delay_alu instid0(VALU_DEP_1) | instskip(SKIP_4) | instid1(VALU_DEP_1)
	v_pk_min_f16 v17, v17, v143
	s_waitcnt vmcnt(0)
	v_pk_min_f16 v16, v16, v21
	scratch_load_b32 v21, off, off offset:104 ; 4-byte Folded Reload
	v_pk_min_f16 v16, v16, v126
	v_pk_min_f16 v16, v16, v142
	s_waitcnt vmcnt(0)
	v_pk_min_f16 v145, v145, v21
	scratch_load_b32 v21, off, off offset:112 ; 4-byte Folded Reload
	v_pk_min_f16 v65, v145, v65
	v_pk_min_f16 v145, v32, v216
	s_delay_alu instid0(VALU_DEP_2)
	v_pk_min_f16 v61, v65, v141
	s_waitcnt vmcnt(0)
	v_pk_min_f16 v144, v144, v21
	scratch_load_b32 v21, off, off offset:120 ; 4-byte Folded Reload
	s_waitcnt vmcnt(0)
	v_pk_min_f16 v70, v70, v21
	scratch_load_b32 v21, off, off offset:128 ; 4-byte Folded Reload
	v_pk_min_f16 v70, v70, v124
	s_delay_alu instid0(VALU_DEP_1) | instskip(SKIP_4) | instid1(VALU_DEP_1)
	v_pk_min_f16 v70, v70, v69
	s_waitcnt vmcnt(0)
	v_pk_min_f16 v71, v71, v21
	scratch_load_b32 v21, off, off offset:136 ; 4-byte Folded Reload
	v_pk_min_f16 v71, v71, v123
	v_pk_min_f16 v71, v71, v139
	s_waitcnt vmcnt(0)
	v_pk_min_f16 v72, v72, v21
	scratch_load_b32 v21, off, off offset:144 ; 4-byte Folded Reload
	v_pk_min_f16 v72, v72, v122
	s_delay_alu instid0(VALU_DEP_1) | instskip(SKIP_4) | instid1(VALU_DEP_1)
	v_pk_min_f16 v72, v72, v138
	s_waitcnt vmcnt(0)
	v_pk_min_f16 v73, v73, v21
	scratch_load_b32 v21, off, off offset:152 ; 4-byte Folded Reload
	v_pk_min_f16 v64, v73, v64
	v_pk_min_f16 v73, v64, v68
	;; [unrolled: 11-line block ×3, first 2 shown]
	s_waitcnt vmcnt(0)
	v_pk_min_f16 v154, v20, v21
	scratch_load_b32 v20, off, off offset:176 ; 4-byte Folded Reload
	s_waitcnt vmcnt(0)
	v_pk_min_f16 v76, v76, v20
	scratch_load_b32 v20, off, off offset:184 ; 4-byte Folded Reload
	v_pk_min_f16 v76, v76, v118
	v_pk_min_f16 v118, v144, v125
	;; [unrolled: 1-line block ×3, first 2 shown]
	s_delay_alu instid0(VALU_DEP_2)
	v_pk_min_f16 v62, v118, v140
	s_waitcnt vmcnt(0)
	v_pk_min_f16 v77, v77, v20
	scratch_load_b32 v20, off, off offset:188 ; 4-byte Folded Reload
	v_pk_min_f16 v63, v77, v63
	v_pk_min_f16 v77, v76, v134
	s_waitcnt vmcnt(0)
	v_pk_min_f16 v78, v78, v20
	scratch_load_b32 v20, off, off offset:200 ; 4-byte Folded Reload
	v_pk_min_f16 v78, v78, v117
	v_pk_min_f16 v117, v154, v119
	;; [unrolled: 1-line block ×3, first 2 shown]
	s_delay_alu instid0(VALU_DEP_2) | instskip(NEXT) | instid1(VALU_DEP_2)
	v_pk_min_f16 v76, v117, v135
	v_pk_min_f16 v154, v119, v202
	s_waitcnt vmcnt(0)
	v_pk_min_f16 v79, v79, v20
	scratch_load_b32 v20, off, off offset:208 ; 4-byte Folded Reload
	v_pk_min_f16 v53, v79, v7
	v_pk_min_f16 v79, v78, v133
	v_pk_min_f16 v78, v63, v67
	s_waitcnt vmcnt(0)
	v_pk_min_f16 v80, v80, v20
	scratch_load_b32 v20, off, off offset:216 ; 4-byte Folded Reload
	v_pk_min_f16 v29, v80, v29
	;; [unrolled: 6-line block ×3, first 2 shown]
	v_pk_min_f16 v81, v29, v8
	s_waitcnt vmcnt(0)
	v_pk_min_f16 v82, v82, v20
	scratch_load_b32 v20, off, off offset:232 ; 4-byte Folded Reload
	v_pk_min_f16 v52, v82, v52
	v_pk_min_f16 v82, v28, v9
	s_waitcnt vmcnt(0)
	v_pk_min_f16 v83, v83, v20
	scratch_load_b32 v20, off, off offset:240 ; 4-byte Folded Reload
	v_pk_min_f16 v27, v83, v27
	v_pk_min_f16 v83, v52, v60
	v_pk_min_f16 v52, v46, v43
	s_waitcnt vmcnt(0)
	v_pk_min_f16 v84, v84, v20
	scratch_load_b32 v20, off, off offset:248 ; 4-byte Folded Reload
	v_pk_min_f16 v51, v84, v51
	v_pk_min_f16 v84, v27, v97
	s_waitcnt vmcnt(0)
	v_pk_min_f16 v85, v85, v20
	scratch_load_b32 v20, off, off offset:256 ; 4-byte Folded Reload
	v_pk_min_f16 v50, v85, v50
	v_pk_min_f16 v85, v51, v59
	;; [unrolled: 5-line block ×4, first 2 shown]
	v_pk_min_f16 v58, v0, v13
	s_waitcnt vmcnt(0)
	v_pk_min_f16 v88, v88, v20
	scratch_load_b32 v20, off, off offset:280 ; 4-byte Folded Reload
	v_pk_min_f16 v24, v88, v24
	v_pk_min_f16 v88, v25, v35
	s_waitcnt vmcnt(0)
	v_pk_min_f16 v89, v89, v20
	scratch_load_b32 v20, off, off offset:284 ; 4-byte Folded Reload
	v_pk_min_f16 v49, v89, v49
	;; [unrolled: 5-line block ×4, first 2 shown]
	v_pk_min_f16 v91, v48, v12
	s_waitcnt vmcnt(0)
	v_pk_min_f16 v92, v92, v20
	scratch_load_b64 v[20:21], off, off offset:340 ; 8-byte Folded Reload
	v_pk_min_f16 v6, v92, v6
	v_pk_min_f16 v92, v10, v14
	s_delay_alu instid0(VALU_DEP_2)
	v_pk_min_f16 v93, v6, v30
	s_waitcnt vmcnt(0)
	v_add_co_u32 v20, vcc_lo, v18, v20
	v_add_co_ci_u32_e32 v21, vcc_lo, v19, v21, vcc_lo
	s_clause 0x3
	flat_load_u16 v130, v[20:21] offset:384
	flat_load_u16 v156, v[20:21] offset:256
	;; [unrolled: 1-line block ×3, first 2 shown]
	flat_load_u16 v20, v[20:21]
	flat_load_u16 v0, v[4:5] offset:8
	scratch_load_b32 v1, off, off offset:316 ; 4-byte Folded Reload
	v_pk_min_f16 v21, v106, v200
	v_add_co_u32 v18, vcc_lo, v18, s8
	v_add_co_ci_u32_e32 v19, vcc_lo, s9, v19, vcc_lo
	v_add_co_u32 v4, vcc_lo, v4, 16
	s_delay_alu instid0(VALU_DEP_4)
	v_pk_min_f16 v155, v21, v247
	v_pk_min_f16 v106, v105, v253
	v_pk_min_f16 v105, v104, v254
	v_pk_min_f16 v104, v103, v255
	v_pk_min_f16 v103, v102, v163
	v_pk_min_f16 v102, v101, v162
	v_pk_min_f16 v101, v100, v161
	v_pk_min_f16 v100, v99, v160
	v_pk_min_f16 v99, v98, v159
	v_pk_min_f16 v98, v96, v158
	v_pk_min_f16 v96, v95, v129
	v_pk_min_f16 v95, v2, v128
	v_add_co_ci_u32_e32 v5, vcc_lo, 0, v5, vcc_lo
	s_waitcnt vmcnt(0) lgkmcnt(0)
	ds_store_b16 v1, v0
	scratch_load_b32 v0, off, off offset:320 ; 4-byte Folded Reload
	s_waitcnt vmcnt(0)
	ds_store_b16 v0, v20
	ds_store_b16 v0, v157 offset:512
	ds_store_b16 v0, v156 offset:1024
	;; [unrolled: 1-line block ×3, first 2 shown]
	s_waitcnt lgkmcnt(0)
	s_barrier
	buffer_gl0_inv
	s_cbranch_scc0 .LBB226_11
; %bb.12:
	s_clause 0x3
	scratch_load_b32 v161, off, off offset:304
	scratch_load_b32 v162, off, off offset:348
	;; [unrolled: 1-line block ×4, first 2 shown]
	s_branch .LBB226_14
.LBB226_13:
	v_dual_mov_b32 v17, v22 :: v_dual_mov_b32 v16, v29
.LBB226_14:
	s_load_b32 s8, s[0:1], 0x50
	s_waitcnt vmcnt(1)
	v_dual_mov_b32 v57, v11 :: v_dual_add_nc_u32 v44, s14, v163
	s_waitcnt vmcnt(0)
	ds_load_b64 v[26:27], v164 offset:4608
	ds_load_b64 v[46:47], v161 offset:2048
	v_dual_mov_b32 v33, 0 :: v_dual_add_nc_u32 v50, s3, v162
	v_cmp_neq_f16_e64 s9, s15, 0
	v_dual_mov_b32 v60, v16 :: v_dual_mov_b32 v59, v17
	s_delay_alu instid0(VALU_DEP_3) | instskip(SKIP_1) | instid1(VALU_DEP_4)
	v_ashrrev_i32_e32 v51, 31, v50
	v_mov_b32_e32 v32, 0
	s_and_b32 vcc_lo, exec_lo, s9
	s_delay_alu instid0(VALU_DEP_2) | instskip(SKIP_2) | instid1(VALU_DEP_1)
	v_lshlrev_b64 v[28:29], 1, v[50:51]
	s_waitcnt lgkmcnt(0)
	v_mad_i64_i32 v[0:1], null, v44, s8, 0
	v_lshlrev_b64 v[0:1], 1, v[0:1]
	s_delay_alu instid0(VALU_DEP_1) | instskip(NEXT) | instid1(VALU_DEP_1)
	v_add_co_u32 v107, s3, s4, v0
	v_add_co_ci_u32_e64 v108, s3, s5, v1, s3
	s_cbranch_vccz .LBB226_16
; %bb.15:
	s_delay_alu instid0(VALU_DEP_2) | instskip(NEXT) | instid1(VALU_DEP_2)
	v_add_co_u32 v0, vcc_lo, v107, v28
	v_add_co_ci_u32_e32 v1, vcc_lo, v108, v29, vcc_lo
	flat_load_u16 v0, v[0:1]
	s_waitcnt vmcnt(0) lgkmcnt(0)
	v_mul_f16_e32 v32, s15, v0
.LBB226_16:
	s_clause 0x1
	s_load_b32 s3, s[0:1], 0x68
	s_load_b64 s[10:11], s[0:1], 0x70
	v_add_nc_u32_e32 v0, 0x1000, v164
	v_pk_add_f16 v1, v26, v46
	v_pk_max_f16 v2, v155, v155
	v_add_nc_u32_e32 v12, 0x800, v161
	ds_load_b64 v[48:49], v164 offset:5056
	ds_load_b64 v[24:25], v161 offset:3840
	ds_load_2addr_b64 v[8:11], v0 offset0:72 offset1:80
	ds_load_2addr_b64 v[4:7], v0 offset0:88 offset1:96
	v_pk_min_f16 v35, v2, v1
	ds_load_2addr_b64 v[0:3], v0 offset0:104 offset1:112
	ds_load_2addr_b64 v[20:23], v12 offset0:32 offset1:64
	;; [unrolled: 1-line block ×4, first 2 shown]
	v_pk_add_f16 v30, v27, v47
	v_add_nc_u32_e32 v40, 8, v50
	v_cndmask_b32_e64 v31, 0, 1, s9
	s_delay_alu instid0(VALU_DEP_3) | instskip(NEXT) | instid1(VALU_DEP_3)
	v_pk_min_f16 v30, v35, v30
	v_ashrrev_i32_e32 v41, 31, v40
	s_delay_alu instid0(VALU_DEP_3)
	v_cmp_ne_u32_e64 s0, 1, v31
	s_waitcnt lgkmcnt(0)
	v_mad_i64_i32 v[42:43], null, v44, s3, 0
	s_lshl_b64 s[10:11], s[10:11], 1
	v_lshrrev_b32_e32 v31, 16, v30
	s_add_u32 s1, s6, s10
	s_addc_u32 s6, s7, s11
	s_delay_alu instid0(VALU_DEP_1) | instskip(NEXT) | instid1(VALU_DEP_3)
	v_min3_f16 v32, v32, v30, v31
	v_lshlrev_b64 v[42:43], 1, v[42:43]
	v_lshlrev_b64 v[30:31], 1, v[40:41]
	s_delay_alu instid0(VALU_DEP_2) | instskip(NEXT) | instid1(VALU_DEP_3)
	v_add_co_u32 v109, vcc_lo, s1, v42
	v_add_co_ci_u32_e32 v110, vcc_lo, s6, v43, vcc_lo
	s_delay_alu instid0(VALU_DEP_2) | instskip(NEXT) | instid1(VALU_DEP_2)
	v_add_co_u32 v42, vcc_lo, v109, v28
	v_add_co_ci_u32_e32 v43, vcc_lo, v110, v29, vcc_lo
	s_and_not1_b32 vcc_lo, exec_lo, s9
	global_store_b16 v[42:43], v32, off
	s_cbranch_vccnz .LBB226_18
; %bb.17:
	v_add_co_u32 v40, vcc_lo, v107, v30
	v_add_co_ci_u32_e32 v41, vcc_lo, v108, v31, vcc_lo
	flat_load_u16 v32, v[40:41]
	s_waitcnt vmcnt(0) lgkmcnt(0)
	v_mul_f16_e32 v33, s15, v32
.LBB226_18:
	v_pk_add_f16 v32, v8, v46
	v_pk_max_f16 v34, v34, v34
	v_pk_add_f16 v35, v9, v47
	v_add_nc_u32_e32 v40, 16, v50
	v_add_co_u32 v111, vcc_lo, v109, v30
	s_delay_alu instid0(VALU_DEP_4) | instskip(SKIP_1) | instid1(VALU_DEP_4)
	v_pk_min_f16 v32, v34, v32
	v_add_co_ci_u32_e32 v112, vcc_lo, v110, v31, vcc_lo
	v_ashrrev_i32_e32 v41, 31, v40
	v_mov_b32_e32 v42, 0
	s_delay_alu instid0(VALU_DEP_4) | instskip(SKIP_1) | instid1(VALU_DEP_1)
	v_pk_min_f16 v32, v32, v35
	s_and_b32 vcc_lo, exec_lo, s0
	v_lshrrev_b32_e32 v34, 16, v32
	s_delay_alu instid0(VALU_DEP_1)
	v_min3_f16 v34, v33, v32, v34
	v_lshlrev_b64 v[32:33], 1, v[40:41]
	v_mov_b32_e32 v40, 0
	global_store_b16 v[111:112], v34, off
	s_cbranch_vccnz .LBB226_20
; %bb.19:
	v_add_co_u32 v40, vcc_lo, v107, v32
	v_add_co_ci_u32_e32 v41, vcc_lo, v108, v33, vcc_lo
	flat_load_u16 v34, v[40:41]
	s_waitcnt vmcnt(0) lgkmcnt(0)
	v_mul_f16_e32 v40, s15, v34
.LBB226_20:
	v_pk_add_f16 v34, v10, v46
	v_pk_max_f16 v35, v39, v39
	v_pk_add_f16 v39, v11, v47
	v_add_nc_u32_e32 v111, 24, v50
	v_add_co_u32 v113, vcc_lo, v109, v32
	s_delay_alu instid0(VALU_DEP_4) | instskip(SKIP_1) | instid1(VALU_DEP_4)
	v_pk_min_f16 v34, v35, v34
	v_add_co_ci_u32_e32 v114, vcc_lo, v110, v33, vcc_lo
	v_ashrrev_i32_e32 v112, 31, v111
	s_and_b32 vcc_lo, exec_lo, s0
	s_delay_alu instid0(VALU_DEP_3) | instskip(NEXT) | instid1(VALU_DEP_1)
	v_pk_min_f16 v34, v34, v39
	v_lshrrev_b32_e32 v35, 16, v34
	s_delay_alu instid0(VALU_DEP_1)
	v_min3_f16 v34, v40, v34, v35
	v_lshlrev_b64 v[40:41], 1, v[111:112]
	global_store_b16 v[113:114], v34, off
	s_cbranch_vccnz .LBB226_22
; %bb.21:
	v_add_co_u32 v42, vcc_lo, v107, v40
	v_add_co_ci_u32_e32 v43, vcc_lo, v108, v41, vcc_lo
	flat_load_u16 v34, v[42:43]
	s_waitcnt vmcnt(0) lgkmcnt(0)
	v_mul_f16_e32 v42, s15, v34
.LBB226_22:
	v_pk_add_f16 v34, v4, v46
	v_pk_max_f16 v35, v38, v38
	v_pk_add_f16 v39, v5, v47
	v_dual_mov_b32 v45, 0 :: v_dual_add_nc_u32 v38, 32, v50
	v_add_co_u32 v111, vcc_lo, v109, v40
	s_delay_alu instid0(VALU_DEP_4) | instskip(SKIP_2) | instid1(VALU_DEP_2)
	v_pk_min_f16 v34, v35, v34
	v_add_co_ci_u32_e32 v112, vcc_lo, v110, v41, vcc_lo
	s_and_b32 vcc_lo, exec_lo, s0
	v_pk_min_f16 v34, v34, v39
	v_ashrrev_i32_e32 v39, 31, v38
	s_delay_alu instid0(VALU_DEP_2) | instskip(NEXT) | instid1(VALU_DEP_1)
	v_lshrrev_b32_e32 v35, 16, v34
	v_min3_f16 v34, v42, v34, v35
	s_delay_alu instid0(VALU_DEP_3)
	v_lshlrev_b64 v[42:43], 1, v[38:39]
	v_mov_b32_e32 v38, 0
	global_store_b16 v[111:112], v34, off
	s_cbranch_vccnz .LBB226_24
; %bb.23:
	v_add_co_u32 v38, vcc_lo, v107, v42
	v_add_co_ci_u32_e32 v39, vcc_lo, v108, v43, vcc_lo
	flat_load_u16 v34, v[38:39]
	s_waitcnt vmcnt(0) lgkmcnt(0)
	v_mul_f16_e32 v38, s15, v34
.LBB226_24:
	v_pk_add_f16 v34, v6, v46
	v_pk_max_f16 v35, v37, v37
	v_pk_add_f16 v37, v7, v47
	v_add_nc_u32_e32 v111, 40, v50
	v_add_co_u32 v113, vcc_lo, v109, v42
	s_delay_alu instid0(VALU_DEP_4) | instskip(SKIP_1) | instid1(VALU_DEP_4)
	v_pk_min_f16 v34, v35, v34
	v_add_co_ci_u32_e32 v114, vcc_lo, v110, v43, vcc_lo
	v_ashrrev_i32_e32 v112, 31, v111
	s_and_b32 vcc_lo, exec_lo, s0
	s_delay_alu instid0(VALU_DEP_3) | instskip(NEXT) | instid1(VALU_DEP_1)
	v_pk_min_f16 v34, v34, v37
	v_lshrrev_b32_e32 v35, 16, v34
	s_delay_alu instid0(VALU_DEP_1)
	v_min3_f16 v34, v38, v34, v35
	v_lshlrev_b64 v[38:39], 1, v[111:112]
	global_store_b16 v[113:114], v34, off
	s_cbranch_vccnz .LBB226_26
; %bb.25:
	v_add_co_u32 v111, vcc_lo, v107, v38
	v_add_co_ci_u32_e32 v112, vcc_lo, v108, v39, vcc_lo
	flat_load_u16 v34, v[111:112]
	s_waitcnt vmcnt(0) lgkmcnt(0)
	v_mul_f16_e32 v45, s15, v34
.LBB226_26:
	v_pk_add_f16 v34, v0, v46
	v_pk_max_f16 v35, v36, v36
	v_pk_add_f16 v37, v1, v47
	v_dual_mov_b32 v111, 0 :: v_dual_add_nc_u32 v36, 48, v50
	v_add_co_u32 v112, vcc_lo, v109, v38
	s_delay_alu instid0(VALU_DEP_4) | instskip(SKIP_2) | instid1(VALU_DEP_2)
	v_pk_min_f16 v34, v35, v34
	v_add_co_ci_u32_e32 v113, vcc_lo, v110, v39, vcc_lo
	s_and_b32 vcc_lo, exec_lo, s0
	v_pk_min_f16 v34, v34, v37
	v_ashrrev_i32_e32 v37, 31, v36
	s_delay_alu instid0(VALU_DEP_2) | instskip(NEXT) | instid1(VALU_DEP_2)
	v_lshrrev_b32_e32 v35, 16, v34
	v_lshlrev_b64 v[36:37], 1, v[36:37]
	s_delay_alu instid0(VALU_DEP_2)
	v_min3_f16 v34, v45, v34, v35
	v_mov_b32_e32 v45, 0
	global_store_b16 v[112:113], v34, off
	s_cbranch_vccnz .LBB226_28
; %bb.27:
	v_add_co_u32 v112, vcc_lo, v107, v36
	v_add_co_ci_u32_e32 v113, vcc_lo, v108, v37, vcc_lo
	flat_load_u16 v34, v[112:113]
	s_waitcnt vmcnt(0) lgkmcnt(0)
	v_mul_f16_e32 v45, s15, v34
.LBB226_28:
	v_pk_add_f16 v34, v2, v46
	v_pk_max_f16 v35, v106, v106
	v_pk_add_f16 v51, v3, v47
	v_add_nc_u32_e32 v112, 56, v50
	v_add_co_u32 v114, vcc_lo, v109, v36
	s_delay_alu instid0(VALU_DEP_4) | instskip(SKIP_1) | instid1(VALU_DEP_4)
	v_pk_min_f16 v34, v35, v34
	v_add_co_ci_u32_e32 v115, vcc_lo, v110, v37, vcc_lo
	v_ashrrev_i32_e32 v113, 31, v112
	s_and_b32 vcc_lo, exec_lo, s0
	s_delay_alu instid0(VALU_DEP_3) | instskip(NEXT) | instid1(VALU_DEP_1)
	v_pk_min_f16 v34, v34, v51
	v_lshrrev_b32_e32 v35, 16, v34
	s_delay_alu instid0(VALU_DEP_1)
	v_min3_f16 v45, v45, v34, v35
	v_lshlrev_b64 v[34:35], 1, v[112:113]
	global_store_b16 v[114:115], v45, off
	s_cbranch_vccnz .LBB226_30
; %bb.29:
	v_add_co_u32 v106, vcc_lo, v107, v34
	v_add_co_ci_u32_e32 v107, vcc_lo, v108, v35, vcc_lo
	flat_load_u16 v45, v[106:107]
	s_waitcnt vmcnt(0) lgkmcnt(0)
	v_mul_f16_e32 v111, s15, v45
.LBB226_30:
	v_add_nc_u32_e32 v107, 32, v44
	v_pk_add_f16 v45, v48, v46
	v_pk_max_f16 v46, v105, v105
	v_pk_add_f16 v47, v49, v47
	v_add_co_u32 v109, vcc_lo, v109, v34
	v_mad_i64_i32 v[105:106], null, v107, s8, 0
	s_delay_alu instid0(VALU_DEP_4) | instskip(SKIP_2) | instid1(VALU_DEP_3)
	v_pk_min_f16 v45, v46, v45
	v_add_co_ci_u32_e32 v110, vcc_lo, v110, v35, vcc_lo
	v_mov_b32_e32 v108, 0
	v_pk_min_f16 v45, v45, v47
	v_lshlrev_b64 v[46:47], 1, v[105:106]
	v_mov_b32_e32 v106, 0
	s_delay_alu instid0(VALU_DEP_3) | instskip(NEXT) | instid1(VALU_DEP_3)
	v_lshrrev_b32_e32 v50, 16, v45
	v_add_co_u32 v46, vcc_lo, s4, v46
	s_delay_alu instid0(VALU_DEP_4) | instskip(NEXT) | instid1(VALU_DEP_3)
	v_add_co_ci_u32_e32 v47, vcc_lo, s5, v47, vcc_lo
	v_min3_f16 v45, v111, v45, v50
	s_and_b32 vcc_lo, exec_lo, s0
	global_store_b16 v[109:110], v45, off
	s_cbranch_vccnz .LBB226_32
; %bb.31:
	v_add_co_u32 v108, vcc_lo, v46, v28
	v_add_co_ci_u32_e32 v109, vcc_lo, v47, v29, vcc_lo
	flat_load_u16 v45, v[108:109]
	s_waitcnt vmcnt(0) lgkmcnt(0)
	v_mul_f16_e32 v108, s15, v45
.LBB226_32:
	v_pk_max_f16 v50, v104, v104
	v_mad_i64_i32 v[104:105], null, v107, s3, 0
	v_pk_add_f16 v45, v26, v20
	v_pk_add_f16 v51, v27, v21
	s_delay_alu instid0(VALU_DEP_2) | instskip(NEXT) | instid1(VALU_DEP_4)
	v_pk_min_f16 v45, v50, v45
	v_lshlrev_b64 v[104:105], 1, v[104:105]
	s_delay_alu instid0(VALU_DEP_2) | instskip(NEXT) | instid1(VALU_DEP_2)
	v_pk_min_f16 v45, v45, v51
	v_add_co_u32 v104, vcc_lo, s1, v104
	s_delay_alu instid0(VALU_DEP_3) | instskip(NEXT) | instid1(VALU_DEP_3)
	v_add_co_ci_u32_e32 v105, vcc_lo, s6, v105, vcc_lo
	v_lshrrev_b32_e32 v50, 16, v45
	s_delay_alu instid0(VALU_DEP_3) | instskip(NEXT) | instid1(VALU_DEP_2)
	v_add_co_u32 v107, vcc_lo, v104, v28
	v_min3_f16 v45, v108, v45, v50
	s_delay_alu instid0(VALU_DEP_4)
	v_add_co_ci_u32_e32 v108, vcc_lo, v105, v29, vcc_lo
	s_and_b32 vcc_lo, exec_lo, s0
	global_store_b16 v[107:108], v45, off
	s_cbranch_vccnz .LBB226_34
; %bb.33:
	v_add_co_u32 v106, vcc_lo, v46, v30
	v_add_co_ci_u32_e32 v107, vcc_lo, v47, v31, vcc_lo
	flat_load_u16 v45, v[106:107]
	s_waitcnt vmcnt(0) lgkmcnt(0)
	v_mul_f16_e32 v106, s15, v45
.LBB226_34:
	v_pk_add_f16 v45, v8, v20
	v_pk_max_f16 v50, v103, v103
	v_pk_add_f16 v51, v9, v21
	v_add_co_u32 v107, vcc_lo, v104, v30
	v_add_co_ci_u32_e32 v108, vcc_lo, v105, v31, vcc_lo
	s_delay_alu instid0(VALU_DEP_4) | instskip(SKIP_2) | instid1(VALU_DEP_2)
	v_pk_min_f16 v45, v50, v45
	v_mov_b32_e32 v103, 0
	s_and_b32 vcc_lo, exec_lo, s0
	v_pk_min_f16 v45, v45, v51
	s_delay_alu instid0(VALU_DEP_1) | instskip(NEXT) | instid1(VALU_DEP_1)
	v_lshrrev_b32_e32 v50, 16, v45
	v_min3_f16 v45, v106, v45, v50
	v_mov_b32_e32 v106, 0
	global_store_b16 v[107:108], v45, off
	s_cbranch_vccnz .LBB226_36
; %bb.35:
	v_add_co_u32 v106, vcc_lo, v46, v32
	v_add_co_ci_u32_e32 v107, vcc_lo, v47, v33, vcc_lo
	flat_load_u16 v45, v[106:107]
	s_waitcnt vmcnt(0) lgkmcnt(0)
	v_mul_f16_e32 v106, s15, v45
.LBB226_36:
	v_pk_add_f16 v45, v10, v20
	v_pk_max_f16 v50, v102, v102
	v_pk_add_f16 v51, v11, v21
	s_delay_alu instid0(VALU_DEP_2) | instskip(NEXT) | instid1(VALU_DEP_1)
	v_pk_min_f16 v45, v50, v45
	v_pk_min_f16 v45, v45, v51
	s_delay_alu instid0(VALU_DEP_1) | instskip(NEXT) | instid1(VALU_DEP_1)
	v_lshrrev_b32_e32 v50, 16, v45
	v_min3_f16 v45, v106, v45, v50
	v_add_co_u32 v106, vcc_lo, v104, v32
	v_add_co_ci_u32_e32 v107, vcc_lo, v105, v33, vcc_lo
	s_and_b32 vcc_lo, exec_lo, s0
	global_store_b16 v[106:107], v45, off
	s_cbranch_vccnz .LBB226_38
; %bb.37:
	v_add_co_u32 v102, vcc_lo, v46, v40
	v_add_co_ci_u32_e32 v103, vcc_lo, v47, v41, vcc_lo
	flat_load_u16 v45, v[102:103]
	s_waitcnt vmcnt(0) lgkmcnt(0)
	v_mul_f16_e32 v103, s15, v45
.LBB226_38:
	v_pk_add_f16 v45, v4, v20
	v_pk_max_f16 v50, v101, v101
	v_pk_add_f16 v51, v5, v21
	v_add_co_u32 v106, vcc_lo, v104, v40
	v_add_co_ci_u32_e32 v107, vcc_lo, v105, v41, vcc_lo
	s_delay_alu instid0(VALU_DEP_4) | instskip(SKIP_2) | instid1(VALU_DEP_2)
	v_pk_min_f16 v45, v50, v45
	v_dual_mov_b32 v101, 0 :: v_dual_mov_b32 v102, 0
	s_and_b32 vcc_lo, exec_lo, s0
	v_pk_min_f16 v45, v45, v51
	s_delay_alu instid0(VALU_DEP_1) | instskip(NEXT) | instid1(VALU_DEP_1)
	v_lshrrev_b32_e32 v50, 16, v45
	v_min3_f16 v45, v103, v45, v50
	global_store_b16 v[106:107], v45, off
	s_cbranch_vccnz .LBB226_40
; %bb.39:
	v_add_co_u32 v102, vcc_lo, v46, v42
	v_add_co_ci_u32_e32 v103, vcc_lo, v47, v43, vcc_lo
	flat_load_u16 v45, v[102:103]
	s_waitcnt vmcnt(0) lgkmcnt(0)
	v_mul_f16_e32 v102, s15, v45
.LBB226_40:
	v_pk_add_f16 v45, v6, v20
	v_pk_max_f16 v50, v100, v100
	v_pk_add_f16 v51, v7, v21
	s_delay_alu instid0(VALU_DEP_2) | instskip(NEXT) | instid1(VALU_DEP_1)
	v_pk_min_f16 v45, v50, v45
	v_pk_min_f16 v45, v45, v51
	s_delay_alu instid0(VALU_DEP_1) | instskip(NEXT) | instid1(VALU_DEP_1)
	v_lshrrev_b32_e32 v50, 16, v45
	v_min3_f16 v45, v102, v45, v50
	v_add_co_u32 v102, vcc_lo, v104, v42
	v_add_co_ci_u32_e32 v103, vcc_lo, v105, v43, vcc_lo
	s_and_b32 vcc_lo, exec_lo, s0
	global_store_b16 v[102:103], v45, off
	s_cbranch_vccnz .LBB226_42
; %bb.41:
	v_add_co_u32 v100, vcc_lo, v46, v38
	v_add_co_ci_u32_e32 v101, vcc_lo, v47, v39, vcc_lo
	flat_load_u16 v45, v[100:101]
	s_waitcnt vmcnt(0) lgkmcnt(0)
	v_mul_f16_e32 v101, s15, v45
.LBB226_42:
	v_pk_add_f16 v45, v0, v20
	v_pk_max_f16 v50, v99, v99
	v_pk_add_f16 v51, v1, v21
	v_add_co_u32 v102, vcc_lo, v104, v38
	v_add_co_ci_u32_e32 v103, vcc_lo, v105, v39, vcc_lo
	s_delay_alu instid0(VALU_DEP_4) | instskip(SKIP_2) | instid1(VALU_DEP_2)
	v_pk_min_f16 v45, v50, v45
	v_dual_mov_b32 v99, 0 :: v_dual_mov_b32 v100, 0
	s_and_b32 vcc_lo, exec_lo, s0
	v_pk_min_f16 v45, v45, v51
	s_delay_alu instid0(VALU_DEP_1) | instskip(NEXT) | instid1(VALU_DEP_1)
	v_lshrrev_b32_e32 v50, 16, v45
	v_min3_f16 v45, v101, v45, v50
	global_store_b16 v[102:103], v45, off
	s_cbranch_vccnz .LBB226_44
; %bb.43:
	v_add_co_u32 v100, vcc_lo, v46, v36
	v_add_co_ci_u32_e32 v101, vcc_lo, v47, v37, vcc_lo
	flat_load_u16 v45, v[100:101]
	s_waitcnt vmcnt(0) lgkmcnt(0)
	v_mul_f16_e32 v100, s15, v45
.LBB226_44:
	v_pk_add_f16 v45, v2, v20
	v_pk_max_f16 v50, v98, v98
	v_pk_add_f16 v51, v3, v21
	s_delay_alu instid0(VALU_DEP_2) | instskip(NEXT) | instid1(VALU_DEP_1)
	v_pk_min_f16 v45, v50, v45
	v_pk_min_f16 v45, v45, v51
	s_delay_alu instid0(VALU_DEP_1) | instskip(NEXT) | instid1(VALU_DEP_1)
	v_lshrrev_b32_e32 v50, 16, v45
	v_min3_f16 v45, v100, v45, v50
	v_add_co_u32 v100, vcc_lo, v104, v36
	v_add_co_ci_u32_e32 v101, vcc_lo, v105, v37, vcc_lo
	s_and_b32 vcc_lo, exec_lo, s0
	global_store_b16 v[100:101], v45, off
	s_cbranch_vccnz .LBB226_46
; %bb.45:
	v_add_co_u32 v46, vcc_lo, v46, v34
	v_add_co_ci_u32_e32 v47, vcc_lo, v47, v35, vcc_lo
	flat_load_u16 v45, v[46:47]
	s_waitcnt vmcnt(0) lgkmcnt(0)
	v_mul_f16_e32 v99, s15, v45
.LBB226_46:
	v_add_nc_u32_e32 v46, 64, v44
	v_pk_add_f16 v20, v48, v20
	v_pk_max_f16 v45, v96, v96
	v_pk_add_f16 v21, v49, v21
	v_mov_b32_e32 v96, 0
	v_mad_i64_i32 v[100:101], null, v46, s8, 0
	s_delay_alu instid0(VALU_DEP_4) | instskip(SKIP_1) | instid1(VALU_DEP_2)
	v_pk_min_f16 v20, v45, v20
	v_mov_b32_e32 v98, 0
	v_pk_min_f16 v45, v20, v21
	s_delay_alu instid0(VALU_DEP_4) | instskip(SKIP_2) | instid1(VALU_DEP_4)
	v_lshlrev_b64 v[20:21], 1, v[100:101]
	v_add_co_u32 v100, vcc_lo, v104, v34
	v_add_co_ci_u32_e32 v101, vcc_lo, v105, v35, vcc_lo
	v_lshrrev_b32_e32 v47, 16, v45
	s_delay_alu instid0(VALU_DEP_4) | instskip(SKIP_1) | instid1(VALU_DEP_3)
	v_add_co_u32 v20, vcc_lo, s4, v20
	v_add_co_ci_u32_e32 v21, vcc_lo, s5, v21, vcc_lo
	v_min3_f16 v45, v99, v45, v47
	s_and_b32 vcc_lo, exec_lo, s0
	global_store_b16 v[100:101], v45, off
	s_cbranch_vccnz .LBB226_48
; %bb.47:
	v_add_co_u32 v98, vcc_lo, v20, v28
	v_add_co_ci_u32_e32 v99, vcc_lo, v21, v29, vcc_lo
	flat_load_u16 v45, v[98:99]
	s_waitcnt vmcnt(0) lgkmcnt(0)
	v_mul_f16_e32 v98, s15, v45
.LBB226_48:
	v_pk_add_f16 v45, v26, v22
	v_pk_max_f16 v47, v95, v95
	v_mad_i64_i32 v[99:100], null, v46, s3, 0
	v_pk_add_f16 v46, v27, v23
	s_delay_alu instid0(VALU_DEP_3) | instskip(NEXT) | instid1(VALU_DEP_1)
	v_pk_min_f16 v45, v47, v45
	v_pk_min_f16 v45, v45, v46
	s_delay_alu instid0(VALU_DEP_4) | instskip(NEXT) | instid1(VALU_DEP_2)
	v_lshlrev_b64 v[46:47], 1, v[99:100]
	v_lshrrev_b32_e32 v50, 16, v45
	s_delay_alu instid0(VALU_DEP_2) | instskip(NEXT) | instid1(VALU_DEP_3)
	v_add_co_u32 v46, vcc_lo, s1, v46
	v_add_co_ci_u32_e32 v47, vcc_lo, s6, v47, vcc_lo
	s_delay_alu instid0(VALU_DEP_3) | instskip(NEXT) | instid1(VALU_DEP_3)
	v_min3_f16 v45, v98, v45, v50
	v_add_co_u32 v98, vcc_lo, v46, v28
	s_delay_alu instid0(VALU_DEP_3)
	v_add_co_ci_u32_e32 v99, vcc_lo, v47, v29, vcc_lo
	s_and_b32 vcc_lo, exec_lo, s0
	global_store_b16 v[98:99], v45, off
	s_cbranch_vccnz .LBB226_50
; %bb.49:
	v_add_co_u32 v95, vcc_lo, v20, v30
	v_add_co_ci_u32_e32 v96, vcc_lo, v21, v31, vcc_lo
	flat_load_u16 v45, v[95:96]
	s_waitcnt vmcnt(0) lgkmcnt(0)
	v_mul_f16_e32 v96, s15, v45
.LBB226_50:
	v_pk_add_f16 v45, v8, v22
	v_pk_max_f16 v50, v94, v94
	v_pk_add_f16 v51, v9, v23
	v_add_co_u32 v98, vcc_lo, v46, v30
	v_add_co_ci_u32_e32 v99, vcc_lo, v47, v31, vcc_lo
	s_delay_alu instid0(VALU_DEP_4) | instskip(SKIP_2) | instid1(VALU_DEP_2)
	v_pk_min_f16 v45, v50, v45
	v_dual_mov_b32 v94, 0 :: v_dual_mov_b32 v95, 0
	s_and_b32 vcc_lo, exec_lo, s0
	v_pk_min_f16 v45, v45, v51
	s_delay_alu instid0(VALU_DEP_1) | instskip(NEXT) | instid1(VALU_DEP_1)
	v_lshrrev_b32_e32 v50, 16, v45
	v_min3_f16 v45, v96, v45, v50
	global_store_b16 v[98:99], v45, off
	s_cbranch_vccnz .LBB226_52
; %bb.51:
	v_add_co_u32 v95, vcc_lo, v20, v32
	v_add_co_ci_u32_e32 v96, vcc_lo, v21, v33, vcc_lo
	flat_load_u16 v45, v[95:96]
	s_waitcnt vmcnt(0) lgkmcnt(0)
	v_mul_f16_e32 v95, s15, v45
.LBB226_52:
	v_pk_add_f16 v45, v10, v22
	v_pk_max_f16 v50, v93, v93
	v_pk_add_f16 v51, v11, v23
	s_delay_alu instid0(VALU_DEP_2) | instskip(NEXT) | instid1(VALU_DEP_1)
	v_pk_min_f16 v45, v50, v45
	v_pk_min_f16 v45, v45, v51
	s_delay_alu instid0(VALU_DEP_1) | instskip(NEXT) | instid1(VALU_DEP_1)
	v_lshrrev_b32_e32 v50, 16, v45
	v_min3_f16 v45, v95, v45, v50
	v_add_co_u32 v95, vcc_lo, v46, v32
	v_add_co_ci_u32_e32 v96, vcc_lo, v47, v33, vcc_lo
	s_and_b32 vcc_lo, exec_lo, s0
	global_store_b16 v[95:96], v45, off
	s_cbranch_vccnz .LBB226_54
; %bb.53:
	v_add_co_u32 v93, vcc_lo, v20, v40
	v_add_co_ci_u32_e32 v94, vcc_lo, v21, v41, vcc_lo
	flat_load_u16 v45, v[93:94]
	s_waitcnt vmcnt(0) lgkmcnt(0)
	v_mul_f16_e32 v94, s15, v45
.LBB226_54:
	v_pk_add_f16 v45, v4, v22
	v_pk_max_f16 v50, v92, v92
	v_pk_add_f16 v51, v5, v23
	v_add_co_u32 v95, vcc_lo, v46, v40
	v_add_co_ci_u32_e32 v96, vcc_lo, v47, v41, vcc_lo
	s_delay_alu instid0(VALU_DEP_4) | instskip(SKIP_2) | instid1(VALU_DEP_2)
	v_pk_min_f16 v45, v50, v45
	v_dual_mov_b32 v92, 0 :: v_dual_mov_b32 v93, 0
	s_and_b32 vcc_lo, exec_lo, s0
	v_pk_min_f16 v45, v45, v51
	s_delay_alu instid0(VALU_DEP_1) | instskip(NEXT) | instid1(VALU_DEP_1)
	v_lshrrev_b32_e32 v50, 16, v45
	v_min3_f16 v45, v94, v45, v50
	global_store_b16 v[95:96], v45, off
	s_cbranch_vccnz .LBB226_56
; %bb.55:
	v_add_co_u32 v93, vcc_lo, v20, v42
	v_add_co_ci_u32_e32 v94, vcc_lo, v21, v43, vcc_lo
	flat_load_u16 v45, v[93:94]
	s_waitcnt vmcnt(0) lgkmcnt(0)
	v_mul_f16_e32 v93, s15, v45
.LBB226_56:
	v_pk_add_f16 v45, v6, v22
	v_pk_max_f16 v50, v91, v91
	v_pk_add_f16 v51, v7, v23
	s_delay_alu instid0(VALU_DEP_2) | instskip(NEXT) | instid1(VALU_DEP_1)
	v_pk_min_f16 v45, v50, v45
	v_pk_min_f16 v45, v45, v51
	s_delay_alu instid0(VALU_DEP_1) | instskip(NEXT) | instid1(VALU_DEP_1)
	v_lshrrev_b32_e32 v50, 16, v45
	v_min3_f16 v45, v93, v45, v50
	v_add_co_u32 v93, vcc_lo, v46, v42
	;; [unrolled: 43-line block ×3, first 2 shown]
	v_add_co_ci_u32_e32 v92, vcc_lo, v47, v37, vcc_lo
	s_and_b32 vcc_lo, exec_lo, s0
	global_store_b16 v[91:92], v45, off
	s_cbranch_vccnz .LBB226_62
; %bb.61:
	v_add_co_u32 v20, vcc_lo, v20, v34
	v_add_co_ci_u32_e32 v21, vcc_lo, v21, v35, vcc_lo
	flat_load_u16 v20, v[20:21]
	s_waitcnt vmcnt(0) lgkmcnt(0)
	v_mul_f16_e32 v90, s15, v20
.LBB226_62:
	v_pk_add_f16 v22, v48, v22
	v_pk_max_f16 v45, v88, v88
	v_pk_add_f16 v23, v49, v23
	v_add_nc_u32_e32 v89, 0x60, v44
	s_delay_alu instid0(VALU_DEP_3) | instskip(NEXT) | instid1(VALU_DEP_1)
	v_pk_min_f16 v22, v45, v22
	v_pk_min_f16 v45, v22, v23
	v_add_co_u32 v22, vcc_lo, v46, v34
	v_add_co_ci_u32_e32 v23, vcc_lo, v47, v35, vcc_lo
	s_delay_alu instid0(VALU_DEP_3) | instskip(SKIP_1) | instid1(VALU_DEP_2)
	v_lshrrev_b32_e32 v46, 16, v45
	v_mov_b32_e32 v47, 0
	v_min3_f16 v45, v90, v45, v46
	v_mov_b32_e32 v46, 0
	v_mad_i64_i32 v[20:21], null, v89, s8, 0
	global_store_b16 v[22:23], v45, off
	v_lshlrev_b64 v[20:21], 1, v[20:21]
	s_delay_alu instid0(VALU_DEP_1) | instskip(NEXT) | instid1(VALU_DEP_2)
	v_add_co_u32 v20, vcc_lo, s4, v20
	v_add_co_ci_u32_e32 v21, vcc_lo, s5, v21, vcc_lo
	s_and_b32 vcc_lo, exec_lo, s0
	s_cbranch_vccnz .LBB226_64
; %bb.63:
	s_delay_alu instid0(VALU_DEP_2) | instskip(NEXT) | instid1(VALU_DEP_2)
	v_add_co_u32 v22, vcc_lo, v20, v28
	v_add_co_ci_u32_e32 v23, vcc_lo, v21, v29, vcc_lo
	flat_load_u16 v22, v[22:23]
	s_waitcnt vmcnt(0) lgkmcnt(0)
	v_mul_f16_e32 v47, s15, v22
.LBB226_64:
	v_mad_i64_i32 v[22:23], null, v89, s3, 0
	v_pk_add_f16 v45, v26, v16
	v_pk_max_f16 v50, v87, v87
	v_pk_add_f16 v51, v27, v17
	s_delay_alu instid0(VALU_DEP_2) | instskip(SKIP_1) | instid1(VALU_DEP_2)
	v_pk_min_f16 v45, v50, v45
	v_lshlrev_b64 v[22:23], 1, v[22:23]
	v_pk_min_f16 v45, v45, v51
	s_delay_alu instid0(VALU_DEP_2) | instskip(NEXT) | instid1(VALU_DEP_3)
	v_add_co_u32 v22, vcc_lo, s1, v22
	v_add_co_ci_u32_e32 v23, vcc_lo, s6, v23, vcc_lo
	s_delay_alu instid0(VALU_DEP_3) | instskip(NEXT) | instid1(VALU_DEP_3)
	v_lshrrev_b32_e32 v50, 16, v45
	v_add_co_u32 v87, vcc_lo, v22, v28
	s_delay_alu instid0(VALU_DEP_3) | instskip(NEXT) | instid1(VALU_DEP_3)
	v_add_co_ci_u32_e32 v88, vcc_lo, v23, v29, vcc_lo
	v_min3_f16 v45, v47, v45, v50
	s_and_b32 vcc_lo, exec_lo, s0
	global_store_b16 v[87:88], v45, off
	s_cbranch_vccnz .LBB226_66
; %bb.65:
	v_add_co_u32 v46, vcc_lo, v20, v30
	v_add_co_ci_u32_e32 v47, vcc_lo, v21, v31, vcc_lo
	flat_load_u16 v45, v[46:47]
	s_waitcnt vmcnt(0) lgkmcnt(0)
	v_mul_f16_e32 v46, s15, v45
.LBB226_66:
	v_pk_add_f16 v45, v8, v16
	v_pk_max_f16 v47, v86, v86
	v_pk_add_f16 v50, v9, v17
	v_add_co_u32 v86, vcc_lo, v22, v30
	v_add_co_ci_u32_e32 v87, vcc_lo, v23, v31, vcc_lo
	s_delay_alu instid0(VALU_DEP_4) | instskip(SKIP_1) | instid1(VALU_DEP_1)
	v_pk_min_f16 v45, v47, v45
	s_and_b32 vcc_lo, exec_lo, s0
	v_pk_min_f16 v45, v45, v50
	s_delay_alu instid0(VALU_DEP_1) | instskip(NEXT) | instid1(VALU_DEP_1)
	v_lshrrev_b32_e32 v47, 16, v45
	v_min3_f16 v45, v46, v45, v47
	v_dual_mov_b32 v46, 0 :: v_dual_mov_b32 v47, 0
	global_store_b16 v[86:87], v45, off
	s_cbranch_vccnz .LBB226_68
; %bb.67:
	v_add_co_u32 v86, vcc_lo, v20, v32
	v_add_co_ci_u32_e32 v87, vcc_lo, v21, v33, vcc_lo
	flat_load_u16 v45, v[86:87]
	s_waitcnt vmcnt(0) lgkmcnt(0)
	v_mul_f16_e32 v47, s15, v45
.LBB226_68:
	v_pk_add_f16 v45, v10, v16
	v_pk_max_f16 v50, v85, v85
	v_pk_add_f16 v51, v11, v17
	v_add_co_u32 v85, vcc_lo, v22, v32
	v_add_co_ci_u32_e32 v86, vcc_lo, v23, v33, vcc_lo
	s_delay_alu instid0(VALU_DEP_4) | instskip(SKIP_1) | instid1(VALU_DEP_1)
	v_pk_min_f16 v45, v50, v45
	s_and_b32 vcc_lo, exec_lo, s0
	v_pk_min_f16 v45, v45, v51
	s_delay_alu instid0(VALU_DEP_1) | instskip(NEXT) | instid1(VALU_DEP_1)
	v_lshrrev_b32_e32 v50, 16, v45
	v_min3_f16 v45, v47, v45, v50
	global_store_b16 v[85:86], v45, off
	s_cbranch_vccnz .LBB226_70
; %bb.69:
	v_add_co_u32 v46, vcc_lo, v20, v40
	v_add_co_ci_u32_e32 v47, vcc_lo, v21, v41, vcc_lo
	flat_load_u16 v45, v[46:47]
	s_waitcnt vmcnt(0) lgkmcnt(0)
	v_mul_f16_e32 v46, s15, v45
.LBB226_70:
	v_pk_add_f16 v45, v4, v16
	v_pk_max_f16 v47, v84, v84
	v_pk_add_f16 v50, v5, v17
	v_add_co_u32 v84, vcc_lo, v22, v40
	v_add_co_ci_u32_e32 v85, vcc_lo, v23, v41, vcc_lo
	s_delay_alu instid0(VALU_DEP_4) | instskip(SKIP_1) | instid1(VALU_DEP_1)
	v_pk_min_f16 v45, v47, v45
	s_and_b32 vcc_lo, exec_lo, s0
	v_pk_min_f16 v45, v45, v50
	s_delay_alu instid0(VALU_DEP_1) | instskip(NEXT) | instid1(VALU_DEP_1)
	v_lshrrev_b32_e32 v47, 16, v45
	v_min3_f16 v45, v46, v45, v47
	v_dual_mov_b32 v46, 0 :: v_dual_mov_b32 v47, 0
	global_store_b16 v[84:85], v45, off
	s_cbranch_vccnz .LBB226_72
; %bb.71:
	v_add_co_u32 v84, vcc_lo, v20, v42
	v_add_co_ci_u32_e32 v85, vcc_lo, v21, v43, vcc_lo
	flat_load_u16 v45, v[84:85]
	s_waitcnt vmcnt(0) lgkmcnt(0)
	v_mul_f16_e32 v47, s15, v45
.LBB226_72:
	v_pk_add_f16 v45, v6, v16
	v_pk_max_f16 v50, v83, v83
	v_pk_add_f16 v51, v7, v17
	v_add_co_u32 v83, vcc_lo, v22, v42
	v_add_co_ci_u32_e32 v84, vcc_lo, v23, v43, vcc_lo
	s_delay_alu instid0(VALU_DEP_4) | instskip(SKIP_1) | instid1(VALU_DEP_1)
	v_pk_min_f16 v45, v50, v45
	s_and_b32 vcc_lo, exec_lo, s0
	v_pk_min_f16 v45, v45, v51
	s_delay_alu instid0(VALU_DEP_1) | instskip(NEXT) | instid1(VALU_DEP_1)
	v_lshrrev_b32_e32 v50, 16, v45
	v_min3_f16 v45, v47, v45, v50
	;; [unrolled: 43-line block ×3, first 2 shown]
	global_store_b16 v[81:82], v45, off
	s_cbranch_vccnz .LBB226_78
; %bb.77:
	v_add_co_u32 v20, vcc_lo, v20, v34
	v_add_co_ci_u32_e32 v21, vcc_lo, v21, v35, vcc_lo
	flat_load_u16 v20, v[20:21]
	s_waitcnt vmcnt(0) lgkmcnt(0)
	v_mul_f16_e32 v46, s15, v20
.LBB226_78:
	v_add_nc_u32_e32 v20, 0x80, v44
	v_pk_add_f16 v16, v48, v16
	v_pk_max_f16 v21, v80, v80
	v_pk_add_f16 v17, v49, v17
	s_delay_alu instid0(VALU_DEP_4) | instskip(NEXT) | instid1(VALU_DEP_3)
	v_mad_i64_i32 v[80:81], null, v20, s8, 0
	v_pk_min_f16 v16, v21, v16
	s_delay_alu instid0(VALU_DEP_1) | instskip(NEXT) | instid1(VALU_DEP_3)
	v_pk_min_f16 v21, v16, v17
	v_lshlrev_b64 v[16:17], 1, v[80:81]
	v_add_co_u32 v80, vcc_lo, v22, v34
	v_add_co_ci_u32_e32 v81, vcc_lo, v23, v35, vcc_lo
	v_mov_b32_e32 v23, 0
	v_lshrrev_b32_e32 v22, 16, v21
	v_add_co_u32 v16, vcc_lo, s4, v16
	v_add_co_ci_u32_e32 v17, vcc_lo, s5, v17, vcc_lo
	s_delay_alu instid0(VALU_DEP_3)
	v_min3_f16 v21, v46, v21, v22
	v_mov_b32_e32 v22, 0
	s_and_b32 vcc_lo, exec_lo, s0
	global_store_b16 v[80:81], v21, off
	s_cbranch_vccnz .LBB226_80
; %bb.79:
	v_add_co_u32 v46, vcc_lo, v16, v28
	v_add_co_ci_u32_e32 v47, vcc_lo, v17, v29, vcc_lo
	flat_load_u16 v21, v[46:47]
	s_waitcnt vmcnt(0) lgkmcnt(0)
	v_mul_f16_e32 v23, s15, v21
.LBB226_80:
	v_pk_add_f16 v21, v26, v18
	v_pk_max_f16 v45, v79, v79
	v_mad_i64_i32 v[46:47], null, v20, s3, 0
	v_pk_add_f16 v20, v27, v19
	s_delay_alu instid0(VALU_DEP_3) | instskip(NEXT) | instid1(VALU_DEP_1)
	v_pk_min_f16 v21, v45, v21
	v_pk_min_f16 v45, v21, v20
	s_delay_alu instid0(VALU_DEP_4) | instskip(NEXT) | instid1(VALU_DEP_2)
	v_lshlrev_b64 v[20:21], 1, v[46:47]
	v_lshrrev_b32_e32 v46, 16, v45
	s_delay_alu instid0(VALU_DEP_2) | instskip(NEXT) | instid1(VALU_DEP_3)
	v_add_co_u32 v20, vcc_lo, s1, v20
	v_add_co_ci_u32_e32 v21, vcc_lo, s6, v21, vcc_lo
	s_delay_alu instid0(VALU_DEP_3) | instskip(NEXT) | instid1(VALU_DEP_3)
	v_min3_f16 v23, v23, v45, v46
	v_add_co_u32 v46, vcc_lo, v20, v28
	s_delay_alu instid0(VALU_DEP_3)
	v_add_co_ci_u32_e32 v47, vcc_lo, v21, v29, vcc_lo
	s_and_b32 vcc_lo, exec_lo, s0
	global_store_b16 v[46:47], v23, off
	s_cbranch_vccnz .LBB226_82
; %bb.81:
	v_add_co_u32 v22, vcc_lo, v16, v30
	v_add_co_ci_u32_e32 v23, vcc_lo, v17, v31, vcc_lo
	flat_load_u16 v22, v[22:23]
	s_waitcnt vmcnt(0) lgkmcnt(0)
	v_mul_f16_e32 v22, s15, v22
.LBB226_82:
	v_pk_add_f16 v23, v8, v18
	v_pk_max_f16 v45, v78, v78
	v_pk_add_f16 v46, v9, v19
	s_delay_alu instid0(VALU_DEP_2) | instskip(NEXT) | instid1(VALU_DEP_1)
	v_pk_min_f16 v23, v45, v23
	v_pk_min_f16 v23, v23, v46
	v_add_co_u32 v46, vcc_lo, v20, v30
	v_add_co_ci_u32_e32 v47, vcc_lo, v21, v31, vcc_lo
	s_delay_alu instid0(VALU_DEP_3) | instskip(SKIP_1) | instid1(VALU_DEP_1)
	v_lshrrev_b32_e32 v45, 16, v23
	s_and_b32 vcc_lo, exec_lo, s0
	v_min3_f16 v45, v22, v23, v45
	v_dual_mov_b32 v22, 0 :: v_dual_mov_b32 v23, 0
	global_store_b16 v[46:47], v45, off
	s_cbranch_vccnz .LBB226_84
; %bb.83:
	v_add_co_u32 v46, vcc_lo, v16, v32
	v_add_co_ci_u32_e32 v47, vcc_lo, v17, v33, vcc_lo
	flat_load_u16 v23, v[46:47]
	s_waitcnt vmcnt(0) lgkmcnt(0)
	v_mul_f16_e32 v23, s15, v23
.LBB226_84:
	v_pk_add_f16 v45, v10, v18
	v_pk_max_f16 v46, v77, v77
	v_pk_add_f16 v47, v11, v19
	s_delay_alu instid0(VALU_DEP_2) | instskip(NEXT) | instid1(VALU_DEP_1)
	v_pk_min_f16 v45, v46, v45
	v_pk_min_f16 v45, v45, v47
	s_delay_alu instid0(VALU_DEP_1) | instskip(NEXT) | instid1(VALU_DEP_1)
	v_lshrrev_b32_e32 v46, 16, v45
	v_min3_f16 v23, v23, v45, v46
	v_add_co_u32 v46, vcc_lo, v20, v32
	v_add_co_ci_u32_e32 v47, vcc_lo, v21, v33, vcc_lo
	s_and_b32 vcc_lo, exec_lo, s0
	global_store_b16 v[46:47], v23, off
	s_cbranch_vccnz .LBB226_86
; %bb.85:
	v_add_co_u32 v22, vcc_lo, v16, v40
	v_add_co_ci_u32_e32 v23, vcc_lo, v17, v41, vcc_lo
	flat_load_u16 v22, v[22:23]
	s_waitcnt vmcnt(0) lgkmcnt(0)
	v_mul_f16_e32 v22, s15, v22
.LBB226_86:
	v_pk_add_f16 v23, v4, v18
	v_pk_max_f16 v45, v76, v76
	v_pk_add_f16 v46, v5, v19
	s_delay_alu instid0(VALU_DEP_2) | instskip(NEXT) | instid1(VALU_DEP_1)
	v_pk_min_f16 v23, v45, v23
	v_pk_min_f16 v23, v23, v46
	v_add_co_u32 v46, vcc_lo, v20, v40
	v_add_co_ci_u32_e32 v47, vcc_lo, v21, v41, vcc_lo
	s_delay_alu instid0(VALU_DEP_3) | instskip(SKIP_1) | instid1(VALU_DEP_1)
	v_lshrrev_b32_e32 v45, 16, v23
	s_and_b32 vcc_lo, exec_lo, s0
	v_min3_f16 v45, v22, v23, v45
	v_dual_mov_b32 v22, 0 :: v_dual_mov_b32 v23, 0
	global_store_b16 v[46:47], v45, off
	s_cbranch_vccnz .LBB226_88
; %bb.87:
	v_add_co_u32 v46, vcc_lo, v16, v42
	v_add_co_ci_u32_e32 v47, vcc_lo, v17, v43, vcc_lo
	flat_load_u16 v23, v[46:47]
	s_waitcnt vmcnt(0) lgkmcnt(0)
	v_mul_f16_e32 v23, s15, v23
.LBB226_88:
	v_pk_add_f16 v45, v6, v18
	v_pk_max_f16 v46, v75, v75
	v_pk_add_f16 v47, v7, v19
	s_delay_alu instid0(VALU_DEP_2) | instskip(NEXT) | instid1(VALU_DEP_1)
	v_pk_min_f16 v45, v46, v45
	v_pk_min_f16 v45, v45, v47
	s_delay_alu instid0(VALU_DEP_1) | instskip(NEXT) | instid1(VALU_DEP_1)
	v_lshrrev_b32_e32 v46, 16, v45
	v_min3_f16 v23, v23, v45, v46
	v_add_co_u32 v46, vcc_lo, v20, v42
	;; [unrolled: 43-line block ×3, first 2 shown]
	v_add_co_ci_u32_e32 v47, vcc_lo, v21, v37, vcc_lo
	s_and_b32 vcc_lo, exec_lo, s0
	global_store_b16 v[46:47], v23, off
	s_cbranch_vccnz .LBB226_94
; %bb.93:
	v_add_co_u32 v16, vcc_lo, v16, v34
	v_add_co_ci_u32_e32 v17, vcc_lo, v17, v35, vcc_lo
	flat_load_u16 v16, v[16:17]
	s_waitcnt vmcnt(0) lgkmcnt(0)
	v_mul_f16_e32 v22, s15, v16
.LBB226_94:
	v_pk_add_f16 v18, v48, v18
	v_pk_max_f16 v45, v72, v72
	v_pk_add_f16 v19, v49, v19
	v_add_nc_u32_e32 v23, 0xa0, v44
	s_delay_alu instid0(VALU_DEP_3) | instskip(NEXT) | instid1(VALU_DEP_1)
	v_pk_min_f16 v18, v45, v18
	v_pk_min_f16 v45, v18, v19
	v_add_co_u32 v18, vcc_lo, v20, v34
	v_add_co_ci_u32_e32 v19, vcc_lo, v21, v35, vcc_lo
	s_delay_alu instid0(VALU_DEP_3) | instskip(SKIP_1) | instid1(VALU_DEP_2)
	v_lshrrev_b32_e32 v20, 16, v45
	v_mov_b32_e32 v21, 0
	v_min3_f16 v22, v22, v45, v20
	v_mov_b32_e32 v20, 0
	v_mad_i64_i32 v[16:17], null, v23, s8, 0
	global_store_b16 v[18:19], v22, off
	v_lshlrev_b64 v[16:17], 1, v[16:17]
	s_delay_alu instid0(VALU_DEP_1) | instskip(NEXT) | instid1(VALU_DEP_2)
	v_add_co_u32 v16, vcc_lo, s4, v16
	v_add_co_ci_u32_e32 v17, vcc_lo, s5, v17, vcc_lo
	s_and_b32 vcc_lo, exec_lo, s0
	s_cbranch_vccnz .LBB226_96
; %bb.95:
	s_delay_alu instid0(VALU_DEP_2) | instskip(NEXT) | instid1(VALU_DEP_2)
	v_add_co_u32 v18, vcc_lo, v16, v28
	v_add_co_ci_u32_e32 v19, vcc_lo, v17, v29, vcc_lo
	flat_load_u16 v18, v[18:19]
	s_waitcnt vmcnt(0) lgkmcnt(0)
	v_mul_f16_e32 v21, s15, v18
.LBB226_96:
	v_pk_add_f16 v22, v26, v12
	v_pk_max_f16 v45, v71, v71
	v_mad_i64_i32 v[18:19], null, v23, s3, 0
	v_pk_add_f16 v23, v27, v13
	s_delay_alu instid0(VALU_DEP_3) | instskip(NEXT) | instid1(VALU_DEP_3)
	v_pk_min_f16 v22, v45, v22
	v_lshlrev_b64 v[18:19], 1, v[18:19]
	s_delay_alu instid0(VALU_DEP_2) | instskip(NEXT) | instid1(VALU_DEP_2)
	v_pk_min_f16 v22, v22, v23
	v_add_co_u32 v18, vcc_lo, s1, v18
	s_delay_alu instid0(VALU_DEP_2) | instskip(NEXT) | instid1(VALU_DEP_4)
	v_lshrrev_b32_e32 v23, 16, v22
	v_add_co_ci_u32_e32 v19, vcc_lo, s6, v19, vcc_lo
	s_delay_alu instid0(VALU_DEP_2) | instskip(NEXT) | instid1(VALU_DEP_4)
	v_min3_f16 v23, v21, v22, v23
	v_add_co_u32 v21, vcc_lo, v18, v28
	s_delay_alu instid0(VALU_DEP_3)
	v_add_co_ci_u32_e32 v22, vcc_lo, v19, v29, vcc_lo
	s_and_b32 vcc_lo, exec_lo, s0
	global_store_b16 v[21:22], v23, off
	s_cbranch_vccnz .LBB226_98
; %bb.97:
	v_add_co_u32 v20, vcc_lo, v16, v30
	v_add_co_ci_u32_e32 v21, vcc_lo, v17, v31, vcc_lo
	flat_load_u16 v20, v[20:21]
	s_waitcnt vmcnt(0) lgkmcnt(0)
	v_mul_f16_e32 v20, s15, v20
.LBB226_98:
	v_pk_add_f16 v21, v8, v12
	v_pk_max_f16 v22, v70, v70
	v_pk_add_f16 v23, v9, v13
	s_delay_alu instid0(VALU_DEP_2) | instskip(SKIP_1) | instid1(VALU_DEP_2)
	v_pk_min_f16 v21, v22, v21
	v_add_co_u32 v22, vcc_lo, v18, v30
	v_pk_min_f16 v21, v21, v23
	v_add_co_ci_u32_e32 v23, vcc_lo, v19, v31, vcc_lo
	s_and_b32 vcc_lo, exec_lo, s0
	s_delay_alu instid0(VALU_DEP_2) | instskip(NEXT) | instid1(VALU_DEP_1)
	v_lshrrev_b32_e32 v45, 16, v21
	v_min3_f16 v45, v20, v21, v45
	v_dual_mov_b32 v20, 0 :: v_dual_mov_b32 v21, 0
	global_store_b16 v[22:23], v45, off
	s_cbranch_vccnz .LBB226_100
; %bb.99:
	v_add_co_u32 v21, vcc_lo, v16, v32
	v_add_co_ci_u32_e32 v22, vcc_lo, v17, v33, vcc_lo
	flat_load_u16 v21, v[21:22]
	s_waitcnt vmcnt(0) lgkmcnt(0)
	v_mul_f16_e32 v21, s15, v21
.LBB226_100:
	v_pk_add_f16 v22, v10, v12
	v_pk_max_f16 v23, v62, v62
	v_pk_add_f16 v45, v11, v13
	s_delay_alu instid0(VALU_DEP_2) | instskip(NEXT) | instid1(VALU_DEP_1)
	v_pk_min_f16 v22, v23, v22
	v_pk_min_f16 v22, v22, v45
	s_delay_alu instid0(VALU_DEP_1) | instskip(NEXT) | instid1(VALU_DEP_1)
	v_lshrrev_b32_e32 v23, 16, v22
	v_min3_f16 v23, v21, v22, v23
	v_add_co_u32 v21, vcc_lo, v18, v32
	v_add_co_ci_u32_e32 v22, vcc_lo, v19, v33, vcc_lo
	s_and_b32 vcc_lo, exec_lo, s0
	global_store_b16 v[21:22], v23, off
	s_cbranch_vccnz .LBB226_102
; %bb.101:
	v_add_co_u32 v20, vcc_lo, v16, v40
	v_add_co_ci_u32_e32 v21, vcc_lo, v17, v41, vcc_lo
	flat_load_u16 v20, v[20:21]
	s_waitcnt vmcnt(0) lgkmcnt(0)
	v_mul_f16_e32 v20, s15, v20
.LBB226_102:
	v_pk_add_f16 v21, v4, v12
	v_pk_max_f16 v22, v61, v61
	v_pk_add_f16 v23, v5, v13
	s_delay_alu instid0(VALU_DEP_2) | instskip(SKIP_1) | instid1(VALU_DEP_2)
	v_pk_min_f16 v21, v22, v21
	v_add_co_u32 v22, vcc_lo, v18, v40
	v_pk_min_f16 v21, v21, v23
	v_add_co_ci_u32_e32 v23, vcc_lo, v19, v41, vcc_lo
	s_and_b32 vcc_lo, exec_lo, s0
	s_delay_alu instid0(VALU_DEP_2) | instskip(NEXT) | instid1(VALU_DEP_1)
	v_lshrrev_b32_e32 v45, 16, v21
	v_min3_f16 v45, v20, v21, v45
	v_dual_mov_b32 v20, 0 :: v_dual_mov_b32 v21, 0
	global_store_b16 v[22:23], v45, off
	s_cbranch_vccnz .LBB226_104
; %bb.103:
	v_add_co_u32 v21, vcc_lo, v16, v42
	v_add_co_ci_u32_e32 v22, vcc_lo, v17, v43, vcc_lo
	flat_load_u16 v21, v[21:22]
	s_waitcnt vmcnt(0) lgkmcnt(0)
	v_mul_f16_e32 v21, s15, v21
.LBB226_104:
	v_pk_add_f16 v22, v6, v12
	v_pk_max_f16 v23, v60, v60
	v_pk_add_f16 v45, v7, v13
	s_delay_alu instid0(VALU_DEP_2) | instskip(NEXT) | instid1(VALU_DEP_1)
	v_pk_min_f16 v22, v23, v22
	v_pk_min_f16 v22, v22, v45
	s_delay_alu instid0(VALU_DEP_1) | instskip(NEXT) | instid1(VALU_DEP_1)
	v_lshrrev_b32_e32 v23, 16, v22
	v_min3_f16 v23, v21, v22, v23
	v_add_co_u32 v21, vcc_lo, v18, v42
	;; [unrolled: 43-line block ×3, first 2 shown]
	v_add_co_ci_u32_e32 v22, vcc_lo, v19, v37, vcc_lo
	s_and_b32 vcc_lo, exec_lo, s0
	global_store_b16 v[21:22], v23, off
	s_cbranch_vccnz .LBB226_110
; %bb.109:
	v_add_co_u32 v16, vcc_lo, v16, v34
	v_add_co_ci_u32_e32 v17, vcc_lo, v17, v35, vcc_lo
	flat_load_u16 v16, v[16:17]
	s_waitcnt vmcnt(0) lgkmcnt(0)
	v_mul_f16_e32 v20, s15, v16
.LBB226_110:
	v_add_nc_u32_e32 v16, 0xc0, v44
	v_pk_add_f16 v12, v48, v12
	v_pk_max_f16 v17, v57, v57
	v_pk_add_f16 v13, v49, v13
	s_delay_alu instid0(VALU_DEP_4) | instskip(NEXT) | instid1(VALU_DEP_3)
	v_mad_i64_i32 v[21:22], null, v16, s8, 0
	v_pk_min_f16 v12, v17, v12
	s_delay_alu instid0(VALU_DEP_1) | instskip(NEXT) | instid1(VALU_DEP_3)
	v_pk_min_f16 v17, v12, v13
	v_lshlrev_b64 v[12:13], 1, v[21:22]
	v_add_co_u32 v21, vcc_lo, v18, v34
	v_add_co_ci_u32_e32 v22, vcc_lo, v19, v35, vcc_lo
	v_mov_b32_e32 v19, 0
	v_lshrrev_b32_e32 v18, 16, v17
	v_add_co_u32 v12, vcc_lo, s4, v12
	v_add_co_ci_u32_e32 v13, vcc_lo, s5, v13, vcc_lo
	s_delay_alu instid0(VALU_DEP_3)
	v_min3_f16 v17, v20, v17, v18
	v_mov_b32_e32 v18, 0
	s_and_b32 vcc_lo, exec_lo, s0
	global_store_b16 v[21:22], v17, off
	s_cbranch_vccnz .LBB226_112
; %bb.111:
	v_add_co_u32 v19, vcc_lo, v12, v28
	v_add_co_ci_u32_e32 v20, vcc_lo, v13, v29, vcc_lo
	flat_load_u16 v17, v[19:20]
	s_waitcnt vmcnt(0) lgkmcnt(0)
	v_mul_f16_e32 v19, s15, v17
.LBB226_112:
	v_pk_add_f16 v17, v26, v14
	v_pk_max_f16 v22, v56, v56
	v_mad_i64_i32 v[20:21], null, v16, s3, 0
	v_pk_add_f16 v16, v27, v15
	s_delay_alu instid0(VALU_DEP_3) | instskip(NEXT) | instid1(VALU_DEP_1)
	v_pk_min_f16 v17, v22, v17
	v_pk_min_f16 v22, v17, v16
	s_delay_alu instid0(VALU_DEP_4) | instskip(NEXT) | instid1(VALU_DEP_2)
	v_lshlrev_b64 v[16:17], 1, v[20:21]
	v_lshrrev_b32_e32 v20, 16, v22
	s_delay_alu instid0(VALU_DEP_2) | instskip(NEXT) | instid1(VALU_DEP_3)
	v_add_co_u32 v16, vcc_lo, s1, v16
	v_add_co_ci_u32_e32 v17, vcc_lo, s6, v17, vcc_lo
	s_delay_alu instid0(VALU_DEP_3) | instskip(NEXT) | instid1(VALU_DEP_3)
	v_min3_f16 v21, v19, v22, v20
	v_add_co_u32 v19, vcc_lo, v16, v28
	s_delay_alu instid0(VALU_DEP_3)
	v_add_co_ci_u32_e32 v20, vcc_lo, v17, v29, vcc_lo
	s_and_b32 vcc_lo, exec_lo, s0
	global_store_b16 v[19:20], v21, off
	s_cbranch_vccnz .LBB226_114
; %bb.113:
	v_add_co_u32 v18, vcc_lo, v12, v30
	v_add_co_ci_u32_e32 v19, vcc_lo, v13, v31, vcc_lo
	flat_load_u16 v18, v[18:19]
	s_waitcnt vmcnt(0) lgkmcnt(0)
	v_mul_f16_e32 v18, s15, v18
.LBB226_114:
	v_pk_add_f16 v19, v8, v14
	v_pk_max_f16 v20, v55, v55
	v_pk_add_f16 v21, v9, v15
	s_delay_alu instid0(VALU_DEP_2) | instskip(SKIP_1) | instid1(VALU_DEP_2)
	v_pk_min_f16 v19, v20, v19
	v_add_co_u32 v20, vcc_lo, v16, v30
	v_pk_min_f16 v19, v19, v21
	v_add_co_ci_u32_e32 v21, vcc_lo, v17, v31, vcc_lo
	s_and_b32 vcc_lo, exec_lo, s0
	s_delay_alu instid0(VALU_DEP_2) | instskip(NEXT) | instid1(VALU_DEP_1)
	v_lshrrev_b32_e32 v22, 16, v19
	v_min3_f16 v22, v18, v19, v22
	v_dual_mov_b32 v18, 0 :: v_dual_mov_b32 v19, 0
	global_store_b16 v[20:21], v22, off
	s_cbranch_vccnz .LBB226_116
; %bb.115:
	v_add_co_u32 v19, vcc_lo, v12, v32
	v_add_co_ci_u32_e32 v20, vcc_lo, v13, v33, vcc_lo
	flat_load_u16 v19, v[19:20]
	s_waitcnt vmcnt(0) lgkmcnt(0)
	v_mul_f16_e32 v19, s15, v19
.LBB226_116:
	v_pk_add_f16 v20, v10, v14
	v_pk_max_f16 v21, v54, v54
	v_pk_add_f16 v22, v11, v15
	s_delay_alu instid0(VALU_DEP_2) | instskip(NEXT) | instid1(VALU_DEP_1)
	v_pk_min_f16 v20, v21, v20
	v_pk_min_f16 v20, v20, v22
	s_delay_alu instid0(VALU_DEP_1) | instskip(NEXT) | instid1(VALU_DEP_1)
	v_lshrrev_b32_e32 v21, 16, v20
	v_min3_f16 v21, v19, v20, v21
	v_add_co_u32 v19, vcc_lo, v16, v32
	v_add_co_ci_u32_e32 v20, vcc_lo, v17, v33, vcc_lo
	s_and_b32 vcc_lo, exec_lo, s0
	global_store_b16 v[19:20], v21, off
	s_cbranch_vccnz .LBB226_118
; %bb.117:
	v_add_co_u32 v18, vcc_lo, v12, v40
	v_add_co_ci_u32_e32 v19, vcc_lo, v13, v41, vcc_lo
	flat_load_u16 v18, v[18:19]
	s_waitcnt vmcnt(0) lgkmcnt(0)
	v_mul_f16_e32 v18, s15, v18
.LBB226_118:
	v_pk_add_f16 v19, v4, v14
	v_pk_max_f16 v20, v53, v53
	v_pk_add_f16 v21, v5, v15
	s_delay_alu instid0(VALU_DEP_2) | instskip(SKIP_1) | instid1(VALU_DEP_2)
	v_pk_min_f16 v19, v20, v19
	v_add_co_u32 v20, vcc_lo, v16, v40
	v_pk_min_f16 v19, v19, v21
	v_add_co_ci_u32_e32 v21, vcc_lo, v17, v41, vcc_lo
	s_and_b32 vcc_lo, exec_lo, s0
	s_delay_alu instid0(VALU_DEP_2) | instskip(NEXT) | instid1(VALU_DEP_1)
	v_lshrrev_b32_e32 v22, 16, v19
	v_min3_f16 v22, v18, v19, v22
	v_dual_mov_b32 v18, 0 :: v_dual_mov_b32 v19, 0
	global_store_b16 v[20:21], v22, off
	s_cbranch_vccnz .LBB226_120
; %bb.119:
	v_add_co_u32 v19, vcc_lo, v12, v42
	v_add_co_ci_u32_e32 v20, vcc_lo, v13, v43, vcc_lo
	flat_load_u16 v19, v[19:20]
	s_waitcnt vmcnt(0) lgkmcnt(0)
	v_mul_f16_e32 v19, s15, v19
.LBB226_120:
	v_pk_add_f16 v20, v6, v14
	v_pk_max_f16 v21, v52, v52
	v_pk_add_f16 v22, v7, v15
	s_delay_alu instid0(VALU_DEP_2) | instskip(NEXT) | instid1(VALU_DEP_1)
	v_pk_min_f16 v20, v21, v20
	v_pk_min_f16 v20, v20, v22
	s_delay_alu instid0(VALU_DEP_1) | instskip(NEXT) | instid1(VALU_DEP_1)
	v_lshrrev_b32_e32 v21, 16, v20
	v_min3_f16 v21, v19, v20, v21
	v_add_co_u32 v19, vcc_lo, v16, v42
	;; [unrolled: 43-line block ×3, first 2 shown]
	v_add_co_ci_u32_e32 v20, vcc_lo, v17, v37, vcc_lo
	s_and_b32 vcc_lo, exec_lo, s0
	global_store_b16 v[19:20], v21, off
	s_cbranch_vccnz .LBB226_126
; %bb.125:
	v_add_co_u32 v12, vcc_lo, v12, v34
	v_add_co_ci_u32_e32 v13, vcc_lo, v13, v35, vcc_lo
	flat_load_u16 v12, v[12:13]
	s_waitcnt vmcnt(0) lgkmcnt(0)
	v_mul_f16_e32 v18, s15, v12
.LBB226_126:
	v_pk_add_f16 v14, v48, v14
	v_pk_max_f16 v20, v153, v153
	v_pk_add_f16 v15, v49, v15
	v_add_nc_u32_e32 v19, 0xe0, v44
	s_delay_alu instid0(VALU_DEP_3) | instskip(NEXT) | instid1(VALU_DEP_1)
	v_pk_min_f16 v14, v20, v14
	v_pk_min_f16 v20, v14, v15
	v_add_co_u32 v14, vcc_lo, v16, v34
	v_add_co_ci_u32_e32 v15, vcc_lo, v17, v35, vcc_lo
	s_delay_alu instid0(VALU_DEP_3) | instskip(SKIP_1) | instid1(VALU_DEP_2)
	v_lshrrev_b32_e32 v16, 16, v20
	v_mov_b32_e32 v17, 0
	v_min3_f16 v18, v18, v20, v16
	v_mov_b32_e32 v16, 0
	v_mad_i64_i32 v[12:13], null, v19, s8, 0
	global_store_b16 v[14:15], v18, off
	v_lshlrev_b64 v[12:13], 1, v[12:13]
	s_delay_alu instid0(VALU_DEP_1) | instskip(NEXT) | instid1(VALU_DEP_2)
	v_add_co_u32 v12, vcc_lo, s4, v12
	v_add_co_ci_u32_e32 v13, vcc_lo, s5, v13, vcc_lo
	s_and_b32 vcc_lo, exec_lo, s0
	s_cbranch_vccnz .LBB226_128
; %bb.127:
	s_delay_alu instid0(VALU_DEP_2) | instskip(NEXT) | instid1(VALU_DEP_2)
	v_add_co_u32 v14, vcc_lo, v12, v28
	v_add_co_ci_u32_e32 v15, vcc_lo, v13, v29, vcc_lo
	flat_load_u16 v14, v[14:15]
	s_waitcnt vmcnt(0) lgkmcnt(0)
	v_mul_f16_e32 v17, s15, v14
.LBB226_128:
	v_pk_add_f16 v18, v26, v24
	v_pk_max_f16 v20, v154, v154
	v_mad_i64_i32 v[14:15], null, v19, s3, 0
	v_pk_add_f16 v19, v27, v25
	s_delay_alu instid0(VALU_DEP_3) | instskip(NEXT) | instid1(VALU_DEP_3)
	v_pk_min_f16 v18, v20, v18
	v_lshlrev_b64 v[14:15], 1, v[14:15]
	s_delay_alu instid0(VALU_DEP_2) | instskip(NEXT) | instid1(VALU_DEP_2)
	v_pk_min_f16 v18, v18, v19
	v_add_co_u32 v14, vcc_lo, s1, v14
	s_delay_alu instid0(VALU_DEP_2) | instskip(NEXT) | instid1(VALU_DEP_4)
	v_lshrrev_b32_e32 v19, 16, v18
	v_add_co_ci_u32_e32 v15, vcc_lo, s6, v15, vcc_lo
	s_delay_alu instid0(VALU_DEP_2) | instskip(NEXT) | instid1(VALU_DEP_4)
	v_min3_f16 v19, v17, v18, v19
	v_add_co_u32 v17, vcc_lo, v14, v28
	s_delay_alu instid0(VALU_DEP_3)
	v_add_co_ci_u32_e32 v18, vcc_lo, v15, v29, vcc_lo
	s_and_b32 vcc_lo, exec_lo, s0
	global_store_b16 v[17:18], v19, off
	s_cbranch_vccnz .LBB226_130
; %bb.129:
	v_add_co_u32 v16, vcc_lo, v12, v30
	v_add_co_ci_u32_e32 v17, vcc_lo, v13, v31, vcc_lo
	flat_load_u16 v16, v[16:17]
	s_waitcnt vmcnt(0) lgkmcnt(0)
	v_mul_f16_e32 v16, s15, v16
.LBB226_130:
	v_pk_add_f16 v8, v8, v24
	v_pk_max_f16 v17, v150, v150
	v_pk_add_f16 v9, v9, v25
	s_delay_alu instid0(VALU_DEP_2) | instskip(SKIP_2) | instid1(VALU_DEP_3)
	v_pk_min_f16 v8, v17, v8
	v_add_co_u32 v17, vcc_lo, v14, v30
	v_add_co_ci_u32_e32 v18, vcc_lo, v15, v31, vcc_lo
	v_pk_min_f16 v8, v8, v9
	s_and_b32 vcc_lo, exec_lo, s0
	s_delay_alu instid0(VALU_DEP_1) | instskip(NEXT) | instid1(VALU_DEP_1)
	v_lshrrev_b32_e32 v9, 16, v8
	v_min3_f16 v16, v16, v8, v9
	v_dual_mov_b32 v8, 0 :: v_dual_mov_b32 v9, 0
	global_store_b16 v[17:18], v16, off
	s_cbranch_vccnz .LBB226_132
; %bb.131:
	v_add_co_u32 v16, vcc_lo, v12, v32
	v_add_co_ci_u32_e32 v17, vcc_lo, v13, v33, vcc_lo
	flat_load_u16 v9, v[16:17]
	s_waitcnt vmcnt(0) lgkmcnt(0)
	v_mul_f16_e32 v9, s15, v9
.LBB226_132:
	v_pk_add_f16 v10, v10, v24
	v_pk_max_f16 v16, v149, v149
	v_pk_add_f16 v11, v11, v25
	s_delay_alu instid0(VALU_DEP_2) | instskip(NEXT) | instid1(VALU_DEP_1)
	v_pk_min_f16 v10, v16, v10
	v_pk_min_f16 v10, v10, v11
	s_delay_alu instid0(VALU_DEP_1) | instskip(NEXT) | instid1(VALU_DEP_1)
	v_lshrrev_b32_e32 v11, 16, v10
	v_min3_f16 v11, v9, v10, v11
	v_add_co_u32 v9, vcc_lo, v14, v32
	v_add_co_ci_u32_e32 v10, vcc_lo, v15, v33, vcc_lo
	s_and_b32 vcc_lo, exec_lo, s0
	global_store_b16 v[9:10], v11, off
	s_cbranch_vccnz .LBB226_134
; %bb.133:
	v_add_co_u32 v8, vcc_lo, v12, v40
	v_add_co_ci_u32_e32 v9, vcc_lo, v13, v41, vcc_lo
	flat_load_u16 v8, v[8:9]
	s_waitcnt vmcnt(0) lgkmcnt(0)
	v_mul_f16_e32 v8, s15, v8
.LBB226_134:
	v_pk_add_f16 v4, v4, v24
	v_pk_max_f16 v9, v148, v148
	v_pk_add_f16 v5, v5, v25
	s_delay_alu instid0(VALU_DEP_2) | instskip(SKIP_2) | instid1(VALU_DEP_3)
	v_pk_min_f16 v4, v9, v4
	v_add_co_u32 v9, vcc_lo, v14, v40
	v_add_co_ci_u32_e32 v10, vcc_lo, v15, v41, vcc_lo
	v_pk_min_f16 v4, v4, v5
	s_and_b32 vcc_lo, exec_lo, s0
	s_delay_alu instid0(VALU_DEP_1) | instskip(NEXT) | instid1(VALU_DEP_1)
	v_lshrrev_b32_e32 v5, 16, v4
	v_min3_f16 v8, v8, v4, v5
	v_dual_mov_b32 v4, 0 :: v_dual_mov_b32 v5, 0
	global_store_b16 v[9:10], v8, off
	s_cbranch_vccnz .LBB226_136
; %bb.135:
	v_add_co_u32 v8, vcc_lo, v12, v42
	v_add_co_ci_u32_e32 v9, vcc_lo, v13, v43, vcc_lo
	flat_load_u16 v5, v[8:9]
	s_waitcnt vmcnt(0) lgkmcnt(0)
	v_mul_f16_e32 v5, s15, v5
.LBB226_136:
	v_pk_add_f16 v6, v6, v24
	v_pk_max_f16 v8, v147, v147
	v_pk_add_f16 v7, v7, v25
	s_delay_alu instid0(VALU_DEP_2) | instskip(NEXT) | instid1(VALU_DEP_1)
	v_pk_min_f16 v6, v8, v6
	v_pk_min_f16 v6, v6, v7
	s_delay_alu instid0(VALU_DEP_1) | instskip(NEXT) | instid1(VALU_DEP_1)
	v_lshrrev_b32_e32 v7, 16, v6
	v_min3_f16 v7, v5, v6, v7
	v_add_co_u32 v5, vcc_lo, v14, v42
	v_add_co_ci_u32_e32 v6, vcc_lo, v15, v43, vcc_lo
	s_and_b32 vcc_lo, exec_lo, s0
	global_store_b16 v[5:6], v7, off
	s_cbranch_vccnz .LBB226_138
; %bb.137:
	v_add_co_u32 v4, vcc_lo, v12, v38
	v_add_co_ci_u32_e32 v5, vcc_lo, v13, v39, vcc_lo
	flat_load_u16 v4, v[4:5]
	s_waitcnt vmcnt(0) lgkmcnt(0)
	v_mul_f16_e32 v4, s15, v4
.LBB226_138:
	v_pk_add_f16 v0, v0, v24
	v_pk_max_f16 v5, v145, v145
	v_pk_add_f16 v2, v2, v24
	v_pk_max_f16 v6, v146, v146
	v_pk_add_f16 v1, v1, v25
	v_pk_add_f16 v3, v3, v25
	v_pk_min_f16 v0, v5, v0
	s_delay_alu instid0(VALU_DEP_4) | instskip(NEXT) | instid1(VALU_DEP_2)
	v_pk_min_f16 v2, v6, v2
	v_pk_min_f16 v0, v0, v1
	s_delay_alu instid0(VALU_DEP_2) | instskip(NEXT) | instid1(VALU_DEP_2)
	v_pk_min_f16 v1, v2, v3
	v_lshrrev_b32_e32 v2, 16, v0
	s_delay_alu instid0(VALU_DEP_2) | instskip(NEXT) | instid1(VALU_DEP_2)
	v_lshrrev_b32_e32 v3, 16, v1
	v_min3_f16 v4, v4, v0, v2
	s_delay_alu instid0(VALU_DEP_2) | instskip(SKIP_2) | instid1(VALU_DEP_3)
	v_min_f16_e32 v0, v1, v3
	v_add_co_u32 v1, vcc_lo, v14, v38
	v_add_co_ci_u32_e32 v2, vcc_lo, v15, v39, vcc_lo
	v_max_f16_e32 v0, v0, v0
	s_mov_b32 vcc_lo, s2
	global_store_b16 v[1:2], v4, off
	s_cbranch_vccz .LBB226_141
; %bb.139:
	v_add_co_u32 v1, vcc_lo, v14, v36
	v_min_f16_e32 v3, 0, v0
	v_add_co_ci_u32_e32 v2, vcc_lo, v15, v37, vcc_lo
	s_mov_b32 s0, 0
	global_store_b16 v[1:2], v3, off
	s_cbranch_execz .LBB226_142
; %bb.140:
	v_mov_b32_e32 v0, s0
	s_branch .LBB226_143
.LBB226_141:
	s_mov_b32 s0, -1
.LBB226_142:
	v_add_co_u32 v1, vcc_lo, v12, v36
	v_add_co_ci_u32_e32 v2, vcc_lo, v13, v37, vcc_lo
	flat_load_u16 v1, v[1:2]
	s_waitcnt vmcnt(0) lgkmcnt(0)
	v_mul_f16_e32 v3, s15, v1
	v_add_co_u32 v1, vcc_lo, v14, v36
	v_add_co_ci_u32_e32 v2, vcc_lo, v15, v37, vcc_lo
	s_delay_alu instid0(VALU_DEP_3)
	v_min_f16_e32 v0, v3, v0
	v_add_co_u32 v3, vcc_lo, v12, v34
	v_add_co_ci_u32_e32 v4, vcc_lo, v13, v35, vcc_lo
	global_store_b16 v[1:2], v0, off
	flat_load_u16 v0, v[3:4]
	s_waitcnt vmcnt(0) lgkmcnt(0)
	v_mul_f16_e32 v0, s15, v0
.LBB226_143:
	v_pk_add_f16 v1, v48, v24
	v_pk_max_f16 v2, v144, v144
	v_pk_add_f16 v3, v49, v25
	s_delay_alu instid0(VALU_DEP_2) | instskip(NEXT) | instid1(VALU_DEP_1)
	v_pk_min_f16 v1, v2, v1
	v_pk_min_f16 v1, v1, v3
	s_delay_alu instid0(VALU_DEP_1) | instskip(NEXT) | instid1(VALU_DEP_1)
	v_lshrrev_b32_e32 v2, 16, v1
	v_min3_f16 v2, v0, v1, v2
	v_add_co_u32 v0, vcc_lo, v14, v34
	v_add_co_ci_u32_e32 v1, vcc_lo, v15, v35, vcc_lo
	global_store_b16 v[0:1], v2, off
	s_nop 0
	s_sendmsg sendmsg(MSG_DEALLOC_VGPRS)
	s_endpgm
	.section	.rodata,"a",@progbits
	.p2align	6, 0x0
	.amdhsa_kernel _ZN12_GLOBAL__N_120geam_min_plus_kernelIDF16_Dv2_DF16_S1_Li8ELi32ELi64ELi256ELi4ELi4ELi64ELi64ELi4ELc84ELc84ELb1ELb0ELb1EDF16_KPKDF16_KPDF16_EEviiiT16_PT17_ilS9_ilS7_S9_ilPT18_ili26rocblas_geam_ex_operation_
		.amdhsa_group_segment_fixed_size 5120
		.amdhsa_private_segment_fixed_size 364
		.amdhsa_kernarg_size 128
		.amdhsa_user_sgpr_count 14
		.amdhsa_user_sgpr_dispatch_ptr 0
		.amdhsa_user_sgpr_queue_ptr 0
		.amdhsa_user_sgpr_kernarg_segment_ptr 1
		.amdhsa_user_sgpr_dispatch_id 0
		.amdhsa_user_sgpr_private_segment_size 0
		.amdhsa_wavefront_size32 1
		.amdhsa_uses_dynamic_stack 0
		.amdhsa_enable_private_segment 1
		.amdhsa_system_sgpr_workgroup_id_x 1
		.amdhsa_system_sgpr_workgroup_id_y 0
		.amdhsa_system_sgpr_workgroup_id_z 1
		.amdhsa_system_sgpr_workgroup_info 0
		.amdhsa_system_vgpr_workitem_id 1
		.amdhsa_next_free_vgpr 256
		.amdhsa_next_free_sgpr 22
		.amdhsa_reserve_vcc 1
		.amdhsa_float_round_mode_32 0
		.amdhsa_float_round_mode_16_64 0
		.amdhsa_float_denorm_mode_32 3
		.amdhsa_float_denorm_mode_16_64 3
		.amdhsa_dx10_clamp 1
		.amdhsa_ieee_mode 1
		.amdhsa_fp16_overflow 0
		.amdhsa_workgroup_processor_mode 1
		.amdhsa_memory_ordered 1
		.amdhsa_forward_progress 0
		.amdhsa_shared_vgpr_count 0
		.amdhsa_exception_fp_ieee_invalid_op 0
		.amdhsa_exception_fp_denorm_src 0
		.amdhsa_exception_fp_ieee_div_zero 0
		.amdhsa_exception_fp_ieee_overflow 0
		.amdhsa_exception_fp_ieee_underflow 0
		.amdhsa_exception_fp_ieee_inexact 0
		.amdhsa_exception_int_div_zero 0
	.end_amdhsa_kernel
	.section	.text._ZN12_GLOBAL__N_120geam_min_plus_kernelIDF16_Dv2_DF16_S1_Li8ELi32ELi64ELi256ELi4ELi4ELi64ELi64ELi4ELc84ELc84ELb1ELb0ELb1EDF16_KPKDF16_KPDF16_EEviiiT16_PT17_ilS9_ilS7_S9_ilPT18_ili26rocblas_geam_ex_operation_,"axG",@progbits,_ZN12_GLOBAL__N_120geam_min_plus_kernelIDF16_Dv2_DF16_S1_Li8ELi32ELi64ELi256ELi4ELi4ELi64ELi64ELi4ELc84ELc84ELb1ELb0ELb1EDF16_KPKDF16_KPDF16_EEviiiT16_PT17_ilS9_ilS7_S9_ilPT18_ili26rocblas_geam_ex_operation_,comdat
.Lfunc_end226:
	.size	_ZN12_GLOBAL__N_120geam_min_plus_kernelIDF16_Dv2_DF16_S1_Li8ELi32ELi64ELi256ELi4ELi4ELi64ELi64ELi4ELc84ELc84ELb1ELb0ELb1EDF16_KPKDF16_KPDF16_EEviiiT16_PT17_ilS9_ilS7_S9_ilPT18_ili26rocblas_geam_ex_operation_, .Lfunc_end226-_ZN12_GLOBAL__N_120geam_min_plus_kernelIDF16_Dv2_DF16_S1_Li8ELi32ELi64ELi256ELi4ELi4ELi64ELi64ELi4ELc84ELc84ELb1ELb0ELb1EDF16_KPKDF16_KPDF16_EEviiiT16_PT17_ilS9_ilS7_S9_ilPT18_ili26rocblas_geam_ex_operation_
                                        ; -- End function
	.section	.AMDGPU.csdata,"",@progbits
; Kernel info:
; codeLenInByte = 19204
; NumSgprs: 24
; NumVgprs: 256
; ScratchSize: 364
; MemoryBound: 0
; FloatMode: 240
; IeeeMode: 1
; LDSByteSize: 5120 bytes/workgroup (compile time only)
; SGPRBlocks: 2
; VGPRBlocks: 31
; NumSGPRsForWavesPerEU: 24
; NumVGPRsForWavesPerEU: 256
; Occupancy: 5
; WaveLimiterHint : 1
; COMPUTE_PGM_RSRC2:SCRATCH_EN: 1
; COMPUTE_PGM_RSRC2:USER_SGPR: 14
; COMPUTE_PGM_RSRC2:TRAP_HANDLER: 0
; COMPUTE_PGM_RSRC2:TGID_X_EN: 1
; COMPUTE_PGM_RSRC2:TGID_Y_EN: 0
; COMPUTE_PGM_RSRC2:TGID_Z_EN: 1
; COMPUTE_PGM_RSRC2:TIDIG_COMP_CNT: 1
	.section	.text._ZN12_GLOBAL__N_120geam_min_plus_kernelIDF16_Dv2_DF16_S1_Li8ELi32ELi64ELi256ELi4ELi4ELi64ELi64ELi4ELc84ELc84ELb0ELb0ELb1EDF16_KPKDF16_KPDF16_EEviiiT16_PT17_ilS9_ilS7_S9_ilPT18_ili26rocblas_geam_ex_operation_,"axG",@progbits,_ZN12_GLOBAL__N_120geam_min_plus_kernelIDF16_Dv2_DF16_S1_Li8ELi32ELi64ELi256ELi4ELi4ELi64ELi64ELi4ELc84ELc84ELb0ELb0ELb1EDF16_KPKDF16_KPDF16_EEviiiT16_PT17_ilS9_ilS7_S9_ilPT18_ili26rocblas_geam_ex_operation_,comdat
	.globl	_ZN12_GLOBAL__N_120geam_min_plus_kernelIDF16_Dv2_DF16_S1_Li8ELi32ELi64ELi256ELi4ELi4ELi64ELi64ELi4ELc84ELc84ELb0ELb0ELb1EDF16_KPKDF16_KPDF16_EEviiiT16_PT17_ilS9_ilS7_S9_ilPT18_ili26rocblas_geam_ex_operation_ ; -- Begin function _ZN12_GLOBAL__N_120geam_min_plus_kernelIDF16_Dv2_DF16_S1_Li8ELi32ELi64ELi256ELi4ELi4ELi64ELi64ELi4ELc84ELc84ELb0ELb0ELb1EDF16_KPKDF16_KPDF16_EEviiiT16_PT17_ilS9_ilS7_S9_ilPT18_ili26rocblas_geam_ex_operation_
	.p2align	8
	.type	_ZN12_GLOBAL__N_120geam_min_plus_kernelIDF16_Dv2_DF16_S1_Li8ELi32ELi64ELi256ELi4ELi4ELi64ELi64ELi4ELc84ELc84ELb0ELb0ELb1EDF16_KPKDF16_KPDF16_EEviiiT16_PT17_ilS9_ilS7_S9_ilPT18_ili26rocblas_geam_ex_operation_,@function
_ZN12_GLOBAL__N_120geam_min_plus_kernelIDF16_Dv2_DF16_S1_Li8ELi32ELi64ELi256ELi4ELi4ELi64ELi64ELi4ELc84ELc84ELb0ELb0ELb1EDF16_KPKDF16_KPDF16_EEviiiT16_PT17_ilS9_ilS7_S9_ilPT18_ili26rocblas_geam_ex_operation_: ; @_ZN12_GLOBAL__N_120geam_min_plus_kernelIDF16_Dv2_DF16_S1_Li8ELi32ELi64ELi256ELi4ELi4ELi64ELi64ELi4ELc84ELc84ELb0ELb0ELb1EDF16_KPKDF16_KPDF16_EEviiiT16_PT17_ilS9_ilS7_S9_ilPT18_ili26rocblas_geam_ex_operation_
; %bb.0:
	s_clause 0x1
	s_load_b64 s[10:11], s[0:1], 0x8
	s_load_b128 s[4:7], s[0:1], 0x20
	s_mov_b32 s18, s15
	s_mov_b32 s19, 0
	s_waitcnt lgkmcnt(0)
	v_cmp_eq_f16_e64 s2, s11, 0
	s_delay_alu instid0(VALU_DEP_1)
	s_and_b32 vcc_lo, exec_lo, s2
	s_cbranch_vccnz .LBB227_3
; %bb.1:
	s_load_b64 s[8:9], s[0:1], 0x10
	s_lshl_b64 s[12:13], s[18:19], 3
	s_waitcnt lgkmcnt(0)
	s_add_u32 s8, s8, s12
	s_addc_u32 s9, s9, s13
	s_lshl_b64 s[4:5], s[4:5], 1
	s_load_b64 s[8:9], s[8:9], 0x0
	s_waitcnt lgkmcnt(0)
	s_add_u32 s12, s8, s4
	s_addc_u32 s13, s9, s5
	s_and_not1_b32 vcc_lo, exec_lo, s2
	s_cbranch_vccnz .LBB227_4
.LBB227_2:
	s_mov_b64 s[16:17], 0
	s_and_not1_b32 vcc_lo, exec_lo, s19
	s_cbranch_vccz .LBB227_5
	s_branch .LBB227_6
.LBB227_3:
	s_mov_b64 s[12:13], 0
	s_and_not1_b32 vcc_lo, exec_lo, s2
	s_cbranch_vccz .LBB227_2
.LBB227_4:
	s_mov_b32 s19, -1
                                        ; implicit-def: $sgpr16_sgpr17
.LBB227_5:
	s_mov_b32 s19, 0
	s_load_b64 s[4:5], s[0:1], 0x38
	s_lshl_b64 s[2:3], s[18:19], 3
	s_delay_alu instid0(SALU_CYCLE_1) | instskip(SKIP_4) | instid1(SALU_CYCLE_1)
	s_add_u32 s2, s6, s2
	s_addc_u32 s3, s7, s3
	s_load_b64 s[2:3], s[2:3], 0x0
	s_waitcnt lgkmcnt(0)
	s_lshl_b64 s[4:5], s[4:5], 1
	s_add_u32 s16, s2, s4
	s_addc_u32 s17, s3, s5
.LBB227_6:
	s_clause 0x1
	s_load_b32 s15, s[0:1], 0x40
	s_load_b128 s[4:7], s[0:1], 0x58
	v_cmp_neq_f16_e64 s20, s11, 0
	s_waitcnt lgkmcnt(0)
	v_cmp_eq_f16_e64 s2, s15, 0
	s_delay_alu instid0(VALU_DEP_1) | instskip(NEXT) | instid1(SALU_CYCLE_1)
	s_and_b32 s2, exec_lo, s2
	s_mov_b32 vcc_lo, s2
	s_cbranch_vccnz .LBB227_8
; %bb.7:
	s_load_b64 s[8:9], s[0:1], 0x48
	s_lshl_b64 s[22:23], s[18:19], 3
	s_waitcnt lgkmcnt(0)
	s_add_u32 s8, s8, s22
	s_addc_u32 s9, s9, s23
	s_lshl_b64 s[4:5], s[4:5], 1
	s_load_b64 s[8:9], s[8:9], 0x0
	s_waitcnt lgkmcnt(0)
	s_add_u32 s8, s8, s4
	s_addc_u32 s9, s9, s5
	s_branch .LBB227_9
.LBB227_8:
	s_mov_b64 s[8:9], 0
.LBB227_9:
	s_clause 0x1
	s_load_b32 s3, s[0:1], 0x0
	s_load_b32 s21, s[0:1], 0x18
	s_lshl_b64 s[4:5], s[18:19], 3
	v_and_b32_e32 v38, 0x3ff, v0
	s_add_u32 s6, s6, s4
	s_addc_u32 s7, s7, s5
	v_bfe_u32 v39, v0, 10, 10
	s_delay_alu instid0(VALU_DEP_2) | instskip(NEXT) | instid1(VALU_DEP_2)
	v_and_b32_e32 v2, 3, v38
	v_lshl_add_u32 v0, v39, 3, v38
	s_delay_alu instid0(VALU_DEP_2) | instskip(NEXT) | instid1(VALU_DEP_2)
	v_lshlrev_b32_e32 v4, 1, v2
	v_lshrrev_b32_e32 v6, 2, v0
	s_waitcnt lgkmcnt(0)
	s_add_i32 s3, s3, -1
	s_delay_alu instid0(SALU_CYCLE_1) | instskip(NEXT) | instid1(SALU_CYCLE_1)
	s_ashr_i32 s4, s3, 31
	s_lshr_b32 s4, s4, 26
	s_delay_alu instid0(SALU_CYCLE_1) | instskip(NEXT) | instid1(SALU_CYCLE_1)
	s_add_i32 s3, s3, s4
	s_ashr_i32 s3, s3, 6
	s_delay_alu instid0(SALU_CYCLE_1) | instskip(SKIP_2) | instid1(VALU_DEP_1)
	s_add_i32 s4, s3, 1
	s_not_b32 s3, s3
	v_cvt_f32_u32_e32 v1, s4
	v_rcp_iflag_f32_e32 v1, v1
	s_waitcnt_depctr 0xfff
	v_mul_f32_e32 v1, 0x4f7ffffe, v1
	s_delay_alu instid0(VALU_DEP_1) | instskip(NEXT) | instid1(VALU_DEP_1)
	v_cvt_u32_f32_e32 v1, v1
	v_readfirstlane_b32 s5, v1
	v_cndmask_b32_e64 v1, 0, 1, s20
	s_delay_alu instid0(VALU_DEP_2) | instskip(NEXT) | instid1(SALU_CYCLE_1)
	s_mul_i32 s3, s3, s5
	s_mul_hi_u32 s3, s5, s3
	s_delay_alu instid0(SALU_CYCLE_1) | instskip(NEXT) | instid1(SALU_CYCLE_1)
	s_add_i32 s5, s5, s3
	s_mul_hi_u32 s3, s14, s5
	s_delay_alu instid0(SALU_CYCLE_1) | instskip(SKIP_2) | instid1(SALU_CYCLE_1)
	s_mul_i32 s5, s3, s4
	s_add_i32 s18, s3, 1
	s_sub_i32 s5, s14, s5
	s_sub_i32 s19, s5, s4
	s_cmp_ge_u32 s5, s4
	s_cselect_b32 s3, s18, s3
	s_cselect_b32 s5, s19, s5
	s_add_i32 s18, s3, 1
	s_cmp_ge_u32 s5, s4
	s_cselect_b32 s5, s18, s3
	v_cmp_ne_u32_e64 s3, 1, v1
	s_mul_i32 s22, s5, s4
	s_and_not1_b32 vcc_lo, exec_lo, s20
	s_sub_i32 s4, s14, s22
	s_delay_alu instid0(SALU_CYCLE_1) | instskip(NEXT) | instid1(SALU_CYCLE_1)
	s_lshl_b32 s18, s4, 6
	v_add_nc_u32_e32 v8, s18, v6
	s_cbranch_vccnz .LBB227_11
; %bb.10:
	s_delay_alu instid0(VALU_DEP_1) | instskip(NEXT) | instid1(VALU_DEP_1)
	v_mad_i64_i32 v[1:2], null, v8, s21, 0
	v_lshlrev_b64 v[1:2], 1, v[1:2]
	s_delay_alu instid0(VALU_DEP_1) | instskip(NEXT) | instid1(VALU_DEP_2)
	v_add_co_u32 v1, vcc_lo, s12, v1
	v_add_co_ci_u32_e32 v2, vcc_lo, s13, v2, vcc_lo
	s_delay_alu instid0(VALU_DEP_2) | instskip(NEXT) | instid1(VALU_DEP_2)
	v_add_co_u32 v1, vcc_lo, v1, v4
	v_add_co_ci_u32_e32 v2, vcc_lo, 0, v2, vcc_lo
	flat_load_u16 v1, v[1:2]
	s_waitcnt vmcnt(0) lgkmcnt(0)
	v_mul_f16_e32 v2, s11, v1
	s_branch .LBB227_12
.LBB227_11:
	v_mov_b32_e32 v2, 0
.LBB227_12:
	s_load_b32 s4, s[0:1], 0x30
	v_lshrrev_b32_e32 v5, 6, v0
	v_and_b32_e32 v7, 63, v0
	s_lshl_b32 s19, s5, 8
	s_delay_alu instid0(VALU_DEP_1) | instid1(SALU_CYCLE_1)
	v_or_b32_e32 v0, s19, v7
	s_delay_alu instid0(VALU_DEP_1) | instskip(SKIP_3) | instid1(VALU_DEP_1)
	v_ashrrev_i32_e32 v1, 31, v0
	s_waitcnt lgkmcnt(0)
	v_mad_i64_i32 v[9:10], null, s4, v5, 0
	s_ashr_i32 s5, s4, 31
	v_lshlrev_b64 v[9:10], 1, v[9:10]
	s_delay_alu instid0(VALU_DEP_1) | instskip(NEXT) | instid1(VALU_DEP_2)
	v_add_co_u32 v9, vcc_lo, s16, v9
	v_add_co_ci_u32_e32 v10, vcc_lo, s17, v10, vcc_lo
	s_and_b32 vcc_lo, exec_lo, s3
	s_cbranch_vccnz .LBB227_16
; %bb.13:
	v_lshlrev_b64 v[11:12], 1, v[0:1]
	s_delay_alu instid0(VALU_DEP_1) | instskip(NEXT) | instid1(VALU_DEP_2)
	v_add_co_u32 v11, vcc_lo, v9, v11
	v_add_co_ci_u32_e32 v12, vcc_lo, v10, v12, vcc_lo
	s_clause 0x1
	flat_load_u16 v3, v[11:12]
	flat_load_u16 v11, v[11:12] offset:128
	s_waitcnt vmcnt(1) lgkmcnt(1)
	v_mul_f16_e32 v3, s11, v3
	s_waitcnt vmcnt(0) lgkmcnt(0)
	v_mul_f16_e32 v14, s11, v11
	s_and_b32 vcc_lo, exec_lo, s3
	s_cbranch_vccnz .LBB227_17
.LBB227_14:
	v_lshlrev_b64 v[11:12], 1, v[0:1]
	s_delay_alu instid0(VALU_DEP_1) | instskip(NEXT) | instid1(VALU_DEP_2)
	v_add_co_u32 v9, vcc_lo, v9, v11
	v_add_co_ci_u32_e32 v10, vcc_lo, v10, v12, vcc_lo
	s_clause 0x1
	flat_load_u16 v11, v[9:10] offset:256
	flat_load_u16 v9, v[9:10] offset:384
	s_waitcnt vmcnt(1) lgkmcnt(1)
	v_mul_f16_e32 v15, s11, v11
	s_waitcnt vmcnt(0) lgkmcnt(0)
	v_mul_f16_e32 v16, s11, v9
	s_and_b32 vcc_lo, exec_lo, s3
	s_cbranch_vccnz .LBB227_18
.LBB227_15:
	v_mad_i64_i32 v[9:10], null, v8, s21, 0
	s_delay_alu instid0(VALU_DEP_1) | instskip(NEXT) | instid1(VALU_DEP_1)
	v_lshlrev_b64 v[8:9], 1, v[9:10]
	v_add_co_u32 v8, vcc_lo, s12, v8
	s_delay_alu instid0(VALU_DEP_2) | instskip(NEXT) | instid1(VALU_DEP_2)
	v_add_co_ci_u32_e32 v9, vcc_lo, s13, v9, vcc_lo
	v_add_co_u32 v8, vcc_lo, v8, v4
	s_delay_alu instid0(VALU_DEP_2)
	v_add_co_ci_u32_e32 v9, vcc_lo, 0, v9, vcc_lo
	flat_load_u16 v8, v[8:9] offset:8
	s_waitcnt vmcnt(0) lgkmcnt(0)
	v_mul_f16_e32 v8, s11, v8
	s_branch .LBB227_19
.LBB227_16:
	v_dual_mov_b32 v3, 0 :: v_dual_mov_b32 v14, 0
	s_and_b32 vcc_lo, exec_lo, s3
	s_cbranch_vccz .LBB227_14
.LBB227_17:
	v_dual_mov_b32 v15, 0 :: v_dual_mov_b32 v16, 0
	s_and_b32 vcc_lo, exec_lo, s3
	s_cbranch_vccz .LBB227_15
.LBB227_18:
	v_mov_b32_e32 v8, 0
.LBB227_19:
	v_add_nc_u32_e32 v11, 4, v5
	s_delay_alu instid0(VALU_DEP_1) | instskip(NEXT) | instid1(VALU_DEP_1)
	v_mad_i64_i32 v[9:10], null, s4, v11, 0
	v_lshlrev_b64 v[9:10], 1, v[9:10]
	s_delay_alu instid0(VALU_DEP_1) | instskip(NEXT) | instid1(VALU_DEP_2)
	v_add_co_u32 v11, vcc_lo, s16, v9
	v_add_co_ci_u32_e32 v12, vcc_lo, s17, v10, vcc_lo
	s_and_b32 vcc_lo, exec_lo, s3
	s_cbranch_vccnz .LBB227_22
; %bb.20:
	v_lshlrev_b64 v[9:10], 1, v[0:1]
	s_delay_alu instid0(VALU_DEP_1) | instskip(NEXT) | instid1(VALU_DEP_2)
	v_add_co_u32 v9, vcc_lo, v11, v9
	v_add_co_ci_u32_e32 v10, vcc_lo, v12, v10, vcc_lo
	s_clause 0x1
	flat_load_u16 v13, v[9:10]
	flat_load_u16 v10, v[9:10] offset:128
	s_waitcnt vmcnt(1) lgkmcnt(1)
	v_mul_f16_e32 v9, s11, v13
	s_waitcnt vmcnt(0) lgkmcnt(0)
	v_mul_f16_e32 v10, s11, v10
	s_and_b32 vcc_lo, exec_lo, s3
	s_cbranch_vccnz .LBB227_23
.LBB227_21:
	v_lshlrev_b64 v[0:1], 1, v[0:1]
	s_delay_alu instid0(VALU_DEP_1) | instskip(NEXT) | instid1(VALU_DEP_2)
	v_add_co_u32 v0, vcc_lo, v11, v0
	v_add_co_ci_u32_e32 v1, vcc_lo, v12, v1, vcc_lo
	s_clause 0x1
	flat_load_u16 v11, v[0:1] offset:256
	flat_load_u16 v0, v[0:1] offset:384
	s_waitcnt vmcnt(1) lgkmcnt(1)
	v_mul_f16_e32 v11, s11, v11
	s_waitcnt vmcnt(0) lgkmcnt(0)
	v_mul_f16_e32 v12, s11, v0
	s_branch .LBB227_24
.LBB227_22:
	v_dual_mov_b32 v9, 0 :: v_dual_mov_b32 v10, 0
	s_and_b32 vcc_lo, exec_lo, s3
	s_cbranch_vccz .LBB227_21
.LBB227_23:
	v_dual_mov_b32 v11, 0 :: v_dual_mov_b32 v12, 0
.LBB227_24:
	v_lshlrev_b32_e32 v0, 1, v5
	v_lshlrev_b32_e32 v40, 3, v38
	v_lshlrev_b32_e32 v41, 3, v39
	v_lshl_or_b32 v13, v6, 3, v4
	s_load_b64 s[6:7], s[6:7], 0x0
	v_lshl_add_u32 v42, v7, 3, v0
	v_add_nc_u32_e32 v0, 0x1000, v40
	s_cmp_lt_i32 s10, 9
	ds_store_b16 v42, v3
	ds_store_b16 v42, v14 offset:512
	ds_store_b16 v42, v15 offset:1024
	;; [unrolled: 1-line block ×4, first 2 shown]
	s_waitcnt lgkmcnt(0)
	s_barrier
	buffer_gl0_inv
	ds_load_2addr_b64 v[14:17], v0 offset1:8
	ds_load_2addr_b64 v[18:21], v41 offset1:32
	ds_load_2addr_b64 v[22:25], v0 offset0:16 offset1:24
	ds_load_2addr_b64 v[26:29], v0 offset0:32 offset1:40
	;; [unrolled: 1-line block ×5, first 2 shown]
	s_waitcnt lgkmcnt(5)
	v_pk_add_f16 v43, v14, v18
	v_pk_add_f16 v44, v16, v18
	s_waitcnt lgkmcnt(3)
	v_pk_add_f16 v47, v26, v18
	v_pk_add_f16 v73, v15, v19
	;; [unrolled: 1-line block ×3, first 2 shown]
	v_pk_min_f16 v43, 0x7c00, v43 op_sel_hi:[0,1]
	v_pk_add_f16 v77, v27, v19
	v_pk_add_f16 v45, v22, v18
	;; [unrolled: 1-line block ×4, first 2 shown]
	v_pk_min_f16 v114, v43, v73
	v_pk_min_f16 v43, 0x7c00, v44 op_sel_hi:[0,1]
	v_pk_min_f16 v44, 0x7c00, v47 op_sel_hi:[0,1]
	v_pk_add_f16 v81, v15, v21
	v_pk_add_f16 v46, v24, v18
	s_waitcnt lgkmcnt(2)
	v_pk_add_f16 v49, v0, v18
	s_waitcnt lgkmcnt(1)
	v_pk_add_f16 v59, v14, v30
	v_pk_min_f16 v110, v44, v77
	v_pk_min_f16 v44, 0x7c00, v51 op_sel_hi:[0,1]
	v_pk_add_f16 v60, v16, v30
	v_pk_add_f16 v61, v22, v30
	;; [unrolled: 1-line block ×9, first 2 shown]
	v_pk_min_f16 v113, v43, v74
	v_pk_min_f16 v43, 0x7c00, v45 op_sel_hi:[0,1]
	v_pk_min_f16 v104, v44, v81
	v_pk_min_f16 v44, 0x7c00, v55 op_sel_hi:[0,1]
	v_pk_add_f16 v50, v2, v18
	v_pk_add_f16 v53, v22, v20
	;; [unrolled: 1-line block ×13, first 2 shown]
	v_pk_min_f16 v112, v43, v75
	v_pk_min_f16 v43, 0x7c00, v46 op_sel_hi:[0,1]
	v_pk_min_f16 v46, 0x7c00, v49 op_sel_hi:[0,1]
	v_pk_min_f16 v100, v44, v85
	v_pk_min_f16 v44, 0x7c00, v59 op_sel_hi:[0,1]
	v_pk_min_f16 v30, 0x7c00, v30 op_sel_hi:[0,1]
	v_pk_add_f16 v54, v24, v20
	v_pk_add_f16 v69, v24, v32
	;; [unrolled: 1-line block ×5, first 2 shown]
	s_waitcnt lgkmcnt(0)
	v_pk_add_f16 v123, v14, v34
	v_pk_min_f16 v111, v43, v76
	v_pk_min_f16 v43, 0x7c00, v50 op_sel_hi:[0,1]
	v_pk_min_f16 v106, v46, v79
	v_pk_min_f16 v46, 0x7c00, v53 op_sel_hi:[0,1]
	v_pk_min_f16 v96, v44, v89
	v_pk_min_f16 v89, v30, v31
	v_pk_min_f16 v31, 0x7c00, v70 op_sel_hi:[0,1]
	v_pk_add_f16 v48, v28, v18
	v_pk_add_f16 v52, v16, v20
	;; [unrolled: 1-line block ×19, first 2 shown]
	ds_load_2addr_b64 v[18:21], v41 offset0:192 offset1:224
	v_pk_add_f16 v137, v15, v35
	v_pk_min_f16 v105, v43, v80
	v_pk_min_f16 v43, 0x7c00, v54 op_sel_hi:[0,1]
	v_pk_min_f16 v102, v46, v83
	v_pk_min_f16 v30, 0x7c00, v69 op_sel_hi:[0,1]
	;; [unrolled: 2-line block ×3, first 2 shown]
	v_pk_add_f16 v116, v15, v33
	v_pk_add_f16 v117, v17, v33
	;; [unrolled: 1-line block ×9, first 2 shown]
	v_pk_min_f16 v101, v43, v84
	v_pk_min_f16 v43, 0x7c00, v56 op_sel_hi:[0,1]
	v_pk_min_f16 v84, v30, v119
	v_pk_min_f16 v30, 0x7c00, v32 op_sel_hi:[0,1]
	;; [unrolled: 2-line block ×3, first 2 shown]
	v_pk_add_f16 v126, v24, v34
	v_pk_add_f16 v128, v28, v34
	;; [unrolled: 1-line block ×5, first 2 shown]
	v_pk_min_f16 v45, 0x7c00, v48 op_sel_hi:[0,1]
	v_pk_min_f16 v99, v43, v86
	v_pk_min_f16 v43, 0x7c00, v60 op_sel_hi:[0,1]
	v_pk_min_f16 v80, v30, v33
	;; [unrolled: 2-line block ×3, first 2 shown]
	v_pk_min_f16 v31, 0x7c00, v129 op_sel_hi:[0,1]
	v_pk_add_f16 v125, v22, v34
	v_pk_add_f16 v130, v14, v36
	;; [unrolled: 1-line block ×7, first 2 shown]
	v_pk_min_f16 v107, v45, v78
	v_pk_min_f16 v44, 0x7c00, v61 op_sel_hi:[0,1]
	v_pk_min_f16 v95, v43, v90
	v_pk_min_f16 v43, 0x7c00, v64 op_sel_hi:[0,1]
	v_pk_min_f16 v33, 0x7c00, v126 op_sel_hi:[0,1]
	v_pk_min_f16 v78, v30, v138
	v_pk_min_f16 v30, 0x7c00, v128 op_sel_hi:[0,1]
	v_pk_min_f16 v73, v31, v143
	v_pk_min_f16 v31, 0x7c00, v132 op_sel_hi:[0,1]
	v_pk_add_f16 v34, v2, v34
	v_pk_add_f16 v133, v24, v36
	;; [unrolled: 1-line block ×7, first 2 shown]
	s_waitcnt lgkmcnt(0)
	v_pk_add_f16 v151, v14, v18
	v_pk_min_f16 v45, 0x7c00, v52 op_sel_hi:[0,1]
	v_pk_min_f16 v46, 0x7c00, v58 op_sel_hi:[0,1]
	v_pk_min_f16 v94, v44, v91
	v_pk_min_f16 v44, 0x7c00, v65 op_sel_hi:[0,1]
	v_pk_min_f16 v91, v43, v109
	v_pk_min_f16 v43, 0x7c00, v66 op_sel_hi:[0,1]
	v_pk_min_f16 v32, 0x7c00, v125 op_sel_hi:[0,1]
	v_pk_min_f16 v76, v33, v140
	v_pk_min_f16 v33, 0x7c00, v130 op_sel_hi:[0,1]
	v_pk_min_f16 v74, v30, v142
	;; [unrolled: 2-line block ×3, first 2 shown]
	v_pk_min_f16 v31, 0x7c00, v136 op_sel_hi:[0,1]
	v_pk_add_f16 v134, v26, v36
	v_pk_add_f16 v36, v2, v36
	;; [unrolled: 1-line block ×7, first 2 shown]
	v_pk_min_f16 v103, v45, v82
	v_pk_min_f16 v45, 0x7c00, v57 op_sel_hi:[0,1]
	v_pk_min_f16 v97, v46, v88
	v_pk_min_f16 v90, v44, v115
	v_pk_min_f16 v44, 0x7c00, v68 op_sel_hi:[0,1]
	v_pk_min_f16 v88, v43, v116
	v_pk_min_f16 v43, 0x7c00, v71 op_sel_hi:[0,1]
	;; [unrolled: 2-line block ×3, first 2 shown]
	v_pk_min_f16 v71, v33, v144
	v_pk_min_f16 v70, v30, v145
	v_pk_min_f16 v30, 0x7c00, v133 op_sel_hi:[0,1]
	v_pk_min_f16 v33, 0x7c00, v135 op_sel_hi:[0,1]
	v_pk_min_f16 v65, v31, v150
	v_pk_min_f16 v31, 0x7c00, v151 op_sel_hi:[0,1]
	v_pk_add_f16 v148, v27, v37
	v_pk_add_f16 v37, v3, v37
	;; [unrolled: 1-line block ×8, first 2 shown]
	v_pk_min_f16 v98, v45, v87
	v_pk_min_f16 v45, 0x7c00, v62 op_sel_hi:[0,1]
	v_pk_min_f16 v46, 0x7c00, v63 op_sel_hi:[0,1]
	v_pk_min_f16 v85, v44, v118
	v_pk_min_f16 v44, 0x7c00, v72 op_sel_hi:[0,1]
	v_pk_min_f16 v72, v32, v35
	;; [unrolled: 2-line block ×3, first 2 shown]
	v_pk_min_f16 v66, v33, v149
	v_pk_min_f16 v30, 0x7c00, v36 op_sel_hi:[0,1]
	v_pk_min_f16 v33, 0x7c00, v155 op_sel_hi:[0,1]
	v_pk_min_f16 v63, v31, v153
	v_pk_add_f16 v31, v0, v18
	v_pk_add_f16 v18, v2, v18
	v_pk_add_f16 v16, v16, v20
	v_pk_add_f16 v154, v17, v19
	v_pk_add_f16 v15, v15, v21
	v_pk_add_f16 v22, v22, v20
	v_pk_add_f16 v24, v24, v20
	v_pk_add_f16 v158, v25, v19
	v_pk_add_f16 v26, v26, v20
	v_pk_add_f16 v28, v28, v20
	v_pk_add_f16 v161, v27, v19
	v_pk_add_f16 v162, v29, v19
	v_pk_min_f16 v93, v45, v92
	v_pk_min_f16 v45, 0x7c00, v67 op_sel_hi:[0,1]
	v_pk_min_f16 v67, v32, v148
	v_pk_min_f16 v32, 0x7c00, v152 op_sel_hi:[0,1]
	;; [unrolled: 2-line block ×3, first 2 shown]
	v_pk_min_f16 v61, v33, v157
	v_pk_add_f16 v33, v1, v19
	v_pk_min_f16 v18, 0x7c00, v18 op_sel_hi:[0,1]
	v_pk_add_f16 v19, v3, v19
	v_pk_min_f16 v14, 0x7c00, v14 op_sel_hi:[0,1]
	v_pk_add_f16 v0, v0, v20
	v_pk_add_f16 v2, v2, v20
	;; [unrolled: 1-line block ×7, first 2 shown]
	v_pk_min_f16 v62, v32, v154
	v_pk_min_f16 v60, v30, v158
	v_pk_min_f16 v30, 0x7c00, v159 op_sel_hi:[0,1]
	v_pk_min_f16 v32, 0x7c00, v160 op_sel_hi:[0,1]
	;; [unrolled: 1-line block ×5, first 2 shown]
	v_pk_min_f16 v56, v18, v19
	v_pk_min_f16 v55, v14, v15
	v_pk_min_f16 v14, 0x7c00, v24 op_sel_hi:[0,1]
	v_pk_min_f16 v15, 0x7c00, v26 op_sel_hi:[0,1]
	;; [unrolled: 1-line block ×5, first 2 shown]
	v_pk_add_f16 v1, v1, v21
	v_pk_add_f16 v3, v3, v21
	v_pk_min_f16 v92, v46, v108
	v_pk_min_f16 v87, v45, v117
	;; [unrolled: 1-line block ×14, first 2 shown]
	ds_store_b16 v42, v9 offset:2048
	ds_store_b16 v42, v10 offset:2560
	;; [unrolled: 1-line block ×5, first 2 shown]
	s_waitcnt lgkmcnt(0)
	s_barrier
	buffer_gl0_inv
	s_cbranch_scc1 .LBB227_42
; %bb.25:
	v_lshl_add_u32 v0, s14, 6, v6
	s_lshl_b32 s14, s22, 6
	v_add_nc_u32_e32 v3, 12, v5
	v_add_nc_u32_e32 v9, 8, v5
	;; [unrolled: 1-line block ×3, first 2 shown]
	v_subrev_nc_u32_e32 v2, s14, v0
	v_add_nc_u32_e32 v44, 0x1000, v40
	v_mad_i64_i32 v[5:6], null, v3, s4, 0
	v_add_nc_u32_e32 v45, 0x1200, v13
	s_delay_alu instid0(VALU_DEP_4) | instskip(SKIP_4) | instid1(VALU_DEP_4)
	v_mad_i64_i32 v[0:1], null, s21, v2, 0
	v_add_nc_u32_e32 v2, s19, v7
	v_mad_i64_i32 v[7:8], null, v9, s4, 0
	v_lshlrev_b64 v[32:33], 1, v[5:6]
	v_or_b32_e32 v46, 0x800, v42
	v_ashrrev_i32_e32 v3, 31, v2
	v_lshlrev_b64 v[0:1], 1, v[0:1]
	v_lshl_add_u32 v47, v38, 3, 0x1200
	v_lshl_add_u32 v86, v39, 3, 0x800
	v_lshlrev_b64 v[36:37], 1, v[7:8]
	s_add_i32 s10, s10, -8
	s_delay_alu instid0(VALU_DEP_4) | instskip(SKIP_2) | instid1(VALU_DEP_3)
	v_add_co_u32 v4, vcc_lo, v0, v4
	v_add_co_ci_u32_e32 v9, vcc_lo, 0, v1, vcc_lo
	v_lshlrev_b64 v[0:1], 1, v[2:3]
	v_add_co_u32 v2, vcc_lo, v4, s12
	s_delay_alu instid0(VALU_DEP_3) | instskip(SKIP_1) | instid1(VALU_DEP_2)
	v_add_co_ci_u32_e32 v3, vcc_lo, s13, v9, vcc_lo
	s_lshl_b64 s[12:13], s[4:5], 4
	v_add_co_u32 v34, vcc_lo, v2, 16
	s_delay_alu instid0(VALU_DEP_2)
	v_add_co_ci_u32_e32 v35, vcc_lo, 0, v3, vcc_lo
	v_add_co_u32 v108, vcc_lo, s16, v0
	v_add_co_ci_u32_e32 v109, vcc_lo, s17, v1, vcc_lo
	s_mov_b32 s5, 0
	s_and_b32 s4, exec_lo, s20
	s_branch .LBB227_28
.LBB227_26:                             ;   in Loop: Header=BB227_28 Depth=1
	v_add_co_u32 v0, vcc_lo, v108, v32
	v_add_co_ci_u32_e32 v1, vcc_lo, v109, v33, vcc_lo
	s_clause 0x1
	flat_load_u16 v11, v[0:1] offset:256
	flat_load_u16 v1, v[0:1] offset:384
	s_waitcnt vmcnt(1) lgkmcnt(1)
	v_mul_f16_e32 v0, s11, v11
	s_waitcnt vmcnt(0) lgkmcnt(0)
	v_mul_f16_e32 v1, s11, v1
.LBB227_27:                             ;   in Loop: Header=BB227_28 Depth=1
	ds_load_2addr_b64 v[118:121], v44 offset1:8
	ds_load_2addr_b64 v[87:90], v41 offset1:32
	ds_load_2addr_b64 v[122:125], v44 offset0:16 offset1:24
	ds_load_2addr_b64 v[126:129], v44 offset0:32 offset1:40
	;; [unrolled: 1-line block ×6, first 2 shown]
	v_pk_max_f16 v11, v83, v83
	v_pk_max_f16 v17, v81, v81
	;; [unrolled: 1-line block ×13, first 2 shown]
	s_waitcnt lgkmcnt(6)
	v_pk_add_f16 v82, v118, v87
	v_pk_add_f16 v83, v120, v87
	s_waitcnt lgkmcnt(5)
	v_pk_add_f16 v84, v122, v87
	v_pk_add_f16 v85, v124, v87
	;; [unrolled: 3-line block ×4, first 2 shown]
	v_pk_min_f16 v11, v11, v82
	v_pk_min_f16 v17, v17, v83
	;; [unrolled: 1-line block ×5, first 2 shown]
	v_pk_add_f16 v82, v118, v89
	v_pk_add_f16 v83, v120, v89
	;; [unrolled: 1-line block ×5, first 2 shown]
	v_pk_min_f16 v70, v70, v82
	v_pk_min_f16 v77, v77, v83
	;; [unrolled: 1-line block ×5, first 2 shown]
	v_pk_add_f16 v82, v128, v89
	v_pk_add_f16 v83, v130, v89
	v_pk_max_f16 v73, v73, v73
	v_pk_add_f16 v84, v132, v89
	v_pk_max_f16 v71, v71, v71
	s_waitcnt lgkmcnt(2)
	v_pk_add_f16 v85, v118, v134
	v_pk_max_f16 v69, v69, v69
	v_pk_add_f16 v87, v120, v134
	v_pk_max_f16 v67, v67, v67
	v_pk_min_f16 v65, v65, v82
	v_pk_min_f16 v73, v73, v83
	v_pk_min_f16 v71, v71, v84
	v_pk_min_f16 v69, v69, v85
	v_pk_min_f16 v67, v67, v87
	v_pk_add_f16 v82, v122, v134
	v_pk_max_f16 v60, v60, v60
	v_pk_add_f16 v83, v124, v134
	v_pk_max_f16 v68, v68, v68
	v_pk_add_f16 v84, v126, v134
	v_pk_max_f16 v66, v66, v66
	v_pk_add_f16 v85, v128, v134
	v_pk_max_f16 v64, v64, v64
	v_pk_add_f16 v87, v130, v134
	v_pk_max_f16 v62, v62, v62
	v_pk_min_f16 v60, v60, v82
	v_pk_min_f16 v68, v68, v83
	v_pk_min_f16 v66, v66, v84
	v_pk_min_f16 v64, v64, v85
	v_pk_min_f16 v62, v62, v87
	v_pk_add_f16 v82, v132, v134
	v_pk_max_f16 v55, v55, v55
	v_pk_add_f16 v83, v118, v136
	v_pk_max_f16 v63, v63, v63
	v_pk_add_f16 v84, v120, v136
	v_pk_max_f16 v61, v61, v61
	;; [unrolled: 15-line block ×3, first 2 shown]
	v_pk_add_f16 v85, v132, v136
	v_pk_max_f16 v54, v54, v54
	s_waitcnt lgkmcnt(1)
	v_pk_add_f16 v87, v118, v138
	v_pk_max_f16 v52, v52, v52
	v_pk_min_f16 v50, v50, v82
	v_pk_min_f16 v58, v58, v83
	v_pk_min_f16 v56, v56, v84
	v_pk_min_f16 v54, v54, v85
	v_pk_min_f16 v52, v52, v87
	v_pk_add_f16 v82, v120, v138
	v_pk_max_f16 v29, v29, v29
	v_pk_add_f16 v83, v122, v138
	v_pk_max_f16 v53, v53, v53
	v_pk_add_f16 v84, v124, v138
	v_pk_max_f16 v51, v51, v51
	v_pk_add_f16 v85, v126, v138
	v_pk_max_f16 v49, v49, v49
	v_pk_add_f16 v87, v128, v138
	v_pk_max_f16 v31, v31, v31
	v_pk_min_f16 v29, v29, v82
	v_pk_min_f16 v53, v53, v83
	v_pk_min_f16 v51, v51, v84
	v_pk_min_f16 v49, v49, v85
	v_pk_min_f16 v31, v31, v87
	v_pk_add_f16 v82, v130, v138
	v_pk_max_f16 v24, v24, v24
	v_pk_add_f16 v83, v132, v138
	v_pk_max_f16 v48, v48, v48
	v_pk_add_f16 v84, v118, v140
	v_pk_max_f16 v30, v30, v30
	v_pk_add_f16 v85, v120, v140
	v_pk_max_f16 v28, v28, v28
	;; [unrolled: 15-line block ×3, first 2 shown]
	v_pk_add_f16 v87, v132, v140
	v_pk_max_f16 v21, v21, v21
	v_pk_min_f16 v18, v18, v82
	v_pk_min_f16 v27, v27, v83
	;; [unrolled: 1-line block ×5, first 2 shown]
	s_waitcnt lgkmcnt(0)
	v_pk_add_f16 v82, v118, v142
	v_pk_max_f16 v12, v12, v12
	v_pk_add_f16 v83, v120, v142
	v_pk_max_f16 v22, v22, v22
	;; [unrolled: 2-line block ×5, first 2 shown]
	v_pk_min_f16 v12, v12, v82
	v_pk_min_f16 v22, v22, v83
	;; [unrolled: 1-line block ×5, first 2 shown]
	v_pk_add_f16 v82, v128, v142
	v_pk_max_f16 v6, v6, v6
	v_pk_add_f16 v83, v130, v142
	v_pk_max_f16 v15, v15, v15
	;; [unrolled: 2-line block ×5, first 2 shown]
	v_pk_min_f16 v6, v6, v82
	v_pk_min_f16 v15, v15, v83
	;; [unrolled: 1-line block ×5, first 2 shown]
	v_pk_add_f16 v82, v122, v144
	v_pk_max_f16 v4, v4, v4
	v_pk_add_f16 v83, v124, v144
	v_pk_max_f16 v9, v9, v9
	;; [unrolled: 2-line block ×5, first 2 shown]
	v_pk_max_f16 v80, v80, v80
	v_pk_min_f16 v4, v4, v82
	v_pk_min_f16 v9, v9, v83
	;; [unrolled: 1-line block ×5, first 2 shown]
	v_pk_add_f16 v82, v132, v144
	v_pk_max_f16 v2, v2, v2
	v_pk_add_f16 v83, v119, v88
	v_pk_add_f16 v84, v121, v88
	;; [unrolled: 1-line block ×4, first 2 shown]
	v_pk_min_f16 v79, v79, v91
	v_pk_min_f16 v81, v81, v92
	;; [unrolled: 1-line block ×8, first 2 shown]
	v_pk_add_f16 v11, v127, v88
	v_pk_add_f16 v17, v129, v88
	v_pk_add_f16 v19, v131, v88
	v_pk_add_f16 v78, v133, v88
	v_pk_add_f16 v82, v119, v90
	v_pk_min_f16 v110, v79, v11
	v_pk_min_f16 v107, v81, v17
	v_pk_min_f16 v106, v80, v19
	v_pk_min_f16 v105, v76, v78
	v_pk_min_f16 v104, v70, v82
	v_pk_add_f16 v11, v121, v90
	v_pk_add_f16 v17, v123, v90
	v_pk_add_f16 v19, v125, v90
	v_pk_add_f16 v70, v127, v90
	v_pk_add_f16 v76, v129, v90
	v_pk_min_f16 v103, v77, v11
	v_pk_min_f16 v102, v75, v17
	v_pk_min_f16 v101, v74, v19
	v_pk_min_f16 v100, v72, v70
	v_pk_min_f16 v99, v65, v76
	;; [unrolled: 10-line block ×11, first 2 shown]
	v_pk_add_f16 v4, v125, v145
	v_pk_add_f16 v6, v127, v145
	;; [unrolled: 1-line block ×5, first 2 shown]
	v_add_co_u32 v34, vcc_lo, v34, 16
	v_add_co_ci_u32_e32 v35, vcc_lo, 0, v35, vcc_lo
	v_add_co_u32 v108, vcc_lo, v108, s12
	v_pk_min_f16 v52, v9, v4
	v_pk_min_f16 v51, v7, v6
	v_pk_min_f16 v50, v5, v8
	v_pk_min_f16 v49, v3, v10
	v_pk_min_f16 v48, v2, v11
	v_add_co_ci_u32_e32 v109, vcc_lo, s13, v109, vcc_lo
	s_add_i32 s5, s5, 8
	ds_store_b16 v45, v115
	ds_store_b16 v46, v116
	ds_store_b16 v46, v117 offset:512
	ds_store_b16 v46, v0 offset:1024
	;; [unrolled: 1-line block ×3, first 2 shown]
	s_cmp_ge_i32 s5, s10
	s_waitcnt lgkmcnt(0)
	s_barrier
	buffer_gl0_inv
	s_cbranch_scc1 .LBB227_42
.LBB227_28:                             ; =>This Inner Loop Header: Depth=1
	v_mov_b32_e32 v115, 0
	s_and_b32 vcc_lo, exec_lo, s3
	s_cbranch_vccnz .LBB227_30
; %bb.29:                               ;   in Loop: Header=BB227_28 Depth=1
	flat_load_u16 v0, v[34:35]
	s_waitcnt vmcnt(0) lgkmcnt(0)
	v_mul_f16_e32 v115, s11, v0
.LBB227_30:                             ;   in Loop: Header=BB227_28 Depth=1
	s_and_b32 vcc_lo, exec_lo, s3
	s_cbranch_vccnz .LBB227_33
; %bb.31:                               ;   in Loop: Header=BB227_28 Depth=1
	v_add_co_u32 v0, vcc_lo, v108, v36
	v_add_co_ci_u32_e32 v1, vcc_lo, v109, v37, vcc_lo
	s_clause 0x1
	flat_load_u16 v2, v[0:1]
	flat_load_u16 v0, v[0:1] offset:128
	s_waitcnt vmcnt(1) lgkmcnt(1)
	v_mul_f16_e32 v116, s11, v2
	s_waitcnt vmcnt(0) lgkmcnt(0)
	v_mul_f16_e32 v117, s11, v0
	s_and_b32 vcc_lo, exec_lo, s3
	s_cbranch_vccnz .LBB227_34
.LBB227_32:                             ;   in Loop: Header=BB227_28 Depth=1
	v_add_co_u32 v0, vcc_lo, v108, v36
	v_add_co_ci_u32_e32 v1, vcc_lo, v109, v37, vcc_lo
	s_clause 0x1
	flat_load_u16 v2, v[0:1] offset:256
	flat_load_u16 v0, v[0:1] offset:384
	s_waitcnt vmcnt(1) lgkmcnt(1)
	v_mul_f16_e32 v118, s11, v2
	s_waitcnt vmcnt(0) lgkmcnt(0)
	v_mul_f16_e32 v119, s11, v0
	s_branch .LBB227_35
.LBB227_33:                             ;   in Loop: Header=BB227_28 Depth=1
	v_dual_mov_b32 v116, 0 :: v_dual_mov_b32 v117, 0
	s_and_b32 vcc_lo, exec_lo, s3
	s_cbranch_vccz .LBB227_32
.LBB227_34:                             ;   in Loop: Header=BB227_28 Depth=1
	v_dual_mov_b32 v118, 0 :: v_dual_mov_b32 v119, 0
.LBB227_35:                             ;   in Loop: Header=BB227_28 Depth=1
	ds_load_2addr_b64 v[12:15], v47 offset1:8
	ds_load_2addr_b64 v[8:11], v47 offset0:16 offset1:24
	ds_load_2addr_b64 v[4:7], v47 offset0:32 offset1:40
	;; [unrolled: 1-line block ×3, first 2 shown]
	ds_load_2addr_b64 v[28:31], v86 offset1:32
	ds_load_2addr_b64 v[24:27], v86 offset0:64 offset1:96
	ds_load_2addr_b64 v[20:23], v86 offset0:128 offset1:160
	;; [unrolled: 1-line block ×3, first 2 shown]
	s_mov_b32 vcc_lo, s4
	ds_store_b16 v43, v115
	ds_store_b16 v42, v116
	ds_store_b16 v42, v117 offset:512
	ds_store_b16 v42, v118 offset:1024
	;; [unrolled: 1-line block ×3, first 2 shown]
	s_waitcnt lgkmcnt(0)
	s_barrier
	buffer_gl0_inv
	s_cbranch_vccz .LBB227_38
; %bb.36:                               ;   in Loop: Header=BB227_28 Depth=1
	flat_load_u16 v115, v[34:35] offset:8
	s_waitcnt vmcnt(0) lgkmcnt(0)
	v_mul_f16_e32 v115, s11, v115
	s_and_b32 vcc_lo, exec_lo, s3
	s_cbranch_vccnz .LBB227_39
.LBB227_37:                             ;   in Loop: Header=BB227_28 Depth=1
	v_add_co_u32 v116, vcc_lo, v108, v32
	v_add_co_ci_u32_e32 v117, vcc_lo, v109, v33, vcc_lo
	s_clause 0x1
	flat_load_u16 v118, v[116:117]
	flat_load_u16 v117, v[116:117] offset:128
	s_waitcnt vmcnt(1) lgkmcnt(1)
	v_mul_f16_e32 v116, s11, v118
	s_waitcnt vmcnt(0) lgkmcnt(0)
	v_mul_f16_e32 v117, s11, v117
	s_branch .LBB227_40
.LBB227_38:                             ;   in Loop: Header=BB227_28 Depth=1
	v_mov_b32_e32 v115, 0
	s_and_b32 vcc_lo, exec_lo, s3
	s_cbranch_vccz .LBB227_37
.LBB227_39:                             ;   in Loop: Header=BB227_28 Depth=1
	v_dual_mov_b32 v116, 0 :: v_dual_mov_b32 v117, 0
.LBB227_40:                             ;   in Loop: Header=BB227_28 Depth=1
	v_pk_add_f16 v118, v12, v28
	v_pk_max_f16 v114, v114, v114
	v_pk_add_f16 v119, v14, v28
	v_pk_max_f16 v113, v113, v113
	;; [unrolled: 2-line block ×3, first 2 shown]
	v_pk_min_f16 v114, v114, v118
	v_pk_add_f16 v118, v10, v28
	v_pk_min_f16 v113, v113, v119
	v_pk_max_f16 v111, v111, v111
	v_pk_min_f16 v112, v112, v120
	v_pk_add_f16 v119, v4, v28
	v_pk_max_f16 v110, v110, v110
	v_pk_add_f16 v120, v6, v28
	v_pk_add_f16 v121, v0, v28
	;; [unrolled: 1-line block ×3, first 2 shown]
	v_pk_max_f16 v105, v105, v105
	v_pk_max_f16 v107, v107, v107
	;; [unrolled: 1-line block ×3, first 2 shown]
	v_pk_min_f16 v111, v111, v118
	v_pk_min_f16 v110, v110, v119
	;; [unrolled: 1-line block ×3, first 2 shown]
	v_pk_add_f16 v105, v12, v30
	v_pk_max_f16 v104, v104, v104
	v_pk_add_f16 v118, v14, v30
	v_pk_max_f16 v103, v103, v103
	;; [unrolled: 2-line block ×3, first 2 shown]
	v_pk_min_f16 v107, v107, v120
	v_pk_min_f16 v106, v106, v121
	v_pk_add_f16 v120, v10, v30
	v_pk_max_f16 v101, v101, v101
	v_pk_add_f16 v121, v4, v30
	v_pk_min_f16 v104, v104, v105
	v_pk_min_f16 v103, v103, v118
	;; [unrolled: 1-line block ×3, first 2 shown]
	v_pk_add_f16 v105, v6, v30
	v_pk_max_f16 v99, v99, v99
	v_pk_add_f16 v118, v0, v30
	v_pk_add_f16 v30, v2, v30
	v_pk_max_f16 v97, v97, v97
	v_pk_add_f16 v119, v12, v24
	v_pk_max_f16 v96, v96, v96
	v_pk_min_f16 v101, v101, v120
	v_pk_max_f16 v98, v98, v98
	v_pk_add_f16 v120, v14, v24
	v_pk_max_f16 v95, v95, v95
	v_pk_min_f16 v99, v99, v105
	v_pk_min_f16 v30, v97, v30
	;; [unrolled: 1-line block ×3, first 2 shown]
	v_pk_add_f16 v97, v8, v24
	v_pk_max_f16 v94, v94, v94
	v_pk_add_f16 v105, v10, v24
	v_pk_max_f16 v93, v93, v93
	;; [unrolled: 2-line block ×3, first 2 shown]
	v_pk_min_f16 v98, v98, v118
	v_pk_min_f16 v95, v95, v120
	v_pk_add_f16 v118, v4, v24
	v_pk_max_f16 v92, v92, v92
	v_pk_add_f16 v120, v0, v24
	v_pk_min_f16 v94, v94, v97
	v_pk_min_f16 v93, v93, v105
	;; [unrolled: 1-line block ×3, first 2 shown]
	v_pk_add_f16 v24, v2, v24
	v_pk_max_f16 v89, v89, v89
	v_pk_add_f16 v97, v12, v26
	v_pk_max_f16 v88, v88, v88
	;; [unrolled: 2-line block ×4, first 2 shown]
	v_pk_min_f16 v92, v92, v118
	v_pk_add_f16 v118, v8, v26
	v_pk_min_f16 v24, v89, v24
	v_pk_min_f16 v88, v88, v97
	;; [unrolled: 1-line block ×4, first 2 shown]
	v_pk_add_f16 v84, v4, v26
	v_pk_add_f16 v97, v6, v26
	;; [unrolled: 1-line block ×3, first 2 shown]
	v_pk_max_f16 v81, v81, v81
	v_pk_add_f16 v26, v2, v26
	v_pk_max_f16 v80, v80, v80
	v_pk_max_f16 v100, v100, v100
	v_pk_max_f16 v85, v85, v85
	v_pk_max_f16 v83, v83, v83
	v_pk_max_f16 v82, v82, v82
	v_pk_min_f16 v105, v81, v105
	v_pk_min_f16 v26, v80, v26
	v_pk_add_f16 v80, v8, v20
	v_pk_max_f16 v77, v77, v77
	v_pk_add_f16 v81, v10, v20
	v_pk_max_f16 v76, v76, v76
	v_pk_min_f16 v100, v100, v121
	v_pk_min_f16 v85, v85, v118
	v_pk_add_f16 v118, v12, v20
	v_pk_max_f16 v79, v79, v79
	v_pk_min_f16 v119, v83, v84
	v_pk_min_f16 v97, v82, v97
	v_pk_add_f16 v82, v4, v20
	v_pk_max_f16 v75, v75, v75
	v_pk_add_f16 v83, v6, v20
	v_pk_max_f16 v74, v74, v74
	v_pk_min_f16 v121, v77, v80
	v_pk_min_f16 v122, v76, v81
	v_pk_add_f16 v76, v14, v22
	v_pk_max_f16 v70, v70, v70
	v_pk_add_f16 v77, v8, v22
	v_pk_max_f16 v69, v69, v69
	v_pk_min_f16 v118, v79, v118
	v_pk_add_f16 v79, v14, v20
	v_pk_min_f16 v123, v75, v82
	v_pk_min_f16 v124, v74, v83
	v_pk_add_f16 v74, v0, v20
	v_pk_add_f16 v20, v2, v20
	v_pk_max_f16 v72, v72, v72
	v_pk_add_f16 v75, v12, v22
	v_pk_max_f16 v71, v71, v71
	v_pk_min_f16 v127, v70, v76
	v_pk_min_f16 v128, v69, v77
	v_pk_add_f16 v69, v10, v22
	v_pk_max_f16 v68, v68, v68
	v_pk_add_f16 v70, v4, v22
	v_pk_max_f16 v67, v67, v67
	v_pk_min_f16 v20, v72, v20
	v_pk_min_f16 v126, v71, v75
	v_pk_add_f16 v71, v6, v22
	v_pk_max_f16 v66, v66, v66
	v_pk_add_f16 v72, v0, v22
	v_pk_max_f16 v65, v65, v65
	;; [unrolled: 2-line block ×3, first 2 shown]
	v_pk_min_f16 v129, v68, v69
	v_pk_min_f16 v130, v67, v70
	v_pk_add_f16 v67, v10, v16
	v_pk_max_f16 v60, v60, v60
	v_pk_add_f16 v68, v4, v16
	v_pk_max_f16 v59, v59, v59
	v_pk_min_f16 v131, v66, v71
	v_pk_min_f16 v132, v65, v72
	;; [unrolled: 1-line block ×3, first 2 shown]
	v_pk_add_f16 v64, v12, v16
	v_pk_add_f16 v65, v14, v16
	;; [unrolled: 1-line block ×3, first 2 shown]
	v_pk_min_f16 v136, v60, v67
	v_pk_min_f16 v137, v59, v68
	v_pk_add_f16 v59, v6, v16
	v_pk_add_f16 v60, v0, v16
	;; [unrolled: 1-line block ×3, first 2 shown]
	v_pk_max_f16 v56, v56, v56
	v_pk_add_f16 v12, v12, v18
	v_pk_max_f16 v55, v55, v55
	v_pk_add_f16 v14, v14, v18
	v_pk_max_f16 v54, v54, v54
	v_pk_min_f16 v140, v56, v16
	v_pk_add_f16 v8, v8, v18
	v_pk_min_f16 v141, v55, v12
	v_pk_max_f16 v12, v53, v53
	v_pk_add_f16 v4, v4, v18
	v_pk_max_f16 v16, v51, v51
	v_pk_min_f16 v142, v54, v14
	v_pk_add_f16 v10, v10, v18
	v_pk_max_f16 v14, v52, v52
	v_pk_add_f16 v6, v6, v18
	v_pk_max_f16 v50, v50, v50
	v_pk_min_f16 v143, v12, v8
	v_pk_min_f16 v145, v16, v4
	v_pk_add_f16 v2, v2, v18
	v_pk_max_f16 v4, v48, v48
	v_pk_add_f16 v8, v15, v29
	v_pk_max_f16 v90, v90, v90
	v_pk_max_f16 v78, v78, v78
	v_pk_min_f16 v144, v14, v10
	v_pk_min_f16 v146, v50, v6
	v_pk_add_f16 v6, v13, v29
	v_pk_add_f16 v10, v9, v29
	v_pk_min_f16 v2, v4, v2
	v_pk_min_f16 v81, v113, v8
	v_pk_add_f16 v4, v5, v29
	v_pk_add_f16 v8, v1, v29
	v_pk_min_f16 v90, v90, v120
	v_pk_min_f16 v120, v78, v79
	v_pk_max_f16 v73, v73, v73
	v_pk_add_f16 v12, v11, v29
	v_pk_min_f16 v83, v114, v6
	v_pk_min_f16 v79, v112, v10
	v_pk_add_f16 v6, v7, v29
	v_pk_add_f16 v10, v3, v29
	v_pk_min_f16 v84, v110, v4
	v_pk_min_f16 v80, v106, v8
	v_pk_add_f16 v4, v15, v31
	;; [unrolled: 4-line block ×3, first 2 shown]
	v_pk_min_f16 v82, v107, v6
	v_pk_min_f16 v76, v28, v10
	v_pk_add_f16 v6, v9, v31
	v_pk_add_f16 v10, v5, v31
	v_pk_min_f16 v77, v103, v4
	v_pk_min_f16 v74, v101, v8
	v_pk_add_f16 v4, v1, v31
	v_pk_add_f16 v8, v13, v25
	v_pk_max_f16 v63, v63, v63
	v_pk_max_f16 v62, v62, v62
	v_pk_min_f16 v70, v104, v12
	v_pk_add_f16 v12, v7, v31
	v_pk_min_f16 v75, v102, v6
	v_pk_min_f16 v72, v100, v10
	v_pk_add_f16 v6, v3, v31
	v_pk_add_f16 v10, v15, v25
	v_pk_min_f16 v73, v98, v4
	v_pk_min_f16 v69, v96, v8
	v_pk_add_f16 v4, v11, v25
	v_pk_add_f16 v8, v7, v25
	v_pk_max_f16 v61, v61, v61
	v_pk_min_f16 v133, v63, v64
	v_pk_min_f16 v134, v62, v65
	v_pk_max_f16 v58, v58, v58
	v_pk_max_f16 v57, v57, v57
	v_pk_min_f16 v65, v99, v12
	v_pk_add_f16 v12, v9, v25
	v_pk_min_f16 v71, v30, v6
	v_pk_min_f16 v67, v95, v10
	v_pk_add_f16 v6, v5, v25
	v_pk_add_f16 v10, v1, v25
	v_pk_min_f16 v68, v93, v4
	v_pk_min_f16 v64, v91, v8
	v_pk_add_f16 v4, v13, v27
	v_pk_add_f16 v8, v9, v27
	v_pk_min_f16 v135, v61, v66
	v_pk_min_f16 v138, v58, v59
	;; [unrolled: 1-line block ×4, first 2 shown]
	v_pk_add_f16 v12, v3, v25
	v_pk_min_f16 v66, v92, v6
	v_pk_min_f16 v62, v90, v10
	v_pk_add_f16 v6, v15, v27
	v_pk_add_f16 v10, v11, v27
	v_pk_min_f16 v63, v88, v4
	v_pk_min_f16 v59, v85, v8
	v_pk_add_f16 v4, v7, v27
	v_pk_add_f16 v8, v3, v27
	;; [unrolled: 1-line block ×3, first 2 shown]
	v_pk_max_f16 v49, v49, v49
	v_pk_min_f16 v55, v24, v12
	v_pk_add_f16 v12, v5, v27
	v_pk_min_f16 v61, v87, v6
	v_pk_min_f16 v57, v89, v10
	v_pk_add_f16 v6, v1, v27
	v_pk_add_f16 v10, v13, v21
	v_pk_min_f16 v58, v97, v4
	v_pk_min_f16 v54, v26, v8
	v_pk_add_f16 v4, v9, v21
	;; [unrolled: 4-line block ×3, first 2 shown]
	v_pk_min_f16 v56, v105, v6
	v_pk_min_f16 v52, v118, v10
	v_pk_add_f16 v6, v11, v21
	v_pk_add_f16 v10, v7, v21
	v_pk_min_f16 v53, v121, v4
	v_pk_min_f16 v49, v123, v8
	v_pk_add_f16 v4, v3, v21
	v_pk_add_f16 v8, v15, v23
	v_pk_min_f16 v29, v120, v12
	v_pk_add_f16 v12, v1, v21
	v_pk_min_f16 v51, v122, v6
	v_pk_min_f16 v31, v124, v10
	v_pk_add_f16 v6, v13, v23
	v_pk_add_f16 v10, v9, v23
	v_pk_min_f16 v48, v20, v4
	v_pk_min_f16 v28, v127, v8
	v_pk_add_f16 v4, v5, v23
	v_pk_add_f16 v8, v1, v23
	v_pk_min_f16 v24, v125, v12
	v_pk_add_f16 v12, v11, v23
	;; [unrolled: 10-line block ×3, first 2 shown]
	v_pk_min_f16 v25, v131, v6
	v_pk_min_f16 v21, v22, v10
	v_pk_add_f16 v6, v9, v17
	v_pk_add_f16 v10, v5, v17
	v_pk_add_f16 v85, v7, v17
	v_pk_min_f16 v22, v134, v4
	v_pk_min_f16 v16, v136, v8
	v_pk_add_f16 v4, v1, v17
	v_pk_add_f16 v8, v3, v17
	;; [unrolled: 1-line block ×4, first 2 shown]
	v_pk_min_f16 v14, v137, v10
	v_pk_add_f16 v10, v13, v19
	v_pk_min_f16 v15, v139, v4
	v_pk_min_f16 v13, v140, v8
	;; [unrolled: 1-line block ×4, first 2 shown]
	v_pk_add_f16 v9, v11, v19
	v_pk_add_f16 v5, v5, v19
	;; [unrolled: 1-line block ×5, first 2 shown]
	v_pk_min_f16 v12, v133, v12
	v_pk_min_f16 v20, v135, v6
	;; [unrolled: 1-line block ×9, first 2 shown]
	s_and_b32 vcc_lo, exec_lo, s3
	s_cbranch_vccz .LBB227_26
; %bb.41:                               ;   in Loop: Header=BB227_28 Depth=1
	v_dual_mov_b32 v0, 0 :: v_dual_mov_b32 v1, 0
	s_branch .LBB227_27
.LBB227_42:
	s_load_b32 s4, s[0:1], 0x50
	v_add_nc_u32_e32 v86, s19, v39
	ds_load_b64 v[28:29], v40 offset:4608
	ds_load_b64 v[46:47], v41 offset:2048
	v_add_nc_u32_e32 v44, s18, v38
	v_cmp_neq_f16_e64 s10, s15, 0
	v_mov_b32_e32 v34, 0
	v_mov_b32_e32 v32, 0
	s_delay_alu instid0(VALU_DEP_4) | instskip(NEXT) | instid1(VALU_DEP_4)
	v_ashrrev_i32_e32 v45, 31, v44
	s_and_b32 vcc_lo, exec_lo, s10
	s_delay_alu instid0(VALU_DEP_1) | instskip(SKIP_2) | instid1(VALU_DEP_1)
	v_lshlrev_b64 v[30:31], 1, v[44:45]
	s_waitcnt lgkmcnt(0)
	v_mad_i64_i32 v[0:1], null, v86, s4, 0
	v_lshlrev_b64 v[0:1], 1, v[0:1]
	s_delay_alu instid0(VALU_DEP_1) | instskip(NEXT) | instid1(VALU_DEP_1)
	v_add_co_u32 v108, s3, s8, v0
	v_add_co_ci_u32_e64 v109, s3, s9, v1, s3
	s_cbranch_vccz .LBB227_44
; %bb.43:
	s_delay_alu instid0(VALU_DEP_2) | instskip(NEXT) | instid1(VALU_DEP_2)
	v_add_co_u32 v0, vcc_lo, v108, v30
	v_add_co_ci_u32_e32 v1, vcc_lo, v109, v31, vcc_lo
	flat_load_u16 v0, v[0:1]
	s_waitcnt vmcnt(0) lgkmcnt(0)
	v_mul_f16_e32 v32, s15, v0
.LBB227_44:
	s_clause 0x1
	s_load_b32 s3, s[0:1], 0x68
	s_load_b64 s[12:13], s[0:1], 0x70
	v_add_nc_u32_e32 v0, 0x1000, v40
	v_pk_add_f16 v1, v28, v46
	v_pk_max_f16 v2, v114, v114
	v_add_nc_u32_e32 v12, 0x800, v41
	ds_load_b64 v[24:25], v40 offset:5056
	ds_load_b64 v[26:27], v41 offset:3840
	ds_load_2addr_b64 v[8:11], v0 offset0:72 offset1:80
	ds_load_2addr_b64 v[4:7], v0 offset0:88 offset1:96
	v_pk_min_f16 v36, v2, v1
	ds_load_2addr_b64 v[0:3], v0 offset0:104 offset1:112
	ds_load_2addr_b64 v[20:23], v12 offset0:32 offset1:64
	;; [unrolled: 1-line block ×4, first 2 shown]
	v_pk_add_f16 v33, v29, v47
	v_add_nc_u32_e32 v35, 8, v44
	v_cndmask_b32_e64 v39, 0, 1, s10
	s_delay_alu instid0(VALU_DEP_3) | instskip(NEXT) | instid1(VALU_DEP_3)
	v_pk_min_f16 v33, v36, v33
	v_ashrrev_i32_e32 v36, 31, v35
	s_delay_alu instid0(VALU_DEP_3)
	v_cmp_ne_u32_e64 s0, 1, v39
	s_waitcnt lgkmcnt(0)
	v_mad_i64_i32 v[37:38], null, v86, s3, 0
	s_lshl_b64 s[12:13], s[12:13], 1
	v_lshrrev_b32_e32 v39, 16, v33
	s_add_u32 s1, s6, s12
	s_addc_u32 s5, s7, s13
	s_delay_alu instid0(VALU_DEP_1) | instskip(NEXT) | instid1(VALU_DEP_3)
	v_min3_f16 v39, v32, v33, v39
	v_lshlrev_b64 v[37:38], 1, v[37:38]
	v_lshlrev_b64 v[32:33], 1, v[35:36]
	s_delay_alu instid0(VALU_DEP_2) | instskip(NEXT) | instid1(VALU_DEP_3)
	v_add_co_u32 v114, vcc_lo, s1, v37
	v_add_co_ci_u32_e32 v115, vcc_lo, s5, v38, vcc_lo
	s_delay_alu instid0(VALU_DEP_2) | instskip(NEXT) | instid1(VALU_DEP_2)
	v_add_co_u32 v37, vcc_lo, v114, v30
	v_add_co_ci_u32_e32 v38, vcc_lo, v115, v31, vcc_lo
	s_and_not1_b32 vcc_lo, exec_lo, s10
	global_store_b16 v[37:38], v39, off
	s_cbranch_vccnz .LBB227_46
; %bb.45:
	v_add_co_u32 v34, vcc_lo, v108, v32
	v_add_co_ci_u32_e32 v35, vcc_lo, v109, v33, vcc_lo
	flat_load_u16 v34, v[34:35]
	s_waitcnt vmcnt(0) lgkmcnt(0)
	v_mul_f16_e32 v34, s15, v34
.LBB227_46:
	v_pk_add_f16 v35, v8, v46
	v_pk_max_f16 v36, v113, v113
	v_pk_add_f16 v37, v9, v47
	v_add_co_u32 v38, vcc_lo, v114, v32
	v_add_co_ci_u32_e32 v39, vcc_lo, v115, v33, vcc_lo
	s_delay_alu instid0(VALU_DEP_4) | instskip(SKIP_2) | instid1(VALU_DEP_2)
	v_pk_min_f16 v36, v36, v35
	v_add_nc_u32_e32 v35, 16, v44
	s_and_b32 vcc_lo, exec_lo, s0
	v_pk_min_f16 v40, v36, v37
	s_delay_alu instid0(VALU_DEP_2) | instskip(SKIP_1) | instid1(VALU_DEP_3)
	v_ashrrev_i32_e32 v36, 31, v35
	v_mov_b32_e32 v37, 0
	v_lshrrev_b32_e32 v41, 16, v40
	s_delay_alu instid0(VALU_DEP_1) | instskip(NEXT) | instid1(VALU_DEP_4)
	v_min3_f16 v40, v34, v40, v41
	v_lshlrev_b64 v[34:35], 1, v[35:36]
	v_mov_b32_e32 v36, 0
	global_store_b16 v[38:39], v40, off
	s_cbranch_vccnz .LBB227_48
; %bb.47:
	v_add_co_u32 v38, vcc_lo, v108, v34
	v_add_co_ci_u32_e32 v39, vcc_lo, v109, v35, vcc_lo
	flat_load_u16 v36, v[38:39]
	s_waitcnt vmcnt(0) lgkmcnt(0)
	v_mul_f16_e32 v36, s15, v36
.LBB227_48:
	v_pk_add_f16 v38, v10, v46
	v_pk_max_f16 v39, v112, v112
	v_pk_add_f16 v40, v11, v47
	v_add_co_u32 v42, vcc_lo, v114, v34
	v_add_co_ci_u32_e32 v43, vcc_lo, v115, v35, vcc_lo
	s_delay_alu instid0(VALU_DEP_4) | instskip(SKIP_2) | instid1(VALU_DEP_2)
	v_pk_min_f16 v39, v39, v38
	v_add_nc_u32_e32 v38, 24, v44
	s_and_b32 vcc_lo, exec_lo, s0
	v_pk_min_f16 v40, v39, v40
	s_delay_alu instid0(VALU_DEP_2) | instskip(NEXT) | instid1(VALU_DEP_2)
	v_ashrrev_i32_e32 v39, 31, v38
	v_lshrrev_b32_e32 v41, 16, v40
	s_delay_alu instid0(VALU_DEP_1) | instskip(NEXT) | instid1(VALU_DEP_3)
	v_min3_f16 v36, v36, v40, v41
	v_lshlrev_b64 v[40:41], 1, v[38:39]
	global_store_b16 v[42:43], v36, off
	s_cbranch_vccnz .LBB227_50
; %bb.49:
	v_add_co_u32 v36, vcc_lo, v108, v40
	v_add_co_ci_u32_e32 v37, vcc_lo, v109, v41, vcc_lo
	flat_load_u16 v36, v[36:37]
	s_waitcnt vmcnt(0) lgkmcnt(0)
	v_mul_f16_e32 v37, s15, v36
.LBB227_50:
	v_pk_add_f16 v36, v4, v46
	v_pk_max_f16 v38, v111, v111
	v_pk_add_f16 v39, v5, v47
	v_add_co_u32 v111, vcc_lo, v114, v40
	v_add_co_ci_u32_e32 v112, vcc_lo, v115, v41, vcc_lo
	s_delay_alu instid0(VALU_DEP_4) | instskip(SKIP_2) | instid1(VALU_DEP_2)
	v_pk_min_f16 v36, v38, v36
	v_add_nc_u32_e32 v38, 32, v44
	s_and_b32 vcc_lo, exec_lo, s0
	v_pk_min_f16 v42, v36, v39
	v_mov_b32_e32 v36, 0
	s_delay_alu instid0(VALU_DEP_2) | instskip(NEXT) | instid1(VALU_DEP_1)
	v_lshrrev_b32_e32 v43, 16, v42
	v_min3_f16 v45, v37, v42, v43
	v_mov_b32_e32 v37, 0
	v_ashrrev_i32_e32 v39, 31, v38
	global_store_b16 v[111:112], v45, off
	v_lshlrev_b64 v[42:43], 1, v[38:39]
	s_cbranch_vccnz .LBB227_52
; %bb.51:
	s_delay_alu instid0(VALU_DEP_1) | instskip(NEXT) | instid1(VALU_DEP_2)
	v_add_co_u32 v37, vcc_lo, v108, v42
	v_add_co_ci_u32_e32 v38, vcc_lo, v109, v43, vcc_lo
	flat_load_u16 v37, v[37:38]
	s_waitcnt vmcnt(0) lgkmcnt(0)
	v_mul_f16_e32 v37, s15, v37
.LBB227_52:
	v_pk_add_f16 v38, v6, v46
	v_pk_max_f16 v39, v110, v110
	v_pk_add_f16 v45, v7, v47
	s_delay_alu instid0(VALU_DEP_4) | instskip(SKIP_1) | instid1(VALU_DEP_4)
	v_add_co_u32 v110, vcc_lo, v114, v42
	v_add_co_ci_u32_e32 v111, vcc_lo, v115, v43, vcc_lo
	v_pk_min_f16 v39, v39, v38
	v_add_nc_u32_e32 v38, 40, v44
	s_and_b32 vcc_lo, exec_lo, s0
	s_delay_alu instid0(VALU_DEP_2) | instskip(NEXT) | instid1(VALU_DEP_2)
	v_pk_min_f16 v45, v39, v45
	v_ashrrev_i32_e32 v39, 31, v38
	s_delay_alu instid0(VALU_DEP_2) | instskip(NEXT) | instid1(VALU_DEP_2)
	v_lshrrev_b32_e32 v112, 16, v45
	v_lshlrev_b64 v[38:39], 1, v[38:39]
	s_delay_alu instid0(VALU_DEP_2)
	v_min3_f16 v37, v37, v45, v112
	global_store_b16 v[110:111], v37, off
	s_cbranch_vccnz .LBB227_54
; %bb.53:
	v_add_co_u32 v36, vcc_lo, v108, v38
	v_add_co_ci_u32_e32 v37, vcc_lo, v109, v39, vcc_lo
	flat_load_u16 v36, v[36:37]
	s_waitcnt vmcnt(0) lgkmcnt(0)
	v_mul_f16_e32 v36, s15, v36
.LBB227_54:
	v_pk_add_f16 v37, v0, v46
	v_pk_max_f16 v45, v107, v107
	v_pk_add_f16 v107, v1, v47
	v_add_nc_u32_e32 v110, 48, v44
	v_add_co_u32 v112, vcc_lo, v114, v38
	s_delay_alu instid0(VALU_DEP_4) | instskip(SKIP_2) | instid1(VALU_DEP_2)
	v_pk_min_f16 v37, v45, v37
	v_add_co_ci_u32_e32 v113, vcc_lo, v115, v39, vcc_lo
	s_and_b32 vcc_lo, exec_lo, s0
	v_pk_min_f16 v37, v37, v107
	v_mov_b32_e32 v107, 0
	v_ashrrev_i32_e32 v111, 31, v110
	s_delay_alu instid0(VALU_DEP_3) | instskip(NEXT) | instid1(VALU_DEP_1)
	v_lshrrev_b32_e32 v45, 16, v37
	v_min3_f16 v116, v36, v37, v45
	s_delay_alu instid0(VALU_DEP_3)
	v_lshlrev_b64 v[36:37], 1, v[110:111]
	v_mov_b32_e32 v45, 0
	global_store_b16 v[112:113], v116, off
	s_cbranch_vccnz .LBB227_56
; %bb.55:
	v_add_co_u32 v110, vcc_lo, v108, v36
	v_add_co_ci_u32_e32 v111, vcc_lo, v109, v37, vcc_lo
	flat_load_u16 v45, v[110:111]
	s_waitcnt vmcnt(0) lgkmcnt(0)
	v_mul_f16_e32 v45, s15, v45
.LBB227_56:
	v_pk_add_f16 v110, v2, v46
	v_pk_max_f16 v106, v106, v106
	v_pk_add_f16 v111, v3, v47
	v_add_co_u32 v112, vcc_lo, v114, v36
	v_add_co_ci_u32_e32 v113, vcc_lo, v115, v37, vcc_lo
	s_delay_alu instid0(VALU_DEP_4) | instskip(SKIP_2) | instid1(VALU_DEP_2)
	v_pk_min_f16 v106, v106, v110
	v_add_nc_u32_e32 v110, 56, v44
	s_and_b32 vcc_lo, exec_lo, s0
	v_pk_min_f16 v44, v106, v111
	s_delay_alu instid0(VALU_DEP_2) | instskip(NEXT) | instid1(VALU_DEP_2)
	v_ashrrev_i32_e32 v111, 31, v110
	v_lshrrev_b32_e32 v106, 16, v44
	s_delay_alu instid0(VALU_DEP_1) | instskip(NEXT) | instid1(VALU_DEP_3)
	v_min3_f16 v106, v45, v44, v106
	v_lshlrev_b64 v[44:45], 1, v[110:111]
	global_store_b16 v[112:113], v106, off
	s_cbranch_vccnz .LBB227_58
; %bb.57:
	v_add_co_u32 v106, vcc_lo, v108, v44
	v_add_co_ci_u32_e32 v107, vcc_lo, v109, v45, vcc_lo
	flat_load_u16 v106, v[106:107]
	s_waitcnt vmcnt(0) lgkmcnt(0)
	v_mul_f16_e32 v107, s15, v106
.LBB227_58:
	v_add_nc_u32_e32 v108, 32, v86
	v_pk_add_f16 v46, v24, v46
	v_pk_max_f16 v109, v105, v105
	v_pk_add_f16 v47, v25, v47
	s_delay_alu instid0(VALU_DEP_4) | instskip(NEXT) | instid1(VALU_DEP_3)
	v_mad_i64_i32 v[105:106], null, v108, s4, 0
	v_pk_min_f16 v46, v109, v46
	v_add_co_u32 v109, vcc_lo, v114, v44
	v_add_co_ci_u32_e32 v110, vcc_lo, v115, v45, vcc_lo
	s_delay_alu instid0(VALU_DEP_3) | instskip(SKIP_2) | instid1(VALU_DEP_3)
	v_pk_min_f16 v111, v46, v47
	v_lshlrev_b64 v[46:47], 1, v[105:106]
	v_mov_b32_e32 v106, 0
	v_lshrrev_b32_e32 v105, 16, v111
	s_delay_alu instid0(VALU_DEP_3) | instskip(NEXT) | instid1(VALU_DEP_4)
	v_add_co_u32 v46, vcc_lo, s8, v46
	v_add_co_ci_u32_e32 v47, vcc_lo, s9, v47, vcc_lo
	s_delay_alu instid0(VALU_DEP_3)
	v_min3_f16 v105, v107, v111, v105
	v_mov_b32_e32 v107, 0
	s_and_b32 vcc_lo, exec_lo, s0
	global_store_b16 v[109:110], v105, off
	s_cbranch_vccnz .LBB227_60
; %bb.59:
	v_add_co_u32 v109, vcc_lo, v46, v30
	v_add_co_ci_u32_e32 v110, vcc_lo, v47, v31, vcc_lo
	flat_load_u16 v105, v[109:110]
	s_waitcnt vmcnt(0) lgkmcnt(0)
	v_mul_f16_e32 v107, s15, v105
.LBB227_60:
	v_pk_add_f16 v109, v28, v20
	v_pk_max_f16 v110, v104, v104
	v_mad_i64_i32 v[104:105], null, v108, s3, 0
	v_pk_add_f16 v108, v29, v21
	s_delay_alu instid0(VALU_DEP_3) | instskip(NEXT) | instid1(VALU_DEP_3)
	v_pk_min_f16 v109, v110, v109
	v_lshlrev_b64 v[104:105], 1, v[104:105]
	s_delay_alu instid0(VALU_DEP_2) | instskip(NEXT) | instid1(VALU_DEP_2)
	v_pk_min_f16 v108, v109, v108
	v_add_co_u32 v104, vcc_lo, s1, v104
	s_delay_alu instid0(VALU_DEP_2) | instskip(NEXT) | instid1(VALU_DEP_4)
	v_lshrrev_b32_e32 v109, 16, v108
	v_add_co_ci_u32_e32 v105, vcc_lo, s5, v105, vcc_lo
	s_delay_alu instid0(VALU_DEP_2) | instskip(NEXT) | instid1(VALU_DEP_4)
	v_min3_f16 v109, v107, v108, v109
	v_add_co_u32 v107, vcc_lo, v104, v30
	s_delay_alu instid0(VALU_DEP_3)
	v_add_co_ci_u32_e32 v108, vcc_lo, v105, v31, vcc_lo
	s_and_b32 vcc_lo, exec_lo, s0
	global_store_b16 v[107:108], v109, off
	s_cbranch_vccnz .LBB227_62
; %bb.61:
	v_add_co_u32 v106, vcc_lo, v46, v32
	v_add_co_ci_u32_e32 v107, vcc_lo, v47, v33, vcc_lo
	flat_load_u16 v106, v[106:107]
	s_waitcnt vmcnt(0) lgkmcnt(0)
	v_mul_f16_e32 v106, s15, v106
.LBB227_62:
	v_pk_add_f16 v107, v8, v20
	v_pk_max_f16 v103, v103, v103
	v_pk_add_f16 v108, v9, v21
	s_delay_alu instid0(VALU_DEP_2) | instskip(SKIP_1) | instid1(VALU_DEP_2)
	v_pk_min_f16 v103, v103, v107
	v_add_co_u32 v107, vcc_lo, v104, v32
	v_pk_min_f16 v103, v103, v108
	v_add_co_ci_u32_e32 v108, vcc_lo, v105, v33, vcc_lo
	s_and_b32 vcc_lo, exec_lo, s0
	s_delay_alu instid0(VALU_DEP_2) | instskip(NEXT) | instid1(VALU_DEP_1)
	v_lshrrev_b32_e32 v109, 16, v103
	v_min3_f16 v109, v106, v103, v109
	v_dual_mov_b32 v103, 0 :: v_dual_mov_b32 v106, 0
	global_store_b16 v[107:108], v109, off
	s_cbranch_vccnz .LBB227_64
; %bb.63:
	v_add_co_u32 v106, vcc_lo, v46, v34
	v_add_co_ci_u32_e32 v107, vcc_lo, v47, v35, vcc_lo
	flat_load_u16 v106, v[106:107]
	s_waitcnt vmcnt(0) lgkmcnt(0)
	v_mul_f16_e32 v106, s15, v106
.LBB227_64:
	v_pk_add_f16 v107, v10, v20
	v_pk_max_f16 v102, v102, v102
	v_pk_add_f16 v108, v11, v21
	s_delay_alu instid0(VALU_DEP_2) | instskip(NEXT) | instid1(VALU_DEP_1)
	v_pk_min_f16 v102, v102, v107
	v_pk_min_f16 v102, v102, v108
	s_delay_alu instid0(VALU_DEP_1) | instskip(NEXT) | instid1(VALU_DEP_1)
	v_lshrrev_b32_e32 v107, 16, v102
	v_min3_f16 v102, v106, v102, v107
	v_add_co_u32 v106, vcc_lo, v104, v34
	v_add_co_ci_u32_e32 v107, vcc_lo, v105, v35, vcc_lo
	s_and_b32 vcc_lo, exec_lo, s0
	global_store_b16 v[106:107], v102, off
	s_cbranch_vccnz .LBB227_66
; %bb.65:
	v_add_co_u32 v102, vcc_lo, v46, v40
	v_add_co_ci_u32_e32 v103, vcc_lo, v47, v41, vcc_lo
	flat_load_u16 v102, v[102:103]
	s_waitcnt vmcnt(0) lgkmcnt(0)
	v_mul_f16_e32 v103, s15, v102
.LBB227_66:
	v_pk_add_f16 v102, v4, v20
	v_pk_max_f16 v101, v101, v101
	v_pk_add_f16 v106, v5, v21
	s_delay_alu instid0(VALU_DEP_2) | instskip(NEXT) | instid1(VALU_DEP_1)
	v_pk_min_f16 v101, v101, v102
	v_pk_min_f16 v101, v101, v106
	v_add_co_u32 v106, vcc_lo, v104, v40
	v_add_co_ci_u32_e32 v107, vcc_lo, v105, v41, vcc_lo
	s_delay_alu instid0(VALU_DEP_3) | instskip(SKIP_1) | instid1(VALU_DEP_1)
	v_lshrrev_b32_e32 v102, 16, v101
	s_and_b32 vcc_lo, exec_lo, s0
	v_min3_f16 v103, v103, v101, v102
	v_dual_mov_b32 v101, 0 :: v_dual_mov_b32 v102, 0
	global_store_b16 v[106:107], v103, off
	s_cbranch_vccnz .LBB227_68
; %bb.67:
	v_add_co_u32 v102, vcc_lo, v46, v42
	v_add_co_ci_u32_e32 v103, vcc_lo, v47, v43, vcc_lo
	flat_load_u16 v102, v[102:103]
	s_waitcnt vmcnt(0) lgkmcnt(0)
	v_mul_f16_e32 v102, s15, v102
.LBB227_68:
	v_pk_add_f16 v103, v6, v20
	v_pk_max_f16 v100, v100, v100
	v_pk_add_f16 v106, v7, v21
	s_delay_alu instid0(VALU_DEP_2) | instskip(NEXT) | instid1(VALU_DEP_1)
	v_pk_min_f16 v100, v100, v103
	v_pk_min_f16 v100, v100, v106
	s_delay_alu instid0(VALU_DEP_1) | instskip(NEXT) | instid1(VALU_DEP_1)
	v_lshrrev_b32_e32 v103, 16, v100
	v_min3_f16 v100, v102, v100, v103
	v_add_co_u32 v102, vcc_lo, v104, v42
	v_add_co_ci_u32_e32 v103, vcc_lo, v105, v43, vcc_lo
	s_and_b32 vcc_lo, exec_lo, s0
	global_store_b16 v[102:103], v100, off
	s_cbranch_vccnz .LBB227_70
; %bb.69:
	v_add_co_u32 v100, vcc_lo, v46, v38
	v_add_co_ci_u32_e32 v101, vcc_lo, v47, v39, vcc_lo
	flat_load_u16 v100, v[100:101]
	s_waitcnt vmcnt(0) lgkmcnt(0)
	v_mul_f16_e32 v101, s15, v100
.LBB227_70:
	v_pk_add_f16 v100, v0, v20
	v_pk_max_f16 v99, v99, v99
	v_pk_add_f16 v102, v1, v21
	s_delay_alu instid0(VALU_DEP_2) | instskip(NEXT) | instid1(VALU_DEP_1)
	v_pk_min_f16 v99, v99, v100
	v_pk_min_f16 v99, v99, v102
	v_add_co_u32 v102, vcc_lo, v104, v38
	v_add_co_ci_u32_e32 v103, vcc_lo, v105, v39, vcc_lo
	s_delay_alu instid0(VALU_DEP_3) | instskip(SKIP_1) | instid1(VALU_DEP_1)
	v_lshrrev_b32_e32 v100, 16, v99
	s_and_b32 vcc_lo, exec_lo, s0
	v_min3_f16 v101, v101, v99, v100
	v_dual_mov_b32 v99, 0 :: v_dual_mov_b32 v100, 0
	global_store_b16 v[102:103], v101, off
	s_cbranch_vccnz .LBB227_72
; %bb.71:
	v_add_co_u32 v100, vcc_lo, v46, v36
	v_add_co_ci_u32_e32 v101, vcc_lo, v47, v37, vcc_lo
	flat_load_u16 v100, v[100:101]
	s_waitcnt vmcnt(0) lgkmcnt(0)
	v_mul_f16_e32 v100, s15, v100
.LBB227_72:
	v_pk_add_f16 v101, v2, v20
	v_pk_max_f16 v98, v98, v98
	v_pk_add_f16 v102, v3, v21
	s_delay_alu instid0(VALU_DEP_2) | instskip(NEXT) | instid1(VALU_DEP_1)
	v_pk_min_f16 v98, v98, v101
	v_pk_min_f16 v98, v98, v102
	s_delay_alu instid0(VALU_DEP_1) | instskip(NEXT) | instid1(VALU_DEP_1)
	v_lshrrev_b32_e32 v101, 16, v98
	v_min3_f16 v98, v100, v98, v101
	v_add_co_u32 v100, vcc_lo, v104, v36
	v_add_co_ci_u32_e32 v101, vcc_lo, v105, v37, vcc_lo
	s_and_b32 vcc_lo, exec_lo, s0
	global_store_b16 v[100:101], v98, off
	s_cbranch_vccnz .LBB227_74
; %bb.73:
	v_add_co_u32 v46, vcc_lo, v46, v44
	v_add_co_ci_u32_e32 v47, vcc_lo, v47, v45, vcc_lo
	flat_load_u16 v46, v[46:47]
	s_waitcnt vmcnt(0) lgkmcnt(0)
	v_mul_f16_e32 v99, s15, v46
.LBB227_74:
	v_add_nc_u32_e32 v46, 64, v86
	v_pk_add_f16 v20, v24, v20
	v_pk_max_f16 v47, v97, v97
	v_pk_add_f16 v21, v25, v21
	v_add_co_u32 v100, vcc_lo, v104, v44
	v_mad_i64_i32 v[97:98], null, v46, s4, 0
	s_delay_alu instid0(VALU_DEP_4) | instskip(SKIP_1) | instid1(VALU_DEP_2)
	v_pk_min_f16 v20, v47, v20
	v_add_co_ci_u32_e32 v101, vcc_lo, v105, v45, vcc_lo
	v_pk_min_f16 v47, v20, v21
	s_delay_alu instid0(VALU_DEP_4) | instskip(SKIP_1) | instid1(VALU_DEP_3)
	v_lshlrev_b64 v[20:21], 1, v[97:98]
	v_mov_b32_e32 v98, 0
	v_lshrrev_b32_e32 v97, 16, v47
	s_delay_alu instid0(VALU_DEP_3) | instskip(NEXT) | instid1(VALU_DEP_4)
	v_add_co_u32 v20, vcc_lo, s8, v20
	v_add_co_ci_u32_e32 v21, vcc_lo, s9, v21, vcc_lo
	s_delay_alu instid0(VALU_DEP_3)
	v_min3_f16 v47, v99, v47, v97
	v_mov_b32_e32 v97, 0
	s_and_b32 vcc_lo, exec_lo, s0
	global_store_b16 v[100:101], v47, off
	s_cbranch_vccnz .LBB227_76
; %bb.75:
	v_add_co_u32 v98, vcc_lo, v20, v30
	v_add_co_ci_u32_e32 v99, vcc_lo, v21, v31, vcc_lo
	flat_load_u16 v47, v[98:99]
	s_waitcnt vmcnt(0) lgkmcnt(0)
	v_mul_f16_e32 v98, s15, v47
.LBB227_76:
	v_pk_add_f16 v47, v28, v22
	v_pk_max_f16 v96, v96, v96
	v_mad_i64_i32 v[99:100], null, v46, s3, 0
	v_pk_add_f16 v46, v29, v23
	s_delay_alu instid0(VALU_DEP_3) | instskip(NEXT) | instid1(VALU_DEP_1)
	v_pk_min_f16 v47, v96, v47
	v_pk_min_f16 v96, v47, v46
	s_delay_alu instid0(VALU_DEP_4) | instskip(NEXT) | instid1(VALU_DEP_2)
	v_lshlrev_b64 v[46:47], 1, v[99:100]
	v_lshrrev_b32_e32 v99, 16, v96
	s_delay_alu instid0(VALU_DEP_2) | instskip(NEXT) | instid1(VALU_DEP_3)
	v_add_co_u32 v46, vcc_lo, s1, v46
	v_add_co_ci_u32_e32 v47, vcc_lo, s5, v47, vcc_lo
	s_delay_alu instid0(VALU_DEP_3) | instskip(NEXT) | instid1(VALU_DEP_3)
	v_min3_f16 v96, v98, v96, v99
	v_add_co_u32 v98, vcc_lo, v46, v30
	s_delay_alu instid0(VALU_DEP_3)
	v_add_co_ci_u32_e32 v99, vcc_lo, v47, v31, vcc_lo
	s_and_b32 vcc_lo, exec_lo, s0
	global_store_b16 v[98:99], v96, off
	s_cbranch_vccnz .LBB227_78
; %bb.77:
	v_add_co_u32 v96, vcc_lo, v20, v32
	v_add_co_ci_u32_e32 v97, vcc_lo, v21, v33, vcc_lo
	flat_load_u16 v96, v[96:97]
	s_waitcnt vmcnt(0) lgkmcnt(0)
	v_mul_f16_e32 v97, s15, v96
.LBB227_78:
	v_pk_add_f16 v96, v8, v22
	v_pk_max_f16 v95, v95, v95
	v_pk_add_f16 v98, v9, v23
	s_delay_alu instid0(VALU_DEP_2) | instskip(NEXT) | instid1(VALU_DEP_1)
	v_pk_min_f16 v95, v95, v96
	v_pk_min_f16 v95, v95, v98
	v_add_co_u32 v98, vcc_lo, v46, v32
	v_add_co_ci_u32_e32 v99, vcc_lo, v47, v33, vcc_lo
	s_delay_alu instid0(VALU_DEP_3) | instskip(SKIP_1) | instid1(VALU_DEP_1)
	v_lshrrev_b32_e32 v96, 16, v95
	s_and_b32 vcc_lo, exec_lo, s0
	v_min3_f16 v97, v97, v95, v96
	v_dual_mov_b32 v95, 0 :: v_dual_mov_b32 v96, 0
	global_store_b16 v[98:99], v97, off
	s_cbranch_vccnz .LBB227_80
; %bb.79:
	v_add_co_u32 v96, vcc_lo, v20, v34
	v_add_co_ci_u32_e32 v97, vcc_lo, v21, v35, vcc_lo
	flat_load_u16 v96, v[96:97]
	s_waitcnt vmcnt(0) lgkmcnt(0)
	v_mul_f16_e32 v96, s15, v96
.LBB227_80:
	v_pk_add_f16 v97, v10, v22
	v_pk_max_f16 v94, v94, v94
	v_pk_add_f16 v98, v11, v23
	s_delay_alu instid0(VALU_DEP_2) | instskip(NEXT) | instid1(VALU_DEP_1)
	v_pk_min_f16 v94, v94, v97
	v_pk_min_f16 v94, v94, v98
	s_delay_alu instid0(VALU_DEP_1) | instskip(NEXT) | instid1(VALU_DEP_1)
	v_lshrrev_b32_e32 v97, 16, v94
	v_min3_f16 v94, v96, v94, v97
	v_add_co_u32 v96, vcc_lo, v46, v34
	v_add_co_ci_u32_e32 v97, vcc_lo, v47, v35, vcc_lo
	s_and_b32 vcc_lo, exec_lo, s0
	global_store_b16 v[96:97], v94, off
	s_cbranch_vccnz .LBB227_82
; %bb.81:
	v_add_co_u32 v94, vcc_lo, v20, v40
	v_add_co_ci_u32_e32 v95, vcc_lo, v21, v41, vcc_lo
	flat_load_u16 v94, v[94:95]
	s_waitcnt vmcnt(0) lgkmcnt(0)
	v_mul_f16_e32 v95, s15, v94
.LBB227_82:
	v_pk_add_f16 v94, v4, v22
	v_pk_max_f16 v93, v93, v93
	v_pk_add_f16 v96, v5, v23
	s_delay_alu instid0(VALU_DEP_2) | instskip(NEXT) | instid1(VALU_DEP_1)
	v_pk_min_f16 v93, v93, v94
	v_pk_min_f16 v93, v93, v96
	v_add_co_u32 v96, vcc_lo, v46, v40
	v_add_co_ci_u32_e32 v97, vcc_lo, v47, v41, vcc_lo
	s_delay_alu instid0(VALU_DEP_3) | instskip(SKIP_1) | instid1(VALU_DEP_1)
	v_lshrrev_b32_e32 v94, 16, v93
	s_and_b32 vcc_lo, exec_lo, s0
	v_min3_f16 v95, v95, v93, v94
	v_dual_mov_b32 v93, 0 :: v_dual_mov_b32 v94, 0
	global_store_b16 v[96:97], v95, off
	s_cbranch_vccnz .LBB227_84
; %bb.83:
	v_add_co_u32 v94, vcc_lo, v20, v42
	v_add_co_ci_u32_e32 v95, vcc_lo, v21, v43, vcc_lo
	flat_load_u16 v94, v[94:95]
	s_waitcnt vmcnt(0) lgkmcnt(0)
	v_mul_f16_e32 v94, s15, v94
.LBB227_84:
	v_pk_add_f16 v95, v6, v22
	v_pk_max_f16 v92, v92, v92
	v_pk_add_f16 v96, v7, v23
	s_delay_alu instid0(VALU_DEP_2) | instskip(NEXT) | instid1(VALU_DEP_1)
	v_pk_min_f16 v92, v92, v95
	v_pk_min_f16 v92, v92, v96
	s_delay_alu instid0(VALU_DEP_1) | instskip(NEXT) | instid1(VALU_DEP_1)
	v_lshrrev_b32_e32 v95, 16, v92
	v_min3_f16 v92, v94, v92, v95
	v_add_co_u32 v94, vcc_lo, v46, v42
	;; [unrolled: 43-line block ×3, first 2 shown]
	v_add_co_ci_u32_e32 v93, vcc_lo, v47, v37, vcc_lo
	s_and_b32 vcc_lo, exec_lo, s0
	global_store_b16 v[92:93], v90, off
	s_cbranch_vccnz .LBB227_90
; %bb.89:
	v_add_co_u32 v20, vcc_lo, v20, v44
	v_add_co_ci_u32_e32 v21, vcc_lo, v21, v45, vcc_lo
	flat_load_u16 v20, v[20:21]
	s_waitcnt vmcnt(0) lgkmcnt(0)
	v_mul_f16_e32 v91, s15, v20
.LBB227_90:
	v_pk_add_f16 v22, v24, v22
	v_pk_max_f16 v89, v89, v89
	v_pk_add_f16 v23, v25, v23
	v_add_nc_u32_e32 v90, 0x60, v86
	s_delay_alu instid0(VALU_DEP_3) | instskip(NEXT) | instid1(VALU_DEP_1)
	v_pk_min_f16 v22, v89, v22
	v_pk_min_f16 v89, v22, v23
	v_add_co_u32 v22, vcc_lo, v46, v44
	v_add_co_ci_u32_e32 v23, vcc_lo, v47, v45, vcc_lo
	v_mov_b32_e32 v47, 0
	v_mad_i64_i32 v[20:21], null, v90, s4, 0
	v_lshrrev_b32_e32 v46, 16, v89
	s_delay_alu instid0(VALU_DEP_1) | instskip(NEXT) | instid1(VALU_DEP_3)
	v_min3_f16 v89, v91, v89, v46
	v_lshlrev_b64 v[20:21], 1, v[20:21]
	v_mov_b32_e32 v46, 0
	global_store_b16 v[22:23], v89, off
	v_add_co_u32 v20, vcc_lo, s8, v20
	v_add_co_ci_u32_e32 v21, vcc_lo, s9, v21, vcc_lo
	s_and_b32 vcc_lo, exec_lo, s0
	s_cbranch_vccnz .LBB227_92
; %bb.91:
	s_delay_alu instid0(VALU_DEP_2) | instskip(NEXT) | instid1(VALU_DEP_2)
	v_add_co_u32 v22, vcc_lo, v20, v30
	v_add_co_ci_u32_e32 v23, vcc_lo, v21, v31, vcc_lo
	flat_load_u16 v22, v[22:23]
	s_waitcnt vmcnt(0) lgkmcnt(0)
	v_mul_f16_e32 v47, s15, v22
.LBB227_92:
	v_pk_add_f16 v89, v28, v16
	v_pk_max_f16 v88, v88, v88
	v_mad_i64_i32 v[22:23], null, v90, s3, 0
	v_pk_add_f16 v90, v29, v17
	s_delay_alu instid0(VALU_DEP_3) | instskip(NEXT) | instid1(VALU_DEP_3)
	v_pk_min_f16 v88, v88, v89
	v_lshlrev_b64 v[22:23], 1, v[22:23]
	s_delay_alu instid0(VALU_DEP_2) | instskip(NEXT) | instid1(VALU_DEP_2)
	v_pk_min_f16 v88, v88, v90
	v_add_co_u32 v22, vcc_lo, s1, v22
	s_delay_alu instid0(VALU_DEP_2) | instskip(NEXT) | instid1(VALU_DEP_4)
	v_lshrrev_b32_e32 v89, 16, v88
	v_add_co_ci_u32_e32 v23, vcc_lo, s5, v23, vcc_lo
	s_delay_alu instid0(VALU_DEP_2) | instskip(NEXT) | instid1(VALU_DEP_4)
	v_min3_f16 v47, v47, v88, v89
	v_add_co_u32 v88, vcc_lo, v22, v30
	s_delay_alu instid0(VALU_DEP_3)
	v_add_co_ci_u32_e32 v89, vcc_lo, v23, v31, vcc_lo
	s_and_b32 vcc_lo, exec_lo, s0
	global_store_b16 v[88:89], v47, off
	s_cbranch_vccnz .LBB227_94
; %bb.93:
	v_add_co_u32 v46, vcc_lo, v20, v32
	v_add_co_ci_u32_e32 v47, vcc_lo, v21, v33, vcc_lo
	flat_load_u16 v46, v[46:47]
	s_waitcnt vmcnt(0) lgkmcnt(0)
	v_mul_f16_e32 v46, s15, v46
.LBB227_94:
	v_pk_add_f16 v47, v8, v16
	v_pk_max_f16 v87, v87, v87
	v_pk_add_f16 v88, v9, v17
	s_delay_alu instid0(VALU_DEP_2) | instskip(SKIP_1) | instid1(VALU_DEP_2)
	v_pk_min_f16 v47, v87, v47
	v_add_co_u32 v87, vcc_lo, v22, v32
	v_pk_min_f16 v47, v47, v88
	v_add_co_ci_u32_e32 v88, vcc_lo, v23, v33, vcc_lo
	s_and_b32 vcc_lo, exec_lo, s0
	s_delay_alu instid0(VALU_DEP_2) | instskip(NEXT) | instid1(VALU_DEP_1)
	v_lshrrev_b32_e32 v89, 16, v47
	v_min3_f16 v89, v46, v47, v89
	v_dual_mov_b32 v46, 0 :: v_dual_mov_b32 v47, 0
	global_store_b16 v[87:88], v89, off
	s_cbranch_vccnz .LBB227_96
; %bb.95:
	v_add_co_u32 v87, vcc_lo, v20, v34
	v_add_co_ci_u32_e32 v88, vcc_lo, v21, v35, vcc_lo
	flat_load_u16 v47, v[87:88]
	s_waitcnt vmcnt(0) lgkmcnt(0)
	v_mul_f16_e32 v47, s15, v47
.LBB227_96:
	v_pk_add_f16 v87, v10, v16
	v_pk_max_f16 v85, v85, v85
	v_pk_add_f16 v88, v11, v17
	s_delay_alu instid0(VALU_DEP_2) | instskip(NEXT) | instid1(VALU_DEP_1)
	v_pk_min_f16 v85, v85, v87
	v_pk_min_f16 v85, v85, v88
	s_delay_alu instid0(VALU_DEP_1) | instskip(NEXT) | instid1(VALU_DEP_1)
	v_lshrrev_b32_e32 v87, 16, v85
	v_min3_f16 v47, v47, v85, v87
	v_add_co_u32 v87, vcc_lo, v22, v34
	v_add_co_ci_u32_e32 v88, vcc_lo, v23, v35, vcc_lo
	s_and_b32 vcc_lo, exec_lo, s0
	global_store_b16 v[87:88], v47, off
	s_cbranch_vccnz .LBB227_98
; %bb.97:
	v_add_co_u32 v46, vcc_lo, v20, v40
	v_add_co_ci_u32_e32 v47, vcc_lo, v21, v41, vcc_lo
	flat_load_u16 v46, v[46:47]
	s_waitcnt vmcnt(0) lgkmcnt(0)
	v_mul_f16_e32 v46, s15, v46
.LBB227_98:
	v_pk_add_f16 v47, v4, v16
	v_pk_max_f16 v84, v84, v84
	v_pk_add_f16 v85, v5, v17
	s_delay_alu instid0(VALU_DEP_2) | instskip(SKIP_1) | instid1(VALU_DEP_2)
	v_pk_min_f16 v47, v84, v47
	v_add_co_u32 v84, vcc_lo, v22, v40
	v_pk_min_f16 v47, v47, v85
	v_add_co_ci_u32_e32 v85, vcc_lo, v23, v41, vcc_lo
	s_and_b32 vcc_lo, exec_lo, s0
	s_delay_alu instid0(VALU_DEP_2) | instskip(NEXT) | instid1(VALU_DEP_1)
	v_lshrrev_b32_e32 v87, 16, v47
	v_min3_f16 v87, v46, v47, v87
	v_dual_mov_b32 v46, 0 :: v_dual_mov_b32 v47, 0
	global_store_b16 v[84:85], v87, off
	s_cbranch_vccnz .LBB227_100
; %bb.99:
	v_add_co_u32 v84, vcc_lo, v20, v42
	v_add_co_ci_u32_e32 v85, vcc_lo, v21, v43, vcc_lo
	flat_load_u16 v47, v[84:85]
	s_waitcnt vmcnt(0) lgkmcnt(0)
	v_mul_f16_e32 v47, s15, v47
.LBB227_100:
	v_pk_add_f16 v84, v6, v16
	v_pk_max_f16 v83, v83, v83
	v_pk_add_f16 v85, v7, v17
	s_delay_alu instid0(VALU_DEP_2) | instskip(NEXT) | instid1(VALU_DEP_1)
	v_pk_min_f16 v83, v83, v84
	v_pk_min_f16 v83, v83, v85
	s_delay_alu instid0(VALU_DEP_1) | instskip(NEXT) | instid1(VALU_DEP_1)
	v_lshrrev_b32_e32 v84, 16, v83
	v_min3_f16 v47, v47, v83, v84
	v_add_co_u32 v83, vcc_lo, v22, v42
	;; [unrolled: 43-line block ×3, first 2 shown]
	v_add_co_ci_u32_e32 v82, vcc_lo, v23, v37, vcc_lo
	s_and_b32 vcc_lo, exec_lo, s0
	global_store_b16 v[81:82], v47, off
	s_cbranch_vccnz .LBB227_106
; %bb.105:
	v_add_co_u32 v20, vcc_lo, v20, v44
	v_add_co_ci_u32_e32 v21, vcc_lo, v21, v45, vcc_lo
	flat_load_u16 v20, v[20:21]
	s_waitcnt vmcnt(0) lgkmcnt(0)
	v_mul_f16_e32 v46, s15, v20
.LBB227_106:
	v_add_nc_u32_e32 v20, 0x80, v86
	v_pk_add_f16 v16, v24, v16
	v_pk_max_f16 v21, v80, v80
	v_pk_add_f16 v17, v25, v17
	s_delay_alu instid0(VALU_DEP_4) | instskip(NEXT) | instid1(VALU_DEP_3)
	v_mad_i64_i32 v[80:81], null, v20, s4, 0
	v_pk_min_f16 v16, v21, v16
	s_delay_alu instid0(VALU_DEP_1) | instskip(NEXT) | instid1(VALU_DEP_3)
	v_pk_min_f16 v21, v16, v17
	v_lshlrev_b64 v[16:17], 1, v[80:81]
	v_add_co_u32 v80, vcc_lo, v22, v44
	v_add_co_ci_u32_e32 v81, vcc_lo, v23, v45, vcc_lo
	v_mov_b32_e32 v23, 0
	v_lshrrev_b32_e32 v22, 16, v21
	v_add_co_u32 v16, vcc_lo, s8, v16
	v_add_co_ci_u32_e32 v17, vcc_lo, s9, v17, vcc_lo
	s_delay_alu instid0(VALU_DEP_3)
	v_min3_f16 v21, v46, v21, v22
	v_mov_b32_e32 v22, 0
	s_and_b32 vcc_lo, exec_lo, s0
	global_store_b16 v[80:81], v21, off
	s_cbranch_vccnz .LBB227_108
; %bb.107:
	v_add_co_u32 v46, vcc_lo, v16, v30
	v_add_co_ci_u32_e32 v47, vcc_lo, v17, v31, vcc_lo
	flat_load_u16 v21, v[46:47]
	s_waitcnt vmcnt(0) lgkmcnt(0)
	v_mul_f16_e32 v23, s15, v21
.LBB227_108:
	v_pk_add_f16 v21, v28, v18
	v_pk_max_f16 v79, v79, v79
	v_mad_i64_i32 v[46:47], null, v20, s3, 0
	v_pk_add_f16 v20, v29, v19
	s_delay_alu instid0(VALU_DEP_3) | instskip(NEXT) | instid1(VALU_DEP_1)
	v_pk_min_f16 v21, v79, v21
	v_pk_min_f16 v79, v21, v20
	s_delay_alu instid0(VALU_DEP_4) | instskip(NEXT) | instid1(VALU_DEP_2)
	v_lshlrev_b64 v[20:21], 1, v[46:47]
	v_lshrrev_b32_e32 v46, 16, v79
	s_delay_alu instid0(VALU_DEP_2) | instskip(NEXT) | instid1(VALU_DEP_3)
	v_add_co_u32 v20, vcc_lo, s1, v20
	v_add_co_ci_u32_e32 v21, vcc_lo, s5, v21, vcc_lo
	s_delay_alu instid0(VALU_DEP_3) | instskip(NEXT) | instid1(VALU_DEP_3)
	v_min3_f16 v23, v23, v79, v46
	v_add_co_u32 v46, vcc_lo, v20, v30
	s_delay_alu instid0(VALU_DEP_3)
	v_add_co_ci_u32_e32 v47, vcc_lo, v21, v31, vcc_lo
	s_and_b32 vcc_lo, exec_lo, s0
	global_store_b16 v[46:47], v23, off
	s_cbranch_vccnz .LBB227_110
; %bb.109:
	v_add_co_u32 v22, vcc_lo, v16, v32
	v_add_co_ci_u32_e32 v23, vcc_lo, v17, v33, vcc_lo
	flat_load_u16 v22, v[22:23]
	s_waitcnt vmcnt(0) lgkmcnt(0)
	v_mul_f16_e32 v22, s15, v22
.LBB227_110:
	v_pk_add_f16 v23, v8, v18
	v_pk_max_f16 v46, v78, v78
	v_pk_add_f16 v47, v9, v19
	s_delay_alu instid0(VALU_DEP_2) | instskip(SKIP_1) | instid1(VALU_DEP_2)
	v_pk_min_f16 v23, v46, v23
	v_add_co_u32 v46, vcc_lo, v20, v32
	v_pk_min_f16 v23, v23, v47
	v_add_co_ci_u32_e32 v47, vcc_lo, v21, v33, vcc_lo
	s_and_b32 vcc_lo, exec_lo, s0
	s_delay_alu instid0(VALU_DEP_2) | instskip(NEXT) | instid1(VALU_DEP_1)
	v_lshrrev_b32_e32 v78, 16, v23
	v_min3_f16 v78, v22, v23, v78
	v_dual_mov_b32 v22, 0 :: v_dual_mov_b32 v23, 0
	global_store_b16 v[46:47], v78, off
	s_cbranch_vccnz .LBB227_112
; %bb.111:
	v_add_co_u32 v46, vcc_lo, v16, v34
	v_add_co_ci_u32_e32 v47, vcc_lo, v17, v35, vcc_lo
	flat_load_u16 v23, v[46:47]
	s_waitcnt vmcnt(0) lgkmcnt(0)
	v_mul_f16_e32 v23, s15, v23
.LBB227_112:
	v_pk_add_f16 v46, v10, v18
	v_pk_max_f16 v47, v77, v77
	v_pk_add_f16 v77, v11, v19
	s_delay_alu instid0(VALU_DEP_2) | instskip(NEXT) | instid1(VALU_DEP_1)
	v_pk_min_f16 v46, v47, v46
	v_pk_min_f16 v46, v46, v77
	s_delay_alu instid0(VALU_DEP_1) | instskip(NEXT) | instid1(VALU_DEP_1)
	v_lshrrev_b32_e32 v47, 16, v46
	v_min3_f16 v23, v23, v46, v47
	v_add_co_u32 v46, vcc_lo, v20, v34
	v_add_co_ci_u32_e32 v47, vcc_lo, v21, v35, vcc_lo
	s_and_b32 vcc_lo, exec_lo, s0
	global_store_b16 v[46:47], v23, off
	s_cbranch_vccnz .LBB227_114
; %bb.113:
	v_add_co_u32 v22, vcc_lo, v16, v40
	v_add_co_ci_u32_e32 v23, vcc_lo, v17, v41, vcc_lo
	flat_load_u16 v22, v[22:23]
	s_waitcnt vmcnt(0) lgkmcnt(0)
	v_mul_f16_e32 v22, s15, v22
.LBB227_114:
	v_pk_add_f16 v23, v4, v18
	v_pk_max_f16 v46, v76, v76
	v_pk_add_f16 v47, v5, v19
	s_delay_alu instid0(VALU_DEP_2) | instskip(SKIP_1) | instid1(VALU_DEP_2)
	v_pk_min_f16 v23, v46, v23
	v_add_co_u32 v46, vcc_lo, v20, v40
	v_pk_min_f16 v23, v23, v47
	v_add_co_ci_u32_e32 v47, vcc_lo, v21, v41, vcc_lo
	s_and_b32 vcc_lo, exec_lo, s0
	s_delay_alu instid0(VALU_DEP_2) | instskip(NEXT) | instid1(VALU_DEP_1)
	v_lshrrev_b32_e32 v76, 16, v23
	v_min3_f16 v76, v22, v23, v76
	v_dual_mov_b32 v22, 0 :: v_dual_mov_b32 v23, 0
	global_store_b16 v[46:47], v76, off
	s_cbranch_vccnz .LBB227_116
; %bb.115:
	v_add_co_u32 v46, vcc_lo, v16, v42
	v_add_co_ci_u32_e32 v47, vcc_lo, v17, v43, vcc_lo
	flat_load_u16 v23, v[46:47]
	s_waitcnt vmcnt(0) lgkmcnt(0)
	v_mul_f16_e32 v23, s15, v23
.LBB227_116:
	v_pk_add_f16 v46, v6, v18
	v_pk_max_f16 v47, v75, v75
	v_pk_add_f16 v75, v7, v19
	s_delay_alu instid0(VALU_DEP_2) | instskip(NEXT) | instid1(VALU_DEP_1)
	v_pk_min_f16 v46, v47, v46
	v_pk_min_f16 v46, v46, v75
	s_delay_alu instid0(VALU_DEP_1) | instskip(NEXT) | instid1(VALU_DEP_1)
	v_lshrrev_b32_e32 v47, 16, v46
	v_min3_f16 v23, v23, v46, v47
	v_add_co_u32 v46, vcc_lo, v20, v42
	;; [unrolled: 43-line block ×3, first 2 shown]
	v_add_co_ci_u32_e32 v47, vcc_lo, v21, v37, vcc_lo
	s_and_b32 vcc_lo, exec_lo, s0
	global_store_b16 v[46:47], v23, off
	s_cbranch_vccnz .LBB227_122
; %bb.121:
	v_add_co_u32 v16, vcc_lo, v16, v44
	v_add_co_ci_u32_e32 v17, vcc_lo, v17, v45, vcc_lo
	flat_load_u16 v16, v[16:17]
	s_waitcnt vmcnt(0) lgkmcnt(0)
	v_mul_f16_e32 v22, s15, v16
.LBB227_122:
	v_pk_add_f16 v18, v24, v18
	v_pk_max_f16 v46, v72, v72
	v_pk_add_f16 v19, v25, v19
	v_add_nc_u32_e32 v23, 0xa0, v86
	s_delay_alu instid0(VALU_DEP_3) | instskip(NEXT) | instid1(VALU_DEP_1)
	v_pk_min_f16 v18, v46, v18
	v_pk_min_f16 v46, v18, v19
	v_add_co_u32 v18, vcc_lo, v20, v44
	v_add_co_ci_u32_e32 v19, vcc_lo, v21, v45, vcc_lo
	s_delay_alu instid0(VALU_DEP_3) | instskip(SKIP_1) | instid1(VALU_DEP_2)
	v_lshrrev_b32_e32 v20, 16, v46
	v_mov_b32_e32 v21, 0
	v_min3_f16 v22, v22, v46, v20
	v_mov_b32_e32 v20, 0
	v_mad_i64_i32 v[16:17], null, v23, s4, 0
	global_store_b16 v[18:19], v22, off
	v_lshlrev_b64 v[16:17], 1, v[16:17]
	s_delay_alu instid0(VALU_DEP_1) | instskip(NEXT) | instid1(VALU_DEP_2)
	v_add_co_u32 v16, vcc_lo, s8, v16
	v_add_co_ci_u32_e32 v17, vcc_lo, s9, v17, vcc_lo
	s_and_b32 vcc_lo, exec_lo, s0
	s_cbranch_vccnz .LBB227_124
; %bb.123:
	s_delay_alu instid0(VALU_DEP_2) | instskip(NEXT) | instid1(VALU_DEP_2)
	v_add_co_u32 v18, vcc_lo, v16, v30
	v_add_co_ci_u32_e32 v19, vcc_lo, v17, v31, vcc_lo
	flat_load_u16 v18, v[18:19]
	s_waitcnt vmcnt(0) lgkmcnt(0)
	v_mul_f16_e32 v21, s15, v18
.LBB227_124:
	v_pk_add_f16 v22, v28, v12
	v_pk_max_f16 v46, v71, v71
	v_mad_i64_i32 v[18:19], null, v23, s3, 0
	v_pk_add_f16 v23, v29, v13
	s_delay_alu instid0(VALU_DEP_3) | instskip(NEXT) | instid1(VALU_DEP_3)
	v_pk_min_f16 v22, v46, v22
	v_lshlrev_b64 v[18:19], 1, v[18:19]
	s_delay_alu instid0(VALU_DEP_2) | instskip(NEXT) | instid1(VALU_DEP_2)
	v_pk_min_f16 v22, v22, v23
	v_add_co_u32 v18, vcc_lo, s1, v18
	s_delay_alu instid0(VALU_DEP_2) | instskip(NEXT) | instid1(VALU_DEP_4)
	v_lshrrev_b32_e32 v23, 16, v22
	v_add_co_ci_u32_e32 v19, vcc_lo, s5, v19, vcc_lo
	s_delay_alu instid0(VALU_DEP_2) | instskip(NEXT) | instid1(VALU_DEP_4)
	v_min3_f16 v23, v21, v22, v23
	v_add_co_u32 v21, vcc_lo, v18, v30
	s_delay_alu instid0(VALU_DEP_3)
	v_add_co_ci_u32_e32 v22, vcc_lo, v19, v31, vcc_lo
	s_and_b32 vcc_lo, exec_lo, s0
	global_store_b16 v[21:22], v23, off
	s_cbranch_vccnz .LBB227_126
; %bb.125:
	v_add_co_u32 v20, vcc_lo, v16, v32
	v_add_co_ci_u32_e32 v21, vcc_lo, v17, v33, vcc_lo
	flat_load_u16 v20, v[20:21]
	s_waitcnt vmcnt(0) lgkmcnt(0)
	v_mul_f16_e32 v20, s15, v20
.LBB227_126:
	v_pk_add_f16 v21, v8, v12
	v_pk_max_f16 v22, v70, v70
	v_pk_add_f16 v23, v9, v13
	s_delay_alu instid0(VALU_DEP_2) | instskip(SKIP_1) | instid1(VALU_DEP_2)
	v_pk_min_f16 v21, v22, v21
	v_add_co_u32 v22, vcc_lo, v18, v32
	v_pk_min_f16 v21, v21, v23
	v_add_co_ci_u32_e32 v23, vcc_lo, v19, v33, vcc_lo
	s_and_b32 vcc_lo, exec_lo, s0
	s_delay_alu instid0(VALU_DEP_2) | instskip(NEXT) | instid1(VALU_DEP_1)
	v_lshrrev_b32_e32 v46, 16, v21
	v_min3_f16 v46, v20, v21, v46
	v_dual_mov_b32 v20, 0 :: v_dual_mov_b32 v21, 0
	global_store_b16 v[22:23], v46, off
	s_cbranch_vccnz .LBB227_128
; %bb.127:
	v_add_co_u32 v21, vcc_lo, v16, v34
	v_add_co_ci_u32_e32 v22, vcc_lo, v17, v35, vcc_lo
	flat_load_u16 v21, v[21:22]
	s_waitcnt vmcnt(0) lgkmcnt(0)
	v_mul_f16_e32 v21, s15, v21
.LBB227_128:
	v_pk_add_f16 v22, v10, v12
	v_pk_max_f16 v23, v69, v69
	v_pk_add_f16 v46, v11, v13
	s_delay_alu instid0(VALU_DEP_2) | instskip(NEXT) | instid1(VALU_DEP_1)
	v_pk_min_f16 v22, v23, v22
	v_pk_min_f16 v22, v22, v46
	s_delay_alu instid0(VALU_DEP_1) | instskip(NEXT) | instid1(VALU_DEP_1)
	v_lshrrev_b32_e32 v23, 16, v22
	v_min3_f16 v23, v21, v22, v23
	v_add_co_u32 v21, vcc_lo, v18, v34
	v_add_co_ci_u32_e32 v22, vcc_lo, v19, v35, vcc_lo
	s_and_b32 vcc_lo, exec_lo, s0
	global_store_b16 v[21:22], v23, off
	s_cbranch_vccnz .LBB227_130
; %bb.129:
	v_add_co_u32 v20, vcc_lo, v16, v40
	v_add_co_ci_u32_e32 v21, vcc_lo, v17, v41, vcc_lo
	flat_load_u16 v20, v[20:21]
	s_waitcnt vmcnt(0) lgkmcnt(0)
	v_mul_f16_e32 v20, s15, v20
.LBB227_130:
	v_pk_add_f16 v21, v4, v12
	v_pk_max_f16 v22, v68, v68
	v_pk_add_f16 v23, v5, v13
	s_delay_alu instid0(VALU_DEP_2) | instskip(SKIP_1) | instid1(VALU_DEP_2)
	v_pk_min_f16 v21, v22, v21
	v_add_co_u32 v22, vcc_lo, v18, v40
	v_pk_min_f16 v21, v21, v23
	v_add_co_ci_u32_e32 v23, vcc_lo, v19, v41, vcc_lo
	s_and_b32 vcc_lo, exec_lo, s0
	s_delay_alu instid0(VALU_DEP_2) | instskip(NEXT) | instid1(VALU_DEP_1)
	v_lshrrev_b32_e32 v46, 16, v21
	v_min3_f16 v46, v20, v21, v46
	v_dual_mov_b32 v20, 0 :: v_dual_mov_b32 v21, 0
	global_store_b16 v[22:23], v46, off
	s_cbranch_vccnz .LBB227_132
; %bb.131:
	v_add_co_u32 v21, vcc_lo, v16, v42
	v_add_co_ci_u32_e32 v22, vcc_lo, v17, v43, vcc_lo
	flat_load_u16 v21, v[21:22]
	s_waitcnt vmcnt(0) lgkmcnt(0)
	v_mul_f16_e32 v21, s15, v21
.LBB227_132:
	v_pk_add_f16 v22, v6, v12
	v_pk_max_f16 v23, v67, v67
	v_pk_add_f16 v46, v7, v13
	s_delay_alu instid0(VALU_DEP_2) | instskip(NEXT) | instid1(VALU_DEP_1)
	v_pk_min_f16 v22, v23, v22
	v_pk_min_f16 v22, v22, v46
	s_delay_alu instid0(VALU_DEP_1) | instskip(NEXT) | instid1(VALU_DEP_1)
	v_lshrrev_b32_e32 v23, 16, v22
	v_min3_f16 v23, v21, v22, v23
	v_add_co_u32 v21, vcc_lo, v18, v42
	v_add_co_ci_u32_e32 v22, vcc_lo, v19, v43, vcc_lo
	s_and_b32 vcc_lo, exec_lo, s0
	global_store_b16 v[21:22], v23, off
	s_cbranch_vccnz .LBB227_134
; %bb.133:
	v_add_co_u32 v20, vcc_lo, v16, v38
	v_add_co_ci_u32_e32 v21, vcc_lo, v17, v39, vcc_lo
	flat_load_u16 v20, v[20:21]
	s_waitcnt vmcnt(0) lgkmcnt(0)
	v_mul_f16_e32 v20, s15, v20
.LBB227_134:
	v_pk_add_f16 v21, v0, v12
	v_pk_max_f16 v22, v66, v66
	v_pk_add_f16 v23, v1, v13
	s_delay_alu instid0(VALU_DEP_2) | instskip(SKIP_1) | instid1(VALU_DEP_2)
	v_pk_min_f16 v21, v22, v21
	v_add_co_u32 v22, vcc_lo, v18, v38
	v_pk_min_f16 v21, v21, v23
	v_add_co_ci_u32_e32 v23, vcc_lo, v19, v39, vcc_lo
	s_and_b32 vcc_lo, exec_lo, s0
	s_delay_alu instid0(VALU_DEP_2) | instskip(NEXT) | instid1(VALU_DEP_1)
	v_lshrrev_b32_e32 v46, 16, v21
	v_min3_f16 v46, v20, v21, v46
	v_dual_mov_b32 v20, 0 :: v_dual_mov_b32 v21, 0
	global_store_b16 v[22:23], v46, off
	s_cbranch_vccnz .LBB227_136
; %bb.135:
	v_add_co_u32 v21, vcc_lo, v16, v36
	v_add_co_ci_u32_e32 v22, vcc_lo, v17, v37, vcc_lo
	flat_load_u16 v21, v[21:22]
	s_waitcnt vmcnt(0) lgkmcnt(0)
	v_mul_f16_e32 v21, s15, v21
.LBB227_136:
	v_pk_add_f16 v22, v2, v12
	v_pk_max_f16 v23, v65, v65
	v_pk_add_f16 v46, v3, v13
	s_delay_alu instid0(VALU_DEP_2) | instskip(NEXT) | instid1(VALU_DEP_1)
	v_pk_min_f16 v22, v23, v22
	v_pk_min_f16 v22, v22, v46
	s_delay_alu instid0(VALU_DEP_1) | instskip(NEXT) | instid1(VALU_DEP_1)
	v_lshrrev_b32_e32 v23, 16, v22
	v_min3_f16 v23, v21, v22, v23
	v_add_co_u32 v21, vcc_lo, v18, v36
	v_add_co_ci_u32_e32 v22, vcc_lo, v19, v37, vcc_lo
	s_and_b32 vcc_lo, exec_lo, s0
	global_store_b16 v[21:22], v23, off
	s_cbranch_vccnz .LBB227_138
; %bb.137:
	v_add_co_u32 v16, vcc_lo, v16, v44
	v_add_co_ci_u32_e32 v17, vcc_lo, v17, v45, vcc_lo
	flat_load_u16 v16, v[16:17]
	s_waitcnt vmcnt(0) lgkmcnt(0)
	v_mul_f16_e32 v20, s15, v16
.LBB227_138:
	v_add_nc_u32_e32 v16, 0xc0, v86
	v_pk_add_f16 v12, v24, v12
	v_pk_max_f16 v17, v64, v64
	v_pk_add_f16 v13, v25, v13
	s_delay_alu instid0(VALU_DEP_4) | instskip(NEXT) | instid1(VALU_DEP_3)
	v_mad_i64_i32 v[21:22], null, v16, s4, 0
	v_pk_min_f16 v12, v17, v12
	s_delay_alu instid0(VALU_DEP_1) | instskip(NEXT) | instid1(VALU_DEP_3)
	v_pk_min_f16 v17, v12, v13
	v_lshlrev_b64 v[12:13], 1, v[21:22]
	v_add_co_u32 v21, vcc_lo, v18, v44
	v_add_co_ci_u32_e32 v22, vcc_lo, v19, v45, vcc_lo
	v_mov_b32_e32 v19, 0
	v_lshrrev_b32_e32 v18, 16, v17
	v_add_co_u32 v12, vcc_lo, s8, v12
	v_add_co_ci_u32_e32 v13, vcc_lo, s9, v13, vcc_lo
	s_delay_alu instid0(VALU_DEP_3)
	v_min3_f16 v17, v20, v17, v18
	v_mov_b32_e32 v18, 0
	s_and_b32 vcc_lo, exec_lo, s0
	global_store_b16 v[21:22], v17, off
	s_cbranch_vccnz .LBB227_140
; %bb.139:
	v_add_co_u32 v19, vcc_lo, v12, v30
	v_add_co_ci_u32_e32 v20, vcc_lo, v13, v31, vcc_lo
	flat_load_u16 v17, v[19:20]
	s_waitcnt vmcnt(0) lgkmcnt(0)
	v_mul_f16_e32 v19, s15, v17
.LBB227_140:
	v_pk_add_f16 v17, v28, v14
	v_pk_max_f16 v22, v63, v63
	v_mad_i64_i32 v[20:21], null, v16, s3, 0
	v_pk_add_f16 v16, v29, v15
	s_delay_alu instid0(VALU_DEP_3) | instskip(NEXT) | instid1(VALU_DEP_1)
	v_pk_min_f16 v17, v22, v17
	v_pk_min_f16 v22, v17, v16
	s_delay_alu instid0(VALU_DEP_4) | instskip(NEXT) | instid1(VALU_DEP_2)
	v_lshlrev_b64 v[16:17], 1, v[20:21]
	v_lshrrev_b32_e32 v20, 16, v22
	s_delay_alu instid0(VALU_DEP_2) | instskip(NEXT) | instid1(VALU_DEP_3)
	v_add_co_u32 v16, vcc_lo, s1, v16
	v_add_co_ci_u32_e32 v17, vcc_lo, s5, v17, vcc_lo
	s_delay_alu instid0(VALU_DEP_3) | instskip(NEXT) | instid1(VALU_DEP_3)
	v_min3_f16 v21, v19, v22, v20
	v_add_co_u32 v19, vcc_lo, v16, v30
	s_delay_alu instid0(VALU_DEP_3)
	v_add_co_ci_u32_e32 v20, vcc_lo, v17, v31, vcc_lo
	s_and_b32 vcc_lo, exec_lo, s0
	global_store_b16 v[19:20], v21, off
	s_cbranch_vccnz .LBB227_142
; %bb.141:
	v_add_co_u32 v18, vcc_lo, v12, v32
	v_add_co_ci_u32_e32 v19, vcc_lo, v13, v33, vcc_lo
	flat_load_u16 v18, v[18:19]
	s_waitcnt vmcnt(0) lgkmcnt(0)
	v_mul_f16_e32 v18, s15, v18
.LBB227_142:
	v_pk_add_f16 v19, v8, v14
	v_pk_max_f16 v20, v62, v62
	v_pk_add_f16 v21, v9, v15
	s_delay_alu instid0(VALU_DEP_2) | instskip(SKIP_1) | instid1(VALU_DEP_2)
	v_pk_min_f16 v19, v20, v19
	v_add_co_u32 v20, vcc_lo, v16, v32
	v_pk_min_f16 v19, v19, v21
	v_add_co_ci_u32_e32 v21, vcc_lo, v17, v33, vcc_lo
	s_and_b32 vcc_lo, exec_lo, s0
	s_delay_alu instid0(VALU_DEP_2) | instskip(NEXT) | instid1(VALU_DEP_1)
	v_lshrrev_b32_e32 v22, 16, v19
	v_min3_f16 v22, v18, v19, v22
	v_dual_mov_b32 v18, 0 :: v_dual_mov_b32 v19, 0
	global_store_b16 v[20:21], v22, off
	s_cbranch_vccnz .LBB227_144
; %bb.143:
	v_add_co_u32 v19, vcc_lo, v12, v34
	v_add_co_ci_u32_e32 v20, vcc_lo, v13, v35, vcc_lo
	flat_load_u16 v19, v[19:20]
	s_waitcnt vmcnt(0) lgkmcnt(0)
	v_mul_f16_e32 v19, s15, v19
.LBB227_144:
	v_pk_add_f16 v20, v10, v14
	v_pk_max_f16 v21, v61, v61
	v_pk_add_f16 v22, v11, v15
	s_delay_alu instid0(VALU_DEP_2) | instskip(NEXT) | instid1(VALU_DEP_1)
	v_pk_min_f16 v20, v21, v20
	v_pk_min_f16 v20, v20, v22
	s_delay_alu instid0(VALU_DEP_1) | instskip(NEXT) | instid1(VALU_DEP_1)
	v_lshrrev_b32_e32 v21, 16, v20
	v_min3_f16 v21, v19, v20, v21
	v_add_co_u32 v19, vcc_lo, v16, v34
	v_add_co_ci_u32_e32 v20, vcc_lo, v17, v35, vcc_lo
	s_and_b32 vcc_lo, exec_lo, s0
	global_store_b16 v[19:20], v21, off
	s_cbranch_vccnz .LBB227_146
; %bb.145:
	v_add_co_u32 v18, vcc_lo, v12, v40
	v_add_co_ci_u32_e32 v19, vcc_lo, v13, v41, vcc_lo
	flat_load_u16 v18, v[18:19]
	s_waitcnt vmcnt(0) lgkmcnt(0)
	v_mul_f16_e32 v18, s15, v18
.LBB227_146:
	v_pk_add_f16 v19, v4, v14
	v_pk_max_f16 v20, v60, v60
	v_pk_add_f16 v21, v5, v15
	s_delay_alu instid0(VALU_DEP_2) | instskip(SKIP_1) | instid1(VALU_DEP_2)
	v_pk_min_f16 v19, v20, v19
	v_add_co_u32 v20, vcc_lo, v16, v40
	v_pk_min_f16 v19, v19, v21
	v_add_co_ci_u32_e32 v21, vcc_lo, v17, v41, vcc_lo
	s_and_b32 vcc_lo, exec_lo, s0
	s_delay_alu instid0(VALU_DEP_2) | instskip(NEXT) | instid1(VALU_DEP_1)
	v_lshrrev_b32_e32 v22, 16, v19
	v_min3_f16 v22, v18, v19, v22
	v_dual_mov_b32 v18, 0 :: v_dual_mov_b32 v19, 0
	global_store_b16 v[20:21], v22, off
	s_cbranch_vccnz .LBB227_148
; %bb.147:
	v_add_co_u32 v19, vcc_lo, v12, v42
	v_add_co_ci_u32_e32 v20, vcc_lo, v13, v43, vcc_lo
	flat_load_u16 v19, v[19:20]
	s_waitcnt vmcnt(0) lgkmcnt(0)
	v_mul_f16_e32 v19, s15, v19
.LBB227_148:
	v_pk_add_f16 v20, v6, v14
	v_pk_max_f16 v21, v59, v59
	v_pk_add_f16 v22, v7, v15
	s_delay_alu instid0(VALU_DEP_2) | instskip(NEXT) | instid1(VALU_DEP_1)
	v_pk_min_f16 v20, v21, v20
	v_pk_min_f16 v20, v20, v22
	s_delay_alu instid0(VALU_DEP_1) | instskip(NEXT) | instid1(VALU_DEP_1)
	v_lshrrev_b32_e32 v21, 16, v20
	v_min3_f16 v21, v19, v20, v21
	v_add_co_u32 v19, vcc_lo, v16, v42
	;; [unrolled: 43-line block ×3, first 2 shown]
	v_add_co_ci_u32_e32 v20, vcc_lo, v17, v37, vcc_lo
	s_and_b32 vcc_lo, exec_lo, s0
	global_store_b16 v[19:20], v21, off
	s_cbranch_vccnz .LBB227_154
; %bb.153:
	v_add_co_u32 v12, vcc_lo, v12, v44
	v_add_co_ci_u32_e32 v13, vcc_lo, v13, v45, vcc_lo
	flat_load_u16 v12, v[12:13]
	s_waitcnt vmcnt(0) lgkmcnt(0)
	v_mul_f16_e32 v18, s15, v12
.LBB227_154:
	v_pk_add_f16 v14, v24, v14
	v_pk_max_f16 v20, v56, v56
	v_pk_add_f16 v15, v25, v15
	v_add_nc_u32_e32 v19, 0xe0, v86
	s_delay_alu instid0(VALU_DEP_3) | instskip(NEXT) | instid1(VALU_DEP_1)
	v_pk_min_f16 v14, v20, v14
	v_pk_min_f16 v20, v14, v15
	v_add_co_u32 v14, vcc_lo, v16, v44
	v_add_co_ci_u32_e32 v15, vcc_lo, v17, v45, vcc_lo
	s_delay_alu instid0(VALU_DEP_3) | instskip(SKIP_1) | instid1(VALU_DEP_2)
	v_lshrrev_b32_e32 v16, 16, v20
	v_mov_b32_e32 v17, 0
	v_min3_f16 v18, v18, v20, v16
	v_mov_b32_e32 v16, 0
	v_mad_i64_i32 v[12:13], null, v19, s4, 0
	global_store_b16 v[14:15], v18, off
	v_lshlrev_b64 v[12:13], 1, v[12:13]
	s_delay_alu instid0(VALU_DEP_1) | instskip(NEXT) | instid1(VALU_DEP_2)
	v_add_co_u32 v12, vcc_lo, s8, v12
	v_add_co_ci_u32_e32 v13, vcc_lo, s9, v13, vcc_lo
	s_and_b32 vcc_lo, exec_lo, s0
	s_cbranch_vccnz .LBB227_156
; %bb.155:
	s_delay_alu instid0(VALU_DEP_2) | instskip(NEXT) | instid1(VALU_DEP_2)
	v_add_co_u32 v14, vcc_lo, v12, v30
	v_add_co_ci_u32_e32 v15, vcc_lo, v13, v31, vcc_lo
	flat_load_u16 v14, v[14:15]
	s_waitcnt vmcnt(0) lgkmcnt(0)
	v_mul_f16_e32 v17, s15, v14
.LBB227_156:
	v_pk_add_f16 v18, v28, v26
	v_pk_max_f16 v20, v55, v55
	v_mad_i64_i32 v[14:15], null, v19, s3, 0
	v_pk_add_f16 v19, v29, v27
	s_delay_alu instid0(VALU_DEP_3) | instskip(NEXT) | instid1(VALU_DEP_3)
	v_pk_min_f16 v18, v20, v18
	v_lshlrev_b64 v[14:15], 1, v[14:15]
	s_delay_alu instid0(VALU_DEP_2) | instskip(NEXT) | instid1(VALU_DEP_2)
	v_pk_min_f16 v18, v18, v19
	v_add_co_u32 v14, vcc_lo, s1, v14
	s_delay_alu instid0(VALU_DEP_2) | instskip(NEXT) | instid1(VALU_DEP_4)
	v_lshrrev_b32_e32 v19, 16, v18
	v_add_co_ci_u32_e32 v15, vcc_lo, s5, v15, vcc_lo
	s_delay_alu instid0(VALU_DEP_2) | instskip(NEXT) | instid1(VALU_DEP_4)
	v_min3_f16 v19, v17, v18, v19
	v_add_co_u32 v17, vcc_lo, v14, v30
	s_delay_alu instid0(VALU_DEP_3)
	v_add_co_ci_u32_e32 v18, vcc_lo, v15, v31, vcc_lo
	s_and_b32 vcc_lo, exec_lo, s0
	global_store_b16 v[17:18], v19, off
	s_cbranch_vccnz .LBB227_158
; %bb.157:
	v_add_co_u32 v16, vcc_lo, v12, v32
	v_add_co_ci_u32_e32 v17, vcc_lo, v13, v33, vcc_lo
	flat_load_u16 v16, v[16:17]
	s_waitcnt vmcnt(0) lgkmcnt(0)
	v_mul_f16_e32 v16, s15, v16
.LBB227_158:
	v_pk_add_f16 v8, v8, v26
	v_pk_max_f16 v17, v54, v54
	v_pk_add_f16 v9, v9, v27
	s_delay_alu instid0(VALU_DEP_2) | instskip(SKIP_2) | instid1(VALU_DEP_3)
	v_pk_min_f16 v8, v17, v8
	v_add_co_u32 v17, vcc_lo, v14, v32
	v_add_co_ci_u32_e32 v18, vcc_lo, v15, v33, vcc_lo
	v_pk_min_f16 v8, v8, v9
	s_and_b32 vcc_lo, exec_lo, s0
	s_delay_alu instid0(VALU_DEP_1) | instskip(NEXT) | instid1(VALU_DEP_1)
	v_lshrrev_b32_e32 v9, 16, v8
	v_min3_f16 v16, v16, v8, v9
	v_dual_mov_b32 v8, 0 :: v_dual_mov_b32 v9, 0
	global_store_b16 v[17:18], v16, off
	s_cbranch_vccnz .LBB227_160
; %bb.159:
	v_add_co_u32 v16, vcc_lo, v12, v34
	v_add_co_ci_u32_e32 v17, vcc_lo, v13, v35, vcc_lo
	flat_load_u16 v9, v[16:17]
	s_waitcnt vmcnt(0) lgkmcnt(0)
	v_mul_f16_e32 v9, s15, v9
.LBB227_160:
	v_pk_add_f16 v10, v10, v26
	v_pk_max_f16 v16, v53, v53
	v_pk_add_f16 v11, v11, v27
	s_delay_alu instid0(VALU_DEP_2) | instskip(NEXT) | instid1(VALU_DEP_1)
	v_pk_min_f16 v10, v16, v10
	v_pk_min_f16 v10, v10, v11
	s_delay_alu instid0(VALU_DEP_1) | instskip(NEXT) | instid1(VALU_DEP_1)
	v_lshrrev_b32_e32 v11, 16, v10
	v_min3_f16 v11, v9, v10, v11
	v_add_co_u32 v9, vcc_lo, v14, v34
	v_add_co_ci_u32_e32 v10, vcc_lo, v15, v35, vcc_lo
	s_and_b32 vcc_lo, exec_lo, s0
	global_store_b16 v[9:10], v11, off
	s_cbranch_vccnz .LBB227_162
; %bb.161:
	v_add_co_u32 v8, vcc_lo, v12, v40
	v_add_co_ci_u32_e32 v9, vcc_lo, v13, v41, vcc_lo
	flat_load_u16 v8, v[8:9]
	s_waitcnt vmcnt(0) lgkmcnt(0)
	v_mul_f16_e32 v8, s15, v8
.LBB227_162:
	v_pk_add_f16 v4, v4, v26
	v_pk_max_f16 v9, v52, v52
	v_pk_add_f16 v5, v5, v27
	s_delay_alu instid0(VALU_DEP_2) | instskip(SKIP_2) | instid1(VALU_DEP_3)
	v_pk_min_f16 v4, v9, v4
	v_add_co_u32 v9, vcc_lo, v14, v40
	v_add_co_ci_u32_e32 v10, vcc_lo, v15, v41, vcc_lo
	v_pk_min_f16 v4, v4, v5
	s_and_b32 vcc_lo, exec_lo, s0
	s_delay_alu instid0(VALU_DEP_1) | instskip(NEXT) | instid1(VALU_DEP_1)
	v_lshrrev_b32_e32 v5, 16, v4
	v_min3_f16 v8, v8, v4, v5
	v_dual_mov_b32 v4, 0 :: v_dual_mov_b32 v5, 0
	global_store_b16 v[9:10], v8, off
	s_cbranch_vccnz .LBB227_164
; %bb.163:
	v_add_co_u32 v8, vcc_lo, v12, v42
	v_add_co_ci_u32_e32 v9, vcc_lo, v13, v43, vcc_lo
	flat_load_u16 v5, v[8:9]
	s_waitcnt vmcnt(0) lgkmcnt(0)
	v_mul_f16_e32 v5, s15, v5
.LBB227_164:
	v_pk_add_f16 v6, v6, v26
	v_pk_max_f16 v8, v51, v51
	v_pk_add_f16 v7, v7, v27
	s_delay_alu instid0(VALU_DEP_2) | instskip(NEXT) | instid1(VALU_DEP_1)
	v_pk_min_f16 v6, v8, v6
	v_pk_min_f16 v6, v6, v7
	s_delay_alu instid0(VALU_DEP_1) | instskip(NEXT) | instid1(VALU_DEP_1)
	v_lshrrev_b32_e32 v7, 16, v6
	v_min3_f16 v7, v5, v6, v7
	v_add_co_u32 v5, vcc_lo, v14, v42
	v_add_co_ci_u32_e32 v6, vcc_lo, v15, v43, vcc_lo
	s_and_b32 vcc_lo, exec_lo, s0
	global_store_b16 v[5:6], v7, off
	s_cbranch_vccnz .LBB227_166
; %bb.165:
	v_add_co_u32 v4, vcc_lo, v12, v38
	v_add_co_ci_u32_e32 v5, vcc_lo, v13, v39, vcc_lo
	flat_load_u16 v4, v[4:5]
	s_waitcnt vmcnt(0) lgkmcnt(0)
	v_mul_f16_e32 v4, s15, v4
.LBB227_166:
	v_pk_add_f16 v0, v0, v26
	v_pk_max_f16 v5, v50, v50
	v_pk_add_f16 v2, v2, v26
	v_pk_max_f16 v6, v49, v49
	v_pk_add_f16 v1, v1, v27
	v_pk_add_f16 v3, v3, v27
	v_pk_min_f16 v0, v5, v0
	s_delay_alu instid0(VALU_DEP_4) | instskip(NEXT) | instid1(VALU_DEP_2)
	v_pk_min_f16 v2, v6, v2
	v_pk_min_f16 v0, v0, v1
	s_delay_alu instid0(VALU_DEP_2) | instskip(NEXT) | instid1(VALU_DEP_2)
	v_pk_min_f16 v1, v2, v3
	v_lshrrev_b32_e32 v2, 16, v0
	s_delay_alu instid0(VALU_DEP_2) | instskip(NEXT) | instid1(VALU_DEP_2)
	v_lshrrev_b32_e32 v3, 16, v1
	v_min3_f16 v4, v4, v0, v2
	s_delay_alu instid0(VALU_DEP_2) | instskip(SKIP_2) | instid1(VALU_DEP_3)
	v_min_f16_e32 v0, v1, v3
	v_add_co_u32 v1, vcc_lo, v14, v38
	v_add_co_ci_u32_e32 v2, vcc_lo, v15, v39, vcc_lo
	v_max_f16_e32 v0, v0, v0
	s_mov_b32 vcc_lo, s2
	global_store_b16 v[1:2], v4, off
	s_cbranch_vccz .LBB227_169
; %bb.167:
	v_add_co_u32 v1, vcc_lo, v14, v36
	v_min_f16_e32 v3, 0, v0
	v_add_co_ci_u32_e32 v2, vcc_lo, v15, v37, vcc_lo
	s_mov_b32 s0, 0
	global_store_b16 v[1:2], v3, off
	s_cbranch_execz .LBB227_170
; %bb.168:
	v_mov_b32_e32 v0, s0
	s_branch .LBB227_171
.LBB227_169:
	s_mov_b32 s0, -1
.LBB227_170:
	v_add_co_u32 v1, vcc_lo, v12, v36
	v_add_co_ci_u32_e32 v2, vcc_lo, v13, v37, vcc_lo
	flat_load_u16 v1, v[1:2]
	s_waitcnt vmcnt(0) lgkmcnt(0)
	v_mul_f16_e32 v3, s15, v1
	v_add_co_u32 v1, vcc_lo, v14, v36
	v_add_co_ci_u32_e32 v2, vcc_lo, v15, v37, vcc_lo
	s_delay_alu instid0(VALU_DEP_3)
	v_min_f16_e32 v0, v3, v0
	v_add_co_u32 v3, vcc_lo, v12, v44
	v_add_co_ci_u32_e32 v4, vcc_lo, v13, v45, vcc_lo
	global_store_b16 v[1:2], v0, off
	flat_load_u16 v0, v[3:4]
	s_waitcnt vmcnt(0) lgkmcnt(0)
	v_mul_f16_e32 v0, s15, v0
.LBB227_171:
	v_pk_add_f16 v1, v24, v26
	v_pk_max_f16 v2, v48, v48
	v_pk_add_f16 v3, v25, v27
	s_delay_alu instid0(VALU_DEP_2) | instskip(NEXT) | instid1(VALU_DEP_1)
	v_pk_min_f16 v1, v2, v1
	v_pk_min_f16 v1, v1, v3
	s_delay_alu instid0(VALU_DEP_1) | instskip(NEXT) | instid1(VALU_DEP_1)
	v_lshrrev_b32_e32 v2, 16, v1
	v_min3_f16 v2, v0, v1, v2
	v_add_co_u32 v0, vcc_lo, v14, v44
	v_add_co_ci_u32_e32 v1, vcc_lo, v15, v45, vcc_lo
	global_store_b16 v[0:1], v2, off
	s_nop 0
	s_sendmsg sendmsg(MSG_DEALLOC_VGPRS)
	s_endpgm
	.section	.rodata,"a",@progbits
	.p2align	6, 0x0
	.amdhsa_kernel _ZN12_GLOBAL__N_120geam_min_plus_kernelIDF16_Dv2_DF16_S1_Li8ELi32ELi64ELi256ELi4ELi4ELi64ELi64ELi4ELc84ELc84ELb0ELb0ELb1EDF16_KPKDF16_KPDF16_EEviiiT16_PT17_ilS9_ilS7_S9_ilPT18_ili26rocblas_geam_ex_operation_
		.amdhsa_group_segment_fixed_size 5120
		.amdhsa_private_segment_fixed_size 0
		.amdhsa_kernarg_size 128
		.amdhsa_user_sgpr_count 14
		.amdhsa_user_sgpr_dispatch_ptr 0
		.amdhsa_user_sgpr_queue_ptr 0
		.amdhsa_user_sgpr_kernarg_segment_ptr 1
		.amdhsa_user_sgpr_dispatch_id 0
		.amdhsa_user_sgpr_private_segment_size 0
		.amdhsa_wavefront_size32 1
		.amdhsa_uses_dynamic_stack 0
		.amdhsa_enable_private_segment 0
		.amdhsa_system_sgpr_workgroup_id_x 1
		.amdhsa_system_sgpr_workgroup_id_y 0
		.amdhsa_system_sgpr_workgroup_id_z 1
		.amdhsa_system_sgpr_workgroup_info 0
		.amdhsa_system_vgpr_workitem_id 1
		.amdhsa_next_free_vgpr 163
		.amdhsa_next_free_sgpr 24
		.amdhsa_reserve_vcc 1
		.amdhsa_float_round_mode_32 0
		.amdhsa_float_round_mode_16_64 0
		.amdhsa_float_denorm_mode_32 3
		.amdhsa_float_denorm_mode_16_64 3
		.amdhsa_dx10_clamp 1
		.amdhsa_ieee_mode 1
		.amdhsa_fp16_overflow 0
		.amdhsa_workgroup_processor_mode 1
		.amdhsa_memory_ordered 1
		.amdhsa_forward_progress 0
		.amdhsa_shared_vgpr_count 0
		.amdhsa_exception_fp_ieee_invalid_op 0
		.amdhsa_exception_fp_denorm_src 0
		.amdhsa_exception_fp_ieee_div_zero 0
		.amdhsa_exception_fp_ieee_overflow 0
		.amdhsa_exception_fp_ieee_underflow 0
		.amdhsa_exception_fp_ieee_inexact 0
		.amdhsa_exception_int_div_zero 0
	.end_amdhsa_kernel
	.section	.text._ZN12_GLOBAL__N_120geam_min_plus_kernelIDF16_Dv2_DF16_S1_Li8ELi32ELi64ELi256ELi4ELi4ELi64ELi64ELi4ELc84ELc84ELb0ELb0ELb1EDF16_KPKDF16_KPDF16_EEviiiT16_PT17_ilS9_ilS7_S9_ilPT18_ili26rocblas_geam_ex_operation_,"axG",@progbits,_ZN12_GLOBAL__N_120geam_min_plus_kernelIDF16_Dv2_DF16_S1_Li8ELi32ELi64ELi256ELi4ELi4ELi64ELi64ELi4ELc84ELc84ELb0ELb0ELb1EDF16_KPKDF16_KPDF16_EEviiiT16_PT17_ilS9_ilS7_S9_ilPT18_ili26rocblas_geam_ex_operation_,comdat
.Lfunc_end227:
	.size	_ZN12_GLOBAL__N_120geam_min_plus_kernelIDF16_Dv2_DF16_S1_Li8ELi32ELi64ELi256ELi4ELi4ELi64ELi64ELi4ELc84ELc84ELb0ELb0ELb1EDF16_KPKDF16_KPDF16_EEviiiT16_PT17_ilS9_ilS7_S9_ilPT18_ili26rocblas_geam_ex_operation_, .Lfunc_end227-_ZN12_GLOBAL__N_120geam_min_plus_kernelIDF16_Dv2_DF16_S1_Li8ELi32ELi64ELi256ELi4ELi4ELi64ELi64ELi4ELc84ELc84ELb0ELb0ELb1EDF16_KPKDF16_KPDF16_EEviiiT16_PT17_ilS9_ilS7_S9_ilPT18_ili26rocblas_geam_ex_operation_
                                        ; -- End function
	.section	.AMDGPU.csdata,"",@progbits
; Kernel info:
; codeLenInByte = 18436
; NumSgprs: 26
; NumVgprs: 163
; ScratchSize: 0
; MemoryBound: 0
; FloatMode: 240
; IeeeMode: 1
; LDSByteSize: 5120 bytes/workgroup (compile time only)
; SGPRBlocks: 3
; VGPRBlocks: 20
; NumSGPRsForWavesPerEU: 26
; NumVGPRsForWavesPerEU: 163
; Occupancy: 9
; WaveLimiterHint : 1
; COMPUTE_PGM_RSRC2:SCRATCH_EN: 0
; COMPUTE_PGM_RSRC2:USER_SGPR: 14
; COMPUTE_PGM_RSRC2:TRAP_HANDLER: 0
; COMPUTE_PGM_RSRC2:TGID_X_EN: 1
; COMPUTE_PGM_RSRC2:TGID_Y_EN: 0
; COMPUTE_PGM_RSRC2:TGID_Z_EN: 1
; COMPUTE_PGM_RSRC2:TIDIG_COMP_CNT: 1
	.section	.text._ZN12_GLOBAL__N_120geam_min_plus_kernelIDF16_Dv2_DF16_S1_Li8ELi32ELi64ELi256ELi4ELi4ELi64ELi64ELi4ELc84ELc84ELb0ELb1ELb1EPKDF16_KS3_KPDF16_EEviiiT16_PT17_ilS9_ilS7_S9_ilPT18_ili26rocblas_geam_ex_operation_,"axG",@progbits,_ZN12_GLOBAL__N_120geam_min_plus_kernelIDF16_Dv2_DF16_S1_Li8ELi32ELi64ELi256ELi4ELi4ELi64ELi64ELi4ELc84ELc84ELb0ELb1ELb1EPKDF16_KS3_KPDF16_EEviiiT16_PT17_ilS9_ilS7_S9_ilPT18_ili26rocblas_geam_ex_operation_,comdat
	.globl	_ZN12_GLOBAL__N_120geam_min_plus_kernelIDF16_Dv2_DF16_S1_Li8ELi32ELi64ELi256ELi4ELi4ELi64ELi64ELi4ELc84ELc84ELb0ELb1ELb1EPKDF16_KS3_KPDF16_EEviiiT16_PT17_ilS9_ilS7_S9_ilPT18_ili26rocblas_geam_ex_operation_ ; -- Begin function _ZN12_GLOBAL__N_120geam_min_plus_kernelIDF16_Dv2_DF16_S1_Li8ELi32ELi64ELi256ELi4ELi4ELi64ELi64ELi4ELc84ELc84ELb0ELb1ELb1EPKDF16_KS3_KPDF16_EEviiiT16_PT17_ilS9_ilS7_S9_ilPT18_ili26rocblas_geam_ex_operation_
	.p2align	8
	.type	_ZN12_GLOBAL__N_120geam_min_plus_kernelIDF16_Dv2_DF16_S1_Li8ELi32ELi64ELi256ELi4ELi4ELi64ELi64ELi4ELc84ELc84ELb0ELb1ELb1EPKDF16_KS3_KPDF16_EEviiiT16_PT17_ilS9_ilS7_S9_ilPT18_ili26rocblas_geam_ex_operation_,@function
_ZN12_GLOBAL__N_120geam_min_plus_kernelIDF16_Dv2_DF16_S1_Li8ELi32ELi64ELi256ELi4ELi4ELi64ELi64ELi4ELc84ELc84ELb0ELb1ELb1EPKDF16_KS3_KPDF16_EEviiiT16_PT17_ilS9_ilS7_S9_ilPT18_ili26rocblas_geam_ex_operation_: ; @_ZN12_GLOBAL__N_120geam_min_plus_kernelIDF16_Dv2_DF16_S1_Li8ELi32ELi64ELi256ELi4ELi4ELi64ELi64ELi4ELc84ELc84ELb0ELb1ELb1EPKDF16_KS3_KPDF16_EEviiiT16_PT17_ilS9_ilS7_S9_ilPT18_ili26rocblas_geam_ex_operation_
; %bb.0:
	s_clause 0x1
	s_load_b128 s[16:19], s[0:1], 0x10
	s_load_b128 s[4:7], s[0:1], 0x40
	s_mov_b32 s12, s15
	s_mov_b32 s13, 0
	v_mov_b32_e32 v1, 0
	s_lshl_b64 s[2:3], s[12:13], 1
	s_load_b128 s[8:11], s[0:1], 0x28
	s_mov_b64 s[20:21], 0
	s_mov_b64 s[22:23], 0
	s_waitcnt lgkmcnt(0)
	s_add_u32 s16, s16, s2
	s_addc_u32 s17, s17, s3
	s_add_u32 s2, s6, s2
	global_load_u16 v44, v1, s[16:17]
	s_addc_u32 s3, s7, s3
	global_load_u16 v48, v1, s[2:3]
	s_load_b64 s[16:17], s[0:1], 0x50
	s_waitcnt vmcnt(1)
	v_cmp_eq_f16_e64 s3, 0, v44
	v_cmp_neq_f16_e64 s2, 0, v44
	s_delay_alu instid0(VALU_DEP_2)
	s_and_b32 vcc_lo, exec_lo, s3
	s_cbranch_vccnz .LBB228_2
; %bb.1:
	s_lshl_b64 s[6:7], s[12:13], 3
	s_delay_alu instid0(SALU_CYCLE_1)
	s_add_u32 s6, s18, s6
	s_addc_u32 s7, s19, s7
	s_lshl_b64 s[8:9], s[8:9], 1
	s_load_b64 s[6:7], s[6:7], 0x0
	s_waitcnt lgkmcnt(0)
	s_add_u32 s22, s6, s8
	s_addc_u32 s23, s7, s9
.LBB228_2:
	s_delay_alu instid0(VALU_DEP_1)
	s_and_not1_b32 vcc_lo, exec_lo, s2
	s_cbranch_vccnz .LBB228_4
; %bb.3:
	s_lshl_b64 s[6:7], s[12:13], 3
	s_delay_alu instid0(SALU_CYCLE_1)
	s_add_u32 s6, s10, s6
	s_addc_u32 s7, s11, s7
	s_lshl_b64 s[4:5], s[4:5], 1
	s_load_b64 s[6:7], s[6:7], 0x0
	s_waitcnt lgkmcnt(0)
	s_add_u32 s20, s6, s4
	s_addc_u32 s21, s7, s5
.LBB228_4:
	s_load_b128 s[4:7], s[0:1], 0x60
	s_waitcnt vmcnt(0)
	v_cmp_eq_f16_e32 vcc_lo, 0, v48
	v_cmp_neq_f16_e64 s2, 0, v48
	s_cbranch_vccnz .LBB228_6
; %bb.5:
	s_lshl_b64 s[8:9], s[12:13], 3
	s_waitcnt lgkmcnt(0)
	s_add_u32 s8, s16, s8
	s_addc_u32 s9, s17, s9
	s_lshl_b64 s[4:5], s[4:5], 1
	s_load_b64 s[8:9], s[8:9], 0x0
	s_waitcnt lgkmcnt(0)
	s_add_u32 s10, s8, s4
	s_addc_u32 s11, s9, s5
	s_branch .LBB228_7
.LBB228_6:
	s_mov_b64 s[10:11], 0
.LBB228_7:
	s_waitcnt lgkmcnt(0)
	s_clause 0x1
	s_load_b128 s[16:19], s[0:1], 0x0
	s_load_b32 s25, s[0:1], 0x20
	s_lshl_b64 s[4:5], s[12:13], 3
	v_and_b32_e32 v42, 0x3ff, v0
	s_add_u32 s6, s6, s4
	s_addc_u32 s7, s7, s5
	v_bfe_u32 v43, v0, 10, 10
	s_delay_alu instid0(VALU_DEP_2) | instskip(NEXT) | instid1(VALU_DEP_2)
	v_and_b32_e32 v45, 3, v42
	v_lshl_add_u32 v0, v43, 3, v42
	s_delay_alu instid0(VALU_DEP_2) | instskip(NEXT) | instid1(VALU_DEP_2)
	v_lshlrev_b32_e32 v8, 1, v45
	v_lshrrev_b32_e32 v15, 2, v0
	s_waitcnt lgkmcnt(0)
	s_add_i32 s8, s16, -1
	s_delay_alu instid0(SALU_CYCLE_1) | instskip(NEXT) | instid1(SALU_CYCLE_1)
	s_ashr_i32 s4, s8, 31
	s_lshr_b32 s4, s4, 26
	s_delay_alu instid0(SALU_CYCLE_1) | instskip(NEXT) | instid1(SALU_CYCLE_1)
	s_add_i32 s4, s8, s4
	s_ashr_i32 s4, s4, 6
	s_delay_alu instid0(SALU_CYCLE_1) | instskip(SKIP_2) | instid1(VALU_DEP_1)
	s_add_i32 s9, s4, 1
	s_not_b32 s4, s4
	v_cvt_f32_u32_e32 v1, s9
	v_rcp_iflag_f32_e32 v1, v1
	s_waitcnt_depctr 0xfff
	v_mul_f32_e32 v1, 0x4f7ffffe, v1
	s_delay_alu instid0(VALU_DEP_1) | instskip(NEXT) | instid1(VALU_DEP_1)
	v_cvt_u32_f32_e32 v1, v1
	v_readfirstlane_b32 s5, v1
	s_delay_alu instid0(VALU_DEP_1) | instskip(NEXT) | instid1(SALU_CYCLE_1)
	s_mul_i32 s4, s4, s5
	s_mul_hi_u32 s4, s5, s4
	s_delay_alu instid0(SALU_CYCLE_1) | instskip(NEXT) | instid1(SALU_CYCLE_1)
	s_add_i32 s5, s5, s4
	s_mul_hi_u32 s4, s14, s5
	s_delay_alu instid0(SALU_CYCLE_1) | instskip(SKIP_2) | instid1(SALU_CYCLE_1)
	s_mul_i32 s5, s4, s9
	s_add_i32 s12, s4, 1
	s_sub_i32 s5, s14, s5
	s_sub_i32 s13, s5, s9
	s_cmp_ge_u32 s5, s9
	s_cselect_b32 s4, s12, s4
	s_cselect_b32 s5, s13, s5
	s_add_i32 s12, s4, 1
	s_cmp_ge_u32 s5, s9
	s_cselect_b32 s5, s12, s4
	s_load_b64 s[12:13], s[6:7], 0x0
	s_mul_i32 s4, s5, s9
	s_delay_alu instid0(SALU_CYCLE_1) | instskip(NEXT) | instid1(SALU_CYCLE_1)
	s_sub_i32 s4, s14, s4
	s_lshl_b32 s15, s4, 6
	v_cmp_le_i32_e64 s4, s18, v45
	v_add_nc_u32_e32 v1, s15, v15
	s_delay_alu instid0(VALU_DEP_1) | instskip(SKIP_1) | instid1(VALU_DEP_4)
	v_cmp_le_i32_e32 vcc_lo, s16, v1
	v_min_i32_e32 v9, s8, v1
	s_or_b32 s4, s4, vcc_lo
	s_delay_alu instid0(SALU_CYCLE_1) | instskip(SKIP_1) | instid1(SALU_CYCLE_1)
	v_cndmask_b32_e64 v16, 0, 0x7c00, s4
	s_or_b32 s4, s3, s4
	s_xor_b32 s4, s4, -1
	s_delay_alu instid0(SALU_CYCLE_1)
	s_and_saveexec_b32 s6, s4
	s_cbranch_execz .LBB228_9
; %bb.8:
	v_mad_i64_i32 v[1:2], null, v9, s25, 0
	s_delay_alu instid0(VALU_DEP_1) | instskip(NEXT) | instid1(VALU_DEP_1)
	v_lshlrev_b64 v[1:2], 1, v[1:2]
	v_add_co_u32 v1, s4, s22, v1
	s_delay_alu instid0(VALU_DEP_1) | instskip(NEXT) | instid1(VALU_DEP_2)
	v_add_co_ci_u32_e64 v2, s4, s23, v2, s4
	v_add_co_u32 v1, s4, v1, v8
	s_delay_alu instid0(VALU_DEP_1)
	v_add_co_ci_u32_e64 v2, s4, 0, v2, s4
	flat_load_u16 v1, v[1:2]
	s_waitcnt vmcnt(0) lgkmcnt(0)
	v_mul_f16_e32 v16, v44, v1
.LBB228_9:
	s_or_b32 exec_lo, exec_lo, s6
	s_load_b32 s14, s[0:1], 0x38
	v_lshrrev_b32_e32 v46, 6, v0
	s_add_i32 s24, s18, -1
	v_and_b32_e32 v17, 63, v0
	s_lshl_b32 s19, s5, 8
	s_delay_alu instid0(VALU_DEP_2) | instskip(SKIP_1) | instid1(VALU_DEP_3)
	v_min_i32_e32 v3, s24, v46
	v_cmp_le_i32_e64 s8, s18, v46
	v_or_b32_e32 v0, s19, v17
	s_delay_alu instid0(VALU_DEP_1) | instskip(NEXT) | instid1(VALU_DEP_1)
	v_cmp_le_i32_e64 s4, s17, v0
	s_or_b32 s6, s4, s8
	s_delay_alu instid0(SALU_CYCLE_1) | instskip(SKIP_2) | instid1(VALU_DEP_1)
	v_cndmask_b32_e64 v18, 0, 0x7c00, s6
	s_waitcnt lgkmcnt(0)
	v_mad_i64_i32 v[1:2], null, s14, v3, 0
	v_lshlrev_b64 v[1:2], 1, v[1:2]
	s_delay_alu instid0(VALU_DEP_1) | instskip(NEXT) | instid1(VALU_DEP_1)
	v_add_co_u32 v10, s5, s20, v1
	v_add_co_ci_u32_e64 v11, s5, s21, v2, s5
	v_ashrrev_i32_e32 v1, 31, v0
	s_or_b32 s5, s3, s6
	s_delay_alu instid0(SALU_CYCLE_1) | instskip(NEXT) | instid1(SALU_CYCLE_1)
	s_xor_b32 s5, s5, -1
	s_and_saveexec_b32 s6, s5
	s_cbranch_execz .LBB228_11
; %bb.10:
	v_lshlrev_b64 v[2:3], 1, v[0:1]
	s_delay_alu instid0(VALU_DEP_1) | instskip(NEXT) | instid1(VALU_DEP_1)
	v_add_co_u32 v2, s5, v10, v2
	v_add_co_ci_u32_e64 v3, s5, v11, v3, s5
	flat_load_u16 v2, v[2:3]
	s_waitcnt vmcnt(0) lgkmcnt(0)
	v_mul_f16_e32 v18, v44, v2
.LBB228_11:
	s_or_b32 exec_lo, exec_lo, s6
	v_or_b32_e32 v2, 64, v0
	s_add_i32 s9, s17, -1
	s_delay_alu instid0(VALU_DEP_1) | instskip(SKIP_1) | instid1(VALU_DEP_2)
	v_cmp_le_i32_e64 s5, s17, v2
	v_min_i32_e32 v2, s9, v2
	s_or_b32 s6, s5, s8
	s_delay_alu instid0(VALU_DEP_1) | instskip(SKIP_2) | instid1(SALU_CYCLE_1)
	v_ashrrev_i32_e32 v3, 31, v2
	v_cndmask_b32_e64 v19, 0, 0x7c00, s6
	s_or_b32 s6, s3, s6
	s_xor_b32 s6, s6, -1
	s_delay_alu instid0(SALU_CYCLE_1)
	s_and_saveexec_b32 s7, s6
	s_cbranch_execz .LBB228_13
; %bb.12:
	v_lshlrev_b64 v[4:5], 1, v[2:3]
	s_delay_alu instid0(VALU_DEP_1) | instskip(NEXT) | instid1(VALU_DEP_1)
	v_add_co_u32 v4, s6, v10, v4
	v_add_co_ci_u32_e64 v5, s6, v11, v5, s6
	flat_load_u16 v4, v[4:5]
	s_waitcnt vmcnt(0) lgkmcnt(0)
	v_mul_f16_e32 v19, v44, v4
.LBB228_13:
	s_or_b32 exec_lo, exec_lo, s7
	v_or_b32_e32 v4, 0x80, v0
	s_delay_alu instid0(VALU_DEP_1) | instskip(SKIP_1) | instid1(VALU_DEP_2)
	v_cmp_le_i32_e64 s6, s17, v4
	v_min_i32_e32 v4, s9, v4
	s_or_b32 s7, s6, s8
	s_delay_alu instid0(VALU_DEP_1) | instskip(SKIP_2) | instid1(SALU_CYCLE_1)
	v_ashrrev_i32_e32 v5, 31, v4
	v_cndmask_b32_e64 v20, 0, 0x7c00, s7
	s_or_b32 s7, s3, s7
	s_xor_b32 s7, s7, -1
	s_delay_alu instid0(SALU_CYCLE_1)
	s_and_saveexec_b32 s26, s7
	s_cbranch_execz .LBB228_15
; %bb.14:
	v_lshlrev_b64 v[6:7], 1, v[4:5]
	s_delay_alu instid0(VALU_DEP_1) | instskip(NEXT) | instid1(VALU_DEP_1)
	v_add_co_u32 v6, s7, v10, v6
	v_add_co_ci_u32_e64 v7, s7, v11, v7, s7
	flat_load_u16 v6, v[6:7]
	s_waitcnt vmcnt(0) lgkmcnt(0)
	v_mul_f16_e32 v20, v44, v6
.LBB228_15:
	s_or_b32 exec_lo, exec_lo, s26
	v_or_b32_e32 v6, 0xc0, v0
	;; [unrolled: 23-line block ×3, first 2 shown]
	s_delay_alu instid0(VALU_DEP_1) | instskip(NEXT) | instid1(VALU_DEP_1)
	v_cmp_le_i32_e64 s8, s18, v10
	s_or_b32 s8, s8, vcc_lo
	s_delay_alu instid0(SALU_CYCLE_1) | instskip(SKIP_1) | instid1(SALU_CYCLE_1)
	v_cndmask_b32_e64 v10, 0, 0x7c00, s8
	s_or_b32 s8, s3, s8
	s_xor_b32 s8, s8, -1
	s_delay_alu instid0(SALU_CYCLE_1)
	s_and_saveexec_b32 s9, s8
	s_cbranch_execz .LBB228_19
; %bb.18:
	v_mad_i64_i32 v[10:11], null, v9, s25, 0
	s_delay_alu instid0(VALU_DEP_1) | instskip(NEXT) | instid1(VALU_DEP_1)
	v_lshlrev_b64 v[10:11], 1, v[10:11]
	v_add_co_u32 v10, s8, s22, v10
	s_delay_alu instid0(VALU_DEP_1) | instskip(NEXT) | instid1(VALU_DEP_2)
	v_add_co_ci_u32_e64 v11, s8, s23, v11, s8
	v_add_co_u32 v10, s8, v10, v8
	s_delay_alu instid0(VALU_DEP_1)
	v_add_co_ci_u32_e64 v11, s8, 0, v11, s8
	flat_load_u16 v10, v[10:11] offset:8
	s_waitcnt vmcnt(0) lgkmcnt(0)
	v_mul_f16_e32 v10, v44, v10
.LBB228_19:
	s_or_b32 exec_lo, exec_lo, s9
	v_add_nc_u32_e32 v13, 4, v46
	s_delay_alu instid0(VALU_DEP_1) | instskip(SKIP_1) | instid1(VALU_DEP_2)
	v_min_i32_e32 v14, s24, v13
	v_cmp_le_i32_e64 s8, s18, v13
	v_mad_i64_i32 v[11:12], null, s14, v14, 0
	s_delay_alu instid0(VALU_DEP_1) | instskip(NEXT) | instid1(VALU_DEP_1)
	v_lshlrev_b64 v[11:12], 1, v[11:12]
	v_add_co_u32 v22, s9, s20, v11
	s_delay_alu instid0(VALU_DEP_1) | instskip(SKIP_1) | instid1(SALU_CYCLE_1)
	v_add_co_ci_u32_e64 v23, s9, s21, v12, s9
	s_or_b32 s9, s4, s8
	v_cndmask_b32_e64 v11, 0, 0x7c00, s9
	s_or_b32 s9, s3, s9
	s_delay_alu instid0(SALU_CYCLE_1) | instskip(NEXT) | instid1(SALU_CYCLE_1)
	s_xor_b32 s9, s9, -1
	s_and_saveexec_b32 s26, s9
	s_cbranch_execz .LBB228_21
; %bb.20:
	v_lshlrev_b64 v[11:12], 1, v[0:1]
	s_delay_alu instid0(VALU_DEP_1) | instskip(NEXT) | instid1(VALU_DEP_1)
	v_add_co_u32 v11, s9, v22, v11
	v_add_co_ci_u32_e64 v12, s9, v23, v12, s9
	flat_load_u16 v11, v[11:12]
	s_waitcnt vmcnt(0) lgkmcnt(0)
	v_mul_f16_e32 v11, v44, v11
.LBB228_21:
	s_or_b32 exec_lo, exec_lo, s26
	s_or_b32 s9, s5, s8
	s_delay_alu instid0(SALU_CYCLE_1) | instskip(SKIP_1) | instid1(SALU_CYCLE_1)
	v_cndmask_b32_e64 v12, 0, 0x7c00, s9
	s_or_b32 s9, s3, s9
	s_xor_b32 s9, s9, -1
	s_delay_alu instid0(SALU_CYCLE_1)
	s_and_saveexec_b32 s26, s9
	s_cbranch_execz .LBB228_23
; %bb.22:
	v_lshlrev_b64 v[12:13], 1, v[2:3]
	s_delay_alu instid0(VALU_DEP_1) | instskip(NEXT) | instid1(VALU_DEP_1)
	v_add_co_u32 v12, s9, v22, v12
	v_add_co_ci_u32_e64 v13, s9, v23, v13, s9
	flat_load_u16 v12, v[12:13]
	s_waitcnt vmcnt(0) lgkmcnt(0)
	v_mul_f16_e32 v12, v44, v12
.LBB228_23:
	s_or_b32 exec_lo, exec_lo, s26
	s_or_b32 s9, s6, s8
	s_delay_alu instid0(SALU_CYCLE_1) | instskip(SKIP_1) | instid1(SALU_CYCLE_1)
	v_cndmask_b32_e64 v13, 0, 0x7c00, s9
	s_or_b32 s9, s3, s9
	s_xor_b32 s9, s9, -1
	s_delay_alu instid0(SALU_CYCLE_1)
	;; [unrolled: 18-line block ×3, first 2 shown]
	s_and_saveexec_b32 s9, s8
	s_cbranch_execz .LBB228_27
; %bb.26:
	v_lshlrev_b64 v[24:25], 1, v[6:7]
	s_delay_alu instid0(VALU_DEP_1) | instskip(NEXT) | instid1(VALU_DEP_1)
	v_add_co_u32 v22, s8, v22, v24
	v_add_co_ci_u32_e64 v23, s8, v23, v25, s8
	flat_load_u16 v14, v[22:23]
	s_waitcnt vmcnt(0) lgkmcnt(0)
	v_mul_f16_e32 v14, v44, v14
.LBB228_27:
	s_or_b32 exec_lo, exec_lo, s9
	v_lshlrev_b32_e32 v22, 1, v46
	v_lshlrev_b32_e32 v47, 3, v42
	;; [unrolled: 1-line block ×3, first 2 shown]
	v_lshl_or_b32 v15, v15, 3, v8
	s_cmp_lt_i32 s18, 9
	v_lshl_add_u32 v81, v17, 3, v22
	v_add_nc_u32_e32 v32, 0x1000, v47
	ds_store_b16 v81, v18
	ds_store_b16 v81, v19 offset:512
	ds_store_b16 v81, v20 offset:1024
	;; [unrolled: 1-line block ×4, first 2 shown]
	s_waitcnt lgkmcnt(0)
	s_barrier
	buffer_gl0_inv
	ds_load_2addr_b64 v[16:19], v32 offset1:8
	ds_load_2addr_b64 v[20:23], v73 offset1:32
	ds_load_2addr_b64 v[24:27], v32 offset0:16 offset1:24
	ds_load_2addr_b64 v[28:31], v32 offset0:32 offset1:40
	;; [unrolled: 1-line block ×5, first 2 shown]
	s_waitcnt lgkmcnt(5)
	v_pk_add_f16 v40, v16, v20
	v_pk_add_f16 v83, v17, v21
	s_waitcnt lgkmcnt(3)
	v_pk_add_f16 v56, v30, v20
	v_pk_add_f16 v41, v18, v20
	;; [unrolled: 1-line block ×3, first 2 shown]
	v_pk_min_f16 v40, 0x7c00, v40 op_sel_hi:[0,1]
	v_pk_add_f16 v54, v26, v20
	v_pk_add_f16 v61, v24, v22
	;; [unrolled: 1-line block ×4, first 2 shown]
	v_pk_min_f16 v120, v40, v83
	v_pk_min_f16 v40, 0x7c00, v56 op_sel_hi:[0,1]
	s_waitcnt lgkmcnt(2)
	v_pk_add_f16 v57, v32, v20
	v_pk_add_f16 v58, v34, v20
	;; [unrolled: 1-line block ×4, first 2 shown]
	s_waitcnt lgkmcnt(1)
	v_pk_add_f16 v67, v16, v36
	v_pk_add_f16 v68, v18, v36
	;; [unrolled: 1-line block ×12, first 2 shown]
	v_pk_min_f16 v41, 0x7c00, v41 op_sel_hi:[0,1]
	v_pk_min_f16 v53, 0x7c00, v53 op_sel_hi:[0,1]
	;; [unrolled: 1-line block ×3, first 2 shown]
	v_pk_min_f16 v109, v40, v88
	v_pk_min_f16 v40, 0x7c00, v61 op_sel_hi:[0,1]
	v_pk_add_f16 v60, v18, v22
	v_pk_add_f16 v62, v26, v22
	;; [unrolled: 1-line block ×25, first 2 shown]
	ds_load_2addr_b64 v[20:23], v73 offset0:192 offset1:224
	v_pk_min_f16 v55, 0x7c00, v55 op_sel_hi:[0,1]
	v_pk_min_f16 v119, v41, v84
	v_pk_min_f16 v118, v53, v85
	;; [unrolled: 1-line block ×3, first 2 shown]
	v_pk_min_f16 v41, 0x7c00, v57 op_sel_hi:[0,1]
	v_pk_min_f16 v53, 0x7c00, v58 op_sel_hi:[0,1]
	;; [unrolled: 1-line block ×3, first 2 shown]
	v_pk_min_f16 v104, v40, v93
	v_pk_min_f16 v40, 0x7c00, v66 op_sel_hi:[0,1]
	v_pk_min_f16 v36, 0x7c00, v36 op_sel_hi:[0,1]
	v_pk_add_f16 v75, v16, v38
	v_pk_add_f16 v78, v26, v38
	;; [unrolled: 1-line block ×8, first 2 shown]
	s_waitcnt lgkmcnt(1)
	v_pk_add_f16 v129, v16, v49
	v_pk_min_f16 v116, v55, v87
	v_pk_min_f16 v55, 0x7c00, v60 op_sel_hi:[0,1]
	v_pk_min_f16 v108, v41, v89
	v_pk_min_f16 v107, v53, v90
	;; [unrolled: 1-line block ×3, first 2 shown]
	v_pk_min_f16 v41, 0x7c00, v62 op_sel_hi:[0,1]
	v_pk_min_f16 v53, 0x7c00, v63 op_sel_hi:[0,1]
	v_pk_min_f16 v99, v40, v98
	v_pk_min_f16 v40, 0x7c00, v71 op_sel_hi:[0,1]
	v_pk_min_f16 v91, v36, v37
	v_pk_min_f16 v36, 0x7c00, v76 op_sel_hi:[0,1]
	v_pk_min_f16 v37, 0x7c00, v77 op_sel_hi:[0,1]
	v_pk_add_f16 v122, v17, v39
	v_pk_add_f16 v125, v27, v39
	v_pk_add_f16 v126, v29, v39
	v_pk_add_f16 v127, v31, v39
	v_pk_add_f16 v128, v33, v39
	v_pk_add_f16 v39, v35, v39
	v_pk_add_f16 v130, v18, v49
	v_pk_add_f16 v132, v26, v49
	v_pk_add_f16 v133, v28, v49
	v_pk_add_f16 v134, v30, v49
	v_pk_add_f16 v135, v32, v49
	v_pk_add_f16 v143, v17, v50
	v_pk_min_f16 v105, v55, v92
	v_pk_min_f16 v54, 0x7c00, v64 op_sel_hi:[0,1]
	v_pk_min_f16 v55, 0x7c00, v65 op_sel_hi:[0,1]
	v_pk_min_f16 v103, v41, v94
	v_pk_min_f16 v102, v53, v95
	v_pk_min_f16 v41, 0x7c00, v67 op_sel_hi:[0,1]
	v_pk_min_f16 v53, 0x7c00, v68 op_sel_hi:[0,1]
	v_pk_min_f16 v94, v40, v114
	v_pk_min_f16 v40, 0x7c00, v78 op_sel_hi:[0,1]
	v_pk_min_f16 v89, v36, v123
	v_pk_min_f16 v88, v37, v124
	v_pk_min_f16 v36, 0x7c00, v82 op_sel_hi:[0,1]
	v_pk_min_f16 v37, 0x7c00, v38 op_sel_hi:[0,1]
	;; [unrolled: 1-line block ×3, first 2 shown]
	v_pk_add_f16 v131, v24, v49
	v_pk_add_f16 v49, v34, v49
	;; [unrolled: 1-line block ×11, first 2 shown]
	v_pk_min_f16 v101, v54, v96
	v_pk_min_f16 v100, v55, v97
	v_pk_min_f16 v54, 0x7c00, v69 op_sel_hi:[0,1]
	v_pk_min_f16 v98, v41, v110
	v_pk_min_f16 v97, v53, v111
	v_pk_min_f16 v41, 0x7c00, v72 op_sel_hi:[0,1]
	v_pk_min_f16 v53, 0x7c00, v74 op_sel_hi:[0,1]
	v_pk_min_f16 v87, v40, v125
	v_pk_min_f16 v40, 0x7c00, v130 op_sel_hi:[0,1]
	v_pk_min_f16 v84, v36, v128
	v_pk_min_f16 v83, v37, v39
	;; [unrolled: 1-line block ×3, first 2 shown]
	v_pk_min_f16 v36, 0x7c00, v132 op_sel_hi:[0,1]
	v_pk_min_f16 v37, 0x7c00, v133 op_sel_hi:[0,1]
	;; [unrolled: 1-line block ×4, first 2 shown]
	v_pk_add_f16 v140, v28, v51
	v_pk_add_f16 v141, v30, v51
	;; [unrolled: 1-line block ×10, first 2 shown]
	s_waitcnt lgkmcnt(0)
	v_pk_add_f16 v157, v16, v20
	v_pk_min_f16 v96, v54, v112
	v_pk_min_f16 v54, 0x7c00, v75 op_sel_hi:[0,1]
	v_pk_min_f16 v93, v41, v115
	v_pk_min_f16 v92, v53, v121
	v_pk_min_f16 v41, 0x7c00, v79 op_sel_hi:[0,1]
	v_pk_min_f16 v53, 0x7c00, v80 op_sel_hi:[0,1]
	v_pk_min_f16 v80, v40, v144
	v_pk_min_f16 v40, 0x7c00, v49 op_sel_hi:[0,1]
	v_pk_min_f16 v78, v36, v146
	v_pk_min_f16 v77, v37, v147
	;; [unrolled: 1-line block ×4, first 2 shown]
	v_pk_min_f16 v36, 0x7c00, v136 op_sel_hi:[0,1]
	v_pk_min_f16 v37, 0x7c00, v137 op_sel_hi:[0,1]
	;; [unrolled: 1-line block ×4, first 2 shown]
	v_pk_add_f16 v154, v29, v52
	v_pk_add_f16 v155, v31, v52
	;; [unrolled: 1-line block ×8, first 2 shown]
	v_pk_min_f16 v55, 0x7c00, v70 op_sel_hi:[0,1]
	v_pk_min_f16 v86, v41, v126
	v_pk_min_f16 v41, 0x7c00, v131 op_sel_hi:[0,1]
	v_pk_min_f16 v74, v40, v50
	v_pk_min_f16 v40, 0x7c00, v140 op_sel_hi:[0,1]
	v_pk_min_f16 v72, v36, v150
	v_pk_min_f16 v71, v37, v151
	v_pk_min_f16 v70, v38, v152
	;; [unrolled: 1-line block ×3, first 2 shown]
	v_pk_min_f16 v36, 0x7c00, v141 op_sel_hi:[0,1]
	v_pk_min_f16 v37, 0x7c00, v142 op_sel_hi:[0,1]
	;; [unrolled: 1-line block ×4, first 2 shown]
	v_pk_add_f16 v16, v16, v22
	v_pk_add_f16 v160, v19, v21
	;; [unrolled: 1-line block ×4, first 2 shown]
	v_pk_min_f16 v79, v41, v145
	v_pk_min_f16 v68, v40, v154
	v_pk_min_f16 v40, 0x7c00, v158 op_sel_hi:[0,1]
	v_pk_min_f16 v41, 0x7c00, v161 op_sel_hi:[0,1]
	v_pk_min_f16 v67, v36, v155
	v_pk_add_f16 v36, v28, v20
	v_pk_min_f16 v66, v37, v156
	v_pk_add_f16 v37, v30, v20
	;; [unrolled: 2-line block ×4, first 2 shown]
	v_pk_min_f16 v39, 0x7c00, v162 op_sel_hi:[0,1]
	v_pk_add_f16 v18, v18, v22
	v_pk_add_f16 v17, v17, v23
	;; [unrolled: 1-line block ×3, first 2 shown]
	v_pk_min_f16 v20, 0x7c00, v20 op_sel_hi:[0,1]
	v_pk_min_f16 v16, 0x7c00, v16 op_sel_hi:[0,1]
	v_pk_min_f16 v63, v40, v160
	v_pk_add_f16 v40, v29, v21
	v_pk_min_f16 v62, v41, v163
	v_pk_add_f16 v41, v31, v21
	;; [unrolled: 2-line block ×3, first 2 shown]
	v_pk_add_f16 v21, v35, v21
	v_pk_add_f16 v19, v19, v23
	;; [unrolled: 1-line block ×4, first 2 shown]
	v_pk_min_f16 v18, 0x7c00, v18 op_sel_hi:[0,1]
	v_pk_min_f16 v24, 0x7c00, v24 op_sel_hi:[0,1]
	v_pk_add_f16 v28, v28, v22
	v_pk_add_f16 v30, v30, v22
	v_pk_min_f16 v57, v20, v21
	v_pk_add_f16 v20, v32, v22
	v_pk_min_f16 v56, v16, v17
	v_pk_add_f16 v16, v34, v22
	v_pk_add_f16 v27, v27, v23
	v_pk_min_f16 v95, v55, v113
	v_pk_min_f16 v90, v54, v122
	v_pk_min_f16 v36, 0x7c00, v36 op_sel_hi:[0,1]
	v_pk_min_f16 v37, 0x7c00, v37 op_sel_hi:[0,1]
	;; [unrolled: 1-line block ×8, first 2 shown]
	v_pk_min_f16 v55, v18, v19
	v_pk_min_f16 v54, v24, v25
	v_pk_add_f16 v18, v29, v23
	v_pk_add_f16 v19, v31, v23
	;; [unrolled: 1-line block ×4, first 2 shown]
	v_pk_min_f16 v85, v53, v127
	v_pk_min_f16 v60, v36, v40
	;; [unrolled: 1-line block ×9, first 2 shown]
	ds_store_b16 v81, v11 offset:2048
	ds_store_b16 v81, v12 offset:2560
	;; [unrolled: 1-line block ×5, first 2 shown]
	s_waitcnt lgkmcnt(0)
	s_barrier
	buffer_gl0_inv
	s_cbranch_scc1 .LBB228_50
; %bb.28:
	v_mad_i64_i32 v[10:11], null, v9, s25, 0
	v_lshlrev_b64 v[32:33], 1, v[0:1]
	v_lshlrev_b64 v[34:35], 1, v[2:3]
	v_lshlrev_b64 v[36:37], 1, v[4:5]
	v_lshlrev_b64 v[38:39], 1, v[6:7]
	v_add_nc_u32_e32 v110, 0x1000, v15
	v_add_nc_u32_e32 v111, 0x1000, v47
	v_lshlrev_b64 v[9:10], 1, v[10:11]
	v_add_nc_u32_e32 v112, 0x1200, v15
	v_or_b32_e32 v113, 0x800, v81
	v_lshl_add_u32 v114, v42, 3, 0x1200
	v_lshl_add_u32 v115, v43, 3, 0x800
	v_add_co_u32 v0, s8, v9, v8
	s_delay_alu instid0(VALU_DEP_1) | instskip(NEXT) | instid1(VALU_DEP_2)
	v_add_co_ci_u32_e64 v1, s8, 0, v10, s8
	v_add_co_u32 v0, s8, v0, s22
	s_delay_alu instid0(VALU_DEP_1) | instskip(SKIP_1) | instid1(VALU_DEP_2)
	v_add_co_ci_u32_e64 v1, s8, s23, v1, s8
	s_add_i32 s22, s18, -8
	v_add_co_u32 v40, s8, v0, 24
	s_delay_alu instid0(VALU_DEP_1)
	v_add_co_ci_u32_e64 v41, s8, 0, v1, s8
	s_mov_b32 s23, 0
	s_branch .LBB228_30
.LBB228_29:                             ;   in Loop: Header=BB228_30 Depth=1
	s_or_b32 exec_lo, exec_lo, s9
	ds_load_2addr_b64 v[125:128], v111 offset1:8
	ds_load_2addr_b64 v[88:91], v73 offset1:32
	ds_load_2addr_b64 v[129:132], v111 offset0:16 offset1:24
	ds_load_2addr_b64 v[133:136], v111 offset0:32 offset1:40
	ds_load_2addr_b64 v[137:140], v111 offset0:48 offset1:56
	ds_load_2addr_b64 v[141:144], v73 offset0:64 offset1:96
	ds_load_2addr_b64 v[145:148], v73 offset0:128 offset1:160
	ds_load_2addr_b64 v[149:152], v73 offset0:192 offset1:224
	v_pk_max_f16 v11, v86, v86
	v_pk_max_f16 v15, v84, v84
	;; [unrolled: 1-line block ×13, first 2 shown]
	s_waitcnt lgkmcnt(6)
	v_pk_add_f16 v84, v125, v88
	v_pk_add_f16 v85, v127, v88
	s_waitcnt lgkmcnt(5)
	v_pk_add_f16 v86, v129, v88
	v_pk_add_f16 v87, v131, v88
	;; [unrolled: 3-line block ×4, first 2 shown]
	v_pk_min_f16 v11, v11, v84
	v_pk_min_f16 v15, v15, v85
	;; [unrolled: 1-line block ×5, first 2 shown]
	v_pk_add_f16 v84, v125, v90
	v_pk_add_f16 v85, v127, v90
	;; [unrolled: 1-line block ×5, first 2 shown]
	v_pk_min_f16 v71, v71, v84
	v_pk_min_f16 v79, v79, v85
	;; [unrolled: 1-line block ×5, first 2 shown]
	v_pk_add_f16 v84, v135, v90
	v_pk_add_f16 v85, v137, v90
	v_pk_max_f16 v75, v75, v75
	v_pk_add_f16 v86, v139, v90
	v_pk_max_f16 v72, v72, v72
	s_waitcnt lgkmcnt(2)
	v_pk_add_f16 v87, v125, v141
	v_pk_max_f16 v70, v70, v70
	v_pk_add_f16 v88, v127, v141
	v_pk_max_f16 v68, v68, v68
	v_pk_min_f16 v66, v66, v84
	v_pk_min_f16 v75, v75, v85
	v_pk_min_f16 v72, v72, v86
	v_pk_min_f16 v70, v70, v87
	v_pk_min_f16 v68, v68, v88
	v_pk_add_f16 v84, v129, v141
	v_pk_max_f16 v61, v61, v61
	v_pk_add_f16 v85, v131, v141
	v_pk_max_f16 v69, v69, v69
	v_pk_add_f16 v86, v133, v141
	v_pk_max_f16 v67, v67, v67
	v_pk_add_f16 v87, v135, v141
	v_pk_max_f16 v65, v65, v65
	v_pk_add_f16 v88, v137, v141
	v_pk_max_f16 v63, v63, v63
	v_pk_min_f16 v61, v61, v84
	v_pk_min_f16 v69, v69, v85
	v_pk_min_f16 v67, v67, v86
	v_pk_min_f16 v65, v65, v87
	v_pk_min_f16 v63, v63, v88
	v_pk_add_f16 v84, v139, v141
	v_pk_max_f16 v56, v56, v56
	v_pk_add_f16 v85, v125, v143
	v_pk_max_f16 v64, v64, v64
	v_pk_add_f16 v86, v127, v143
	v_pk_max_f16 v62, v62, v62
	;; [unrolled: 15-line block ×3, first 2 shown]
	v_pk_add_f16 v87, v139, v143
	v_pk_max_f16 v55, v55, v55
	s_waitcnt lgkmcnt(1)
	v_pk_add_f16 v88, v125, v145
	v_pk_max_f16 v53, v53, v53
	v_pk_min_f16 v51, v51, v84
	v_pk_min_f16 v59, v59, v85
	v_pk_min_f16 v57, v57, v86
	v_pk_min_f16 v55, v55, v87
	v_pk_min_f16 v53, v53, v88
	v_pk_add_f16 v84, v127, v145
	v_pk_max_f16 v29, v29, v29
	v_pk_add_f16 v85, v129, v145
	v_pk_max_f16 v54, v54, v54
	v_pk_add_f16 v86, v131, v145
	v_pk_max_f16 v52, v52, v52
	v_pk_add_f16 v87, v133, v145
	v_pk_max_f16 v50, v50, v50
	v_pk_add_f16 v88, v135, v145
	v_pk_max_f16 v31, v31, v31
	v_pk_min_f16 v29, v29, v84
	v_pk_min_f16 v54, v54, v85
	v_pk_min_f16 v52, v52, v86
	v_pk_min_f16 v50, v50, v87
	v_pk_min_f16 v31, v31, v88
	v_pk_add_f16 v84, v137, v145
	v_pk_max_f16 v24, v24, v24
	v_pk_add_f16 v85, v139, v145
	v_pk_max_f16 v49, v49, v49
	v_pk_add_f16 v86, v125, v147
	v_pk_max_f16 v30, v30, v30
	v_pk_add_f16 v87, v127, v147
	v_pk_max_f16 v28, v28, v28
	;; [unrolled: 15-line block ×3, first 2 shown]
	v_pk_add_f16 v88, v139, v147
	v_pk_max_f16 v21, v21, v21
	v_pk_min_f16 v18, v18, v84
	v_pk_min_f16 v27, v27, v85
	;; [unrolled: 1-line block ×5, first 2 shown]
	s_waitcnt lgkmcnt(0)
	v_pk_add_f16 v84, v125, v149
	v_pk_max_f16 v10, v10, v10
	v_pk_add_f16 v85, v127, v149
	v_pk_max_f16 v22, v22, v22
	;; [unrolled: 2-line block ×5, first 2 shown]
	v_pk_min_f16 v10, v10, v84
	v_pk_min_f16 v22, v22, v85
	;; [unrolled: 1-line block ×5, first 2 shown]
	v_pk_add_f16 v84, v135, v149
	v_pk_max_f16 v6, v6, v6
	v_pk_add_f16 v85, v137, v149
	v_pk_max_f16 v13, v13, v13
	;; [unrolled: 2-line block ×5, first 2 shown]
	v_pk_min_f16 v6, v6, v84
	v_pk_min_f16 v13, v13, v85
	;; [unrolled: 1-line block ×5, first 2 shown]
	v_pk_add_f16 v84, v129, v151
	v_pk_max_f16 v2, v2, v2
	v_pk_add_f16 v85, v131, v151
	v_pk_max_f16 v7, v7, v7
	;; [unrolled: 2-line block ×5, first 2 shown]
	v_pk_max_f16 v83, v83, v83
	v_pk_min_f16 v2, v2, v84
	v_pk_min_f16 v7, v7, v85
	;; [unrolled: 1-line block ×5, first 2 shown]
	v_pk_add_f16 v84, v139, v151
	v_pk_max_f16 v1, v1, v1
	v_pk_add_f16 v85, v126, v89
	v_pk_add_f16 v86, v128, v89
	v_pk_add_f16 v87, v130, v89
	v_pk_add_f16 v88, v132, v89
	v_pk_min_f16 v80, v80, v92
	v_pk_min_f16 v82, v82, v93
	;; [unrolled: 1-line block ×8, first 2 shown]
	v_pk_add_f16 v11, v134, v89
	v_pk_add_f16 v15, v136, v89
	v_pk_add_f16 v17, v138, v89
	v_pk_add_f16 v19, v140, v89
	v_pk_add_f16 v84, v126, v91
	v_pk_min_f16 v116, v80, v11
	v_pk_min_f16 v109, v82, v15
	v_pk_min_f16 v108, v83, v17
	v_pk_min_f16 v107, v78, v19
	v_pk_min_f16 v106, v71, v84
	v_pk_add_f16 v11, v128, v91
	v_pk_add_f16 v15, v130, v91
	v_pk_add_f16 v17, v132, v91
	v_pk_add_f16 v19, v134, v91
	v_pk_add_f16 v71, v136, v91
	v_pk_min_f16 v105, v79, v11
	v_pk_min_f16 v104, v77, v15
	v_pk_min_f16 v103, v76, v17
	v_pk_min_f16 v102, v74, v19
	v_pk_min_f16 v101, v66, v71
	v_pk_add_f16 v11, v138, v91
	v_pk_add_f16 v15, v140, v91
	v_pk_add_f16 v17, v126, v142
	v_pk_add_f16 v19, v128, v142
	v_pk_add_f16 v66, v130, v142
	v_pk_min_f16 v100, v75, v11
	v_pk_min_f16 v99, v72, v15
	v_pk_min_f16 v98, v70, v17
	v_pk_min_f16 v97, v68, v19
	v_pk_min_f16 v96, v61, v66
	v_pk_add_f16 v11, v132, v142
	v_pk_add_f16 v15, v134, v142
	v_pk_add_f16 v17, v136, v142
	v_pk_add_f16 v19, v138, v142
	v_pk_add_f16 v61, v140, v142
	v_pk_min_f16 v95, v69, v11
	v_pk_min_f16 v94, v67, v15
	v_pk_min_f16 v93, v65, v17
	v_pk_min_f16 v92, v63, v19
	v_pk_min_f16 v91, v56, v61
	v_pk_add_f16 v11, v126, v144
	v_pk_add_f16 v15, v128, v144
	v_pk_add_f16 v17, v130, v144
	v_pk_add_f16 v19, v132, v144
	v_pk_add_f16 v56, v134, v144
	v_pk_min_f16 v90, v64, v11
	v_pk_min_f16 v89, v62, v15
	v_pk_min_f16 v88, v60, v17
	v_pk_min_f16 v87, v58, v19
	v_pk_min_f16 v86, v51, v56
	v_pk_add_f16 v11, v136, v144
	v_pk_add_f16 v15, v138, v144
	v_pk_add_f16 v17, v140, v144
	v_pk_add_f16 v19, v126, v146
	v_pk_add_f16 v51, v128, v146
	v_pk_min_f16 v85, v59, v11
	v_pk_min_f16 v84, v57, v15
	v_pk_min_f16 v83, v55, v17
	v_pk_min_f16 v82, v53, v19
	v_pk_min_f16 v80, v29, v51
	v_pk_add_f16 v11, v130, v146
	v_pk_add_f16 v15, v132, v146
	v_pk_add_f16 v17, v134, v146
	v_pk_add_f16 v19, v136, v146
	v_pk_add_f16 v29, v138, v146
	v_pk_min_f16 v79, v54, v11
	v_pk_min_f16 v78, v52, v15
	v_pk_min_f16 v77, v50, v17
	v_pk_min_f16 v76, v31, v19
	v_pk_min_f16 v75, v24, v29
	v_pk_add_f16 v11, v140, v146
	v_pk_add_f16 v15, v126, v148
	v_pk_add_f16 v17, v128, v148
	v_pk_add_f16 v19, v130, v148
	v_pk_add_f16 v24, v132, v148
	v_pk_min_f16 v74, v49, v11
	v_pk_min_f16 v72, v30, v15
	v_pk_min_f16 v71, v28, v17
	v_pk_min_f16 v70, v26, v19
	v_pk_min_f16 v69, v18, v24
	v_pk_add_f16 v11, v134, v148
	v_pk_add_f16 v15, v136, v148
	v_pk_add_f16 v17, v138, v148
	v_pk_add_f16 v18, v140, v148
	v_pk_add_f16 v19, v126, v150
	v_pk_min_f16 v68, v27, v11
	v_pk_min_f16 v67, v25, v15
	v_pk_min_f16 v66, v23, v17
	v_pk_min_f16 v65, v21, v18
	v_pk_min_f16 v64, v10, v19
	v_pk_add_f16 v10, v128, v150
	v_pk_add_f16 v11, v130, v150
	v_pk_add_f16 v15, v132, v150
	v_pk_add_f16 v17, v134, v150
	v_pk_add_f16 v18, v136, v150
	v_pk_min_f16 v63, v22, v10
	v_pk_min_f16 v62, v20, v11
	v_pk_min_f16 v61, v16, v15
	v_pk_min_f16 v60, v14, v17
	v_pk_min_f16 v59, v6, v18
	v_pk_add_f16 v6, v138, v150
	v_pk_add_f16 v10, v140, v150
	v_pk_add_f16 v11, v126, v152
	v_pk_add_f16 v14, v128, v152
	v_pk_add_f16 v15, v130, v152
	v_pk_min_f16 v58, v13, v6
	v_pk_min_f16 v57, v12, v10
	v_pk_min_f16 v56, v9, v11
	v_pk_min_f16 v55, v8, v14
	v_pk_min_f16 v54, v2, v15
	v_pk_add_f16 v2, v132, v152
	v_pk_add_f16 v6, v134, v152
	;; [unrolled: 1-line block ×5, first 2 shown]
	v_add_co_u32 v40, s8, v40, 16
	v_pk_min_f16 v53, v7, v2
	v_pk_min_f16 v52, v5, v6
	;; [unrolled: 1-line block ×5, first 2 shown]
	v_add_co_ci_u32_e64 v41, s8, 0, v41, s8
	s_add_i32 s23, s23, 8
	ds_store_b16 v112, v121
	ds_store_b16 v113, v122
	ds_store_b16 v113, v123 offset:512
	ds_store_b16 v113, v124 offset:1024
	;; [unrolled: 1-line block ×3, first 2 shown]
	s_cmp_ge_i32 s23, s22
	s_waitcnt lgkmcnt(0)
	s_barrier
	buffer_gl0_inv
	s_cbranch_scc1 .LBB228_50
.LBB228_30:                             ; =>This Inner Loop Header: Depth=1
	v_add_nc_u32_e32 v121, s23, v45
	s_delay_alu instid0(VALU_DEP_1) | instskip(NEXT) | instid1(VALU_DEP_1)
	v_add_nc_u32_e32 v0, 8, v121
	v_cmp_le_i32_e64 s8, s18, v0
	s_delay_alu instid0(VALU_DEP_1) | instskip(NEXT) | instid1(SALU_CYCLE_1)
	s_or_b32 s8, s8, vcc_lo
	v_cndmask_b32_e64 v123, 0, 0x7c00, s8
	s_or_b32 s8, s3, s8
	s_delay_alu instid0(SALU_CYCLE_1) | instskip(NEXT) | instid1(SALU_CYCLE_1)
	s_xor_b32 s8, s8, -1
	s_and_saveexec_b32 s9, s8
	s_cbranch_execz .LBB228_32
; %bb.31:                               ;   in Loop: Header=BB228_30 Depth=1
	v_add_co_u32 v0, s8, -8, v40
	s_delay_alu instid0(VALU_DEP_1)
	v_add_co_ci_u32_e64 v1, s8, -1, v41, s8
	flat_load_u16 v0, v[0:1]
	s_waitcnt vmcnt(0) lgkmcnt(0)
	v_mul_f16_e32 v123, v44, v0
.LBB228_32:                             ;   in Loop: Header=BB228_30 Depth=1
	s_or_b32 exec_lo, exec_lo, s9
	v_add_nc_u32_e32 v122, s23, v46
	s_delay_alu instid0(VALU_DEP_1) | instskip(NEXT) | instid1(VALU_DEP_1)
	v_add_nc_u32_e32 v2, 8, v122
	v_min_i32_e32 v3, s24, v2
	v_cmp_le_i32_e64 s8, s18, v2
	s_delay_alu instid0(VALU_DEP_2) | instskip(NEXT) | instid1(VALU_DEP_1)
	v_mad_i64_i32 v[0:1], null, v3, s14, 0
	v_lshlrev_b64 v[0:1], 1, v[0:1]
	s_delay_alu instid0(VALU_DEP_1) | instskip(NEXT) | instid1(VALU_DEP_1)
	v_add_co_u32 v0, s9, s20, v0
	v_add_co_ci_u32_e64 v1, s9, s21, v1, s9
	s_or_b32 s9, s4, s8
	s_delay_alu instid0(SALU_CYCLE_1) | instskip(SKIP_1) | instid1(SALU_CYCLE_1)
	v_cndmask_b32_e64 v124, 0, 0x7c00, s9
	s_or_b32 s9, s3, s9
	s_xor_b32 s9, s9, -1
	s_delay_alu instid0(SALU_CYCLE_1)
	s_and_saveexec_b32 s25, s9
	s_cbranch_execz .LBB228_34
; %bb.33:                               ;   in Loop: Header=BB228_30 Depth=1
	v_add_co_u32 v2, s9, v0, v32
	s_delay_alu instid0(VALU_DEP_1)
	v_add_co_ci_u32_e64 v3, s9, v1, v33, s9
	flat_load_u16 v2, v[2:3]
	s_waitcnt vmcnt(0) lgkmcnt(0)
	v_mul_f16_e32 v124, v44, v2
.LBB228_34:                             ;   in Loop: Header=BB228_30 Depth=1
	s_or_b32 exec_lo, exec_lo, s25
	s_or_b32 s9, s5, s8
	s_delay_alu instid0(SALU_CYCLE_1) | instskip(SKIP_1) | instid1(SALU_CYCLE_1)
	v_cndmask_b32_e64 v125, 0, 0x7c00, s9
	s_or_b32 s9, s3, s9
	s_xor_b32 s9, s9, -1
	s_delay_alu instid0(SALU_CYCLE_1)
	s_and_saveexec_b32 s25, s9
	s_cbranch_execz .LBB228_36
; %bb.35:                               ;   in Loop: Header=BB228_30 Depth=1
	v_add_co_u32 v2, s9, v0, v34
	s_delay_alu instid0(VALU_DEP_1)
	v_add_co_ci_u32_e64 v3, s9, v1, v35, s9
	flat_load_u16 v2, v[2:3]
	s_waitcnt vmcnt(0) lgkmcnt(0)
	v_mul_f16_e32 v125, v44, v2
.LBB228_36:                             ;   in Loop: Header=BB228_30 Depth=1
	s_or_b32 exec_lo, exec_lo, s25
	;; [unrolled: 17-line block ×4, first 2 shown]
	ds_load_2addr_b64 v[12:15], v114 offset1:8
	ds_load_2addr_b64 v[8:11], v114 offset0:16 offset1:24
	ds_load_2addr_b64 v[4:7], v114 offset0:32 offset1:40
	;; [unrolled: 1-line block ×3, first 2 shown]
	ds_load_2addr_b64 v[28:31], v115 offset1:32
	ds_load_2addr_b64 v[24:27], v115 offset0:64 offset1:96
	ds_load_2addr_b64 v[20:23], v115 offset0:128 offset1:160
	;; [unrolled: 1-line block ×3, first 2 shown]
	v_add_nc_u32_e32 v121, 12, v121
	ds_store_b16 v110, v123
	ds_store_b16 v81, v124
	ds_store_b16 v81, v125 offset:512
	ds_store_b16 v81, v126 offset:1024
	;; [unrolled: 1-line block ×3, first 2 shown]
	s_waitcnt lgkmcnt(0)
	s_barrier
	buffer_gl0_inv
	v_cmp_le_i32_e64 s8, s18, v121
	s_delay_alu instid0(VALU_DEP_1) | instskip(NEXT) | instid1(SALU_CYCLE_1)
	s_or_b32 s8, s8, vcc_lo
	v_cndmask_b32_e64 v121, 0, 0x7c00, s8
	s_or_b32 s8, s3, s8
	s_delay_alu instid0(SALU_CYCLE_1) | instskip(NEXT) | instid1(SALU_CYCLE_1)
	s_xor_b32 s8, s8, -1
	s_and_saveexec_b32 s9, s8
	s_delay_alu instid0(SALU_CYCLE_1)
	s_xor_b32 s8, exec_lo, s9
	s_cbranch_execz .LBB228_42
; %bb.41:                               ;   in Loop: Header=BB228_30 Depth=1
	flat_load_u16 v121, v[40:41]
	s_waitcnt vmcnt(0) lgkmcnt(0)
	v_mul_f16_e32 v121, v44, v121
.LBB228_42:                             ;   in Loop: Header=BB228_30 Depth=1
	s_or_b32 exec_lo, exec_lo, s8
	v_add_nc_u32_e32 v124, 12, v122
	s_delay_alu instid0(VALU_DEP_1) | instskip(SKIP_1) | instid1(VALU_DEP_2)
	v_min_i32_e32 v125, s24, v124
	v_cmp_le_i32_e64 s8, s18, v124
	v_mad_i64_i32 v[122:123], null, v125, s14, 0
	s_delay_alu instid0(VALU_DEP_1) | instskip(NEXT) | instid1(VALU_DEP_1)
	v_lshlrev_b64 v[122:123], 1, v[122:123]
	v_add_co_u32 v125, s9, s20, v122
	s_delay_alu instid0(VALU_DEP_1) | instskip(SKIP_1) | instid1(SALU_CYCLE_1)
	v_add_co_ci_u32_e64 v126, s9, s21, v123, s9
	s_or_b32 s9, s4, s8
	v_cndmask_b32_e64 v122, 0, 0x7c00, s9
	s_or_b32 s9, s3, s9
	s_delay_alu instid0(SALU_CYCLE_1) | instskip(NEXT) | instid1(SALU_CYCLE_1)
	s_xor_b32 s9, s9, -1
	s_and_saveexec_b32 s25, s9
	s_cbranch_execz .LBB228_44
; %bb.43:                               ;   in Loop: Header=BB228_30 Depth=1
	v_add_co_u32 v122, s9, v125, v32
	s_delay_alu instid0(VALU_DEP_1)
	v_add_co_ci_u32_e64 v123, s9, v126, v33, s9
	flat_load_u16 v122, v[122:123]
	s_waitcnt vmcnt(0) lgkmcnt(0)
	v_mul_f16_e32 v122, v44, v122
.LBB228_44:                             ;   in Loop: Header=BB228_30 Depth=1
	s_or_b32 exec_lo, exec_lo, s25
	s_or_b32 s9, s5, s8
	s_delay_alu instid0(SALU_CYCLE_1) | instskip(SKIP_1) | instid1(SALU_CYCLE_1)
	v_cndmask_b32_e64 v123, 0, 0x7c00, s9
	s_or_b32 s9, s3, s9
	s_xor_b32 s9, s9, -1
	s_delay_alu instid0(SALU_CYCLE_1)
	s_and_saveexec_b32 s25, s9
	s_cbranch_execz .LBB228_46
; %bb.45:                               ;   in Loop: Header=BB228_30 Depth=1
	v_add_co_u32 v123, s9, v125, v34
	s_delay_alu instid0(VALU_DEP_1)
	v_add_co_ci_u32_e64 v124, s9, v126, v35, s9
	flat_load_u16 v123, v[123:124]
	s_waitcnt vmcnt(0) lgkmcnt(0)
	v_mul_f16_e32 v123, v44, v123
.LBB228_46:                             ;   in Loop: Header=BB228_30 Depth=1
	s_or_b32 exec_lo, exec_lo, s25
	s_or_b32 s9, s6, s8
	s_delay_alu instid0(SALU_CYCLE_1) | instskip(SKIP_1) | instid1(SALU_CYCLE_1)
	v_cndmask_b32_e64 v124, 0, 0x7c00, s9
	s_or_b32 s9, s3, s9
	s_xor_b32 s9, s9, -1
	s_delay_alu instid0(SALU_CYCLE_1)
	s_and_saveexec_b32 s25, s9
	s_cbranch_execz .LBB228_48
; %bb.47:                               ;   in Loop: Header=BB228_30 Depth=1
	v_add_co_u32 v127, s9, v125, v36
	s_delay_alu instid0(VALU_DEP_1)
	v_add_co_ci_u32_e64 v128, s9, v126, v37, s9
	flat_load_u16 v124, v[127:128]
	s_waitcnt vmcnt(0) lgkmcnt(0)
	v_mul_f16_e32 v124, v44, v124
.LBB228_48:                             ;   in Loop: Header=BB228_30 Depth=1
	s_or_b32 exec_lo, exec_lo, s25
	v_pk_add_f16 v127, v12, v28
	v_pk_max_f16 v120, v120, v120
	v_pk_add_f16 v128, v14, v28
	v_pk_max_f16 v119, v119, v119
	;; [unrolled: 2-line block ×3, first 2 shown]
	v_pk_min_f16 v120, v120, v127
	v_pk_add_f16 v127, v10, v28
	v_pk_min_f16 v119, v119, v128
	v_pk_max_f16 v117, v117, v117
	v_pk_min_f16 v118, v118, v129
	v_pk_add_f16 v128, v4, v28
	v_pk_max_f16 v116, v116, v116
	v_pk_add_f16 v129, v6, v28
	v_pk_add_f16 v130, v0, v28
	;; [unrolled: 1-line block ×3, first 2 shown]
	v_pk_max_f16 v107, v107, v107
	v_pk_max_f16 v109, v109, v109
	;; [unrolled: 1-line block ×3, first 2 shown]
	v_pk_min_f16 v117, v117, v127
	v_pk_min_f16 v116, v116, v128
	;; [unrolled: 1-line block ×3, first 2 shown]
	v_pk_add_f16 v107, v12, v30
	v_pk_max_f16 v106, v106, v106
	v_pk_add_f16 v127, v14, v30
	v_pk_max_f16 v105, v105, v105
	v_pk_add_f16 v128, v8, v30
	v_pk_max_f16 v104, v104, v104
	v_pk_min_f16 v109, v109, v129
	v_pk_min_f16 v108, v108, v130
	v_pk_add_f16 v129, v10, v30
	v_pk_max_f16 v103, v103, v103
	v_pk_add_f16 v130, v4, v30
	v_pk_min_f16 v106, v106, v107
	v_pk_min_f16 v105, v105, v127
	v_pk_min_f16 v104, v104, v128
	v_pk_add_f16 v107, v6, v30
	v_pk_max_f16 v101, v101, v101
	v_pk_add_f16 v127, v0, v30
	v_pk_add_f16 v30, v2, v30
	v_pk_max_f16 v99, v99, v99
	v_pk_add_f16 v128, v12, v24
	v_pk_max_f16 v98, v98, v98
	v_pk_min_f16 v103, v103, v129
	v_pk_max_f16 v100, v100, v100
	v_pk_add_f16 v129, v14, v24
	v_pk_max_f16 v97, v97, v97
	v_pk_min_f16 v101, v101, v107
	v_pk_min_f16 v30, v99, v30
	;; [unrolled: 1-line block ×3, first 2 shown]
	v_pk_add_f16 v99, v8, v24
	v_pk_max_f16 v96, v96, v96
	v_pk_add_f16 v107, v10, v24
	v_pk_max_f16 v95, v95, v95
	;; [unrolled: 2-line block ×3, first 2 shown]
	v_pk_min_f16 v100, v100, v127
	v_pk_min_f16 v97, v97, v129
	v_pk_add_f16 v127, v4, v24
	v_pk_max_f16 v94, v94, v94
	v_pk_add_f16 v129, v0, v24
	v_pk_min_f16 v96, v96, v99
	v_pk_min_f16 v95, v95, v107
	;; [unrolled: 1-line block ×3, first 2 shown]
	v_pk_add_f16 v24, v2, v24
	v_pk_max_f16 v91, v91, v91
	v_pk_add_f16 v99, v12, v26
	v_pk_max_f16 v90, v90, v90
	;; [unrolled: 2-line block ×4, first 2 shown]
	v_pk_min_f16 v94, v94, v127
	v_pk_add_f16 v127, v8, v26
	v_pk_max_f16 v88, v88, v88
	v_pk_min_f16 v24, v91, v24
	v_pk_min_f16 v90, v90, v99
	;; [unrolled: 1-line block ×4, first 2 shown]
	v_pk_add_f16 v87, v4, v26
	v_pk_max_f16 v86, v86, v86
	v_pk_add_f16 v99, v6, v26
	v_pk_max_f16 v85, v85, v85
	;; [unrolled: 2-line block ×4, first 2 shown]
	v_pk_max_f16 v102, v102, v102
	v_pk_min_f16 v88, v88, v127
	v_pk_add_f16 v127, v12, v20
	v_pk_max_f16 v82, v82, v82
	v_pk_min_f16 v128, v86, v87
	v_pk_min_f16 v99, v85, v99
	;; [unrolled: 1-line block ×4, first 2 shown]
	v_pk_add_f16 v83, v8, v20
	v_pk_max_f16 v79, v79, v79
	v_pk_add_f16 v84, v10, v20
	v_pk_max_f16 v78, v78, v78
	;; [unrolled: 2-line block ×4, first 2 shown]
	v_pk_min_f16 v102, v102, v130
	v_pk_min_f16 v127, v82, v127
	v_pk_add_f16 v82, v14, v20
	v_pk_min_f16 v130, v79, v83
	v_pk_min_f16 v131, v78, v84
	;; [unrolled: 1-line block ×4, first 2 shown]
	v_pk_add_f16 v76, v0, v20
	v_pk_add_f16 v20, v2, v20
	v_pk_max_f16 v74, v74, v74
	v_pk_add_f16 v77, v12, v22
	v_pk_max_f16 v72, v72, v72
	;; [unrolled: 2-line block ×4, first 2 shown]
	v_pk_min_f16 v20, v74, v20
	v_pk_min_f16 v135, v72, v77
	v_pk_min_f16 v136, v71, v78
	v_pk_max_f16 v69, v69, v69
	v_pk_min_f16 v137, v70, v79
	v_pk_add_f16 v70, v10, v22
	v_pk_add_f16 v71, v4, v22
	;; [unrolled: 1-line block ×5, first 2 shown]
	v_pk_max_f16 v65, v65, v65
	v_pk_max_f16 v68, v68, v68
	;; [unrolled: 1-line block ×4, first 2 shown]
	v_pk_min_f16 v138, v69, v70
	v_pk_min_f16 v22, v65, v22
	v_pk_add_f16 v65, v12, v16
	v_pk_add_f16 v69, v4, v16
	v_pk_max_f16 v60, v60, v60
	v_pk_add_f16 v12, v12, v18
	v_pk_max_f16 v56, v56, v56
	v_pk_min_f16 v139, v68, v71
	v_pk_min_f16 v140, v67, v72
	v_pk_min_f16 v141, v66, v74
	v_pk_add_f16 v66, v14, v16
	v_pk_add_f16 v67, v8, v16
	;; [unrolled: 1-line block ×3, first 2 shown]
	v_pk_max_f16 v61, v61, v61
	v_pk_min_f16 v146, v60, v69
	v_pk_add_f16 v60, v6, v16
	v_pk_add_f16 v14, v14, v18
	v_pk_max_f16 v55, v55, v55
	v_pk_min_f16 v150, v56, v12
	v_pk_add_f16 v8, v8, v18
	v_pk_max_f16 v12, v54, v54
	v_pk_add_f16 v6, v6, v18
	v_pk_max_f16 v51, v51, v51
	v_pk_min_f16 v145, v61, v68
	v_pk_add_f16 v61, v0, v16
	v_pk_add_f16 v16, v2, v16
	v_pk_min_f16 v151, v55, v14
	v_pk_add_f16 v10, v10, v18
	v_pk_max_f16 v14, v53, v53
	v_pk_min_f16 v152, v12, v8
	v_pk_min_f16 v154, v51, v6
	v_pk_add_f16 v2, v2, v18
	v_pk_max_f16 v6, v49, v49
	v_pk_add_f16 v8, v13, v29
	v_pk_max_f16 v92, v92, v92
	v_pk_max_f16 v80, v80, v80
	v_pk_min_f16 v153, v14, v10
	v_pk_add_f16 v10, v15, v29
	v_pk_add_f16 v12, v9, v29
	v_pk_min_f16 v155, v6, v2
	v_pk_min_f16 v86, v120, v8
	v_pk_add_f16 v2, v5, v29
	v_pk_add_f16 v8, v1, v29
	v_pk_min_f16 v92, v92, v129
	v_pk_min_f16 v129, v80, v82
	v_pk_max_f16 v75, v75, v75
	v_pk_min_f16 v84, v119, v10
	v_pk_min_f16 v82, v118, v12
	v_pk_add_f16 v6, v7, v29
	v_pk_add_f16 v10, v3, v29
	;; [unrolled: 1-line block ×3, first 2 shown]
	v_pk_min_f16 v87, v116, v2
	v_pk_min_f16 v83, v108, v8
	v_pk_add_f16 v2, v15, v31
	v_pk_add_f16 v8, v11, v31
	v_pk_min_f16 v134, v75, v76
	v_pk_max_f16 v63, v63, v63
	v_pk_min_f16 v85, v109, v6
	v_pk_min_f16 v78, v28, v10
	v_pk_min_f16 v71, v106, v12
	v_pk_add_f16 v6, v9, v31
	v_pk_add_f16 v10, v5, v31
	;; [unrolled: 1-line block ×3, first 2 shown]
	v_pk_min_f16 v79, v105, v2
	v_pk_min_f16 v76, v103, v8
	v_pk_add_f16 v2, v1, v31
	v_pk_add_f16 v8, v13, v25
	v_pk_max_f16 v64, v64, v64
	v_pk_min_f16 v143, v63, v66
	v_pk_max_f16 v58, v58, v58
	v_pk_min_f16 v77, v104, v6
	v_pk_min_f16 v74, v102, v10
	;; [unrolled: 1-line block ×3, first 2 shown]
	v_pk_add_f16 v6, v3, v31
	v_pk_add_f16 v10, v15, v25
	v_pk_add_f16 v12, v9, v25
	v_pk_min_f16 v75, v100, v2
	v_pk_min_f16 v70, v98, v8
	v_pk_add_f16 v2, v11, v25
	v_pk_add_f16 v8, v7, v25
	v_pk_max_f16 v62, v62, v62
	v_pk_min_f16 v142, v64, v65
	v_pk_max_f16 v59, v59, v59
	v_pk_min_f16 v148, v58, v61
	v_pk_min_f16 v72, v30, v6
	v_pk_min_f16 v68, v97, v10
	v_pk_min_f16 v61, v96, v12
	v_pk_add_f16 v6, v5, v25
	v_pk_add_f16 v10, v1, v25
	;; [unrolled: 1-line block ×3, first 2 shown]
	v_pk_min_f16 v69, v95, v2
	v_pk_min_f16 v65, v93, v8
	v_pk_add_f16 v2, v13, v27
	v_pk_add_f16 v8, v9, v27
	v_pk_min_f16 v144, v62, v67
	v_pk_min_f16 v147, v59, v60
	v_pk_min_f16 v67, v94, v6
	v_pk_min_f16 v63, v92, v10
	v_pk_min_f16 v56, v24, v12
	v_pk_add_f16 v6, v15, v27
	v_pk_add_f16 v10, v11, v27
	;; [unrolled: 1-line block ×3, first 2 shown]
	v_pk_min_f16 v64, v90, v2
	v_pk_min_f16 v60, v88, v8
	v_pk_add_f16 v2, v7, v27
	v_pk_add_f16 v8, v3, v27
	v_pk_max_f16 v57, v57, v57
	v_pk_add_f16 v0, v0, v18
	v_pk_max_f16 v50, v50, v50
	v_pk_min_f16 v62, v89, v6
	v_pk_min_f16 v58, v91, v10
	;; [unrolled: 1-line block ×3, first 2 shown]
	v_pk_add_f16 v6, v1, v27
	v_pk_add_f16 v10, v13, v21
	;; [unrolled: 1-line block ×3, first 2 shown]
	v_pk_min_f16 v59, v99, v2
	v_pk_min_f16 v55, v26, v8
	v_pk_add_f16 v2, v9, v21
	v_pk_add_f16 v8, v5, v21
	v_pk_min_f16 v149, v57, v16
	v_pk_min_f16 v0, v50, v0
	v_pk_add_f16 v14, v11, v29
	v_pk_min_f16 v57, v107, v6
	v_pk_min_f16 v53, v127, v10
	;; [unrolled: 1-line block ×3, first 2 shown]
	v_pk_add_f16 v6, v11, v21
	v_pk_add_f16 v10, v7, v21
	;; [unrolled: 1-line block ×3, first 2 shown]
	v_pk_min_f16 v54, v130, v2
	v_pk_min_f16 v50, v132, v8
	v_pk_add_f16 v2, v3, v21
	v_pk_add_f16 v8, v15, v23
	v_pk_max_f16 v16, v52, v52
	v_pk_min_f16 v52, v131, v6
	v_pk_min_f16 v31, v133, v10
	;; [unrolled: 1-line block ×3, first 2 shown]
	v_pk_add_f16 v6, v13, v23
	v_pk_add_f16 v10, v9, v23
	;; [unrolled: 1-line block ×3, first 2 shown]
	v_pk_min_f16 v49, v20, v2
	v_pk_min_f16 v28, v136, v8
	v_pk_add_f16 v2, v5, v23
	v_pk_add_f16 v8, v1, v23
	;; [unrolled: 1-line block ×3, first 2 shown]
	v_pk_min_f16 v30, v135, v6
	v_pk_min_f16 v26, v137, v10
	;; [unrolled: 1-line block ×3, first 2 shown]
	v_pk_add_f16 v6, v7, v23
	v_pk_add_f16 v10, v3, v23
	;; [unrolled: 1-line block ×3, first 2 shown]
	v_pk_min_f16 v27, v139, v2
	v_pk_min_f16 v23, v141, v8
	v_pk_add_f16 v2, v15, v17
	v_pk_add_f16 v8, v11, v17
	v_pk_min_f16 v4, v16, v4
	v_pk_min_f16 v25, v140, v6
	;; [unrolled: 1-line block ×4, first 2 shown]
	v_pk_add_f16 v6, v9, v17
	v_pk_add_f16 v12, v5, v17
	;; [unrolled: 1-line block ×3, first 2 shown]
	v_pk_min_f16 v22, v143, v2
	v_pk_min_f16 v16, v145, v8
	v_pk_add_f16 v2, v1, v17
	v_pk_add_f16 v8, v3, v17
	;; [unrolled: 1-line block ×4, first 2 shown]
	v_pk_min_f16 v80, v117, v14
	v_pk_min_f16 v20, v144, v6
	;; [unrolled: 1-line block ×4, first 2 shown]
	v_pk_add_f16 v88, v9, v19
	v_pk_min_f16 v12, v149, v8
	v_pk_min_f16 v9, v150, v17
	;; [unrolled: 1-line block ×3, first 2 shown]
	v_pk_add_f16 v11, v11, v19
	v_pk_add_f16 v5, v5, v19
	;; [unrolled: 1-line block ×5, first 2 shown]
	s_or_b32 s8, s7, s8
	v_pk_min_f16 v13, v148, v2
	v_pk_min_f16 v2, v152, v88
	;; [unrolled: 1-line block ×7, first 2 shown]
	v_cndmask_b32_e64 v0, 0, 0x7c00, s8
	s_or_b32 s8, s3, s8
	s_delay_alu instid0(SALU_CYCLE_1) | instskip(NEXT) | instid1(SALU_CYCLE_1)
	s_xor_b32 s8, s8, -1
	s_and_saveexec_b32 s9, s8
	s_cbranch_execz .LBB228_29
; %bb.49:                               ;   in Loop: Header=BB228_30 Depth=1
	v_add_co_u32 v88, s8, v125, v38
	s_delay_alu instid0(VALU_DEP_1)
	v_add_co_ci_u32_e64 v89, s8, v126, v39, s8
	flat_load_u16 v0, v[88:89]
	s_waitcnt vmcnt(0) lgkmcnt(0)
	v_mul_f16_e32 v0, v44, v0
	s_branch .LBB228_29
.LBB228_50:
	s_clause 0x2
	s_load_b32 s14, s[0:1], 0x58
	s_load_b32 s9, s[0:1], 0x70
	s_load_b64 s[4:5], s[0:1], 0x78
	v_add_nc_u32_e32 v0, 0x1000, v47
	v_add_nc_u32_e32 v81, s19, v43
	;; [unrolled: 1-line block ×4, first 2 shown]
	ds_load_2addr_b64 v[16:19], v0 offset0:64 offset1:72
	ds_load_2addr_b64 v[12:15], v0 offset0:80 offset1:88
	ds_load_2addr_b64 v[8:11], v0 offset0:96 offset1:104
	ds_load_2addr_b64 v[0:3], v0 offset0:112 offset1:120
	ds_load_2addr_b64 v[28:31], v4 offset1:32
	ds_load_2addr_b64 v[24:27], v4 offset0:64 offset1:96
	ds_load_2addr_b64 v[20:23], v4 offset0:128 offset1:160
	ds_load_2addr_b64 v[4:7], v4 offset0:192 offset1:224
	v_cmp_gt_i32_e64 s0, s16, v32
	v_cmp_gt_i32_e64 s8, s17, v81
	v_ashrrev_i32_e32 v33, 31, v32
	v_cndmask_b32_e64 v73, 0, 1, s2
	s_waitcnt lgkmcnt(0)
	v_mad_i64_i32 v[34:35], null, v81, s14, 0
	v_mad_i64_i32 v[36:37], null, v81, s9, 0
	s_lshl_b64 s[4:5], s[4:5], 1
	s_delay_alu instid0(SALU_CYCLE_1) | instskip(SKIP_1) | instid1(VALU_DEP_2)
	s_add_u32 s12, s12, s4
	s_addc_u32 s13, s13, s5
	v_lshlrev_b64 v[34:35], 1, v[34:35]
	s_and_b32 s1, s0, s8
	s_delay_alu instid0(VALU_DEP_2) | instskip(NEXT) | instid1(VALU_DEP_2)
	v_lshlrev_b64 v[36:37], 1, v[36:37]
	v_add_co_u32 v112, vcc_lo, s10, v34
	s_delay_alu instid0(VALU_DEP_3) | instskip(NEXT) | instid1(VALU_DEP_3)
	v_add_co_ci_u32_e32 v113, vcc_lo, s11, v35, vcc_lo
	v_add_co_u32 v110, vcc_lo, s12, v36
	s_delay_alu instid0(VALU_DEP_4) | instskip(SKIP_1) | instid1(SALU_CYCLE_1)
	v_add_co_ci_u32_e32 v111, vcc_lo, s13, v37, vcc_lo
	s_and_saveexec_b32 s3, s1
	s_xor_b32 s1, exec_lo, s3
	s_cbranch_execz .LBB228_55
; %bb.51:
	s_and_not1_b32 vcc_lo, exec_lo, s2
	s_cbranch_vccnz .LBB228_53
; %bb.52:
	v_lshlrev_b64 v[34:35], 1, v[32:33]
	s_delay_alu instid0(VALU_DEP_1) | instskip(NEXT) | instid1(VALU_DEP_2)
	v_add_co_u32 v34, vcc_lo, v112, v34
	v_add_co_ci_u32_e32 v35, vcc_lo, v113, v35, vcc_lo
	flat_load_u16 v34, v[34:35]
	s_waitcnt vmcnt(0) lgkmcnt(0)
	v_mul_f16_e32 v34, v48, v34
	s_branch .LBB228_54
.LBB228_53:
	v_mov_b32_e32 v34, 0
.LBB228_54:
	v_pk_add_f16 v35, v16, v28
	v_pk_max_f16 v36, v120, v120
	v_pk_add_f16 v37, v17, v29
	s_delay_alu instid0(VALU_DEP_2) | instskip(NEXT) | instid1(VALU_DEP_1)
	v_pk_min_f16 v35, v36, v35
	v_pk_min_f16 v37, v35, v37
	v_lshlrev_b64 v[35:36], 1, v[32:33]
	s_delay_alu instid0(VALU_DEP_2) | instskip(NEXT) | instid1(VALU_DEP_1)
	v_lshrrev_b32_e32 v38, 16, v37
	v_min3_f16 v37, v34, v37, v38
	s_delay_alu instid0(VALU_DEP_3) | instskip(NEXT) | instid1(VALU_DEP_4)
	v_add_co_u32 v34, vcc_lo, v110, v35
	v_add_co_ci_u32_e32 v35, vcc_lo, v111, v36, vcc_lo
	global_store_b16 v[34:35], v37, off
.LBB228_55:
	s_or_b32 exec_lo, exec_lo, s1
	v_add_nc_u32_e32 v34, 8, v32
	s_delay_alu instid0(VALU_DEP_1) | instskip(SKIP_1) | instid1(VALU_DEP_2)
	v_cmp_gt_i32_e64 s1, s16, v34
	v_ashrrev_i32_e32 v35, 31, v34
	s_and_b32 s3, s1, s8
	s_delay_alu instid0(SALU_CYCLE_1)
	s_and_saveexec_b32 s2, s3
	s_cbranch_execz .LBB228_60
; %bb.56:
	v_cmp_ne_u32_e32 vcc_lo, 1, v73
	s_cbranch_vccnz .LBB228_58
; %bb.57:
	v_lshlrev_b64 v[36:37], 1, v[34:35]
	s_delay_alu instid0(VALU_DEP_1) | instskip(NEXT) | instid1(VALU_DEP_2)
	v_add_co_u32 v36, vcc_lo, v112, v36
	v_add_co_ci_u32_e32 v37, vcc_lo, v113, v37, vcc_lo
	flat_load_u16 v36, v[36:37]
	s_waitcnt vmcnt(0) lgkmcnt(0)
	v_mul_f16_e32 v36, v48, v36
	s_branch .LBB228_59
.LBB228_58:
	v_mov_b32_e32 v36, 0
.LBB228_59:
	v_pk_add_f16 v37, v18, v28
	v_pk_max_f16 v38, v119, v119
	v_pk_add_f16 v39, v19, v29
	s_delay_alu instid0(VALU_DEP_2) | instskip(NEXT) | instid1(VALU_DEP_1)
	v_pk_min_f16 v37, v38, v37
	v_pk_min_f16 v39, v37, v39
	v_lshlrev_b64 v[37:38], 1, v[34:35]
	s_delay_alu instid0(VALU_DEP_2) | instskip(NEXT) | instid1(VALU_DEP_1)
	v_lshrrev_b32_e32 v40, 16, v39
	v_min3_f16 v39, v36, v39, v40
	s_delay_alu instid0(VALU_DEP_3) | instskip(NEXT) | instid1(VALU_DEP_4)
	v_add_co_u32 v36, vcc_lo, v110, v37
	v_add_co_ci_u32_e32 v37, vcc_lo, v111, v38, vcc_lo
	global_store_b16 v[36:37], v39, off
.LBB228_60:
	s_or_b32 exec_lo, exec_lo, s2
	v_add_nc_u32_e32 v36, 16, v32
	s_delay_alu instid0(VALU_DEP_1) | instskip(SKIP_1) | instid1(VALU_DEP_2)
	v_cmp_gt_i32_e64 s2, s16, v36
	v_ashrrev_i32_e32 v37, 31, v36
	s_and_b32 s4, s2, s8
	s_delay_alu instid0(SALU_CYCLE_1)
	s_and_saveexec_b32 s3, s4
	s_cbranch_execz .LBB228_65
; %bb.61:
	v_cmp_ne_u32_e32 vcc_lo, 1, v73
	s_cbranch_vccnz .LBB228_63
; %bb.62:
	v_lshlrev_b64 v[38:39], 1, v[36:37]
	s_delay_alu instid0(VALU_DEP_1) | instskip(NEXT) | instid1(VALU_DEP_2)
	v_add_co_u32 v38, vcc_lo, v112, v38
	v_add_co_ci_u32_e32 v39, vcc_lo, v113, v39, vcc_lo
	flat_load_u16 v38, v[38:39]
	s_waitcnt vmcnt(0) lgkmcnt(0)
	v_mul_f16_e32 v38, v48, v38
	s_branch .LBB228_64
.LBB228_63:
	v_mov_b32_e32 v38, 0
.LBB228_64:
	v_pk_add_f16 v39, v12, v28
	v_pk_max_f16 v40, v118, v118
	v_pk_add_f16 v41, v13, v29
	s_delay_alu instid0(VALU_DEP_2) | instskip(NEXT) | instid1(VALU_DEP_1)
	v_pk_min_f16 v39, v40, v39
	v_pk_min_f16 v41, v39, v41
	v_lshlrev_b64 v[39:40], 1, v[36:37]
	s_delay_alu instid0(VALU_DEP_2) | instskip(NEXT) | instid1(VALU_DEP_1)
	v_lshrrev_b32_e32 v42, 16, v41
	v_min3_f16 v41, v38, v41, v42
	s_delay_alu instid0(VALU_DEP_3) | instskip(NEXT) | instid1(VALU_DEP_4)
	v_add_co_u32 v38, vcc_lo, v110, v39
	v_add_co_ci_u32_e32 v39, vcc_lo, v111, v40, vcc_lo
	global_store_b16 v[38:39], v41, off
.LBB228_65:
	;; [unrolled: 39-line block ×6, first 2 shown]
	s_or_b32 exec_lo, exec_lo, s7
	v_add_nc_u32_e32 v46, 56, v32
	s_delay_alu instid0(VALU_DEP_1) | instskip(SKIP_1) | instid1(VALU_DEP_2)
	v_cmp_gt_i32_e64 s7, s16, v46
	v_ashrrev_i32_e32 v47, 31, v46
	s_and_b32 s15, s7, s8
	s_delay_alu instid0(SALU_CYCLE_1)
	s_and_saveexec_b32 s8, s15
	s_cbranch_execz .LBB228_90
; %bb.86:
	v_cmp_ne_u32_e32 vcc_lo, 1, v73
	s_cbranch_vccnz .LBB228_88
; %bb.87:
	v_lshlrev_b64 v[108:109], 1, v[46:47]
	s_delay_alu instid0(VALU_DEP_1) | instskip(NEXT) | instid1(VALU_DEP_2)
	v_add_co_u32 v108, vcc_lo, v112, v108
	v_add_co_ci_u32_e32 v109, vcc_lo, v113, v109, vcc_lo
	flat_load_u16 v108, v[108:109]
	s_waitcnt vmcnt(0) lgkmcnt(0)
	v_mul_f16_e32 v108, v48, v108
	s_branch .LBB228_89
.LBB228_88:
	v_mov_b32_e32 v108, 0
.LBB228_89:
	v_pk_add_f16 v28, v2, v28
	v_pk_max_f16 v107, v107, v107
	v_pk_add_f16 v29, v3, v29
	s_delay_alu instid0(VALU_DEP_2) | instskip(NEXT) | instid1(VALU_DEP_1)
	v_pk_min_f16 v28, v107, v28
	v_pk_min_f16 v107, v28, v29
	v_lshlrev_b64 v[28:29], 1, v[46:47]
	s_delay_alu instid0(VALU_DEP_2) | instskip(NEXT) | instid1(VALU_DEP_2)
	v_lshrrev_b32_e32 v109, 16, v107
	v_add_co_u32 v28, vcc_lo, v110, v28
	s_delay_alu instid0(VALU_DEP_3) | instskip(NEXT) | instid1(VALU_DEP_3)
	v_add_co_ci_u32_e32 v29, vcc_lo, v111, v29, vcc_lo
	v_min3_f16 v107, v108, v107, v109
	global_store_b16 v[28:29], v107, off
.LBB228_90:
	s_or_b32 exec_lo, exec_lo, s8
	v_add_nc_u32_e32 v109, 32, v81
	s_delay_alu instid0(VALU_DEP_1) | instskip(SKIP_2) | instid1(VALU_DEP_3)
	v_mad_i64_i32 v[28:29], null, v109, s14, 0
	v_mad_i64_i32 v[107:108], null, v109, s9, 0
	v_cmp_gt_i32_e64 s8, s17, v109
	v_lshlrev_b64 v[28:29], 1, v[28:29]
	s_delay_alu instid0(VALU_DEP_2) | instskip(NEXT) | instid1(VALU_DEP_3)
	s_and_b32 s16, s0, s8
	v_lshlrev_b64 v[109:110], 1, v[107:108]
	s_delay_alu instid0(VALU_DEP_2) | instskip(NEXT) | instid1(VALU_DEP_3)
	v_add_co_u32 v107, vcc_lo, s10, v28
	v_add_co_ci_u32_e32 v108, vcc_lo, s11, v29, vcc_lo
	s_delay_alu instid0(VALU_DEP_3) | instskip(NEXT) | instid1(VALU_DEP_4)
	v_add_co_u32 v28, vcc_lo, s12, v109
	v_add_co_ci_u32_e32 v29, vcc_lo, s13, v110, vcc_lo
	s_and_saveexec_b32 s15, s16
	s_cbranch_execnz .LBB228_98
; %bb.91:
	s_or_b32 exec_lo, exec_lo, s15
	s_and_b32 s16, s1, s8
	s_delay_alu instid0(SALU_CYCLE_1)
	s_and_saveexec_b32 s15, s16
	s_cbranch_execnz .LBB228_102
.LBB228_92:
	s_or_b32 exec_lo, exec_lo, s15
	s_and_b32 s16, s2, s8
	s_delay_alu instid0(SALU_CYCLE_1)
	s_and_saveexec_b32 s15, s16
	s_cbranch_execnz .LBB228_106
.LBB228_93:
	s_or_b32 exec_lo, exec_lo, s15
	s_and_b32 s16, s3, s8
	s_delay_alu instid0(SALU_CYCLE_1)
	s_and_saveexec_b32 s15, s16
	s_cbranch_execnz .LBB228_110
.LBB228_94:
	s_or_b32 exec_lo, exec_lo, s15
	s_and_b32 s16, s4, s8
	s_delay_alu instid0(SALU_CYCLE_1)
	s_and_saveexec_b32 s15, s16
	s_cbranch_execnz .LBB228_114
.LBB228_95:
	s_or_b32 exec_lo, exec_lo, s15
	s_and_b32 s16, s5, s8
	s_delay_alu instid0(SALU_CYCLE_1)
	s_and_saveexec_b32 s15, s16
	s_cbranch_execnz .LBB228_118
.LBB228_96:
	s_or_b32 exec_lo, exec_lo, s15
	s_and_b32 s16, s6, s8
	s_delay_alu instid0(SALU_CYCLE_1)
	s_and_saveexec_b32 s15, s16
	s_cbranch_execnz .LBB228_122
.LBB228_97:
	s_or_b32 exec_lo, exec_lo, s15
	s_and_b32 s15, s7, s8
	s_delay_alu instid0(SALU_CYCLE_1)
	s_and_saveexec_b32 s8, s15
	s_cbranch_execnz .LBB228_126
	s_branch .LBB228_130
.LBB228_98:
	v_cmp_ne_u32_e32 vcc_lo, 1, v73
	s_cbranch_vccnz .LBB228_100
; %bb.99:
	v_lshlrev_b64 v[109:110], 1, v[32:33]
	s_delay_alu instid0(VALU_DEP_1) | instskip(NEXT) | instid1(VALU_DEP_2)
	v_add_co_u32 v109, vcc_lo, v107, v109
	v_add_co_ci_u32_e32 v110, vcc_lo, v108, v110, vcc_lo
	flat_load_u16 v109, v[109:110]
	s_waitcnt vmcnt(0) lgkmcnt(0)
	v_mul_f16_e32 v109, v48, v109
	s_branch .LBB228_101
.LBB228_100:
	v_mov_b32_e32 v109, 0
.LBB228_101:
	v_pk_add_f16 v110, v16, v30
	v_pk_max_f16 v106, v106, v106
	v_pk_add_f16 v111, v17, v31
	s_delay_alu instid0(VALU_DEP_2) | instskip(NEXT) | instid1(VALU_DEP_1)
	v_pk_min_f16 v106, v106, v110
	v_pk_min_f16 v106, v106, v111
	v_lshlrev_b64 v[110:111], 1, v[32:33]
	s_delay_alu instid0(VALU_DEP_2) | instskip(NEXT) | instid1(VALU_DEP_1)
	v_lshrrev_b32_e32 v112, 16, v106
	v_min3_f16 v106, v109, v106, v112
	s_delay_alu instid0(VALU_DEP_3) | instskip(NEXT) | instid1(VALU_DEP_4)
	v_add_co_u32 v109, vcc_lo, v28, v110
	v_add_co_ci_u32_e32 v110, vcc_lo, v29, v111, vcc_lo
	global_store_b16 v[109:110], v106, off
	s_or_b32 exec_lo, exec_lo, s15
	s_and_b32 s16, s1, s8
	s_delay_alu instid0(SALU_CYCLE_1)
	s_and_saveexec_b32 s15, s16
	s_cbranch_execz .LBB228_92
.LBB228_102:
	v_cmp_ne_u32_e32 vcc_lo, 1, v73
	s_cbranch_vccnz .LBB228_104
; %bb.103:
	v_lshlrev_b64 v[109:110], 1, v[34:35]
	s_delay_alu instid0(VALU_DEP_1) | instskip(NEXT) | instid1(VALU_DEP_2)
	v_add_co_u32 v109, vcc_lo, v107, v109
	v_add_co_ci_u32_e32 v110, vcc_lo, v108, v110, vcc_lo
	flat_load_u16 v106, v[109:110]
	s_waitcnt vmcnt(0) lgkmcnt(0)
	v_mul_f16_e32 v106, v48, v106
	s_branch .LBB228_105
.LBB228_104:
	v_mov_b32_e32 v106, 0
.LBB228_105:
	v_pk_add_f16 v109, v18, v30
	v_pk_max_f16 v105, v105, v105
	v_pk_add_f16 v110, v19, v31
	s_delay_alu instid0(VALU_DEP_2) | instskip(NEXT) | instid1(VALU_DEP_1)
	v_pk_min_f16 v105, v105, v109
	v_pk_min_f16 v105, v105, v110
	v_lshlrev_b64 v[109:110], 1, v[34:35]
	s_delay_alu instid0(VALU_DEP_2) | instskip(NEXT) | instid1(VALU_DEP_1)
	v_lshrrev_b32_e32 v111, 16, v105
	v_min3_f16 v111, v106, v105, v111
	s_delay_alu instid0(VALU_DEP_3) | instskip(NEXT) | instid1(VALU_DEP_4)
	v_add_co_u32 v105, vcc_lo, v28, v109
	v_add_co_ci_u32_e32 v106, vcc_lo, v29, v110, vcc_lo
	global_store_b16 v[105:106], v111, off
	s_or_b32 exec_lo, exec_lo, s15
	s_and_b32 s16, s2, s8
	s_delay_alu instid0(SALU_CYCLE_1)
	s_and_saveexec_b32 s15, s16
	s_cbranch_execz .LBB228_93
.LBB228_106:
	v_cmp_ne_u32_e32 vcc_lo, 1, v73
	s_cbranch_vccnz .LBB228_108
; %bb.107:
	v_lshlrev_b64 v[105:106], 1, v[36:37]
	s_delay_alu instid0(VALU_DEP_1) | instskip(NEXT) | instid1(VALU_DEP_2)
	v_add_co_u32 v105, vcc_lo, v107, v105
	v_add_co_ci_u32_e32 v106, vcc_lo, v108, v106, vcc_lo
	flat_load_u16 v105, v[105:106]
	s_waitcnt vmcnt(0) lgkmcnt(0)
	v_mul_f16_e32 v105, v48, v105
	s_branch .LBB228_109
.LBB228_108:
	v_mov_b32_e32 v105, 0
.LBB228_109:
	v_pk_add_f16 v106, v12, v30
	v_pk_max_f16 v104, v104, v104
	v_pk_add_f16 v109, v13, v31
	s_delay_alu instid0(VALU_DEP_2) | instskip(NEXT) | instid1(VALU_DEP_1)
	v_pk_min_f16 v104, v104, v106
	v_pk_min_f16 v104, v104, v109
	v_lshlrev_b64 v[109:110], 1, v[36:37]
	s_delay_alu instid0(VALU_DEP_2) | instskip(NEXT) | instid1(VALU_DEP_1)
	v_lshrrev_b32_e32 v106, 16, v104
	v_min3_f16 v106, v105, v104, v106
	s_delay_alu instid0(VALU_DEP_3) | instskip(NEXT) | instid1(VALU_DEP_4)
	v_add_co_u32 v104, vcc_lo, v28, v109
	v_add_co_ci_u32_e32 v105, vcc_lo, v29, v110, vcc_lo
	global_store_b16 v[104:105], v106, off
	s_or_b32 exec_lo, exec_lo, s15
	s_and_b32 s16, s3, s8
	s_delay_alu instid0(SALU_CYCLE_1)
	s_and_saveexec_b32 s15, s16
	s_cbranch_execz .LBB228_94
.LBB228_110:
	v_cmp_ne_u32_e32 vcc_lo, 1, v73
	s_cbranch_vccnz .LBB228_112
; %bb.111:
	v_lshlrev_b64 v[104:105], 1, v[38:39]
	s_delay_alu instid0(VALU_DEP_1) | instskip(NEXT) | instid1(VALU_DEP_2)
	v_add_co_u32 v104, vcc_lo, v107, v104
	v_add_co_ci_u32_e32 v105, vcc_lo, v108, v105, vcc_lo
	flat_load_u16 v104, v[104:105]
	s_waitcnt vmcnt(0) lgkmcnt(0)
	v_mul_f16_e32 v104, v48, v104
	s_branch .LBB228_113
.LBB228_112:
	v_mov_b32_e32 v104, 0
.LBB228_113:
	v_pk_add_f16 v105, v14, v30
	v_pk_max_f16 v103, v103, v103
	v_pk_add_f16 v106, v15, v31
	s_delay_alu instid0(VALU_DEP_2) | instskip(NEXT) | instid1(VALU_DEP_1)
	v_pk_min_f16 v103, v103, v105
	v_pk_min_f16 v103, v103, v106
	v_lshlrev_b64 v[105:106], 1, v[38:39]
	s_delay_alu instid0(VALU_DEP_2) | instskip(NEXT) | instid1(VALU_DEP_1)
	v_lshrrev_b32_e32 v109, 16, v103
	v_min3_f16 v109, v104, v103, v109
	s_delay_alu instid0(VALU_DEP_3) | instskip(NEXT) | instid1(VALU_DEP_4)
	v_add_co_u32 v103, vcc_lo, v28, v105
	v_add_co_ci_u32_e32 v104, vcc_lo, v29, v106, vcc_lo
	global_store_b16 v[103:104], v109, off
	s_or_b32 exec_lo, exec_lo, s15
	s_and_b32 s16, s4, s8
	s_delay_alu instid0(SALU_CYCLE_1)
	s_and_saveexec_b32 s15, s16
	s_cbranch_execz .LBB228_95
.LBB228_114:
	v_cmp_ne_u32_e32 vcc_lo, 1, v73
	s_cbranch_vccnz .LBB228_116
; %bb.115:
	v_lshlrev_b64 v[103:104], 1, v[40:41]
	s_delay_alu instid0(VALU_DEP_1) | instskip(NEXT) | instid1(VALU_DEP_2)
	v_add_co_u32 v103, vcc_lo, v107, v103
	v_add_co_ci_u32_e32 v104, vcc_lo, v108, v104, vcc_lo
	flat_load_u16 v103, v[103:104]
	s_waitcnt vmcnt(0) lgkmcnt(0)
	v_mul_f16_e32 v103, v48, v103
	s_branch .LBB228_117
.LBB228_116:
	v_mov_b32_e32 v103, 0
.LBB228_117:
	v_pk_add_f16 v104, v8, v30
	v_pk_max_f16 v102, v102, v102
	v_pk_add_f16 v105, v9, v31
	s_delay_alu instid0(VALU_DEP_2) | instskip(NEXT) | instid1(VALU_DEP_1)
	v_pk_min_f16 v102, v102, v104
	v_pk_min_f16 v102, v102, v105
	v_lshlrev_b64 v[104:105], 1, v[40:41]
	s_delay_alu instid0(VALU_DEP_2) | instskip(NEXT) | instid1(VALU_DEP_1)
	v_lshrrev_b32_e32 v106, 16, v102
	v_min3_f16 v106, v103, v102, v106
	s_delay_alu instid0(VALU_DEP_3) | instskip(NEXT) | instid1(VALU_DEP_4)
	v_add_co_u32 v102, vcc_lo, v28, v104
	v_add_co_ci_u32_e32 v103, vcc_lo, v29, v105, vcc_lo
	global_store_b16 v[102:103], v106, off
	s_or_b32 exec_lo, exec_lo, s15
	s_and_b32 s16, s5, s8
	s_delay_alu instid0(SALU_CYCLE_1)
	s_and_saveexec_b32 s15, s16
	s_cbranch_execz .LBB228_96
.LBB228_118:
	v_cmp_ne_u32_e32 vcc_lo, 1, v73
	s_cbranch_vccnz .LBB228_120
; %bb.119:
	v_lshlrev_b64 v[102:103], 1, v[42:43]
	s_delay_alu instid0(VALU_DEP_1) | instskip(NEXT) | instid1(VALU_DEP_2)
	v_add_co_u32 v102, vcc_lo, v107, v102
	v_add_co_ci_u32_e32 v103, vcc_lo, v108, v103, vcc_lo
	flat_load_u16 v102, v[102:103]
	s_waitcnt vmcnt(0) lgkmcnt(0)
	v_mul_f16_e32 v102, v48, v102
	s_branch .LBB228_121
.LBB228_120:
	v_mov_b32_e32 v102, 0
.LBB228_121:
	v_pk_add_f16 v103, v10, v30
	v_pk_max_f16 v101, v101, v101
	v_pk_add_f16 v104, v11, v31
	s_delay_alu instid0(VALU_DEP_2) | instskip(NEXT) | instid1(VALU_DEP_1)
	v_pk_min_f16 v101, v101, v103
	v_pk_min_f16 v101, v101, v104
	v_lshlrev_b64 v[103:104], 1, v[42:43]
	s_delay_alu instid0(VALU_DEP_2) | instskip(NEXT) | instid1(VALU_DEP_1)
	v_lshrrev_b32_e32 v105, 16, v101
	v_min3_f16 v105, v102, v101, v105
	s_delay_alu instid0(VALU_DEP_3) | instskip(NEXT) | instid1(VALU_DEP_4)
	v_add_co_u32 v101, vcc_lo, v28, v103
	v_add_co_ci_u32_e32 v102, vcc_lo, v29, v104, vcc_lo
	global_store_b16 v[101:102], v105, off
	s_or_b32 exec_lo, exec_lo, s15
	s_and_b32 s16, s6, s8
	s_delay_alu instid0(SALU_CYCLE_1)
	s_and_saveexec_b32 s15, s16
	s_cbranch_execz .LBB228_97
.LBB228_122:
	v_cmp_ne_u32_e32 vcc_lo, 1, v73
	s_cbranch_vccnz .LBB228_124
; %bb.123:
	v_lshlrev_b64 v[101:102], 1, v[44:45]
	s_delay_alu instid0(VALU_DEP_1) | instskip(NEXT) | instid1(VALU_DEP_2)
	v_add_co_u32 v101, vcc_lo, v107, v101
	v_add_co_ci_u32_e32 v102, vcc_lo, v108, v102, vcc_lo
	flat_load_u16 v101, v[101:102]
	s_waitcnt vmcnt(0) lgkmcnt(0)
	v_mul_f16_e32 v101, v48, v101
	s_branch .LBB228_125
.LBB228_124:
	v_mov_b32_e32 v101, 0
.LBB228_125:
	v_pk_add_f16 v102, v0, v30
	v_pk_max_f16 v100, v100, v100
	v_pk_add_f16 v103, v1, v31
	s_delay_alu instid0(VALU_DEP_2) | instskip(NEXT) | instid1(VALU_DEP_1)
	v_pk_min_f16 v100, v100, v102
	v_pk_min_f16 v100, v100, v103
	v_lshlrev_b64 v[102:103], 1, v[44:45]
	s_delay_alu instid0(VALU_DEP_2) | instskip(NEXT) | instid1(VALU_DEP_1)
	v_lshrrev_b32_e32 v104, 16, v100
	v_min3_f16 v104, v101, v100, v104
	s_delay_alu instid0(VALU_DEP_3) | instskip(NEXT) | instid1(VALU_DEP_4)
	v_add_co_u32 v100, vcc_lo, v28, v102
	v_add_co_ci_u32_e32 v101, vcc_lo, v29, v103, vcc_lo
	global_store_b16 v[100:101], v104, off
	s_or_b32 exec_lo, exec_lo, s15
	s_and_b32 s15, s7, s8
	s_delay_alu instid0(SALU_CYCLE_1)
	s_and_saveexec_b32 s8, s15
	s_cbranch_execz .LBB228_130
.LBB228_126:
	v_cmp_ne_u32_e32 vcc_lo, 1, v73
	s_cbranch_vccnz .LBB228_128
; %bb.127:
	v_lshlrev_b64 v[100:101], 1, v[46:47]
	s_delay_alu instid0(VALU_DEP_1) | instskip(NEXT) | instid1(VALU_DEP_2)
	v_add_co_u32 v100, vcc_lo, v107, v100
	v_add_co_ci_u32_e32 v101, vcc_lo, v108, v101, vcc_lo
	flat_load_u16 v100, v[100:101]
	s_waitcnt vmcnt(0) lgkmcnt(0)
	v_mul_f16_e32 v100, v48, v100
	s_branch .LBB228_129
.LBB228_128:
	v_mov_b32_e32 v100, 0
.LBB228_129:
	v_pk_add_f16 v30, v2, v30
	v_pk_max_f16 v99, v99, v99
	v_pk_add_f16 v31, v3, v31
	s_delay_alu instid0(VALU_DEP_2) | instskip(NEXT) | instid1(VALU_DEP_1)
	v_pk_min_f16 v30, v99, v30
	v_pk_min_f16 v99, v30, v31
	v_lshlrev_b64 v[30:31], 1, v[46:47]
	s_delay_alu instid0(VALU_DEP_2) | instskip(NEXT) | instid1(VALU_DEP_2)
	v_lshrrev_b32_e32 v101, 16, v99
	v_add_co_u32 v28, vcc_lo, v28, v30
	s_delay_alu instid0(VALU_DEP_3) | instskip(NEXT) | instid1(VALU_DEP_3)
	v_add_co_ci_u32_e32 v29, vcc_lo, v29, v31, vcc_lo
	v_min3_f16 v99, v100, v99, v101
	global_store_b16 v[28:29], v99, off
.LBB228_130:
	s_or_b32 exec_lo, exec_lo, s8
	v_add_nc_u32_e32 v99, 64, v81
	s_delay_alu instid0(VALU_DEP_1) | instskip(SKIP_2) | instid1(VALU_DEP_3)
	v_mad_i64_i32 v[28:29], null, v99, s14, 0
	v_mad_i64_i32 v[30:31], null, v99, s9, 0
	v_cmp_gt_i32_e64 s8, s17, v99
	v_lshlrev_b64 v[28:29], 1, v[28:29]
	s_delay_alu instid0(VALU_DEP_2) | instskip(NEXT) | instid1(VALU_DEP_3)
	s_and_b32 s16, s0, s8
	v_lshlrev_b64 v[99:100], 1, v[30:31]
	s_delay_alu instid0(VALU_DEP_2) | instskip(NEXT) | instid1(VALU_DEP_3)
	v_add_co_u32 v30, vcc_lo, s10, v28
	v_add_co_ci_u32_e32 v31, vcc_lo, s11, v29, vcc_lo
	s_delay_alu instid0(VALU_DEP_3) | instskip(NEXT) | instid1(VALU_DEP_4)
	v_add_co_u32 v28, vcc_lo, s12, v99
	v_add_co_ci_u32_e32 v29, vcc_lo, s13, v100, vcc_lo
	s_and_saveexec_b32 s15, s16
	s_cbranch_execnz .LBB228_138
; %bb.131:
	s_or_b32 exec_lo, exec_lo, s15
	s_and_b32 s16, s1, s8
	s_delay_alu instid0(SALU_CYCLE_1)
	s_and_saveexec_b32 s15, s16
	s_cbranch_execnz .LBB228_142
.LBB228_132:
	s_or_b32 exec_lo, exec_lo, s15
	s_and_b32 s16, s2, s8
	s_delay_alu instid0(SALU_CYCLE_1)
	s_and_saveexec_b32 s15, s16
	s_cbranch_execnz .LBB228_146
.LBB228_133:
	s_or_b32 exec_lo, exec_lo, s15
	s_and_b32 s16, s3, s8
	s_delay_alu instid0(SALU_CYCLE_1)
	s_and_saveexec_b32 s15, s16
	s_cbranch_execnz .LBB228_150
.LBB228_134:
	s_or_b32 exec_lo, exec_lo, s15
	s_and_b32 s16, s4, s8
	s_delay_alu instid0(SALU_CYCLE_1)
	s_and_saveexec_b32 s15, s16
	s_cbranch_execnz .LBB228_154
.LBB228_135:
	s_or_b32 exec_lo, exec_lo, s15
	s_and_b32 s16, s5, s8
	s_delay_alu instid0(SALU_CYCLE_1)
	s_and_saveexec_b32 s15, s16
	s_cbranch_execnz .LBB228_158
.LBB228_136:
	s_or_b32 exec_lo, exec_lo, s15
	s_and_b32 s16, s6, s8
	s_delay_alu instid0(SALU_CYCLE_1)
	s_and_saveexec_b32 s15, s16
	s_cbranch_execnz .LBB228_162
.LBB228_137:
	s_or_b32 exec_lo, exec_lo, s15
	s_and_b32 s15, s7, s8
	s_delay_alu instid0(SALU_CYCLE_1)
	s_and_saveexec_b32 s8, s15
	s_cbranch_execnz .LBB228_166
	s_branch .LBB228_170
.LBB228_138:
	v_cmp_ne_u32_e32 vcc_lo, 1, v73
	s_cbranch_vccnz .LBB228_140
; %bb.139:
	v_lshlrev_b64 v[99:100], 1, v[32:33]
	s_delay_alu instid0(VALU_DEP_1) | instskip(NEXT) | instid1(VALU_DEP_2)
	v_add_co_u32 v99, vcc_lo, v30, v99
	v_add_co_ci_u32_e32 v100, vcc_lo, v31, v100, vcc_lo
	flat_load_u16 v99, v[99:100]
	s_waitcnt vmcnt(0) lgkmcnt(0)
	v_mul_f16_e32 v99, v48, v99
	s_branch .LBB228_141
.LBB228_140:
	v_mov_b32_e32 v99, 0
.LBB228_141:
	v_pk_add_f16 v100, v16, v24
	v_pk_max_f16 v98, v98, v98
	v_pk_add_f16 v101, v17, v25
	s_delay_alu instid0(VALU_DEP_2) | instskip(NEXT) | instid1(VALU_DEP_1)
	v_pk_min_f16 v98, v98, v100
	v_pk_min_f16 v98, v98, v101
	v_lshlrev_b64 v[100:101], 1, v[32:33]
	s_delay_alu instid0(VALU_DEP_2) | instskip(NEXT) | instid1(VALU_DEP_1)
	v_lshrrev_b32_e32 v102, 16, v98
	v_min3_f16 v102, v99, v98, v102
	s_delay_alu instid0(VALU_DEP_3) | instskip(NEXT) | instid1(VALU_DEP_4)
	v_add_co_u32 v98, vcc_lo, v28, v100
	v_add_co_ci_u32_e32 v99, vcc_lo, v29, v101, vcc_lo
	global_store_b16 v[98:99], v102, off
	s_or_b32 exec_lo, exec_lo, s15
	s_and_b32 s16, s1, s8
	s_delay_alu instid0(SALU_CYCLE_1)
	s_and_saveexec_b32 s15, s16
	s_cbranch_execz .LBB228_132
.LBB228_142:
	v_cmp_ne_u32_e32 vcc_lo, 1, v73
	s_cbranch_vccnz .LBB228_144
; %bb.143:
	v_lshlrev_b64 v[98:99], 1, v[34:35]
	s_delay_alu instid0(VALU_DEP_1) | instskip(NEXT) | instid1(VALU_DEP_2)
	v_add_co_u32 v98, vcc_lo, v30, v98
	v_add_co_ci_u32_e32 v99, vcc_lo, v31, v99, vcc_lo
	flat_load_u16 v98, v[98:99]
	s_waitcnt vmcnt(0) lgkmcnt(0)
	v_mul_f16_e32 v98, v48, v98
	s_branch .LBB228_145
.LBB228_144:
	v_mov_b32_e32 v98, 0
.LBB228_145:
	v_pk_add_f16 v99, v18, v24
	v_pk_max_f16 v97, v97, v97
	v_pk_add_f16 v100, v19, v25
	s_delay_alu instid0(VALU_DEP_2) | instskip(NEXT) | instid1(VALU_DEP_1)
	v_pk_min_f16 v97, v97, v99
	v_pk_min_f16 v97, v97, v100
	v_lshlrev_b64 v[99:100], 1, v[34:35]
	s_delay_alu instid0(VALU_DEP_2) | instskip(NEXT) | instid1(VALU_DEP_1)
	v_lshrrev_b32_e32 v101, 16, v97
	v_min3_f16 v101, v98, v97, v101
	s_delay_alu instid0(VALU_DEP_3) | instskip(NEXT) | instid1(VALU_DEP_4)
	v_add_co_u32 v97, vcc_lo, v28, v99
	v_add_co_ci_u32_e32 v98, vcc_lo, v29, v100, vcc_lo
	global_store_b16 v[97:98], v101, off
	s_or_b32 exec_lo, exec_lo, s15
	s_and_b32 s16, s2, s8
	s_delay_alu instid0(SALU_CYCLE_1)
	s_and_saveexec_b32 s15, s16
	s_cbranch_execz .LBB228_133
.LBB228_146:
	v_cmp_ne_u32_e32 vcc_lo, 1, v73
	s_cbranch_vccnz .LBB228_148
; %bb.147:
	v_lshlrev_b64 v[97:98], 1, v[36:37]
	s_delay_alu instid0(VALU_DEP_1) | instskip(NEXT) | instid1(VALU_DEP_2)
	v_add_co_u32 v97, vcc_lo, v30, v97
	v_add_co_ci_u32_e32 v98, vcc_lo, v31, v98, vcc_lo
	flat_load_u16 v97, v[97:98]
	s_waitcnt vmcnt(0) lgkmcnt(0)
	v_mul_f16_e32 v97, v48, v97
	s_branch .LBB228_149
.LBB228_148:
	v_mov_b32_e32 v97, 0
.LBB228_149:
	v_pk_add_f16 v98, v12, v24
	v_pk_max_f16 v96, v96, v96
	v_pk_add_f16 v99, v13, v25
	s_delay_alu instid0(VALU_DEP_2) | instskip(NEXT) | instid1(VALU_DEP_1)
	v_pk_min_f16 v96, v96, v98
	v_pk_min_f16 v96, v96, v99
	v_lshlrev_b64 v[98:99], 1, v[36:37]
	s_delay_alu instid0(VALU_DEP_2) | instskip(NEXT) | instid1(VALU_DEP_1)
	v_lshrrev_b32_e32 v100, 16, v96
	v_min3_f16 v100, v97, v96, v100
	s_delay_alu instid0(VALU_DEP_3) | instskip(NEXT) | instid1(VALU_DEP_4)
	v_add_co_u32 v96, vcc_lo, v28, v98
	v_add_co_ci_u32_e32 v97, vcc_lo, v29, v99, vcc_lo
	global_store_b16 v[96:97], v100, off
	s_or_b32 exec_lo, exec_lo, s15
	s_and_b32 s16, s3, s8
	s_delay_alu instid0(SALU_CYCLE_1)
	s_and_saveexec_b32 s15, s16
	s_cbranch_execz .LBB228_134
.LBB228_150:
	v_cmp_ne_u32_e32 vcc_lo, 1, v73
	s_cbranch_vccnz .LBB228_152
; %bb.151:
	v_lshlrev_b64 v[96:97], 1, v[38:39]
	s_delay_alu instid0(VALU_DEP_1) | instskip(NEXT) | instid1(VALU_DEP_2)
	v_add_co_u32 v96, vcc_lo, v30, v96
	v_add_co_ci_u32_e32 v97, vcc_lo, v31, v97, vcc_lo
	flat_load_u16 v96, v[96:97]
	s_waitcnt vmcnt(0) lgkmcnt(0)
	v_mul_f16_e32 v96, v48, v96
	s_branch .LBB228_153
.LBB228_152:
	v_mov_b32_e32 v96, 0
.LBB228_153:
	v_pk_add_f16 v97, v14, v24
	v_pk_max_f16 v95, v95, v95
	v_pk_add_f16 v98, v15, v25
	s_delay_alu instid0(VALU_DEP_2) | instskip(NEXT) | instid1(VALU_DEP_1)
	v_pk_min_f16 v95, v95, v97
	v_pk_min_f16 v95, v95, v98
	v_lshlrev_b64 v[97:98], 1, v[38:39]
	s_delay_alu instid0(VALU_DEP_2) | instskip(NEXT) | instid1(VALU_DEP_1)
	v_lshrrev_b32_e32 v99, 16, v95
	v_min3_f16 v99, v96, v95, v99
	s_delay_alu instid0(VALU_DEP_3) | instskip(NEXT) | instid1(VALU_DEP_4)
	v_add_co_u32 v95, vcc_lo, v28, v97
	v_add_co_ci_u32_e32 v96, vcc_lo, v29, v98, vcc_lo
	global_store_b16 v[95:96], v99, off
	s_or_b32 exec_lo, exec_lo, s15
	s_and_b32 s16, s4, s8
	s_delay_alu instid0(SALU_CYCLE_1)
	s_and_saveexec_b32 s15, s16
	s_cbranch_execz .LBB228_135
.LBB228_154:
	v_cmp_ne_u32_e32 vcc_lo, 1, v73
	s_cbranch_vccnz .LBB228_156
; %bb.155:
	v_lshlrev_b64 v[95:96], 1, v[40:41]
	s_delay_alu instid0(VALU_DEP_1) | instskip(NEXT) | instid1(VALU_DEP_2)
	v_add_co_u32 v95, vcc_lo, v30, v95
	v_add_co_ci_u32_e32 v96, vcc_lo, v31, v96, vcc_lo
	flat_load_u16 v95, v[95:96]
	s_waitcnt vmcnt(0) lgkmcnt(0)
	v_mul_f16_e32 v95, v48, v95
	s_branch .LBB228_157
.LBB228_156:
	v_mov_b32_e32 v95, 0
.LBB228_157:
	v_pk_add_f16 v96, v8, v24
	v_pk_max_f16 v94, v94, v94
	v_pk_add_f16 v97, v9, v25
	s_delay_alu instid0(VALU_DEP_2) | instskip(NEXT) | instid1(VALU_DEP_1)
	v_pk_min_f16 v94, v94, v96
	v_pk_min_f16 v94, v94, v97
	v_lshlrev_b64 v[96:97], 1, v[40:41]
	s_delay_alu instid0(VALU_DEP_2) | instskip(NEXT) | instid1(VALU_DEP_1)
	v_lshrrev_b32_e32 v98, 16, v94
	v_min3_f16 v98, v95, v94, v98
	s_delay_alu instid0(VALU_DEP_3) | instskip(NEXT) | instid1(VALU_DEP_4)
	v_add_co_u32 v94, vcc_lo, v28, v96
	v_add_co_ci_u32_e32 v95, vcc_lo, v29, v97, vcc_lo
	global_store_b16 v[94:95], v98, off
	s_or_b32 exec_lo, exec_lo, s15
	s_and_b32 s16, s5, s8
	s_delay_alu instid0(SALU_CYCLE_1)
	s_and_saveexec_b32 s15, s16
	s_cbranch_execz .LBB228_136
.LBB228_158:
	v_cmp_ne_u32_e32 vcc_lo, 1, v73
	s_cbranch_vccnz .LBB228_160
; %bb.159:
	v_lshlrev_b64 v[94:95], 1, v[42:43]
	s_delay_alu instid0(VALU_DEP_1) | instskip(NEXT) | instid1(VALU_DEP_2)
	v_add_co_u32 v94, vcc_lo, v30, v94
	v_add_co_ci_u32_e32 v95, vcc_lo, v31, v95, vcc_lo
	flat_load_u16 v94, v[94:95]
	s_waitcnt vmcnt(0) lgkmcnt(0)
	v_mul_f16_e32 v94, v48, v94
	s_branch .LBB228_161
.LBB228_160:
	v_mov_b32_e32 v94, 0
.LBB228_161:
	v_pk_add_f16 v95, v10, v24
	v_pk_max_f16 v93, v93, v93
	v_pk_add_f16 v96, v11, v25
	s_delay_alu instid0(VALU_DEP_2) | instskip(NEXT) | instid1(VALU_DEP_1)
	v_pk_min_f16 v93, v93, v95
	v_pk_min_f16 v93, v93, v96
	v_lshlrev_b64 v[95:96], 1, v[42:43]
	s_delay_alu instid0(VALU_DEP_2) | instskip(NEXT) | instid1(VALU_DEP_1)
	v_lshrrev_b32_e32 v97, 16, v93
	v_min3_f16 v97, v94, v93, v97
	s_delay_alu instid0(VALU_DEP_3) | instskip(NEXT) | instid1(VALU_DEP_4)
	v_add_co_u32 v93, vcc_lo, v28, v95
	v_add_co_ci_u32_e32 v94, vcc_lo, v29, v96, vcc_lo
	global_store_b16 v[93:94], v97, off
	s_or_b32 exec_lo, exec_lo, s15
	s_and_b32 s16, s6, s8
	s_delay_alu instid0(SALU_CYCLE_1)
	s_and_saveexec_b32 s15, s16
	s_cbranch_execz .LBB228_137
.LBB228_162:
	v_cmp_ne_u32_e32 vcc_lo, 1, v73
	s_cbranch_vccnz .LBB228_164
; %bb.163:
	v_lshlrev_b64 v[93:94], 1, v[44:45]
	s_delay_alu instid0(VALU_DEP_1) | instskip(NEXT) | instid1(VALU_DEP_2)
	v_add_co_u32 v93, vcc_lo, v30, v93
	v_add_co_ci_u32_e32 v94, vcc_lo, v31, v94, vcc_lo
	flat_load_u16 v93, v[93:94]
	s_waitcnt vmcnt(0) lgkmcnt(0)
	v_mul_f16_e32 v93, v48, v93
	s_branch .LBB228_165
.LBB228_164:
	v_mov_b32_e32 v93, 0
.LBB228_165:
	v_pk_add_f16 v94, v0, v24
	v_pk_max_f16 v92, v92, v92
	v_pk_add_f16 v95, v1, v25
	s_delay_alu instid0(VALU_DEP_2) | instskip(NEXT) | instid1(VALU_DEP_1)
	v_pk_min_f16 v92, v92, v94
	v_pk_min_f16 v92, v92, v95
	v_lshlrev_b64 v[94:95], 1, v[44:45]
	s_delay_alu instid0(VALU_DEP_2) | instskip(NEXT) | instid1(VALU_DEP_1)
	v_lshrrev_b32_e32 v96, 16, v92
	v_min3_f16 v96, v93, v92, v96
	s_delay_alu instid0(VALU_DEP_3) | instskip(NEXT) | instid1(VALU_DEP_4)
	v_add_co_u32 v92, vcc_lo, v28, v94
	v_add_co_ci_u32_e32 v93, vcc_lo, v29, v95, vcc_lo
	global_store_b16 v[92:93], v96, off
	s_or_b32 exec_lo, exec_lo, s15
	s_and_b32 s15, s7, s8
	s_delay_alu instid0(SALU_CYCLE_1)
	s_and_saveexec_b32 s8, s15
	s_cbranch_execz .LBB228_170
.LBB228_166:
	v_cmp_ne_u32_e32 vcc_lo, 1, v73
	s_cbranch_vccnz .LBB228_168
; %bb.167:
	v_lshlrev_b64 v[92:93], 1, v[46:47]
	s_delay_alu instid0(VALU_DEP_1) | instskip(NEXT) | instid1(VALU_DEP_2)
	v_add_co_u32 v30, vcc_lo, v30, v92
	v_add_co_ci_u32_e32 v31, vcc_lo, v31, v93, vcc_lo
	flat_load_u16 v30, v[30:31]
	s_waitcnt vmcnt(0) lgkmcnt(0)
	v_mul_f16_e32 v30, v48, v30
	s_branch .LBB228_169
.LBB228_168:
	v_mov_b32_e32 v30, 0
.LBB228_169:
	v_pk_add_f16 v24, v2, v24
	v_pk_max_f16 v31, v91, v91
	v_pk_add_f16 v25, v3, v25
	s_delay_alu instid0(VALU_DEP_2) | instskip(NEXT) | instid1(VALU_DEP_1)
	v_pk_min_f16 v24, v31, v24
	v_pk_min_f16 v31, v24, v25
	v_lshlrev_b64 v[24:25], 1, v[46:47]
	s_delay_alu instid0(VALU_DEP_2) | instskip(NEXT) | instid1(VALU_DEP_2)
	v_lshrrev_b32_e32 v91, 16, v31
	v_add_co_u32 v24, vcc_lo, v28, v24
	s_delay_alu instid0(VALU_DEP_3) | instskip(NEXT) | instid1(VALU_DEP_3)
	v_add_co_ci_u32_e32 v25, vcc_lo, v29, v25, vcc_lo
	v_min3_f16 v30, v30, v31, v91
	global_store_b16 v[24:25], v30, off
.LBB228_170:
	s_or_b32 exec_lo, exec_lo, s8
	v_add_nc_u32_e32 v30, 0x60, v81
	s_delay_alu instid0(VALU_DEP_1) | instskip(SKIP_2) | instid1(VALU_DEP_3)
	v_mad_i64_i32 v[24:25], null, v30, s14, 0
	v_mad_i64_i32 v[28:29], null, v30, s9, 0
	v_cmp_gt_i32_e64 s8, s17, v30
	v_lshlrev_b64 v[24:25], 1, v[24:25]
	s_delay_alu instid0(VALU_DEP_2) | instskip(NEXT) | instid1(VALU_DEP_3)
	s_and_b32 s16, s0, s8
	v_lshlrev_b64 v[30:31], 1, v[28:29]
	s_delay_alu instid0(VALU_DEP_2) | instskip(NEXT) | instid1(VALU_DEP_3)
	v_add_co_u32 v28, vcc_lo, s10, v24
	v_add_co_ci_u32_e32 v29, vcc_lo, s11, v25, vcc_lo
	s_delay_alu instid0(VALU_DEP_3) | instskip(NEXT) | instid1(VALU_DEP_4)
	v_add_co_u32 v24, vcc_lo, s12, v30
	v_add_co_ci_u32_e32 v25, vcc_lo, s13, v31, vcc_lo
	s_and_saveexec_b32 s15, s16
	s_cbranch_execnz .LBB228_178
; %bb.171:
	s_or_b32 exec_lo, exec_lo, s15
	s_and_b32 s16, s1, s8
	s_delay_alu instid0(SALU_CYCLE_1)
	s_and_saveexec_b32 s15, s16
	s_cbranch_execnz .LBB228_182
.LBB228_172:
	s_or_b32 exec_lo, exec_lo, s15
	s_and_b32 s16, s2, s8
	s_delay_alu instid0(SALU_CYCLE_1)
	s_and_saveexec_b32 s15, s16
	s_cbranch_execnz .LBB228_186
.LBB228_173:
	s_or_b32 exec_lo, exec_lo, s15
	s_and_b32 s16, s3, s8
	s_delay_alu instid0(SALU_CYCLE_1)
	s_and_saveexec_b32 s15, s16
	s_cbranch_execnz .LBB228_190
.LBB228_174:
	s_or_b32 exec_lo, exec_lo, s15
	s_and_b32 s16, s4, s8
	s_delay_alu instid0(SALU_CYCLE_1)
	s_and_saveexec_b32 s15, s16
	s_cbranch_execnz .LBB228_194
.LBB228_175:
	s_or_b32 exec_lo, exec_lo, s15
	s_and_b32 s16, s5, s8
	s_delay_alu instid0(SALU_CYCLE_1)
	s_and_saveexec_b32 s15, s16
	s_cbranch_execnz .LBB228_198
.LBB228_176:
	s_or_b32 exec_lo, exec_lo, s15
	s_and_b32 s16, s6, s8
	s_delay_alu instid0(SALU_CYCLE_1)
	s_and_saveexec_b32 s15, s16
	s_cbranch_execnz .LBB228_202
.LBB228_177:
	s_or_b32 exec_lo, exec_lo, s15
	s_and_b32 s15, s7, s8
	s_delay_alu instid0(SALU_CYCLE_1)
	s_and_saveexec_b32 s8, s15
	s_cbranch_execnz .LBB228_206
	s_branch .LBB228_210
.LBB228_178:
	v_cmp_ne_u32_e32 vcc_lo, 1, v73
	s_cbranch_vccnz .LBB228_180
; %bb.179:
	v_lshlrev_b64 v[30:31], 1, v[32:33]
	s_delay_alu instid0(VALU_DEP_1) | instskip(NEXT) | instid1(VALU_DEP_2)
	v_add_co_u32 v30, vcc_lo, v28, v30
	v_add_co_ci_u32_e32 v31, vcc_lo, v29, v31, vcc_lo
	flat_load_u16 v30, v[30:31]
	s_waitcnt vmcnt(0) lgkmcnt(0)
	v_mul_f16_e32 v30, v48, v30
	s_branch .LBB228_181
.LBB228_180:
	v_mov_b32_e32 v30, 0
.LBB228_181:
	v_pk_add_f16 v31, v16, v26
	v_pk_max_f16 v90, v90, v90
	v_pk_add_f16 v91, v17, v27
	s_delay_alu instid0(VALU_DEP_2) | instskip(NEXT) | instid1(VALU_DEP_1)
	v_pk_min_f16 v31, v90, v31
	v_pk_min_f16 v31, v31, v91
	v_lshlrev_b64 v[90:91], 1, v[32:33]
	s_delay_alu instid0(VALU_DEP_2) | instskip(NEXT) | instid1(VALU_DEP_1)
	v_lshrrev_b32_e32 v92, 16, v31
	v_min3_f16 v92, v30, v31, v92
	s_delay_alu instid0(VALU_DEP_3) | instskip(NEXT) | instid1(VALU_DEP_4)
	v_add_co_u32 v30, vcc_lo, v24, v90
	v_add_co_ci_u32_e32 v31, vcc_lo, v25, v91, vcc_lo
	global_store_b16 v[30:31], v92, off
	s_or_b32 exec_lo, exec_lo, s15
	s_and_b32 s16, s1, s8
	s_delay_alu instid0(SALU_CYCLE_1)
	s_and_saveexec_b32 s15, s16
	s_cbranch_execz .LBB228_172
.LBB228_182:
	v_cmp_ne_u32_e32 vcc_lo, 1, v73
	s_cbranch_vccnz .LBB228_184
; %bb.183:
	v_lshlrev_b64 v[30:31], 1, v[34:35]
	s_delay_alu instid0(VALU_DEP_1) | instskip(NEXT) | instid1(VALU_DEP_2)
	v_add_co_u32 v30, vcc_lo, v28, v30
	v_add_co_ci_u32_e32 v31, vcc_lo, v29, v31, vcc_lo
	flat_load_u16 v30, v[30:31]
	s_waitcnt vmcnt(0) lgkmcnt(0)
	v_mul_f16_e32 v30, v48, v30
	s_branch .LBB228_185
.LBB228_184:
	v_mov_b32_e32 v30, 0
.LBB228_185:
	v_pk_add_f16 v31, v18, v26
	v_pk_max_f16 v89, v89, v89
	v_pk_add_f16 v90, v19, v27
	s_delay_alu instid0(VALU_DEP_2) | instskip(NEXT) | instid1(VALU_DEP_1)
	v_pk_min_f16 v31, v89, v31
	v_pk_min_f16 v31, v31, v90
	v_lshlrev_b64 v[89:90], 1, v[34:35]
	s_delay_alu instid0(VALU_DEP_2) | instskip(NEXT) | instid1(VALU_DEP_1)
	v_lshrrev_b32_e32 v91, 16, v31
	v_min3_f16 v91, v30, v31, v91
	s_delay_alu instid0(VALU_DEP_3) | instskip(NEXT) | instid1(VALU_DEP_4)
	v_add_co_u32 v30, vcc_lo, v24, v89
	v_add_co_ci_u32_e32 v31, vcc_lo, v25, v90, vcc_lo
	global_store_b16 v[30:31], v91, off
	s_or_b32 exec_lo, exec_lo, s15
	s_and_b32 s16, s2, s8
	s_delay_alu instid0(SALU_CYCLE_1)
	s_and_saveexec_b32 s15, s16
	s_cbranch_execz .LBB228_173
.LBB228_186:
	v_cmp_ne_u32_e32 vcc_lo, 1, v73
	s_cbranch_vccnz .LBB228_188
; %bb.187:
	v_lshlrev_b64 v[30:31], 1, v[36:37]
	s_delay_alu instid0(VALU_DEP_1) | instskip(NEXT) | instid1(VALU_DEP_2)
	v_add_co_u32 v30, vcc_lo, v28, v30
	v_add_co_ci_u32_e32 v31, vcc_lo, v29, v31, vcc_lo
	flat_load_u16 v30, v[30:31]
	s_waitcnt vmcnt(0) lgkmcnt(0)
	v_mul_f16_e32 v30, v48, v30
	s_branch .LBB228_189
.LBB228_188:
	v_mov_b32_e32 v30, 0
.LBB228_189:
	v_pk_add_f16 v31, v12, v26
	v_pk_max_f16 v88, v88, v88
	v_pk_add_f16 v89, v13, v27
	s_delay_alu instid0(VALU_DEP_2) | instskip(NEXT) | instid1(VALU_DEP_1)
	v_pk_min_f16 v31, v88, v31
	v_pk_min_f16 v31, v31, v89
	v_lshlrev_b64 v[88:89], 1, v[36:37]
	s_delay_alu instid0(VALU_DEP_2) | instskip(NEXT) | instid1(VALU_DEP_1)
	v_lshrrev_b32_e32 v90, 16, v31
	v_min3_f16 v90, v30, v31, v90
	s_delay_alu instid0(VALU_DEP_3) | instskip(NEXT) | instid1(VALU_DEP_4)
	v_add_co_u32 v30, vcc_lo, v24, v88
	v_add_co_ci_u32_e32 v31, vcc_lo, v25, v89, vcc_lo
	global_store_b16 v[30:31], v90, off
	s_or_b32 exec_lo, exec_lo, s15
	s_and_b32 s16, s3, s8
	s_delay_alu instid0(SALU_CYCLE_1)
	s_and_saveexec_b32 s15, s16
	s_cbranch_execz .LBB228_174
.LBB228_190:
	v_cmp_ne_u32_e32 vcc_lo, 1, v73
	s_cbranch_vccnz .LBB228_192
; %bb.191:
	v_lshlrev_b64 v[30:31], 1, v[38:39]
	s_delay_alu instid0(VALU_DEP_1) | instskip(NEXT) | instid1(VALU_DEP_2)
	v_add_co_u32 v30, vcc_lo, v28, v30
	v_add_co_ci_u32_e32 v31, vcc_lo, v29, v31, vcc_lo
	flat_load_u16 v30, v[30:31]
	s_waitcnt vmcnt(0) lgkmcnt(0)
	v_mul_f16_e32 v30, v48, v30
	s_branch .LBB228_193
.LBB228_192:
	v_mov_b32_e32 v30, 0
.LBB228_193:
	v_pk_add_f16 v31, v14, v26
	v_pk_max_f16 v87, v87, v87
	v_pk_add_f16 v88, v15, v27
	s_delay_alu instid0(VALU_DEP_2) | instskip(NEXT) | instid1(VALU_DEP_1)
	v_pk_min_f16 v31, v87, v31
	v_pk_min_f16 v31, v31, v88
	v_lshlrev_b64 v[87:88], 1, v[38:39]
	s_delay_alu instid0(VALU_DEP_2) | instskip(NEXT) | instid1(VALU_DEP_1)
	v_lshrrev_b32_e32 v89, 16, v31
	v_min3_f16 v89, v30, v31, v89
	s_delay_alu instid0(VALU_DEP_3) | instskip(NEXT) | instid1(VALU_DEP_4)
	v_add_co_u32 v30, vcc_lo, v24, v87
	v_add_co_ci_u32_e32 v31, vcc_lo, v25, v88, vcc_lo
	global_store_b16 v[30:31], v89, off
	s_or_b32 exec_lo, exec_lo, s15
	s_and_b32 s16, s4, s8
	s_delay_alu instid0(SALU_CYCLE_1)
	s_and_saveexec_b32 s15, s16
	s_cbranch_execz .LBB228_175
.LBB228_194:
	v_cmp_ne_u32_e32 vcc_lo, 1, v73
	s_cbranch_vccnz .LBB228_196
; %bb.195:
	v_lshlrev_b64 v[30:31], 1, v[40:41]
	s_delay_alu instid0(VALU_DEP_1) | instskip(NEXT) | instid1(VALU_DEP_2)
	v_add_co_u32 v30, vcc_lo, v28, v30
	v_add_co_ci_u32_e32 v31, vcc_lo, v29, v31, vcc_lo
	flat_load_u16 v30, v[30:31]
	s_waitcnt vmcnt(0) lgkmcnt(0)
	v_mul_f16_e32 v30, v48, v30
	s_branch .LBB228_197
.LBB228_196:
	v_mov_b32_e32 v30, 0
.LBB228_197:
	v_pk_add_f16 v31, v8, v26
	v_pk_max_f16 v86, v86, v86
	v_pk_add_f16 v87, v9, v27
	s_delay_alu instid0(VALU_DEP_2) | instskip(NEXT) | instid1(VALU_DEP_1)
	v_pk_min_f16 v31, v86, v31
	v_pk_min_f16 v31, v31, v87
	v_lshlrev_b64 v[86:87], 1, v[40:41]
	s_delay_alu instid0(VALU_DEP_2) | instskip(NEXT) | instid1(VALU_DEP_1)
	v_lshrrev_b32_e32 v88, 16, v31
	v_min3_f16 v88, v30, v31, v88
	s_delay_alu instid0(VALU_DEP_3) | instskip(NEXT) | instid1(VALU_DEP_4)
	v_add_co_u32 v30, vcc_lo, v24, v86
	v_add_co_ci_u32_e32 v31, vcc_lo, v25, v87, vcc_lo
	global_store_b16 v[30:31], v88, off
	s_or_b32 exec_lo, exec_lo, s15
	s_and_b32 s16, s5, s8
	s_delay_alu instid0(SALU_CYCLE_1)
	s_and_saveexec_b32 s15, s16
	s_cbranch_execz .LBB228_176
.LBB228_198:
	v_cmp_ne_u32_e32 vcc_lo, 1, v73
	s_cbranch_vccnz .LBB228_200
; %bb.199:
	v_lshlrev_b64 v[30:31], 1, v[42:43]
	s_delay_alu instid0(VALU_DEP_1) | instskip(NEXT) | instid1(VALU_DEP_2)
	v_add_co_u32 v30, vcc_lo, v28, v30
	v_add_co_ci_u32_e32 v31, vcc_lo, v29, v31, vcc_lo
	flat_load_u16 v30, v[30:31]
	s_waitcnt vmcnt(0) lgkmcnt(0)
	v_mul_f16_e32 v30, v48, v30
	s_branch .LBB228_201
.LBB228_200:
	v_mov_b32_e32 v30, 0
.LBB228_201:
	v_pk_add_f16 v31, v10, v26
	v_pk_max_f16 v85, v85, v85
	v_pk_add_f16 v86, v11, v27
	s_delay_alu instid0(VALU_DEP_2) | instskip(NEXT) | instid1(VALU_DEP_1)
	v_pk_min_f16 v31, v85, v31
	v_pk_min_f16 v31, v31, v86
	v_lshlrev_b64 v[85:86], 1, v[42:43]
	s_delay_alu instid0(VALU_DEP_2) | instskip(NEXT) | instid1(VALU_DEP_1)
	v_lshrrev_b32_e32 v87, 16, v31
	v_min3_f16 v87, v30, v31, v87
	s_delay_alu instid0(VALU_DEP_3) | instskip(NEXT) | instid1(VALU_DEP_4)
	v_add_co_u32 v30, vcc_lo, v24, v85
	v_add_co_ci_u32_e32 v31, vcc_lo, v25, v86, vcc_lo
	global_store_b16 v[30:31], v87, off
	s_or_b32 exec_lo, exec_lo, s15
	s_and_b32 s16, s6, s8
	s_delay_alu instid0(SALU_CYCLE_1)
	s_and_saveexec_b32 s15, s16
	s_cbranch_execz .LBB228_177
.LBB228_202:
	v_cmp_ne_u32_e32 vcc_lo, 1, v73
	s_cbranch_vccnz .LBB228_204
; %bb.203:
	v_lshlrev_b64 v[30:31], 1, v[44:45]
	s_delay_alu instid0(VALU_DEP_1) | instskip(NEXT) | instid1(VALU_DEP_2)
	v_add_co_u32 v30, vcc_lo, v28, v30
	v_add_co_ci_u32_e32 v31, vcc_lo, v29, v31, vcc_lo
	flat_load_u16 v30, v[30:31]
	s_waitcnt vmcnt(0) lgkmcnt(0)
	v_mul_f16_e32 v30, v48, v30
	s_branch .LBB228_205
.LBB228_204:
	v_mov_b32_e32 v30, 0
.LBB228_205:
	v_pk_add_f16 v31, v0, v26
	v_pk_max_f16 v84, v84, v84
	v_pk_add_f16 v85, v1, v27
	s_delay_alu instid0(VALU_DEP_2) | instskip(NEXT) | instid1(VALU_DEP_1)
	v_pk_min_f16 v31, v84, v31
	v_pk_min_f16 v31, v31, v85
	v_lshlrev_b64 v[84:85], 1, v[44:45]
	s_delay_alu instid0(VALU_DEP_2) | instskip(NEXT) | instid1(VALU_DEP_1)
	v_lshrrev_b32_e32 v86, 16, v31
	v_min3_f16 v86, v30, v31, v86
	s_delay_alu instid0(VALU_DEP_3) | instskip(NEXT) | instid1(VALU_DEP_4)
	v_add_co_u32 v30, vcc_lo, v24, v84
	v_add_co_ci_u32_e32 v31, vcc_lo, v25, v85, vcc_lo
	global_store_b16 v[30:31], v86, off
	s_or_b32 exec_lo, exec_lo, s15
	s_and_b32 s15, s7, s8
	s_delay_alu instid0(SALU_CYCLE_1)
	s_and_saveexec_b32 s8, s15
	s_cbranch_execz .LBB228_210
.LBB228_206:
	v_cmp_ne_u32_e32 vcc_lo, 1, v73
	s_cbranch_vccnz .LBB228_208
; %bb.207:
	v_lshlrev_b64 v[30:31], 1, v[46:47]
	s_delay_alu instid0(VALU_DEP_1) | instskip(NEXT) | instid1(VALU_DEP_2)
	v_add_co_u32 v28, vcc_lo, v28, v30
	v_add_co_ci_u32_e32 v29, vcc_lo, v29, v31, vcc_lo
	flat_load_u16 v28, v[28:29]
	s_waitcnt vmcnt(0) lgkmcnt(0)
	v_mul_f16_e32 v28, v48, v28
	s_branch .LBB228_209
.LBB228_208:
	v_mov_b32_e32 v28, 0
.LBB228_209:
	v_pk_add_f16 v26, v2, v26
	v_pk_max_f16 v29, v83, v83
	v_pk_add_f16 v27, v3, v27
	s_delay_alu instid0(VALU_DEP_2) | instskip(NEXT) | instid1(VALU_DEP_1)
	v_pk_min_f16 v26, v29, v26
	v_pk_min_f16 v29, v26, v27
	v_lshlrev_b64 v[26:27], 1, v[46:47]
	s_delay_alu instid0(VALU_DEP_2) | instskip(NEXT) | instid1(VALU_DEP_2)
	v_lshrrev_b32_e32 v30, 16, v29
	v_add_co_u32 v24, vcc_lo, v24, v26
	s_delay_alu instid0(VALU_DEP_3) | instskip(NEXT) | instid1(VALU_DEP_3)
	v_add_co_ci_u32_e32 v25, vcc_lo, v25, v27, vcc_lo
	v_min3_f16 v28, v28, v29, v30
	global_store_b16 v[24:25], v28, off
.LBB228_210:
	s_or_b32 exec_lo, exec_lo, s8
	v_add_nc_u32_e32 v28, 0x80, v81
	s_delay_alu instid0(VALU_DEP_1) | instskip(SKIP_2) | instid1(VALU_DEP_3)
	v_mad_i64_i32 v[24:25], null, v28, s14, 0
	v_mad_i64_i32 v[26:27], null, v28, s9, 0
	v_cmp_gt_i32_e64 s8, s17, v28
	v_lshlrev_b64 v[24:25], 1, v[24:25]
	s_delay_alu instid0(VALU_DEP_2) | instskip(NEXT) | instid1(VALU_DEP_3)
	s_and_b32 s16, s0, s8
	v_lshlrev_b64 v[28:29], 1, v[26:27]
	s_delay_alu instid0(VALU_DEP_2) | instskip(NEXT) | instid1(VALU_DEP_3)
	v_add_co_u32 v26, vcc_lo, s10, v24
	v_add_co_ci_u32_e32 v27, vcc_lo, s11, v25, vcc_lo
	s_delay_alu instid0(VALU_DEP_3) | instskip(NEXT) | instid1(VALU_DEP_4)
	v_add_co_u32 v24, vcc_lo, s12, v28
	v_add_co_ci_u32_e32 v25, vcc_lo, s13, v29, vcc_lo
	s_and_saveexec_b32 s15, s16
	s_cbranch_execnz .LBB228_218
; %bb.211:
	s_or_b32 exec_lo, exec_lo, s15
	s_and_b32 s16, s1, s8
	s_delay_alu instid0(SALU_CYCLE_1)
	s_and_saveexec_b32 s15, s16
	s_cbranch_execnz .LBB228_222
.LBB228_212:
	s_or_b32 exec_lo, exec_lo, s15
	s_and_b32 s16, s2, s8
	s_delay_alu instid0(SALU_CYCLE_1)
	s_and_saveexec_b32 s15, s16
	s_cbranch_execnz .LBB228_226
.LBB228_213:
	s_or_b32 exec_lo, exec_lo, s15
	s_and_b32 s16, s3, s8
	s_delay_alu instid0(SALU_CYCLE_1)
	s_and_saveexec_b32 s15, s16
	s_cbranch_execnz .LBB228_230
.LBB228_214:
	s_or_b32 exec_lo, exec_lo, s15
	s_and_b32 s16, s4, s8
	s_delay_alu instid0(SALU_CYCLE_1)
	s_and_saveexec_b32 s15, s16
	s_cbranch_execnz .LBB228_234
.LBB228_215:
	s_or_b32 exec_lo, exec_lo, s15
	s_and_b32 s16, s5, s8
	s_delay_alu instid0(SALU_CYCLE_1)
	s_and_saveexec_b32 s15, s16
	s_cbranch_execnz .LBB228_238
.LBB228_216:
	s_or_b32 exec_lo, exec_lo, s15
	s_and_b32 s16, s6, s8
	s_delay_alu instid0(SALU_CYCLE_1)
	s_and_saveexec_b32 s15, s16
	s_cbranch_execnz .LBB228_242
.LBB228_217:
	s_or_b32 exec_lo, exec_lo, s15
	s_and_b32 s15, s7, s8
	s_delay_alu instid0(SALU_CYCLE_1)
	s_and_saveexec_b32 s8, s15
	s_cbranch_execnz .LBB228_246
	s_branch .LBB228_250
.LBB228_218:
	v_cmp_ne_u32_e32 vcc_lo, 1, v73
	s_cbranch_vccnz .LBB228_220
; %bb.219:
	v_lshlrev_b64 v[28:29], 1, v[32:33]
	s_delay_alu instid0(VALU_DEP_1) | instskip(NEXT) | instid1(VALU_DEP_2)
	v_add_co_u32 v28, vcc_lo, v26, v28
	v_add_co_ci_u32_e32 v29, vcc_lo, v27, v29, vcc_lo
	flat_load_u16 v28, v[28:29]
	s_waitcnt vmcnt(0) lgkmcnt(0)
	v_mul_f16_e32 v28, v48, v28
	s_branch .LBB228_221
.LBB228_220:
	v_mov_b32_e32 v28, 0
.LBB228_221:
	v_pk_add_f16 v29, v16, v20
	v_pk_max_f16 v30, v82, v82
	v_pk_add_f16 v31, v17, v21
	s_delay_alu instid0(VALU_DEP_2) | instskip(NEXT) | instid1(VALU_DEP_1)
	v_pk_min_f16 v29, v30, v29
	v_pk_min_f16 v31, v29, v31
	v_lshlrev_b64 v[29:30], 1, v[32:33]
	s_delay_alu instid0(VALU_DEP_2) | instskip(NEXT) | instid1(VALU_DEP_1)
	v_lshrrev_b32_e32 v82, 16, v31
	v_min3_f16 v31, v28, v31, v82
	s_delay_alu instid0(VALU_DEP_3) | instskip(NEXT) | instid1(VALU_DEP_4)
	v_add_co_u32 v28, vcc_lo, v24, v29
	v_add_co_ci_u32_e32 v29, vcc_lo, v25, v30, vcc_lo
	global_store_b16 v[28:29], v31, off
	s_or_b32 exec_lo, exec_lo, s15
	s_and_b32 s16, s1, s8
	s_delay_alu instid0(SALU_CYCLE_1)
	s_and_saveexec_b32 s15, s16
	s_cbranch_execz .LBB228_212
.LBB228_222:
	v_cmp_ne_u32_e32 vcc_lo, 1, v73
	s_cbranch_vccnz .LBB228_224
; %bb.223:
	v_lshlrev_b64 v[28:29], 1, v[34:35]
	s_delay_alu instid0(VALU_DEP_1) | instskip(NEXT) | instid1(VALU_DEP_2)
	v_add_co_u32 v28, vcc_lo, v26, v28
	v_add_co_ci_u32_e32 v29, vcc_lo, v27, v29, vcc_lo
	flat_load_u16 v28, v[28:29]
	s_waitcnt vmcnt(0) lgkmcnt(0)
	v_mul_f16_e32 v28, v48, v28
	s_branch .LBB228_225
.LBB228_224:
	v_mov_b32_e32 v28, 0
.LBB228_225:
	v_pk_add_f16 v29, v18, v20
	v_pk_max_f16 v30, v80, v80
	v_pk_add_f16 v31, v19, v21
	s_delay_alu instid0(VALU_DEP_2) | instskip(NEXT) | instid1(VALU_DEP_1)
	v_pk_min_f16 v29, v30, v29
	v_pk_min_f16 v31, v29, v31
	v_lshlrev_b64 v[29:30], 1, v[34:35]
	s_delay_alu instid0(VALU_DEP_2) | instskip(NEXT) | instid1(VALU_DEP_1)
	v_lshrrev_b32_e32 v80, 16, v31
	v_min3_f16 v31, v28, v31, v80
	s_delay_alu instid0(VALU_DEP_3) | instskip(NEXT) | instid1(VALU_DEP_4)
	v_add_co_u32 v28, vcc_lo, v24, v29
	v_add_co_ci_u32_e32 v29, vcc_lo, v25, v30, vcc_lo
	global_store_b16 v[28:29], v31, off
	s_or_b32 exec_lo, exec_lo, s15
	s_and_b32 s16, s2, s8
	s_delay_alu instid0(SALU_CYCLE_1)
	s_and_saveexec_b32 s15, s16
	s_cbranch_execz .LBB228_213
.LBB228_226:
	v_cmp_ne_u32_e32 vcc_lo, 1, v73
	s_cbranch_vccnz .LBB228_228
; %bb.227:
	v_lshlrev_b64 v[28:29], 1, v[36:37]
	s_delay_alu instid0(VALU_DEP_1) | instskip(NEXT) | instid1(VALU_DEP_2)
	v_add_co_u32 v28, vcc_lo, v26, v28
	v_add_co_ci_u32_e32 v29, vcc_lo, v27, v29, vcc_lo
	flat_load_u16 v28, v[28:29]
	s_waitcnt vmcnt(0) lgkmcnt(0)
	v_mul_f16_e32 v28, v48, v28
	s_branch .LBB228_229
.LBB228_228:
	v_mov_b32_e32 v28, 0
.LBB228_229:
	v_pk_add_f16 v29, v12, v20
	v_pk_max_f16 v30, v79, v79
	v_pk_add_f16 v31, v13, v21
	s_delay_alu instid0(VALU_DEP_2) | instskip(NEXT) | instid1(VALU_DEP_1)
	v_pk_min_f16 v29, v30, v29
	v_pk_min_f16 v31, v29, v31
	v_lshlrev_b64 v[29:30], 1, v[36:37]
	s_delay_alu instid0(VALU_DEP_2) | instskip(NEXT) | instid1(VALU_DEP_1)
	v_lshrrev_b32_e32 v79, 16, v31
	v_min3_f16 v31, v28, v31, v79
	s_delay_alu instid0(VALU_DEP_3) | instskip(NEXT) | instid1(VALU_DEP_4)
	v_add_co_u32 v28, vcc_lo, v24, v29
	v_add_co_ci_u32_e32 v29, vcc_lo, v25, v30, vcc_lo
	global_store_b16 v[28:29], v31, off
	s_or_b32 exec_lo, exec_lo, s15
	s_and_b32 s16, s3, s8
	s_delay_alu instid0(SALU_CYCLE_1)
	s_and_saveexec_b32 s15, s16
	s_cbranch_execz .LBB228_214
.LBB228_230:
	v_cmp_ne_u32_e32 vcc_lo, 1, v73
	s_cbranch_vccnz .LBB228_232
; %bb.231:
	v_lshlrev_b64 v[28:29], 1, v[38:39]
	s_delay_alu instid0(VALU_DEP_1) | instskip(NEXT) | instid1(VALU_DEP_2)
	v_add_co_u32 v28, vcc_lo, v26, v28
	v_add_co_ci_u32_e32 v29, vcc_lo, v27, v29, vcc_lo
	flat_load_u16 v28, v[28:29]
	s_waitcnt vmcnt(0) lgkmcnt(0)
	v_mul_f16_e32 v28, v48, v28
	s_branch .LBB228_233
.LBB228_232:
	v_mov_b32_e32 v28, 0
.LBB228_233:
	v_pk_add_f16 v29, v14, v20
	v_pk_max_f16 v30, v78, v78
	v_pk_add_f16 v31, v15, v21
	s_delay_alu instid0(VALU_DEP_2) | instskip(NEXT) | instid1(VALU_DEP_1)
	v_pk_min_f16 v29, v30, v29
	v_pk_min_f16 v31, v29, v31
	v_lshlrev_b64 v[29:30], 1, v[38:39]
	s_delay_alu instid0(VALU_DEP_2) | instskip(NEXT) | instid1(VALU_DEP_1)
	v_lshrrev_b32_e32 v78, 16, v31
	v_min3_f16 v31, v28, v31, v78
	s_delay_alu instid0(VALU_DEP_3) | instskip(NEXT) | instid1(VALU_DEP_4)
	v_add_co_u32 v28, vcc_lo, v24, v29
	v_add_co_ci_u32_e32 v29, vcc_lo, v25, v30, vcc_lo
	global_store_b16 v[28:29], v31, off
	s_or_b32 exec_lo, exec_lo, s15
	s_and_b32 s16, s4, s8
	s_delay_alu instid0(SALU_CYCLE_1)
	s_and_saveexec_b32 s15, s16
	s_cbranch_execz .LBB228_215
.LBB228_234:
	v_cmp_ne_u32_e32 vcc_lo, 1, v73
	s_cbranch_vccnz .LBB228_236
; %bb.235:
	v_lshlrev_b64 v[28:29], 1, v[40:41]
	s_delay_alu instid0(VALU_DEP_1) | instskip(NEXT) | instid1(VALU_DEP_2)
	v_add_co_u32 v28, vcc_lo, v26, v28
	v_add_co_ci_u32_e32 v29, vcc_lo, v27, v29, vcc_lo
	flat_load_u16 v28, v[28:29]
	s_waitcnt vmcnt(0) lgkmcnt(0)
	v_mul_f16_e32 v28, v48, v28
	s_branch .LBB228_237
.LBB228_236:
	v_mov_b32_e32 v28, 0
.LBB228_237:
	v_pk_add_f16 v29, v8, v20
	v_pk_max_f16 v30, v77, v77
	v_pk_add_f16 v31, v9, v21
	s_delay_alu instid0(VALU_DEP_2) | instskip(NEXT) | instid1(VALU_DEP_1)
	v_pk_min_f16 v29, v30, v29
	v_pk_min_f16 v31, v29, v31
	v_lshlrev_b64 v[29:30], 1, v[40:41]
	s_delay_alu instid0(VALU_DEP_2) | instskip(NEXT) | instid1(VALU_DEP_1)
	v_lshrrev_b32_e32 v77, 16, v31
	v_min3_f16 v31, v28, v31, v77
	s_delay_alu instid0(VALU_DEP_3) | instskip(NEXT) | instid1(VALU_DEP_4)
	v_add_co_u32 v28, vcc_lo, v24, v29
	v_add_co_ci_u32_e32 v29, vcc_lo, v25, v30, vcc_lo
	global_store_b16 v[28:29], v31, off
	s_or_b32 exec_lo, exec_lo, s15
	s_and_b32 s16, s5, s8
	s_delay_alu instid0(SALU_CYCLE_1)
	s_and_saveexec_b32 s15, s16
	s_cbranch_execz .LBB228_216
.LBB228_238:
	v_cmp_ne_u32_e32 vcc_lo, 1, v73
	s_cbranch_vccnz .LBB228_240
; %bb.239:
	v_lshlrev_b64 v[28:29], 1, v[42:43]
	s_delay_alu instid0(VALU_DEP_1) | instskip(NEXT) | instid1(VALU_DEP_2)
	v_add_co_u32 v28, vcc_lo, v26, v28
	v_add_co_ci_u32_e32 v29, vcc_lo, v27, v29, vcc_lo
	flat_load_u16 v28, v[28:29]
	s_waitcnt vmcnt(0) lgkmcnt(0)
	v_mul_f16_e32 v28, v48, v28
	s_branch .LBB228_241
.LBB228_240:
	v_mov_b32_e32 v28, 0
.LBB228_241:
	v_pk_add_f16 v29, v10, v20
	v_pk_max_f16 v30, v76, v76
	v_pk_add_f16 v31, v11, v21
	s_delay_alu instid0(VALU_DEP_2) | instskip(NEXT) | instid1(VALU_DEP_1)
	v_pk_min_f16 v29, v30, v29
	v_pk_min_f16 v31, v29, v31
	v_lshlrev_b64 v[29:30], 1, v[42:43]
	s_delay_alu instid0(VALU_DEP_2) | instskip(NEXT) | instid1(VALU_DEP_1)
	v_lshrrev_b32_e32 v76, 16, v31
	v_min3_f16 v31, v28, v31, v76
	s_delay_alu instid0(VALU_DEP_3) | instskip(NEXT) | instid1(VALU_DEP_4)
	v_add_co_u32 v28, vcc_lo, v24, v29
	v_add_co_ci_u32_e32 v29, vcc_lo, v25, v30, vcc_lo
	global_store_b16 v[28:29], v31, off
	s_or_b32 exec_lo, exec_lo, s15
	s_and_b32 s16, s6, s8
	s_delay_alu instid0(SALU_CYCLE_1)
	s_and_saveexec_b32 s15, s16
	s_cbranch_execz .LBB228_217
.LBB228_242:
	v_cmp_ne_u32_e32 vcc_lo, 1, v73
	s_cbranch_vccnz .LBB228_244
; %bb.243:
	v_lshlrev_b64 v[28:29], 1, v[44:45]
	s_delay_alu instid0(VALU_DEP_1) | instskip(NEXT) | instid1(VALU_DEP_2)
	v_add_co_u32 v28, vcc_lo, v26, v28
	v_add_co_ci_u32_e32 v29, vcc_lo, v27, v29, vcc_lo
	flat_load_u16 v28, v[28:29]
	s_waitcnt vmcnt(0) lgkmcnt(0)
	v_mul_f16_e32 v28, v48, v28
	s_branch .LBB228_245
.LBB228_244:
	v_mov_b32_e32 v28, 0
.LBB228_245:
	v_pk_add_f16 v29, v0, v20
	v_pk_max_f16 v30, v75, v75
	v_pk_add_f16 v31, v1, v21
	s_delay_alu instid0(VALU_DEP_2) | instskip(NEXT) | instid1(VALU_DEP_1)
	v_pk_min_f16 v29, v30, v29
	v_pk_min_f16 v31, v29, v31
	v_lshlrev_b64 v[29:30], 1, v[44:45]
	s_delay_alu instid0(VALU_DEP_2) | instskip(NEXT) | instid1(VALU_DEP_1)
	v_lshrrev_b32_e32 v75, 16, v31
	v_min3_f16 v31, v28, v31, v75
	s_delay_alu instid0(VALU_DEP_3) | instskip(NEXT) | instid1(VALU_DEP_4)
	v_add_co_u32 v28, vcc_lo, v24, v29
	v_add_co_ci_u32_e32 v29, vcc_lo, v25, v30, vcc_lo
	global_store_b16 v[28:29], v31, off
	s_or_b32 exec_lo, exec_lo, s15
	s_and_b32 s15, s7, s8
	s_delay_alu instid0(SALU_CYCLE_1)
	s_and_saveexec_b32 s8, s15
	s_cbranch_execz .LBB228_250
.LBB228_246:
	v_cmp_ne_u32_e32 vcc_lo, 1, v73
	s_cbranch_vccnz .LBB228_248
; %bb.247:
	v_lshlrev_b64 v[28:29], 1, v[46:47]
	s_delay_alu instid0(VALU_DEP_1) | instskip(NEXT) | instid1(VALU_DEP_2)
	v_add_co_u32 v26, vcc_lo, v26, v28
	v_add_co_ci_u32_e32 v27, vcc_lo, v27, v29, vcc_lo
	flat_load_u16 v26, v[26:27]
	s_waitcnt vmcnt(0) lgkmcnt(0)
	v_mul_f16_e32 v26, v48, v26
	s_branch .LBB228_249
.LBB228_248:
	v_mov_b32_e32 v26, 0
.LBB228_249:
	v_pk_add_f16 v20, v2, v20
	v_pk_max_f16 v27, v74, v74
	v_pk_add_f16 v21, v3, v21
	s_delay_alu instid0(VALU_DEP_2) | instskip(NEXT) | instid1(VALU_DEP_1)
	v_pk_min_f16 v20, v27, v20
	v_pk_min_f16 v27, v20, v21
	v_lshlrev_b64 v[20:21], 1, v[46:47]
	s_delay_alu instid0(VALU_DEP_2) | instskip(NEXT) | instid1(VALU_DEP_2)
	v_lshrrev_b32_e32 v28, 16, v27
	v_add_co_u32 v20, vcc_lo, v24, v20
	s_delay_alu instid0(VALU_DEP_3) | instskip(NEXT) | instid1(VALU_DEP_3)
	v_add_co_ci_u32_e32 v21, vcc_lo, v25, v21, vcc_lo
	v_min3_f16 v26, v26, v27, v28
	global_store_b16 v[20:21], v26, off
.LBB228_250:
	s_or_b32 exec_lo, exec_lo, s8
	v_add_nc_u32_e32 v26, 0xa0, v81
	s_delay_alu instid0(VALU_DEP_1) | instskip(SKIP_2) | instid1(VALU_DEP_3)
	v_mad_i64_i32 v[20:21], null, v26, s14, 0
	v_mad_i64_i32 v[24:25], null, v26, s9, 0
	v_cmp_gt_i32_e64 s8, s17, v26
	v_lshlrev_b64 v[20:21], 1, v[20:21]
	s_delay_alu instid0(VALU_DEP_2) | instskip(NEXT) | instid1(VALU_DEP_3)
	s_and_b32 s16, s0, s8
	v_lshlrev_b64 v[26:27], 1, v[24:25]
	s_delay_alu instid0(VALU_DEP_2) | instskip(NEXT) | instid1(VALU_DEP_3)
	v_add_co_u32 v24, vcc_lo, s10, v20
	v_add_co_ci_u32_e32 v25, vcc_lo, s11, v21, vcc_lo
	s_delay_alu instid0(VALU_DEP_3) | instskip(NEXT) | instid1(VALU_DEP_4)
	v_add_co_u32 v20, vcc_lo, s12, v26
	v_add_co_ci_u32_e32 v21, vcc_lo, s13, v27, vcc_lo
	s_and_saveexec_b32 s15, s16
	s_cbranch_execnz .LBB228_258
; %bb.251:
	s_or_b32 exec_lo, exec_lo, s15
	s_and_b32 s16, s1, s8
	s_delay_alu instid0(SALU_CYCLE_1)
	s_and_saveexec_b32 s15, s16
	s_cbranch_execnz .LBB228_262
.LBB228_252:
	s_or_b32 exec_lo, exec_lo, s15
	s_and_b32 s16, s2, s8
	s_delay_alu instid0(SALU_CYCLE_1)
	s_and_saveexec_b32 s15, s16
	s_cbranch_execnz .LBB228_266
.LBB228_253:
	s_or_b32 exec_lo, exec_lo, s15
	s_and_b32 s16, s3, s8
	s_delay_alu instid0(SALU_CYCLE_1)
	s_and_saveexec_b32 s15, s16
	s_cbranch_execnz .LBB228_270
.LBB228_254:
	s_or_b32 exec_lo, exec_lo, s15
	s_and_b32 s16, s4, s8
	s_delay_alu instid0(SALU_CYCLE_1)
	s_and_saveexec_b32 s15, s16
	s_cbranch_execnz .LBB228_274
.LBB228_255:
	s_or_b32 exec_lo, exec_lo, s15
	s_and_b32 s16, s5, s8
	s_delay_alu instid0(SALU_CYCLE_1)
	s_and_saveexec_b32 s15, s16
	s_cbranch_execnz .LBB228_278
.LBB228_256:
	s_or_b32 exec_lo, exec_lo, s15
	s_and_b32 s16, s6, s8
	s_delay_alu instid0(SALU_CYCLE_1)
	s_and_saveexec_b32 s15, s16
	s_cbranch_execnz .LBB228_282
.LBB228_257:
	s_or_b32 exec_lo, exec_lo, s15
	s_and_b32 s15, s7, s8
	s_delay_alu instid0(SALU_CYCLE_1)
	s_and_saveexec_b32 s8, s15
	s_cbranch_execnz .LBB228_286
	s_branch .LBB228_290
.LBB228_258:
	v_cmp_ne_u32_e32 vcc_lo, 1, v73
	s_cbranch_vccnz .LBB228_260
; %bb.259:
	v_lshlrev_b64 v[26:27], 1, v[32:33]
	s_delay_alu instid0(VALU_DEP_1) | instskip(NEXT) | instid1(VALU_DEP_2)
	v_add_co_u32 v26, vcc_lo, v24, v26
	v_add_co_ci_u32_e32 v27, vcc_lo, v25, v27, vcc_lo
	flat_load_u16 v26, v[26:27]
	s_waitcnt vmcnt(0) lgkmcnt(0)
	v_mul_f16_e32 v26, v48, v26
	s_branch .LBB228_261
.LBB228_260:
	v_mov_b32_e32 v26, 0
.LBB228_261:
	v_pk_add_f16 v27, v16, v22
	v_pk_max_f16 v28, v72, v72
	v_pk_add_f16 v29, v17, v23
	s_delay_alu instid0(VALU_DEP_2) | instskip(NEXT) | instid1(VALU_DEP_1)
	v_pk_min_f16 v27, v28, v27
	v_pk_min_f16 v29, v27, v29
	v_lshlrev_b64 v[27:28], 1, v[32:33]
	s_delay_alu instid0(VALU_DEP_2) | instskip(NEXT) | instid1(VALU_DEP_1)
	v_lshrrev_b32_e32 v30, 16, v29
	v_min3_f16 v29, v26, v29, v30
	s_delay_alu instid0(VALU_DEP_3) | instskip(NEXT) | instid1(VALU_DEP_4)
	v_add_co_u32 v26, vcc_lo, v20, v27
	v_add_co_ci_u32_e32 v27, vcc_lo, v21, v28, vcc_lo
	global_store_b16 v[26:27], v29, off
	s_or_b32 exec_lo, exec_lo, s15
	s_and_b32 s16, s1, s8
	s_delay_alu instid0(SALU_CYCLE_1)
	s_and_saveexec_b32 s15, s16
	s_cbranch_execz .LBB228_252
.LBB228_262:
	v_cmp_ne_u32_e32 vcc_lo, 1, v73
	s_cbranch_vccnz .LBB228_264
; %bb.263:
	v_lshlrev_b64 v[26:27], 1, v[34:35]
	s_delay_alu instid0(VALU_DEP_1) | instskip(NEXT) | instid1(VALU_DEP_2)
	v_add_co_u32 v26, vcc_lo, v24, v26
	v_add_co_ci_u32_e32 v27, vcc_lo, v25, v27, vcc_lo
	flat_load_u16 v26, v[26:27]
	s_waitcnt vmcnt(0) lgkmcnt(0)
	v_mul_f16_e32 v26, v48, v26
	s_branch .LBB228_265
.LBB228_264:
	v_mov_b32_e32 v26, 0
.LBB228_265:
	v_pk_add_f16 v27, v18, v22
	v_pk_max_f16 v28, v71, v71
	v_pk_add_f16 v29, v19, v23
	s_delay_alu instid0(VALU_DEP_2) | instskip(NEXT) | instid1(VALU_DEP_1)
	v_pk_min_f16 v27, v28, v27
	v_pk_min_f16 v29, v27, v29
	v_lshlrev_b64 v[27:28], 1, v[34:35]
	s_delay_alu instid0(VALU_DEP_2) | instskip(NEXT) | instid1(VALU_DEP_1)
	v_lshrrev_b32_e32 v30, 16, v29
	v_min3_f16 v29, v26, v29, v30
	s_delay_alu instid0(VALU_DEP_3) | instskip(NEXT) | instid1(VALU_DEP_4)
	v_add_co_u32 v26, vcc_lo, v20, v27
	v_add_co_ci_u32_e32 v27, vcc_lo, v21, v28, vcc_lo
	global_store_b16 v[26:27], v29, off
	s_or_b32 exec_lo, exec_lo, s15
	s_and_b32 s16, s2, s8
	s_delay_alu instid0(SALU_CYCLE_1)
	s_and_saveexec_b32 s15, s16
	s_cbranch_execz .LBB228_253
.LBB228_266:
	v_cmp_ne_u32_e32 vcc_lo, 1, v73
	s_cbranch_vccnz .LBB228_268
; %bb.267:
	v_lshlrev_b64 v[26:27], 1, v[36:37]
	s_delay_alu instid0(VALU_DEP_1) | instskip(NEXT) | instid1(VALU_DEP_2)
	v_add_co_u32 v26, vcc_lo, v24, v26
	v_add_co_ci_u32_e32 v27, vcc_lo, v25, v27, vcc_lo
	flat_load_u16 v26, v[26:27]
	s_waitcnt vmcnt(0) lgkmcnt(0)
	v_mul_f16_e32 v26, v48, v26
	s_branch .LBB228_269
.LBB228_268:
	v_mov_b32_e32 v26, 0
.LBB228_269:
	v_pk_add_f16 v27, v12, v22
	v_pk_max_f16 v28, v70, v70
	v_pk_add_f16 v29, v13, v23
	s_delay_alu instid0(VALU_DEP_2) | instskip(NEXT) | instid1(VALU_DEP_1)
	v_pk_min_f16 v27, v28, v27
	v_pk_min_f16 v29, v27, v29
	v_lshlrev_b64 v[27:28], 1, v[36:37]
	s_delay_alu instid0(VALU_DEP_2) | instskip(NEXT) | instid1(VALU_DEP_1)
	v_lshrrev_b32_e32 v30, 16, v29
	v_min3_f16 v29, v26, v29, v30
	s_delay_alu instid0(VALU_DEP_3) | instskip(NEXT) | instid1(VALU_DEP_4)
	v_add_co_u32 v26, vcc_lo, v20, v27
	v_add_co_ci_u32_e32 v27, vcc_lo, v21, v28, vcc_lo
	global_store_b16 v[26:27], v29, off
	s_or_b32 exec_lo, exec_lo, s15
	s_and_b32 s16, s3, s8
	s_delay_alu instid0(SALU_CYCLE_1)
	s_and_saveexec_b32 s15, s16
	s_cbranch_execz .LBB228_254
.LBB228_270:
	v_cmp_ne_u32_e32 vcc_lo, 1, v73
	s_cbranch_vccnz .LBB228_272
; %bb.271:
	v_lshlrev_b64 v[26:27], 1, v[38:39]
	s_delay_alu instid0(VALU_DEP_1) | instskip(NEXT) | instid1(VALU_DEP_2)
	v_add_co_u32 v26, vcc_lo, v24, v26
	v_add_co_ci_u32_e32 v27, vcc_lo, v25, v27, vcc_lo
	flat_load_u16 v26, v[26:27]
	s_waitcnt vmcnt(0) lgkmcnt(0)
	v_mul_f16_e32 v26, v48, v26
	s_branch .LBB228_273
.LBB228_272:
	v_mov_b32_e32 v26, 0
.LBB228_273:
	v_pk_add_f16 v27, v14, v22
	v_pk_max_f16 v28, v69, v69
	v_pk_add_f16 v29, v15, v23
	s_delay_alu instid0(VALU_DEP_2) | instskip(NEXT) | instid1(VALU_DEP_1)
	v_pk_min_f16 v27, v28, v27
	v_pk_min_f16 v29, v27, v29
	v_lshlrev_b64 v[27:28], 1, v[38:39]
	s_delay_alu instid0(VALU_DEP_2) | instskip(NEXT) | instid1(VALU_DEP_1)
	v_lshrrev_b32_e32 v30, 16, v29
	v_min3_f16 v29, v26, v29, v30
	s_delay_alu instid0(VALU_DEP_3) | instskip(NEXT) | instid1(VALU_DEP_4)
	v_add_co_u32 v26, vcc_lo, v20, v27
	v_add_co_ci_u32_e32 v27, vcc_lo, v21, v28, vcc_lo
	global_store_b16 v[26:27], v29, off
	s_or_b32 exec_lo, exec_lo, s15
	s_and_b32 s16, s4, s8
	s_delay_alu instid0(SALU_CYCLE_1)
	s_and_saveexec_b32 s15, s16
	s_cbranch_execz .LBB228_255
.LBB228_274:
	v_cmp_ne_u32_e32 vcc_lo, 1, v73
	s_cbranch_vccnz .LBB228_276
; %bb.275:
	v_lshlrev_b64 v[26:27], 1, v[40:41]
	s_delay_alu instid0(VALU_DEP_1) | instskip(NEXT) | instid1(VALU_DEP_2)
	v_add_co_u32 v26, vcc_lo, v24, v26
	v_add_co_ci_u32_e32 v27, vcc_lo, v25, v27, vcc_lo
	flat_load_u16 v26, v[26:27]
	s_waitcnt vmcnt(0) lgkmcnt(0)
	v_mul_f16_e32 v26, v48, v26
	s_branch .LBB228_277
.LBB228_276:
	v_mov_b32_e32 v26, 0
.LBB228_277:
	v_pk_add_f16 v27, v8, v22
	v_pk_max_f16 v28, v68, v68
	v_pk_add_f16 v29, v9, v23
	s_delay_alu instid0(VALU_DEP_2) | instskip(NEXT) | instid1(VALU_DEP_1)
	v_pk_min_f16 v27, v28, v27
	v_pk_min_f16 v29, v27, v29
	v_lshlrev_b64 v[27:28], 1, v[40:41]
	s_delay_alu instid0(VALU_DEP_2) | instskip(NEXT) | instid1(VALU_DEP_1)
	v_lshrrev_b32_e32 v30, 16, v29
	v_min3_f16 v29, v26, v29, v30
	s_delay_alu instid0(VALU_DEP_3) | instskip(NEXT) | instid1(VALU_DEP_4)
	v_add_co_u32 v26, vcc_lo, v20, v27
	v_add_co_ci_u32_e32 v27, vcc_lo, v21, v28, vcc_lo
	global_store_b16 v[26:27], v29, off
	s_or_b32 exec_lo, exec_lo, s15
	s_and_b32 s16, s5, s8
	s_delay_alu instid0(SALU_CYCLE_1)
	s_and_saveexec_b32 s15, s16
	s_cbranch_execz .LBB228_256
.LBB228_278:
	v_cmp_ne_u32_e32 vcc_lo, 1, v73
	s_cbranch_vccnz .LBB228_280
; %bb.279:
	v_lshlrev_b64 v[26:27], 1, v[42:43]
	s_delay_alu instid0(VALU_DEP_1) | instskip(NEXT) | instid1(VALU_DEP_2)
	v_add_co_u32 v26, vcc_lo, v24, v26
	v_add_co_ci_u32_e32 v27, vcc_lo, v25, v27, vcc_lo
	flat_load_u16 v26, v[26:27]
	s_waitcnt vmcnt(0) lgkmcnt(0)
	v_mul_f16_e32 v26, v48, v26
	s_branch .LBB228_281
.LBB228_280:
	v_mov_b32_e32 v26, 0
.LBB228_281:
	v_pk_add_f16 v27, v10, v22
	v_pk_max_f16 v28, v67, v67
	v_pk_add_f16 v29, v11, v23
	s_delay_alu instid0(VALU_DEP_2) | instskip(NEXT) | instid1(VALU_DEP_1)
	v_pk_min_f16 v27, v28, v27
	v_pk_min_f16 v29, v27, v29
	v_lshlrev_b64 v[27:28], 1, v[42:43]
	s_delay_alu instid0(VALU_DEP_2) | instskip(NEXT) | instid1(VALU_DEP_1)
	v_lshrrev_b32_e32 v30, 16, v29
	v_min3_f16 v29, v26, v29, v30
	s_delay_alu instid0(VALU_DEP_3) | instskip(NEXT) | instid1(VALU_DEP_4)
	v_add_co_u32 v26, vcc_lo, v20, v27
	v_add_co_ci_u32_e32 v27, vcc_lo, v21, v28, vcc_lo
	global_store_b16 v[26:27], v29, off
	s_or_b32 exec_lo, exec_lo, s15
	s_and_b32 s16, s6, s8
	s_delay_alu instid0(SALU_CYCLE_1)
	s_and_saveexec_b32 s15, s16
	s_cbranch_execz .LBB228_257
.LBB228_282:
	v_cmp_ne_u32_e32 vcc_lo, 1, v73
	s_cbranch_vccnz .LBB228_284
; %bb.283:
	v_lshlrev_b64 v[26:27], 1, v[44:45]
	s_delay_alu instid0(VALU_DEP_1) | instskip(NEXT) | instid1(VALU_DEP_2)
	v_add_co_u32 v26, vcc_lo, v24, v26
	v_add_co_ci_u32_e32 v27, vcc_lo, v25, v27, vcc_lo
	flat_load_u16 v26, v[26:27]
	s_waitcnt vmcnt(0) lgkmcnt(0)
	v_mul_f16_e32 v26, v48, v26
	s_branch .LBB228_285
.LBB228_284:
	v_mov_b32_e32 v26, 0
.LBB228_285:
	v_pk_add_f16 v27, v0, v22
	v_pk_max_f16 v28, v66, v66
	v_pk_add_f16 v29, v1, v23
	s_delay_alu instid0(VALU_DEP_2) | instskip(NEXT) | instid1(VALU_DEP_1)
	v_pk_min_f16 v27, v28, v27
	v_pk_min_f16 v29, v27, v29
	v_lshlrev_b64 v[27:28], 1, v[44:45]
	s_delay_alu instid0(VALU_DEP_2) | instskip(NEXT) | instid1(VALU_DEP_1)
	v_lshrrev_b32_e32 v30, 16, v29
	v_min3_f16 v29, v26, v29, v30
	s_delay_alu instid0(VALU_DEP_3) | instskip(NEXT) | instid1(VALU_DEP_4)
	v_add_co_u32 v26, vcc_lo, v20, v27
	v_add_co_ci_u32_e32 v27, vcc_lo, v21, v28, vcc_lo
	global_store_b16 v[26:27], v29, off
	s_or_b32 exec_lo, exec_lo, s15
	s_and_b32 s15, s7, s8
	s_delay_alu instid0(SALU_CYCLE_1)
	s_and_saveexec_b32 s8, s15
	s_cbranch_execz .LBB228_290
.LBB228_286:
	v_cmp_ne_u32_e32 vcc_lo, 1, v73
	s_cbranch_vccnz .LBB228_288
; %bb.287:
	v_lshlrev_b64 v[26:27], 1, v[46:47]
	s_delay_alu instid0(VALU_DEP_1) | instskip(NEXT) | instid1(VALU_DEP_2)
	v_add_co_u32 v24, vcc_lo, v24, v26
	v_add_co_ci_u32_e32 v25, vcc_lo, v25, v27, vcc_lo
	flat_load_u16 v24, v[24:25]
	s_waitcnt vmcnt(0) lgkmcnt(0)
	v_mul_f16_e32 v24, v48, v24
	s_branch .LBB228_289
.LBB228_288:
	v_mov_b32_e32 v24, 0
.LBB228_289:
	v_pk_add_f16 v22, v2, v22
	v_pk_max_f16 v25, v65, v65
	v_pk_add_f16 v23, v3, v23
	s_delay_alu instid0(VALU_DEP_2) | instskip(NEXT) | instid1(VALU_DEP_1)
	v_pk_min_f16 v22, v25, v22
	v_pk_min_f16 v25, v22, v23
	v_lshlrev_b64 v[22:23], 1, v[46:47]
	s_delay_alu instid0(VALU_DEP_2) | instskip(NEXT) | instid1(VALU_DEP_2)
	v_lshrrev_b32_e32 v26, 16, v25
	v_add_co_u32 v20, vcc_lo, v20, v22
	s_delay_alu instid0(VALU_DEP_3) | instskip(NEXT) | instid1(VALU_DEP_3)
	v_add_co_ci_u32_e32 v21, vcc_lo, v21, v23, vcc_lo
	v_min3_f16 v24, v24, v25, v26
	global_store_b16 v[20:21], v24, off
.LBB228_290:
	s_or_b32 exec_lo, exec_lo, s8
	v_add_nc_u32_e32 v24, 0xc0, v81
	s_delay_alu instid0(VALU_DEP_1) | instskip(SKIP_2) | instid1(VALU_DEP_3)
	v_mad_i64_i32 v[20:21], null, v24, s14, 0
	v_mad_i64_i32 v[22:23], null, v24, s9, 0
	v_cmp_gt_i32_e64 s8, s17, v24
	v_lshlrev_b64 v[20:21], 1, v[20:21]
	s_delay_alu instid0(VALU_DEP_2) | instskip(NEXT) | instid1(VALU_DEP_3)
	s_and_b32 s16, s0, s8
	v_lshlrev_b64 v[24:25], 1, v[22:23]
	s_delay_alu instid0(VALU_DEP_2) | instskip(NEXT) | instid1(VALU_DEP_3)
	v_add_co_u32 v22, vcc_lo, s10, v20
	v_add_co_ci_u32_e32 v23, vcc_lo, s11, v21, vcc_lo
	s_delay_alu instid0(VALU_DEP_3) | instskip(NEXT) | instid1(VALU_DEP_4)
	v_add_co_u32 v20, vcc_lo, s12, v24
	v_add_co_ci_u32_e32 v21, vcc_lo, s13, v25, vcc_lo
	s_and_saveexec_b32 s15, s16
	s_cbranch_execnz .LBB228_298
; %bb.291:
	s_or_b32 exec_lo, exec_lo, s15
	s_and_b32 s16, s1, s8
	s_delay_alu instid0(SALU_CYCLE_1)
	s_and_saveexec_b32 s15, s16
	s_cbranch_execnz .LBB228_302
.LBB228_292:
	s_or_b32 exec_lo, exec_lo, s15
	s_and_b32 s16, s2, s8
	s_delay_alu instid0(SALU_CYCLE_1)
	s_and_saveexec_b32 s15, s16
	s_cbranch_execnz .LBB228_306
.LBB228_293:
	s_or_b32 exec_lo, exec_lo, s15
	s_and_b32 s16, s3, s8
	s_delay_alu instid0(SALU_CYCLE_1)
	s_and_saveexec_b32 s15, s16
	s_cbranch_execnz .LBB228_310
.LBB228_294:
	s_or_b32 exec_lo, exec_lo, s15
	s_and_b32 s16, s4, s8
	s_delay_alu instid0(SALU_CYCLE_1)
	s_and_saveexec_b32 s15, s16
	s_cbranch_execnz .LBB228_314
.LBB228_295:
	s_or_b32 exec_lo, exec_lo, s15
	s_and_b32 s16, s5, s8
	s_delay_alu instid0(SALU_CYCLE_1)
	s_and_saveexec_b32 s15, s16
	s_cbranch_execnz .LBB228_318
.LBB228_296:
	s_or_b32 exec_lo, exec_lo, s15
	s_and_b32 s16, s6, s8
	s_delay_alu instid0(SALU_CYCLE_1)
	s_and_saveexec_b32 s15, s16
	s_cbranch_execnz .LBB228_322
.LBB228_297:
	s_or_b32 exec_lo, exec_lo, s15
	s_and_b32 s15, s7, s8
	s_delay_alu instid0(SALU_CYCLE_1)
	s_and_saveexec_b32 s8, s15
	s_cbranch_execnz .LBB228_326
	s_branch .LBB228_330
.LBB228_298:
	v_cmp_ne_u32_e32 vcc_lo, 1, v73
	s_cbranch_vccnz .LBB228_300
; %bb.299:
	v_lshlrev_b64 v[24:25], 1, v[32:33]
	s_delay_alu instid0(VALU_DEP_1) | instskip(NEXT) | instid1(VALU_DEP_2)
	v_add_co_u32 v24, vcc_lo, v22, v24
	v_add_co_ci_u32_e32 v25, vcc_lo, v23, v25, vcc_lo
	flat_load_u16 v24, v[24:25]
	s_waitcnt vmcnt(0) lgkmcnt(0)
	v_mul_f16_e32 v24, v48, v24
	s_branch .LBB228_301
.LBB228_300:
	v_mov_b32_e32 v24, 0
.LBB228_301:
	v_pk_add_f16 v25, v16, v4
	v_pk_max_f16 v26, v64, v64
	v_pk_add_f16 v27, v17, v5
	s_delay_alu instid0(VALU_DEP_2) | instskip(NEXT) | instid1(VALU_DEP_1)
	v_pk_min_f16 v25, v26, v25
	v_pk_min_f16 v27, v25, v27
	v_lshlrev_b64 v[25:26], 1, v[32:33]
	s_delay_alu instid0(VALU_DEP_2) | instskip(NEXT) | instid1(VALU_DEP_1)
	v_lshrrev_b32_e32 v28, 16, v27
	v_min3_f16 v27, v24, v27, v28
	s_delay_alu instid0(VALU_DEP_3) | instskip(NEXT) | instid1(VALU_DEP_4)
	v_add_co_u32 v24, vcc_lo, v20, v25
	v_add_co_ci_u32_e32 v25, vcc_lo, v21, v26, vcc_lo
	global_store_b16 v[24:25], v27, off
	s_or_b32 exec_lo, exec_lo, s15
	s_and_b32 s16, s1, s8
	s_delay_alu instid0(SALU_CYCLE_1)
	s_and_saveexec_b32 s15, s16
	s_cbranch_execz .LBB228_292
.LBB228_302:
	v_cmp_ne_u32_e32 vcc_lo, 1, v73
	s_cbranch_vccnz .LBB228_304
; %bb.303:
	v_lshlrev_b64 v[24:25], 1, v[34:35]
	s_delay_alu instid0(VALU_DEP_1) | instskip(NEXT) | instid1(VALU_DEP_2)
	v_add_co_u32 v24, vcc_lo, v22, v24
	v_add_co_ci_u32_e32 v25, vcc_lo, v23, v25, vcc_lo
	flat_load_u16 v24, v[24:25]
	s_waitcnt vmcnt(0) lgkmcnt(0)
	v_mul_f16_e32 v24, v48, v24
	s_branch .LBB228_305
.LBB228_304:
	v_mov_b32_e32 v24, 0
.LBB228_305:
	v_pk_add_f16 v25, v18, v4
	v_pk_max_f16 v26, v63, v63
	v_pk_add_f16 v27, v19, v5
	s_delay_alu instid0(VALU_DEP_2) | instskip(NEXT) | instid1(VALU_DEP_1)
	v_pk_min_f16 v25, v26, v25
	v_pk_min_f16 v27, v25, v27
	v_lshlrev_b64 v[25:26], 1, v[34:35]
	s_delay_alu instid0(VALU_DEP_2) | instskip(NEXT) | instid1(VALU_DEP_1)
	v_lshrrev_b32_e32 v28, 16, v27
	v_min3_f16 v27, v24, v27, v28
	s_delay_alu instid0(VALU_DEP_3) | instskip(NEXT) | instid1(VALU_DEP_4)
	v_add_co_u32 v24, vcc_lo, v20, v25
	v_add_co_ci_u32_e32 v25, vcc_lo, v21, v26, vcc_lo
	global_store_b16 v[24:25], v27, off
	s_or_b32 exec_lo, exec_lo, s15
	s_and_b32 s16, s2, s8
	s_delay_alu instid0(SALU_CYCLE_1)
	s_and_saveexec_b32 s15, s16
	s_cbranch_execz .LBB228_293
.LBB228_306:
	v_cmp_ne_u32_e32 vcc_lo, 1, v73
	s_cbranch_vccnz .LBB228_308
; %bb.307:
	v_lshlrev_b64 v[24:25], 1, v[36:37]
	s_delay_alu instid0(VALU_DEP_1) | instskip(NEXT) | instid1(VALU_DEP_2)
	v_add_co_u32 v24, vcc_lo, v22, v24
	v_add_co_ci_u32_e32 v25, vcc_lo, v23, v25, vcc_lo
	flat_load_u16 v24, v[24:25]
	s_waitcnt vmcnt(0) lgkmcnt(0)
	v_mul_f16_e32 v24, v48, v24
	s_branch .LBB228_309
.LBB228_308:
	v_mov_b32_e32 v24, 0
.LBB228_309:
	v_pk_add_f16 v25, v12, v4
	v_pk_max_f16 v26, v62, v62
	v_pk_add_f16 v27, v13, v5
	s_delay_alu instid0(VALU_DEP_2) | instskip(NEXT) | instid1(VALU_DEP_1)
	v_pk_min_f16 v25, v26, v25
	v_pk_min_f16 v27, v25, v27
	v_lshlrev_b64 v[25:26], 1, v[36:37]
	s_delay_alu instid0(VALU_DEP_2) | instskip(NEXT) | instid1(VALU_DEP_1)
	v_lshrrev_b32_e32 v28, 16, v27
	v_min3_f16 v27, v24, v27, v28
	s_delay_alu instid0(VALU_DEP_3) | instskip(NEXT) | instid1(VALU_DEP_4)
	v_add_co_u32 v24, vcc_lo, v20, v25
	v_add_co_ci_u32_e32 v25, vcc_lo, v21, v26, vcc_lo
	global_store_b16 v[24:25], v27, off
	s_or_b32 exec_lo, exec_lo, s15
	s_and_b32 s16, s3, s8
	s_delay_alu instid0(SALU_CYCLE_1)
	s_and_saveexec_b32 s15, s16
	s_cbranch_execz .LBB228_294
.LBB228_310:
	v_cmp_ne_u32_e32 vcc_lo, 1, v73
	s_cbranch_vccnz .LBB228_312
; %bb.311:
	v_lshlrev_b64 v[24:25], 1, v[38:39]
	s_delay_alu instid0(VALU_DEP_1) | instskip(NEXT) | instid1(VALU_DEP_2)
	v_add_co_u32 v24, vcc_lo, v22, v24
	v_add_co_ci_u32_e32 v25, vcc_lo, v23, v25, vcc_lo
	flat_load_u16 v24, v[24:25]
	s_waitcnt vmcnt(0) lgkmcnt(0)
	v_mul_f16_e32 v24, v48, v24
	s_branch .LBB228_313
.LBB228_312:
	v_mov_b32_e32 v24, 0
.LBB228_313:
	v_pk_add_f16 v25, v14, v4
	v_pk_max_f16 v26, v61, v61
	v_pk_add_f16 v27, v15, v5
	s_delay_alu instid0(VALU_DEP_2) | instskip(NEXT) | instid1(VALU_DEP_1)
	v_pk_min_f16 v25, v26, v25
	v_pk_min_f16 v27, v25, v27
	v_lshlrev_b64 v[25:26], 1, v[38:39]
	s_delay_alu instid0(VALU_DEP_2) | instskip(NEXT) | instid1(VALU_DEP_1)
	v_lshrrev_b32_e32 v28, 16, v27
	v_min3_f16 v27, v24, v27, v28
	s_delay_alu instid0(VALU_DEP_3) | instskip(NEXT) | instid1(VALU_DEP_4)
	v_add_co_u32 v24, vcc_lo, v20, v25
	v_add_co_ci_u32_e32 v25, vcc_lo, v21, v26, vcc_lo
	global_store_b16 v[24:25], v27, off
	s_or_b32 exec_lo, exec_lo, s15
	s_and_b32 s16, s4, s8
	s_delay_alu instid0(SALU_CYCLE_1)
	s_and_saveexec_b32 s15, s16
	s_cbranch_execz .LBB228_295
.LBB228_314:
	v_cmp_ne_u32_e32 vcc_lo, 1, v73
	s_cbranch_vccnz .LBB228_316
; %bb.315:
	v_lshlrev_b64 v[24:25], 1, v[40:41]
	s_delay_alu instid0(VALU_DEP_1) | instskip(NEXT) | instid1(VALU_DEP_2)
	v_add_co_u32 v24, vcc_lo, v22, v24
	v_add_co_ci_u32_e32 v25, vcc_lo, v23, v25, vcc_lo
	flat_load_u16 v24, v[24:25]
	s_waitcnt vmcnt(0) lgkmcnt(0)
	v_mul_f16_e32 v24, v48, v24
	s_branch .LBB228_317
.LBB228_316:
	v_mov_b32_e32 v24, 0
.LBB228_317:
	v_pk_add_f16 v25, v8, v4
	v_pk_max_f16 v26, v60, v60
	v_pk_add_f16 v27, v9, v5
	s_delay_alu instid0(VALU_DEP_2) | instskip(NEXT) | instid1(VALU_DEP_1)
	v_pk_min_f16 v25, v26, v25
	v_pk_min_f16 v27, v25, v27
	v_lshlrev_b64 v[25:26], 1, v[40:41]
	s_delay_alu instid0(VALU_DEP_2) | instskip(NEXT) | instid1(VALU_DEP_1)
	v_lshrrev_b32_e32 v28, 16, v27
	v_min3_f16 v27, v24, v27, v28
	s_delay_alu instid0(VALU_DEP_3) | instskip(NEXT) | instid1(VALU_DEP_4)
	v_add_co_u32 v24, vcc_lo, v20, v25
	v_add_co_ci_u32_e32 v25, vcc_lo, v21, v26, vcc_lo
	global_store_b16 v[24:25], v27, off
	s_or_b32 exec_lo, exec_lo, s15
	s_and_b32 s16, s5, s8
	s_delay_alu instid0(SALU_CYCLE_1)
	s_and_saveexec_b32 s15, s16
	s_cbranch_execz .LBB228_296
.LBB228_318:
	v_cmp_ne_u32_e32 vcc_lo, 1, v73
	s_cbranch_vccnz .LBB228_320
; %bb.319:
	v_lshlrev_b64 v[24:25], 1, v[42:43]
	s_delay_alu instid0(VALU_DEP_1) | instskip(NEXT) | instid1(VALU_DEP_2)
	v_add_co_u32 v24, vcc_lo, v22, v24
	v_add_co_ci_u32_e32 v25, vcc_lo, v23, v25, vcc_lo
	flat_load_u16 v24, v[24:25]
	s_waitcnt vmcnt(0) lgkmcnt(0)
	v_mul_f16_e32 v24, v48, v24
	s_branch .LBB228_321
.LBB228_320:
	v_mov_b32_e32 v24, 0
.LBB228_321:
	v_pk_add_f16 v25, v10, v4
	v_pk_max_f16 v26, v59, v59
	v_pk_add_f16 v27, v11, v5
	s_delay_alu instid0(VALU_DEP_2) | instskip(NEXT) | instid1(VALU_DEP_1)
	v_pk_min_f16 v25, v26, v25
	v_pk_min_f16 v27, v25, v27
	v_lshlrev_b64 v[25:26], 1, v[42:43]
	s_delay_alu instid0(VALU_DEP_2) | instskip(NEXT) | instid1(VALU_DEP_1)
	v_lshrrev_b32_e32 v28, 16, v27
	v_min3_f16 v27, v24, v27, v28
	s_delay_alu instid0(VALU_DEP_3) | instskip(NEXT) | instid1(VALU_DEP_4)
	v_add_co_u32 v24, vcc_lo, v20, v25
	v_add_co_ci_u32_e32 v25, vcc_lo, v21, v26, vcc_lo
	global_store_b16 v[24:25], v27, off
	s_or_b32 exec_lo, exec_lo, s15
	s_and_b32 s16, s6, s8
	s_delay_alu instid0(SALU_CYCLE_1)
	s_and_saveexec_b32 s15, s16
	s_cbranch_execz .LBB228_297
.LBB228_322:
	v_cmp_ne_u32_e32 vcc_lo, 1, v73
	s_cbranch_vccnz .LBB228_324
; %bb.323:
	v_lshlrev_b64 v[24:25], 1, v[44:45]
	s_delay_alu instid0(VALU_DEP_1) | instskip(NEXT) | instid1(VALU_DEP_2)
	v_add_co_u32 v24, vcc_lo, v22, v24
	v_add_co_ci_u32_e32 v25, vcc_lo, v23, v25, vcc_lo
	flat_load_u16 v24, v[24:25]
	s_waitcnt vmcnt(0) lgkmcnt(0)
	v_mul_f16_e32 v24, v48, v24
	s_branch .LBB228_325
.LBB228_324:
	v_mov_b32_e32 v24, 0
.LBB228_325:
	v_pk_add_f16 v25, v0, v4
	v_pk_max_f16 v26, v58, v58
	v_pk_add_f16 v27, v1, v5
	s_delay_alu instid0(VALU_DEP_2) | instskip(NEXT) | instid1(VALU_DEP_1)
	v_pk_min_f16 v25, v26, v25
	v_pk_min_f16 v27, v25, v27
	v_lshlrev_b64 v[25:26], 1, v[44:45]
	s_delay_alu instid0(VALU_DEP_2) | instskip(NEXT) | instid1(VALU_DEP_1)
	v_lshrrev_b32_e32 v28, 16, v27
	v_min3_f16 v27, v24, v27, v28
	s_delay_alu instid0(VALU_DEP_3) | instskip(NEXT) | instid1(VALU_DEP_4)
	v_add_co_u32 v24, vcc_lo, v20, v25
	v_add_co_ci_u32_e32 v25, vcc_lo, v21, v26, vcc_lo
	global_store_b16 v[24:25], v27, off
	s_or_b32 exec_lo, exec_lo, s15
	s_and_b32 s15, s7, s8
	s_delay_alu instid0(SALU_CYCLE_1)
	s_and_saveexec_b32 s8, s15
	s_cbranch_execz .LBB228_330
.LBB228_326:
	v_cmp_ne_u32_e32 vcc_lo, 1, v73
	s_cbranch_vccnz .LBB228_328
; %bb.327:
	v_lshlrev_b64 v[24:25], 1, v[46:47]
	s_delay_alu instid0(VALU_DEP_1) | instskip(NEXT) | instid1(VALU_DEP_2)
	v_add_co_u32 v22, vcc_lo, v22, v24
	v_add_co_ci_u32_e32 v23, vcc_lo, v23, v25, vcc_lo
	flat_load_u16 v22, v[22:23]
	s_waitcnt vmcnt(0) lgkmcnt(0)
	v_mul_f16_e32 v22, v48, v22
	s_branch .LBB228_329
.LBB228_328:
	v_mov_b32_e32 v22, 0
.LBB228_329:
	v_pk_add_f16 v4, v2, v4
	v_pk_max_f16 v23, v57, v57
	v_pk_add_f16 v5, v3, v5
	s_delay_alu instid0(VALU_DEP_2) | instskip(NEXT) | instid1(VALU_DEP_1)
	v_pk_min_f16 v4, v23, v4
	v_pk_min_f16 v23, v4, v5
	v_lshlrev_b64 v[4:5], 1, v[46:47]
	s_delay_alu instid0(VALU_DEP_2) | instskip(NEXT) | instid1(VALU_DEP_2)
	v_lshrrev_b32_e32 v24, 16, v23
	v_add_co_u32 v4, vcc_lo, v20, v4
	s_delay_alu instid0(VALU_DEP_3) | instskip(NEXT) | instid1(VALU_DEP_3)
	v_add_co_ci_u32_e32 v5, vcc_lo, v21, v5, vcc_lo
	v_min3_f16 v22, v22, v23, v24
	global_store_b16 v[4:5], v22, off
.LBB228_330:
	s_or_b32 exec_lo, exec_lo, s8
	v_add_nc_u32_e32 v22, 0xe0, v81
	s_delay_alu instid0(VALU_DEP_1) | instskip(SKIP_2) | instid1(VALU_DEP_3)
	v_mad_i64_i32 v[4:5], null, v22, s14, 0
	v_mad_i64_i32 v[20:21], null, v22, s9, 0
	v_cmp_gt_i32_e64 s8, s17, v22
	v_lshlrev_b64 v[4:5], 1, v[4:5]
	s_delay_alu instid0(VALU_DEP_2) | instskip(NEXT) | instid1(VALU_DEP_3)
	s_and_b32 s9, s0, s8
	v_lshlrev_b64 v[20:21], 1, v[20:21]
	s_delay_alu instid0(VALU_DEP_2) | instskip(NEXT) | instid1(VALU_DEP_3)
	v_add_co_u32 v22, vcc_lo, s10, v4
	v_add_co_ci_u32_e32 v23, vcc_lo, s11, v5, vcc_lo
	s_delay_alu instid0(VALU_DEP_3) | instskip(NEXT) | instid1(VALU_DEP_4)
	v_add_co_u32 v20, vcc_lo, s12, v20
	v_add_co_ci_u32_e32 v21, vcc_lo, s13, v21, vcc_lo
	s_and_saveexec_b32 s0, s9
	s_cbranch_execnz .LBB228_339
; %bb.331:
	s_or_b32 exec_lo, exec_lo, s0
	s_and_b32 s1, s1, s8
	s_delay_alu instid0(SALU_CYCLE_1)
	s_and_saveexec_b32 s0, s1
	s_cbranch_execnz .LBB228_343
.LBB228_332:
	s_or_b32 exec_lo, exec_lo, s0
	s_and_b32 s1, s2, s8
	s_delay_alu instid0(SALU_CYCLE_1)
	s_and_saveexec_b32 s0, s1
	s_cbranch_execnz .LBB228_347
.LBB228_333:
	s_or_b32 exec_lo, exec_lo, s0
	s_and_b32 s1, s3, s8
	s_delay_alu instid0(SALU_CYCLE_1)
	s_and_saveexec_b32 s0, s1
	s_cbranch_execnz .LBB228_351
.LBB228_334:
	s_or_b32 exec_lo, exec_lo, s0
	s_and_b32 s1, s4, s8
	s_delay_alu instid0(SALU_CYCLE_1)
	s_and_saveexec_b32 s0, s1
	s_cbranch_execnz .LBB228_355
.LBB228_335:
	s_or_b32 exec_lo, exec_lo, s0
	s_and_b32 s1, s5, s8
	s_delay_alu instid0(SALU_CYCLE_1)
	s_and_saveexec_b32 s0, s1
	s_cbranch_execnz .LBB228_359
.LBB228_336:
	s_or_b32 exec_lo, exec_lo, s0
	s_and_b32 s1, s6, s8
	s_delay_alu instid0(SALU_CYCLE_1)
	s_and_saveexec_b32 s0, s1
	s_cbranch_execnz .LBB228_363
.LBB228_337:
	s_or_b32 exec_lo, exec_lo, s0
	s_and_b32 s0, s7, s8
	s_delay_alu instid0(SALU_CYCLE_1)
	s_and_saveexec_b32 s1, s0
	s_cbranch_execnz .LBB228_367
.LBB228_338:
	s_nop 0
	s_sendmsg sendmsg(MSG_DEALLOC_VGPRS)
	s_endpgm
.LBB228_339:
	v_cmp_ne_u32_e32 vcc_lo, 1, v73
	v_lshlrev_b64 v[4:5], 1, v[32:33]
	s_cbranch_vccnz .LBB228_341
; %bb.340:
	s_delay_alu instid0(VALU_DEP_1) | instskip(NEXT) | instid1(VALU_DEP_2)
	v_add_co_u32 v24, vcc_lo, v22, v4
	v_add_co_ci_u32_e32 v25, vcc_lo, v23, v5, vcc_lo
	flat_load_u16 v24, v[24:25]
	s_waitcnt vmcnt(0) lgkmcnt(0)
	v_mul_f16_e32 v24, v48, v24
	s_branch .LBB228_342
.LBB228_341:
	v_mov_b32_e32 v24, 0
.LBB228_342:
	v_pk_add_f16 v16, v16, v6
	v_pk_max_f16 v25, v56, v56
	v_pk_add_f16 v17, v17, v7
	v_add_co_u32 v4, vcc_lo, v20, v4
	v_add_co_ci_u32_e32 v5, vcc_lo, v21, v5, vcc_lo
	s_delay_alu instid0(VALU_DEP_4) | instskip(NEXT) | instid1(VALU_DEP_1)
	v_pk_min_f16 v16, v25, v16
	v_pk_min_f16 v16, v16, v17
	s_delay_alu instid0(VALU_DEP_1) | instskip(NEXT) | instid1(VALU_DEP_1)
	v_lshrrev_b32_e32 v17, 16, v16
	v_min3_f16 v16, v24, v16, v17
	global_store_b16 v[4:5], v16, off
	s_or_b32 exec_lo, exec_lo, s0
	s_and_b32 s1, s1, s8
	s_delay_alu instid0(SALU_CYCLE_1)
	s_and_saveexec_b32 s0, s1
	s_cbranch_execz .LBB228_332
.LBB228_343:
	v_cmp_ne_u32_e32 vcc_lo, 1, v73
	v_lshlrev_b64 v[4:5], 1, v[34:35]
	s_cbranch_vccnz .LBB228_345
; %bb.344:
	s_delay_alu instid0(VALU_DEP_1) | instskip(NEXT) | instid1(VALU_DEP_2)
	v_add_co_u32 v16, vcc_lo, v22, v4
	v_add_co_ci_u32_e32 v17, vcc_lo, v23, v5, vcc_lo
	flat_load_u16 v16, v[16:17]
	s_waitcnt vmcnt(0) lgkmcnt(0)
	v_mul_f16_e32 v16, v48, v16
	s_branch .LBB228_346
.LBB228_345:
	v_mov_b32_e32 v16, 0
.LBB228_346:
	v_pk_add_f16 v17, v18, v6
	v_pk_max_f16 v18, v55, v55
	v_pk_add_f16 v19, v19, v7
	v_add_co_u32 v4, vcc_lo, v20, v4
	v_add_co_ci_u32_e32 v5, vcc_lo, v21, v5, vcc_lo
	s_delay_alu instid0(VALU_DEP_4) | instskip(NEXT) | instid1(VALU_DEP_1)
	v_pk_min_f16 v17, v18, v17
	v_pk_min_f16 v17, v17, v19
	s_delay_alu instid0(VALU_DEP_1) | instskip(NEXT) | instid1(VALU_DEP_1)
	v_lshrrev_b32_e32 v18, 16, v17
	v_min3_f16 v16, v16, v17, v18
	global_store_b16 v[4:5], v16, off
	s_or_b32 exec_lo, exec_lo, s0
	s_and_b32 s1, s2, s8
	s_delay_alu instid0(SALU_CYCLE_1)
	s_and_saveexec_b32 s0, s1
	s_cbranch_execz .LBB228_333
.LBB228_347:
	v_cmp_ne_u32_e32 vcc_lo, 1, v73
	v_lshlrev_b64 v[4:5], 1, v[36:37]
	s_cbranch_vccnz .LBB228_349
; %bb.348:
	s_delay_alu instid0(VALU_DEP_1) | instskip(NEXT) | instid1(VALU_DEP_2)
	v_add_co_u32 v16, vcc_lo, v22, v4
	v_add_co_ci_u32_e32 v17, vcc_lo, v23, v5, vcc_lo
	flat_load_u16 v16, v[16:17]
	s_waitcnt vmcnt(0) lgkmcnt(0)
	v_mul_f16_e32 v16, v48, v16
	s_branch .LBB228_350
.LBB228_349:
	v_mov_b32_e32 v16, 0
.LBB228_350:
	v_pk_add_f16 v12, v12, v6
	v_pk_max_f16 v17, v54, v54
	v_pk_add_f16 v13, v13, v7
	v_add_co_u32 v4, vcc_lo, v20, v4
	v_add_co_ci_u32_e32 v5, vcc_lo, v21, v5, vcc_lo
	s_delay_alu instid0(VALU_DEP_4) | instskip(NEXT) | instid1(VALU_DEP_1)
	v_pk_min_f16 v12, v17, v12
	v_pk_min_f16 v12, v12, v13
	s_delay_alu instid0(VALU_DEP_1) | instskip(NEXT) | instid1(VALU_DEP_1)
	v_lshrrev_b32_e32 v13, 16, v12
	v_min3_f16 v12, v16, v12, v13
	global_store_b16 v[4:5], v12, off
	s_or_b32 exec_lo, exec_lo, s0
	s_and_b32 s1, s3, s8
	s_delay_alu instid0(SALU_CYCLE_1)
	s_and_saveexec_b32 s0, s1
	s_cbranch_execz .LBB228_334
.LBB228_351:
	v_cmp_ne_u32_e32 vcc_lo, 1, v73
	v_lshlrev_b64 v[4:5], 1, v[38:39]
	s_cbranch_vccnz .LBB228_353
; %bb.352:
	s_delay_alu instid0(VALU_DEP_1) | instskip(NEXT) | instid1(VALU_DEP_2)
	v_add_co_u32 v12, vcc_lo, v22, v4
	v_add_co_ci_u32_e32 v13, vcc_lo, v23, v5, vcc_lo
	flat_load_u16 v12, v[12:13]
	s_waitcnt vmcnt(0) lgkmcnt(0)
	v_mul_f16_e32 v12, v48, v12
	s_branch .LBB228_354
.LBB228_353:
	v_mov_b32_e32 v12, 0
.LBB228_354:
	v_pk_add_f16 v13, v14, v6
	v_pk_max_f16 v14, v53, v53
	v_pk_add_f16 v15, v15, v7
	v_add_co_u32 v4, vcc_lo, v20, v4
	v_add_co_ci_u32_e32 v5, vcc_lo, v21, v5, vcc_lo
	s_delay_alu instid0(VALU_DEP_4) | instskip(NEXT) | instid1(VALU_DEP_1)
	v_pk_min_f16 v13, v14, v13
	v_pk_min_f16 v13, v13, v15
	s_delay_alu instid0(VALU_DEP_1) | instskip(NEXT) | instid1(VALU_DEP_1)
	v_lshrrev_b32_e32 v14, 16, v13
	v_min3_f16 v12, v12, v13, v14
	global_store_b16 v[4:5], v12, off
	s_or_b32 exec_lo, exec_lo, s0
	s_and_b32 s1, s4, s8
	s_delay_alu instid0(SALU_CYCLE_1)
	s_and_saveexec_b32 s0, s1
	s_cbranch_execz .LBB228_335
.LBB228_355:
	v_cmp_ne_u32_e32 vcc_lo, 1, v73
	v_lshlrev_b64 v[4:5], 1, v[40:41]
	s_cbranch_vccnz .LBB228_357
; %bb.356:
	s_delay_alu instid0(VALU_DEP_1) | instskip(NEXT) | instid1(VALU_DEP_2)
	v_add_co_u32 v12, vcc_lo, v22, v4
	v_add_co_ci_u32_e32 v13, vcc_lo, v23, v5, vcc_lo
	flat_load_u16 v12, v[12:13]
	s_waitcnt vmcnt(0) lgkmcnt(0)
	v_mul_f16_e32 v12, v48, v12
	s_branch .LBB228_358
.LBB228_357:
	v_mov_b32_e32 v12, 0
.LBB228_358:
	v_pk_add_f16 v8, v8, v6
	v_pk_max_f16 v13, v52, v52
	v_pk_add_f16 v9, v9, v7
	v_add_co_u32 v4, vcc_lo, v20, v4
	v_add_co_ci_u32_e32 v5, vcc_lo, v21, v5, vcc_lo
	s_delay_alu instid0(VALU_DEP_4) | instskip(NEXT) | instid1(VALU_DEP_1)
	v_pk_min_f16 v8, v13, v8
	v_pk_min_f16 v8, v8, v9
	s_delay_alu instid0(VALU_DEP_1) | instskip(NEXT) | instid1(VALU_DEP_1)
	v_lshrrev_b32_e32 v9, 16, v8
	v_min3_f16 v8, v12, v8, v9
	global_store_b16 v[4:5], v8, off
	s_or_b32 exec_lo, exec_lo, s0
	s_and_b32 s1, s5, s8
	s_delay_alu instid0(SALU_CYCLE_1)
	s_and_saveexec_b32 s0, s1
	s_cbranch_execz .LBB228_336
.LBB228_359:
	v_cmp_ne_u32_e32 vcc_lo, 1, v73
	v_lshlrev_b64 v[4:5], 1, v[42:43]
	s_cbranch_vccnz .LBB228_361
; %bb.360:
	s_delay_alu instid0(VALU_DEP_1) | instskip(NEXT) | instid1(VALU_DEP_2)
	v_add_co_u32 v8, vcc_lo, v22, v4
	v_add_co_ci_u32_e32 v9, vcc_lo, v23, v5, vcc_lo
	flat_load_u16 v8, v[8:9]
	s_waitcnt vmcnt(0) lgkmcnt(0)
	v_mul_f16_e32 v8, v48, v8
	s_branch .LBB228_362
.LBB228_361:
	v_mov_b32_e32 v8, 0
.LBB228_362:
	v_pk_add_f16 v9, v10, v6
	v_pk_max_f16 v10, v51, v51
	v_pk_add_f16 v11, v11, v7
	v_add_co_u32 v4, vcc_lo, v20, v4
	v_add_co_ci_u32_e32 v5, vcc_lo, v21, v5, vcc_lo
	s_delay_alu instid0(VALU_DEP_4) | instskip(NEXT) | instid1(VALU_DEP_1)
	v_pk_min_f16 v9, v10, v9
	v_pk_min_f16 v9, v9, v11
	s_delay_alu instid0(VALU_DEP_1) | instskip(NEXT) | instid1(VALU_DEP_1)
	v_lshrrev_b32_e32 v10, 16, v9
	v_min3_f16 v8, v8, v9, v10
	global_store_b16 v[4:5], v8, off
	s_or_b32 exec_lo, exec_lo, s0
	s_and_b32 s1, s6, s8
	s_delay_alu instid0(SALU_CYCLE_1)
	s_and_saveexec_b32 s0, s1
	s_cbranch_execz .LBB228_337
.LBB228_363:
	v_cmp_ne_u32_e32 vcc_lo, 1, v73
	v_lshlrev_b64 v[4:5], 1, v[44:45]
	s_cbranch_vccnz .LBB228_365
; %bb.364:
	s_delay_alu instid0(VALU_DEP_1) | instskip(NEXT) | instid1(VALU_DEP_2)
	v_add_co_u32 v8, vcc_lo, v22, v4
	v_add_co_ci_u32_e32 v9, vcc_lo, v23, v5, vcc_lo
	flat_load_u16 v8, v[8:9]
	s_waitcnt vmcnt(0) lgkmcnt(0)
	v_mul_f16_e32 v8, v48, v8
	s_branch .LBB228_366
.LBB228_365:
	v_mov_b32_e32 v8, 0
.LBB228_366:
	v_pk_add_f16 v0, v0, v6
	v_pk_max_f16 v9, v50, v50
	v_pk_add_f16 v1, v1, v7
	s_delay_alu instid0(VALU_DEP_2) | instskip(NEXT) | instid1(VALU_DEP_1)
	v_pk_min_f16 v0, v9, v0
	v_pk_min_f16 v0, v0, v1
	s_delay_alu instid0(VALU_DEP_1) | instskip(NEXT) | instid1(VALU_DEP_1)
	v_lshrrev_b32_e32 v1, 16, v0
	v_min3_f16 v8, v8, v0, v1
	v_add_co_u32 v0, vcc_lo, v20, v4
	v_add_co_ci_u32_e32 v1, vcc_lo, v21, v5, vcc_lo
	global_store_b16 v[0:1], v8, off
	s_or_b32 exec_lo, exec_lo, s0
	s_and_b32 s0, s7, s8
	s_delay_alu instid0(SALU_CYCLE_1)
	s_and_saveexec_b32 s1, s0
	s_cbranch_execz .LBB228_338
.LBB228_367:
	v_cmp_ne_u32_e32 vcc_lo, 1, v73
	v_lshlrev_b64 v[0:1], 1, v[46:47]
	s_cbranch_vccnz .LBB228_369
; %bb.368:
	s_delay_alu instid0(VALU_DEP_1) | instskip(NEXT) | instid1(VALU_DEP_2)
	v_add_co_u32 v4, vcc_lo, v22, v0
	v_add_co_ci_u32_e32 v5, vcc_lo, v23, v1, vcc_lo
	flat_load_u16 v4, v[4:5]
	s_waitcnt vmcnt(0) lgkmcnt(0)
	v_mul_f16_e32 v4, v48, v4
	s_branch .LBB228_370
.LBB228_369:
	v_mov_b32_e32 v4, 0
.LBB228_370:
	v_pk_add_f16 v2, v2, v6
	v_pk_max_f16 v5, v49, v49
	v_pk_add_f16 v3, v3, v7
	v_add_co_u32 v0, vcc_lo, v20, v0
	v_add_co_ci_u32_e32 v1, vcc_lo, v21, v1, vcc_lo
	s_delay_alu instid0(VALU_DEP_4) | instskip(NEXT) | instid1(VALU_DEP_1)
	v_pk_min_f16 v2, v5, v2
	v_pk_min_f16 v2, v2, v3
	s_delay_alu instid0(VALU_DEP_1) | instskip(NEXT) | instid1(VALU_DEP_1)
	v_lshrrev_b32_e32 v3, 16, v2
	v_min3_f16 v2, v4, v2, v3
	global_store_b16 v[0:1], v2, off
	s_nop 0
	s_sendmsg sendmsg(MSG_DEALLOC_VGPRS)
	s_endpgm
	.section	.rodata,"a",@progbits
	.p2align	6, 0x0
	.amdhsa_kernel _ZN12_GLOBAL__N_120geam_min_plus_kernelIDF16_Dv2_DF16_S1_Li8ELi32ELi64ELi256ELi4ELi4ELi64ELi64ELi4ELc84ELc84ELb0ELb1ELb1EPKDF16_KS3_KPDF16_EEviiiT16_PT17_ilS9_ilS7_S9_ilPT18_ili26rocblas_geam_ex_operation_
		.amdhsa_group_segment_fixed_size 5120
		.amdhsa_private_segment_fixed_size 0
		.amdhsa_kernarg_size 136
		.amdhsa_user_sgpr_count 14
		.amdhsa_user_sgpr_dispatch_ptr 0
		.amdhsa_user_sgpr_queue_ptr 0
		.amdhsa_user_sgpr_kernarg_segment_ptr 1
		.amdhsa_user_sgpr_dispatch_id 0
		.amdhsa_user_sgpr_private_segment_size 0
		.amdhsa_wavefront_size32 1
		.amdhsa_uses_dynamic_stack 0
		.amdhsa_enable_private_segment 0
		.amdhsa_system_sgpr_workgroup_id_x 1
		.amdhsa_system_sgpr_workgroup_id_y 0
		.amdhsa_system_sgpr_workgroup_id_z 1
		.amdhsa_system_sgpr_workgroup_info 0
		.amdhsa_system_vgpr_workitem_id 1
		.amdhsa_next_free_vgpr 165
		.amdhsa_next_free_sgpr 27
		.amdhsa_reserve_vcc 1
		.amdhsa_float_round_mode_32 0
		.amdhsa_float_round_mode_16_64 0
		.amdhsa_float_denorm_mode_32 3
		.amdhsa_float_denorm_mode_16_64 3
		.amdhsa_dx10_clamp 1
		.amdhsa_ieee_mode 1
		.amdhsa_fp16_overflow 0
		.amdhsa_workgroup_processor_mode 1
		.amdhsa_memory_ordered 1
		.amdhsa_forward_progress 0
		.amdhsa_shared_vgpr_count 0
		.amdhsa_exception_fp_ieee_invalid_op 0
		.amdhsa_exception_fp_denorm_src 0
		.amdhsa_exception_fp_ieee_div_zero 0
		.amdhsa_exception_fp_ieee_overflow 0
		.amdhsa_exception_fp_ieee_underflow 0
		.amdhsa_exception_fp_ieee_inexact 0
		.amdhsa_exception_int_div_zero 0
	.end_amdhsa_kernel
	.section	.text._ZN12_GLOBAL__N_120geam_min_plus_kernelIDF16_Dv2_DF16_S1_Li8ELi32ELi64ELi256ELi4ELi4ELi64ELi64ELi4ELc84ELc84ELb0ELb1ELb1EPKDF16_KS3_KPDF16_EEviiiT16_PT17_ilS9_ilS7_S9_ilPT18_ili26rocblas_geam_ex_operation_,"axG",@progbits,_ZN12_GLOBAL__N_120geam_min_plus_kernelIDF16_Dv2_DF16_S1_Li8ELi32ELi64ELi256ELi4ELi4ELi64ELi64ELi4ELc84ELc84ELb0ELb1ELb1EPKDF16_KS3_KPDF16_EEviiiT16_PT17_ilS9_ilS7_S9_ilPT18_ili26rocblas_geam_ex_operation_,comdat
.Lfunc_end228:
	.size	_ZN12_GLOBAL__N_120geam_min_plus_kernelIDF16_Dv2_DF16_S1_Li8ELi32ELi64ELi256ELi4ELi4ELi64ELi64ELi4ELc84ELc84ELb0ELb1ELb1EPKDF16_KS3_KPDF16_EEviiiT16_PT17_ilS9_ilS7_S9_ilPT18_ili26rocblas_geam_ex_operation_, .Lfunc_end228-_ZN12_GLOBAL__N_120geam_min_plus_kernelIDF16_Dv2_DF16_S1_Li8ELi32ELi64ELi256ELi4ELi4ELi64ELi64ELi4ELc84ELc84ELb0ELb1ELb1EPKDF16_KS3_KPDF16_EEviiiT16_PT17_ilS9_ilS7_S9_ilPT18_ili26rocblas_geam_ex_operation_
                                        ; -- End function
	.section	.AMDGPU.csdata,"",@progbits
; Kernel info:
; codeLenInByte = 23480
; NumSgprs: 29
; NumVgprs: 165
; ScratchSize: 0
; MemoryBound: 0
; FloatMode: 240
; IeeeMode: 1
; LDSByteSize: 5120 bytes/workgroup (compile time only)
; SGPRBlocks: 3
; VGPRBlocks: 20
; NumSGPRsForWavesPerEU: 29
; NumVGPRsForWavesPerEU: 165
; Occupancy: 9
; WaveLimiterHint : 1
; COMPUTE_PGM_RSRC2:SCRATCH_EN: 0
; COMPUTE_PGM_RSRC2:USER_SGPR: 14
; COMPUTE_PGM_RSRC2:TRAP_HANDLER: 0
; COMPUTE_PGM_RSRC2:TGID_X_EN: 1
; COMPUTE_PGM_RSRC2:TGID_Y_EN: 0
; COMPUTE_PGM_RSRC2:TGID_Z_EN: 1
; COMPUTE_PGM_RSRC2:TIDIG_COMP_CNT: 1
	.section	.text._ZN12_GLOBAL__N_120geam_min_plus_kernelIDF16_Dv2_DF16_S1_Li8ELi32ELi64ELi256ELi4ELi4ELi64ELi64ELi4ELc84ELc84ELb1ELb1ELb1EDF16_KPKDF16_KPDF16_EEviiiT16_PT17_ilS9_ilS7_S9_ilPT18_ili26rocblas_geam_ex_operation_,"axG",@progbits,_ZN12_GLOBAL__N_120geam_min_plus_kernelIDF16_Dv2_DF16_S1_Li8ELi32ELi64ELi256ELi4ELi4ELi64ELi64ELi4ELc84ELc84ELb1ELb1ELb1EDF16_KPKDF16_KPDF16_EEviiiT16_PT17_ilS9_ilS7_S9_ilPT18_ili26rocblas_geam_ex_operation_,comdat
	.globl	_ZN12_GLOBAL__N_120geam_min_plus_kernelIDF16_Dv2_DF16_S1_Li8ELi32ELi64ELi256ELi4ELi4ELi64ELi64ELi4ELc84ELc84ELb1ELb1ELb1EDF16_KPKDF16_KPDF16_EEviiiT16_PT17_ilS9_ilS7_S9_ilPT18_ili26rocblas_geam_ex_operation_ ; -- Begin function _ZN12_GLOBAL__N_120geam_min_plus_kernelIDF16_Dv2_DF16_S1_Li8ELi32ELi64ELi256ELi4ELi4ELi64ELi64ELi4ELc84ELc84ELb1ELb1ELb1EDF16_KPKDF16_KPDF16_EEviiiT16_PT17_ilS9_ilS7_S9_ilPT18_ili26rocblas_geam_ex_operation_
	.p2align	8
	.type	_ZN12_GLOBAL__N_120geam_min_plus_kernelIDF16_Dv2_DF16_S1_Li8ELi32ELi64ELi256ELi4ELi4ELi64ELi64ELi4ELc84ELc84ELb1ELb1ELb1EDF16_KPKDF16_KPDF16_EEviiiT16_PT17_ilS9_ilS7_S9_ilPT18_ili26rocblas_geam_ex_operation_,@function
_ZN12_GLOBAL__N_120geam_min_plus_kernelIDF16_Dv2_DF16_S1_Li8ELi32ELi64ELi256ELi4ELi4ELi64ELi64ELi4ELc84ELc84ELb1ELb1ELb1EDF16_KPKDF16_KPDF16_EEviiiT16_PT17_ilS9_ilS7_S9_ilPT18_ili26rocblas_geam_ex_operation_: ; @_ZN12_GLOBAL__N_120geam_min_plus_kernelIDF16_Dv2_DF16_S1_Li8ELi32ELi64ELi256ELi4ELi4ELi64ELi64ELi4ELc84ELc84ELb1ELb1ELb1EDF16_KPKDF16_KPDF16_EEviiiT16_PT17_ilS9_ilS7_S9_ilPT18_ili26rocblas_geam_ex_operation_
; %bb.0:
	s_clause 0x1
	s_load_b128 s[16:19], s[0:1], 0x0
	s_load_b128 s[4:7], s[0:1], 0x20
	s_mov_b32 s2, s15
	s_mov_b32 s3, 0
	s_waitcnt lgkmcnt(0)
	v_cmp_eq_f16_e64 s10, s19, 0
	s_delay_alu instid0(VALU_DEP_1)
	s_and_b32 vcc_lo, exec_lo, s10
	s_cbranch_vccnz .LBB229_3
; %bb.1:
	s_load_b64 s[8:9], s[0:1], 0x10
	s_lshl_b64 s[12:13], s[2:3], 3
	s_waitcnt lgkmcnt(0)
	s_add_u32 s8, s8, s12
	s_addc_u32 s9, s9, s13
	s_lshl_b64 s[4:5], s[4:5], 1
	s_load_b64 s[8:9], s[8:9], 0x0
	s_waitcnt lgkmcnt(0)
	s_add_u32 s8, s8, s4
	s_addc_u32 s9, s9, s5
	s_and_not1_b32 vcc_lo, exec_lo, s10
	s_cbranch_vccnz .LBB229_4
.LBB229_2:
	s_mov_b64 s[20:21], 0
	s_and_not1_b32 vcc_lo, exec_lo, s3
	s_cbranch_vccz .LBB229_5
	s_branch .LBB229_6
.LBB229_3:
	s_mov_b64 s[8:9], 0
	s_and_not1_b32 vcc_lo, exec_lo, s10
	s_cbranch_vccz .LBB229_2
.LBB229_4:
	s_mov_b32 s3, -1
                                        ; implicit-def: $sgpr20_sgpr21
.LBB229_5:
	s_mov_b32 s3, 0
	s_load_b64 s[10:11], s[0:1], 0x38
	s_lshl_b64 s[4:5], s[2:3], 3
	s_delay_alu instid0(SALU_CYCLE_1) | instskip(SKIP_4) | instid1(SALU_CYCLE_1)
	s_add_u32 s4, s6, s4
	s_addc_u32 s5, s7, s5
	s_load_b64 s[4:5], s[4:5], 0x0
	s_waitcnt lgkmcnt(0)
	s_lshl_b64 s[6:7], s[10:11], 1
	s_add_u32 s20, s4, s6
	s_addc_u32 s21, s5, s7
.LBB229_6:
	s_clause 0x1
	s_load_b32 s15, s[0:1], 0x40
	s_load_b128 s[4:7], s[0:1], 0x58
	s_waitcnt lgkmcnt(0)
	v_cmp_eq_f16_e64 s10, s15, 0
	v_cmp_neq_f16_e64 s19, s15, 0
	s_delay_alu instid0(VALU_DEP_2)
	s_and_b32 vcc_lo, exec_lo, s10
	s_cbranch_vccnz .LBB229_8
; %bb.7:
	s_load_b64 s[10:11], s[0:1], 0x48
	s_lshl_b64 s[12:13], s[2:3], 3
	s_waitcnt lgkmcnt(0)
	s_add_u32 s10, s10, s12
	s_addc_u32 s11, s11, s13
	s_lshl_b64 s[4:5], s[4:5], 1
	s_load_b64 s[10:11], s[10:11], 0x0
	s_waitcnt lgkmcnt(0)
	s_add_u32 s10, s10, s4
	s_addc_u32 s11, s11, s5
	s_branch .LBB229_9
.LBB229_8:
	s_mov_b64 s[10:11], 0
.LBB229_9:
	s_lshl_b64 s[2:3], s[2:3], 3
	v_and_b32_e32 v38, 0x3ff, v0
	s_add_u32 s4, s6, s2
	s_addc_u32 s5, s7, s3
	s_add_i32 s2, s16, -1
	v_bfe_u32 v39, v0, 10, 10
	s_ashr_i32 s3, s2, 31
	s_load_b32 s26, s[0:1], 0x18
	s_lshr_b32 s3, s3, 26
	v_and_b32_e32 v40, 3, v38
	s_add_i32 s2, s2, s3
	v_lshl_add_u32 v2, v39, 3, v38
	s_ashr_i32 s2, s2, 6
	v_mov_b32_e32 v0, 0x7c00
	s_add_i32 s6, s2, 1
	s_not_b32 s2, s2
	v_cvt_f32_u32_e32 v1, s6
	v_lshrrev_b32_e32 v11, 2, v2
	s_delay_alu instid0(VALU_DEP_2) | instskip(SKIP_2) | instid1(VALU_DEP_1)
	v_rcp_iflag_f32_e32 v1, v1
	s_waitcnt_depctr 0xfff
	v_mul_f32_e32 v1, 0x4f7ffffe, v1
	v_cvt_u32_f32_e32 v1, v1
	s_delay_alu instid0(VALU_DEP_1) | instskip(SKIP_1) | instid1(VALU_DEP_2)
	v_readfirstlane_b32 s3, v1
	v_dual_mov_b32 v1, 0x7c00 :: v_dual_lshlrev_b32 v10, 1, v40
	s_mul_i32 s2, s2, s3
	s_delay_alu instid0(SALU_CYCLE_1) | instskip(NEXT) | instid1(SALU_CYCLE_1)
	s_mul_hi_u32 s2, s3, s2
	s_add_i32 s3, s3, s2
	s_delay_alu instid0(SALU_CYCLE_1) | instskip(NEXT) | instid1(SALU_CYCLE_1)
	s_mul_hi_u32 s2, s14, s3
	s_mul_i32 s3, s2, s6
	s_add_i32 s7, s2, 1
	s_sub_i32 s3, s14, s3
	s_delay_alu instid0(SALU_CYCLE_1)
	s_sub_i32 s12, s3, s6
	s_cmp_ge_u32 s3, s6
	s_cselect_b32 s2, s7, s2
	s_cselect_b32 s3, s12, s3
	s_add_i32 s7, s2, 1
	s_cmp_ge_u32 s3, s6
	s_load_b64 s[12:13], s[4:5], 0x0
	s_cselect_b32 s3, s7, s2
	s_delay_alu instid0(SALU_CYCLE_1) | instskip(NEXT) | instid1(SALU_CYCLE_1)
	s_mul_i32 s27, s3, s6
	s_sub_i32 s2, s14, s27
	s_delay_alu instid0(SALU_CYCLE_1) | instskip(SKIP_2) | instid1(VALU_DEP_1)
	s_lshl_b32 s7, s2, 6
	v_cmp_gt_i32_e64 s2, s18, v40
	v_add_nc_u32_e32 v6, s7, v11
	v_cmp_le_i32_e32 vcc_lo, s16, v6
	s_xor_b32 s25, vcc_lo, -1
	s_delay_alu instid0(VALU_DEP_3) | instid1(SALU_CYCLE_1)
	s_and_b32 s4, s2, s25
	s_delay_alu instid0(SALU_CYCLE_1)
	s_and_saveexec_b32 s2, s4
	s_cbranch_execz .LBB229_11
; %bb.10:
	s_waitcnt lgkmcnt(0)
	v_mad_i64_i32 v[3:4], null, v6, s26, 0
	s_delay_alu instid0(VALU_DEP_1) | instskip(NEXT) | instid1(VALU_DEP_1)
	v_lshlrev_b64 v[3:4], 1, v[3:4]
	v_add_co_u32 v1, vcc_lo, s8, v3
	s_delay_alu instid0(VALU_DEP_2) | instskip(NEXT) | instid1(VALU_DEP_2)
	v_add_co_ci_u32_e32 v4, vcc_lo, s9, v4, vcc_lo
	v_add_co_u32 v3, vcc_lo, v1, v10
	s_delay_alu instid0(VALU_DEP_2)
	v_add_co_ci_u32_e32 v4, vcc_lo, 0, v4, vcc_lo
	flat_load_u16 v1, v[3:4]
.LBB229_11:
	s_or_b32 exec_lo, exec_lo, s2
	s_load_b32 s22, s[0:1], 0x30
	v_lshrrev_b32_e32 v41, 6, v2
	v_and_b32_e32 v2, 63, v2
	s_lshl_b32 s24, s3, 8
	s_delay_alu instid0(VALU_DEP_2) | instskip(NEXT) | instid1(VALU_DEP_2)
	v_cmp_le_i32_e64 s5, s18, v41
	v_or_b32_e32 v8, s24, v2
	s_delay_alu instid0(VALU_DEP_1) | instskip(SKIP_3) | instid1(VALU_DEP_1)
	v_cmp_le_i32_e32 vcc_lo, s17, v8
	v_ashrrev_i32_e32 v9, 31, v8
	s_waitcnt lgkmcnt(0)
	v_mad_i64_i32 v[3:4], null, s22, v41, 0
	v_lshlrev_b64 v[3:4], 1, v[3:4]
	s_delay_alu instid0(VALU_DEP_1) | instskip(NEXT) | instid1(VALU_DEP_1)
	v_add_co_u32 v7, s2, s20, v3
	v_add_co_ci_u32_e64 v13, s2, s21, v4, s2
	s_or_b32 s2, vcc_lo, s5
	s_delay_alu instid0(SALU_CYCLE_1) | instskip(NEXT) | instid1(SALU_CYCLE_1)
	s_xor_b32 s2, s2, -1
	s_and_saveexec_b32 s3, s2
	s_cbranch_execz .LBB229_13
; %bb.12:
	v_lshlrev_b64 v[3:4], 1, v[8:9]
	s_delay_alu instid0(VALU_DEP_1) | instskip(NEXT) | instid1(VALU_DEP_1)
	v_add_co_u32 v3, s2, v7, v3
	v_add_co_ci_u32_e64 v4, s2, v13, v4, s2
	flat_load_u16 v0, v[3:4]
.LBB229_13:
	s_or_b32 exec_lo, exec_lo, s3
	v_or_b32_e32 v3, 64, v8
	v_mov_b32_e32 v4, 0x7c00
	s_delay_alu instid0(VALU_DEP_2) | instskip(SKIP_1) | instid1(VALU_DEP_2)
	v_cmp_le_i32_e64 s2, s17, v3
	v_mov_b32_e32 v3, 0x7c00
	s_or_b32 s3, s2, s5
	s_delay_alu instid0(SALU_CYCLE_1) | instskip(NEXT) | instid1(SALU_CYCLE_1)
	s_xor_b32 s3, s3, -1
	s_and_saveexec_b32 s4, s3
	s_cbranch_execz .LBB229_15
; %bb.14:
	v_lshlrev_b64 v[4:5], 1, v[8:9]
	s_delay_alu instid0(VALU_DEP_1) | instskip(NEXT) | instid1(VALU_DEP_1)
	v_add_co_u32 v4, s3, v7, v4
	v_add_co_ci_u32_e64 v5, s3, v13, v5, s3
	flat_load_u16 v4, v[4:5] offset:128
.LBB229_15:
	s_or_b32 exec_lo, exec_lo, s4
	v_or_b32_e32 v5, 0x80, v8
	s_ashr_i32 s23, s22, 31
	s_delay_alu instid0(VALU_DEP_1) | instskip(NEXT) | instid1(VALU_DEP_1)
	v_cmp_le_i32_e64 s3, s17, v5
	s_or_b32 s4, s3, s5
	s_delay_alu instid0(SALU_CYCLE_1) | instskip(NEXT) | instid1(SALU_CYCLE_1)
	s_xor_b32 s4, s4, -1
	s_and_saveexec_b32 s6, s4
	s_cbranch_execz .LBB229_17
; %bb.16:
	v_lshlrev_b64 v[14:15], 1, v[8:9]
	s_delay_alu instid0(VALU_DEP_1) | instskip(NEXT) | instid1(VALU_DEP_1)
	v_add_co_u32 v14, s4, v7, v14
	v_add_co_ci_u32_e64 v15, s4, v13, v15, s4
	flat_load_u16 v3, v[14:15] offset:256
.LBB229_17:
	s_or_b32 exec_lo, exec_lo, s6
	v_or_b32_e32 v5, 0xc0, v8
	v_mov_b32_e32 v12, 0x7c00
	s_delay_alu instid0(VALU_DEP_2) | instskip(SKIP_1) | instid1(VALU_DEP_2)
	v_cmp_le_i32_e64 s4, s17, v5
	v_mov_b32_e32 v5, 0x7c00
	s_or_b32 s5, s4, s5
	s_delay_alu instid0(SALU_CYCLE_1) | instskip(NEXT) | instid1(SALU_CYCLE_1)
	s_xor_b32 s5, s5, -1
	s_and_saveexec_b32 s6, s5
	s_cbranch_execz .LBB229_19
; %bb.18:
	v_lshlrev_b64 v[14:15], 1, v[8:9]
	s_delay_alu instid0(VALU_DEP_1) | instskip(NEXT) | instid1(VALU_DEP_1)
	v_add_co_u32 v14, s5, v7, v14
	v_add_co_ci_u32_e64 v15, s5, v13, v15, s5
	flat_load_u16 v5, v[14:15] offset:384
.LBB229_19:
	s_or_b32 exec_lo, exec_lo, s6
	v_or_b32_e32 v7, 4, v40
	s_delay_alu instid0(VALU_DEP_1) | instskip(NEXT) | instid1(VALU_DEP_1)
	v_cmp_gt_i32_e64 s5, s18, v7
	s_and_b32 s5, s5, s25
	s_delay_alu instid0(SALU_CYCLE_1)
	s_and_saveexec_b32 s6, s5
	s_cbranch_execz .LBB229_21
; %bb.20:
	v_mad_i64_i32 v[12:13], null, v6, s26, 0
	s_delay_alu instid0(VALU_DEP_1) | instskip(NEXT) | instid1(VALU_DEP_1)
	v_lshlrev_b64 v[6:7], 1, v[12:13]
	v_add_co_u32 v6, s5, s8, v6
	s_delay_alu instid0(VALU_DEP_1) | instskip(NEXT) | instid1(VALU_DEP_2)
	v_add_co_ci_u32_e64 v7, s5, s9, v7, s5
	v_add_co_u32 v6, s5, v6, v10
	s_delay_alu instid0(VALU_DEP_1)
	v_add_co_ci_u32_e64 v7, s5, 0, v7, s5
	flat_load_u16 v12, v[6:7] offset:8
.LBB229_21:
	s_or_b32 exec_lo, exec_lo, s6
	v_dual_mov_b32 v13, 0x7c00 :: v_dual_add_nc_u32 v14, 4, v41
	s_delay_alu instid0(VALU_DEP_1) | instskip(SKIP_2) | instid1(VALU_DEP_3)
	v_mad_i64_i32 v[6:7], null, s22, v14, 0
	v_cmp_le_i32_e64 s5, s18, v14
	v_mov_b32_e32 v14, 0x7c00
	v_lshlrev_b64 v[6:7], 1, v[6:7]
	s_delay_alu instid0(VALU_DEP_1) | instskip(NEXT) | instid1(VALU_DEP_1)
	v_add_co_u32 v6, s6, s20, v6
	v_add_co_ci_u32_e64 v7, s6, s21, v7, s6
	s_or_b32 s6, vcc_lo, s5
	s_delay_alu instid0(SALU_CYCLE_1) | instskip(NEXT) | instid1(SALU_CYCLE_1)
	s_xor_b32 s6, s6, -1
	s_and_saveexec_b32 s28, s6
	s_cbranch_execz .LBB229_23
; %bb.22:
	v_lshlrev_b64 v[14:15], 1, v[8:9]
	s_delay_alu instid0(VALU_DEP_1) | instskip(NEXT) | instid1(VALU_DEP_1)
	v_add_co_u32 v14, s6, v6, v14
	v_add_co_ci_u32_e64 v15, s6, v7, v15, s6
	flat_load_u16 v14, v[14:15]
.LBB229_23:
	s_or_b32 exec_lo, exec_lo, s28
	s_or_b32 s6, s2, s5
	s_delay_alu instid0(SALU_CYCLE_1) | instskip(NEXT) | instid1(SALU_CYCLE_1)
	s_xor_b32 s6, s6, -1
	s_and_saveexec_b32 s28, s6
	s_cbranch_execz .LBB229_25
; %bb.24:
	v_lshlrev_b64 v[15:16], 1, v[8:9]
	s_delay_alu instid0(VALU_DEP_1) | instskip(NEXT) | instid1(VALU_DEP_1)
	v_add_co_u32 v15, s6, v6, v15
	v_add_co_ci_u32_e64 v16, s6, v7, v16, s6
	flat_load_u16 v13, v[15:16] offset:128
.LBB229_25:
	s_or_b32 exec_lo, exec_lo, s28
	v_dual_mov_b32 v15, 0x7c00 :: v_dual_mov_b32 v16, 0x7c00
	s_or_b32 s6, s3, s5
	s_delay_alu instid0(SALU_CYCLE_1) | instskip(NEXT) | instid1(SALU_CYCLE_1)
	s_xor_b32 s6, s6, -1
	s_and_saveexec_b32 s28, s6
	s_cbranch_execz .LBB229_27
; %bb.26:
	v_lshlrev_b64 v[16:17], 1, v[8:9]
	s_delay_alu instid0(VALU_DEP_1) | instskip(NEXT) | instid1(VALU_DEP_1)
	v_add_co_u32 v16, s6, v6, v16
	v_add_co_ci_u32_e64 v17, s6, v7, v17, s6
	flat_load_u16 v16, v[16:17] offset:256
.LBB229_27:
	s_or_b32 exec_lo, exec_lo, s28
	s_or_b32 s5, s4, s5
	s_delay_alu instid0(SALU_CYCLE_1) | instskip(NEXT) | instid1(SALU_CYCLE_1)
	s_xor_b32 s5, s5, -1
	s_and_saveexec_b32 s6, s5
	s_cbranch_execz .LBB229_29
; %bb.28:
	v_lshlrev_b64 v[17:18], 1, v[8:9]
	s_delay_alu instid0(VALU_DEP_1) | instskip(NEXT) | instid1(VALU_DEP_1)
	v_add_co_u32 v6, s5, v6, v17
	v_add_co_ci_u32_e64 v7, s5, v7, v18, s5
	flat_load_u16 v15, v[6:7] offset:384
.LBB229_29:
	s_or_b32 exec_lo, exec_lo, s6
	v_lshlrev_b32_e32 v6, 1, v41
	v_lshlrev_b32_e32 v42, 3, v38
	;; [unrolled: 1-line block ×3, first 2 shown]
	v_lshl_or_b32 v17, v11, 3, v10
	s_cmp_lt_i32 s18, 9
	v_lshl_add_u32 v44, v2, 3, v6
	v_add_nc_u32_e32 v2, 0x1000, v42
	s_waitcnt vmcnt(0) lgkmcnt(0)
	ds_store_b16 v44, v0
	ds_store_b16 v44, v4 offset:512
	ds_store_b16 v44, v3 offset:1024
	;; [unrolled: 1-line block ×4, first 2 shown]
	s_waitcnt lgkmcnt(0)
	s_barrier
	buffer_gl0_inv
	ds_load_2addr_b64 v[18:21], v2 offset1:8
	ds_load_2addr_b64 v[22:25], v43 offset1:32
	ds_load_2addr_b64 v[26:29], v2 offset0:16 offset1:24
	ds_load_2addr_b64 v[4:7], v2 offset0:32 offset1:40
	;; [unrolled: 1-line block ×5, first 2 shown]
	s_waitcnt lgkmcnt(5)
	v_pk_add_f16 v45, v18, v22
	s_waitcnt lgkmcnt(4)
	v_pk_add_f16 v47, v26, v22
	v_pk_add_f16 v48, v28, v22
	s_waitcnt lgkmcnt(3)
	v_pk_add_f16 v49, v4, v22
	v_pk_add_f16 v75, v19, v23
	v_pk_min_f16 v45, 0x7c00, v45 op_sel_hi:[0,1]
	v_pk_add_f16 v46, v20, v22
	s_waitcnt lgkmcnt(2)
	v_pk_add_f16 v52, v2, v22
	v_pk_add_f16 v79, v5, v23
	;; [unrolled: 1-line block ×3, first 2 shown]
	v_pk_min_f16 v116, v45, v75
	v_pk_min_f16 v45, 0x7c00, v47 op_sel_hi:[0,1]
	v_pk_min_f16 v47, 0x7c00, v48 op_sel_hi:[0,1]
	;; [unrolled: 1-line block ×3, first 2 shown]
	v_pk_add_f16 v51, v0, v22
	v_pk_add_f16 v56, v28, v24
	;; [unrolled: 1-line block ×5, first 2 shown]
	v_pk_min_f16 v46, 0x7c00, v46 op_sel_hi:[0,1]
	v_pk_min_f16 v109, v48, v79
	v_pk_min_f16 v48, 0x7c00, v52 op_sel_hi:[0,1]
	v_pk_add_f16 v55, v26, v24
	v_pk_add_f16 v60, v2, v24
	s_waitcnt lgkmcnt(1)
	v_pk_add_f16 v61, v18, v30
	v_pk_add_f16 v62, v20, v30
	;; [unrolled: 1-line block ×12, first 2 shown]
	v_pk_min_f16 v115, v46, v76
	v_pk_min_f16 v46, 0x7c00, v50 op_sel_hi:[0,1]
	v_pk_min_f16 v113, v47, v78
	v_pk_min_f16 v47, 0x7c00, v51 op_sel_hi:[0,1]
	;; [unrolled: 2-line block ×3, first 2 shown]
	v_pk_add_f16 v57, v4, v24
	v_pk_add_f16 v70, v26, v32
	;; [unrolled: 1-line block ×12, first 2 shown]
	v_pk_min_f16 v114, v45, v77
	v_pk_min_f16 v45, v46, v80
	;; [unrolled: 1-line block ×3, first 2 shown]
	v_pk_min_f16 v47, 0x7c00, v55 op_sel_hi:[0,1]
	v_pk_min_f16 v102, v48, v86
	v_pk_min_f16 v48, 0x7c00, v60 op_sel_hi:[0,1]
	v_pk_min_f16 v30, 0x7c00, v30 op_sel_hi:[0,1]
	v_pk_add_f16 v53, v18, v24
	v_pk_add_f16 v71, v28, v32
	;; [unrolled: 1-line block ×5, first 2 shown]
	v_pk_min_f16 v103, v47, v85
	v_pk_min_f16 v47, 0x7c00, v57 op_sel_hi:[0,1]
	v_pk_min_f16 v98, v48, v90
	v_pk_min_f16 v90, v30, v31
	v_pk_min_f16 v30, 0x7c00, v70 op_sel_hi:[0,1]
	v_pk_add_f16 v68, v18, v32
	v_pk_add_f16 v69, v20, v32
	;; [unrolled: 1-line block ×8, first 2 shown]
	s_waitcnt lgkmcnt(0)
	v_pk_add_f16 v122, v18, v34
	v_pk_min_f16 v49, 0x7c00, v53 op_sel_hi:[0,1]
	v_pk_min_f16 v101, v47, v87
	v_pk_min_f16 v31, 0x7c00, v71 op_sel_hi:[0,1]
	v_pk_min_f16 v87, v30, v117
	v_pk_min_f16 v30, 0x7c00, v74 op_sel_hi:[0,1]
	v_pk_add_f16 v54, v20, v24
	v_pk_add_f16 v58, v6, v24
	;; [unrolled: 1-line block ×13, first 2 shown]
	ds_load_2addr_b64 v[22:25], v43 offset0:192 offset1:224
	v_pk_add_f16 v136, v19, v35
	v_pk_min_f16 v105, v49, v83
	v_pk_min_f16 v86, v31, v118
	v_pk_min_f16 v31, 0x7c00, v32 op_sel_hi:[0,1]
	v_pk_min_f16 v83, v30, v121
	v_pk_min_f16 v30, 0x7c00, v122 op_sel_hi:[0,1]
	v_pk_add_f16 v123, v20, v34
	v_pk_add_f16 v127, v6, v34
	;; [unrolled: 1-line block ×5, first 2 shown]
	v_pk_min_f16 v48, 0x7c00, v62 op_sel_hi:[0,1]
	v_pk_min_f16 v82, v31, v33
	v_pk_min_f16 v31, 0x7c00, v125 op_sel_hi:[0,1]
	v_pk_min_f16 v81, v30, v136
	v_pk_min_f16 v30, 0x7c00, v126 op_sel_hi:[0,1]
	v_pk_add_f16 v124, v26, v34
	v_pk_add_f16 v128, v0, v34
	;; [unrolled: 1-line block ×8, first 2 shown]
	v_pk_min_f16 v96, v48, v92
	v_pk_min_f16 v48, 0x7c00, v66 op_sel_hi:[0,1]
	v_pk_min_f16 v32, 0x7c00, v123 op_sel_hi:[0,1]
	v_pk_min_f16 v77, v31, v139
	v_pk_min_f16 v31, 0x7c00, v127 op_sel_hi:[0,1]
	v_pk_min_f16 v76, v30, v140
	v_pk_min_f16 v30, 0x7c00, v129 op_sel_hi:[0,1]
	v_pk_add_f16 v132, v28, v36
	v_pk_add_f16 v133, v4, v36
	;; [unrolled: 1-line block ×9, first 2 shown]
	v_pk_min_f16 v49, 0x7c00, v58 op_sel_hi:[0,1]
	v_pk_min_f16 v47, 0x7c00, v61 op_sel_hi:[0,1]
	v_pk_min_f16 v92, v48, v108
	v_pk_min_f16 v48, 0x7c00, v69 op_sel_hi:[0,1]
	v_pk_min_f16 v80, v32, v137
	v_pk_min_f16 v32, 0x7c00, v128 op_sel_hi:[0,1]
	v_pk_min_f16 v33, 0x7c00, v34 op_sel_hi:[0,1]
	v_pk_min_f16 v75, v31, v141
	v_pk_min_f16 v31, 0x7c00, v130 op_sel_hi:[0,1]
	v_pk_min_f16 v71, v30, v143
	v_pk_min_f16 v30, 0x7c00, v131 op_sel_hi:[0,1]
	v_pk_add_f16 v36, v2, v36
	v_pk_add_f16 v146, v29, v37
	;; [unrolled: 1-line block ×5, first 2 shown]
	s_waitcnt lgkmcnt(0)
	v_pk_add_f16 v150, v18, v22
	v_pk_add_f16 v151, v20, v22
	v_pk_min_f16 v50, 0x7c00, v54 op_sel_hi:[0,1]
	v_pk_min_f16 v100, v49, v88
	v_pk_min_f16 v49, 0x7c00, v63 op_sel_hi:[0,1]
	v_pk_min_f16 v97, v47, v91
	;; [unrolled: 2-line block ×4, first 2 shown]
	v_pk_min_f16 v73, v33, v35
	v_pk_min_f16 v32, 0x7c00, v132 op_sel_hi:[0,1]
	v_pk_min_f16 v33, 0x7c00, v133 op_sel_hi:[0,1]
	v_pk_min_f16 v70, v31, v144
	v_pk_min_f16 v31, 0x7c00, v134 op_sel_hi:[0,1]
	v_pk_min_f16 v69, v30, v145
	v_pk_min_f16 v30, 0x7c00, v135 op_sel_hi:[0,1]
	v_pk_add_f16 v37, v3, v37
	v_pk_add_f16 v18, v18, v24
	;; [unrolled: 1-line block ×5, first 2 shown]
	v_pk_min_f16 v104, v50, v84
	v_pk_min_f16 v50, 0x7c00, v59 op_sel_hi:[0,1]
	v_pk_min_f16 v95, v49, v93
	v_pk_min_f16 v93, v47, v107
	v_pk_min_f16 v47, 0x7c00, v67 op_sel_hi:[0,1]
	v_pk_min_f16 v49, 0x7c00, v68 op_sel_hi:[0,1]
	v_pk_min_f16 v68, v32, v146
	v_pk_min_f16 v67, v33, v147
	;; [unrolled: 1-line block ×3, first 2 shown]
	v_pk_min_f16 v31, 0x7c00, v36 op_sel_hi:[0,1]
	v_pk_min_f16 v32, 0x7c00, v150 op_sel_hi:[0,1]
	;; [unrolled: 1-line block ×3, first 2 shown]
	v_pk_min_f16 v65, v30, v149
	v_pk_add_f16 v30, v4, v22
	v_pk_add_f16 v20, v20, v24
	;; [unrolled: 1-line block ×7, first 2 shown]
	v_pk_min_f16 v99, v50, v89
	v_pk_min_f16 v50, 0x7c00, v64 op_sel_hi:[0,1]
	v_pk_min_f16 v91, v47, v110
	v_pk_min_f16 v47, 0x7c00, v72 op_sel_hi:[0,1]
	v_pk_min_f16 v64, v31, v37
	v_pk_add_f16 v31, v6, v22
	v_pk_min_f16 v63, v32, v152
	v_pk_add_f16 v32, v0, v22
	v_pk_min_f16 v34, 0x7c00, v154 op_sel_hi:[0,1]
	v_pk_min_f16 v30, 0x7c00, v30 op_sel_hi:[0,1]
	v_pk_min_f16 v62, v33, v153
	v_pk_add_f16 v22, v2, v22
	v_pk_add_f16 v33, v5, v23
	v_pk_min_f16 v18, 0x7c00, v18 op_sel_hi:[0,1]
	v_pk_add_f16 v4, v4, v24
	v_pk_add_f16 v6, v6, v24
	;; [unrolled: 1-line block ×8, first 2 shown]
	v_pk_min_f16 v85, v47, v119
	v_pk_min_f16 v47, 0x7c00, v124 op_sel_hi:[0,1]
	v_pk_min_f16 v35, 0x7c00, v155 op_sel_hi:[0,1]
	;; [unrolled: 1-line block ×4, first 2 shown]
	v_pk_min_f16 v61, v34, v156
	v_pk_add_f16 v34, v7, v23
	v_pk_min_f16 v22, 0x7c00, v22 op_sel_hi:[0,1]
	v_pk_min_f16 v59, v30, v33
	v_pk_add_f16 v30, v1, v23
	v_pk_add_f16 v23, v3, v23
	v_pk_min_f16 v20, 0x7c00, v20 op_sel_hi:[0,1]
	v_pk_min_f16 v26, 0x7c00, v26 op_sel_hi:[0,1]
	v_pk_min_f16 v55, v18, v19
	v_pk_min_f16 v18, 0x7c00, v28 op_sel_hi:[0,1]
	v_pk_min_f16 v4, 0x7c00, v4 op_sel_hi:[0,1]
	;; [unrolled: 1-line block ×5, first 2 shown]
	v_pk_add_f16 v5, v5, v25
	v_pk_add_f16 v7, v7, v25
	;; [unrolled: 1-line block ×4, first 2 shown]
	v_pk_min_f16 v94, v50, v94
	v_pk_min_f16 v89, v49, v111
	;; [unrolled: 1-line block ×15, first 2 shown]
	ds_store_b16 v44, v14 offset:2048
	ds_store_b16 v44, v13 offset:2560
	;; [unrolled: 1-line block ×5, first 2 shown]
	s_waitcnt lgkmcnt(0)
	s_barrier
	buffer_gl0_inv
	s_cbranch_scc1 .LBB229_52
; %bb.30:
	v_lshl_add_u32 v0, s14, 6, v11
	s_lshl_b32 s5, s27, 6
	v_add_nc_u32_e32 v4, 8, v41
	v_add_nc_u32_e32 v11, 12, v41
	;; [unrolled: 1-line block ×3, first 2 shown]
	v_subrev_nc_u32_e32 v2, s5, v0
	v_add_nc_u32_e32 v72, 0x1000, v42
	v_add_nc_u32_e32 v79, 0x1200, v17
	v_mad_i64_i32 v[6:7], null, v11, s22, 0
	s_delay_alu instid0(VALU_DEP_4)
	v_mad_i64_i32 v[0:1], null, s26, v2, 0
	v_mad_i64_i32 v[2:3], null, v4, s22, 0
	v_lshlrev_b64 v[4:5], 1, v[8:9]
	v_or_b32_e32 v107, 0x800, v44
	v_lshlrev_b64 v[34:35], 1, v[6:7]
	v_lshl_add_u32 v108, v38, 3, 0x1200
	v_lshlrev_b64 v[0:1], 1, v[0:1]
	v_lshl_add_u32 v110, v39, 3, 0x800
	v_lshlrev_b64 v[32:33], 1, v[2:3]
	s_add_i32 s14, s18, -8
	s_delay_alu instid0(VALU_DEP_3) | instskip(NEXT) | instid1(VALU_DEP_1)
	v_add_co_u32 v0, s5, v0, v10
	v_add_co_ci_u32_e64 v1, s5, 0, v1, s5
	s_delay_alu instid0(VALU_DEP_2) | instskip(NEXT) | instid1(VALU_DEP_1)
	v_add_co_u32 v0, s5, v0, s8
	v_add_co_ci_u32_e64 v1, s5, s9, v1, s5
	s_lshl_b64 s[8:9], s[22:23], 4
	s_delay_alu instid0(VALU_DEP_2) | instskip(NEXT) | instid1(VALU_DEP_1)
	v_add_co_u32 v36, s5, v0, 16
	v_add_co_ci_u32_e64 v37, s5, 0, v1, s5
	v_add_co_u32 v111, s5, s20, v4
	s_delay_alu instid0(VALU_DEP_1)
	v_add_co_ci_u32_e64 v112, s5, s21, v5, s5
	s_mov_b32 s20, 0
	s_branch .LBB229_32
.LBB229_31:                             ;   in Loop: Header=BB229_32 Depth=1
	s_or_b32 exec_lo, exec_lo, s6
	ds_load_2addr_b64 v[122:125], v72 offset1:8
	ds_load_2addr_b64 v[84:87], v43 offset1:32
	ds_load_2addr_b64 v[126:129], v72 offset0:16 offset1:24
	ds_load_2addr_b64 v[130:133], v72 offset0:32 offset1:40
	;; [unrolled: 1-line block ×6, first 2 shown]
	v_pk_max_f16 v11, v82, v82
	v_pk_max_f16 v15, v80, v80
	;; [unrolled: 1-line block ×13, first 2 shown]
	s_waitcnt lgkmcnt(6)
	v_pk_add_f16 v80, v122, v84
	v_pk_add_f16 v81, v124, v84
	s_waitcnt lgkmcnt(5)
	v_pk_add_f16 v82, v126, v84
	v_pk_add_f16 v83, v128, v84
	v_pk_max_f16 v66, v66, v66
	v_pk_min_f16 v11, v11, v80
	v_pk_min_f16 v15, v15, v81
	;; [unrolled: 1-line block ×4, first 2 shown]
	v_pk_add_f16 v80, v122, v86
	v_pk_add_f16 v81, v124, v86
	;; [unrolled: 1-line block ×4, first 2 shown]
	v_pk_max_f16 v57, v57, v57
	v_pk_min_f16 v67, v67, v80
	v_pk_min_f16 v75, v75, v81
	;; [unrolled: 1-line block ×4, first 2 shown]
	s_waitcnt lgkmcnt(4)
	v_pk_add_f16 v80, v132, v86
	s_waitcnt lgkmcnt(3)
	v_pk_add_f16 v81, v134, v86
	v_pk_add_f16 v82, v136, v86
	s_waitcnt lgkmcnt(2)
	v_pk_add_f16 v83, v122, v138
	v_pk_max_f16 v65, v65, v65
	v_pk_min_f16 v62, v62, v80
	v_pk_min_f16 v70, v70, v81
	;; [unrolled: 1-line block ×4, first 2 shown]
	v_pk_add_f16 v80, v126, v138
	v_pk_add_f16 v81, v128, v138
	;; [unrolled: 1-line block ×3, first 2 shown]
	v_pk_max_f16 v63, v63, v63
	v_pk_add_f16 v83, v132, v138
	v_pk_max_f16 v61, v61, v61
	v_pk_add_f16 v88, v130, v84
	v_pk_add_f16 v89, v132, v84
	v_pk_add_f16 v90, v134, v84
	v_pk_add_f16 v84, v136, v84
	v_pk_max_f16 v74, v74, v74
	v_pk_min_f16 v57, v57, v80
	v_pk_min_f16 v65, v65, v81
	;; [unrolled: 1-line block ×4, first 2 shown]
	v_pk_add_f16 v80, v136, v138
	v_pk_max_f16 v52, v52, v52
	v_pk_add_f16 v81, v122, v140
	v_pk_max_f16 v60, v60, v60
	;; [unrolled: 2-line block ×4, first 2 shown]
	v_pk_min_f16 v74, v74, v84
	v_pk_add_f16 v84, v130, v86
	v_pk_max_f16 v69, v69, v69
	v_pk_min_f16 v52, v52, v80
	v_pk_min_f16 v60, v60, v81
	;; [unrolled: 1-line block ×4, first 2 shown]
	v_pk_add_f16 v80, v130, v140
	v_pk_max_f16 v46, v46, v46
	v_pk_add_f16 v81, v132, v140
	v_pk_max_f16 v55, v55, v55
	;; [unrolled: 2-line block ×4, first 2 shown]
	v_pk_min_f16 v69, v69, v84
	v_pk_add_f16 v84, v124, v138
	v_pk_max_f16 v64, v64, v64
	v_pk_min_f16 v80, v46, v80
	v_pk_min_f16 v55, v55, v81
	v_pk_min_f16 v53, v53, v82
	v_pk_min_f16 v51, v51, v83
	s_waitcnt lgkmcnt(1)
	v_pk_add_f16 v46, v124, v142
	v_pk_max_f16 v28, v28, v28
	v_pk_add_f16 v81, v126, v142
	v_pk_max_f16 v50, v50, v50
	;; [unrolled: 2-line block ×4, first 2 shown]
	v_pk_min_f16 v64, v64, v84
	v_pk_add_f16 v84, v134, v138
	v_pk_min_f16 v28, v28, v46
	v_pk_min_f16 v50, v50, v81
	;; [unrolled: 1-line block ×4, first 2 shown]
	v_pk_add_f16 v46, v136, v142
	v_pk_max_f16 v31, v31, v31
	v_pk_add_f16 v81, v122, v144
	v_pk_max_f16 v29, v29, v29
	;; [unrolled: 2-line block ×5, first 2 shown]
	v_pk_min_f16 v31, v31, v46
	v_pk_min_f16 v29, v29, v81
	v_pk_min_f16 v27, v27, v82
	v_pk_min_f16 v25, v25, v83
	v_pk_add_f16 v46, v130, v144
	v_pk_max_f16 v26, v26, v26
	v_pk_add_f16 v81, v132, v144
	v_pk_max_f16 v23, v23, v23
	;; [unrolled: 2-line block ×4, first 2 shown]
	v_pk_min_f16 v24, v24, v45
	v_pk_add_f16 v45, v128, v144
	v_pk_max_f16 v16, v16, v16
	v_pk_min_f16 v26, v26, v46
	v_pk_min_f16 v23, v23, v81
	;; [unrolled: 1-line block ×4, first 2 shown]
	s_waitcnt lgkmcnt(0)
	v_pk_add_f16 v46, v124, v146
	v_pk_max_f16 v21, v21, v21
	v_pk_add_f16 v81, v126, v146
	v_pk_max_f16 v18, v18, v18
	;; [unrolled: 2-line block ×4, first 2 shown]
	v_pk_min_f16 v16, v16, v45
	v_pk_add_f16 v45, v122, v146
	v_pk_max_f16 v10, v10, v10
	v_pk_min_f16 v21, v21, v46
	v_pk_min_f16 v18, v18, v81
	;; [unrolled: 1-line block ×4, first 2 shown]
	v_pk_add_f16 v46, v134, v146
	v_pk_max_f16 v13, v13, v13
	v_pk_add_f16 v81, v136, v146
	v_pk_max_f16 v9, v9, v9
	;; [unrolled: 2-line block ×4, first 2 shown]
	v_pk_min_f16 v10, v10, v45
	v_pk_add_f16 v45, v132, v146
	v_pk_max_f16 v4, v4, v4
	v_pk_min_f16 v13, v13, v46
	v_pk_min_f16 v9, v9, v81
	;; [unrolled: 1-line block ×4, first 2 shown]
	v_pk_add_f16 v46, v128, v148
	v_pk_max_f16 v7, v7, v7
	v_pk_add_f16 v81, v130, v148
	v_pk_max_f16 v5, v5, v5
	;; [unrolled: 2-line block ×4, first 2 shown]
	v_pk_max_f16 v78, v78, v78
	v_pk_min_f16 v4, v4, v45
	v_pk_add_f16 v45, v126, v148
	v_pk_max_f16 v2, v2, v2
	v_pk_min_f16 v7, v7, v46
	v_pk_min_f16 v5, v5, v81
	;; [unrolled: 1-line block ×4, first 2 shown]
	v_pk_add_f16 v46, v123, v85
	v_pk_add_f16 v81, v125, v85
	v_pk_add_f16 v82, v127, v85
	v_pk_add_f16 v83, v129, v85
	v_pk_min_f16 v76, v76, v88
	v_pk_min_f16 v77, v77, v89
	;; [unrolled: 1-line block ×4, first 2 shown]
	v_pk_add_f16 v45, v136, v148
	v_pk_max_f16 v0, v0, v0
	v_pk_min_f16 v116, v11, v46
	v_pk_min_f16 v115, v15, v81
	v_pk_min_f16 v114, v17, v82
	v_pk_min_f16 v113, v19, v83
	v_pk_add_f16 v11, v131, v85
	v_pk_add_f16 v15, v133, v85
	v_pk_add_f16 v17, v135, v85
	v_pk_add_f16 v19, v137, v85
	v_pk_add_f16 v81, v123, v87
	v_pk_min_f16 v0, v0, v45
	v_pk_min_f16 v109, v76, v11
	;; [unrolled: 1-line block ×6, first 2 shown]
	v_pk_add_f16 v11, v125, v87
	v_pk_add_f16 v15, v127, v87
	;; [unrolled: 1-line block ×5, first 2 shown]
	v_pk_max_f16 v59, v59, v59
	v_pk_min_f16 v104, v75, v11
	v_pk_min_f16 v103, v73, v15
	v_pk_min_f16 v102, v71, v17
	v_pk_min_f16 v101, v69, v19
	v_pk_min_f16 v100, v62, v67
	v_pk_add_f16 v11, v135, v87
	v_pk_add_f16 v15, v137, v87
	v_pk_add_f16 v17, v123, v139
	v_pk_add_f16 v19, v125, v139
	v_pk_add_f16 v62, v127, v139
	v_pk_min_f16 v59, v59, v84
	v_pk_add_f16 v84, v128, v140
	v_pk_max_f16 v54, v54, v54
	v_pk_min_f16 v99, v70, v11
	v_pk_min_f16 v98, v68, v15
	v_pk_min_f16 v97, v66, v17
	v_pk_min_f16 v96, v64, v19
	v_pk_min_f16 v95, v57, v62
	v_pk_add_f16 v11, v129, v139
	v_pk_add_f16 v15, v131, v139
	v_pk_add_f16 v17, v133, v139
	v_pk_add_f16 v19, v135, v139
	v_pk_add_f16 v57, v137, v139
	v_pk_min_f16 v54, v54, v84
	v_pk_add_f16 v84, v122, v142
	;; [unrolled: 13-line block ×3, first 2 shown]
	v_pk_max_f16 v30, v30, v30
	v_pk_min_f16 v89, v60, v11
	v_pk_min_f16 v88, v58, v15
	;; [unrolled: 1-line block ×5, first 2 shown]
	v_pk_add_f16 v11, v133, v141
	v_pk_add_f16 v15, v135, v141
	;; [unrolled: 1-line block ×5, first 2 shown]
	v_pk_min_f16 v30, v30, v84
	v_pk_min_f16 v84, v55, v11
	;; [unrolled: 1-line block ×6, first 2 shown]
	v_pk_add_f16 v11, v127, v143
	v_pk_add_f16 v15, v129, v143
	v_pk_add_f16 v17, v131, v143
	v_pk_add_f16 v19, v133, v143
	v_pk_add_f16 v28, v135, v143
	v_pk_min_f16 v78, v50, v11
	v_pk_min_f16 v77, v48, v15
	v_pk_min_f16 v76, v138, v17
	v_pk_min_f16 v75, v30, v19
	v_pk_min_f16 v74, v24, v28
	v_pk_add_f16 v11, v137, v143
	v_pk_add_f16 v15, v123, v145
	v_pk_add_f16 v17, v125, v145
	v_pk_add_f16 v19, v127, v145
	v_pk_add_f16 v24, v129, v145
	v_pk_min_f16 v73, v31, v11
	v_pk_min_f16 v71, v29, v15
	v_pk_min_f16 v70, v27, v17
	v_pk_min_f16 v69, v25, v19
	v_pk_min_f16 v68, v16, v24
	;; [unrolled: 10-line block ×5, first 2 shown]
	v_pk_add_f16 v2, v129, v149
	v_pk_add_f16 v4, v131, v149
	;; [unrolled: 1-line block ×5, first 2 shown]
	v_add_co_u32 v36, s5, v36, 16
	s_delay_alu instid0(VALU_DEP_1)
	v_add_co_ci_u32_e64 v37, s5, 0, v37, s5
	v_add_co_u32 v111, s5, v111, s8
	v_pk_min_f16 v52, v7, v2
	v_pk_min_f16 v51, v5, v4
	;; [unrolled: 1-line block ×5, first 2 shown]
	v_add_co_ci_u32_e64 v112, s5, s9, v112, s5
	s_add_i32 s20, s20, 8
	s_waitcnt vmcnt(0)
	ds_store_b16 v79, v117
	ds_store_b16 v107, v119
	ds_store_b16 v107, v118 offset:512
	ds_store_b16 v107, v121 offset:1024
	;; [unrolled: 1-line block ×3, first 2 shown]
	s_cmp_ge_i32 s20, s14
	s_waitcnt lgkmcnt(0)
	s_barrier
	buffer_gl0_inv
	s_cbranch_scc1 .LBB229_52
.LBB229_32:                             ; =>This Inner Loop Header: Depth=1
	v_dual_mov_b32 v120, 0x7c00 :: v_dual_add_nc_u32 v119, s20, v40
	s_delay_alu instid0(VALU_DEP_1) | instskip(NEXT) | instid1(VALU_DEP_1)
	v_dual_mov_b32 v121, 0x7c00 :: v_dual_add_nc_u32 v0, 8, v119
	v_cmp_gt_i32_e64 s5, s18, v0
	s_delay_alu instid0(VALU_DEP_1) | instskip(NEXT) | instid1(SALU_CYCLE_1)
	s_and_b32 s6, s5, s25
	s_and_saveexec_b32 s5, s6
	s_cbranch_execz .LBB229_34
; %bb.33:                               ;   in Loop: Header=BB229_32 Depth=1
	flat_load_u16 v120, v[36:37]
.LBB229_34:                             ;   in Loop: Header=BB229_32 Depth=1
	s_or_b32 exec_lo, exec_lo, s5
	v_add_nc_u32_e32 v118, s20, v41
	s_delay_alu instid0(VALU_DEP_1) | instskip(NEXT) | instid1(VALU_DEP_1)
	v_add_nc_u32_e32 v0, 8, v118
	v_cmp_le_i32_e64 s5, s18, v0
	s_delay_alu instid0(VALU_DEP_1) | instskip(NEXT) | instid1(SALU_CYCLE_1)
	s_or_b32 s6, vcc_lo, s5
	s_xor_b32 s6, s6, -1
	s_delay_alu instid0(SALU_CYCLE_1)
	s_and_saveexec_b32 s21, s6
	s_cbranch_execz .LBB229_36
; %bb.35:                               ;   in Loop: Header=BB229_32 Depth=1
	v_add_co_u32 v0, s6, v111, v32
	s_delay_alu instid0(VALU_DEP_1)
	v_add_co_ci_u32_e64 v1, s6, v112, v33, s6
	flat_load_u16 v121, v[0:1]
.LBB229_36:                             ;   in Loop: Header=BB229_32 Depth=1
	s_or_b32 exec_lo, exec_lo, s21
	v_dual_mov_b32 v122, 0x7c00 :: v_dual_mov_b32 v123, 0x7c00
	s_or_b32 s6, s2, s5
	s_delay_alu instid0(SALU_CYCLE_1) | instskip(NEXT) | instid1(SALU_CYCLE_1)
	s_xor_b32 s6, s6, -1
	s_and_saveexec_b32 s21, s6
	s_cbranch_execz .LBB229_38
; %bb.37:                               ;   in Loop: Header=BB229_32 Depth=1
	v_add_co_u32 v0, s6, v111, v32
	s_delay_alu instid0(VALU_DEP_1)
	v_add_co_ci_u32_e64 v1, s6, v112, v33, s6
	flat_load_u16 v123, v[0:1] offset:128
.LBB229_38:                             ;   in Loop: Header=BB229_32 Depth=1
	s_or_b32 exec_lo, exec_lo, s21
	s_or_b32 s6, s3, s5
	s_delay_alu instid0(SALU_CYCLE_1) | instskip(NEXT) | instid1(SALU_CYCLE_1)
	s_xor_b32 s6, s6, -1
	s_and_saveexec_b32 s21, s6
	s_cbranch_execz .LBB229_40
; %bb.39:                               ;   in Loop: Header=BB229_32 Depth=1
	v_add_co_u32 v0, s6, v111, v32
	s_delay_alu instid0(VALU_DEP_1)
	v_add_co_ci_u32_e64 v1, s6, v112, v33, s6
	flat_load_u16 v122, v[0:1] offset:256
.LBB229_40:                             ;   in Loop: Header=BB229_32 Depth=1
	s_or_b32 exec_lo, exec_lo, s21
	v_dual_mov_b32 v117, 0x7c00 :: v_dual_mov_b32 v124, 0x7c00
	s_or_b32 s5, s4, s5
	s_delay_alu instid0(SALU_CYCLE_1) | instskip(NEXT) | instid1(SALU_CYCLE_1)
	s_xor_b32 s5, s5, -1
	s_and_saveexec_b32 s6, s5
	s_cbranch_execz .LBB229_42
; %bb.41:                               ;   in Loop: Header=BB229_32 Depth=1
	v_add_co_u32 v0, s5, v111, v32
	s_delay_alu instid0(VALU_DEP_1)
	v_add_co_ci_u32_e64 v1, s5, v112, v33, s5
	flat_load_u16 v124, v[0:1] offset:384
.LBB229_42:                             ;   in Loop: Header=BB229_32 Depth=1
	s_or_b32 exec_lo, exec_lo, s6
	ds_load_2addr_b64 v[12:15], v108 offset1:8
	ds_load_2addr_b64 v[8:11], v108 offset0:16 offset1:24
	ds_load_2addr_b64 v[4:7], v108 offset0:32 offset1:40
	;; [unrolled: 1-line block ×3, first 2 shown]
	ds_load_2addr_b64 v[28:31], v110 offset1:32
	ds_load_2addr_b64 v[24:27], v110 offset0:64 offset1:96
	ds_load_2addr_b64 v[20:23], v110 offset0:128 offset1:160
	;; [unrolled: 1-line block ×3, first 2 shown]
	v_add_nc_u32_e32 v119, 12, v119
	s_waitcnt vmcnt(0) lgkmcnt(8)
	ds_store_b16 v47, v120
	ds_store_b16 v44, v121
	ds_store_b16 v44, v123 offset:512
	ds_store_b16 v44, v122 offset:1024
	ds_store_b16 v44, v124 offset:1536
	s_waitcnt lgkmcnt(0)
	s_barrier
	buffer_gl0_inv
	v_cmp_gt_i32_e64 s5, s18, v119
	s_delay_alu instid0(VALU_DEP_1) | instskip(NEXT) | instid1(SALU_CYCLE_1)
	s_and_b32 s5, s5, s25
	s_and_saveexec_b32 s6, s5
	s_delay_alu instid0(SALU_CYCLE_1)
	s_xor_b32 s5, exec_lo, s6
	s_cbranch_execz .LBB229_44
; %bb.43:                               ;   in Loop: Header=BB229_32 Depth=1
	flat_load_u16 v117, v[36:37] offset:8
.LBB229_44:                             ;   in Loop: Header=BB229_32 Depth=1
	s_or_b32 exec_lo, exec_lo, s5
	v_dual_mov_b32 v119, 0x7c00 :: v_dual_add_nc_u32 v118, 12, v118
	s_delay_alu instid0(VALU_DEP_1) | instskip(SKIP_1) | instid1(VALU_DEP_2)
	v_cmp_le_i32_e64 s5, s18, v118
	v_mov_b32_e32 v118, 0x7c00
	s_or_b32 s6, vcc_lo, s5
	s_delay_alu instid0(SALU_CYCLE_1) | instskip(NEXT) | instid1(SALU_CYCLE_1)
	s_xor_b32 s6, s6, -1
	s_and_saveexec_b32 s21, s6
	s_cbranch_execz .LBB229_46
; %bb.45:                               ;   in Loop: Header=BB229_32 Depth=1
	v_add_co_u32 v119, s6, v111, v34
	s_delay_alu instid0(VALU_DEP_1)
	v_add_co_ci_u32_e64 v120, s6, v112, v35, s6
	flat_load_u16 v119, v[119:120]
.LBB229_46:                             ;   in Loop: Header=BB229_32 Depth=1
	s_or_b32 exec_lo, exec_lo, s21
	s_or_b32 s6, s2, s5
	s_delay_alu instid0(SALU_CYCLE_1) | instskip(NEXT) | instid1(SALU_CYCLE_1)
	s_xor_b32 s6, s6, -1
	s_and_saveexec_b32 s21, s6
	s_cbranch_execz .LBB229_48
; %bb.47:                               ;   in Loop: Header=BB229_32 Depth=1
	v_add_co_u32 v120, s6, v111, v34
	s_delay_alu instid0(VALU_DEP_1)
	v_add_co_ci_u32_e64 v121, s6, v112, v35, s6
	flat_load_u16 v118, v[120:121] offset:128
.LBB229_48:                             ;   in Loop: Header=BB229_32 Depth=1
	s_or_b32 exec_lo, exec_lo, s21
	v_dual_mov_b32 v120, 0x7c00 :: v_dual_mov_b32 v121, 0x7c00
	s_or_b32 s6, s3, s5
	s_delay_alu instid0(SALU_CYCLE_1) | instskip(NEXT) | instid1(SALU_CYCLE_1)
	s_xor_b32 s6, s6, -1
	s_and_saveexec_b32 s21, s6
	s_cbranch_execz .LBB229_50
; %bb.49:                               ;   in Loop: Header=BB229_32 Depth=1
	v_add_co_u32 v121, s6, v111, v34
	s_delay_alu instid0(VALU_DEP_1)
	v_add_co_ci_u32_e64 v122, s6, v112, v35, s6
	flat_load_u16 v121, v[121:122] offset:256
.LBB229_50:                             ;   in Loop: Header=BB229_32 Depth=1
	s_or_b32 exec_lo, exec_lo, s21
	v_pk_add_f16 v122, v12, v28
	v_pk_max_f16 v116, v116, v116
	v_pk_add_f16 v123, v14, v28
	v_pk_max_f16 v115, v115, v115
	;; [unrolled: 2-line block ×3, first 2 shown]
	v_pk_min_f16 v116, v116, v122
	v_pk_add_f16 v122, v10, v28
	v_pk_min_f16 v115, v115, v123
	v_pk_max_f16 v113, v113, v113
	v_pk_min_f16 v114, v114, v124
	v_pk_add_f16 v123, v4, v28
	v_pk_add_f16 v124, v6, v28
	;; [unrolled: 1-line block ×4, first 2 shown]
	v_pk_max_f16 v106, v106, v106
	v_pk_max_f16 v109, v109, v109
	;; [unrolled: 1-line block ×4, first 2 shown]
	v_pk_min_f16 v113, v113, v122
	v_pk_min_f16 v28, v106, v28
	v_pk_add_f16 v106, v12, v30
	v_pk_max_f16 v105, v105, v105
	v_pk_add_f16 v122, v14, v30
	v_pk_max_f16 v104, v104, v104
	v_pk_min_f16 v109, v109, v123
	v_pk_min_f16 v45, v45, v124
	;; [unrolled: 1-line block ×3, first 2 shown]
	v_pk_add_f16 v123, v8, v30
	v_pk_max_f16 v103, v103, v103
	v_pk_add_f16 v124, v10, v30
	v_pk_max_f16 v102, v102, v102
	v_pk_add_f16 v125, v4, v30
	v_pk_min_f16 v105, v105, v106
	v_pk_min_f16 v104, v104, v122
	v_pk_add_f16 v106, v6, v30
	v_pk_max_f16 v100, v100, v100
	v_pk_add_f16 v122, v0, v30
	v_pk_max_f16 v99, v99, v99
	;; [unrolled: 2-line block ×3, first 2 shown]
	v_pk_min_f16 v103, v103, v123
	v_pk_min_f16 v102, v102, v124
	v_pk_add_f16 v123, v12, v24
	v_pk_max_f16 v97, v97, v97
	v_pk_add_f16 v124, v14, v24
	v_pk_max_f16 v96, v96, v96
	v_pk_min_f16 v100, v100, v106
	v_pk_min_f16 v99, v99, v122
	;; [unrolled: 1-line block ×3, first 2 shown]
	v_pk_add_f16 v98, v8, v24
	v_pk_max_f16 v95, v95, v95
	v_pk_add_f16 v106, v10, v24
	v_pk_max_f16 v94, v94, v94
	;; [unrolled: 2-line block ×3, first 2 shown]
	v_pk_min_f16 v97, v97, v123
	v_pk_min_f16 v96, v96, v124
	v_pk_add_f16 v123, v6, v24
	v_pk_max_f16 v92, v92, v92
	v_pk_add_f16 v124, v0, v24
	v_pk_min_f16 v95, v95, v98
	v_pk_min_f16 v94, v94, v106
	;; [unrolled: 1-line block ×3, first 2 shown]
	v_pk_add_f16 v24, v2, v24
	v_pk_max_f16 v90, v90, v90
	v_pk_add_f16 v98, v12, v26
	v_pk_max_f16 v89, v89, v89
	;; [unrolled: 2-line block ×4, first 2 shown]
	v_pk_min_f16 v92, v92, v123
	v_pk_add_f16 v123, v10, v26
	v_pk_min_f16 v24, v90, v24
	v_pk_min_f16 v89, v89, v98
	;; [unrolled: 1-line block ×4, first 2 shown]
	v_pk_add_f16 v90, v4, v26
	v_pk_max_f16 v85, v85, v85
	v_pk_add_f16 v98, v6, v26
	v_pk_max_f16 v84, v84, v84
	;; [unrolled: 2-line block ×5, first 2 shown]
	v_pk_max_f16 v101, v101, v101
	v_pk_max_f16 v91, v91, v91
	v_pk_min_f16 v85, v85, v90
	v_pk_min_f16 v84, v84, v98
	v_pk_min_f16 v90, v83, v106
	v_pk_min_f16 v26, v82, v26
	v_pk_min_f16 v98, v81, v122
	v_pk_add_f16 v82, v8, v20
	v_pk_max_f16 v78, v78, v78
	v_pk_add_f16 v83, v10, v20
	v_pk_max_f16 v77, v77, v77
	;; [unrolled: 2-line block ×4, first 2 shown]
	v_pk_min_f16 v101, v101, v125
	v_pk_min_f16 v91, v91, v124
	v_pk_add_f16 v81, v14, v20
	v_pk_min_f16 v124, v78, v82
	v_pk_min_f16 v125, v77, v83
	;; [unrolled: 1-line block ×4, first 2 shown]
	v_pk_add_f16 v75, v0, v20
	v_pk_add_f16 v20, v2, v20
	v_pk_max_f16 v73, v73, v73
	v_pk_add_f16 v76, v12, v22
	v_pk_max_f16 v71, v71, v71
	;; [unrolled: 2-line block ×4, first 2 shown]
	v_pk_min_f16 v20, v73, v20
	v_pk_min_f16 v127, v71, v76
	;; [unrolled: 1-line block ×3, first 2 shown]
	v_pk_add_f16 v70, v4, v22
	v_pk_min_f16 v129, v69, v78
	v_pk_add_f16 v69, v10, v22
	v_pk_max_f16 v67, v67, v67
	v_pk_add_f16 v71, v6, v22
	v_pk_add_f16 v73, v0, v22
	;; [unrolled: 1-line block ×3, first 2 shown]
	v_pk_max_f16 v64, v64, v64
	v_pk_max_f16 v66, v66, v66
	;; [unrolled: 1-line block ×3, first 2 shown]
	v_pk_min_f16 v131, v67, v70
	v_pk_max_f16 v63, v63, v63
	v_pk_min_f16 v134, v64, v22
	v_pk_add_f16 v22, v12, v16
	v_pk_add_f16 v67, v4, v16
	v_pk_max_f16 v59, v59, v59
	v_pk_min_f16 v132, v66, v71
	v_pk_min_f16 v133, v65, v73
	v_pk_add_f16 v64, v14, v16
	v_pk_add_f16 v65, v8, v16
	;; [unrolled: 1-line block ×3, first 2 shown]
	v_pk_min_f16 v135, v63, v22
	v_pk_min_f16 v139, v59, v67
	v_pk_add_f16 v22, v6, v16
	v_pk_max_f16 v58, v58, v58
	v_pk_add_f16 v59, v0, v16
	v_pk_add_f16 v16, v2, v16
	v_pk_max_f16 v56, v56, v56
	v_pk_add_f16 v12, v12, v18
	v_pk_max_f16 v55, v55, v55
	v_pk_min_f16 v140, v58, v22
	v_pk_add_f16 v4, v4, v18
	v_pk_min_f16 v142, v56, v16
	v_pk_max_f16 v16, v51, v51
	v_pk_add_f16 v6, v6, v18
	v_pk_max_f16 v22, v50, v50
	v_pk_add_f16 v14, v14, v18
	v_pk_max_f16 v54, v54, v54
	v_pk_min_f16 v143, v55, v12
	v_pk_add_f16 v8, v8, v18
	v_pk_max_f16 v12, v53, v53
	v_pk_min_f16 v147, v16, v4
	v_pk_min_f16 v148, v22, v6
	v_pk_add_f16 v2, v2, v18
	v_pk_max_f16 v4, v48, v48
	v_pk_add_f16 v6, v13, v29
	v_pk_max_f16 v86, v86, v86
	v_pk_max_f16 v80, v80, v80
	v_pk_min_f16 v144, v54, v14
	v_pk_add_f16 v10, v10, v18
	v_pk_max_f16 v14, v52, v52
	v_pk_min_f16 v145, v12, v8
	v_pk_add_f16 v8, v15, v29
	v_pk_min_f16 v149, v4, v2
	v_pk_min_f16 v82, v116, v6
	v_pk_add_f16 v2, v5, v29
	v_pk_add_f16 v6, v1, v29
	v_pk_min_f16 v86, v86, v123
	v_pk_min_f16 v123, v80, v81
	v_pk_max_f16 v74, v74, v74
	v_pk_min_f16 v146, v14, v10
	v_pk_add_f16 v10, v9, v29
	v_pk_min_f16 v80, v115, v8
	v_pk_add_f16 v4, v7, v29
	v_pk_add_f16 v8, v3, v29
	v_pk_min_f16 v83, v109, v2
	v_pk_min_f16 v78, v46, v6
	v_pk_add_f16 v2, v15, v31
	v_pk_add_f16 v6, v11, v31
	v_pk_min_f16 v126, v74, v75
	v_pk_max_f16 v68, v68, v68
	v_pk_max_f16 v60, v60, v60
	v_pk_min_f16 v77, v114, v10
	v_pk_add_f16 v10, v13, v31
	v_pk_min_f16 v81, v45, v4
	v_pk_min_f16 v74, v28, v8
	v_pk_add_f16 v4, v9, v31
	v_pk_add_f16 v8, v5, v31
	v_pk_min_f16 v75, v104, v2
	v_pk_min_f16 v71, v102, v6
	v_pk_add_f16 v2, v1, v31
	v_pk_add_f16 v6, v13, v25
	v_pk_min_f16 v130, v68, v69
	v_pk_max_f16 v62, v62, v62
	v_pk_max_f16 v61, v61, v61
	v_pk_min_f16 v138, v60, v66
	v_pk_min_f16 v67, v105, v10
	v_pk_add_f16 v10, v7, v31
	v_pk_min_f16 v73, v103, v4
	v_pk_min_f16 v69, v101, v8
	v_pk_add_f16 v4, v3, v31
	v_pk_add_f16 v8, v15, v25
	v_pk_min_f16 v70, v99, v2
	v_pk_min_f16 v66, v97, v6
	v_pk_add_f16 v2, v11, v25
	v_pk_add_f16 v6, v7, v25
	v_pk_min_f16 v136, v62, v64
	v_pk_min_f16 v137, v61, v65
	v_pk_max_f16 v57, v57, v57
	v_pk_min_f16 v62, v100, v10
	v_pk_add_f16 v10, v9, v25
	v_pk_min_f16 v68, v30, v4
	v_pk_min_f16 v64, v96, v8
	v_pk_add_f16 v4, v5, v25
	v_pk_add_f16 v8, v1, v25
	v_pk_min_f16 v65, v94, v2
	v_pk_min_f16 v61, v92, v6
	v_pk_add_f16 v2, v13, v27
	;; [unrolled: 4-line block ×3, first 2 shown]
	v_pk_min_f16 v63, v93, v4
	v_pk_min_f16 v59, v91, v8
	v_pk_add_f16 v4, v15, v27
	v_pk_add_f16 v8, v11, v27
	v_pk_min_f16 v60, v89, v2
	v_pk_min_f16 v56, v87, v6
	v_pk_add_f16 v2, v7, v27
	v_pk_add_f16 v6, v3, v27
	v_pk_add_f16 v0, v0, v18
	v_pk_max_f16 v49, v49, v49
	v_pk_min_f16 v52, v24, v10
	v_pk_add_f16 v10, v5, v27
	v_pk_min_f16 v58, v88, v4
	v_pk_min_f16 v54, v86, v8
	v_pk_add_f16 v4, v1, v27
	v_pk_add_f16 v8, v13, v21
	v_pk_min_f16 v55, v84, v2
	v_pk_min_f16 v51, v26, v6
	v_pk_add_f16 v2, v9, v21
	;; [unrolled: 4-line block ×3, first 2 shown]
	v_pk_min_f16 v53, v90, v4
	v_pk_min_f16 v49, v98, v8
	v_pk_add_f16 v4, v11, v21
	v_pk_add_f16 v8, v7, v21
	v_pk_min_f16 v50, v124, v2
	v_pk_min_f16 v45, v106, v6
	v_pk_add_f16 v2, v3, v21
	v_pk_add_f16 v6, v15, v23
	v_pk_min_f16 v28, v123, v10
	v_pk_add_f16 v10, v1, v21
	v_pk_min_f16 v48, v125, v4
	v_pk_min_f16 v30, v122, v8
	v_pk_add_f16 v4, v13, v23
	v_pk_add_f16 v8, v9, v23
	v_pk_min_f16 v31, v20, v2
	v_pk_min_f16 v27, v128, v6
	v_pk_add_f16 v2, v5, v23
	v_pk_add_f16 v6, v1, v23
	;; [unrolled: 1-line block ×3, first 2 shown]
	v_pk_min_f16 v24, v126, v10
	v_pk_add_f16 v10, v11, v23
	v_pk_min_f16 v29, v127, v4
	v_pk_min_f16 v25, v129, v8
	v_pk_add_f16 v4, v7, v23
	v_pk_add_f16 v8, v3, v23
	v_pk_min_f16 v26, v131, v2
	v_pk_min_f16 v22, v133, v6
	v_pk_add_f16 v2, v15, v17
	v_pk_add_f16 v6, v11, v17
	v_pk_min_f16 v16, v130, v10
	v_pk_add_f16 v10, v13, v17
	v_pk_min_f16 v23, v132, v4
	v_pk_min_f16 v20, v134, v8
	v_pk_add_f16 v4, v9, v17
	v_pk_add_f16 v8, v5, v17
	;; [unrolled: 1-line block ×3, first 2 shown]
	v_pk_min_f16 v21, v136, v2
	v_pk_min_f16 v14, v138, v6
	v_pk_add_f16 v2, v1, v17
	v_pk_add_f16 v6, v3, v17
	;; [unrolled: 1-line block ×4, first 2 shown]
	v_pk_min_f16 v76, v113, v12
	v_pk_min_f16 v12, v139, v8
	v_pk_add_f16 v8, v13, v19
	v_pk_min_f16 v13, v141, v2
	v_pk_min_f16 v9, v142, v6
	;; [unrolled: 1-line block ×4, first 2 shown]
	v_pk_add_f16 v11, v11, v19
	v_pk_add_f16 v5, v5, v19
	;; [unrolled: 1-line block ×5, first 2 shown]
	v_pk_min_f16 v10, v135, v10
	v_pk_min_f16 v18, v137, v4
	v_pk_min_f16 v4, v140, v84
	v_pk_min_f16 v8, v143, v8
	v_pk_min_f16 v7, v146, v11
	v_pk_min_f16 v5, v147, v5
	v_pk_min_f16 v3, v148, v15
	v_pk_min_f16 v1, v0, v1
	v_pk_min_f16 v0, v149, v17
	s_or_b32 s5, s4, s5
	s_delay_alu instid0(SALU_CYCLE_1) | instskip(NEXT) | instid1(SALU_CYCLE_1)
	s_xor_b32 s5, s5, -1
	s_and_saveexec_b32 s6, s5
	s_cbranch_execz .LBB229_31
; %bb.51:                               ;   in Loop: Header=BB229_32 Depth=1
	v_add_co_u32 v84, s5, v111, v34
	s_delay_alu instid0(VALU_DEP_1)
	v_add_co_ci_u32_e64 v85, s5, v112, v35, s5
	flat_load_u16 v120, v[84:85] offset:384
	s_branch .LBB229_31
.LBB229_52:
	s_clause 0x2
	s_load_b32 s14, s[0:1], 0x50
	s_load_b32 s9, s[0:1], 0x68
	s_load_b64 s[2:3], s[0:1], 0x70
	v_add_nc_u32_e32 v0, 0x1000, v42
	v_add_nc_u32_e32 v79, s24, v39
	;; [unrolled: 1-line block ×4, first 2 shown]
	ds_load_2addr_b64 v[16:19], v0 offset0:64 offset1:72
	ds_load_2addr_b64 v[12:15], v0 offset0:80 offset1:88
	;; [unrolled: 1-line block ×4, first 2 shown]
	ds_load_2addr_b64 v[28:31], v4 offset1:32
	ds_load_2addr_b64 v[24:27], v4 offset0:64 offset1:96
	ds_load_2addr_b64 v[20:23], v4 offset0:128 offset1:160
	;; [unrolled: 1-line block ×3, first 2 shown]
	v_cmp_gt_i32_e64 s0, s16, v32
	v_cmp_gt_i32_e64 s8, s17, v79
	v_ashrrev_i32_e32 v33, 31, v32
	v_cndmask_b32_e64 v72, 0, 1, s19
	s_waitcnt lgkmcnt(0)
	v_mad_i64_i32 v[34:35], null, v79, s14, 0
	v_mad_i64_i32 v[36:37], null, v79, s9, 0
	s_lshl_b64 s[2:3], s[2:3], 1
	s_delay_alu instid0(SALU_CYCLE_1) | instskip(SKIP_1) | instid1(VALU_DEP_2)
	s_add_u32 s12, s12, s2
	s_addc_u32 s13, s13, s3
	v_lshlrev_b64 v[34:35], 1, v[34:35]
	s_and_b32 s1, s0, s8
	s_delay_alu instid0(VALU_DEP_2) | instskip(NEXT) | instid1(VALU_DEP_2)
	v_lshlrev_b64 v[36:37], 1, v[36:37]
	v_add_co_u32 v110, vcc_lo, s10, v34
	s_delay_alu instid0(VALU_DEP_3) | instskip(NEXT) | instid1(VALU_DEP_3)
	v_add_co_ci_u32_e32 v111, vcc_lo, s11, v35, vcc_lo
	v_add_co_u32 v107, vcc_lo, s12, v36
	s_delay_alu instid0(VALU_DEP_4) | instskip(SKIP_1) | instid1(SALU_CYCLE_1)
	v_add_co_ci_u32_e32 v108, vcc_lo, s13, v37, vcc_lo
	s_and_saveexec_b32 s2, s1
	s_xor_b32 s1, exec_lo, s2
	s_cbranch_execz .LBB229_57
; %bb.53:
	s_and_not1_b32 vcc_lo, exec_lo, s19
	s_cbranch_vccnz .LBB229_55
; %bb.54:
	v_lshlrev_b64 v[34:35], 1, v[32:33]
	s_delay_alu instid0(VALU_DEP_1) | instskip(NEXT) | instid1(VALU_DEP_2)
	v_add_co_u32 v34, vcc_lo, v110, v34
	v_add_co_ci_u32_e32 v35, vcc_lo, v111, v35, vcc_lo
	flat_load_u16 v34, v[34:35]
	s_waitcnt vmcnt(0) lgkmcnt(0)
	v_mul_f16_e32 v34, s15, v34
	s_branch .LBB229_56
.LBB229_55:
	v_mov_b32_e32 v34, 0
.LBB229_56:
	v_pk_add_f16 v35, v16, v28
	v_pk_max_f16 v36, v116, v116
	v_pk_add_f16 v37, v17, v29
	s_delay_alu instid0(VALU_DEP_2) | instskip(NEXT) | instid1(VALU_DEP_1)
	v_pk_min_f16 v35, v36, v35
	v_pk_min_f16 v37, v35, v37
	v_lshlrev_b64 v[35:36], 1, v[32:33]
	s_delay_alu instid0(VALU_DEP_2) | instskip(NEXT) | instid1(VALU_DEP_1)
	v_lshrrev_b32_e32 v38, 16, v37
	v_min3_f16 v37, v34, v37, v38
	s_delay_alu instid0(VALU_DEP_3) | instskip(NEXT) | instid1(VALU_DEP_4)
	v_add_co_u32 v34, vcc_lo, v107, v35
	v_add_co_ci_u32_e32 v35, vcc_lo, v108, v36, vcc_lo
	global_store_b16 v[34:35], v37, off
.LBB229_57:
	s_or_b32 exec_lo, exec_lo, s1
	v_add_nc_u32_e32 v34, 8, v32
	s_delay_alu instid0(VALU_DEP_1) | instskip(SKIP_1) | instid1(VALU_DEP_2)
	v_cmp_gt_i32_e64 s1, s16, v34
	v_ashrrev_i32_e32 v35, 31, v34
	s_and_b32 s3, s1, s8
	s_delay_alu instid0(SALU_CYCLE_1)
	s_and_saveexec_b32 s2, s3
	s_cbranch_execz .LBB229_62
; %bb.58:
	v_cmp_ne_u32_e32 vcc_lo, 1, v72
	s_cbranch_vccnz .LBB229_60
; %bb.59:
	v_lshlrev_b64 v[36:37], 1, v[34:35]
	s_delay_alu instid0(VALU_DEP_1) | instskip(NEXT) | instid1(VALU_DEP_2)
	v_add_co_u32 v36, vcc_lo, v110, v36
	v_add_co_ci_u32_e32 v37, vcc_lo, v111, v37, vcc_lo
	flat_load_u16 v36, v[36:37]
	s_waitcnt vmcnt(0) lgkmcnt(0)
	v_mul_f16_e32 v36, s15, v36
	s_branch .LBB229_61
.LBB229_60:
	v_mov_b32_e32 v36, 0
.LBB229_61:
	v_pk_add_f16 v37, v18, v28
	v_pk_max_f16 v38, v115, v115
	v_pk_add_f16 v39, v19, v29
	s_delay_alu instid0(VALU_DEP_2) | instskip(NEXT) | instid1(VALU_DEP_1)
	v_pk_min_f16 v37, v38, v37
	v_pk_min_f16 v39, v37, v39
	v_lshlrev_b64 v[37:38], 1, v[34:35]
	s_delay_alu instid0(VALU_DEP_2) | instskip(NEXT) | instid1(VALU_DEP_1)
	v_lshrrev_b32_e32 v40, 16, v39
	v_min3_f16 v39, v36, v39, v40
	s_delay_alu instid0(VALU_DEP_3) | instskip(NEXT) | instid1(VALU_DEP_4)
	v_add_co_u32 v36, vcc_lo, v107, v37
	v_add_co_ci_u32_e32 v37, vcc_lo, v108, v38, vcc_lo
	global_store_b16 v[36:37], v39, off
.LBB229_62:
	s_or_b32 exec_lo, exec_lo, s2
	v_add_nc_u32_e32 v36, 16, v32
	s_delay_alu instid0(VALU_DEP_1) | instskip(SKIP_1) | instid1(VALU_DEP_2)
	v_cmp_gt_i32_e64 s2, s16, v36
	v_ashrrev_i32_e32 v37, 31, v36
	s_and_b32 s4, s2, s8
	s_delay_alu instid0(SALU_CYCLE_1)
	s_and_saveexec_b32 s3, s4
	s_cbranch_execz .LBB229_67
; %bb.63:
	v_cmp_ne_u32_e32 vcc_lo, 1, v72
	s_cbranch_vccnz .LBB229_65
; %bb.64:
	v_lshlrev_b64 v[38:39], 1, v[36:37]
	s_delay_alu instid0(VALU_DEP_1) | instskip(NEXT) | instid1(VALU_DEP_2)
	v_add_co_u32 v38, vcc_lo, v110, v38
	v_add_co_ci_u32_e32 v39, vcc_lo, v111, v39, vcc_lo
	flat_load_u16 v38, v[38:39]
	s_waitcnt vmcnt(0) lgkmcnt(0)
	v_mul_f16_e32 v38, s15, v38
	s_branch .LBB229_66
.LBB229_65:
	v_mov_b32_e32 v38, 0
.LBB229_66:
	v_pk_add_f16 v39, v12, v28
	v_pk_max_f16 v40, v114, v114
	v_pk_add_f16 v41, v13, v29
	s_delay_alu instid0(VALU_DEP_2) | instskip(NEXT) | instid1(VALU_DEP_1)
	v_pk_min_f16 v39, v40, v39
	v_pk_min_f16 v41, v39, v41
	v_lshlrev_b64 v[39:40], 1, v[36:37]
	s_delay_alu instid0(VALU_DEP_2) | instskip(NEXT) | instid1(VALU_DEP_1)
	v_lshrrev_b32_e32 v42, 16, v41
	v_min3_f16 v41, v38, v41, v42
	s_delay_alu instid0(VALU_DEP_3) | instskip(NEXT) | instid1(VALU_DEP_4)
	v_add_co_u32 v38, vcc_lo, v107, v39
	v_add_co_ci_u32_e32 v39, vcc_lo, v108, v40, vcc_lo
	global_store_b16 v[38:39], v41, off
.LBB229_67:
	;; [unrolled: 39-line block ×4, first 2 shown]
	s_or_b32 exec_lo, exec_lo, s5
	v_add_nc_u32_e32 v42, 40, v32
	s_delay_alu instid0(VALU_DEP_1) | instskip(SKIP_1) | instid1(VALU_DEP_2)
	v_cmp_gt_i32_e64 s5, s16, v42
	v_ashrrev_i32_e32 v43, 31, v42
	s_and_b32 s7, s5, s8
	s_delay_alu instid0(SALU_CYCLE_1)
	s_and_saveexec_b32 s6, s7
	s_cbranch_execz .LBB229_82
; %bb.78:
	v_cmp_ne_u32_e32 vcc_lo, 1, v72
	s_cbranch_vccnz .LBB229_80
; %bb.79:
	v_lshlrev_b64 v[112:113], 1, v[42:43]
	s_delay_alu instid0(VALU_DEP_1) | instskip(NEXT) | instid1(VALU_DEP_2)
	v_add_co_u32 v112, vcc_lo, v110, v112
	v_add_co_ci_u32_e32 v113, vcc_lo, v111, v113, vcc_lo
	flat_load_u16 v44, v[112:113]
	s_waitcnt vmcnt(0) lgkmcnt(0)
	v_mul_f16_e32 v44, s15, v44
	s_branch .LBB229_81
.LBB229_80:
	v_mov_b32_e32 v44, 0
.LBB229_81:
	v_pk_add_f16 v47, v10, v28
	v_pk_max_f16 v45, v45, v45
	v_pk_add_f16 v109, v11, v29
	v_lshlrev_b64 v[112:113], 1, v[42:43]
	s_delay_alu instid0(VALU_DEP_3) | instskip(NEXT) | instid1(VALU_DEP_1)
	v_pk_min_f16 v45, v45, v47
	v_pk_min_f16 v45, v45, v109
	s_delay_alu instid0(VALU_DEP_1) | instskip(NEXT) | instid1(VALU_DEP_1)
	v_lshrrev_b32_e32 v47, 16, v45
	v_min3_f16 v47, v44, v45, v47
	v_add_co_u32 v44, vcc_lo, v107, v112
	v_add_co_ci_u32_e32 v45, vcc_lo, v108, v113, vcc_lo
	global_store_b16 v[44:45], v47, off
.LBB229_82:
	s_or_b32 exec_lo, exec_lo, s6
	v_add_nc_u32_e32 v44, 48, v32
	s_delay_alu instid0(VALU_DEP_1) | instskip(SKIP_1) | instid1(VALU_DEP_2)
	v_cmp_gt_i32_e64 s6, s16, v44
	v_ashrrev_i32_e32 v45, 31, v44
	s_and_b32 s18, s6, s8
	s_delay_alu instid0(SALU_CYCLE_1)
	s_and_saveexec_b32 s7, s18
	s_cbranch_execz .LBB229_87
; %bb.83:
	v_cmp_ne_u32_e32 vcc_lo, 1, v72
	s_cbranch_vccnz .LBB229_85
; %bb.84:
	v_lshlrev_b64 v[112:113], 1, v[44:45]
	s_delay_alu instid0(VALU_DEP_1) | instskip(NEXT) | instid1(VALU_DEP_2)
	v_add_co_u32 v112, vcc_lo, v110, v112
	v_add_co_ci_u32_e32 v113, vcc_lo, v111, v113, vcc_lo
	flat_load_u16 v47, v[112:113]
	s_waitcnt vmcnt(0) lgkmcnt(0)
	v_mul_f16_e32 v47, s15, v47
	s_branch .LBB229_86
.LBB229_85:
	v_mov_b32_e32 v47, 0
.LBB229_86:
	v_pk_add_f16 v109, v0, v28
	v_pk_max_f16 v46, v46, v46
	v_pk_add_f16 v112, v1, v29
	s_delay_alu instid0(VALU_DEP_2) | instskip(NEXT) | instid1(VALU_DEP_1)
	v_pk_min_f16 v46, v46, v109
	v_pk_min_f16 v46, v46, v112
	v_lshlrev_b64 v[112:113], 1, v[44:45]
	s_delay_alu instid0(VALU_DEP_2) | instskip(NEXT) | instid1(VALU_DEP_1)
	v_lshrrev_b32_e32 v109, 16, v46
	v_min3_f16 v109, v47, v46, v109
	s_delay_alu instid0(VALU_DEP_3) | instskip(NEXT) | instid1(VALU_DEP_4)
	v_add_co_u32 v46, vcc_lo, v107, v112
	v_add_co_ci_u32_e32 v47, vcc_lo, v108, v113, vcc_lo
	global_store_b16 v[46:47], v109, off
.LBB229_87:
	s_or_b32 exec_lo, exec_lo, s7
	v_add_nc_u32_e32 v46, 56, v32
	s_delay_alu instid0(VALU_DEP_1) | instskip(SKIP_1) | instid1(VALU_DEP_2)
	v_cmp_gt_i32_e64 s7, s16, v46
	v_ashrrev_i32_e32 v47, 31, v46
	s_and_b32 s16, s7, s8
	s_delay_alu instid0(SALU_CYCLE_1)
	s_and_saveexec_b32 s8, s16
	s_cbranch_execz .LBB229_92
; %bb.88:
	v_cmp_ne_u32_e32 vcc_lo, 1, v72
	s_cbranch_vccnz .LBB229_90
; %bb.89:
	v_lshlrev_b64 v[112:113], 1, v[46:47]
	s_delay_alu instid0(VALU_DEP_1) | instskip(NEXT) | instid1(VALU_DEP_2)
	v_add_co_u32 v109, vcc_lo, v110, v112
	v_add_co_ci_u32_e32 v110, vcc_lo, v111, v113, vcc_lo
	flat_load_u16 v109, v[109:110]
	s_waitcnt vmcnt(0) lgkmcnt(0)
	v_mul_f16_e32 v109, s15, v109
	s_branch .LBB229_91
.LBB229_90:
	v_mov_b32_e32 v109, 0
.LBB229_91:
	v_pk_add_f16 v28, v2, v28
	v_pk_max_f16 v106, v106, v106
	v_pk_add_f16 v29, v3, v29
	s_delay_alu instid0(VALU_DEP_2) | instskip(NEXT) | instid1(VALU_DEP_1)
	v_pk_min_f16 v28, v106, v28
	v_pk_min_f16 v106, v28, v29
	v_lshlrev_b64 v[28:29], 1, v[46:47]
	s_delay_alu instid0(VALU_DEP_2) | instskip(NEXT) | instid1(VALU_DEP_2)
	v_lshrrev_b32_e32 v110, 16, v106
	v_add_co_u32 v28, vcc_lo, v107, v28
	s_delay_alu instid0(VALU_DEP_3) | instskip(NEXT) | instid1(VALU_DEP_3)
	v_add_co_ci_u32_e32 v29, vcc_lo, v108, v29, vcc_lo
	v_min3_f16 v106, v109, v106, v110
	global_store_b16 v[28:29], v106, off
.LBB229_92:
	s_or_b32 exec_lo, exec_lo, s8
	v_add_nc_u32_e32 v108, 32, v79
	s_delay_alu instid0(VALU_DEP_1) | instskip(SKIP_2) | instid1(VALU_DEP_3)
	v_mad_i64_i32 v[28:29], null, v108, s14, 0
	v_mad_i64_i32 v[106:107], null, v108, s9, 0
	v_cmp_gt_i32_e64 s8, s17, v108
	v_lshlrev_b64 v[28:29], 1, v[28:29]
	s_delay_alu instid0(VALU_DEP_2) | instskip(NEXT) | instid1(VALU_DEP_3)
	s_and_b32 s18, s0, s8
	v_lshlrev_b64 v[108:109], 1, v[106:107]
	s_delay_alu instid0(VALU_DEP_2) | instskip(NEXT) | instid1(VALU_DEP_3)
	v_add_co_u32 v106, vcc_lo, s10, v28
	v_add_co_ci_u32_e32 v107, vcc_lo, s11, v29, vcc_lo
	s_delay_alu instid0(VALU_DEP_3) | instskip(NEXT) | instid1(VALU_DEP_4)
	v_add_co_u32 v28, vcc_lo, s12, v108
	v_add_co_ci_u32_e32 v29, vcc_lo, s13, v109, vcc_lo
	s_and_saveexec_b32 s16, s18
	s_cbranch_execnz .LBB229_100
; %bb.93:
	s_or_b32 exec_lo, exec_lo, s16
	s_and_b32 s18, s1, s8
	s_delay_alu instid0(SALU_CYCLE_1)
	s_and_saveexec_b32 s16, s18
	s_cbranch_execnz .LBB229_104
.LBB229_94:
	s_or_b32 exec_lo, exec_lo, s16
	s_and_b32 s18, s2, s8
	s_delay_alu instid0(SALU_CYCLE_1)
	s_and_saveexec_b32 s16, s18
	s_cbranch_execnz .LBB229_108
.LBB229_95:
	s_or_b32 exec_lo, exec_lo, s16
	s_and_b32 s18, s3, s8
	s_delay_alu instid0(SALU_CYCLE_1)
	s_and_saveexec_b32 s16, s18
	s_cbranch_execnz .LBB229_112
.LBB229_96:
	s_or_b32 exec_lo, exec_lo, s16
	s_and_b32 s18, s4, s8
	s_delay_alu instid0(SALU_CYCLE_1)
	s_and_saveexec_b32 s16, s18
	s_cbranch_execnz .LBB229_116
.LBB229_97:
	s_or_b32 exec_lo, exec_lo, s16
	s_and_b32 s18, s5, s8
	s_delay_alu instid0(SALU_CYCLE_1)
	s_and_saveexec_b32 s16, s18
	s_cbranch_execnz .LBB229_120
.LBB229_98:
	s_or_b32 exec_lo, exec_lo, s16
	s_and_b32 s18, s6, s8
	s_delay_alu instid0(SALU_CYCLE_1)
	s_and_saveexec_b32 s16, s18
	s_cbranch_execnz .LBB229_124
.LBB229_99:
	s_or_b32 exec_lo, exec_lo, s16
	s_and_b32 s16, s7, s8
	s_delay_alu instid0(SALU_CYCLE_1)
	s_and_saveexec_b32 s8, s16
	s_cbranch_execnz .LBB229_128
	s_branch .LBB229_132
.LBB229_100:
	v_cmp_ne_u32_e32 vcc_lo, 1, v72
	s_cbranch_vccnz .LBB229_102
; %bb.101:
	v_lshlrev_b64 v[108:109], 1, v[32:33]
	s_delay_alu instid0(VALU_DEP_1) | instskip(NEXT) | instid1(VALU_DEP_2)
	v_add_co_u32 v108, vcc_lo, v106, v108
	v_add_co_ci_u32_e32 v109, vcc_lo, v107, v109, vcc_lo
	flat_load_u16 v108, v[108:109]
	s_waitcnt vmcnt(0) lgkmcnt(0)
	v_mul_f16_e32 v108, s15, v108
	s_branch .LBB229_103
.LBB229_102:
	v_mov_b32_e32 v108, 0
.LBB229_103:
	v_pk_add_f16 v109, v16, v30
	v_pk_max_f16 v105, v105, v105
	v_pk_add_f16 v110, v17, v31
	s_delay_alu instid0(VALU_DEP_2) | instskip(NEXT) | instid1(VALU_DEP_1)
	v_pk_min_f16 v105, v105, v109
	v_pk_min_f16 v105, v105, v110
	v_lshlrev_b64 v[109:110], 1, v[32:33]
	s_delay_alu instid0(VALU_DEP_2) | instskip(NEXT) | instid1(VALU_DEP_1)
	v_lshrrev_b32_e32 v111, 16, v105
	v_min3_f16 v105, v108, v105, v111
	s_delay_alu instid0(VALU_DEP_3) | instskip(NEXT) | instid1(VALU_DEP_4)
	v_add_co_u32 v108, vcc_lo, v28, v109
	v_add_co_ci_u32_e32 v109, vcc_lo, v29, v110, vcc_lo
	global_store_b16 v[108:109], v105, off
	s_or_b32 exec_lo, exec_lo, s16
	s_and_b32 s18, s1, s8
	s_delay_alu instid0(SALU_CYCLE_1)
	s_and_saveexec_b32 s16, s18
	s_cbranch_execz .LBB229_94
.LBB229_104:
	v_cmp_ne_u32_e32 vcc_lo, 1, v72
	s_cbranch_vccnz .LBB229_106
; %bb.105:
	v_lshlrev_b64 v[108:109], 1, v[34:35]
	s_delay_alu instid0(VALU_DEP_1) | instskip(NEXT) | instid1(VALU_DEP_2)
	v_add_co_u32 v108, vcc_lo, v106, v108
	v_add_co_ci_u32_e32 v109, vcc_lo, v107, v109, vcc_lo
	flat_load_u16 v105, v[108:109]
	s_waitcnt vmcnt(0) lgkmcnt(0)
	v_mul_f16_e32 v105, s15, v105
	s_branch .LBB229_107
.LBB229_106:
	v_mov_b32_e32 v105, 0
.LBB229_107:
	v_pk_add_f16 v108, v18, v30
	v_pk_max_f16 v104, v104, v104
	v_pk_add_f16 v109, v19, v31
	s_delay_alu instid0(VALU_DEP_2) | instskip(NEXT) | instid1(VALU_DEP_1)
	v_pk_min_f16 v104, v104, v108
	v_pk_min_f16 v104, v104, v109
	v_lshlrev_b64 v[108:109], 1, v[34:35]
	s_delay_alu instid0(VALU_DEP_2) | instskip(NEXT) | instid1(VALU_DEP_1)
	v_lshrrev_b32_e32 v110, 16, v104
	v_min3_f16 v110, v105, v104, v110
	s_delay_alu instid0(VALU_DEP_3) | instskip(NEXT) | instid1(VALU_DEP_4)
	v_add_co_u32 v104, vcc_lo, v28, v108
	v_add_co_ci_u32_e32 v105, vcc_lo, v29, v109, vcc_lo
	global_store_b16 v[104:105], v110, off
	s_or_b32 exec_lo, exec_lo, s16
	s_and_b32 s18, s2, s8
	s_delay_alu instid0(SALU_CYCLE_1)
	s_and_saveexec_b32 s16, s18
	s_cbranch_execz .LBB229_95
.LBB229_108:
	v_cmp_ne_u32_e32 vcc_lo, 1, v72
	s_cbranch_vccnz .LBB229_110
; %bb.109:
	v_lshlrev_b64 v[104:105], 1, v[36:37]
	s_delay_alu instid0(VALU_DEP_1) | instskip(NEXT) | instid1(VALU_DEP_2)
	v_add_co_u32 v104, vcc_lo, v106, v104
	v_add_co_ci_u32_e32 v105, vcc_lo, v107, v105, vcc_lo
	flat_load_u16 v104, v[104:105]
	s_waitcnt vmcnt(0) lgkmcnt(0)
	v_mul_f16_e32 v104, s15, v104
	s_branch .LBB229_111
.LBB229_110:
	v_mov_b32_e32 v104, 0
.LBB229_111:
	v_pk_add_f16 v105, v12, v30
	v_pk_max_f16 v103, v103, v103
	v_pk_add_f16 v108, v13, v31
	s_delay_alu instid0(VALU_DEP_2) | instskip(NEXT) | instid1(VALU_DEP_1)
	v_pk_min_f16 v103, v103, v105
	v_pk_min_f16 v103, v103, v108
	v_lshlrev_b64 v[108:109], 1, v[36:37]
	s_delay_alu instid0(VALU_DEP_2) | instskip(NEXT) | instid1(VALU_DEP_1)
	v_lshrrev_b32_e32 v105, 16, v103
	v_min3_f16 v105, v104, v103, v105
	s_delay_alu instid0(VALU_DEP_3) | instskip(NEXT) | instid1(VALU_DEP_4)
	v_add_co_u32 v103, vcc_lo, v28, v108
	v_add_co_ci_u32_e32 v104, vcc_lo, v29, v109, vcc_lo
	global_store_b16 v[103:104], v105, off
	s_or_b32 exec_lo, exec_lo, s16
	s_and_b32 s18, s3, s8
	s_delay_alu instid0(SALU_CYCLE_1)
	s_and_saveexec_b32 s16, s18
	s_cbranch_execz .LBB229_96
.LBB229_112:
	v_cmp_ne_u32_e32 vcc_lo, 1, v72
	s_cbranch_vccnz .LBB229_114
; %bb.113:
	v_lshlrev_b64 v[103:104], 1, v[38:39]
	s_delay_alu instid0(VALU_DEP_1) | instskip(NEXT) | instid1(VALU_DEP_2)
	v_add_co_u32 v103, vcc_lo, v106, v103
	v_add_co_ci_u32_e32 v104, vcc_lo, v107, v104, vcc_lo
	flat_load_u16 v103, v[103:104]
	s_waitcnt vmcnt(0) lgkmcnt(0)
	v_mul_f16_e32 v103, s15, v103
	s_branch .LBB229_115
.LBB229_114:
	v_mov_b32_e32 v103, 0
.LBB229_115:
	v_pk_add_f16 v104, v14, v30
	v_pk_max_f16 v102, v102, v102
	v_pk_add_f16 v105, v15, v31
	s_delay_alu instid0(VALU_DEP_2) | instskip(NEXT) | instid1(VALU_DEP_1)
	v_pk_min_f16 v102, v102, v104
	v_pk_min_f16 v102, v102, v105
	v_lshlrev_b64 v[104:105], 1, v[38:39]
	s_delay_alu instid0(VALU_DEP_2) | instskip(NEXT) | instid1(VALU_DEP_1)
	v_lshrrev_b32_e32 v108, 16, v102
	v_min3_f16 v108, v103, v102, v108
	s_delay_alu instid0(VALU_DEP_3) | instskip(NEXT) | instid1(VALU_DEP_4)
	v_add_co_u32 v102, vcc_lo, v28, v104
	v_add_co_ci_u32_e32 v103, vcc_lo, v29, v105, vcc_lo
	global_store_b16 v[102:103], v108, off
	s_or_b32 exec_lo, exec_lo, s16
	s_and_b32 s18, s4, s8
	s_delay_alu instid0(SALU_CYCLE_1)
	s_and_saveexec_b32 s16, s18
	s_cbranch_execz .LBB229_97
.LBB229_116:
	v_cmp_ne_u32_e32 vcc_lo, 1, v72
	s_cbranch_vccnz .LBB229_118
; %bb.117:
	v_lshlrev_b64 v[102:103], 1, v[40:41]
	s_delay_alu instid0(VALU_DEP_1) | instskip(NEXT) | instid1(VALU_DEP_2)
	v_add_co_u32 v102, vcc_lo, v106, v102
	v_add_co_ci_u32_e32 v103, vcc_lo, v107, v103, vcc_lo
	flat_load_u16 v102, v[102:103]
	s_waitcnt vmcnt(0) lgkmcnt(0)
	v_mul_f16_e32 v102, s15, v102
	s_branch .LBB229_119
.LBB229_118:
	v_mov_b32_e32 v102, 0
.LBB229_119:
	v_pk_add_f16 v103, v8, v30
	v_pk_max_f16 v101, v101, v101
	v_pk_add_f16 v104, v9, v31
	s_delay_alu instid0(VALU_DEP_2) | instskip(NEXT) | instid1(VALU_DEP_1)
	v_pk_min_f16 v101, v101, v103
	v_pk_min_f16 v101, v101, v104
	v_lshlrev_b64 v[103:104], 1, v[40:41]
	s_delay_alu instid0(VALU_DEP_2) | instskip(NEXT) | instid1(VALU_DEP_1)
	v_lshrrev_b32_e32 v105, 16, v101
	v_min3_f16 v105, v102, v101, v105
	s_delay_alu instid0(VALU_DEP_3) | instskip(NEXT) | instid1(VALU_DEP_4)
	v_add_co_u32 v101, vcc_lo, v28, v103
	v_add_co_ci_u32_e32 v102, vcc_lo, v29, v104, vcc_lo
	global_store_b16 v[101:102], v105, off
	s_or_b32 exec_lo, exec_lo, s16
	s_and_b32 s18, s5, s8
	s_delay_alu instid0(SALU_CYCLE_1)
	s_and_saveexec_b32 s16, s18
	s_cbranch_execz .LBB229_98
.LBB229_120:
	v_cmp_ne_u32_e32 vcc_lo, 1, v72
	s_cbranch_vccnz .LBB229_122
; %bb.121:
	v_lshlrev_b64 v[101:102], 1, v[42:43]
	s_delay_alu instid0(VALU_DEP_1) | instskip(NEXT) | instid1(VALU_DEP_2)
	v_add_co_u32 v101, vcc_lo, v106, v101
	v_add_co_ci_u32_e32 v102, vcc_lo, v107, v102, vcc_lo
	flat_load_u16 v101, v[101:102]
	s_waitcnt vmcnt(0) lgkmcnt(0)
	v_mul_f16_e32 v101, s15, v101
	s_branch .LBB229_123
.LBB229_122:
	v_mov_b32_e32 v101, 0
.LBB229_123:
	v_pk_add_f16 v102, v10, v30
	v_pk_max_f16 v100, v100, v100
	v_pk_add_f16 v103, v11, v31
	s_delay_alu instid0(VALU_DEP_2) | instskip(NEXT) | instid1(VALU_DEP_1)
	v_pk_min_f16 v100, v100, v102
	v_pk_min_f16 v100, v100, v103
	v_lshlrev_b64 v[102:103], 1, v[42:43]
	s_delay_alu instid0(VALU_DEP_2) | instskip(NEXT) | instid1(VALU_DEP_1)
	v_lshrrev_b32_e32 v104, 16, v100
	v_min3_f16 v104, v101, v100, v104
	s_delay_alu instid0(VALU_DEP_3) | instskip(NEXT) | instid1(VALU_DEP_4)
	v_add_co_u32 v100, vcc_lo, v28, v102
	v_add_co_ci_u32_e32 v101, vcc_lo, v29, v103, vcc_lo
	global_store_b16 v[100:101], v104, off
	s_or_b32 exec_lo, exec_lo, s16
	s_and_b32 s18, s6, s8
	s_delay_alu instid0(SALU_CYCLE_1)
	s_and_saveexec_b32 s16, s18
	s_cbranch_execz .LBB229_99
.LBB229_124:
	v_cmp_ne_u32_e32 vcc_lo, 1, v72
	s_cbranch_vccnz .LBB229_126
; %bb.125:
	v_lshlrev_b64 v[100:101], 1, v[44:45]
	s_delay_alu instid0(VALU_DEP_1) | instskip(NEXT) | instid1(VALU_DEP_2)
	v_add_co_u32 v100, vcc_lo, v106, v100
	v_add_co_ci_u32_e32 v101, vcc_lo, v107, v101, vcc_lo
	flat_load_u16 v100, v[100:101]
	s_waitcnt vmcnt(0) lgkmcnt(0)
	v_mul_f16_e32 v100, s15, v100
	s_branch .LBB229_127
.LBB229_126:
	v_mov_b32_e32 v100, 0
.LBB229_127:
	v_pk_add_f16 v101, v0, v30
	v_pk_max_f16 v99, v99, v99
	v_pk_add_f16 v102, v1, v31
	s_delay_alu instid0(VALU_DEP_2) | instskip(NEXT) | instid1(VALU_DEP_1)
	v_pk_min_f16 v99, v99, v101
	v_pk_min_f16 v99, v99, v102
	v_lshlrev_b64 v[101:102], 1, v[44:45]
	s_delay_alu instid0(VALU_DEP_2) | instskip(NEXT) | instid1(VALU_DEP_1)
	v_lshrrev_b32_e32 v103, 16, v99
	v_min3_f16 v103, v100, v99, v103
	s_delay_alu instid0(VALU_DEP_3) | instskip(NEXT) | instid1(VALU_DEP_4)
	v_add_co_u32 v99, vcc_lo, v28, v101
	v_add_co_ci_u32_e32 v100, vcc_lo, v29, v102, vcc_lo
	global_store_b16 v[99:100], v103, off
	s_or_b32 exec_lo, exec_lo, s16
	s_and_b32 s16, s7, s8
	s_delay_alu instid0(SALU_CYCLE_1)
	s_and_saveexec_b32 s8, s16
	s_cbranch_execz .LBB229_132
.LBB229_128:
	v_cmp_ne_u32_e32 vcc_lo, 1, v72
	s_cbranch_vccnz .LBB229_130
; %bb.129:
	v_lshlrev_b64 v[99:100], 1, v[46:47]
	s_delay_alu instid0(VALU_DEP_1) | instskip(NEXT) | instid1(VALU_DEP_2)
	v_add_co_u32 v99, vcc_lo, v106, v99
	v_add_co_ci_u32_e32 v100, vcc_lo, v107, v100, vcc_lo
	flat_load_u16 v99, v[99:100]
	s_waitcnt vmcnt(0) lgkmcnt(0)
	v_mul_f16_e32 v99, s15, v99
	s_branch .LBB229_131
.LBB229_130:
	v_mov_b32_e32 v99, 0
.LBB229_131:
	v_pk_add_f16 v30, v2, v30
	v_pk_max_f16 v98, v98, v98
	v_pk_add_f16 v31, v3, v31
	s_delay_alu instid0(VALU_DEP_2) | instskip(NEXT) | instid1(VALU_DEP_1)
	v_pk_min_f16 v30, v98, v30
	v_pk_min_f16 v98, v30, v31
	v_lshlrev_b64 v[30:31], 1, v[46:47]
	s_delay_alu instid0(VALU_DEP_2) | instskip(NEXT) | instid1(VALU_DEP_2)
	v_lshrrev_b32_e32 v100, 16, v98
	v_add_co_u32 v28, vcc_lo, v28, v30
	s_delay_alu instid0(VALU_DEP_3) | instskip(NEXT) | instid1(VALU_DEP_3)
	v_add_co_ci_u32_e32 v29, vcc_lo, v29, v31, vcc_lo
	v_min3_f16 v98, v99, v98, v100
	global_store_b16 v[28:29], v98, off
.LBB229_132:
	s_or_b32 exec_lo, exec_lo, s8
	v_add_nc_u32_e32 v98, 64, v79
	s_delay_alu instid0(VALU_DEP_1) | instskip(SKIP_2) | instid1(VALU_DEP_3)
	v_mad_i64_i32 v[28:29], null, v98, s14, 0
	v_mad_i64_i32 v[30:31], null, v98, s9, 0
	v_cmp_gt_i32_e64 s8, s17, v98
	v_lshlrev_b64 v[28:29], 1, v[28:29]
	s_delay_alu instid0(VALU_DEP_2) | instskip(NEXT) | instid1(VALU_DEP_3)
	s_and_b32 s18, s0, s8
	v_lshlrev_b64 v[98:99], 1, v[30:31]
	s_delay_alu instid0(VALU_DEP_2) | instskip(NEXT) | instid1(VALU_DEP_3)
	v_add_co_u32 v30, vcc_lo, s10, v28
	v_add_co_ci_u32_e32 v31, vcc_lo, s11, v29, vcc_lo
	s_delay_alu instid0(VALU_DEP_3) | instskip(NEXT) | instid1(VALU_DEP_4)
	v_add_co_u32 v28, vcc_lo, s12, v98
	v_add_co_ci_u32_e32 v29, vcc_lo, s13, v99, vcc_lo
	s_and_saveexec_b32 s16, s18
	s_cbranch_execnz .LBB229_140
; %bb.133:
	s_or_b32 exec_lo, exec_lo, s16
	s_and_b32 s18, s1, s8
	s_delay_alu instid0(SALU_CYCLE_1)
	s_and_saveexec_b32 s16, s18
	s_cbranch_execnz .LBB229_144
.LBB229_134:
	s_or_b32 exec_lo, exec_lo, s16
	s_and_b32 s18, s2, s8
	s_delay_alu instid0(SALU_CYCLE_1)
	s_and_saveexec_b32 s16, s18
	s_cbranch_execnz .LBB229_148
.LBB229_135:
	s_or_b32 exec_lo, exec_lo, s16
	s_and_b32 s18, s3, s8
	s_delay_alu instid0(SALU_CYCLE_1)
	s_and_saveexec_b32 s16, s18
	s_cbranch_execnz .LBB229_152
.LBB229_136:
	s_or_b32 exec_lo, exec_lo, s16
	s_and_b32 s18, s4, s8
	s_delay_alu instid0(SALU_CYCLE_1)
	s_and_saveexec_b32 s16, s18
	s_cbranch_execnz .LBB229_156
.LBB229_137:
	s_or_b32 exec_lo, exec_lo, s16
	s_and_b32 s18, s5, s8
	s_delay_alu instid0(SALU_CYCLE_1)
	s_and_saveexec_b32 s16, s18
	s_cbranch_execnz .LBB229_160
.LBB229_138:
	s_or_b32 exec_lo, exec_lo, s16
	s_and_b32 s18, s6, s8
	s_delay_alu instid0(SALU_CYCLE_1)
	s_and_saveexec_b32 s16, s18
	s_cbranch_execnz .LBB229_164
.LBB229_139:
	s_or_b32 exec_lo, exec_lo, s16
	s_and_b32 s16, s7, s8
	s_delay_alu instid0(SALU_CYCLE_1)
	s_and_saveexec_b32 s8, s16
	s_cbranch_execnz .LBB229_168
	s_branch .LBB229_172
.LBB229_140:
	v_cmp_ne_u32_e32 vcc_lo, 1, v72
	s_cbranch_vccnz .LBB229_142
; %bb.141:
	v_lshlrev_b64 v[98:99], 1, v[32:33]
	s_delay_alu instid0(VALU_DEP_1) | instskip(NEXT) | instid1(VALU_DEP_2)
	v_add_co_u32 v98, vcc_lo, v30, v98
	v_add_co_ci_u32_e32 v99, vcc_lo, v31, v99, vcc_lo
	flat_load_u16 v98, v[98:99]
	s_waitcnt vmcnt(0) lgkmcnt(0)
	v_mul_f16_e32 v98, s15, v98
	s_branch .LBB229_143
.LBB229_142:
	v_mov_b32_e32 v98, 0
.LBB229_143:
	v_pk_add_f16 v99, v16, v24
	v_pk_max_f16 v97, v97, v97
	v_pk_add_f16 v100, v17, v25
	s_delay_alu instid0(VALU_DEP_2) | instskip(NEXT) | instid1(VALU_DEP_1)
	v_pk_min_f16 v97, v97, v99
	v_pk_min_f16 v97, v97, v100
	v_lshlrev_b64 v[99:100], 1, v[32:33]
	s_delay_alu instid0(VALU_DEP_2) | instskip(NEXT) | instid1(VALU_DEP_1)
	v_lshrrev_b32_e32 v101, 16, v97
	v_min3_f16 v101, v98, v97, v101
	s_delay_alu instid0(VALU_DEP_3) | instskip(NEXT) | instid1(VALU_DEP_4)
	v_add_co_u32 v97, vcc_lo, v28, v99
	v_add_co_ci_u32_e32 v98, vcc_lo, v29, v100, vcc_lo
	global_store_b16 v[97:98], v101, off
	s_or_b32 exec_lo, exec_lo, s16
	s_and_b32 s18, s1, s8
	s_delay_alu instid0(SALU_CYCLE_1)
	s_and_saveexec_b32 s16, s18
	s_cbranch_execz .LBB229_134
.LBB229_144:
	v_cmp_ne_u32_e32 vcc_lo, 1, v72
	s_cbranch_vccnz .LBB229_146
; %bb.145:
	v_lshlrev_b64 v[97:98], 1, v[34:35]
	s_delay_alu instid0(VALU_DEP_1) | instskip(NEXT) | instid1(VALU_DEP_2)
	v_add_co_u32 v97, vcc_lo, v30, v97
	v_add_co_ci_u32_e32 v98, vcc_lo, v31, v98, vcc_lo
	flat_load_u16 v97, v[97:98]
	s_waitcnt vmcnt(0) lgkmcnt(0)
	v_mul_f16_e32 v97, s15, v97
	s_branch .LBB229_147
.LBB229_146:
	v_mov_b32_e32 v97, 0
.LBB229_147:
	v_pk_add_f16 v98, v18, v24
	v_pk_max_f16 v96, v96, v96
	v_pk_add_f16 v99, v19, v25
	s_delay_alu instid0(VALU_DEP_2) | instskip(NEXT) | instid1(VALU_DEP_1)
	v_pk_min_f16 v96, v96, v98
	v_pk_min_f16 v96, v96, v99
	v_lshlrev_b64 v[98:99], 1, v[34:35]
	s_delay_alu instid0(VALU_DEP_2) | instskip(NEXT) | instid1(VALU_DEP_1)
	v_lshrrev_b32_e32 v100, 16, v96
	v_min3_f16 v100, v97, v96, v100
	s_delay_alu instid0(VALU_DEP_3) | instskip(NEXT) | instid1(VALU_DEP_4)
	v_add_co_u32 v96, vcc_lo, v28, v98
	v_add_co_ci_u32_e32 v97, vcc_lo, v29, v99, vcc_lo
	global_store_b16 v[96:97], v100, off
	s_or_b32 exec_lo, exec_lo, s16
	s_and_b32 s18, s2, s8
	s_delay_alu instid0(SALU_CYCLE_1)
	s_and_saveexec_b32 s16, s18
	s_cbranch_execz .LBB229_135
.LBB229_148:
	v_cmp_ne_u32_e32 vcc_lo, 1, v72
	s_cbranch_vccnz .LBB229_150
; %bb.149:
	v_lshlrev_b64 v[96:97], 1, v[36:37]
	s_delay_alu instid0(VALU_DEP_1) | instskip(NEXT) | instid1(VALU_DEP_2)
	v_add_co_u32 v96, vcc_lo, v30, v96
	v_add_co_ci_u32_e32 v97, vcc_lo, v31, v97, vcc_lo
	flat_load_u16 v96, v[96:97]
	s_waitcnt vmcnt(0) lgkmcnt(0)
	v_mul_f16_e32 v96, s15, v96
	s_branch .LBB229_151
.LBB229_150:
	v_mov_b32_e32 v96, 0
.LBB229_151:
	v_pk_add_f16 v97, v12, v24
	v_pk_max_f16 v95, v95, v95
	v_pk_add_f16 v98, v13, v25
	s_delay_alu instid0(VALU_DEP_2) | instskip(NEXT) | instid1(VALU_DEP_1)
	v_pk_min_f16 v95, v95, v97
	v_pk_min_f16 v95, v95, v98
	v_lshlrev_b64 v[97:98], 1, v[36:37]
	s_delay_alu instid0(VALU_DEP_2) | instskip(NEXT) | instid1(VALU_DEP_1)
	v_lshrrev_b32_e32 v99, 16, v95
	v_min3_f16 v99, v96, v95, v99
	s_delay_alu instid0(VALU_DEP_3) | instskip(NEXT) | instid1(VALU_DEP_4)
	v_add_co_u32 v95, vcc_lo, v28, v97
	v_add_co_ci_u32_e32 v96, vcc_lo, v29, v98, vcc_lo
	global_store_b16 v[95:96], v99, off
	s_or_b32 exec_lo, exec_lo, s16
	s_and_b32 s18, s3, s8
	s_delay_alu instid0(SALU_CYCLE_1)
	s_and_saveexec_b32 s16, s18
	s_cbranch_execz .LBB229_136
.LBB229_152:
	v_cmp_ne_u32_e32 vcc_lo, 1, v72
	s_cbranch_vccnz .LBB229_154
; %bb.153:
	v_lshlrev_b64 v[95:96], 1, v[38:39]
	s_delay_alu instid0(VALU_DEP_1) | instskip(NEXT) | instid1(VALU_DEP_2)
	v_add_co_u32 v95, vcc_lo, v30, v95
	v_add_co_ci_u32_e32 v96, vcc_lo, v31, v96, vcc_lo
	flat_load_u16 v95, v[95:96]
	s_waitcnt vmcnt(0) lgkmcnt(0)
	v_mul_f16_e32 v95, s15, v95
	s_branch .LBB229_155
.LBB229_154:
	v_mov_b32_e32 v95, 0
.LBB229_155:
	v_pk_add_f16 v96, v14, v24
	v_pk_max_f16 v94, v94, v94
	v_pk_add_f16 v97, v15, v25
	s_delay_alu instid0(VALU_DEP_2) | instskip(NEXT) | instid1(VALU_DEP_1)
	v_pk_min_f16 v94, v94, v96
	v_pk_min_f16 v94, v94, v97
	v_lshlrev_b64 v[96:97], 1, v[38:39]
	s_delay_alu instid0(VALU_DEP_2) | instskip(NEXT) | instid1(VALU_DEP_1)
	v_lshrrev_b32_e32 v98, 16, v94
	v_min3_f16 v98, v95, v94, v98
	s_delay_alu instid0(VALU_DEP_3) | instskip(NEXT) | instid1(VALU_DEP_4)
	v_add_co_u32 v94, vcc_lo, v28, v96
	v_add_co_ci_u32_e32 v95, vcc_lo, v29, v97, vcc_lo
	global_store_b16 v[94:95], v98, off
	s_or_b32 exec_lo, exec_lo, s16
	s_and_b32 s18, s4, s8
	s_delay_alu instid0(SALU_CYCLE_1)
	s_and_saveexec_b32 s16, s18
	s_cbranch_execz .LBB229_137
.LBB229_156:
	v_cmp_ne_u32_e32 vcc_lo, 1, v72
	s_cbranch_vccnz .LBB229_158
; %bb.157:
	v_lshlrev_b64 v[94:95], 1, v[40:41]
	s_delay_alu instid0(VALU_DEP_1) | instskip(NEXT) | instid1(VALU_DEP_2)
	v_add_co_u32 v94, vcc_lo, v30, v94
	v_add_co_ci_u32_e32 v95, vcc_lo, v31, v95, vcc_lo
	flat_load_u16 v94, v[94:95]
	s_waitcnt vmcnt(0) lgkmcnt(0)
	v_mul_f16_e32 v94, s15, v94
	s_branch .LBB229_159
.LBB229_158:
	v_mov_b32_e32 v94, 0
.LBB229_159:
	v_pk_add_f16 v95, v8, v24
	v_pk_max_f16 v93, v93, v93
	v_pk_add_f16 v96, v9, v25
	s_delay_alu instid0(VALU_DEP_2) | instskip(NEXT) | instid1(VALU_DEP_1)
	v_pk_min_f16 v93, v93, v95
	v_pk_min_f16 v93, v93, v96
	v_lshlrev_b64 v[95:96], 1, v[40:41]
	s_delay_alu instid0(VALU_DEP_2) | instskip(NEXT) | instid1(VALU_DEP_1)
	v_lshrrev_b32_e32 v97, 16, v93
	v_min3_f16 v97, v94, v93, v97
	s_delay_alu instid0(VALU_DEP_3) | instskip(NEXT) | instid1(VALU_DEP_4)
	v_add_co_u32 v93, vcc_lo, v28, v95
	v_add_co_ci_u32_e32 v94, vcc_lo, v29, v96, vcc_lo
	global_store_b16 v[93:94], v97, off
	s_or_b32 exec_lo, exec_lo, s16
	s_and_b32 s18, s5, s8
	s_delay_alu instid0(SALU_CYCLE_1)
	s_and_saveexec_b32 s16, s18
	s_cbranch_execz .LBB229_138
.LBB229_160:
	v_cmp_ne_u32_e32 vcc_lo, 1, v72
	s_cbranch_vccnz .LBB229_162
; %bb.161:
	v_lshlrev_b64 v[93:94], 1, v[42:43]
	s_delay_alu instid0(VALU_DEP_1) | instskip(NEXT) | instid1(VALU_DEP_2)
	v_add_co_u32 v93, vcc_lo, v30, v93
	v_add_co_ci_u32_e32 v94, vcc_lo, v31, v94, vcc_lo
	flat_load_u16 v93, v[93:94]
	s_waitcnt vmcnt(0) lgkmcnt(0)
	v_mul_f16_e32 v93, s15, v93
	s_branch .LBB229_163
.LBB229_162:
	v_mov_b32_e32 v93, 0
.LBB229_163:
	v_pk_add_f16 v94, v10, v24
	v_pk_max_f16 v92, v92, v92
	v_pk_add_f16 v95, v11, v25
	s_delay_alu instid0(VALU_DEP_2) | instskip(NEXT) | instid1(VALU_DEP_1)
	v_pk_min_f16 v92, v92, v94
	v_pk_min_f16 v92, v92, v95
	v_lshlrev_b64 v[94:95], 1, v[42:43]
	s_delay_alu instid0(VALU_DEP_2) | instskip(NEXT) | instid1(VALU_DEP_1)
	v_lshrrev_b32_e32 v96, 16, v92
	v_min3_f16 v96, v93, v92, v96
	s_delay_alu instid0(VALU_DEP_3) | instskip(NEXT) | instid1(VALU_DEP_4)
	v_add_co_u32 v92, vcc_lo, v28, v94
	v_add_co_ci_u32_e32 v93, vcc_lo, v29, v95, vcc_lo
	global_store_b16 v[92:93], v96, off
	s_or_b32 exec_lo, exec_lo, s16
	s_and_b32 s18, s6, s8
	s_delay_alu instid0(SALU_CYCLE_1)
	s_and_saveexec_b32 s16, s18
	s_cbranch_execz .LBB229_139
.LBB229_164:
	v_cmp_ne_u32_e32 vcc_lo, 1, v72
	s_cbranch_vccnz .LBB229_166
; %bb.165:
	v_lshlrev_b64 v[92:93], 1, v[44:45]
	s_delay_alu instid0(VALU_DEP_1) | instskip(NEXT) | instid1(VALU_DEP_2)
	v_add_co_u32 v92, vcc_lo, v30, v92
	v_add_co_ci_u32_e32 v93, vcc_lo, v31, v93, vcc_lo
	flat_load_u16 v92, v[92:93]
	s_waitcnt vmcnt(0) lgkmcnt(0)
	v_mul_f16_e32 v92, s15, v92
	s_branch .LBB229_167
.LBB229_166:
	v_mov_b32_e32 v92, 0
.LBB229_167:
	v_pk_add_f16 v93, v0, v24
	v_pk_max_f16 v91, v91, v91
	v_pk_add_f16 v94, v1, v25
	s_delay_alu instid0(VALU_DEP_2) | instskip(NEXT) | instid1(VALU_DEP_1)
	v_pk_min_f16 v91, v91, v93
	v_pk_min_f16 v91, v91, v94
	v_lshlrev_b64 v[93:94], 1, v[44:45]
	s_delay_alu instid0(VALU_DEP_2) | instskip(NEXT) | instid1(VALU_DEP_1)
	v_lshrrev_b32_e32 v95, 16, v91
	v_min3_f16 v95, v92, v91, v95
	s_delay_alu instid0(VALU_DEP_3) | instskip(NEXT) | instid1(VALU_DEP_4)
	v_add_co_u32 v91, vcc_lo, v28, v93
	v_add_co_ci_u32_e32 v92, vcc_lo, v29, v94, vcc_lo
	global_store_b16 v[91:92], v95, off
	s_or_b32 exec_lo, exec_lo, s16
	s_and_b32 s16, s7, s8
	s_delay_alu instid0(SALU_CYCLE_1)
	s_and_saveexec_b32 s8, s16
	s_cbranch_execz .LBB229_172
.LBB229_168:
	v_cmp_ne_u32_e32 vcc_lo, 1, v72
	s_cbranch_vccnz .LBB229_170
; %bb.169:
	v_lshlrev_b64 v[91:92], 1, v[46:47]
	s_delay_alu instid0(VALU_DEP_1) | instskip(NEXT) | instid1(VALU_DEP_2)
	v_add_co_u32 v30, vcc_lo, v30, v91
	v_add_co_ci_u32_e32 v31, vcc_lo, v31, v92, vcc_lo
	flat_load_u16 v30, v[30:31]
	s_waitcnt vmcnt(0) lgkmcnt(0)
	v_mul_f16_e32 v30, s15, v30
	s_branch .LBB229_171
.LBB229_170:
	v_mov_b32_e32 v30, 0
.LBB229_171:
	v_pk_add_f16 v24, v2, v24
	v_pk_max_f16 v31, v90, v90
	v_pk_add_f16 v25, v3, v25
	s_delay_alu instid0(VALU_DEP_2) | instskip(NEXT) | instid1(VALU_DEP_1)
	v_pk_min_f16 v24, v31, v24
	v_pk_min_f16 v31, v24, v25
	v_lshlrev_b64 v[24:25], 1, v[46:47]
	s_delay_alu instid0(VALU_DEP_2) | instskip(NEXT) | instid1(VALU_DEP_2)
	v_lshrrev_b32_e32 v90, 16, v31
	v_add_co_u32 v24, vcc_lo, v28, v24
	s_delay_alu instid0(VALU_DEP_3) | instskip(NEXT) | instid1(VALU_DEP_3)
	v_add_co_ci_u32_e32 v25, vcc_lo, v29, v25, vcc_lo
	v_min3_f16 v30, v30, v31, v90
	global_store_b16 v[24:25], v30, off
.LBB229_172:
	s_or_b32 exec_lo, exec_lo, s8
	v_add_nc_u32_e32 v30, 0x60, v79
	s_delay_alu instid0(VALU_DEP_1) | instskip(SKIP_2) | instid1(VALU_DEP_3)
	v_mad_i64_i32 v[24:25], null, v30, s14, 0
	v_mad_i64_i32 v[28:29], null, v30, s9, 0
	v_cmp_gt_i32_e64 s8, s17, v30
	v_lshlrev_b64 v[24:25], 1, v[24:25]
	s_delay_alu instid0(VALU_DEP_2) | instskip(NEXT) | instid1(VALU_DEP_3)
	s_and_b32 s18, s0, s8
	v_lshlrev_b64 v[30:31], 1, v[28:29]
	s_delay_alu instid0(VALU_DEP_2) | instskip(NEXT) | instid1(VALU_DEP_3)
	v_add_co_u32 v28, vcc_lo, s10, v24
	v_add_co_ci_u32_e32 v29, vcc_lo, s11, v25, vcc_lo
	s_delay_alu instid0(VALU_DEP_3) | instskip(NEXT) | instid1(VALU_DEP_4)
	v_add_co_u32 v24, vcc_lo, s12, v30
	v_add_co_ci_u32_e32 v25, vcc_lo, s13, v31, vcc_lo
	s_and_saveexec_b32 s16, s18
	s_cbranch_execnz .LBB229_180
; %bb.173:
	s_or_b32 exec_lo, exec_lo, s16
	s_and_b32 s18, s1, s8
	s_delay_alu instid0(SALU_CYCLE_1)
	s_and_saveexec_b32 s16, s18
	s_cbranch_execnz .LBB229_184
.LBB229_174:
	s_or_b32 exec_lo, exec_lo, s16
	s_and_b32 s18, s2, s8
	s_delay_alu instid0(SALU_CYCLE_1)
	s_and_saveexec_b32 s16, s18
	s_cbranch_execnz .LBB229_188
.LBB229_175:
	s_or_b32 exec_lo, exec_lo, s16
	s_and_b32 s18, s3, s8
	s_delay_alu instid0(SALU_CYCLE_1)
	s_and_saveexec_b32 s16, s18
	s_cbranch_execnz .LBB229_192
.LBB229_176:
	s_or_b32 exec_lo, exec_lo, s16
	s_and_b32 s18, s4, s8
	s_delay_alu instid0(SALU_CYCLE_1)
	s_and_saveexec_b32 s16, s18
	s_cbranch_execnz .LBB229_196
.LBB229_177:
	s_or_b32 exec_lo, exec_lo, s16
	s_and_b32 s18, s5, s8
	s_delay_alu instid0(SALU_CYCLE_1)
	s_and_saveexec_b32 s16, s18
	s_cbranch_execnz .LBB229_200
.LBB229_178:
	s_or_b32 exec_lo, exec_lo, s16
	s_and_b32 s18, s6, s8
	s_delay_alu instid0(SALU_CYCLE_1)
	s_and_saveexec_b32 s16, s18
	s_cbranch_execnz .LBB229_204
.LBB229_179:
	s_or_b32 exec_lo, exec_lo, s16
	s_and_b32 s16, s7, s8
	s_delay_alu instid0(SALU_CYCLE_1)
	s_and_saveexec_b32 s8, s16
	s_cbranch_execnz .LBB229_208
	s_branch .LBB229_212
.LBB229_180:
	v_cmp_ne_u32_e32 vcc_lo, 1, v72
	s_cbranch_vccnz .LBB229_182
; %bb.181:
	v_lshlrev_b64 v[30:31], 1, v[32:33]
	s_delay_alu instid0(VALU_DEP_1) | instskip(NEXT) | instid1(VALU_DEP_2)
	v_add_co_u32 v30, vcc_lo, v28, v30
	v_add_co_ci_u32_e32 v31, vcc_lo, v29, v31, vcc_lo
	flat_load_u16 v30, v[30:31]
	s_waitcnt vmcnt(0) lgkmcnt(0)
	v_mul_f16_e32 v30, s15, v30
	s_branch .LBB229_183
.LBB229_182:
	v_mov_b32_e32 v30, 0
.LBB229_183:
	v_pk_add_f16 v31, v16, v26
	v_pk_max_f16 v89, v89, v89
	v_pk_add_f16 v90, v17, v27
	s_delay_alu instid0(VALU_DEP_2) | instskip(NEXT) | instid1(VALU_DEP_1)
	v_pk_min_f16 v31, v89, v31
	v_pk_min_f16 v31, v31, v90
	v_lshlrev_b64 v[89:90], 1, v[32:33]
	s_delay_alu instid0(VALU_DEP_2) | instskip(NEXT) | instid1(VALU_DEP_1)
	v_lshrrev_b32_e32 v91, 16, v31
	v_min3_f16 v91, v30, v31, v91
	s_delay_alu instid0(VALU_DEP_3) | instskip(NEXT) | instid1(VALU_DEP_4)
	v_add_co_u32 v30, vcc_lo, v24, v89
	v_add_co_ci_u32_e32 v31, vcc_lo, v25, v90, vcc_lo
	global_store_b16 v[30:31], v91, off
	s_or_b32 exec_lo, exec_lo, s16
	s_and_b32 s18, s1, s8
	s_delay_alu instid0(SALU_CYCLE_1)
	s_and_saveexec_b32 s16, s18
	s_cbranch_execz .LBB229_174
.LBB229_184:
	v_cmp_ne_u32_e32 vcc_lo, 1, v72
	s_cbranch_vccnz .LBB229_186
; %bb.185:
	v_lshlrev_b64 v[30:31], 1, v[34:35]
	s_delay_alu instid0(VALU_DEP_1) | instskip(NEXT) | instid1(VALU_DEP_2)
	v_add_co_u32 v30, vcc_lo, v28, v30
	v_add_co_ci_u32_e32 v31, vcc_lo, v29, v31, vcc_lo
	flat_load_u16 v30, v[30:31]
	s_waitcnt vmcnt(0) lgkmcnt(0)
	v_mul_f16_e32 v30, s15, v30
	s_branch .LBB229_187
.LBB229_186:
	v_mov_b32_e32 v30, 0
.LBB229_187:
	v_pk_add_f16 v31, v18, v26
	v_pk_max_f16 v88, v88, v88
	v_pk_add_f16 v89, v19, v27
	s_delay_alu instid0(VALU_DEP_2) | instskip(NEXT) | instid1(VALU_DEP_1)
	v_pk_min_f16 v31, v88, v31
	v_pk_min_f16 v31, v31, v89
	v_lshlrev_b64 v[88:89], 1, v[34:35]
	s_delay_alu instid0(VALU_DEP_2) | instskip(NEXT) | instid1(VALU_DEP_1)
	v_lshrrev_b32_e32 v90, 16, v31
	v_min3_f16 v90, v30, v31, v90
	s_delay_alu instid0(VALU_DEP_3) | instskip(NEXT) | instid1(VALU_DEP_4)
	v_add_co_u32 v30, vcc_lo, v24, v88
	v_add_co_ci_u32_e32 v31, vcc_lo, v25, v89, vcc_lo
	global_store_b16 v[30:31], v90, off
	s_or_b32 exec_lo, exec_lo, s16
	s_and_b32 s18, s2, s8
	s_delay_alu instid0(SALU_CYCLE_1)
	s_and_saveexec_b32 s16, s18
	s_cbranch_execz .LBB229_175
.LBB229_188:
	v_cmp_ne_u32_e32 vcc_lo, 1, v72
	s_cbranch_vccnz .LBB229_190
; %bb.189:
	v_lshlrev_b64 v[30:31], 1, v[36:37]
	s_delay_alu instid0(VALU_DEP_1) | instskip(NEXT) | instid1(VALU_DEP_2)
	v_add_co_u32 v30, vcc_lo, v28, v30
	v_add_co_ci_u32_e32 v31, vcc_lo, v29, v31, vcc_lo
	flat_load_u16 v30, v[30:31]
	s_waitcnt vmcnt(0) lgkmcnt(0)
	v_mul_f16_e32 v30, s15, v30
	s_branch .LBB229_191
.LBB229_190:
	v_mov_b32_e32 v30, 0
.LBB229_191:
	v_pk_add_f16 v31, v12, v26
	v_pk_max_f16 v87, v87, v87
	v_pk_add_f16 v88, v13, v27
	s_delay_alu instid0(VALU_DEP_2) | instskip(NEXT) | instid1(VALU_DEP_1)
	v_pk_min_f16 v31, v87, v31
	v_pk_min_f16 v31, v31, v88
	v_lshlrev_b64 v[87:88], 1, v[36:37]
	s_delay_alu instid0(VALU_DEP_2) | instskip(NEXT) | instid1(VALU_DEP_1)
	v_lshrrev_b32_e32 v89, 16, v31
	v_min3_f16 v89, v30, v31, v89
	s_delay_alu instid0(VALU_DEP_3) | instskip(NEXT) | instid1(VALU_DEP_4)
	v_add_co_u32 v30, vcc_lo, v24, v87
	v_add_co_ci_u32_e32 v31, vcc_lo, v25, v88, vcc_lo
	global_store_b16 v[30:31], v89, off
	s_or_b32 exec_lo, exec_lo, s16
	s_and_b32 s18, s3, s8
	s_delay_alu instid0(SALU_CYCLE_1)
	s_and_saveexec_b32 s16, s18
	s_cbranch_execz .LBB229_176
.LBB229_192:
	v_cmp_ne_u32_e32 vcc_lo, 1, v72
	s_cbranch_vccnz .LBB229_194
; %bb.193:
	v_lshlrev_b64 v[30:31], 1, v[38:39]
	s_delay_alu instid0(VALU_DEP_1) | instskip(NEXT) | instid1(VALU_DEP_2)
	v_add_co_u32 v30, vcc_lo, v28, v30
	v_add_co_ci_u32_e32 v31, vcc_lo, v29, v31, vcc_lo
	flat_load_u16 v30, v[30:31]
	s_waitcnt vmcnt(0) lgkmcnt(0)
	v_mul_f16_e32 v30, s15, v30
	s_branch .LBB229_195
.LBB229_194:
	v_mov_b32_e32 v30, 0
.LBB229_195:
	v_pk_add_f16 v31, v14, v26
	v_pk_max_f16 v86, v86, v86
	v_pk_add_f16 v87, v15, v27
	s_delay_alu instid0(VALU_DEP_2) | instskip(NEXT) | instid1(VALU_DEP_1)
	v_pk_min_f16 v31, v86, v31
	v_pk_min_f16 v31, v31, v87
	v_lshlrev_b64 v[86:87], 1, v[38:39]
	s_delay_alu instid0(VALU_DEP_2) | instskip(NEXT) | instid1(VALU_DEP_1)
	v_lshrrev_b32_e32 v88, 16, v31
	v_min3_f16 v88, v30, v31, v88
	s_delay_alu instid0(VALU_DEP_3) | instskip(NEXT) | instid1(VALU_DEP_4)
	v_add_co_u32 v30, vcc_lo, v24, v86
	v_add_co_ci_u32_e32 v31, vcc_lo, v25, v87, vcc_lo
	global_store_b16 v[30:31], v88, off
	s_or_b32 exec_lo, exec_lo, s16
	s_and_b32 s18, s4, s8
	s_delay_alu instid0(SALU_CYCLE_1)
	s_and_saveexec_b32 s16, s18
	s_cbranch_execz .LBB229_177
.LBB229_196:
	v_cmp_ne_u32_e32 vcc_lo, 1, v72
	s_cbranch_vccnz .LBB229_198
; %bb.197:
	v_lshlrev_b64 v[30:31], 1, v[40:41]
	s_delay_alu instid0(VALU_DEP_1) | instskip(NEXT) | instid1(VALU_DEP_2)
	v_add_co_u32 v30, vcc_lo, v28, v30
	v_add_co_ci_u32_e32 v31, vcc_lo, v29, v31, vcc_lo
	flat_load_u16 v30, v[30:31]
	s_waitcnt vmcnt(0) lgkmcnt(0)
	v_mul_f16_e32 v30, s15, v30
	s_branch .LBB229_199
.LBB229_198:
	v_mov_b32_e32 v30, 0
.LBB229_199:
	v_pk_add_f16 v31, v8, v26
	v_pk_max_f16 v85, v85, v85
	v_pk_add_f16 v86, v9, v27
	s_delay_alu instid0(VALU_DEP_2) | instskip(NEXT) | instid1(VALU_DEP_1)
	v_pk_min_f16 v31, v85, v31
	v_pk_min_f16 v31, v31, v86
	v_lshlrev_b64 v[85:86], 1, v[40:41]
	s_delay_alu instid0(VALU_DEP_2) | instskip(NEXT) | instid1(VALU_DEP_1)
	v_lshrrev_b32_e32 v87, 16, v31
	v_min3_f16 v87, v30, v31, v87
	s_delay_alu instid0(VALU_DEP_3) | instskip(NEXT) | instid1(VALU_DEP_4)
	v_add_co_u32 v30, vcc_lo, v24, v85
	v_add_co_ci_u32_e32 v31, vcc_lo, v25, v86, vcc_lo
	global_store_b16 v[30:31], v87, off
	s_or_b32 exec_lo, exec_lo, s16
	s_and_b32 s18, s5, s8
	s_delay_alu instid0(SALU_CYCLE_1)
	s_and_saveexec_b32 s16, s18
	s_cbranch_execz .LBB229_178
.LBB229_200:
	v_cmp_ne_u32_e32 vcc_lo, 1, v72
	s_cbranch_vccnz .LBB229_202
; %bb.201:
	v_lshlrev_b64 v[30:31], 1, v[42:43]
	s_delay_alu instid0(VALU_DEP_1) | instskip(NEXT) | instid1(VALU_DEP_2)
	v_add_co_u32 v30, vcc_lo, v28, v30
	v_add_co_ci_u32_e32 v31, vcc_lo, v29, v31, vcc_lo
	flat_load_u16 v30, v[30:31]
	s_waitcnt vmcnt(0) lgkmcnt(0)
	v_mul_f16_e32 v30, s15, v30
	s_branch .LBB229_203
.LBB229_202:
	v_mov_b32_e32 v30, 0
.LBB229_203:
	v_pk_add_f16 v31, v10, v26
	v_pk_max_f16 v84, v84, v84
	v_pk_add_f16 v85, v11, v27
	s_delay_alu instid0(VALU_DEP_2) | instskip(NEXT) | instid1(VALU_DEP_1)
	v_pk_min_f16 v31, v84, v31
	v_pk_min_f16 v31, v31, v85
	v_lshlrev_b64 v[84:85], 1, v[42:43]
	s_delay_alu instid0(VALU_DEP_2) | instskip(NEXT) | instid1(VALU_DEP_1)
	v_lshrrev_b32_e32 v86, 16, v31
	v_min3_f16 v86, v30, v31, v86
	s_delay_alu instid0(VALU_DEP_3) | instskip(NEXT) | instid1(VALU_DEP_4)
	v_add_co_u32 v30, vcc_lo, v24, v84
	v_add_co_ci_u32_e32 v31, vcc_lo, v25, v85, vcc_lo
	global_store_b16 v[30:31], v86, off
	s_or_b32 exec_lo, exec_lo, s16
	s_and_b32 s18, s6, s8
	s_delay_alu instid0(SALU_CYCLE_1)
	s_and_saveexec_b32 s16, s18
	s_cbranch_execz .LBB229_179
.LBB229_204:
	v_cmp_ne_u32_e32 vcc_lo, 1, v72
	s_cbranch_vccnz .LBB229_206
; %bb.205:
	v_lshlrev_b64 v[30:31], 1, v[44:45]
	s_delay_alu instid0(VALU_DEP_1) | instskip(NEXT) | instid1(VALU_DEP_2)
	v_add_co_u32 v30, vcc_lo, v28, v30
	v_add_co_ci_u32_e32 v31, vcc_lo, v29, v31, vcc_lo
	flat_load_u16 v30, v[30:31]
	s_waitcnt vmcnt(0) lgkmcnt(0)
	v_mul_f16_e32 v30, s15, v30
	s_branch .LBB229_207
.LBB229_206:
	v_mov_b32_e32 v30, 0
.LBB229_207:
	v_pk_add_f16 v31, v0, v26
	v_pk_max_f16 v83, v83, v83
	v_pk_add_f16 v84, v1, v27
	s_delay_alu instid0(VALU_DEP_2) | instskip(NEXT) | instid1(VALU_DEP_1)
	v_pk_min_f16 v31, v83, v31
	v_pk_min_f16 v31, v31, v84
	v_lshlrev_b64 v[83:84], 1, v[44:45]
	s_delay_alu instid0(VALU_DEP_2) | instskip(NEXT) | instid1(VALU_DEP_1)
	v_lshrrev_b32_e32 v85, 16, v31
	v_min3_f16 v85, v30, v31, v85
	s_delay_alu instid0(VALU_DEP_3) | instskip(NEXT) | instid1(VALU_DEP_4)
	v_add_co_u32 v30, vcc_lo, v24, v83
	v_add_co_ci_u32_e32 v31, vcc_lo, v25, v84, vcc_lo
	global_store_b16 v[30:31], v85, off
	s_or_b32 exec_lo, exec_lo, s16
	s_and_b32 s16, s7, s8
	s_delay_alu instid0(SALU_CYCLE_1)
	s_and_saveexec_b32 s8, s16
	s_cbranch_execz .LBB229_212
.LBB229_208:
	v_cmp_ne_u32_e32 vcc_lo, 1, v72
	s_cbranch_vccnz .LBB229_210
; %bb.209:
	v_lshlrev_b64 v[30:31], 1, v[46:47]
	s_delay_alu instid0(VALU_DEP_1) | instskip(NEXT) | instid1(VALU_DEP_2)
	v_add_co_u32 v28, vcc_lo, v28, v30
	v_add_co_ci_u32_e32 v29, vcc_lo, v29, v31, vcc_lo
	flat_load_u16 v28, v[28:29]
	s_waitcnt vmcnt(0) lgkmcnt(0)
	v_mul_f16_e32 v28, s15, v28
	s_branch .LBB229_211
.LBB229_210:
	v_mov_b32_e32 v28, 0
.LBB229_211:
	v_pk_add_f16 v26, v2, v26
	v_pk_max_f16 v29, v82, v82
	v_pk_add_f16 v27, v3, v27
	s_delay_alu instid0(VALU_DEP_2) | instskip(NEXT) | instid1(VALU_DEP_1)
	v_pk_min_f16 v26, v29, v26
	v_pk_min_f16 v29, v26, v27
	v_lshlrev_b64 v[26:27], 1, v[46:47]
	s_delay_alu instid0(VALU_DEP_2) | instskip(NEXT) | instid1(VALU_DEP_2)
	v_lshrrev_b32_e32 v30, 16, v29
	v_add_co_u32 v24, vcc_lo, v24, v26
	s_delay_alu instid0(VALU_DEP_3) | instskip(NEXT) | instid1(VALU_DEP_3)
	v_add_co_ci_u32_e32 v25, vcc_lo, v25, v27, vcc_lo
	v_min3_f16 v28, v28, v29, v30
	global_store_b16 v[24:25], v28, off
.LBB229_212:
	s_or_b32 exec_lo, exec_lo, s8
	v_add_nc_u32_e32 v28, 0x80, v79
	s_delay_alu instid0(VALU_DEP_1) | instskip(SKIP_2) | instid1(VALU_DEP_3)
	v_mad_i64_i32 v[24:25], null, v28, s14, 0
	v_mad_i64_i32 v[26:27], null, v28, s9, 0
	v_cmp_gt_i32_e64 s8, s17, v28
	v_lshlrev_b64 v[24:25], 1, v[24:25]
	s_delay_alu instid0(VALU_DEP_2) | instskip(NEXT) | instid1(VALU_DEP_3)
	s_and_b32 s18, s0, s8
	v_lshlrev_b64 v[28:29], 1, v[26:27]
	s_delay_alu instid0(VALU_DEP_2) | instskip(NEXT) | instid1(VALU_DEP_3)
	v_add_co_u32 v26, vcc_lo, s10, v24
	v_add_co_ci_u32_e32 v27, vcc_lo, s11, v25, vcc_lo
	s_delay_alu instid0(VALU_DEP_3) | instskip(NEXT) | instid1(VALU_DEP_4)
	v_add_co_u32 v24, vcc_lo, s12, v28
	v_add_co_ci_u32_e32 v25, vcc_lo, s13, v29, vcc_lo
	s_and_saveexec_b32 s16, s18
	s_cbranch_execnz .LBB229_220
; %bb.213:
	s_or_b32 exec_lo, exec_lo, s16
	s_and_b32 s18, s1, s8
	s_delay_alu instid0(SALU_CYCLE_1)
	s_and_saveexec_b32 s16, s18
	s_cbranch_execnz .LBB229_224
.LBB229_214:
	s_or_b32 exec_lo, exec_lo, s16
	s_and_b32 s18, s2, s8
	s_delay_alu instid0(SALU_CYCLE_1)
	s_and_saveexec_b32 s16, s18
	s_cbranch_execnz .LBB229_228
.LBB229_215:
	s_or_b32 exec_lo, exec_lo, s16
	s_and_b32 s18, s3, s8
	s_delay_alu instid0(SALU_CYCLE_1)
	s_and_saveexec_b32 s16, s18
	s_cbranch_execnz .LBB229_232
.LBB229_216:
	s_or_b32 exec_lo, exec_lo, s16
	s_and_b32 s18, s4, s8
	s_delay_alu instid0(SALU_CYCLE_1)
	s_and_saveexec_b32 s16, s18
	s_cbranch_execnz .LBB229_236
.LBB229_217:
	s_or_b32 exec_lo, exec_lo, s16
	s_and_b32 s18, s5, s8
	s_delay_alu instid0(SALU_CYCLE_1)
	s_and_saveexec_b32 s16, s18
	s_cbranch_execnz .LBB229_240
.LBB229_218:
	s_or_b32 exec_lo, exec_lo, s16
	s_and_b32 s18, s6, s8
	s_delay_alu instid0(SALU_CYCLE_1)
	s_and_saveexec_b32 s16, s18
	s_cbranch_execnz .LBB229_244
.LBB229_219:
	s_or_b32 exec_lo, exec_lo, s16
	s_and_b32 s16, s7, s8
	s_delay_alu instid0(SALU_CYCLE_1)
	s_and_saveexec_b32 s8, s16
	s_cbranch_execnz .LBB229_248
	s_branch .LBB229_252
.LBB229_220:
	v_cmp_ne_u32_e32 vcc_lo, 1, v72
	s_cbranch_vccnz .LBB229_222
; %bb.221:
	v_lshlrev_b64 v[28:29], 1, v[32:33]
	s_delay_alu instid0(VALU_DEP_1) | instskip(NEXT) | instid1(VALU_DEP_2)
	v_add_co_u32 v28, vcc_lo, v26, v28
	v_add_co_ci_u32_e32 v29, vcc_lo, v27, v29, vcc_lo
	flat_load_u16 v28, v[28:29]
	s_waitcnt vmcnt(0) lgkmcnt(0)
	v_mul_f16_e32 v28, s15, v28
	s_branch .LBB229_223
.LBB229_222:
	v_mov_b32_e32 v28, 0
.LBB229_223:
	v_pk_add_f16 v29, v16, v20
	v_pk_max_f16 v30, v81, v81
	v_pk_add_f16 v31, v17, v21
	s_delay_alu instid0(VALU_DEP_2) | instskip(NEXT) | instid1(VALU_DEP_1)
	v_pk_min_f16 v29, v30, v29
	v_pk_min_f16 v31, v29, v31
	v_lshlrev_b64 v[29:30], 1, v[32:33]
	s_delay_alu instid0(VALU_DEP_2) | instskip(NEXT) | instid1(VALU_DEP_1)
	v_lshrrev_b32_e32 v81, 16, v31
	v_min3_f16 v31, v28, v31, v81
	s_delay_alu instid0(VALU_DEP_3) | instskip(NEXT) | instid1(VALU_DEP_4)
	v_add_co_u32 v28, vcc_lo, v24, v29
	v_add_co_ci_u32_e32 v29, vcc_lo, v25, v30, vcc_lo
	global_store_b16 v[28:29], v31, off
	s_or_b32 exec_lo, exec_lo, s16
	s_and_b32 s18, s1, s8
	s_delay_alu instid0(SALU_CYCLE_1)
	s_and_saveexec_b32 s16, s18
	s_cbranch_execz .LBB229_214
.LBB229_224:
	v_cmp_ne_u32_e32 vcc_lo, 1, v72
	s_cbranch_vccnz .LBB229_226
; %bb.225:
	v_lshlrev_b64 v[28:29], 1, v[34:35]
	s_delay_alu instid0(VALU_DEP_1) | instskip(NEXT) | instid1(VALU_DEP_2)
	v_add_co_u32 v28, vcc_lo, v26, v28
	v_add_co_ci_u32_e32 v29, vcc_lo, v27, v29, vcc_lo
	flat_load_u16 v28, v[28:29]
	s_waitcnt vmcnt(0) lgkmcnt(0)
	v_mul_f16_e32 v28, s15, v28
	s_branch .LBB229_227
.LBB229_226:
	v_mov_b32_e32 v28, 0
.LBB229_227:
	v_pk_add_f16 v29, v18, v20
	v_pk_max_f16 v30, v80, v80
	v_pk_add_f16 v31, v19, v21
	s_delay_alu instid0(VALU_DEP_2) | instskip(NEXT) | instid1(VALU_DEP_1)
	v_pk_min_f16 v29, v30, v29
	v_pk_min_f16 v31, v29, v31
	v_lshlrev_b64 v[29:30], 1, v[34:35]
	s_delay_alu instid0(VALU_DEP_2) | instskip(NEXT) | instid1(VALU_DEP_1)
	v_lshrrev_b32_e32 v80, 16, v31
	v_min3_f16 v31, v28, v31, v80
	s_delay_alu instid0(VALU_DEP_3) | instskip(NEXT) | instid1(VALU_DEP_4)
	v_add_co_u32 v28, vcc_lo, v24, v29
	v_add_co_ci_u32_e32 v29, vcc_lo, v25, v30, vcc_lo
	global_store_b16 v[28:29], v31, off
	s_or_b32 exec_lo, exec_lo, s16
	s_and_b32 s18, s2, s8
	s_delay_alu instid0(SALU_CYCLE_1)
	s_and_saveexec_b32 s16, s18
	s_cbranch_execz .LBB229_215
.LBB229_228:
	v_cmp_ne_u32_e32 vcc_lo, 1, v72
	s_cbranch_vccnz .LBB229_230
; %bb.229:
	v_lshlrev_b64 v[28:29], 1, v[36:37]
	s_delay_alu instid0(VALU_DEP_1) | instskip(NEXT) | instid1(VALU_DEP_2)
	v_add_co_u32 v28, vcc_lo, v26, v28
	v_add_co_ci_u32_e32 v29, vcc_lo, v27, v29, vcc_lo
	flat_load_u16 v28, v[28:29]
	s_waitcnt vmcnt(0) lgkmcnt(0)
	v_mul_f16_e32 v28, s15, v28
	s_branch .LBB229_231
.LBB229_230:
	v_mov_b32_e32 v28, 0
.LBB229_231:
	v_pk_add_f16 v29, v12, v20
	v_pk_max_f16 v30, v78, v78
	v_pk_add_f16 v31, v13, v21
	s_delay_alu instid0(VALU_DEP_2) | instskip(NEXT) | instid1(VALU_DEP_1)
	v_pk_min_f16 v29, v30, v29
	v_pk_min_f16 v31, v29, v31
	v_lshlrev_b64 v[29:30], 1, v[36:37]
	s_delay_alu instid0(VALU_DEP_2) | instskip(NEXT) | instid1(VALU_DEP_1)
	v_lshrrev_b32_e32 v78, 16, v31
	v_min3_f16 v31, v28, v31, v78
	s_delay_alu instid0(VALU_DEP_3) | instskip(NEXT) | instid1(VALU_DEP_4)
	v_add_co_u32 v28, vcc_lo, v24, v29
	v_add_co_ci_u32_e32 v29, vcc_lo, v25, v30, vcc_lo
	global_store_b16 v[28:29], v31, off
	s_or_b32 exec_lo, exec_lo, s16
	s_and_b32 s18, s3, s8
	s_delay_alu instid0(SALU_CYCLE_1)
	s_and_saveexec_b32 s16, s18
	s_cbranch_execz .LBB229_216
.LBB229_232:
	v_cmp_ne_u32_e32 vcc_lo, 1, v72
	s_cbranch_vccnz .LBB229_234
; %bb.233:
	v_lshlrev_b64 v[28:29], 1, v[38:39]
	s_delay_alu instid0(VALU_DEP_1) | instskip(NEXT) | instid1(VALU_DEP_2)
	v_add_co_u32 v28, vcc_lo, v26, v28
	v_add_co_ci_u32_e32 v29, vcc_lo, v27, v29, vcc_lo
	flat_load_u16 v28, v[28:29]
	s_waitcnt vmcnt(0) lgkmcnt(0)
	v_mul_f16_e32 v28, s15, v28
	s_branch .LBB229_235
.LBB229_234:
	v_mov_b32_e32 v28, 0
.LBB229_235:
	v_pk_add_f16 v29, v14, v20
	v_pk_max_f16 v30, v77, v77
	v_pk_add_f16 v31, v15, v21
	s_delay_alu instid0(VALU_DEP_2) | instskip(NEXT) | instid1(VALU_DEP_1)
	v_pk_min_f16 v29, v30, v29
	v_pk_min_f16 v31, v29, v31
	v_lshlrev_b64 v[29:30], 1, v[38:39]
	s_delay_alu instid0(VALU_DEP_2) | instskip(NEXT) | instid1(VALU_DEP_1)
	v_lshrrev_b32_e32 v77, 16, v31
	v_min3_f16 v31, v28, v31, v77
	s_delay_alu instid0(VALU_DEP_3) | instskip(NEXT) | instid1(VALU_DEP_4)
	v_add_co_u32 v28, vcc_lo, v24, v29
	v_add_co_ci_u32_e32 v29, vcc_lo, v25, v30, vcc_lo
	global_store_b16 v[28:29], v31, off
	s_or_b32 exec_lo, exec_lo, s16
	s_and_b32 s18, s4, s8
	s_delay_alu instid0(SALU_CYCLE_1)
	s_and_saveexec_b32 s16, s18
	s_cbranch_execz .LBB229_217
.LBB229_236:
	v_cmp_ne_u32_e32 vcc_lo, 1, v72
	s_cbranch_vccnz .LBB229_238
; %bb.237:
	v_lshlrev_b64 v[28:29], 1, v[40:41]
	s_delay_alu instid0(VALU_DEP_1) | instskip(NEXT) | instid1(VALU_DEP_2)
	v_add_co_u32 v28, vcc_lo, v26, v28
	v_add_co_ci_u32_e32 v29, vcc_lo, v27, v29, vcc_lo
	flat_load_u16 v28, v[28:29]
	s_waitcnt vmcnt(0) lgkmcnt(0)
	v_mul_f16_e32 v28, s15, v28
	s_branch .LBB229_239
.LBB229_238:
	v_mov_b32_e32 v28, 0
.LBB229_239:
	v_pk_add_f16 v29, v8, v20
	v_pk_max_f16 v30, v76, v76
	v_pk_add_f16 v31, v9, v21
	s_delay_alu instid0(VALU_DEP_2) | instskip(NEXT) | instid1(VALU_DEP_1)
	v_pk_min_f16 v29, v30, v29
	v_pk_min_f16 v31, v29, v31
	v_lshlrev_b64 v[29:30], 1, v[40:41]
	s_delay_alu instid0(VALU_DEP_2) | instskip(NEXT) | instid1(VALU_DEP_1)
	v_lshrrev_b32_e32 v76, 16, v31
	v_min3_f16 v31, v28, v31, v76
	s_delay_alu instid0(VALU_DEP_3) | instskip(NEXT) | instid1(VALU_DEP_4)
	v_add_co_u32 v28, vcc_lo, v24, v29
	v_add_co_ci_u32_e32 v29, vcc_lo, v25, v30, vcc_lo
	global_store_b16 v[28:29], v31, off
	s_or_b32 exec_lo, exec_lo, s16
	s_and_b32 s18, s5, s8
	s_delay_alu instid0(SALU_CYCLE_1)
	s_and_saveexec_b32 s16, s18
	s_cbranch_execz .LBB229_218
.LBB229_240:
	v_cmp_ne_u32_e32 vcc_lo, 1, v72
	s_cbranch_vccnz .LBB229_242
; %bb.241:
	v_lshlrev_b64 v[28:29], 1, v[42:43]
	s_delay_alu instid0(VALU_DEP_1) | instskip(NEXT) | instid1(VALU_DEP_2)
	v_add_co_u32 v28, vcc_lo, v26, v28
	v_add_co_ci_u32_e32 v29, vcc_lo, v27, v29, vcc_lo
	flat_load_u16 v28, v[28:29]
	s_waitcnt vmcnt(0) lgkmcnt(0)
	v_mul_f16_e32 v28, s15, v28
	s_branch .LBB229_243
.LBB229_242:
	v_mov_b32_e32 v28, 0
.LBB229_243:
	v_pk_add_f16 v29, v10, v20
	v_pk_max_f16 v30, v75, v75
	v_pk_add_f16 v31, v11, v21
	s_delay_alu instid0(VALU_DEP_2) | instskip(NEXT) | instid1(VALU_DEP_1)
	v_pk_min_f16 v29, v30, v29
	v_pk_min_f16 v31, v29, v31
	v_lshlrev_b64 v[29:30], 1, v[42:43]
	s_delay_alu instid0(VALU_DEP_2) | instskip(NEXT) | instid1(VALU_DEP_1)
	v_lshrrev_b32_e32 v75, 16, v31
	v_min3_f16 v31, v28, v31, v75
	s_delay_alu instid0(VALU_DEP_3) | instskip(NEXT) | instid1(VALU_DEP_4)
	v_add_co_u32 v28, vcc_lo, v24, v29
	v_add_co_ci_u32_e32 v29, vcc_lo, v25, v30, vcc_lo
	global_store_b16 v[28:29], v31, off
	s_or_b32 exec_lo, exec_lo, s16
	s_and_b32 s18, s6, s8
	s_delay_alu instid0(SALU_CYCLE_1)
	s_and_saveexec_b32 s16, s18
	s_cbranch_execz .LBB229_219
.LBB229_244:
	v_cmp_ne_u32_e32 vcc_lo, 1, v72
	s_cbranch_vccnz .LBB229_246
; %bb.245:
	v_lshlrev_b64 v[28:29], 1, v[44:45]
	s_delay_alu instid0(VALU_DEP_1) | instskip(NEXT) | instid1(VALU_DEP_2)
	v_add_co_u32 v28, vcc_lo, v26, v28
	v_add_co_ci_u32_e32 v29, vcc_lo, v27, v29, vcc_lo
	flat_load_u16 v28, v[28:29]
	s_waitcnt vmcnt(0) lgkmcnt(0)
	v_mul_f16_e32 v28, s15, v28
	s_branch .LBB229_247
.LBB229_246:
	v_mov_b32_e32 v28, 0
.LBB229_247:
	v_pk_add_f16 v29, v0, v20
	v_pk_max_f16 v30, v74, v74
	v_pk_add_f16 v31, v1, v21
	s_delay_alu instid0(VALU_DEP_2) | instskip(NEXT) | instid1(VALU_DEP_1)
	v_pk_min_f16 v29, v30, v29
	v_pk_min_f16 v31, v29, v31
	v_lshlrev_b64 v[29:30], 1, v[44:45]
	s_delay_alu instid0(VALU_DEP_2) | instskip(NEXT) | instid1(VALU_DEP_1)
	v_lshrrev_b32_e32 v74, 16, v31
	v_min3_f16 v31, v28, v31, v74
	s_delay_alu instid0(VALU_DEP_3) | instskip(NEXT) | instid1(VALU_DEP_4)
	v_add_co_u32 v28, vcc_lo, v24, v29
	v_add_co_ci_u32_e32 v29, vcc_lo, v25, v30, vcc_lo
	global_store_b16 v[28:29], v31, off
	s_or_b32 exec_lo, exec_lo, s16
	s_and_b32 s16, s7, s8
	s_delay_alu instid0(SALU_CYCLE_1)
	s_and_saveexec_b32 s8, s16
	s_cbranch_execz .LBB229_252
.LBB229_248:
	v_cmp_ne_u32_e32 vcc_lo, 1, v72
	s_cbranch_vccnz .LBB229_250
; %bb.249:
	v_lshlrev_b64 v[28:29], 1, v[46:47]
	s_delay_alu instid0(VALU_DEP_1) | instskip(NEXT) | instid1(VALU_DEP_2)
	v_add_co_u32 v26, vcc_lo, v26, v28
	v_add_co_ci_u32_e32 v27, vcc_lo, v27, v29, vcc_lo
	flat_load_u16 v26, v[26:27]
	s_waitcnt vmcnt(0) lgkmcnt(0)
	v_mul_f16_e32 v26, s15, v26
	s_branch .LBB229_251
.LBB229_250:
	v_mov_b32_e32 v26, 0
.LBB229_251:
	v_pk_add_f16 v20, v2, v20
	v_pk_max_f16 v27, v73, v73
	v_pk_add_f16 v21, v3, v21
	s_delay_alu instid0(VALU_DEP_2) | instskip(NEXT) | instid1(VALU_DEP_1)
	v_pk_min_f16 v20, v27, v20
	v_pk_min_f16 v27, v20, v21
	v_lshlrev_b64 v[20:21], 1, v[46:47]
	s_delay_alu instid0(VALU_DEP_2) | instskip(NEXT) | instid1(VALU_DEP_2)
	v_lshrrev_b32_e32 v28, 16, v27
	v_add_co_u32 v20, vcc_lo, v24, v20
	s_delay_alu instid0(VALU_DEP_3) | instskip(NEXT) | instid1(VALU_DEP_3)
	v_add_co_ci_u32_e32 v21, vcc_lo, v25, v21, vcc_lo
	v_min3_f16 v26, v26, v27, v28
	global_store_b16 v[20:21], v26, off
.LBB229_252:
	s_or_b32 exec_lo, exec_lo, s8
	v_add_nc_u32_e32 v26, 0xa0, v79
	s_delay_alu instid0(VALU_DEP_1) | instskip(SKIP_2) | instid1(VALU_DEP_3)
	v_mad_i64_i32 v[20:21], null, v26, s14, 0
	v_mad_i64_i32 v[24:25], null, v26, s9, 0
	v_cmp_gt_i32_e64 s8, s17, v26
	v_lshlrev_b64 v[20:21], 1, v[20:21]
	s_delay_alu instid0(VALU_DEP_2) | instskip(NEXT) | instid1(VALU_DEP_3)
	s_and_b32 s18, s0, s8
	v_lshlrev_b64 v[26:27], 1, v[24:25]
	s_delay_alu instid0(VALU_DEP_2) | instskip(NEXT) | instid1(VALU_DEP_3)
	v_add_co_u32 v24, vcc_lo, s10, v20
	v_add_co_ci_u32_e32 v25, vcc_lo, s11, v21, vcc_lo
	s_delay_alu instid0(VALU_DEP_3) | instskip(NEXT) | instid1(VALU_DEP_4)
	v_add_co_u32 v20, vcc_lo, s12, v26
	v_add_co_ci_u32_e32 v21, vcc_lo, s13, v27, vcc_lo
	s_and_saveexec_b32 s16, s18
	s_cbranch_execnz .LBB229_260
; %bb.253:
	s_or_b32 exec_lo, exec_lo, s16
	s_and_b32 s18, s1, s8
	s_delay_alu instid0(SALU_CYCLE_1)
	s_and_saveexec_b32 s16, s18
	s_cbranch_execnz .LBB229_264
.LBB229_254:
	s_or_b32 exec_lo, exec_lo, s16
	s_and_b32 s18, s2, s8
	s_delay_alu instid0(SALU_CYCLE_1)
	s_and_saveexec_b32 s16, s18
	s_cbranch_execnz .LBB229_268
.LBB229_255:
	s_or_b32 exec_lo, exec_lo, s16
	s_and_b32 s18, s3, s8
	s_delay_alu instid0(SALU_CYCLE_1)
	s_and_saveexec_b32 s16, s18
	s_cbranch_execnz .LBB229_272
.LBB229_256:
	s_or_b32 exec_lo, exec_lo, s16
	s_and_b32 s18, s4, s8
	s_delay_alu instid0(SALU_CYCLE_1)
	s_and_saveexec_b32 s16, s18
	s_cbranch_execnz .LBB229_276
.LBB229_257:
	s_or_b32 exec_lo, exec_lo, s16
	s_and_b32 s18, s5, s8
	s_delay_alu instid0(SALU_CYCLE_1)
	s_and_saveexec_b32 s16, s18
	s_cbranch_execnz .LBB229_280
.LBB229_258:
	s_or_b32 exec_lo, exec_lo, s16
	s_and_b32 s18, s6, s8
	s_delay_alu instid0(SALU_CYCLE_1)
	s_and_saveexec_b32 s16, s18
	s_cbranch_execnz .LBB229_284
.LBB229_259:
	s_or_b32 exec_lo, exec_lo, s16
	s_and_b32 s16, s7, s8
	s_delay_alu instid0(SALU_CYCLE_1)
	s_and_saveexec_b32 s8, s16
	s_cbranch_execnz .LBB229_288
	s_branch .LBB229_292
.LBB229_260:
	v_cmp_ne_u32_e32 vcc_lo, 1, v72
	s_cbranch_vccnz .LBB229_262
; %bb.261:
	v_lshlrev_b64 v[26:27], 1, v[32:33]
	s_delay_alu instid0(VALU_DEP_1) | instskip(NEXT) | instid1(VALU_DEP_2)
	v_add_co_u32 v26, vcc_lo, v24, v26
	v_add_co_ci_u32_e32 v27, vcc_lo, v25, v27, vcc_lo
	flat_load_u16 v26, v[26:27]
	s_waitcnt vmcnt(0) lgkmcnt(0)
	v_mul_f16_e32 v26, s15, v26
	s_branch .LBB229_263
.LBB229_262:
	v_mov_b32_e32 v26, 0
.LBB229_263:
	v_pk_add_f16 v27, v16, v22
	v_pk_max_f16 v28, v71, v71
	v_pk_add_f16 v29, v17, v23
	s_delay_alu instid0(VALU_DEP_2) | instskip(NEXT) | instid1(VALU_DEP_1)
	v_pk_min_f16 v27, v28, v27
	v_pk_min_f16 v29, v27, v29
	v_lshlrev_b64 v[27:28], 1, v[32:33]
	s_delay_alu instid0(VALU_DEP_2) | instskip(NEXT) | instid1(VALU_DEP_1)
	v_lshrrev_b32_e32 v30, 16, v29
	v_min3_f16 v29, v26, v29, v30
	s_delay_alu instid0(VALU_DEP_3) | instskip(NEXT) | instid1(VALU_DEP_4)
	v_add_co_u32 v26, vcc_lo, v20, v27
	v_add_co_ci_u32_e32 v27, vcc_lo, v21, v28, vcc_lo
	global_store_b16 v[26:27], v29, off
	s_or_b32 exec_lo, exec_lo, s16
	s_and_b32 s18, s1, s8
	s_delay_alu instid0(SALU_CYCLE_1)
	s_and_saveexec_b32 s16, s18
	s_cbranch_execz .LBB229_254
.LBB229_264:
	v_cmp_ne_u32_e32 vcc_lo, 1, v72
	s_cbranch_vccnz .LBB229_266
; %bb.265:
	v_lshlrev_b64 v[26:27], 1, v[34:35]
	s_delay_alu instid0(VALU_DEP_1) | instskip(NEXT) | instid1(VALU_DEP_2)
	v_add_co_u32 v26, vcc_lo, v24, v26
	v_add_co_ci_u32_e32 v27, vcc_lo, v25, v27, vcc_lo
	flat_load_u16 v26, v[26:27]
	s_waitcnt vmcnt(0) lgkmcnt(0)
	v_mul_f16_e32 v26, s15, v26
	s_branch .LBB229_267
.LBB229_266:
	v_mov_b32_e32 v26, 0
.LBB229_267:
	v_pk_add_f16 v27, v18, v22
	v_pk_max_f16 v28, v70, v70
	v_pk_add_f16 v29, v19, v23
	s_delay_alu instid0(VALU_DEP_2) | instskip(NEXT) | instid1(VALU_DEP_1)
	v_pk_min_f16 v27, v28, v27
	v_pk_min_f16 v29, v27, v29
	v_lshlrev_b64 v[27:28], 1, v[34:35]
	s_delay_alu instid0(VALU_DEP_2) | instskip(NEXT) | instid1(VALU_DEP_1)
	v_lshrrev_b32_e32 v30, 16, v29
	v_min3_f16 v29, v26, v29, v30
	s_delay_alu instid0(VALU_DEP_3) | instskip(NEXT) | instid1(VALU_DEP_4)
	v_add_co_u32 v26, vcc_lo, v20, v27
	v_add_co_ci_u32_e32 v27, vcc_lo, v21, v28, vcc_lo
	global_store_b16 v[26:27], v29, off
	s_or_b32 exec_lo, exec_lo, s16
	s_and_b32 s18, s2, s8
	s_delay_alu instid0(SALU_CYCLE_1)
	s_and_saveexec_b32 s16, s18
	s_cbranch_execz .LBB229_255
.LBB229_268:
	v_cmp_ne_u32_e32 vcc_lo, 1, v72
	s_cbranch_vccnz .LBB229_270
; %bb.269:
	v_lshlrev_b64 v[26:27], 1, v[36:37]
	s_delay_alu instid0(VALU_DEP_1) | instskip(NEXT) | instid1(VALU_DEP_2)
	v_add_co_u32 v26, vcc_lo, v24, v26
	v_add_co_ci_u32_e32 v27, vcc_lo, v25, v27, vcc_lo
	flat_load_u16 v26, v[26:27]
	s_waitcnt vmcnt(0) lgkmcnt(0)
	v_mul_f16_e32 v26, s15, v26
	s_branch .LBB229_271
.LBB229_270:
	v_mov_b32_e32 v26, 0
.LBB229_271:
	v_pk_add_f16 v27, v12, v22
	v_pk_max_f16 v28, v69, v69
	v_pk_add_f16 v29, v13, v23
	s_delay_alu instid0(VALU_DEP_2) | instskip(NEXT) | instid1(VALU_DEP_1)
	v_pk_min_f16 v27, v28, v27
	v_pk_min_f16 v29, v27, v29
	v_lshlrev_b64 v[27:28], 1, v[36:37]
	s_delay_alu instid0(VALU_DEP_2) | instskip(NEXT) | instid1(VALU_DEP_1)
	v_lshrrev_b32_e32 v30, 16, v29
	v_min3_f16 v29, v26, v29, v30
	s_delay_alu instid0(VALU_DEP_3) | instskip(NEXT) | instid1(VALU_DEP_4)
	v_add_co_u32 v26, vcc_lo, v20, v27
	v_add_co_ci_u32_e32 v27, vcc_lo, v21, v28, vcc_lo
	global_store_b16 v[26:27], v29, off
	s_or_b32 exec_lo, exec_lo, s16
	s_and_b32 s18, s3, s8
	s_delay_alu instid0(SALU_CYCLE_1)
	s_and_saveexec_b32 s16, s18
	s_cbranch_execz .LBB229_256
.LBB229_272:
	v_cmp_ne_u32_e32 vcc_lo, 1, v72
	s_cbranch_vccnz .LBB229_274
; %bb.273:
	v_lshlrev_b64 v[26:27], 1, v[38:39]
	s_delay_alu instid0(VALU_DEP_1) | instskip(NEXT) | instid1(VALU_DEP_2)
	v_add_co_u32 v26, vcc_lo, v24, v26
	v_add_co_ci_u32_e32 v27, vcc_lo, v25, v27, vcc_lo
	flat_load_u16 v26, v[26:27]
	s_waitcnt vmcnt(0) lgkmcnt(0)
	v_mul_f16_e32 v26, s15, v26
	s_branch .LBB229_275
.LBB229_274:
	v_mov_b32_e32 v26, 0
.LBB229_275:
	v_pk_add_f16 v27, v14, v22
	v_pk_max_f16 v28, v68, v68
	v_pk_add_f16 v29, v15, v23
	s_delay_alu instid0(VALU_DEP_2) | instskip(NEXT) | instid1(VALU_DEP_1)
	v_pk_min_f16 v27, v28, v27
	v_pk_min_f16 v29, v27, v29
	v_lshlrev_b64 v[27:28], 1, v[38:39]
	s_delay_alu instid0(VALU_DEP_2) | instskip(NEXT) | instid1(VALU_DEP_1)
	v_lshrrev_b32_e32 v30, 16, v29
	v_min3_f16 v29, v26, v29, v30
	s_delay_alu instid0(VALU_DEP_3) | instskip(NEXT) | instid1(VALU_DEP_4)
	v_add_co_u32 v26, vcc_lo, v20, v27
	v_add_co_ci_u32_e32 v27, vcc_lo, v21, v28, vcc_lo
	global_store_b16 v[26:27], v29, off
	s_or_b32 exec_lo, exec_lo, s16
	s_and_b32 s18, s4, s8
	s_delay_alu instid0(SALU_CYCLE_1)
	s_and_saveexec_b32 s16, s18
	s_cbranch_execz .LBB229_257
.LBB229_276:
	v_cmp_ne_u32_e32 vcc_lo, 1, v72
	s_cbranch_vccnz .LBB229_278
; %bb.277:
	v_lshlrev_b64 v[26:27], 1, v[40:41]
	s_delay_alu instid0(VALU_DEP_1) | instskip(NEXT) | instid1(VALU_DEP_2)
	v_add_co_u32 v26, vcc_lo, v24, v26
	v_add_co_ci_u32_e32 v27, vcc_lo, v25, v27, vcc_lo
	flat_load_u16 v26, v[26:27]
	s_waitcnt vmcnt(0) lgkmcnt(0)
	v_mul_f16_e32 v26, s15, v26
	s_branch .LBB229_279
.LBB229_278:
	v_mov_b32_e32 v26, 0
.LBB229_279:
	v_pk_add_f16 v27, v8, v22
	v_pk_max_f16 v28, v67, v67
	v_pk_add_f16 v29, v9, v23
	s_delay_alu instid0(VALU_DEP_2) | instskip(NEXT) | instid1(VALU_DEP_1)
	v_pk_min_f16 v27, v28, v27
	v_pk_min_f16 v29, v27, v29
	v_lshlrev_b64 v[27:28], 1, v[40:41]
	s_delay_alu instid0(VALU_DEP_2) | instskip(NEXT) | instid1(VALU_DEP_1)
	v_lshrrev_b32_e32 v30, 16, v29
	v_min3_f16 v29, v26, v29, v30
	s_delay_alu instid0(VALU_DEP_3) | instskip(NEXT) | instid1(VALU_DEP_4)
	v_add_co_u32 v26, vcc_lo, v20, v27
	v_add_co_ci_u32_e32 v27, vcc_lo, v21, v28, vcc_lo
	global_store_b16 v[26:27], v29, off
	s_or_b32 exec_lo, exec_lo, s16
	s_and_b32 s18, s5, s8
	s_delay_alu instid0(SALU_CYCLE_1)
	s_and_saveexec_b32 s16, s18
	s_cbranch_execz .LBB229_258
.LBB229_280:
	v_cmp_ne_u32_e32 vcc_lo, 1, v72
	s_cbranch_vccnz .LBB229_282
; %bb.281:
	v_lshlrev_b64 v[26:27], 1, v[42:43]
	s_delay_alu instid0(VALU_DEP_1) | instskip(NEXT) | instid1(VALU_DEP_2)
	v_add_co_u32 v26, vcc_lo, v24, v26
	v_add_co_ci_u32_e32 v27, vcc_lo, v25, v27, vcc_lo
	flat_load_u16 v26, v[26:27]
	s_waitcnt vmcnt(0) lgkmcnt(0)
	v_mul_f16_e32 v26, s15, v26
	s_branch .LBB229_283
.LBB229_282:
	v_mov_b32_e32 v26, 0
.LBB229_283:
	v_pk_add_f16 v27, v10, v22
	v_pk_max_f16 v28, v66, v66
	v_pk_add_f16 v29, v11, v23
	s_delay_alu instid0(VALU_DEP_2) | instskip(NEXT) | instid1(VALU_DEP_1)
	v_pk_min_f16 v27, v28, v27
	v_pk_min_f16 v29, v27, v29
	v_lshlrev_b64 v[27:28], 1, v[42:43]
	s_delay_alu instid0(VALU_DEP_2) | instskip(NEXT) | instid1(VALU_DEP_1)
	v_lshrrev_b32_e32 v30, 16, v29
	v_min3_f16 v29, v26, v29, v30
	s_delay_alu instid0(VALU_DEP_3) | instskip(NEXT) | instid1(VALU_DEP_4)
	v_add_co_u32 v26, vcc_lo, v20, v27
	v_add_co_ci_u32_e32 v27, vcc_lo, v21, v28, vcc_lo
	global_store_b16 v[26:27], v29, off
	s_or_b32 exec_lo, exec_lo, s16
	s_and_b32 s18, s6, s8
	s_delay_alu instid0(SALU_CYCLE_1)
	s_and_saveexec_b32 s16, s18
	s_cbranch_execz .LBB229_259
.LBB229_284:
	v_cmp_ne_u32_e32 vcc_lo, 1, v72
	s_cbranch_vccnz .LBB229_286
; %bb.285:
	v_lshlrev_b64 v[26:27], 1, v[44:45]
	s_delay_alu instid0(VALU_DEP_1) | instskip(NEXT) | instid1(VALU_DEP_2)
	v_add_co_u32 v26, vcc_lo, v24, v26
	v_add_co_ci_u32_e32 v27, vcc_lo, v25, v27, vcc_lo
	flat_load_u16 v26, v[26:27]
	s_waitcnt vmcnt(0) lgkmcnt(0)
	v_mul_f16_e32 v26, s15, v26
	s_branch .LBB229_287
.LBB229_286:
	v_mov_b32_e32 v26, 0
.LBB229_287:
	v_pk_add_f16 v27, v0, v22
	v_pk_max_f16 v28, v65, v65
	v_pk_add_f16 v29, v1, v23
	s_delay_alu instid0(VALU_DEP_2) | instskip(NEXT) | instid1(VALU_DEP_1)
	v_pk_min_f16 v27, v28, v27
	v_pk_min_f16 v29, v27, v29
	v_lshlrev_b64 v[27:28], 1, v[44:45]
	s_delay_alu instid0(VALU_DEP_2) | instskip(NEXT) | instid1(VALU_DEP_1)
	v_lshrrev_b32_e32 v30, 16, v29
	v_min3_f16 v29, v26, v29, v30
	s_delay_alu instid0(VALU_DEP_3) | instskip(NEXT) | instid1(VALU_DEP_4)
	v_add_co_u32 v26, vcc_lo, v20, v27
	v_add_co_ci_u32_e32 v27, vcc_lo, v21, v28, vcc_lo
	global_store_b16 v[26:27], v29, off
	s_or_b32 exec_lo, exec_lo, s16
	s_and_b32 s16, s7, s8
	s_delay_alu instid0(SALU_CYCLE_1)
	s_and_saveexec_b32 s8, s16
	s_cbranch_execz .LBB229_292
.LBB229_288:
	v_cmp_ne_u32_e32 vcc_lo, 1, v72
	s_cbranch_vccnz .LBB229_290
; %bb.289:
	v_lshlrev_b64 v[26:27], 1, v[46:47]
	s_delay_alu instid0(VALU_DEP_1) | instskip(NEXT) | instid1(VALU_DEP_2)
	v_add_co_u32 v24, vcc_lo, v24, v26
	v_add_co_ci_u32_e32 v25, vcc_lo, v25, v27, vcc_lo
	flat_load_u16 v24, v[24:25]
	s_waitcnt vmcnt(0) lgkmcnt(0)
	v_mul_f16_e32 v24, s15, v24
	s_branch .LBB229_291
.LBB229_290:
	v_mov_b32_e32 v24, 0
.LBB229_291:
	v_pk_add_f16 v22, v2, v22
	v_pk_max_f16 v25, v64, v64
	v_pk_add_f16 v23, v3, v23
	s_delay_alu instid0(VALU_DEP_2) | instskip(NEXT) | instid1(VALU_DEP_1)
	v_pk_min_f16 v22, v25, v22
	v_pk_min_f16 v25, v22, v23
	v_lshlrev_b64 v[22:23], 1, v[46:47]
	s_delay_alu instid0(VALU_DEP_2) | instskip(NEXT) | instid1(VALU_DEP_2)
	v_lshrrev_b32_e32 v26, 16, v25
	v_add_co_u32 v20, vcc_lo, v20, v22
	s_delay_alu instid0(VALU_DEP_3) | instskip(NEXT) | instid1(VALU_DEP_3)
	v_add_co_ci_u32_e32 v21, vcc_lo, v21, v23, vcc_lo
	v_min3_f16 v24, v24, v25, v26
	global_store_b16 v[20:21], v24, off
.LBB229_292:
	s_or_b32 exec_lo, exec_lo, s8
	v_add_nc_u32_e32 v24, 0xc0, v79
	s_delay_alu instid0(VALU_DEP_1) | instskip(SKIP_2) | instid1(VALU_DEP_3)
	v_mad_i64_i32 v[20:21], null, v24, s14, 0
	v_mad_i64_i32 v[22:23], null, v24, s9, 0
	v_cmp_gt_i32_e64 s8, s17, v24
	v_lshlrev_b64 v[20:21], 1, v[20:21]
	s_delay_alu instid0(VALU_DEP_2) | instskip(NEXT) | instid1(VALU_DEP_3)
	s_and_b32 s18, s0, s8
	v_lshlrev_b64 v[24:25], 1, v[22:23]
	s_delay_alu instid0(VALU_DEP_2) | instskip(NEXT) | instid1(VALU_DEP_3)
	v_add_co_u32 v22, vcc_lo, s10, v20
	v_add_co_ci_u32_e32 v23, vcc_lo, s11, v21, vcc_lo
	s_delay_alu instid0(VALU_DEP_3) | instskip(NEXT) | instid1(VALU_DEP_4)
	v_add_co_u32 v20, vcc_lo, s12, v24
	v_add_co_ci_u32_e32 v21, vcc_lo, s13, v25, vcc_lo
	s_and_saveexec_b32 s16, s18
	s_cbranch_execnz .LBB229_300
; %bb.293:
	s_or_b32 exec_lo, exec_lo, s16
	s_and_b32 s18, s1, s8
	s_delay_alu instid0(SALU_CYCLE_1)
	s_and_saveexec_b32 s16, s18
	s_cbranch_execnz .LBB229_304
.LBB229_294:
	s_or_b32 exec_lo, exec_lo, s16
	s_and_b32 s18, s2, s8
	s_delay_alu instid0(SALU_CYCLE_1)
	s_and_saveexec_b32 s16, s18
	s_cbranch_execnz .LBB229_308
.LBB229_295:
	s_or_b32 exec_lo, exec_lo, s16
	s_and_b32 s18, s3, s8
	s_delay_alu instid0(SALU_CYCLE_1)
	s_and_saveexec_b32 s16, s18
	s_cbranch_execnz .LBB229_312
.LBB229_296:
	s_or_b32 exec_lo, exec_lo, s16
	s_and_b32 s18, s4, s8
	s_delay_alu instid0(SALU_CYCLE_1)
	s_and_saveexec_b32 s16, s18
	s_cbranch_execnz .LBB229_316
.LBB229_297:
	s_or_b32 exec_lo, exec_lo, s16
	s_and_b32 s18, s5, s8
	s_delay_alu instid0(SALU_CYCLE_1)
	s_and_saveexec_b32 s16, s18
	s_cbranch_execnz .LBB229_320
.LBB229_298:
	s_or_b32 exec_lo, exec_lo, s16
	s_and_b32 s18, s6, s8
	s_delay_alu instid0(SALU_CYCLE_1)
	s_and_saveexec_b32 s16, s18
	s_cbranch_execnz .LBB229_324
.LBB229_299:
	s_or_b32 exec_lo, exec_lo, s16
	s_and_b32 s16, s7, s8
	s_delay_alu instid0(SALU_CYCLE_1)
	s_and_saveexec_b32 s8, s16
	s_cbranch_execnz .LBB229_328
	s_branch .LBB229_332
.LBB229_300:
	v_cmp_ne_u32_e32 vcc_lo, 1, v72
	s_cbranch_vccnz .LBB229_302
; %bb.301:
	v_lshlrev_b64 v[24:25], 1, v[32:33]
	s_delay_alu instid0(VALU_DEP_1) | instskip(NEXT) | instid1(VALU_DEP_2)
	v_add_co_u32 v24, vcc_lo, v22, v24
	v_add_co_ci_u32_e32 v25, vcc_lo, v23, v25, vcc_lo
	flat_load_u16 v24, v[24:25]
	s_waitcnt vmcnt(0) lgkmcnt(0)
	v_mul_f16_e32 v24, s15, v24
	s_branch .LBB229_303
.LBB229_302:
	v_mov_b32_e32 v24, 0
.LBB229_303:
	v_pk_add_f16 v25, v16, v4
	v_pk_max_f16 v26, v63, v63
	v_pk_add_f16 v27, v17, v5
	s_delay_alu instid0(VALU_DEP_2) | instskip(NEXT) | instid1(VALU_DEP_1)
	v_pk_min_f16 v25, v26, v25
	v_pk_min_f16 v27, v25, v27
	v_lshlrev_b64 v[25:26], 1, v[32:33]
	s_delay_alu instid0(VALU_DEP_2) | instskip(NEXT) | instid1(VALU_DEP_1)
	v_lshrrev_b32_e32 v28, 16, v27
	v_min3_f16 v27, v24, v27, v28
	s_delay_alu instid0(VALU_DEP_3) | instskip(NEXT) | instid1(VALU_DEP_4)
	v_add_co_u32 v24, vcc_lo, v20, v25
	v_add_co_ci_u32_e32 v25, vcc_lo, v21, v26, vcc_lo
	global_store_b16 v[24:25], v27, off
	s_or_b32 exec_lo, exec_lo, s16
	s_and_b32 s18, s1, s8
	s_delay_alu instid0(SALU_CYCLE_1)
	s_and_saveexec_b32 s16, s18
	s_cbranch_execz .LBB229_294
.LBB229_304:
	v_cmp_ne_u32_e32 vcc_lo, 1, v72
	s_cbranch_vccnz .LBB229_306
; %bb.305:
	v_lshlrev_b64 v[24:25], 1, v[34:35]
	s_delay_alu instid0(VALU_DEP_1) | instskip(NEXT) | instid1(VALU_DEP_2)
	v_add_co_u32 v24, vcc_lo, v22, v24
	v_add_co_ci_u32_e32 v25, vcc_lo, v23, v25, vcc_lo
	flat_load_u16 v24, v[24:25]
	s_waitcnt vmcnt(0) lgkmcnt(0)
	v_mul_f16_e32 v24, s15, v24
	s_branch .LBB229_307
.LBB229_306:
	v_mov_b32_e32 v24, 0
.LBB229_307:
	v_pk_add_f16 v25, v18, v4
	v_pk_max_f16 v26, v62, v62
	v_pk_add_f16 v27, v19, v5
	s_delay_alu instid0(VALU_DEP_2) | instskip(NEXT) | instid1(VALU_DEP_1)
	v_pk_min_f16 v25, v26, v25
	v_pk_min_f16 v27, v25, v27
	v_lshlrev_b64 v[25:26], 1, v[34:35]
	s_delay_alu instid0(VALU_DEP_2) | instskip(NEXT) | instid1(VALU_DEP_1)
	v_lshrrev_b32_e32 v28, 16, v27
	v_min3_f16 v27, v24, v27, v28
	s_delay_alu instid0(VALU_DEP_3) | instskip(NEXT) | instid1(VALU_DEP_4)
	v_add_co_u32 v24, vcc_lo, v20, v25
	v_add_co_ci_u32_e32 v25, vcc_lo, v21, v26, vcc_lo
	global_store_b16 v[24:25], v27, off
	s_or_b32 exec_lo, exec_lo, s16
	s_and_b32 s18, s2, s8
	s_delay_alu instid0(SALU_CYCLE_1)
	s_and_saveexec_b32 s16, s18
	s_cbranch_execz .LBB229_295
.LBB229_308:
	v_cmp_ne_u32_e32 vcc_lo, 1, v72
	s_cbranch_vccnz .LBB229_310
; %bb.309:
	v_lshlrev_b64 v[24:25], 1, v[36:37]
	s_delay_alu instid0(VALU_DEP_1) | instskip(NEXT) | instid1(VALU_DEP_2)
	v_add_co_u32 v24, vcc_lo, v22, v24
	v_add_co_ci_u32_e32 v25, vcc_lo, v23, v25, vcc_lo
	flat_load_u16 v24, v[24:25]
	s_waitcnt vmcnt(0) lgkmcnt(0)
	v_mul_f16_e32 v24, s15, v24
	s_branch .LBB229_311
.LBB229_310:
	v_mov_b32_e32 v24, 0
.LBB229_311:
	v_pk_add_f16 v25, v12, v4
	v_pk_max_f16 v26, v61, v61
	v_pk_add_f16 v27, v13, v5
	s_delay_alu instid0(VALU_DEP_2) | instskip(NEXT) | instid1(VALU_DEP_1)
	v_pk_min_f16 v25, v26, v25
	v_pk_min_f16 v27, v25, v27
	v_lshlrev_b64 v[25:26], 1, v[36:37]
	s_delay_alu instid0(VALU_DEP_2) | instskip(NEXT) | instid1(VALU_DEP_1)
	v_lshrrev_b32_e32 v28, 16, v27
	v_min3_f16 v27, v24, v27, v28
	s_delay_alu instid0(VALU_DEP_3) | instskip(NEXT) | instid1(VALU_DEP_4)
	v_add_co_u32 v24, vcc_lo, v20, v25
	v_add_co_ci_u32_e32 v25, vcc_lo, v21, v26, vcc_lo
	global_store_b16 v[24:25], v27, off
	s_or_b32 exec_lo, exec_lo, s16
	s_and_b32 s18, s3, s8
	s_delay_alu instid0(SALU_CYCLE_1)
	s_and_saveexec_b32 s16, s18
	s_cbranch_execz .LBB229_296
.LBB229_312:
	v_cmp_ne_u32_e32 vcc_lo, 1, v72
	s_cbranch_vccnz .LBB229_314
; %bb.313:
	v_lshlrev_b64 v[24:25], 1, v[38:39]
	s_delay_alu instid0(VALU_DEP_1) | instskip(NEXT) | instid1(VALU_DEP_2)
	v_add_co_u32 v24, vcc_lo, v22, v24
	v_add_co_ci_u32_e32 v25, vcc_lo, v23, v25, vcc_lo
	flat_load_u16 v24, v[24:25]
	s_waitcnt vmcnt(0) lgkmcnt(0)
	v_mul_f16_e32 v24, s15, v24
	s_branch .LBB229_315
.LBB229_314:
	v_mov_b32_e32 v24, 0
.LBB229_315:
	v_pk_add_f16 v25, v14, v4
	v_pk_max_f16 v26, v60, v60
	v_pk_add_f16 v27, v15, v5
	s_delay_alu instid0(VALU_DEP_2) | instskip(NEXT) | instid1(VALU_DEP_1)
	v_pk_min_f16 v25, v26, v25
	v_pk_min_f16 v27, v25, v27
	v_lshlrev_b64 v[25:26], 1, v[38:39]
	s_delay_alu instid0(VALU_DEP_2) | instskip(NEXT) | instid1(VALU_DEP_1)
	v_lshrrev_b32_e32 v28, 16, v27
	v_min3_f16 v27, v24, v27, v28
	s_delay_alu instid0(VALU_DEP_3) | instskip(NEXT) | instid1(VALU_DEP_4)
	v_add_co_u32 v24, vcc_lo, v20, v25
	v_add_co_ci_u32_e32 v25, vcc_lo, v21, v26, vcc_lo
	global_store_b16 v[24:25], v27, off
	s_or_b32 exec_lo, exec_lo, s16
	s_and_b32 s18, s4, s8
	s_delay_alu instid0(SALU_CYCLE_1)
	s_and_saveexec_b32 s16, s18
	s_cbranch_execz .LBB229_297
.LBB229_316:
	v_cmp_ne_u32_e32 vcc_lo, 1, v72
	s_cbranch_vccnz .LBB229_318
; %bb.317:
	v_lshlrev_b64 v[24:25], 1, v[40:41]
	s_delay_alu instid0(VALU_DEP_1) | instskip(NEXT) | instid1(VALU_DEP_2)
	v_add_co_u32 v24, vcc_lo, v22, v24
	v_add_co_ci_u32_e32 v25, vcc_lo, v23, v25, vcc_lo
	flat_load_u16 v24, v[24:25]
	s_waitcnt vmcnt(0) lgkmcnt(0)
	v_mul_f16_e32 v24, s15, v24
	s_branch .LBB229_319
.LBB229_318:
	v_mov_b32_e32 v24, 0
.LBB229_319:
	v_pk_add_f16 v25, v8, v4
	v_pk_max_f16 v26, v59, v59
	v_pk_add_f16 v27, v9, v5
	s_delay_alu instid0(VALU_DEP_2) | instskip(NEXT) | instid1(VALU_DEP_1)
	v_pk_min_f16 v25, v26, v25
	v_pk_min_f16 v27, v25, v27
	v_lshlrev_b64 v[25:26], 1, v[40:41]
	s_delay_alu instid0(VALU_DEP_2) | instskip(NEXT) | instid1(VALU_DEP_1)
	v_lshrrev_b32_e32 v28, 16, v27
	v_min3_f16 v27, v24, v27, v28
	s_delay_alu instid0(VALU_DEP_3) | instskip(NEXT) | instid1(VALU_DEP_4)
	v_add_co_u32 v24, vcc_lo, v20, v25
	v_add_co_ci_u32_e32 v25, vcc_lo, v21, v26, vcc_lo
	global_store_b16 v[24:25], v27, off
	s_or_b32 exec_lo, exec_lo, s16
	s_and_b32 s18, s5, s8
	s_delay_alu instid0(SALU_CYCLE_1)
	s_and_saveexec_b32 s16, s18
	s_cbranch_execz .LBB229_298
.LBB229_320:
	v_cmp_ne_u32_e32 vcc_lo, 1, v72
	s_cbranch_vccnz .LBB229_322
; %bb.321:
	v_lshlrev_b64 v[24:25], 1, v[42:43]
	s_delay_alu instid0(VALU_DEP_1) | instskip(NEXT) | instid1(VALU_DEP_2)
	v_add_co_u32 v24, vcc_lo, v22, v24
	v_add_co_ci_u32_e32 v25, vcc_lo, v23, v25, vcc_lo
	flat_load_u16 v24, v[24:25]
	s_waitcnt vmcnt(0) lgkmcnt(0)
	v_mul_f16_e32 v24, s15, v24
	s_branch .LBB229_323
.LBB229_322:
	v_mov_b32_e32 v24, 0
.LBB229_323:
	v_pk_add_f16 v25, v10, v4
	v_pk_max_f16 v26, v58, v58
	v_pk_add_f16 v27, v11, v5
	s_delay_alu instid0(VALU_DEP_2) | instskip(NEXT) | instid1(VALU_DEP_1)
	v_pk_min_f16 v25, v26, v25
	v_pk_min_f16 v27, v25, v27
	v_lshlrev_b64 v[25:26], 1, v[42:43]
	s_delay_alu instid0(VALU_DEP_2) | instskip(NEXT) | instid1(VALU_DEP_1)
	v_lshrrev_b32_e32 v28, 16, v27
	v_min3_f16 v27, v24, v27, v28
	s_delay_alu instid0(VALU_DEP_3) | instskip(NEXT) | instid1(VALU_DEP_4)
	v_add_co_u32 v24, vcc_lo, v20, v25
	v_add_co_ci_u32_e32 v25, vcc_lo, v21, v26, vcc_lo
	global_store_b16 v[24:25], v27, off
	s_or_b32 exec_lo, exec_lo, s16
	s_and_b32 s18, s6, s8
	s_delay_alu instid0(SALU_CYCLE_1)
	s_and_saveexec_b32 s16, s18
	s_cbranch_execz .LBB229_299
.LBB229_324:
	v_cmp_ne_u32_e32 vcc_lo, 1, v72
	s_cbranch_vccnz .LBB229_326
; %bb.325:
	v_lshlrev_b64 v[24:25], 1, v[44:45]
	s_delay_alu instid0(VALU_DEP_1) | instskip(NEXT) | instid1(VALU_DEP_2)
	v_add_co_u32 v24, vcc_lo, v22, v24
	v_add_co_ci_u32_e32 v25, vcc_lo, v23, v25, vcc_lo
	flat_load_u16 v24, v[24:25]
	s_waitcnt vmcnt(0) lgkmcnt(0)
	v_mul_f16_e32 v24, s15, v24
	s_branch .LBB229_327
.LBB229_326:
	v_mov_b32_e32 v24, 0
.LBB229_327:
	v_pk_add_f16 v25, v0, v4
	v_pk_max_f16 v26, v57, v57
	v_pk_add_f16 v27, v1, v5
	s_delay_alu instid0(VALU_DEP_2) | instskip(NEXT) | instid1(VALU_DEP_1)
	v_pk_min_f16 v25, v26, v25
	v_pk_min_f16 v27, v25, v27
	v_lshlrev_b64 v[25:26], 1, v[44:45]
	s_delay_alu instid0(VALU_DEP_2) | instskip(NEXT) | instid1(VALU_DEP_1)
	v_lshrrev_b32_e32 v28, 16, v27
	v_min3_f16 v27, v24, v27, v28
	s_delay_alu instid0(VALU_DEP_3) | instskip(NEXT) | instid1(VALU_DEP_4)
	v_add_co_u32 v24, vcc_lo, v20, v25
	v_add_co_ci_u32_e32 v25, vcc_lo, v21, v26, vcc_lo
	global_store_b16 v[24:25], v27, off
	s_or_b32 exec_lo, exec_lo, s16
	s_and_b32 s16, s7, s8
	s_delay_alu instid0(SALU_CYCLE_1)
	s_and_saveexec_b32 s8, s16
	s_cbranch_execz .LBB229_332
.LBB229_328:
	v_cmp_ne_u32_e32 vcc_lo, 1, v72
	s_cbranch_vccnz .LBB229_330
; %bb.329:
	v_lshlrev_b64 v[24:25], 1, v[46:47]
	s_delay_alu instid0(VALU_DEP_1) | instskip(NEXT) | instid1(VALU_DEP_2)
	v_add_co_u32 v22, vcc_lo, v22, v24
	v_add_co_ci_u32_e32 v23, vcc_lo, v23, v25, vcc_lo
	flat_load_u16 v22, v[22:23]
	s_waitcnt vmcnt(0) lgkmcnt(0)
	v_mul_f16_e32 v22, s15, v22
	s_branch .LBB229_331
.LBB229_330:
	v_mov_b32_e32 v22, 0
.LBB229_331:
	v_pk_add_f16 v4, v2, v4
	v_pk_max_f16 v23, v56, v56
	v_pk_add_f16 v5, v3, v5
	s_delay_alu instid0(VALU_DEP_2) | instskip(NEXT) | instid1(VALU_DEP_1)
	v_pk_min_f16 v4, v23, v4
	v_pk_min_f16 v23, v4, v5
	v_lshlrev_b64 v[4:5], 1, v[46:47]
	s_delay_alu instid0(VALU_DEP_2) | instskip(NEXT) | instid1(VALU_DEP_2)
	v_lshrrev_b32_e32 v24, 16, v23
	v_add_co_u32 v4, vcc_lo, v20, v4
	s_delay_alu instid0(VALU_DEP_3) | instskip(NEXT) | instid1(VALU_DEP_3)
	v_add_co_ci_u32_e32 v5, vcc_lo, v21, v5, vcc_lo
	v_min3_f16 v22, v22, v23, v24
	global_store_b16 v[4:5], v22, off
.LBB229_332:
	s_or_b32 exec_lo, exec_lo, s8
	v_add_nc_u32_e32 v22, 0xe0, v79
	s_delay_alu instid0(VALU_DEP_1) | instskip(SKIP_2) | instid1(VALU_DEP_3)
	v_mad_i64_i32 v[4:5], null, v22, s14, 0
	v_mad_i64_i32 v[20:21], null, v22, s9, 0
	v_cmp_gt_i32_e64 s8, s17, v22
	v_lshlrev_b64 v[4:5], 1, v[4:5]
	s_delay_alu instid0(VALU_DEP_2) | instskip(NEXT) | instid1(VALU_DEP_3)
	s_and_b32 s9, s0, s8
	v_lshlrev_b64 v[20:21], 1, v[20:21]
	s_delay_alu instid0(VALU_DEP_2) | instskip(NEXT) | instid1(VALU_DEP_3)
	v_add_co_u32 v22, vcc_lo, s10, v4
	v_add_co_ci_u32_e32 v23, vcc_lo, s11, v5, vcc_lo
	s_delay_alu instid0(VALU_DEP_3) | instskip(NEXT) | instid1(VALU_DEP_4)
	v_add_co_u32 v20, vcc_lo, s12, v20
	v_add_co_ci_u32_e32 v21, vcc_lo, s13, v21, vcc_lo
	s_and_saveexec_b32 s0, s9
	s_cbranch_execnz .LBB229_341
; %bb.333:
	s_or_b32 exec_lo, exec_lo, s0
	s_and_b32 s1, s1, s8
	s_delay_alu instid0(SALU_CYCLE_1)
	s_and_saveexec_b32 s0, s1
	s_cbranch_execnz .LBB229_345
.LBB229_334:
	s_or_b32 exec_lo, exec_lo, s0
	s_and_b32 s1, s2, s8
	s_delay_alu instid0(SALU_CYCLE_1)
	s_and_saveexec_b32 s0, s1
	s_cbranch_execnz .LBB229_349
.LBB229_335:
	s_or_b32 exec_lo, exec_lo, s0
	s_and_b32 s1, s3, s8
	s_delay_alu instid0(SALU_CYCLE_1)
	s_and_saveexec_b32 s0, s1
	s_cbranch_execnz .LBB229_353
.LBB229_336:
	s_or_b32 exec_lo, exec_lo, s0
	s_and_b32 s1, s4, s8
	s_delay_alu instid0(SALU_CYCLE_1)
	s_and_saveexec_b32 s0, s1
	s_cbranch_execnz .LBB229_357
.LBB229_337:
	s_or_b32 exec_lo, exec_lo, s0
	s_and_b32 s1, s5, s8
	s_delay_alu instid0(SALU_CYCLE_1)
	s_and_saveexec_b32 s0, s1
	s_cbranch_execnz .LBB229_361
.LBB229_338:
	s_or_b32 exec_lo, exec_lo, s0
	s_and_b32 s1, s6, s8
	s_delay_alu instid0(SALU_CYCLE_1)
	s_and_saveexec_b32 s0, s1
	s_cbranch_execnz .LBB229_365
.LBB229_339:
	s_or_b32 exec_lo, exec_lo, s0
	s_and_b32 s0, s7, s8
	s_delay_alu instid0(SALU_CYCLE_1)
	s_and_saveexec_b32 s1, s0
	s_cbranch_execnz .LBB229_369
.LBB229_340:
	s_nop 0
	s_sendmsg sendmsg(MSG_DEALLOC_VGPRS)
	s_endpgm
.LBB229_341:
	v_cmp_ne_u32_e32 vcc_lo, 1, v72
	v_lshlrev_b64 v[4:5], 1, v[32:33]
	s_cbranch_vccnz .LBB229_343
; %bb.342:
	s_delay_alu instid0(VALU_DEP_1) | instskip(NEXT) | instid1(VALU_DEP_2)
	v_add_co_u32 v24, vcc_lo, v22, v4
	v_add_co_ci_u32_e32 v25, vcc_lo, v23, v5, vcc_lo
	flat_load_u16 v24, v[24:25]
	s_waitcnt vmcnt(0) lgkmcnt(0)
	v_mul_f16_e32 v24, s15, v24
	s_branch .LBB229_344
.LBB229_343:
	v_mov_b32_e32 v24, 0
.LBB229_344:
	v_pk_add_f16 v16, v16, v6
	v_pk_max_f16 v25, v55, v55
	v_pk_add_f16 v17, v17, v7
	v_add_co_u32 v4, vcc_lo, v20, v4
	v_add_co_ci_u32_e32 v5, vcc_lo, v21, v5, vcc_lo
	s_delay_alu instid0(VALU_DEP_4) | instskip(NEXT) | instid1(VALU_DEP_1)
	v_pk_min_f16 v16, v25, v16
	v_pk_min_f16 v16, v16, v17
	s_delay_alu instid0(VALU_DEP_1) | instskip(NEXT) | instid1(VALU_DEP_1)
	v_lshrrev_b32_e32 v17, 16, v16
	v_min3_f16 v16, v24, v16, v17
	global_store_b16 v[4:5], v16, off
	s_or_b32 exec_lo, exec_lo, s0
	s_and_b32 s1, s1, s8
	s_delay_alu instid0(SALU_CYCLE_1)
	s_and_saveexec_b32 s0, s1
	s_cbranch_execz .LBB229_334
.LBB229_345:
	v_cmp_ne_u32_e32 vcc_lo, 1, v72
	v_lshlrev_b64 v[4:5], 1, v[34:35]
	s_cbranch_vccnz .LBB229_347
; %bb.346:
	s_delay_alu instid0(VALU_DEP_1) | instskip(NEXT) | instid1(VALU_DEP_2)
	v_add_co_u32 v16, vcc_lo, v22, v4
	v_add_co_ci_u32_e32 v17, vcc_lo, v23, v5, vcc_lo
	flat_load_u16 v16, v[16:17]
	s_waitcnt vmcnt(0) lgkmcnt(0)
	v_mul_f16_e32 v16, s15, v16
	s_branch .LBB229_348
.LBB229_347:
	v_mov_b32_e32 v16, 0
.LBB229_348:
	v_pk_add_f16 v17, v18, v6
	v_pk_max_f16 v18, v54, v54
	v_pk_add_f16 v19, v19, v7
	v_add_co_u32 v4, vcc_lo, v20, v4
	v_add_co_ci_u32_e32 v5, vcc_lo, v21, v5, vcc_lo
	s_delay_alu instid0(VALU_DEP_4) | instskip(NEXT) | instid1(VALU_DEP_1)
	v_pk_min_f16 v17, v18, v17
	v_pk_min_f16 v17, v17, v19
	s_delay_alu instid0(VALU_DEP_1) | instskip(NEXT) | instid1(VALU_DEP_1)
	v_lshrrev_b32_e32 v18, 16, v17
	v_min3_f16 v16, v16, v17, v18
	global_store_b16 v[4:5], v16, off
	s_or_b32 exec_lo, exec_lo, s0
	s_and_b32 s1, s2, s8
	s_delay_alu instid0(SALU_CYCLE_1)
	s_and_saveexec_b32 s0, s1
	s_cbranch_execz .LBB229_335
.LBB229_349:
	v_cmp_ne_u32_e32 vcc_lo, 1, v72
	v_lshlrev_b64 v[4:5], 1, v[36:37]
	s_cbranch_vccnz .LBB229_351
; %bb.350:
	s_delay_alu instid0(VALU_DEP_1) | instskip(NEXT) | instid1(VALU_DEP_2)
	v_add_co_u32 v16, vcc_lo, v22, v4
	v_add_co_ci_u32_e32 v17, vcc_lo, v23, v5, vcc_lo
	flat_load_u16 v16, v[16:17]
	s_waitcnt vmcnt(0) lgkmcnt(0)
	v_mul_f16_e32 v16, s15, v16
	s_branch .LBB229_352
.LBB229_351:
	v_mov_b32_e32 v16, 0
.LBB229_352:
	v_pk_add_f16 v12, v12, v6
	v_pk_max_f16 v17, v53, v53
	v_pk_add_f16 v13, v13, v7
	v_add_co_u32 v4, vcc_lo, v20, v4
	v_add_co_ci_u32_e32 v5, vcc_lo, v21, v5, vcc_lo
	s_delay_alu instid0(VALU_DEP_4) | instskip(NEXT) | instid1(VALU_DEP_1)
	v_pk_min_f16 v12, v17, v12
	v_pk_min_f16 v12, v12, v13
	s_delay_alu instid0(VALU_DEP_1) | instskip(NEXT) | instid1(VALU_DEP_1)
	v_lshrrev_b32_e32 v13, 16, v12
	v_min3_f16 v12, v16, v12, v13
	global_store_b16 v[4:5], v12, off
	s_or_b32 exec_lo, exec_lo, s0
	s_and_b32 s1, s3, s8
	s_delay_alu instid0(SALU_CYCLE_1)
	s_and_saveexec_b32 s0, s1
	s_cbranch_execz .LBB229_336
.LBB229_353:
	v_cmp_ne_u32_e32 vcc_lo, 1, v72
	v_lshlrev_b64 v[4:5], 1, v[38:39]
	s_cbranch_vccnz .LBB229_355
; %bb.354:
	s_delay_alu instid0(VALU_DEP_1) | instskip(NEXT) | instid1(VALU_DEP_2)
	v_add_co_u32 v12, vcc_lo, v22, v4
	v_add_co_ci_u32_e32 v13, vcc_lo, v23, v5, vcc_lo
	flat_load_u16 v12, v[12:13]
	s_waitcnt vmcnt(0) lgkmcnt(0)
	v_mul_f16_e32 v12, s15, v12
	s_branch .LBB229_356
.LBB229_355:
	v_mov_b32_e32 v12, 0
.LBB229_356:
	v_pk_add_f16 v13, v14, v6
	v_pk_max_f16 v14, v52, v52
	v_pk_add_f16 v15, v15, v7
	v_add_co_u32 v4, vcc_lo, v20, v4
	v_add_co_ci_u32_e32 v5, vcc_lo, v21, v5, vcc_lo
	s_delay_alu instid0(VALU_DEP_4) | instskip(NEXT) | instid1(VALU_DEP_1)
	v_pk_min_f16 v13, v14, v13
	v_pk_min_f16 v13, v13, v15
	s_delay_alu instid0(VALU_DEP_1) | instskip(NEXT) | instid1(VALU_DEP_1)
	v_lshrrev_b32_e32 v14, 16, v13
	v_min3_f16 v12, v12, v13, v14
	global_store_b16 v[4:5], v12, off
	s_or_b32 exec_lo, exec_lo, s0
	s_and_b32 s1, s4, s8
	s_delay_alu instid0(SALU_CYCLE_1)
	s_and_saveexec_b32 s0, s1
	s_cbranch_execz .LBB229_337
.LBB229_357:
	v_cmp_ne_u32_e32 vcc_lo, 1, v72
	v_lshlrev_b64 v[4:5], 1, v[40:41]
	s_cbranch_vccnz .LBB229_359
; %bb.358:
	s_delay_alu instid0(VALU_DEP_1) | instskip(NEXT) | instid1(VALU_DEP_2)
	v_add_co_u32 v12, vcc_lo, v22, v4
	v_add_co_ci_u32_e32 v13, vcc_lo, v23, v5, vcc_lo
	flat_load_u16 v12, v[12:13]
	s_waitcnt vmcnt(0) lgkmcnt(0)
	v_mul_f16_e32 v12, s15, v12
	s_branch .LBB229_360
.LBB229_359:
	v_mov_b32_e32 v12, 0
.LBB229_360:
	v_pk_add_f16 v8, v8, v6
	v_pk_max_f16 v13, v51, v51
	v_pk_add_f16 v9, v9, v7
	v_add_co_u32 v4, vcc_lo, v20, v4
	v_add_co_ci_u32_e32 v5, vcc_lo, v21, v5, vcc_lo
	s_delay_alu instid0(VALU_DEP_4) | instskip(NEXT) | instid1(VALU_DEP_1)
	v_pk_min_f16 v8, v13, v8
	v_pk_min_f16 v8, v8, v9
	s_delay_alu instid0(VALU_DEP_1) | instskip(NEXT) | instid1(VALU_DEP_1)
	v_lshrrev_b32_e32 v9, 16, v8
	v_min3_f16 v8, v12, v8, v9
	global_store_b16 v[4:5], v8, off
	s_or_b32 exec_lo, exec_lo, s0
	s_and_b32 s1, s5, s8
	s_delay_alu instid0(SALU_CYCLE_1)
	s_and_saveexec_b32 s0, s1
	s_cbranch_execz .LBB229_338
.LBB229_361:
	v_cmp_ne_u32_e32 vcc_lo, 1, v72
	v_lshlrev_b64 v[4:5], 1, v[42:43]
	s_cbranch_vccnz .LBB229_363
; %bb.362:
	s_delay_alu instid0(VALU_DEP_1) | instskip(NEXT) | instid1(VALU_DEP_2)
	v_add_co_u32 v8, vcc_lo, v22, v4
	v_add_co_ci_u32_e32 v9, vcc_lo, v23, v5, vcc_lo
	flat_load_u16 v8, v[8:9]
	s_waitcnt vmcnt(0) lgkmcnt(0)
	v_mul_f16_e32 v8, s15, v8
	s_branch .LBB229_364
.LBB229_363:
	v_mov_b32_e32 v8, 0
.LBB229_364:
	v_pk_add_f16 v9, v10, v6
	v_pk_max_f16 v10, v50, v50
	v_pk_add_f16 v11, v11, v7
	v_add_co_u32 v4, vcc_lo, v20, v4
	v_add_co_ci_u32_e32 v5, vcc_lo, v21, v5, vcc_lo
	s_delay_alu instid0(VALU_DEP_4) | instskip(NEXT) | instid1(VALU_DEP_1)
	v_pk_min_f16 v9, v10, v9
	v_pk_min_f16 v9, v9, v11
	s_delay_alu instid0(VALU_DEP_1) | instskip(NEXT) | instid1(VALU_DEP_1)
	v_lshrrev_b32_e32 v10, 16, v9
	v_min3_f16 v8, v8, v9, v10
	global_store_b16 v[4:5], v8, off
	s_or_b32 exec_lo, exec_lo, s0
	s_and_b32 s1, s6, s8
	s_delay_alu instid0(SALU_CYCLE_1)
	s_and_saveexec_b32 s0, s1
	s_cbranch_execz .LBB229_339
.LBB229_365:
	v_cmp_ne_u32_e32 vcc_lo, 1, v72
	v_lshlrev_b64 v[4:5], 1, v[44:45]
	s_cbranch_vccnz .LBB229_367
; %bb.366:
	s_delay_alu instid0(VALU_DEP_1) | instskip(NEXT) | instid1(VALU_DEP_2)
	v_add_co_u32 v8, vcc_lo, v22, v4
	v_add_co_ci_u32_e32 v9, vcc_lo, v23, v5, vcc_lo
	flat_load_u16 v8, v[8:9]
	s_waitcnt vmcnt(0) lgkmcnt(0)
	v_mul_f16_e32 v8, s15, v8
	s_branch .LBB229_368
.LBB229_367:
	v_mov_b32_e32 v8, 0
.LBB229_368:
	v_pk_add_f16 v0, v0, v6
	v_pk_max_f16 v9, v49, v49
	v_pk_add_f16 v1, v1, v7
	s_delay_alu instid0(VALU_DEP_2) | instskip(NEXT) | instid1(VALU_DEP_1)
	v_pk_min_f16 v0, v9, v0
	v_pk_min_f16 v0, v0, v1
	s_delay_alu instid0(VALU_DEP_1) | instskip(NEXT) | instid1(VALU_DEP_1)
	v_lshrrev_b32_e32 v1, 16, v0
	v_min3_f16 v8, v8, v0, v1
	v_add_co_u32 v0, vcc_lo, v20, v4
	v_add_co_ci_u32_e32 v1, vcc_lo, v21, v5, vcc_lo
	global_store_b16 v[0:1], v8, off
	s_or_b32 exec_lo, exec_lo, s0
	s_and_b32 s0, s7, s8
	s_delay_alu instid0(SALU_CYCLE_1)
	s_and_saveexec_b32 s1, s0
	s_cbranch_execz .LBB229_340
.LBB229_369:
	v_cmp_ne_u32_e32 vcc_lo, 1, v72
	v_lshlrev_b64 v[0:1], 1, v[46:47]
	s_cbranch_vccnz .LBB229_371
; %bb.370:
	s_delay_alu instid0(VALU_DEP_1) | instskip(NEXT) | instid1(VALU_DEP_2)
	v_add_co_u32 v4, vcc_lo, v22, v0
	v_add_co_ci_u32_e32 v5, vcc_lo, v23, v1, vcc_lo
	flat_load_u16 v4, v[4:5]
	s_waitcnt vmcnt(0) lgkmcnt(0)
	v_mul_f16_e32 v4, s15, v4
	s_branch .LBB229_372
.LBB229_371:
	v_mov_b32_e32 v4, 0
.LBB229_372:
	v_pk_add_f16 v2, v2, v6
	v_pk_max_f16 v5, v48, v48
	v_pk_add_f16 v3, v3, v7
	v_add_co_u32 v0, vcc_lo, v20, v0
	v_add_co_ci_u32_e32 v1, vcc_lo, v21, v1, vcc_lo
	s_delay_alu instid0(VALU_DEP_4) | instskip(NEXT) | instid1(VALU_DEP_1)
	v_pk_min_f16 v2, v5, v2
	v_pk_min_f16 v2, v2, v3
	s_delay_alu instid0(VALU_DEP_1) | instskip(NEXT) | instid1(VALU_DEP_1)
	v_lshrrev_b32_e32 v3, 16, v2
	v_min3_f16 v2, v4, v2, v3
	global_store_b16 v[0:1], v2, off
	s_nop 0
	s_sendmsg sendmsg(MSG_DEALLOC_VGPRS)
	s_endpgm
	.section	.rodata,"a",@progbits
	.p2align	6, 0x0
	.amdhsa_kernel _ZN12_GLOBAL__N_120geam_min_plus_kernelIDF16_Dv2_DF16_S1_Li8ELi32ELi64ELi256ELi4ELi4ELi64ELi64ELi4ELc84ELc84ELb1ELb1ELb1EDF16_KPKDF16_KPDF16_EEviiiT16_PT17_ilS9_ilS7_S9_ilPT18_ili26rocblas_geam_ex_operation_
		.amdhsa_group_segment_fixed_size 5120
		.amdhsa_private_segment_fixed_size 0
		.amdhsa_kernarg_size 128
		.amdhsa_user_sgpr_count 14
		.amdhsa_user_sgpr_dispatch_ptr 0
		.amdhsa_user_sgpr_queue_ptr 0
		.amdhsa_user_sgpr_kernarg_segment_ptr 1
		.amdhsa_user_sgpr_dispatch_id 0
		.amdhsa_user_sgpr_private_segment_size 0
		.amdhsa_wavefront_size32 1
		.amdhsa_uses_dynamic_stack 0
		.amdhsa_enable_private_segment 0
		.amdhsa_system_sgpr_workgroup_id_x 1
		.amdhsa_system_sgpr_workgroup_id_y 0
		.amdhsa_system_sgpr_workgroup_id_z 1
		.amdhsa_system_sgpr_workgroup_info 0
		.amdhsa_system_vgpr_workitem_id 1
		.amdhsa_next_free_vgpr 158
		.amdhsa_next_free_sgpr 29
		.amdhsa_reserve_vcc 1
		.amdhsa_float_round_mode_32 0
		.amdhsa_float_round_mode_16_64 0
		.amdhsa_float_denorm_mode_32 3
		.amdhsa_float_denorm_mode_16_64 3
		.amdhsa_dx10_clamp 1
		.amdhsa_ieee_mode 1
		.amdhsa_fp16_overflow 0
		.amdhsa_workgroup_processor_mode 1
		.amdhsa_memory_ordered 1
		.amdhsa_forward_progress 0
		.amdhsa_shared_vgpr_count 0
		.amdhsa_exception_fp_ieee_invalid_op 0
		.amdhsa_exception_fp_denorm_src 0
		.amdhsa_exception_fp_ieee_div_zero 0
		.amdhsa_exception_fp_ieee_overflow 0
		.amdhsa_exception_fp_ieee_underflow 0
		.amdhsa_exception_fp_ieee_inexact 0
		.amdhsa_exception_int_div_zero 0
	.end_amdhsa_kernel
	.section	.text._ZN12_GLOBAL__N_120geam_min_plus_kernelIDF16_Dv2_DF16_S1_Li8ELi32ELi64ELi256ELi4ELi4ELi64ELi64ELi4ELc84ELc84ELb1ELb1ELb1EDF16_KPKDF16_KPDF16_EEviiiT16_PT17_ilS9_ilS7_S9_ilPT18_ili26rocblas_geam_ex_operation_,"axG",@progbits,_ZN12_GLOBAL__N_120geam_min_plus_kernelIDF16_Dv2_DF16_S1_Li8ELi32ELi64ELi256ELi4ELi4ELi64ELi64ELi4ELc84ELc84ELb1ELb1ELb1EDF16_KPKDF16_KPDF16_EEviiiT16_PT17_ilS9_ilS7_S9_ilPT18_ili26rocblas_geam_ex_operation_,comdat
.Lfunc_end229:
	.size	_ZN12_GLOBAL__N_120geam_min_plus_kernelIDF16_Dv2_DF16_S1_Li8ELi32ELi64ELi256ELi4ELi4ELi64ELi64ELi4ELc84ELc84ELb1ELb1ELb1EDF16_KPKDF16_KPDF16_EEviiiT16_PT17_ilS9_ilS7_S9_ilPT18_ili26rocblas_geam_ex_operation_, .Lfunc_end229-_ZN12_GLOBAL__N_120geam_min_plus_kernelIDF16_Dv2_DF16_S1_Li8ELi32ELi64ELi256ELi4ELi4ELi64ELi64ELi4ELc84ELc84ELb1ELb1ELb1EDF16_KPKDF16_KPDF16_EEviiiT16_PT17_ilS9_ilS7_S9_ilPT18_ili26rocblas_geam_ex_operation_
                                        ; -- End function
	.section	.AMDGPU.csdata,"",@progbits
; Kernel info:
; codeLenInByte = 22972
; NumSgprs: 31
; NumVgprs: 158
; ScratchSize: 0
; MemoryBound: 0
; FloatMode: 240
; IeeeMode: 1
; LDSByteSize: 5120 bytes/workgroup (compile time only)
; SGPRBlocks: 3
; VGPRBlocks: 19
; NumSGPRsForWavesPerEU: 31
; NumVGPRsForWavesPerEU: 158
; Occupancy: 9
; WaveLimiterHint : 1
; COMPUTE_PGM_RSRC2:SCRATCH_EN: 0
; COMPUTE_PGM_RSRC2:USER_SGPR: 14
; COMPUTE_PGM_RSRC2:TRAP_HANDLER: 0
; COMPUTE_PGM_RSRC2:TGID_X_EN: 1
; COMPUTE_PGM_RSRC2:TGID_Y_EN: 0
; COMPUTE_PGM_RSRC2:TGID_Z_EN: 1
; COMPUTE_PGM_RSRC2:TIDIG_COMP_CNT: 1
	.section	.text._ZN12_GLOBAL__N_120geam_min_plus_kernelIDF16_Dv2_DF16_S1_Li8ELi32ELi64ELi256ELi4ELi4ELi64ELi64ELi4ELc84ELc84ELb0ELb1ELb1EDF16_KPKDF16_KPDF16_EEviiiT16_PT17_ilS9_ilS7_S9_ilPT18_ili26rocblas_geam_ex_operation_,"axG",@progbits,_ZN12_GLOBAL__N_120geam_min_plus_kernelIDF16_Dv2_DF16_S1_Li8ELi32ELi64ELi256ELi4ELi4ELi64ELi64ELi4ELc84ELc84ELb0ELb1ELb1EDF16_KPKDF16_KPDF16_EEviiiT16_PT17_ilS9_ilS7_S9_ilPT18_ili26rocblas_geam_ex_operation_,comdat
	.globl	_ZN12_GLOBAL__N_120geam_min_plus_kernelIDF16_Dv2_DF16_S1_Li8ELi32ELi64ELi256ELi4ELi4ELi64ELi64ELi4ELc84ELc84ELb0ELb1ELb1EDF16_KPKDF16_KPDF16_EEviiiT16_PT17_ilS9_ilS7_S9_ilPT18_ili26rocblas_geam_ex_operation_ ; -- Begin function _ZN12_GLOBAL__N_120geam_min_plus_kernelIDF16_Dv2_DF16_S1_Li8ELi32ELi64ELi256ELi4ELi4ELi64ELi64ELi4ELc84ELc84ELb0ELb1ELb1EDF16_KPKDF16_KPDF16_EEviiiT16_PT17_ilS9_ilS7_S9_ilPT18_ili26rocblas_geam_ex_operation_
	.p2align	8
	.type	_ZN12_GLOBAL__N_120geam_min_plus_kernelIDF16_Dv2_DF16_S1_Li8ELi32ELi64ELi256ELi4ELi4ELi64ELi64ELi4ELc84ELc84ELb0ELb1ELb1EDF16_KPKDF16_KPDF16_EEviiiT16_PT17_ilS9_ilS7_S9_ilPT18_ili26rocblas_geam_ex_operation_,@function
_ZN12_GLOBAL__N_120geam_min_plus_kernelIDF16_Dv2_DF16_S1_Li8ELi32ELi64ELi256ELi4ELi4ELi64ELi64ELi4ELc84ELc84ELb0ELb1ELb1EDF16_KPKDF16_KPDF16_EEviiiT16_PT17_ilS9_ilS7_S9_ilPT18_ili26rocblas_geam_ex_operation_: ; @_ZN12_GLOBAL__N_120geam_min_plus_kernelIDF16_Dv2_DF16_S1_Li8ELi32ELi64ELi256ELi4ELi4ELi64ELi64ELi4ELc84ELc84ELb0ELb1ELb1EDF16_KPKDF16_KPDF16_EEviiiT16_PT17_ilS9_ilS7_S9_ilPT18_ili26rocblas_geam_ex_operation_
; %bb.0:
	s_clause 0x1
	s_load_b128 s[16:19], s[0:1], 0x0
	s_load_b128 s[4:7], s[0:1], 0x20
	s_mov_b32 s2, s15
	s_mov_b32 s3, 0
	s_mov_b64 s[20:21], 0
	s_waitcnt lgkmcnt(0)
	v_cmp_eq_f16_e64 s25, s19, 0
	v_cmp_neq_f16_e64 s8, s19, 0
	s_delay_alu instid0(VALU_DEP_2)
	s_and_b32 vcc_lo, exec_lo, s25
	s_cbranch_vccnz .LBB230_2
; %bb.1:
	s_load_b64 s[10:11], s[0:1], 0x10
	s_lshl_b64 s[12:13], s[2:3], 3
	s_waitcnt lgkmcnt(0)
	s_add_u32 s10, s10, s12
	s_addc_u32 s11, s11, s13
	s_lshl_b64 s[4:5], s[4:5], 1
	s_load_b64 s[10:11], s[10:11], 0x0
	s_waitcnt lgkmcnt(0)
	s_add_u32 s20, s10, s4
	s_addc_u32 s21, s11, s5
.LBB230_2:
	s_delay_alu instid0(VALU_DEP_1)
	s_and_b32 vcc_lo, exec_lo, s8
	s_cbranch_vccz .LBB230_4
; %bb.3:
	s_lshl_b64 s[4:5], s[2:3], 3
	s_load_b64 s[8:9], s[0:1], 0x38
	s_add_u32 s4, s6, s4
	s_addc_u32 s5, s7, s5
	s_load_b64 s[4:5], s[4:5], 0x0
	s_waitcnt lgkmcnt(0)
	s_lshl_b64 s[6:7], s[8:9], 1
	s_delay_alu instid0(SALU_CYCLE_1)
	s_add_u32 s8, s4, s6
	s_addc_u32 s9, s5, s7
	s_and_not1_b32 vcc_lo, exec_lo, s3
	s_cbranch_vccz .LBB230_5
	s_branch .LBB230_6
.LBB230_4:
	s_mov_b32 s3, -1
                                        ; implicit-def: $sgpr8_sgpr9
.LBB230_5:
	s_mov_b32 s3, 0
	s_mov_b64 s[8:9], 0
.LBB230_6:
	s_clause 0x1
	s_load_b32 s15, s[0:1], 0x40
	s_load_b128 s[4:7], s[0:1], 0x58
	s_waitcnt lgkmcnt(0)
	v_cmp_eq_f16_e64 s10, s15, 0
	v_cmp_neq_f16_e64 s22, s15, 0
	s_delay_alu instid0(VALU_DEP_2)
	s_and_b32 vcc_lo, exec_lo, s10
	s_cbranch_vccnz .LBB230_8
; %bb.7:
	s_load_b64 s[10:11], s[0:1], 0x48
	s_lshl_b64 s[12:13], s[2:3], 3
	s_waitcnt lgkmcnt(0)
	s_add_u32 s10, s10, s12
	s_addc_u32 s11, s11, s13
	s_lshl_b64 s[4:5], s[4:5], 1
	s_load_b64 s[10:11], s[10:11], 0x0
	s_waitcnt lgkmcnt(0)
	s_add_u32 s10, s10, s4
	s_addc_u32 s11, s11, s5
	s_branch .LBB230_9
.LBB230_8:
	s_mov_b64 s[10:11], 0
.LBB230_9:
	s_lshl_b64 s[2:3], s[2:3], 3
	v_and_b32_e32 v42, 0x3ff, v0
	s_add_u32 s4, s6, s2
	s_addc_u32 s5, s7, s3
	s_add_i32 s6, s16, -1
	v_bfe_u32 v43, v0, 10, 10
	s_ashr_i32 s2, s6, 31
	s_load_b32 s27, s[0:1], 0x18
	s_lshr_b32 s2, s2, 26
	v_and_b32_e32 v44, 3, v42
	s_add_i32 s2, s6, s2
	v_lshl_add_u32 v0, v43, 3, v42
	s_ashr_i32 s2, s2, 6
	s_delay_alu instid0(SALU_CYCLE_1) | instskip(SKIP_4) | instid1(VALU_DEP_3)
	s_add_i32 s7, s2, 1
	s_not_b32 s2, s2
	v_cvt_f32_u32_e32 v1, s7
	v_lshrrev_b32_e32 v15, 2, v0
	v_lshlrev_b32_e32 v8, 1, v44
	v_rcp_iflag_f32_e32 v1, v1
	s_waitcnt_depctr 0xfff
	v_mul_f32_e32 v1, 0x4f7ffffe, v1
	s_delay_alu instid0(VALU_DEP_1) | instskip(NEXT) | instid1(VALU_DEP_1)
	v_cvt_u32_f32_e32 v1, v1
	v_readfirstlane_b32 s3, v1
	s_delay_alu instid0(VALU_DEP_1) | instskip(NEXT) | instid1(SALU_CYCLE_1)
	s_mul_i32 s2, s2, s3
	s_mul_hi_u32 s2, s3, s2
	s_delay_alu instid0(SALU_CYCLE_1) | instskip(NEXT) | instid1(SALU_CYCLE_1)
	s_add_i32 s3, s3, s2
	s_mul_hi_u32 s2, s14, s3
	s_delay_alu instid0(SALU_CYCLE_1) | instskip(SKIP_2) | instid1(SALU_CYCLE_1)
	s_mul_i32 s3, s2, s7
	s_add_i32 s12, s2, 1
	s_sub_i32 s3, s14, s3
	s_sub_i32 s13, s3, s7
	s_cmp_ge_u32 s3, s7
	s_cselect_b32 s2, s12, s2
	s_cselect_b32 s3, s13, s3
	s_add_i32 s12, s2, 1
	s_cmp_ge_u32 s3, s7
	s_cselect_b32 s3, s12, s2
	s_load_b64 s[12:13], s[4:5], 0x0
	s_mul_i32 s2, s3, s7
	s_delay_alu instid0(SALU_CYCLE_1) | instskip(NEXT) | instid1(SALU_CYCLE_1)
	s_sub_i32 s2, s14, s2
	s_lshl_b32 s23, s2, 6
	v_cmp_le_i32_e64 s2, s18, v44
	v_add_nc_u32_e32 v1, s23, v15
	s_delay_alu instid0(VALU_DEP_1) | instskip(SKIP_1) | instid1(VALU_DEP_4)
	v_cmp_le_i32_e32 vcc_lo, s16, v1
	v_min_i32_e32 v9, s6, v1
	s_or_b32 s2, s2, vcc_lo
	s_delay_alu instid0(SALU_CYCLE_1) | instskip(SKIP_1) | instid1(SALU_CYCLE_1)
	v_cndmask_b32_e64 v16, 0, 0x7c00, s2
	s_or_b32 s2, s25, s2
	s_xor_b32 s2, s2, -1
	s_delay_alu instid0(SALU_CYCLE_1)
	s_and_saveexec_b32 s4, s2
	s_cbranch_execz .LBB230_11
; %bb.10:
	s_waitcnt lgkmcnt(0)
	v_mad_i64_i32 v[1:2], null, v9, s27, 0
	s_delay_alu instid0(VALU_DEP_1) | instskip(NEXT) | instid1(VALU_DEP_1)
	v_lshlrev_b64 v[1:2], 1, v[1:2]
	v_add_co_u32 v1, s2, s20, v1
	s_delay_alu instid0(VALU_DEP_1) | instskip(NEXT) | instid1(VALU_DEP_2)
	v_add_co_ci_u32_e64 v2, s2, s21, v2, s2
	v_add_co_u32 v1, s2, v1, v8
	s_delay_alu instid0(VALU_DEP_1)
	v_add_co_ci_u32_e64 v2, s2, 0, v2, s2
	flat_load_u16 v1, v[1:2]
	s_waitcnt vmcnt(0) lgkmcnt(0)
	v_mul_f16_e32 v16, s19, v1
.LBB230_11:
	s_or_b32 exec_lo, exec_lo, s4
	s_load_b32 s14, s[0:1], 0x30
	v_lshrrev_b32_e32 v45, 6, v0
	s_add_i32 s26, s18, -1
	v_and_b32_e32 v17, 63, v0
	s_lshl_b32 s24, s3, 8
	s_delay_alu instid0(VALU_DEP_2) | instskip(SKIP_1) | instid1(VALU_DEP_3)
	v_min_i32_e32 v3, s26, v45
	v_cmp_le_i32_e64 s6, s18, v45
	v_or_b32_e32 v0, s24, v17
	s_delay_alu instid0(VALU_DEP_1) | instskip(NEXT) | instid1(VALU_DEP_1)
	v_cmp_le_i32_e64 s2, s17, v0
	s_or_b32 s4, s2, s6
	s_delay_alu instid0(SALU_CYCLE_1) | instskip(SKIP_2) | instid1(VALU_DEP_1)
	v_cndmask_b32_e64 v18, 0, 0x7c00, s4
	s_waitcnt lgkmcnt(0)
	v_mad_i64_i32 v[1:2], null, s14, v3, 0
	v_lshlrev_b64 v[1:2], 1, v[1:2]
	s_delay_alu instid0(VALU_DEP_1) | instskip(NEXT) | instid1(VALU_DEP_1)
	v_add_co_u32 v10, s3, s8, v1
	v_add_co_ci_u32_e64 v11, s3, s9, v2, s3
	v_ashrrev_i32_e32 v1, 31, v0
	s_or_b32 s3, s25, s4
	s_delay_alu instid0(SALU_CYCLE_1) | instskip(NEXT) | instid1(SALU_CYCLE_1)
	s_xor_b32 s3, s3, -1
	s_and_saveexec_b32 s4, s3
	s_cbranch_execz .LBB230_13
; %bb.12:
	v_lshlrev_b64 v[2:3], 1, v[0:1]
	s_delay_alu instid0(VALU_DEP_1) | instskip(NEXT) | instid1(VALU_DEP_1)
	v_add_co_u32 v2, s3, v10, v2
	v_add_co_ci_u32_e64 v3, s3, v11, v3, s3
	flat_load_u16 v2, v[2:3]
	s_waitcnt vmcnt(0) lgkmcnt(0)
	v_mul_f16_e32 v18, s19, v2
.LBB230_13:
	s_or_b32 exec_lo, exec_lo, s4
	v_or_b32_e32 v2, 64, v0
	s_add_i32 s7, s17, -1
	s_delay_alu instid0(VALU_DEP_1) | instskip(SKIP_1) | instid1(VALU_DEP_2)
	v_cmp_le_i32_e64 s3, s17, v2
	v_min_i32_e32 v2, s7, v2
	s_or_b32 s4, s3, s6
	s_delay_alu instid0(VALU_DEP_1) | instskip(SKIP_2) | instid1(SALU_CYCLE_1)
	v_ashrrev_i32_e32 v3, 31, v2
	v_cndmask_b32_e64 v19, 0, 0x7c00, s4
	s_or_b32 s4, s25, s4
	s_xor_b32 s4, s4, -1
	s_delay_alu instid0(SALU_CYCLE_1)
	s_and_saveexec_b32 s5, s4
	s_cbranch_execz .LBB230_15
; %bb.14:
	v_lshlrev_b64 v[4:5], 1, v[2:3]
	s_delay_alu instid0(VALU_DEP_1) | instskip(NEXT) | instid1(VALU_DEP_1)
	v_add_co_u32 v4, s4, v10, v4
	v_add_co_ci_u32_e64 v5, s4, v11, v5, s4
	flat_load_u16 v4, v[4:5]
	s_waitcnt vmcnt(0) lgkmcnt(0)
	v_mul_f16_e32 v19, s19, v4
.LBB230_15:
	s_or_b32 exec_lo, exec_lo, s5
	v_or_b32_e32 v4, 0x80, v0
	s_delay_alu instid0(VALU_DEP_1) | instskip(SKIP_1) | instid1(VALU_DEP_2)
	v_cmp_le_i32_e64 s4, s17, v4
	v_min_i32_e32 v4, s7, v4
	s_or_b32 s5, s4, s6
	s_delay_alu instid0(VALU_DEP_1) | instskip(SKIP_2) | instid1(SALU_CYCLE_1)
	v_ashrrev_i32_e32 v5, 31, v4
	v_cndmask_b32_e64 v20, 0, 0x7c00, s5
	s_or_b32 s5, s25, s5
	s_xor_b32 s5, s5, -1
	s_delay_alu instid0(SALU_CYCLE_1)
	s_and_saveexec_b32 s28, s5
	s_cbranch_execz .LBB230_17
; %bb.16:
	v_lshlrev_b64 v[6:7], 1, v[4:5]
	s_delay_alu instid0(VALU_DEP_1) | instskip(NEXT) | instid1(VALU_DEP_1)
	v_add_co_u32 v6, s5, v10, v6
	v_add_co_ci_u32_e64 v7, s5, v11, v7, s5
	flat_load_u16 v6, v[6:7]
	s_waitcnt vmcnt(0) lgkmcnt(0)
	v_mul_f16_e32 v20, s19, v6
.LBB230_17:
	s_or_b32 exec_lo, exec_lo, s28
	v_or_b32_e32 v6, 0xc0, v0
	;; [unrolled: 23-line block ×3, first 2 shown]
	s_delay_alu instid0(VALU_DEP_1) | instskip(NEXT) | instid1(VALU_DEP_1)
	v_cmp_le_i32_e64 s6, s18, v10
	s_or_b32 s6, s6, vcc_lo
	s_delay_alu instid0(SALU_CYCLE_1) | instskip(SKIP_1) | instid1(SALU_CYCLE_1)
	v_cndmask_b32_e64 v10, 0, 0x7c00, s6
	s_or_b32 s6, s25, s6
	s_xor_b32 s6, s6, -1
	s_delay_alu instid0(SALU_CYCLE_1)
	s_and_saveexec_b32 s7, s6
	s_cbranch_execz .LBB230_21
; %bb.20:
	v_mad_i64_i32 v[10:11], null, v9, s27, 0
	s_delay_alu instid0(VALU_DEP_1) | instskip(NEXT) | instid1(VALU_DEP_1)
	v_lshlrev_b64 v[10:11], 1, v[10:11]
	v_add_co_u32 v10, s6, s20, v10
	s_delay_alu instid0(VALU_DEP_1) | instskip(NEXT) | instid1(VALU_DEP_2)
	v_add_co_ci_u32_e64 v11, s6, s21, v11, s6
	v_add_co_u32 v10, s6, v10, v8
	s_delay_alu instid0(VALU_DEP_1)
	v_add_co_ci_u32_e64 v11, s6, 0, v11, s6
	flat_load_u16 v10, v[10:11] offset:8
	s_waitcnt vmcnt(0) lgkmcnt(0)
	v_mul_f16_e32 v10, s19, v10
.LBB230_21:
	s_or_b32 exec_lo, exec_lo, s7
	v_add_nc_u32_e32 v13, 4, v45
	s_delay_alu instid0(VALU_DEP_1) | instskip(SKIP_1) | instid1(VALU_DEP_2)
	v_min_i32_e32 v14, s26, v13
	v_cmp_le_i32_e64 s6, s18, v13
	v_mad_i64_i32 v[11:12], null, s14, v14, 0
	s_delay_alu instid0(VALU_DEP_1) | instskip(NEXT) | instid1(VALU_DEP_1)
	v_lshlrev_b64 v[11:12], 1, v[11:12]
	v_add_co_u32 v22, s7, s8, v11
	s_delay_alu instid0(VALU_DEP_1) | instskip(SKIP_1) | instid1(SALU_CYCLE_1)
	v_add_co_ci_u32_e64 v23, s7, s9, v12, s7
	s_or_b32 s7, s2, s6
	v_cndmask_b32_e64 v11, 0, 0x7c00, s7
	s_or_b32 s7, s25, s7
	s_delay_alu instid0(SALU_CYCLE_1) | instskip(NEXT) | instid1(SALU_CYCLE_1)
	s_xor_b32 s7, s7, -1
	s_and_saveexec_b32 s28, s7
	s_cbranch_execz .LBB230_23
; %bb.22:
	v_lshlrev_b64 v[11:12], 1, v[0:1]
	s_delay_alu instid0(VALU_DEP_1) | instskip(NEXT) | instid1(VALU_DEP_1)
	v_add_co_u32 v11, s7, v22, v11
	v_add_co_ci_u32_e64 v12, s7, v23, v12, s7
	flat_load_u16 v11, v[11:12]
	s_waitcnt vmcnt(0) lgkmcnt(0)
	v_mul_f16_e32 v11, s19, v11
.LBB230_23:
	s_or_b32 exec_lo, exec_lo, s28
	s_or_b32 s7, s3, s6
	s_delay_alu instid0(SALU_CYCLE_1) | instskip(SKIP_1) | instid1(SALU_CYCLE_1)
	v_cndmask_b32_e64 v12, 0, 0x7c00, s7
	s_or_b32 s7, s25, s7
	s_xor_b32 s7, s7, -1
	s_delay_alu instid0(SALU_CYCLE_1)
	s_and_saveexec_b32 s28, s7
	s_cbranch_execz .LBB230_25
; %bb.24:
	v_lshlrev_b64 v[12:13], 1, v[2:3]
	s_delay_alu instid0(VALU_DEP_1) | instskip(NEXT) | instid1(VALU_DEP_1)
	v_add_co_u32 v12, s7, v22, v12
	v_add_co_ci_u32_e64 v13, s7, v23, v13, s7
	flat_load_u16 v12, v[12:13]
	s_waitcnt vmcnt(0) lgkmcnt(0)
	v_mul_f16_e32 v12, s19, v12
.LBB230_25:
	s_or_b32 exec_lo, exec_lo, s28
	s_or_b32 s7, s4, s6
	s_delay_alu instid0(SALU_CYCLE_1) | instskip(SKIP_1) | instid1(SALU_CYCLE_1)
	v_cndmask_b32_e64 v13, 0, 0x7c00, s7
	s_or_b32 s7, s25, s7
	s_xor_b32 s7, s7, -1
	s_delay_alu instid0(SALU_CYCLE_1)
	;; [unrolled: 18-line block ×3, first 2 shown]
	s_and_saveexec_b32 s7, s6
	s_cbranch_execz .LBB230_29
; %bb.28:
	v_lshlrev_b64 v[24:25], 1, v[6:7]
	s_delay_alu instid0(VALU_DEP_1) | instskip(NEXT) | instid1(VALU_DEP_1)
	v_add_co_u32 v22, s6, v22, v24
	v_add_co_ci_u32_e64 v23, s6, v23, v25, s6
	flat_load_u16 v14, v[22:23]
	s_waitcnt vmcnt(0) lgkmcnt(0)
	v_mul_f16_e32 v14, s19, v14
.LBB230_29:
	s_or_b32 exec_lo, exec_lo, s7
	v_lshlrev_b32_e32 v22, 1, v45
	v_lshlrev_b32_e32 v46, 3, v42
	v_lshlrev_b32_e32 v47, 3, v43
	v_lshl_or_b32 v15, v15, 3, v8
	s_cmp_lt_i32 s18, 9
	v_lshl_add_u32 v72, v17, 3, v22
	v_add_nc_u32_e32 v32, 0x1000, v46
	ds_store_b16 v72, v18
	ds_store_b16 v72, v19 offset:512
	ds_store_b16 v72, v20 offset:1024
	;; [unrolled: 1-line block ×4, first 2 shown]
	s_waitcnt lgkmcnt(0)
	s_barrier
	buffer_gl0_inv
	ds_load_2addr_b64 v[16:19], v32 offset1:8
	ds_load_2addr_b64 v[20:23], v47 offset1:32
	ds_load_2addr_b64 v[24:27], v32 offset0:16 offset1:24
	ds_load_2addr_b64 v[28:31], v32 offset0:32 offset1:40
	ds_load_2addr_b64 v[32:35], v32 offset0:48 offset1:56
	ds_load_2addr_b64 v[36:39], v47 offset0:64 offset1:96
	ds_load_2addr_b64 v[48:51], v47 offset0:128 offset1:160
	s_waitcnt lgkmcnt(5)
	v_pk_add_f16 v40, v16, v20
	v_pk_add_f16 v81, v17, v21
	s_waitcnt lgkmcnt(3)
	v_pk_add_f16 v55, v30, v20
	v_pk_add_f16 v41, v18, v20
	;; [unrolled: 1-line block ×3, first 2 shown]
	v_pk_min_f16 v40, 0x7c00, v40 op_sel_hi:[0,1]
	v_pk_add_f16 v54, v28, v20
	v_pk_add_f16 v60, v24, v22
	;; [unrolled: 1-line block ×4, first 2 shown]
	v_pk_min_f16 v118, v40, v81
	v_pk_min_f16 v40, 0x7c00, v55 op_sel_hi:[0,1]
	s_waitcnt lgkmcnt(2)
	v_pk_add_f16 v56, v32, v20
	v_pk_add_f16 v57, v34, v20
	;; [unrolled: 1-line block ×4, first 2 shown]
	s_waitcnt lgkmcnt(1)
	v_pk_add_f16 v66, v16, v36
	v_pk_add_f16 v67, v18, v36
	;; [unrolled: 1-line block ×12, first 2 shown]
	v_pk_min_f16 v41, 0x7c00, v41 op_sel_hi:[0,1]
	v_pk_min_f16 v52, 0x7c00, v52 op_sel_hi:[0,1]
	;; [unrolled: 1-line block ×3, first 2 shown]
	v_pk_min_f16 v108, v40, v86
	v_pk_min_f16 v40, 0x7c00, v60 op_sel_hi:[0,1]
	v_pk_add_f16 v58, v16, v22
	v_pk_add_f16 v61, v26, v22
	;; [unrolled: 1-line block ×25, first 2 shown]
	ds_load_2addr_b64 v[20:23], v47 offset0:192 offset1:224
	v_pk_min_f16 v53, 0x7c00, v53 op_sel_hi:[0,1]
	v_pk_min_f16 v117, v41, v82
	v_pk_min_f16 v116, v52, v83
	v_pk_min_f16 v114, v54, v85
	v_pk_min_f16 v41, 0x7c00, v56 op_sel_hi:[0,1]
	v_pk_min_f16 v52, 0x7c00, v57 op_sel_hi:[0,1]
	;; [unrolled: 1-line block ×3, first 2 shown]
	v_pk_min_f16 v103, v40, v91
	v_pk_min_f16 v40, 0x7c00, v65 op_sel_hi:[0,1]
	v_pk_min_f16 v36, 0x7c00, v36 op_sel_hi:[0,1]
	v_pk_add_f16 v74, v16, v38
	v_pk_add_f16 v77, v26, v38
	;; [unrolled: 1-line block ×8, first 2 shown]
	s_waitcnt lgkmcnt(1)
	v_pk_add_f16 v127, v16, v48
	v_pk_min_f16 v115, v53, v84
	v_pk_min_f16 v53, 0x7c00, v58 op_sel_hi:[0,1]
	v_pk_min_f16 v107, v41, v87
	v_pk_min_f16 v106, v52, v88
	;; [unrolled: 1-line block ×3, first 2 shown]
	v_pk_min_f16 v41, 0x7c00, v61 op_sel_hi:[0,1]
	v_pk_min_f16 v52, 0x7c00, v62 op_sel_hi:[0,1]
	v_pk_min_f16 v98, v40, v96
	v_pk_min_f16 v40, 0x7c00, v70 op_sel_hi:[0,1]
	v_pk_min_f16 v90, v36, v37
	v_pk_min_f16 v36, 0x7c00, v75 op_sel_hi:[0,1]
	v_pk_min_f16 v37, 0x7c00, v76 op_sel_hi:[0,1]
	v_pk_add_f16 v120, v17, v39
	v_pk_add_f16 v123, v27, v39
	;; [unrolled: 1-line block ×12, first 2 shown]
	v_pk_min_f16 v105, v53, v89
	v_pk_min_f16 v53, 0x7c00, v63 op_sel_hi:[0,1]
	v_pk_min_f16 v102, v41, v92
	v_pk_min_f16 v101, v52, v93
	v_pk_min_f16 v41, 0x7c00, v66 op_sel_hi:[0,1]
	v_pk_min_f16 v52, 0x7c00, v67 op_sel_hi:[0,1]
	v_pk_min_f16 v93, v40, v112
	v_pk_min_f16 v40, 0x7c00, v77 op_sel_hi:[0,1]
	v_pk_min_f16 v88, v36, v121
	v_pk_min_f16 v87, v37, v122
	v_pk_min_f16 v36, 0x7c00, v80 op_sel_hi:[0,1]
	v_pk_min_f16 v37, 0x7c00, v38 op_sel_hi:[0,1]
	;; [unrolled: 1-line block ×3, first 2 shown]
	v_pk_add_f16 v129, v24, v48
	v_pk_add_f16 v48, v34, v48
	;; [unrolled: 1-line block ×11, first 2 shown]
	v_pk_min_f16 v54, 0x7c00, v64 op_sel_hi:[0,1]
	v_pk_min_f16 v100, v53, v94
	v_pk_min_f16 v53, 0x7c00, v68 op_sel_hi:[0,1]
	v_pk_min_f16 v97, v41, v97
	v_pk_min_f16 v96, v52, v109
	v_pk_min_f16 v41, 0x7c00, v71 op_sel_hi:[0,1]
	v_pk_min_f16 v52, 0x7c00, v73 op_sel_hi:[0,1]
	v_pk_min_f16 v86, v40, v123
	v_pk_min_f16 v40, 0x7c00, v128 op_sel_hi:[0,1]
	v_pk_min_f16 v83, v36, v126
	v_pk_min_f16 v82, v37, v39
	;; [unrolled: 1-line block ×3, first 2 shown]
	v_pk_min_f16 v36, 0x7c00, v130 op_sel_hi:[0,1]
	v_pk_min_f16 v37, 0x7c00, v131 op_sel_hi:[0,1]
	;; [unrolled: 1-line block ×4, first 2 shown]
	v_pk_add_f16 v138, v28, v50
	v_pk_add_f16 v139, v30, v50
	;; [unrolled: 1-line block ×10, first 2 shown]
	s_waitcnt lgkmcnt(0)
	v_pk_add_f16 v155, v16, v20
	v_pk_min_f16 v99, v54, v95
	v_pk_min_f16 v95, v53, v110
	v_pk_min_f16 v53, 0x7c00, v74 op_sel_hi:[0,1]
	v_pk_min_f16 v92, v41, v113
	v_pk_min_f16 v91, v52, v119
	v_pk_min_f16 v41, 0x7c00, v78 op_sel_hi:[0,1]
	v_pk_min_f16 v52, 0x7c00, v79 op_sel_hi:[0,1]
	v_pk_min_f16 v79, v40, v142
	v_pk_min_f16 v40, 0x7c00, v48 op_sel_hi:[0,1]
	v_pk_min_f16 v77, v36, v144
	v_pk_min_f16 v76, v37, v145
	;; [unrolled: 1-line block ×4, first 2 shown]
	v_pk_min_f16 v36, 0x7c00, v134 op_sel_hi:[0,1]
	v_pk_min_f16 v37, 0x7c00, v135 op_sel_hi:[0,1]
	;; [unrolled: 1-line block ×4, first 2 shown]
	v_pk_add_f16 v152, v29, v51
	v_pk_add_f16 v153, v31, v51
	v_pk_add_f16 v154, v33, v51
	v_pk_add_f16 v51, v35, v51
	v_pk_add_f16 v156, v18, v20
	v_pk_add_f16 v157, v17, v21
	v_pk_add_f16 v159, v24, v20
	v_pk_add_f16 v160, v26, v20
	v_pk_min_f16 v54, 0x7c00, v69 op_sel_hi:[0,1]
	v_pk_min_f16 v85, v41, v124
	v_pk_min_f16 v41, 0x7c00, v129 op_sel_hi:[0,1]
	v_pk_min_f16 v73, v40, v49
	;; [unrolled: 2-line block ×3, first 2 shown]
	v_pk_min_f16 v70, v37, v149
	v_pk_min_f16 v69, v38, v150
	;; [unrolled: 1-line block ×3, first 2 shown]
	v_pk_min_f16 v36, 0x7c00, v139 op_sel_hi:[0,1]
	v_pk_min_f16 v37, 0x7c00, v140 op_sel_hi:[0,1]
	;; [unrolled: 1-line block ×4, first 2 shown]
	v_pk_add_f16 v16, v16, v22
	v_pk_add_f16 v158, v19, v21
	;; [unrolled: 1-line block ×4, first 2 shown]
	v_pk_min_f16 v78, v41, v143
	v_pk_min_f16 v67, v40, v152
	v_pk_min_f16 v40, 0x7c00, v156 op_sel_hi:[0,1]
	v_pk_min_f16 v41, 0x7c00, v159 op_sel_hi:[0,1]
	v_pk_min_f16 v66, v36, v153
	v_pk_add_f16 v36, v28, v20
	v_pk_min_f16 v65, v37, v154
	v_pk_add_f16 v37, v30, v20
	;; [unrolled: 2-line block ×4, first 2 shown]
	v_pk_min_f16 v39, 0x7c00, v160 op_sel_hi:[0,1]
	v_pk_add_f16 v18, v18, v22
	v_pk_add_f16 v17, v17, v23
	;; [unrolled: 1-line block ×3, first 2 shown]
	v_pk_min_f16 v20, 0x7c00, v20 op_sel_hi:[0,1]
	v_pk_min_f16 v16, 0x7c00, v16 op_sel_hi:[0,1]
	v_pk_min_f16 v62, v40, v158
	v_pk_add_f16 v40, v29, v21
	v_pk_min_f16 v61, v41, v161
	v_pk_add_f16 v41, v31, v21
	;; [unrolled: 2-line block ×3, first 2 shown]
	v_pk_add_f16 v21, v35, v21
	v_pk_add_f16 v19, v19, v23
	;; [unrolled: 1-line block ×4, first 2 shown]
	v_pk_min_f16 v18, 0x7c00, v18 op_sel_hi:[0,1]
	v_pk_min_f16 v24, 0x7c00, v24 op_sel_hi:[0,1]
	v_pk_add_f16 v28, v28, v22
	v_pk_add_f16 v30, v30, v22
	v_pk_min_f16 v56, v20, v21
	v_pk_add_f16 v20, v32, v22
	v_pk_min_f16 v55, v16, v17
	v_pk_add_f16 v16, v34, v22
	v_pk_add_f16 v27, v27, v23
	v_pk_min_f16 v94, v54, v111
	v_pk_min_f16 v89, v53, v120
	v_pk_min_f16 v36, 0x7c00, v36 op_sel_hi:[0,1]
	v_pk_min_f16 v37, 0x7c00, v37 op_sel_hi:[0,1]
	;; [unrolled: 1-line block ×8, first 2 shown]
	v_pk_min_f16 v54, v18, v19
	v_pk_min_f16 v53, v24, v25
	v_pk_add_f16 v18, v29, v23
	v_pk_add_f16 v19, v31, v23
	;; [unrolled: 1-line block ×4, first 2 shown]
	v_pk_min_f16 v84, v52, v125
	v_pk_min_f16 v59, v36, v40
	;; [unrolled: 1-line block ×9, first 2 shown]
	ds_store_b16 v72, v11 offset:2048
	ds_store_b16 v72, v12 offset:2560
	;; [unrolled: 1-line block ×5, first 2 shown]
	s_waitcnt lgkmcnt(0)
	s_barrier
	buffer_gl0_inv
	s_cbranch_scc1 .LBB230_52
; %bb.30:
	v_mad_i64_i32 v[10:11], null, v9, s27, 0
	v_lshlrev_b64 v[32:33], 1, v[0:1]
	v_lshlrev_b64 v[34:35], 1, v[2:3]
	;; [unrolled: 1-line block ×4, first 2 shown]
	v_add_nc_u32_e32 v80, 0x1000, v15
	v_add_nc_u32_e32 v109, 0x1000, v46
	v_lshlrev_b64 v[9:10], 1, v[10:11]
	v_add_nc_u32_e32 v110, 0x1200, v15
	v_or_b32_e32 v111, 0x800, v72
	v_lshl_add_u32 v112, v42, 3, 0x1200
	v_lshl_add_u32 v113, v43, 3, 0x800
	v_add_co_u32 v0, s6, v9, v8
	s_delay_alu instid0(VALU_DEP_1) | instskip(NEXT) | instid1(VALU_DEP_2)
	v_add_co_ci_u32_e64 v1, s6, 0, v10, s6
	v_add_co_u32 v0, s6, v0, s20
	s_delay_alu instid0(VALU_DEP_1) | instskip(SKIP_1) | instid1(VALU_DEP_2)
	v_add_co_ci_u32_e64 v1, s6, s21, v1, s6
	s_add_i32 s20, s18, -8
	v_add_co_u32 v40, s6, v0, 24
	s_delay_alu instid0(VALU_DEP_1)
	v_add_co_ci_u32_e64 v41, s6, 0, v1, s6
	s_mov_b32 s21, 0
	s_branch .LBB230_32
.LBB230_31:                             ;   in Loop: Header=BB230_32 Depth=1
	s_or_b32 exec_lo, exec_lo, s7
	ds_load_2addr_b64 v[123:126], v109 offset1:8
	ds_load_2addr_b64 v[87:90], v47 offset1:32
	ds_load_2addr_b64 v[127:130], v109 offset0:16 offset1:24
	ds_load_2addr_b64 v[131:134], v109 offset0:32 offset1:40
	;; [unrolled: 1-line block ×6, first 2 shown]
	v_pk_max_f16 v11, v85, v85
	v_pk_max_f16 v15, v83, v83
	;; [unrolled: 1-line block ×13, first 2 shown]
	s_waitcnt lgkmcnt(6)
	v_pk_add_f16 v83, v123, v87
	v_pk_add_f16 v84, v125, v87
	s_waitcnt lgkmcnt(5)
	v_pk_add_f16 v85, v127, v87
	v_pk_add_f16 v86, v129, v87
	;; [unrolled: 3-line block ×4, first 2 shown]
	v_pk_min_f16 v11, v11, v83
	v_pk_min_f16 v15, v15, v84
	;; [unrolled: 1-line block ×5, first 2 shown]
	v_pk_add_f16 v83, v123, v89
	v_pk_add_f16 v84, v125, v89
	;; [unrolled: 1-line block ×5, first 2 shown]
	v_pk_min_f16 v70, v70, v83
	v_pk_min_f16 v78, v78, v84
	v_pk_min_f16 v76, v76, v85
	v_pk_min_f16 v75, v75, v86
	v_pk_min_f16 v73, v73, v87
	v_pk_add_f16 v83, v133, v89
	v_pk_add_f16 v84, v135, v89
	v_pk_max_f16 v74, v74, v74
	v_pk_add_f16 v85, v137, v89
	v_pk_max_f16 v71, v71, v71
	s_waitcnt lgkmcnt(2)
	v_pk_add_f16 v86, v123, v139
	v_pk_max_f16 v69, v69, v69
	v_pk_add_f16 v87, v125, v139
	v_pk_max_f16 v67, v67, v67
	v_pk_min_f16 v65, v65, v83
	v_pk_min_f16 v74, v74, v84
	v_pk_min_f16 v71, v71, v85
	v_pk_min_f16 v69, v69, v86
	v_pk_min_f16 v67, v67, v87
	v_pk_add_f16 v83, v127, v139
	v_pk_max_f16 v60, v60, v60
	v_pk_add_f16 v84, v129, v139
	v_pk_max_f16 v68, v68, v68
	v_pk_add_f16 v85, v131, v139
	v_pk_max_f16 v66, v66, v66
	v_pk_add_f16 v86, v133, v139
	v_pk_max_f16 v64, v64, v64
	v_pk_add_f16 v87, v135, v139
	v_pk_max_f16 v62, v62, v62
	v_pk_min_f16 v60, v60, v83
	v_pk_min_f16 v68, v68, v84
	v_pk_min_f16 v66, v66, v85
	v_pk_min_f16 v64, v64, v86
	v_pk_min_f16 v62, v62, v87
	v_pk_add_f16 v83, v137, v139
	v_pk_max_f16 v55, v55, v55
	v_pk_add_f16 v84, v123, v141
	v_pk_max_f16 v63, v63, v63
	v_pk_add_f16 v85, v125, v141
	v_pk_max_f16 v61, v61, v61
	;; [unrolled: 15-line block ×3, first 2 shown]
	v_pk_add_f16 v86, v137, v141
	v_pk_max_f16 v54, v54, v54
	s_waitcnt lgkmcnt(1)
	v_pk_add_f16 v87, v123, v143
	v_pk_max_f16 v52, v52, v52
	v_pk_min_f16 v50, v50, v83
	v_pk_min_f16 v58, v58, v84
	v_pk_min_f16 v56, v56, v85
	v_pk_min_f16 v54, v54, v86
	v_pk_min_f16 v52, v52, v87
	v_pk_add_f16 v83, v125, v143
	v_pk_max_f16 v29, v29, v29
	v_pk_add_f16 v84, v127, v143
	v_pk_max_f16 v53, v53, v53
	v_pk_add_f16 v85, v129, v143
	v_pk_max_f16 v51, v51, v51
	v_pk_add_f16 v86, v131, v143
	v_pk_max_f16 v49, v49, v49
	v_pk_add_f16 v87, v133, v143
	v_pk_max_f16 v31, v31, v31
	v_pk_min_f16 v29, v29, v83
	v_pk_min_f16 v53, v53, v84
	v_pk_min_f16 v51, v51, v85
	v_pk_min_f16 v49, v49, v86
	v_pk_min_f16 v31, v31, v87
	v_pk_add_f16 v83, v135, v143
	v_pk_max_f16 v24, v24, v24
	v_pk_add_f16 v84, v137, v143
	v_pk_max_f16 v48, v48, v48
	v_pk_add_f16 v85, v123, v145
	v_pk_max_f16 v30, v30, v30
	v_pk_add_f16 v86, v125, v145
	v_pk_max_f16 v28, v28, v28
	;; [unrolled: 15-line block ×3, first 2 shown]
	v_pk_add_f16 v87, v137, v145
	v_pk_max_f16 v21, v21, v21
	v_pk_min_f16 v18, v18, v83
	v_pk_min_f16 v27, v27, v84
	;; [unrolled: 1-line block ×5, first 2 shown]
	s_waitcnt lgkmcnt(0)
	v_pk_add_f16 v83, v123, v147
	v_pk_max_f16 v10, v10, v10
	v_pk_add_f16 v84, v125, v147
	v_pk_max_f16 v22, v22, v22
	;; [unrolled: 2-line block ×5, first 2 shown]
	v_pk_min_f16 v10, v10, v83
	v_pk_min_f16 v22, v22, v84
	;; [unrolled: 1-line block ×5, first 2 shown]
	v_pk_add_f16 v83, v133, v147
	v_pk_max_f16 v6, v6, v6
	v_pk_add_f16 v84, v135, v147
	v_pk_max_f16 v13, v13, v13
	;; [unrolled: 2-line block ×5, first 2 shown]
	v_pk_min_f16 v6, v6, v83
	v_pk_min_f16 v13, v13, v84
	;; [unrolled: 1-line block ×5, first 2 shown]
	v_pk_add_f16 v83, v127, v149
	v_pk_max_f16 v2, v2, v2
	v_pk_add_f16 v84, v129, v149
	v_pk_max_f16 v7, v7, v7
	v_pk_add_f16 v85, v131, v149
	v_pk_max_f16 v5, v5, v5
	v_pk_add_f16 v86, v133, v149
	v_pk_max_f16 v4, v4, v4
	v_pk_add_f16 v87, v135, v149
	v_pk_max_f16 v3, v3, v3
	v_pk_max_f16 v82, v82, v82
	v_pk_min_f16 v2, v2, v83
	v_pk_min_f16 v7, v7, v84
	;; [unrolled: 1-line block ×5, first 2 shown]
	v_pk_add_f16 v83, v137, v149
	v_pk_max_f16 v1, v1, v1
	v_pk_add_f16 v84, v124, v88
	v_pk_add_f16 v85, v126, v88
	;; [unrolled: 1-line block ×4, first 2 shown]
	v_pk_min_f16 v79, v79, v91
	v_pk_min_f16 v81, v81, v92
	;; [unrolled: 1-line block ×8, first 2 shown]
	v_pk_add_f16 v11, v132, v88
	v_pk_add_f16 v15, v134, v88
	v_pk_add_f16 v17, v136, v88
	v_pk_add_f16 v19, v138, v88
	v_pk_add_f16 v83, v124, v90
	v_pk_min_f16 v114, v79, v11
	v_pk_min_f16 v108, v81, v15
	v_pk_min_f16 v107, v82, v17
	v_pk_min_f16 v106, v77, v19
	v_pk_min_f16 v105, v70, v83
	v_pk_add_f16 v11, v126, v90
	v_pk_add_f16 v15, v128, v90
	v_pk_add_f16 v17, v130, v90
	v_pk_add_f16 v19, v132, v90
	v_pk_add_f16 v70, v134, v90
	v_pk_min_f16 v104, v78, v11
	v_pk_min_f16 v103, v76, v15
	v_pk_min_f16 v102, v75, v17
	v_pk_min_f16 v101, v73, v19
	v_pk_min_f16 v100, v65, v70
	;; [unrolled: 10-line block ×11, first 2 shown]
	v_pk_add_f16 v2, v130, v150
	v_pk_add_f16 v6, v132, v150
	v_pk_add_f16 v8, v134, v150
	v_pk_add_f16 v9, v136, v150
	v_pk_add_f16 v10, v138, v150
	v_add_co_u32 v40, s6, v40, 16
	v_pk_min_f16 v52, v7, v2
	v_pk_min_f16 v51, v5, v6
	v_pk_min_f16 v50, v4, v8
	v_pk_min_f16 v49, v3, v9
	v_pk_min_f16 v48, v1, v10
	v_add_co_ci_u32_e64 v41, s6, 0, v41, s6
	s_add_i32 s21, s21, 8
	ds_store_b16 v110, v119
	ds_store_b16 v111, v120
	ds_store_b16 v111, v121 offset:512
	ds_store_b16 v111, v122 offset:1024
	;; [unrolled: 1-line block ×3, first 2 shown]
	s_cmp_ge_i32 s21, s20
	s_waitcnt lgkmcnt(0)
	s_barrier
	buffer_gl0_inv
	s_cbranch_scc1 .LBB230_52
.LBB230_32:                             ; =>This Inner Loop Header: Depth=1
	v_add_nc_u32_e32 v119, s21, v44
	s_delay_alu instid0(VALU_DEP_1) | instskip(NEXT) | instid1(VALU_DEP_1)
	v_add_nc_u32_e32 v0, 8, v119
	v_cmp_le_i32_e64 s6, s18, v0
	s_delay_alu instid0(VALU_DEP_1) | instskip(NEXT) | instid1(SALU_CYCLE_1)
	s_or_b32 s6, s6, vcc_lo
	v_cndmask_b32_e64 v121, 0, 0x7c00, s6
	s_or_b32 s6, s25, s6
	s_delay_alu instid0(SALU_CYCLE_1) | instskip(NEXT) | instid1(SALU_CYCLE_1)
	s_xor_b32 s6, s6, -1
	s_and_saveexec_b32 s7, s6
	s_cbranch_execz .LBB230_34
; %bb.33:                               ;   in Loop: Header=BB230_32 Depth=1
	v_add_co_u32 v0, s6, -8, v40
	s_delay_alu instid0(VALU_DEP_1)
	v_add_co_ci_u32_e64 v1, s6, -1, v41, s6
	flat_load_u16 v0, v[0:1]
	s_waitcnt vmcnt(0) lgkmcnt(0)
	v_mul_f16_e32 v121, s19, v0
.LBB230_34:                             ;   in Loop: Header=BB230_32 Depth=1
	s_or_b32 exec_lo, exec_lo, s7
	v_add_nc_u32_e32 v120, s21, v45
	s_delay_alu instid0(VALU_DEP_1) | instskip(NEXT) | instid1(VALU_DEP_1)
	v_add_nc_u32_e32 v2, 8, v120
	v_min_i32_e32 v3, s26, v2
	v_cmp_le_i32_e64 s6, s18, v2
	s_delay_alu instid0(VALU_DEP_2) | instskip(NEXT) | instid1(VALU_DEP_1)
	v_mad_i64_i32 v[0:1], null, v3, s14, 0
	v_lshlrev_b64 v[0:1], 1, v[0:1]
	s_delay_alu instid0(VALU_DEP_1) | instskip(NEXT) | instid1(VALU_DEP_1)
	v_add_co_u32 v0, s7, s8, v0
	v_add_co_ci_u32_e64 v1, s7, s9, v1, s7
	s_or_b32 s7, s2, s6
	s_delay_alu instid0(SALU_CYCLE_1) | instskip(SKIP_1) | instid1(SALU_CYCLE_1)
	v_cndmask_b32_e64 v122, 0, 0x7c00, s7
	s_or_b32 s7, s25, s7
	s_xor_b32 s7, s7, -1
	s_delay_alu instid0(SALU_CYCLE_1)
	s_and_saveexec_b32 s27, s7
	s_cbranch_execz .LBB230_36
; %bb.35:                               ;   in Loop: Header=BB230_32 Depth=1
	v_add_co_u32 v2, s7, v0, v32
	s_delay_alu instid0(VALU_DEP_1)
	v_add_co_ci_u32_e64 v3, s7, v1, v33, s7
	flat_load_u16 v2, v[2:3]
	s_waitcnt vmcnt(0) lgkmcnt(0)
	v_mul_f16_e32 v122, s19, v2
.LBB230_36:                             ;   in Loop: Header=BB230_32 Depth=1
	s_or_b32 exec_lo, exec_lo, s27
	s_or_b32 s7, s3, s6
	s_delay_alu instid0(SALU_CYCLE_1) | instskip(SKIP_1) | instid1(SALU_CYCLE_1)
	v_cndmask_b32_e64 v123, 0, 0x7c00, s7
	s_or_b32 s7, s25, s7
	s_xor_b32 s7, s7, -1
	s_delay_alu instid0(SALU_CYCLE_1)
	s_and_saveexec_b32 s27, s7
	s_cbranch_execz .LBB230_38
; %bb.37:                               ;   in Loop: Header=BB230_32 Depth=1
	v_add_co_u32 v2, s7, v0, v34
	s_delay_alu instid0(VALU_DEP_1)
	v_add_co_ci_u32_e64 v3, s7, v1, v35, s7
	flat_load_u16 v2, v[2:3]
	s_waitcnt vmcnt(0) lgkmcnt(0)
	v_mul_f16_e32 v123, s19, v2
.LBB230_38:                             ;   in Loop: Header=BB230_32 Depth=1
	s_or_b32 exec_lo, exec_lo, s27
	s_or_b32 s7, s4, s6
	s_delay_alu instid0(SALU_CYCLE_1) | instskip(SKIP_1) | instid1(SALU_CYCLE_1)
	v_cndmask_b32_e64 v124, 0, 0x7c00, s7
	s_or_b32 s7, s25, s7
	s_xor_b32 s7, s7, -1
	s_delay_alu instid0(SALU_CYCLE_1)
	s_and_saveexec_b32 s27, s7
	s_cbranch_execz .LBB230_40
; %bb.39:                               ;   in Loop: Header=BB230_32 Depth=1
	v_add_co_u32 v2, s7, v0, v36
	s_delay_alu instid0(VALU_DEP_1)
	v_add_co_ci_u32_e64 v3, s7, v1, v37, s7
	flat_load_u16 v2, v[2:3]
	s_waitcnt vmcnt(0) lgkmcnt(0)
	v_mul_f16_e32 v124, s19, v2
.LBB230_40:                             ;   in Loop: Header=BB230_32 Depth=1
	s_or_b32 exec_lo, exec_lo, s27
	s_or_b32 s6, s5, s6
	s_delay_alu instid0(SALU_CYCLE_1) | instskip(SKIP_1) | instid1(SALU_CYCLE_1)
	v_cndmask_b32_e64 v125, 0, 0x7c00, s6
	s_or_b32 s6, s25, s6
	s_xor_b32 s6, s6, -1
	s_delay_alu instid0(SALU_CYCLE_1)
	s_and_saveexec_b32 s7, s6
	s_cbranch_execz .LBB230_42
; %bb.41:                               ;   in Loop: Header=BB230_32 Depth=1
	v_add_co_u32 v0, s6, v0, v38
	s_delay_alu instid0(VALU_DEP_1)
	v_add_co_ci_u32_e64 v1, s6, v1, v39, s6
	flat_load_u16 v0, v[0:1]
	s_waitcnt vmcnt(0) lgkmcnt(0)
	v_mul_f16_e32 v125, s19, v0
.LBB230_42:                             ;   in Loop: Header=BB230_32 Depth=1
	s_or_b32 exec_lo, exec_lo, s7
	ds_load_2addr_b64 v[12:15], v112 offset1:8
	ds_load_2addr_b64 v[8:11], v112 offset0:16 offset1:24
	ds_load_2addr_b64 v[4:7], v112 offset0:32 offset1:40
	;; [unrolled: 1-line block ×3, first 2 shown]
	ds_load_2addr_b64 v[28:31], v113 offset1:32
	ds_load_2addr_b64 v[24:27], v113 offset0:64 offset1:96
	ds_load_2addr_b64 v[20:23], v113 offset0:128 offset1:160
	;; [unrolled: 1-line block ×3, first 2 shown]
	v_add_nc_u32_e32 v119, 12, v119
	ds_store_b16 v80, v121
	ds_store_b16 v72, v122
	ds_store_b16 v72, v123 offset:512
	ds_store_b16 v72, v124 offset:1024
	;; [unrolled: 1-line block ×3, first 2 shown]
	s_waitcnt lgkmcnt(0)
	s_barrier
	buffer_gl0_inv
	v_cmp_le_i32_e64 s6, s18, v119
	s_delay_alu instid0(VALU_DEP_1) | instskip(NEXT) | instid1(SALU_CYCLE_1)
	s_or_b32 s6, s6, vcc_lo
	v_cndmask_b32_e64 v119, 0, 0x7c00, s6
	s_or_b32 s6, s25, s6
	s_delay_alu instid0(SALU_CYCLE_1) | instskip(NEXT) | instid1(SALU_CYCLE_1)
	s_xor_b32 s6, s6, -1
	s_and_saveexec_b32 s7, s6
	s_delay_alu instid0(SALU_CYCLE_1)
	s_xor_b32 s6, exec_lo, s7
	s_cbranch_execz .LBB230_44
; %bb.43:                               ;   in Loop: Header=BB230_32 Depth=1
	flat_load_u16 v119, v[40:41]
	s_waitcnt vmcnt(0) lgkmcnt(0)
	v_mul_f16_e32 v119, s19, v119
.LBB230_44:                             ;   in Loop: Header=BB230_32 Depth=1
	s_or_b32 exec_lo, exec_lo, s6
	v_add_nc_u32_e32 v122, 12, v120
	s_delay_alu instid0(VALU_DEP_1) | instskip(SKIP_1) | instid1(VALU_DEP_2)
	v_min_i32_e32 v123, s26, v122
	v_cmp_le_i32_e64 s6, s18, v122
	v_mad_i64_i32 v[120:121], null, v123, s14, 0
	s_delay_alu instid0(VALU_DEP_1) | instskip(NEXT) | instid1(VALU_DEP_1)
	v_lshlrev_b64 v[120:121], 1, v[120:121]
	v_add_co_u32 v123, s7, s8, v120
	s_delay_alu instid0(VALU_DEP_1) | instskip(SKIP_1) | instid1(SALU_CYCLE_1)
	v_add_co_ci_u32_e64 v124, s7, s9, v121, s7
	s_or_b32 s7, s2, s6
	v_cndmask_b32_e64 v120, 0, 0x7c00, s7
	s_or_b32 s7, s25, s7
	s_delay_alu instid0(SALU_CYCLE_1) | instskip(NEXT) | instid1(SALU_CYCLE_1)
	s_xor_b32 s7, s7, -1
	s_and_saveexec_b32 s27, s7
	s_cbranch_execz .LBB230_46
; %bb.45:                               ;   in Loop: Header=BB230_32 Depth=1
	v_add_co_u32 v120, s7, v123, v32
	s_delay_alu instid0(VALU_DEP_1)
	v_add_co_ci_u32_e64 v121, s7, v124, v33, s7
	flat_load_u16 v120, v[120:121]
	s_waitcnt vmcnt(0) lgkmcnt(0)
	v_mul_f16_e32 v120, s19, v120
.LBB230_46:                             ;   in Loop: Header=BB230_32 Depth=1
	s_or_b32 exec_lo, exec_lo, s27
	s_or_b32 s7, s3, s6
	s_delay_alu instid0(SALU_CYCLE_1) | instskip(SKIP_1) | instid1(SALU_CYCLE_1)
	v_cndmask_b32_e64 v121, 0, 0x7c00, s7
	s_or_b32 s7, s25, s7
	s_xor_b32 s7, s7, -1
	s_delay_alu instid0(SALU_CYCLE_1)
	s_and_saveexec_b32 s27, s7
	s_cbranch_execz .LBB230_48
; %bb.47:                               ;   in Loop: Header=BB230_32 Depth=1
	v_add_co_u32 v121, s7, v123, v34
	s_delay_alu instid0(VALU_DEP_1)
	v_add_co_ci_u32_e64 v122, s7, v124, v35, s7
	flat_load_u16 v121, v[121:122]
	s_waitcnt vmcnt(0) lgkmcnt(0)
	v_mul_f16_e32 v121, s19, v121
.LBB230_48:                             ;   in Loop: Header=BB230_32 Depth=1
	s_or_b32 exec_lo, exec_lo, s27
	s_or_b32 s7, s4, s6
	s_delay_alu instid0(SALU_CYCLE_1) | instskip(SKIP_1) | instid1(SALU_CYCLE_1)
	v_cndmask_b32_e64 v122, 0, 0x7c00, s7
	s_or_b32 s7, s25, s7
	s_xor_b32 s7, s7, -1
	s_delay_alu instid0(SALU_CYCLE_1)
	s_and_saveexec_b32 s27, s7
	s_cbranch_execz .LBB230_50
; %bb.49:                               ;   in Loop: Header=BB230_32 Depth=1
	v_add_co_u32 v125, s7, v123, v36
	s_delay_alu instid0(VALU_DEP_1)
	v_add_co_ci_u32_e64 v126, s7, v124, v37, s7
	flat_load_u16 v122, v[125:126]
	s_waitcnt vmcnt(0) lgkmcnt(0)
	v_mul_f16_e32 v122, s19, v122
.LBB230_50:                             ;   in Loop: Header=BB230_32 Depth=1
	s_or_b32 exec_lo, exec_lo, s27
	v_pk_add_f16 v125, v12, v28
	v_pk_max_f16 v118, v118, v118
	v_pk_add_f16 v126, v14, v28
	v_pk_max_f16 v117, v117, v117
	;; [unrolled: 2-line block ×3, first 2 shown]
	v_pk_min_f16 v118, v118, v125
	v_pk_add_f16 v125, v10, v28
	v_pk_min_f16 v117, v117, v126
	v_pk_max_f16 v115, v115, v115
	v_pk_min_f16 v116, v116, v127
	v_pk_add_f16 v126, v4, v28
	v_pk_max_f16 v114, v114, v114
	v_pk_add_f16 v127, v6, v28
	v_pk_add_f16 v128, v0, v28
	;; [unrolled: 1-line block ×3, first 2 shown]
	v_pk_max_f16 v106, v106, v106
	v_pk_max_f16 v108, v108, v108
	;; [unrolled: 1-line block ×3, first 2 shown]
	v_pk_min_f16 v115, v115, v125
	v_pk_min_f16 v114, v114, v126
	;; [unrolled: 1-line block ×3, first 2 shown]
	v_pk_add_f16 v106, v12, v30
	v_pk_max_f16 v105, v105, v105
	v_pk_add_f16 v125, v14, v30
	v_pk_max_f16 v104, v104, v104
	;; [unrolled: 2-line block ×3, first 2 shown]
	v_pk_min_f16 v108, v108, v127
	v_pk_min_f16 v107, v107, v128
	v_pk_add_f16 v127, v10, v30
	v_pk_max_f16 v102, v102, v102
	v_pk_add_f16 v128, v4, v30
	v_pk_min_f16 v105, v105, v106
	v_pk_min_f16 v104, v104, v125
	;; [unrolled: 1-line block ×3, first 2 shown]
	v_pk_add_f16 v106, v6, v30
	v_pk_max_f16 v100, v100, v100
	v_pk_add_f16 v125, v0, v30
	v_pk_add_f16 v30, v2, v30
	v_pk_max_f16 v98, v98, v98
	v_pk_add_f16 v126, v12, v24
	v_pk_max_f16 v97, v97, v97
	v_pk_min_f16 v102, v102, v127
	v_pk_max_f16 v99, v99, v99
	v_pk_add_f16 v127, v14, v24
	v_pk_max_f16 v96, v96, v96
	v_pk_min_f16 v100, v100, v106
	v_pk_min_f16 v30, v98, v30
	;; [unrolled: 1-line block ×3, first 2 shown]
	v_pk_add_f16 v98, v8, v24
	v_pk_max_f16 v95, v95, v95
	v_pk_add_f16 v106, v10, v24
	v_pk_max_f16 v94, v94, v94
	;; [unrolled: 2-line block ×3, first 2 shown]
	v_pk_min_f16 v99, v99, v125
	v_pk_min_f16 v96, v96, v127
	v_pk_add_f16 v125, v4, v24
	v_pk_max_f16 v93, v93, v93
	v_pk_add_f16 v127, v0, v24
	v_pk_min_f16 v95, v95, v98
	v_pk_min_f16 v94, v94, v106
	;; [unrolled: 1-line block ×3, first 2 shown]
	v_pk_add_f16 v24, v2, v24
	v_pk_max_f16 v90, v90, v90
	v_pk_add_f16 v98, v12, v26
	v_pk_max_f16 v89, v89, v89
	;; [unrolled: 2-line block ×4, first 2 shown]
	v_pk_min_f16 v93, v93, v125
	v_pk_add_f16 v125, v8, v26
	v_pk_max_f16 v87, v87, v87
	v_pk_min_f16 v24, v90, v24
	v_pk_min_f16 v89, v89, v98
	;; [unrolled: 1-line block ×4, first 2 shown]
	v_pk_add_f16 v86, v4, v26
	v_pk_max_f16 v85, v85, v85
	v_pk_add_f16 v98, v6, v26
	v_pk_max_f16 v84, v84, v84
	;; [unrolled: 2-line block ×4, first 2 shown]
	v_pk_max_f16 v101, v101, v101
	v_pk_min_f16 v87, v87, v125
	v_pk_add_f16 v125, v12, v20
	v_pk_max_f16 v81, v81, v81
	v_pk_min_f16 v126, v85, v86
	v_pk_min_f16 v98, v84, v98
	;; [unrolled: 1-line block ×4, first 2 shown]
	v_pk_add_f16 v82, v8, v20
	v_pk_max_f16 v78, v78, v78
	v_pk_add_f16 v83, v10, v20
	v_pk_max_f16 v77, v77, v77
	;; [unrolled: 2-line block ×4, first 2 shown]
	v_pk_min_f16 v101, v101, v128
	v_pk_min_f16 v125, v81, v125
	v_pk_add_f16 v81, v14, v20
	v_pk_min_f16 v128, v78, v82
	v_pk_min_f16 v129, v77, v83
	;; [unrolled: 1-line block ×4, first 2 shown]
	v_pk_add_f16 v75, v0, v20
	v_pk_add_f16 v20, v2, v20
	v_pk_max_f16 v73, v73, v73
	v_pk_add_f16 v76, v12, v22
	v_pk_max_f16 v71, v71, v71
	;; [unrolled: 2-line block ×4, first 2 shown]
	v_pk_min_f16 v20, v73, v20
	v_pk_min_f16 v133, v71, v76
	;; [unrolled: 1-line block ×3, first 2 shown]
	v_pk_max_f16 v68, v68, v68
	v_pk_min_f16 v135, v69, v78
	v_pk_add_f16 v69, v10, v22
	v_pk_add_f16 v70, v4, v22
	;; [unrolled: 1-line block ×5, first 2 shown]
	v_pk_max_f16 v64, v64, v64
	v_pk_max_f16 v67, v67, v67
	;; [unrolled: 1-line block ×4, first 2 shown]
	v_pk_min_f16 v136, v68, v69
	v_pk_min_f16 v22, v64, v22
	v_pk_add_f16 v64, v12, v16
	v_pk_add_f16 v68, v4, v16
	v_pk_max_f16 v59, v59, v59
	v_pk_add_f16 v12, v12, v18
	v_pk_max_f16 v55, v55, v55
	v_pk_min_f16 v137, v67, v70
	v_pk_min_f16 v138, v66, v71
	;; [unrolled: 1-line block ×3, first 2 shown]
	v_pk_add_f16 v65, v14, v16
	v_pk_add_f16 v66, v8, v16
	;; [unrolled: 1-line block ×3, first 2 shown]
	v_pk_max_f16 v60, v60, v60
	v_pk_min_f16 v144, v59, v68
	v_pk_add_f16 v59, v6, v16
	v_pk_add_f16 v14, v14, v18
	v_pk_max_f16 v54, v54, v54
	v_pk_min_f16 v148, v55, v12
	v_pk_add_f16 v8, v8, v18
	v_pk_max_f16 v12, v53, v53
	v_pk_add_f16 v6, v6, v18
	v_pk_max_f16 v50, v50, v50
	v_pk_min_f16 v143, v60, v67
	v_pk_add_f16 v60, v0, v16
	v_pk_add_f16 v16, v2, v16
	v_pk_min_f16 v149, v54, v14
	v_pk_add_f16 v10, v10, v18
	v_pk_max_f16 v14, v52, v52
	v_pk_min_f16 v150, v12, v8
	v_pk_min_f16 v152, v50, v6
	v_pk_add_f16 v2, v2, v18
	v_pk_max_f16 v6, v48, v48
	v_pk_add_f16 v8, v13, v29
	v_pk_max_f16 v91, v91, v91
	v_pk_max_f16 v79, v79, v79
	v_pk_min_f16 v151, v14, v10
	v_pk_add_f16 v10, v15, v29
	v_pk_add_f16 v12, v9, v29
	v_pk_min_f16 v153, v6, v2
	v_pk_min_f16 v85, v118, v8
	v_pk_add_f16 v2, v5, v29
	v_pk_add_f16 v8, v1, v29
	v_pk_min_f16 v91, v91, v127
	v_pk_min_f16 v127, v79, v81
	v_pk_max_f16 v74, v74, v74
	v_pk_min_f16 v83, v117, v10
	v_pk_min_f16 v81, v116, v12
	v_pk_add_f16 v6, v7, v29
	v_pk_add_f16 v10, v3, v29
	;; [unrolled: 1-line block ×3, first 2 shown]
	v_pk_min_f16 v86, v114, v2
	v_pk_min_f16 v82, v107, v8
	v_pk_add_f16 v2, v15, v31
	v_pk_add_f16 v8, v11, v31
	v_pk_min_f16 v132, v74, v75
	v_pk_max_f16 v62, v62, v62
	v_pk_min_f16 v84, v108, v6
	v_pk_min_f16 v77, v28, v10
	;; [unrolled: 1-line block ×3, first 2 shown]
	v_pk_add_f16 v6, v9, v31
	v_pk_add_f16 v10, v5, v31
	;; [unrolled: 1-line block ×3, first 2 shown]
	v_pk_min_f16 v78, v104, v2
	v_pk_min_f16 v75, v102, v8
	v_pk_add_f16 v2, v1, v31
	v_pk_add_f16 v8, v13, v25
	v_pk_max_f16 v63, v63, v63
	v_pk_min_f16 v141, v62, v65
	v_pk_max_f16 v57, v57, v57
	v_pk_min_f16 v76, v103, v6
	v_pk_min_f16 v73, v101, v10
	;; [unrolled: 1-line block ×3, first 2 shown]
	v_pk_add_f16 v6, v3, v31
	v_pk_add_f16 v10, v15, v25
	;; [unrolled: 1-line block ×3, first 2 shown]
	v_pk_min_f16 v74, v99, v2
	v_pk_min_f16 v69, v97, v8
	v_pk_add_f16 v2, v11, v25
	v_pk_add_f16 v8, v7, v25
	v_pk_max_f16 v61, v61, v61
	v_pk_min_f16 v140, v63, v64
	v_pk_max_f16 v58, v58, v58
	v_pk_min_f16 v146, v57, v60
	v_pk_min_f16 v71, v30, v6
	;; [unrolled: 1-line block ×4, first 2 shown]
	v_pk_add_f16 v6, v5, v25
	v_pk_add_f16 v10, v1, v25
	;; [unrolled: 1-line block ×3, first 2 shown]
	v_pk_min_f16 v68, v94, v2
	v_pk_min_f16 v64, v92, v8
	v_pk_add_f16 v2, v13, v27
	v_pk_add_f16 v8, v9, v27
	v_pk_min_f16 v142, v61, v66
	v_pk_min_f16 v145, v58, v59
	;; [unrolled: 1-line block ×5, first 2 shown]
	v_pk_add_f16 v6, v15, v27
	v_pk_add_f16 v10, v11, v27
	;; [unrolled: 1-line block ×3, first 2 shown]
	v_pk_min_f16 v63, v89, v2
	v_pk_min_f16 v59, v87, v8
	v_pk_add_f16 v2, v7, v27
	v_pk_add_f16 v8, v3, v27
	v_pk_max_f16 v56, v56, v56
	v_pk_add_f16 v0, v0, v18
	v_pk_max_f16 v49, v49, v49
	v_pk_min_f16 v61, v88, v6
	v_pk_min_f16 v57, v90, v10
	;; [unrolled: 1-line block ×3, first 2 shown]
	v_pk_add_f16 v6, v1, v27
	v_pk_add_f16 v10, v13, v21
	;; [unrolled: 1-line block ×3, first 2 shown]
	v_pk_min_f16 v58, v98, v2
	v_pk_min_f16 v54, v26, v8
	v_pk_add_f16 v2, v9, v21
	v_pk_add_f16 v8, v5, v21
	v_pk_min_f16 v147, v56, v16
	v_pk_min_f16 v0, v49, v0
	v_pk_add_f16 v14, v11, v29
	v_pk_min_f16 v56, v106, v6
	v_pk_min_f16 v52, v125, v10
	;; [unrolled: 1-line block ×3, first 2 shown]
	v_pk_add_f16 v6, v11, v21
	v_pk_add_f16 v10, v7, v21
	;; [unrolled: 1-line block ×3, first 2 shown]
	v_pk_min_f16 v53, v128, v2
	v_pk_min_f16 v49, v130, v8
	v_pk_add_f16 v2, v3, v21
	v_pk_add_f16 v8, v15, v23
	v_pk_max_f16 v16, v51, v51
	v_pk_min_f16 v51, v129, v6
	v_pk_min_f16 v31, v131, v10
	;; [unrolled: 1-line block ×3, first 2 shown]
	v_pk_add_f16 v6, v13, v23
	v_pk_add_f16 v10, v9, v23
	;; [unrolled: 1-line block ×3, first 2 shown]
	v_pk_min_f16 v48, v20, v2
	v_pk_min_f16 v28, v134, v8
	v_pk_add_f16 v2, v5, v23
	v_pk_add_f16 v8, v1, v23
	;; [unrolled: 1-line block ×3, first 2 shown]
	v_pk_min_f16 v30, v133, v6
	v_pk_min_f16 v26, v135, v10
	;; [unrolled: 1-line block ×3, first 2 shown]
	v_pk_add_f16 v6, v7, v23
	v_pk_add_f16 v10, v3, v23
	;; [unrolled: 1-line block ×3, first 2 shown]
	v_pk_min_f16 v27, v137, v2
	v_pk_min_f16 v23, v139, v8
	v_pk_add_f16 v2, v15, v17
	v_pk_add_f16 v8, v11, v17
	v_pk_min_f16 v4, v16, v4
	v_pk_min_f16 v25, v138, v6
	;; [unrolled: 1-line block ×4, first 2 shown]
	v_pk_add_f16 v6, v9, v17
	v_pk_add_f16 v12, v5, v17
	;; [unrolled: 1-line block ×3, first 2 shown]
	v_pk_min_f16 v22, v141, v2
	v_pk_min_f16 v16, v143, v8
	v_pk_add_f16 v2, v1, v17
	v_pk_add_f16 v8, v3, v17
	;; [unrolled: 1-line block ×4, first 2 shown]
	v_pk_min_f16 v79, v115, v14
	v_pk_min_f16 v20, v142, v6
	;; [unrolled: 1-line block ×4, first 2 shown]
	v_pk_add_f16 v87, v9, v19
	v_pk_min_f16 v12, v147, v8
	v_pk_min_f16 v9, v148, v17
	;; [unrolled: 1-line block ×3, first 2 shown]
	v_pk_add_f16 v11, v11, v19
	v_pk_add_f16 v5, v5, v19
	;; [unrolled: 1-line block ×5, first 2 shown]
	s_or_b32 s6, s5, s6
	v_pk_min_f16 v13, v146, v2
	v_pk_min_f16 v2, v150, v87
	;; [unrolled: 1-line block ×7, first 2 shown]
	v_cndmask_b32_e64 v0, 0, 0x7c00, s6
	s_or_b32 s6, s25, s6
	s_delay_alu instid0(SALU_CYCLE_1) | instskip(NEXT) | instid1(SALU_CYCLE_1)
	s_xor_b32 s6, s6, -1
	s_and_saveexec_b32 s7, s6
	s_cbranch_execz .LBB230_31
; %bb.51:                               ;   in Loop: Header=BB230_32 Depth=1
	v_add_co_u32 v87, s6, v123, v38
	s_delay_alu instid0(VALU_DEP_1)
	v_add_co_ci_u32_e64 v88, s6, v124, v39, s6
	flat_load_u16 v0, v[87:88]
	s_waitcnt vmcnt(0) lgkmcnt(0)
	v_mul_f16_e32 v0, s19, v0
	s_branch .LBB230_31
.LBB230_52:
	s_clause 0x2
	s_load_b32 s14, s[0:1], 0x50
	s_load_b32 s9, s[0:1], 0x68
	s_load_b64 s[2:3], s[0:1], 0x70
	v_add_nc_u32_e32 v0, 0x1000, v46
	v_add_nc_u32_e32 v80, s24, v43
	;; [unrolled: 1-line block ×4, first 2 shown]
	ds_load_2addr_b64 v[16:19], v0 offset0:64 offset1:72
	ds_load_2addr_b64 v[12:15], v0 offset0:80 offset1:88
	;; [unrolled: 1-line block ×4, first 2 shown]
	ds_load_2addr_b64 v[28:31], v4 offset1:32
	ds_load_2addr_b64 v[24:27], v4 offset0:64 offset1:96
	ds_load_2addr_b64 v[20:23], v4 offset0:128 offset1:160
	;; [unrolled: 1-line block ×3, first 2 shown]
	v_cmp_gt_i32_e64 s0, s16, v32
	v_cmp_gt_i32_e64 s8, s17, v80
	v_ashrrev_i32_e32 v33, 31, v32
	v_cndmask_b32_e64 v72, 0, 1, s22
	s_waitcnt lgkmcnt(0)
	v_mad_i64_i32 v[34:35], null, v80, s14, 0
	v_mad_i64_i32 v[36:37], null, v80, s9, 0
	s_lshl_b64 s[2:3], s[2:3], 1
	s_delay_alu instid0(SALU_CYCLE_1) | instskip(SKIP_1) | instid1(VALU_DEP_2)
	s_add_u32 s12, s12, s2
	s_addc_u32 s13, s13, s3
	v_lshlrev_b64 v[34:35], 1, v[34:35]
	s_and_b32 s1, s0, s8
	s_delay_alu instid0(VALU_DEP_2) | instskip(NEXT) | instid1(VALU_DEP_2)
	v_lshlrev_b64 v[36:37], 1, v[36:37]
	v_add_co_u32 v111, vcc_lo, s10, v34
	s_delay_alu instid0(VALU_DEP_3) | instskip(NEXT) | instid1(VALU_DEP_3)
	v_add_co_ci_u32_e32 v112, vcc_lo, s11, v35, vcc_lo
	v_add_co_u32 v109, vcc_lo, s12, v36
	s_delay_alu instid0(VALU_DEP_4) | instskip(SKIP_1) | instid1(SALU_CYCLE_1)
	v_add_co_ci_u32_e32 v110, vcc_lo, s13, v37, vcc_lo
	s_and_saveexec_b32 s2, s1
	s_xor_b32 s1, exec_lo, s2
	s_cbranch_execz .LBB230_57
; %bb.53:
	s_and_not1_b32 vcc_lo, exec_lo, s22
	s_cbranch_vccnz .LBB230_55
; %bb.54:
	v_lshlrev_b64 v[34:35], 1, v[32:33]
	s_delay_alu instid0(VALU_DEP_1) | instskip(NEXT) | instid1(VALU_DEP_2)
	v_add_co_u32 v34, vcc_lo, v111, v34
	v_add_co_ci_u32_e32 v35, vcc_lo, v112, v35, vcc_lo
	flat_load_u16 v34, v[34:35]
	s_waitcnt vmcnt(0) lgkmcnt(0)
	v_mul_f16_e32 v34, s15, v34
	s_branch .LBB230_56
.LBB230_55:
	v_mov_b32_e32 v34, 0
.LBB230_56:
	v_pk_add_f16 v35, v16, v28
	v_pk_max_f16 v36, v118, v118
	v_pk_add_f16 v37, v17, v29
	s_delay_alu instid0(VALU_DEP_2) | instskip(NEXT) | instid1(VALU_DEP_1)
	v_pk_min_f16 v35, v36, v35
	v_pk_min_f16 v37, v35, v37
	v_lshlrev_b64 v[35:36], 1, v[32:33]
	s_delay_alu instid0(VALU_DEP_2) | instskip(NEXT) | instid1(VALU_DEP_1)
	v_lshrrev_b32_e32 v38, 16, v37
	v_min3_f16 v37, v34, v37, v38
	s_delay_alu instid0(VALU_DEP_3) | instskip(NEXT) | instid1(VALU_DEP_4)
	v_add_co_u32 v34, vcc_lo, v109, v35
	v_add_co_ci_u32_e32 v35, vcc_lo, v110, v36, vcc_lo
	global_store_b16 v[34:35], v37, off
.LBB230_57:
	s_or_b32 exec_lo, exec_lo, s1
	v_add_nc_u32_e32 v34, 8, v32
	s_delay_alu instid0(VALU_DEP_1) | instskip(SKIP_1) | instid1(VALU_DEP_2)
	v_cmp_gt_i32_e64 s1, s16, v34
	v_ashrrev_i32_e32 v35, 31, v34
	s_and_b32 s3, s1, s8
	s_delay_alu instid0(SALU_CYCLE_1)
	s_and_saveexec_b32 s2, s3
	s_cbranch_execz .LBB230_62
; %bb.58:
	v_cmp_ne_u32_e32 vcc_lo, 1, v72
	s_cbranch_vccnz .LBB230_60
; %bb.59:
	v_lshlrev_b64 v[36:37], 1, v[34:35]
	s_delay_alu instid0(VALU_DEP_1) | instskip(NEXT) | instid1(VALU_DEP_2)
	v_add_co_u32 v36, vcc_lo, v111, v36
	v_add_co_ci_u32_e32 v37, vcc_lo, v112, v37, vcc_lo
	flat_load_u16 v36, v[36:37]
	s_waitcnt vmcnt(0) lgkmcnt(0)
	v_mul_f16_e32 v36, s15, v36
	s_branch .LBB230_61
.LBB230_60:
	v_mov_b32_e32 v36, 0
.LBB230_61:
	v_pk_add_f16 v37, v18, v28
	v_pk_max_f16 v38, v117, v117
	v_pk_add_f16 v39, v19, v29
	s_delay_alu instid0(VALU_DEP_2) | instskip(NEXT) | instid1(VALU_DEP_1)
	v_pk_min_f16 v37, v38, v37
	v_pk_min_f16 v39, v37, v39
	v_lshlrev_b64 v[37:38], 1, v[34:35]
	s_delay_alu instid0(VALU_DEP_2) | instskip(NEXT) | instid1(VALU_DEP_1)
	v_lshrrev_b32_e32 v40, 16, v39
	v_min3_f16 v39, v36, v39, v40
	s_delay_alu instid0(VALU_DEP_3) | instskip(NEXT) | instid1(VALU_DEP_4)
	v_add_co_u32 v36, vcc_lo, v109, v37
	v_add_co_ci_u32_e32 v37, vcc_lo, v110, v38, vcc_lo
	global_store_b16 v[36:37], v39, off
.LBB230_62:
	s_or_b32 exec_lo, exec_lo, s2
	v_add_nc_u32_e32 v36, 16, v32
	s_delay_alu instid0(VALU_DEP_1) | instskip(SKIP_1) | instid1(VALU_DEP_2)
	v_cmp_gt_i32_e64 s2, s16, v36
	v_ashrrev_i32_e32 v37, 31, v36
	s_and_b32 s4, s2, s8
	s_delay_alu instid0(SALU_CYCLE_1)
	s_and_saveexec_b32 s3, s4
	s_cbranch_execz .LBB230_67
; %bb.63:
	v_cmp_ne_u32_e32 vcc_lo, 1, v72
	s_cbranch_vccnz .LBB230_65
; %bb.64:
	v_lshlrev_b64 v[38:39], 1, v[36:37]
	s_delay_alu instid0(VALU_DEP_1) | instskip(NEXT) | instid1(VALU_DEP_2)
	v_add_co_u32 v38, vcc_lo, v111, v38
	v_add_co_ci_u32_e32 v39, vcc_lo, v112, v39, vcc_lo
	flat_load_u16 v38, v[38:39]
	s_waitcnt vmcnt(0) lgkmcnt(0)
	v_mul_f16_e32 v38, s15, v38
	s_branch .LBB230_66
.LBB230_65:
	v_mov_b32_e32 v38, 0
.LBB230_66:
	v_pk_add_f16 v39, v12, v28
	v_pk_max_f16 v40, v116, v116
	v_pk_add_f16 v41, v13, v29
	s_delay_alu instid0(VALU_DEP_2) | instskip(NEXT) | instid1(VALU_DEP_1)
	v_pk_min_f16 v39, v40, v39
	v_pk_min_f16 v41, v39, v41
	v_lshlrev_b64 v[39:40], 1, v[36:37]
	s_delay_alu instid0(VALU_DEP_2) | instskip(NEXT) | instid1(VALU_DEP_1)
	v_lshrrev_b32_e32 v42, 16, v41
	v_min3_f16 v41, v38, v41, v42
	s_delay_alu instid0(VALU_DEP_3) | instskip(NEXT) | instid1(VALU_DEP_4)
	v_add_co_u32 v38, vcc_lo, v109, v39
	v_add_co_ci_u32_e32 v39, vcc_lo, v110, v40, vcc_lo
	global_store_b16 v[38:39], v41, off
.LBB230_67:
	;; [unrolled: 39-line block ×6, first 2 shown]
	s_or_b32 exec_lo, exec_lo, s7
	v_add_nc_u32_e32 v46, 56, v32
	s_delay_alu instid0(VALU_DEP_1) | instskip(SKIP_1) | instid1(VALU_DEP_2)
	v_cmp_gt_i32_e64 s7, s16, v46
	v_ashrrev_i32_e32 v47, 31, v46
	s_and_b32 s16, s7, s8
	s_delay_alu instid0(SALU_CYCLE_1)
	s_and_saveexec_b32 s8, s16
	s_cbranch_execz .LBB230_92
; %bb.88:
	v_cmp_ne_u32_e32 vcc_lo, 1, v72
	s_cbranch_vccnz .LBB230_90
; %bb.89:
	v_lshlrev_b64 v[107:108], 1, v[46:47]
	s_delay_alu instid0(VALU_DEP_1) | instskip(NEXT) | instid1(VALU_DEP_2)
	v_add_co_u32 v107, vcc_lo, v111, v107
	v_add_co_ci_u32_e32 v108, vcc_lo, v112, v108, vcc_lo
	flat_load_u16 v107, v[107:108]
	s_waitcnt vmcnt(0) lgkmcnt(0)
	v_mul_f16_e32 v107, s15, v107
	s_branch .LBB230_91
.LBB230_90:
	v_mov_b32_e32 v107, 0
.LBB230_91:
	v_pk_add_f16 v28, v2, v28
	v_pk_max_f16 v106, v106, v106
	v_pk_add_f16 v29, v3, v29
	s_delay_alu instid0(VALU_DEP_2) | instskip(NEXT) | instid1(VALU_DEP_1)
	v_pk_min_f16 v28, v106, v28
	v_pk_min_f16 v106, v28, v29
	v_lshlrev_b64 v[28:29], 1, v[46:47]
	s_delay_alu instid0(VALU_DEP_2) | instskip(NEXT) | instid1(VALU_DEP_2)
	v_lshrrev_b32_e32 v108, 16, v106
	v_add_co_u32 v28, vcc_lo, v109, v28
	s_delay_alu instid0(VALU_DEP_3) | instskip(NEXT) | instid1(VALU_DEP_3)
	v_add_co_ci_u32_e32 v29, vcc_lo, v110, v29, vcc_lo
	v_min3_f16 v106, v107, v106, v108
	global_store_b16 v[28:29], v106, off
.LBB230_92:
	s_or_b32 exec_lo, exec_lo, s8
	v_add_nc_u32_e32 v108, 32, v80
	s_delay_alu instid0(VALU_DEP_1) | instskip(SKIP_2) | instid1(VALU_DEP_3)
	v_mad_i64_i32 v[28:29], null, v108, s14, 0
	v_mad_i64_i32 v[106:107], null, v108, s9, 0
	v_cmp_gt_i32_e64 s8, s17, v108
	v_lshlrev_b64 v[28:29], 1, v[28:29]
	s_delay_alu instid0(VALU_DEP_2) | instskip(NEXT) | instid1(VALU_DEP_3)
	s_and_b32 s18, s0, s8
	v_lshlrev_b64 v[108:109], 1, v[106:107]
	s_delay_alu instid0(VALU_DEP_2) | instskip(NEXT) | instid1(VALU_DEP_3)
	v_add_co_u32 v106, vcc_lo, s10, v28
	v_add_co_ci_u32_e32 v107, vcc_lo, s11, v29, vcc_lo
	s_delay_alu instid0(VALU_DEP_3) | instskip(NEXT) | instid1(VALU_DEP_4)
	v_add_co_u32 v28, vcc_lo, s12, v108
	v_add_co_ci_u32_e32 v29, vcc_lo, s13, v109, vcc_lo
	s_and_saveexec_b32 s16, s18
	s_cbranch_execnz .LBB230_100
; %bb.93:
	s_or_b32 exec_lo, exec_lo, s16
	s_and_b32 s18, s1, s8
	s_delay_alu instid0(SALU_CYCLE_1)
	s_and_saveexec_b32 s16, s18
	s_cbranch_execnz .LBB230_104
.LBB230_94:
	s_or_b32 exec_lo, exec_lo, s16
	s_and_b32 s18, s2, s8
	s_delay_alu instid0(SALU_CYCLE_1)
	s_and_saveexec_b32 s16, s18
	s_cbranch_execnz .LBB230_108
.LBB230_95:
	s_or_b32 exec_lo, exec_lo, s16
	s_and_b32 s18, s3, s8
	s_delay_alu instid0(SALU_CYCLE_1)
	s_and_saveexec_b32 s16, s18
	s_cbranch_execnz .LBB230_112
.LBB230_96:
	s_or_b32 exec_lo, exec_lo, s16
	s_and_b32 s18, s4, s8
	s_delay_alu instid0(SALU_CYCLE_1)
	s_and_saveexec_b32 s16, s18
	s_cbranch_execnz .LBB230_116
.LBB230_97:
	s_or_b32 exec_lo, exec_lo, s16
	s_and_b32 s18, s5, s8
	s_delay_alu instid0(SALU_CYCLE_1)
	s_and_saveexec_b32 s16, s18
	s_cbranch_execnz .LBB230_120
.LBB230_98:
	s_or_b32 exec_lo, exec_lo, s16
	s_and_b32 s18, s6, s8
	s_delay_alu instid0(SALU_CYCLE_1)
	s_and_saveexec_b32 s16, s18
	s_cbranch_execnz .LBB230_124
.LBB230_99:
	s_or_b32 exec_lo, exec_lo, s16
	s_and_b32 s16, s7, s8
	s_delay_alu instid0(SALU_CYCLE_1)
	s_and_saveexec_b32 s8, s16
	s_cbranch_execnz .LBB230_128
	s_branch .LBB230_132
.LBB230_100:
	v_cmp_ne_u32_e32 vcc_lo, 1, v72
	s_cbranch_vccnz .LBB230_102
; %bb.101:
	v_lshlrev_b64 v[108:109], 1, v[32:33]
	s_delay_alu instid0(VALU_DEP_1) | instskip(NEXT) | instid1(VALU_DEP_2)
	v_add_co_u32 v108, vcc_lo, v106, v108
	v_add_co_ci_u32_e32 v109, vcc_lo, v107, v109, vcc_lo
	flat_load_u16 v108, v[108:109]
	s_waitcnt vmcnt(0) lgkmcnt(0)
	v_mul_f16_e32 v108, s15, v108
	s_branch .LBB230_103
.LBB230_102:
	v_mov_b32_e32 v108, 0
.LBB230_103:
	v_pk_add_f16 v109, v16, v30
	v_pk_max_f16 v105, v105, v105
	v_pk_add_f16 v110, v17, v31
	s_delay_alu instid0(VALU_DEP_2) | instskip(NEXT) | instid1(VALU_DEP_1)
	v_pk_min_f16 v105, v105, v109
	v_pk_min_f16 v105, v105, v110
	v_lshlrev_b64 v[109:110], 1, v[32:33]
	s_delay_alu instid0(VALU_DEP_2) | instskip(NEXT) | instid1(VALU_DEP_1)
	v_lshrrev_b32_e32 v111, 16, v105
	v_min3_f16 v105, v108, v105, v111
	s_delay_alu instid0(VALU_DEP_3) | instskip(NEXT) | instid1(VALU_DEP_4)
	v_add_co_u32 v108, vcc_lo, v28, v109
	v_add_co_ci_u32_e32 v109, vcc_lo, v29, v110, vcc_lo
	global_store_b16 v[108:109], v105, off
	s_or_b32 exec_lo, exec_lo, s16
	s_and_b32 s18, s1, s8
	s_delay_alu instid0(SALU_CYCLE_1)
	s_and_saveexec_b32 s16, s18
	s_cbranch_execz .LBB230_94
.LBB230_104:
	v_cmp_ne_u32_e32 vcc_lo, 1, v72
	s_cbranch_vccnz .LBB230_106
; %bb.105:
	v_lshlrev_b64 v[108:109], 1, v[34:35]
	s_delay_alu instid0(VALU_DEP_1) | instskip(NEXT) | instid1(VALU_DEP_2)
	v_add_co_u32 v108, vcc_lo, v106, v108
	v_add_co_ci_u32_e32 v109, vcc_lo, v107, v109, vcc_lo
	flat_load_u16 v105, v[108:109]
	s_waitcnt vmcnt(0) lgkmcnt(0)
	v_mul_f16_e32 v105, s15, v105
	s_branch .LBB230_107
.LBB230_106:
	v_mov_b32_e32 v105, 0
.LBB230_107:
	v_pk_add_f16 v108, v18, v30
	v_pk_max_f16 v104, v104, v104
	v_pk_add_f16 v109, v19, v31
	s_delay_alu instid0(VALU_DEP_2) | instskip(NEXT) | instid1(VALU_DEP_1)
	v_pk_min_f16 v104, v104, v108
	v_pk_min_f16 v104, v104, v109
	v_lshlrev_b64 v[108:109], 1, v[34:35]
	s_delay_alu instid0(VALU_DEP_2) | instskip(NEXT) | instid1(VALU_DEP_1)
	v_lshrrev_b32_e32 v110, 16, v104
	v_min3_f16 v110, v105, v104, v110
	s_delay_alu instid0(VALU_DEP_3) | instskip(NEXT) | instid1(VALU_DEP_4)
	v_add_co_u32 v104, vcc_lo, v28, v108
	v_add_co_ci_u32_e32 v105, vcc_lo, v29, v109, vcc_lo
	global_store_b16 v[104:105], v110, off
	s_or_b32 exec_lo, exec_lo, s16
	s_and_b32 s18, s2, s8
	s_delay_alu instid0(SALU_CYCLE_1)
	s_and_saveexec_b32 s16, s18
	s_cbranch_execz .LBB230_95
.LBB230_108:
	v_cmp_ne_u32_e32 vcc_lo, 1, v72
	s_cbranch_vccnz .LBB230_110
; %bb.109:
	v_lshlrev_b64 v[104:105], 1, v[36:37]
	s_delay_alu instid0(VALU_DEP_1) | instskip(NEXT) | instid1(VALU_DEP_2)
	v_add_co_u32 v104, vcc_lo, v106, v104
	v_add_co_ci_u32_e32 v105, vcc_lo, v107, v105, vcc_lo
	flat_load_u16 v104, v[104:105]
	s_waitcnt vmcnt(0) lgkmcnt(0)
	v_mul_f16_e32 v104, s15, v104
	s_branch .LBB230_111
.LBB230_110:
	v_mov_b32_e32 v104, 0
.LBB230_111:
	v_pk_add_f16 v105, v12, v30
	v_pk_max_f16 v103, v103, v103
	v_pk_add_f16 v108, v13, v31
	s_delay_alu instid0(VALU_DEP_2) | instskip(NEXT) | instid1(VALU_DEP_1)
	v_pk_min_f16 v103, v103, v105
	v_pk_min_f16 v103, v103, v108
	v_lshlrev_b64 v[108:109], 1, v[36:37]
	s_delay_alu instid0(VALU_DEP_2) | instskip(NEXT) | instid1(VALU_DEP_1)
	v_lshrrev_b32_e32 v105, 16, v103
	v_min3_f16 v105, v104, v103, v105
	s_delay_alu instid0(VALU_DEP_3) | instskip(NEXT) | instid1(VALU_DEP_4)
	v_add_co_u32 v103, vcc_lo, v28, v108
	v_add_co_ci_u32_e32 v104, vcc_lo, v29, v109, vcc_lo
	global_store_b16 v[103:104], v105, off
	s_or_b32 exec_lo, exec_lo, s16
	s_and_b32 s18, s3, s8
	s_delay_alu instid0(SALU_CYCLE_1)
	s_and_saveexec_b32 s16, s18
	s_cbranch_execz .LBB230_96
.LBB230_112:
	v_cmp_ne_u32_e32 vcc_lo, 1, v72
	s_cbranch_vccnz .LBB230_114
; %bb.113:
	v_lshlrev_b64 v[103:104], 1, v[38:39]
	s_delay_alu instid0(VALU_DEP_1) | instskip(NEXT) | instid1(VALU_DEP_2)
	v_add_co_u32 v103, vcc_lo, v106, v103
	v_add_co_ci_u32_e32 v104, vcc_lo, v107, v104, vcc_lo
	flat_load_u16 v103, v[103:104]
	s_waitcnt vmcnt(0) lgkmcnt(0)
	v_mul_f16_e32 v103, s15, v103
	s_branch .LBB230_115
.LBB230_114:
	v_mov_b32_e32 v103, 0
.LBB230_115:
	v_pk_add_f16 v104, v14, v30
	v_pk_max_f16 v102, v102, v102
	v_pk_add_f16 v105, v15, v31
	s_delay_alu instid0(VALU_DEP_2) | instskip(NEXT) | instid1(VALU_DEP_1)
	v_pk_min_f16 v102, v102, v104
	v_pk_min_f16 v102, v102, v105
	v_lshlrev_b64 v[104:105], 1, v[38:39]
	s_delay_alu instid0(VALU_DEP_2) | instskip(NEXT) | instid1(VALU_DEP_1)
	v_lshrrev_b32_e32 v108, 16, v102
	v_min3_f16 v108, v103, v102, v108
	s_delay_alu instid0(VALU_DEP_3) | instskip(NEXT) | instid1(VALU_DEP_4)
	v_add_co_u32 v102, vcc_lo, v28, v104
	v_add_co_ci_u32_e32 v103, vcc_lo, v29, v105, vcc_lo
	global_store_b16 v[102:103], v108, off
	s_or_b32 exec_lo, exec_lo, s16
	s_and_b32 s18, s4, s8
	s_delay_alu instid0(SALU_CYCLE_1)
	s_and_saveexec_b32 s16, s18
	s_cbranch_execz .LBB230_97
.LBB230_116:
	v_cmp_ne_u32_e32 vcc_lo, 1, v72
	s_cbranch_vccnz .LBB230_118
; %bb.117:
	v_lshlrev_b64 v[102:103], 1, v[40:41]
	s_delay_alu instid0(VALU_DEP_1) | instskip(NEXT) | instid1(VALU_DEP_2)
	v_add_co_u32 v102, vcc_lo, v106, v102
	v_add_co_ci_u32_e32 v103, vcc_lo, v107, v103, vcc_lo
	flat_load_u16 v102, v[102:103]
	s_waitcnt vmcnt(0) lgkmcnt(0)
	v_mul_f16_e32 v102, s15, v102
	s_branch .LBB230_119
.LBB230_118:
	v_mov_b32_e32 v102, 0
.LBB230_119:
	v_pk_add_f16 v103, v8, v30
	v_pk_max_f16 v101, v101, v101
	v_pk_add_f16 v104, v9, v31
	s_delay_alu instid0(VALU_DEP_2) | instskip(NEXT) | instid1(VALU_DEP_1)
	v_pk_min_f16 v101, v101, v103
	v_pk_min_f16 v101, v101, v104
	v_lshlrev_b64 v[103:104], 1, v[40:41]
	s_delay_alu instid0(VALU_DEP_2) | instskip(NEXT) | instid1(VALU_DEP_1)
	v_lshrrev_b32_e32 v105, 16, v101
	v_min3_f16 v105, v102, v101, v105
	s_delay_alu instid0(VALU_DEP_3) | instskip(NEXT) | instid1(VALU_DEP_4)
	v_add_co_u32 v101, vcc_lo, v28, v103
	v_add_co_ci_u32_e32 v102, vcc_lo, v29, v104, vcc_lo
	global_store_b16 v[101:102], v105, off
	s_or_b32 exec_lo, exec_lo, s16
	s_and_b32 s18, s5, s8
	s_delay_alu instid0(SALU_CYCLE_1)
	s_and_saveexec_b32 s16, s18
	s_cbranch_execz .LBB230_98
.LBB230_120:
	v_cmp_ne_u32_e32 vcc_lo, 1, v72
	s_cbranch_vccnz .LBB230_122
; %bb.121:
	v_lshlrev_b64 v[101:102], 1, v[42:43]
	s_delay_alu instid0(VALU_DEP_1) | instskip(NEXT) | instid1(VALU_DEP_2)
	v_add_co_u32 v101, vcc_lo, v106, v101
	v_add_co_ci_u32_e32 v102, vcc_lo, v107, v102, vcc_lo
	flat_load_u16 v101, v[101:102]
	s_waitcnt vmcnt(0) lgkmcnt(0)
	v_mul_f16_e32 v101, s15, v101
	s_branch .LBB230_123
.LBB230_122:
	v_mov_b32_e32 v101, 0
.LBB230_123:
	v_pk_add_f16 v102, v10, v30
	v_pk_max_f16 v100, v100, v100
	v_pk_add_f16 v103, v11, v31
	s_delay_alu instid0(VALU_DEP_2) | instskip(NEXT) | instid1(VALU_DEP_1)
	v_pk_min_f16 v100, v100, v102
	v_pk_min_f16 v100, v100, v103
	v_lshlrev_b64 v[102:103], 1, v[42:43]
	s_delay_alu instid0(VALU_DEP_2) | instskip(NEXT) | instid1(VALU_DEP_1)
	v_lshrrev_b32_e32 v104, 16, v100
	v_min3_f16 v104, v101, v100, v104
	s_delay_alu instid0(VALU_DEP_3) | instskip(NEXT) | instid1(VALU_DEP_4)
	v_add_co_u32 v100, vcc_lo, v28, v102
	v_add_co_ci_u32_e32 v101, vcc_lo, v29, v103, vcc_lo
	global_store_b16 v[100:101], v104, off
	s_or_b32 exec_lo, exec_lo, s16
	s_and_b32 s18, s6, s8
	s_delay_alu instid0(SALU_CYCLE_1)
	s_and_saveexec_b32 s16, s18
	s_cbranch_execz .LBB230_99
.LBB230_124:
	v_cmp_ne_u32_e32 vcc_lo, 1, v72
	s_cbranch_vccnz .LBB230_126
; %bb.125:
	v_lshlrev_b64 v[100:101], 1, v[44:45]
	s_delay_alu instid0(VALU_DEP_1) | instskip(NEXT) | instid1(VALU_DEP_2)
	v_add_co_u32 v100, vcc_lo, v106, v100
	v_add_co_ci_u32_e32 v101, vcc_lo, v107, v101, vcc_lo
	flat_load_u16 v100, v[100:101]
	s_waitcnt vmcnt(0) lgkmcnt(0)
	v_mul_f16_e32 v100, s15, v100
	s_branch .LBB230_127
.LBB230_126:
	v_mov_b32_e32 v100, 0
.LBB230_127:
	v_pk_add_f16 v101, v0, v30
	v_pk_max_f16 v99, v99, v99
	v_pk_add_f16 v102, v1, v31
	s_delay_alu instid0(VALU_DEP_2) | instskip(NEXT) | instid1(VALU_DEP_1)
	v_pk_min_f16 v99, v99, v101
	v_pk_min_f16 v99, v99, v102
	v_lshlrev_b64 v[101:102], 1, v[44:45]
	s_delay_alu instid0(VALU_DEP_2) | instskip(NEXT) | instid1(VALU_DEP_1)
	v_lshrrev_b32_e32 v103, 16, v99
	v_min3_f16 v103, v100, v99, v103
	s_delay_alu instid0(VALU_DEP_3) | instskip(NEXT) | instid1(VALU_DEP_4)
	v_add_co_u32 v99, vcc_lo, v28, v101
	v_add_co_ci_u32_e32 v100, vcc_lo, v29, v102, vcc_lo
	global_store_b16 v[99:100], v103, off
	s_or_b32 exec_lo, exec_lo, s16
	s_and_b32 s16, s7, s8
	s_delay_alu instid0(SALU_CYCLE_1)
	s_and_saveexec_b32 s8, s16
	s_cbranch_execz .LBB230_132
.LBB230_128:
	v_cmp_ne_u32_e32 vcc_lo, 1, v72
	s_cbranch_vccnz .LBB230_130
; %bb.129:
	v_lshlrev_b64 v[99:100], 1, v[46:47]
	s_delay_alu instid0(VALU_DEP_1) | instskip(NEXT) | instid1(VALU_DEP_2)
	v_add_co_u32 v99, vcc_lo, v106, v99
	v_add_co_ci_u32_e32 v100, vcc_lo, v107, v100, vcc_lo
	flat_load_u16 v99, v[99:100]
	s_waitcnt vmcnt(0) lgkmcnt(0)
	v_mul_f16_e32 v99, s15, v99
	s_branch .LBB230_131
.LBB230_130:
	v_mov_b32_e32 v99, 0
.LBB230_131:
	v_pk_add_f16 v30, v2, v30
	v_pk_max_f16 v98, v98, v98
	v_pk_add_f16 v31, v3, v31
	s_delay_alu instid0(VALU_DEP_2) | instskip(NEXT) | instid1(VALU_DEP_1)
	v_pk_min_f16 v30, v98, v30
	v_pk_min_f16 v98, v30, v31
	v_lshlrev_b64 v[30:31], 1, v[46:47]
	s_delay_alu instid0(VALU_DEP_2) | instskip(NEXT) | instid1(VALU_DEP_2)
	v_lshrrev_b32_e32 v100, 16, v98
	v_add_co_u32 v28, vcc_lo, v28, v30
	s_delay_alu instid0(VALU_DEP_3) | instskip(NEXT) | instid1(VALU_DEP_3)
	v_add_co_ci_u32_e32 v29, vcc_lo, v29, v31, vcc_lo
	v_min3_f16 v98, v99, v98, v100
	global_store_b16 v[28:29], v98, off
.LBB230_132:
	s_or_b32 exec_lo, exec_lo, s8
	v_add_nc_u32_e32 v98, 64, v80
	s_delay_alu instid0(VALU_DEP_1) | instskip(SKIP_2) | instid1(VALU_DEP_3)
	v_mad_i64_i32 v[28:29], null, v98, s14, 0
	v_mad_i64_i32 v[30:31], null, v98, s9, 0
	v_cmp_gt_i32_e64 s8, s17, v98
	v_lshlrev_b64 v[28:29], 1, v[28:29]
	s_delay_alu instid0(VALU_DEP_2) | instskip(NEXT) | instid1(VALU_DEP_3)
	s_and_b32 s18, s0, s8
	v_lshlrev_b64 v[98:99], 1, v[30:31]
	s_delay_alu instid0(VALU_DEP_2) | instskip(NEXT) | instid1(VALU_DEP_3)
	v_add_co_u32 v30, vcc_lo, s10, v28
	v_add_co_ci_u32_e32 v31, vcc_lo, s11, v29, vcc_lo
	s_delay_alu instid0(VALU_DEP_3) | instskip(NEXT) | instid1(VALU_DEP_4)
	v_add_co_u32 v28, vcc_lo, s12, v98
	v_add_co_ci_u32_e32 v29, vcc_lo, s13, v99, vcc_lo
	s_and_saveexec_b32 s16, s18
	s_cbranch_execnz .LBB230_140
; %bb.133:
	s_or_b32 exec_lo, exec_lo, s16
	s_and_b32 s18, s1, s8
	s_delay_alu instid0(SALU_CYCLE_1)
	s_and_saveexec_b32 s16, s18
	s_cbranch_execnz .LBB230_144
.LBB230_134:
	s_or_b32 exec_lo, exec_lo, s16
	s_and_b32 s18, s2, s8
	s_delay_alu instid0(SALU_CYCLE_1)
	s_and_saveexec_b32 s16, s18
	s_cbranch_execnz .LBB230_148
.LBB230_135:
	s_or_b32 exec_lo, exec_lo, s16
	s_and_b32 s18, s3, s8
	s_delay_alu instid0(SALU_CYCLE_1)
	s_and_saveexec_b32 s16, s18
	s_cbranch_execnz .LBB230_152
.LBB230_136:
	s_or_b32 exec_lo, exec_lo, s16
	s_and_b32 s18, s4, s8
	s_delay_alu instid0(SALU_CYCLE_1)
	s_and_saveexec_b32 s16, s18
	s_cbranch_execnz .LBB230_156
.LBB230_137:
	s_or_b32 exec_lo, exec_lo, s16
	s_and_b32 s18, s5, s8
	s_delay_alu instid0(SALU_CYCLE_1)
	s_and_saveexec_b32 s16, s18
	s_cbranch_execnz .LBB230_160
.LBB230_138:
	s_or_b32 exec_lo, exec_lo, s16
	s_and_b32 s18, s6, s8
	s_delay_alu instid0(SALU_CYCLE_1)
	s_and_saveexec_b32 s16, s18
	s_cbranch_execnz .LBB230_164
.LBB230_139:
	s_or_b32 exec_lo, exec_lo, s16
	s_and_b32 s16, s7, s8
	s_delay_alu instid0(SALU_CYCLE_1)
	s_and_saveexec_b32 s8, s16
	s_cbranch_execnz .LBB230_168
	s_branch .LBB230_172
.LBB230_140:
	v_cmp_ne_u32_e32 vcc_lo, 1, v72
	s_cbranch_vccnz .LBB230_142
; %bb.141:
	v_lshlrev_b64 v[98:99], 1, v[32:33]
	s_delay_alu instid0(VALU_DEP_1) | instskip(NEXT) | instid1(VALU_DEP_2)
	v_add_co_u32 v98, vcc_lo, v30, v98
	v_add_co_ci_u32_e32 v99, vcc_lo, v31, v99, vcc_lo
	flat_load_u16 v98, v[98:99]
	s_waitcnt vmcnt(0) lgkmcnt(0)
	v_mul_f16_e32 v98, s15, v98
	s_branch .LBB230_143
.LBB230_142:
	v_mov_b32_e32 v98, 0
.LBB230_143:
	v_pk_add_f16 v99, v16, v24
	v_pk_max_f16 v97, v97, v97
	v_pk_add_f16 v100, v17, v25
	s_delay_alu instid0(VALU_DEP_2) | instskip(NEXT) | instid1(VALU_DEP_1)
	v_pk_min_f16 v97, v97, v99
	v_pk_min_f16 v97, v97, v100
	v_lshlrev_b64 v[99:100], 1, v[32:33]
	s_delay_alu instid0(VALU_DEP_2) | instskip(NEXT) | instid1(VALU_DEP_1)
	v_lshrrev_b32_e32 v101, 16, v97
	v_min3_f16 v101, v98, v97, v101
	s_delay_alu instid0(VALU_DEP_3) | instskip(NEXT) | instid1(VALU_DEP_4)
	v_add_co_u32 v97, vcc_lo, v28, v99
	v_add_co_ci_u32_e32 v98, vcc_lo, v29, v100, vcc_lo
	global_store_b16 v[97:98], v101, off
	s_or_b32 exec_lo, exec_lo, s16
	s_and_b32 s18, s1, s8
	s_delay_alu instid0(SALU_CYCLE_1)
	s_and_saveexec_b32 s16, s18
	s_cbranch_execz .LBB230_134
.LBB230_144:
	v_cmp_ne_u32_e32 vcc_lo, 1, v72
	s_cbranch_vccnz .LBB230_146
; %bb.145:
	v_lshlrev_b64 v[97:98], 1, v[34:35]
	s_delay_alu instid0(VALU_DEP_1) | instskip(NEXT) | instid1(VALU_DEP_2)
	v_add_co_u32 v97, vcc_lo, v30, v97
	v_add_co_ci_u32_e32 v98, vcc_lo, v31, v98, vcc_lo
	flat_load_u16 v97, v[97:98]
	s_waitcnt vmcnt(0) lgkmcnt(0)
	v_mul_f16_e32 v97, s15, v97
	s_branch .LBB230_147
.LBB230_146:
	v_mov_b32_e32 v97, 0
.LBB230_147:
	v_pk_add_f16 v98, v18, v24
	v_pk_max_f16 v96, v96, v96
	v_pk_add_f16 v99, v19, v25
	s_delay_alu instid0(VALU_DEP_2) | instskip(NEXT) | instid1(VALU_DEP_1)
	v_pk_min_f16 v96, v96, v98
	v_pk_min_f16 v96, v96, v99
	v_lshlrev_b64 v[98:99], 1, v[34:35]
	s_delay_alu instid0(VALU_DEP_2) | instskip(NEXT) | instid1(VALU_DEP_1)
	v_lshrrev_b32_e32 v100, 16, v96
	v_min3_f16 v100, v97, v96, v100
	s_delay_alu instid0(VALU_DEP_3) | instskip(NEXT) | instid1(VALU_DEP_4)
	v_add_co_u32 v96, vcc_lo, v28, v98
	v_add_co_ci_u32_e32 v97, vcc_lo, v29, v99, vcc_lo
	global_store_b16 v[96:97], v100, off
	s_or_b32 exec_lo, exec_lo, s16
	s_and_b32 s18, s2, s8
	s_delay_alu instid0(SALU_CYCLE_1)
	s_and_saveexec_b32 s16, s18
	s_cbranch_execz .LBB230_135
.LBB230_148:
	v_cmp_ne_u32_e32 vcc_lo, 1, v72
	s_cbranch_vccnz .LBB230_150
; %bb.149:
	v_lshlrev_b64 v[96:97], 1, v[36:37]
	s_delay_alu instid0(VALU_DEP_1) | instskip(NEXT) | instid1(VALU_DEP_2)
	v_add_co_u32 v96, vcc_lo, v30, v96
	v_add_co_ci_u32_e32 v97, vcc_lo, v31, v97, vcc_lo
	flat_load_u16 v96, v[96:97]
	s_waitcnt vmcnt(0) lgkmcnt(0)
	v_mul_f16_e32 v96, s15, v96
	s_branch .LBB230_151
.LBB230_150:
	v_mov_b32_e32 v96, 0
.LBB230_151:
	v_pk_add_f16 v97, v12, v24
	v_pk_max_f16 v95, v95, v95
	v_pk_add_f16 v98, v13, v25
	s_delay_alu instid0(VALU_DEP_2) | instskip(NEXT) | instid1(VALU_DEP_1)
	v_pk_min_f16 v95, v95, v97
	v_pk_min_f16 v95, v95, v98
	v_lshlrev_b64 v[97:98], 1, v[36:37]
	s_delay_alu instid0(VALU_DEP_2) | instskip(NEXT) | instid1(VALU_DEP_1)
	v_lshrrev_b32_e32 v99, 16, v95
	v_min3_f16 v99, v96, v95, v99
	s_delay_alu instid0(VALU_DEP_3) | instskip(NEXT) | instid1(VALU_DEP_4)
	v_add_co_u32 v95, vcc_lo, v28, v97
	v_add_co_ci_u32_e32 v96, vcc_lo, v29, v98, vcc_lo
	global_store_b16 v[95:96], v99, off
	s_or_b32 exec_lo, exec_lo, s16
	s_and_b32 s18, s3, s8
	s_delay_alu instid0(SALU_CYCLE_1)
	s_and_saveexec_b32 s16, s18
	s_cbranch_execz .LBB230_136
.LBB230_152:
	v_cmp_ne_u32_e32 vcc_lo, 1, v72
	s_cbranch_vccnz .LBB230_154
; %bb.153:
	v_lshlrev_b64 v[95:96], 1, v[38:39]
	s_delay_alu instid0(VALU_DEP_1) | instskip(NEXT) | instid1(VALU_DEP_2)
	v_add_co_u32 v95, vcc_lo, v30, v95
	v_add_co_ci_u32_e32 v96, vcc_lo, v31, v96, vcc_lo
	flat_load_u16 v95, v[95:96]
	s_waitcnt vmcnt(0) lgkmcnt(0)
	v_mul_f16_e32 v95, s15, v95
	s_branch .LBB230_155
.LBB230_154:
	v_mov_b32_e32 v95, 0
.LBB230_155:
	v_pk_add_f16 v96, v14, v24
	v_pk_max_f16 v94, v94, v94
	v_pk_add_f16 v97, v15, v25
	s_delay_alu instid0(VALU_DEP_2) | instskip(NEXT) | instid1(VALU_DEP_1)
	v_pk_min_f16 v94, v94, v96
	v_pk_min_f16 v94, v94, v97
	v_lshlrev_b64 v[96:97], 1, v[38:39]
	s_delay_alu instid0(VALU_DEP_2) | instskip(NEXT) | instid1(VALU_DEP_1)
	v_lshrrev_b32_e32 v98, 16, v94
	v_min3_f16 v98, v95, v94, v98
	s_delay_alu instid0(VALU_DEP_3) | instskip(NEXT) | instid1(VALU_DEP_4)
	v_add_co_u32 v94, vcc_lo, v28, v96
	v_add_co_ci_u32_e32 v95, vcc_lo, v29, v97, vcc_lo
	global_store_b16 v[94:95], v98, off
	s_or_b32 exec_lo, exec_lo, s16
	s_and_b32 s18, s4, s8
	s_delay_alu instid0(SALU_CYCLE_1)
	s_and_saveexec_b32 s16, s18
	s_cbranch_execz .LBB230_137
.LBB230_156:
	v_cmp_ne_u32_e32 vcc_lo, 1, v72
	s_cbranch_vccnz .LBB230_158
; %bb.157:
	v_lshlrev_b64 v[94:95], 1, v[40:41]
	s_delay_alu instid0(VALU_DEP_1) | instskip(NEXT) | instid1(VALU_DEP_2)
	v_add_co_u32 v94, vcc_lo, v30, v94
	v_add_co_ci_u32_e32 v95, vcc_lo, v31, v95, vcc_lo
	flat_load_u16 v94, v[94:95]
	s_waitcnt vmcnt(0) lgkmcnt(0)
	v_mul_f16_e32 v94, s15, v94
	s_branch .LBB230_159
.LBB230_158:
	v_mov_b32_e32 v94, 0
.LBB230_159:
	v_pk_add_f16 v95, v8, v24
	v_pk_max_f16 v93, v93, v93
	v_pk_add_f16 v96, v9, v25
	s_delay_alu instid0(VALU_DEP_2) | instskip(NEXT) | instid1(VALU_DEP_1)
	v_pk_min_f16 v93, v93, v95
	v_pk_min_f16 v93, v93, v96
	v_lshlrev_b64 v[95:96], 1, v[40:41]
	s_delay_alu instid0(VALU_DEP_2) | instskip(NEXT) | instid1(VALU_DEP_1)
	v_lshrrev_b32_e32 v97, 16, v93
	v_min3_f16 v97, v94, v93, v97
	s_delay_alu instid0(VALU_DEP_3) | instskip(NEXT) | instid1(VALU_DEP_4)
	v_add_co_u32 v93, vcc_lo, v28, v95
	v_add_co_ci_u32_e32 v94, vcc_lo, v29, v96, vcc_lo
	global_store_b16 v[93:94], v97, off
	s_or_b32 exec_lo, exec_lo, s16
	s_and_b32 s18, s5, s8
	s_delay_alu instid0(SALU_CYCLE_1)
	s_and_saveexec_b32 s16, s18
	s_cbranch_execz .LBB230_138
.LBB230_160:
	v_cmp_ne_u32_e32 vcc_lo, 1, v72
	s_cbranch_vccnz .LBB230_162
; %bb.161:
	v_lshlrev_b64 v[93:94], 1, v[42:43]
	s_delay_alu instid0(VALU_DEP_1) | instskip(NEXT) | instid1(VALU_DEP_2)
	v_add_co_u32 v93, vcc_lo, v30, v93
	v_add_co_ci_u32_e32 v94, vcc_lo, v31, v94, vcc_lo
	flat_load_u16 v93, v[93:94]
	s_waitcnt vmcnt(0) lgkmcnt(0)
	v_mul_f16_e32 v93, s15, v93
	s_branch .LBB230_163
.LBB230_162:
	v_mov_b32_e32 v93, 0
.LBB230_163:
	v_pk_add_f16 v94, v10, v24
	v_pk_max_f16 v92, v92, v92
	v_pk_add_f16 v95, v11, v25
	s_delay_alu instid0(VALU_DEP_2) | instskip(NEXT) | instid1(VALU_DEP_1)
	v_pk_min_f16 v92, v92, v94
	v_pk_min_f16 v92, v92, v95
	v_lshlrev_b64 v[94:95], 1, v[42:43]
	s_delay_alu instid0(VALU_DEP_2) | instskip(NEXT) | instid1(VALU_DEP_1)
	v_lshrrev_b32_e32 v96, 16, v92
	v_min3_f16 v96, v93, v92, v96
	s_delay_alu instid0(VALU_DEP_3) | instskip(NEXT) | instid1(VALU_DEP_4)
	v_add_co_u32 v92, vcc_lo, v28, v94
	v_add_co_ci_u32_e32 v93, vcc_lo, v29, v95, vcc_lo
	global_store_b16 v[92:93], v96, off
	s_or_b32 exec_lo, exec_lo, s16
	s_and_b32 s18, s6, s8
	s_delay_alu instid0(SALU_CYCLE_1)
	s_and_saveexec_b32 s16, s18
	s_cbranch_execz .LBB230_139
.LBB230_164:
	v_cmp_ne_u32_e32 vcc_lo, 1, v72
	s_cbranch_vccnz .LBB230_166
; %bb.165:
	v_lshlrev_b64 v[92:93], 1, v[44:45]
	s_delay_alu instid0(VALU_DEP_1) | instskip(NEXT) | instid1(VALU_DEP_2)
	v_add_co_u32 v92, vcc_lo, v30, v92
	v_add_co_ci_u32_e32 v93, vcc_lo, v31, v93, vcc_lo
	flat_load_u16 v92, v[92:93]
	s_waitcnt vmcnt(0) lgkmcnt(0)
	v_mul_f16_e32 v92, s15, v92
	s_branch .LBB230_167
.LBB230_166:
	v_mov_b32_e32 v92, 0
.LBB230_167:
	v_pk_add_f16 v93, v0, v24
	v_pk_max_f16 v91, v91, v91
	v_pk_add_f16 v94, v1, v25
	s_delay_alu instid0(VALU_DEP_2) | instskip(NEXT) | instid1(VALU_DEP_1)
	v_pk_min_f16 v91, v91, v93
	v_pk_min_f16 v91, v91, v94
	v_lshlrev_b64 v[93:94], 1, v[44:45]
	s_delay_alu instid0(VALU_DEP_2) | instskip(NEXT) | instid1(VALU_DEP_1)
	v_lshrrev_b32_e32 v95, 16, v91
	v_min3_f16 v95, v92, v91, v95
	s_delay_alu instid0(VALU_DEP_3) | instskip(NEXT) | instid1(VALU_DEP_4)
	v_add_co_u32 v91, vcc_lo, v28, v93
	v_add_co_ci_u32_e32 v92, vcc_lo, v29, v94, vcc_lo
	global_store_b16 v[91:92], v95, off
	s_or_b32 exec_lo, exec_lo, s16
	s_and_b32 s16, s7, s8
	s_delay_alu instid0(SALU_CYCLE_1)
	s_and_saveexec_b32 s8, s16
	s_cbranch_execz .LBB230_172
.LBB230_168:
	v_cmp_ne_u32_e32 vcc_lo, 1, v72
	s_cbranch_vccnz .LBB230_170
; %bb.169:
	v_lshlrev_b64 v[91:92], 1, v[46:47]
	s_delay_alu instid0(VALU_DEP_1) | instskip(NEXT) | instid1(VALU_DEP_2)
	v_add_co_u32 v30, vcc_lo, v30, v91
	v_add_co_ci_u32_e32 v31, vcc_lo, v31, v92, vcc_lo
	flat_load_u16 v30, v[30:31]
	s_waitcnt vmcnt(0) lgkmcnt(0)
	v_mul_f16_e32 v30, s15, v30
	s_branch .LBB230_171
.LBB230_170:
	v_mov_b32_e32 v30, 0
.LBB230_171:
	v_pk_add_f16 v24, v2, v24
	v_pk_max_f16 v31, v90, v90
	v_pk_add_f16 v25, v3, v25
	s_delay_alu instid0(VALU_DEP_2) | instskip(NEXT) | instid1(VALU_DEP_1)
	v_pk_min_f16 v24, v31, v24
	v_pk_min_f16 v31, v24, v25
	v_lshlrev_b64 v[24:25], 1, v[46:47]
	s_delay_alu instid0(VALU_DEP_2) | instskip(NEXT) | instid1(VALU_DEP_2)
	v_lshrrev_b32_e32 v90, 16, v31
	v_add_co_u32 v24, vcc_lo, v28, v24
	s_delay_alu instid0(VALU_DEP_3) | instskip(NEXT) | instid1(VALU_DEP_3)
	v_add_co_ci_u32_e32 v25, vcc_lo, v29, v25, vcc_lo
	v_min3_f16 v30, v30, v31, v90
	global_store_b16 v[24:25], v30, off
.LBB230_172:
	s_or_b32 exec_lo, exec_lo, s8
	v_add_nc_u32_e32 v30, 0x60, v80
	s_delay_alu instid0(VALU_DEP_1) | instskip(SKIP_2) | instid1(VALU_DEP_3)
	v_mad_i64_i32 v[24:25], null, v30, s14, 0
	v_mad_i64_i32 v[28:29], null, v30, s9, 0
	v_cmp_gt_i32_e64 s8, s17, v30
	v_lshlrev_b64 v[24:25], 1, v[24:25]
	s_delay_alu instid0(VALU_DEP_2) | instskip(NEXT) | instid1(VALU_DEP_3)
	s_and_b32 s18, s0, s8
	v_lshlrev_b64 v[30:31], 1, v[28:29]
	s_delay_alu instid0(VALU_DEP_2) | instskip(NEXT) | instid1(VALU_DEP_3)
	v_add_co_u32 v28, vcc_lo, s10, v24
	v_add_co_ci_u32_e32 v29, vcc_lo, s11, v25, vcc_lo
	s_delay_alu instid0(VALU_DEP_3) | instskip(NEXT) | instid1(VALU_DEP_4)
	v_add_co_u32 v24, vcc_lo, s12, v30
	v_add_co_ci_u32_e32 v25, vcc_lo, s13, v31, vcc_lo
	s_and_saveexec_b32 s16, s18
	s_cbranch_execnz .LBB230_180
; %bb.173:
	s_or_b32 exec_lo, exec_lo, s16
	s_and_b32 s18, s1, s8
	s_delay_alu instid0(SALU_CYCLE_1)
	s_and_saveexec_b32 s16, s18
	s_cbranch_execnz .LBB230_184
.LBB230_174:
	s_or_b32 exec_lo, exec_lo, s16
	s_and_b32 s18, s2, s8
	s_delay_alu instid0(SALU_CYCLE_1)
	s_and_saveexec_b32 s16, s18
	s_cbranch_execnz .LBB230_188
.LBB230_175:
	s_or_b32 exec_lo, exec_lo, s16
	s_and_b32 s18, s3, s8
	s_delay_alu instid0(SALU_CYCLE_1)
	s_and_saveexec_b32 s16, s18
	s_cbranch_execnz .LBB230_192
.LBB230_176:
	s_or_b32 exec_lo, exec_lo, s16
	s_and_b32 s18, s4, s8
	s_delay_alu instid0(SALU_CYCLE_1)
	s_and_saveexec_b32 s16, s18
	s_cbranch_execnz .LBB230_196
.LBB230_177:
	s_or_b32 exec_lo, exec_lo, s16
	s_and_b32 s18, s5, s8
	s_delay_alu instid0(SALU_CYCLE_1)
	s_and_saveexec_b32 s16, s18
	s_cbranch_execnz .LBB230_200
.LBB230_178:
	s_or_b32 exec_lo, exec_lo, s16
	s_and_b32 s18, s6, s8
	s_delay_alu instid0(SALU_CYCLE_1)
	s_and_saveexec_b32 s16, s18
	s_cbranch_execnz .LBB230_204
.LBB230_179:
	s_or_b32 exec_lo, exec_lo, s16
	s_and_b32 s16, s7, s8
	s_delay_alu instid0(SALU_CYCLE_1)
	s_and_saveexec_b32 s8, s16
	s_cbranch_execnz .LBB230_208
	s_branch .LBB230_212
.LBB230_180:
	v_cmp_ne_u32_e32 vcc_lo, 1, v72
	s_cbranch_vccnz .LBB230_182
; %bb.181:
	v_lshlrev_b64 v[30:31], 1, v[32:33]
	s_delay_alu instid0(VALU_DEP_1) | instskip(NEXT) | instid1(VALU_DEP_2)
	v_add_co_u32 v30, vcc_lo, v28, v30
	v_add_co_ci_u32_e32 v31, vcc_lo, v29, v31, vcc_lo
	flat_load_u16 v30, v[30:31]
	s_waitcnt vmcnt(0) lgkmcnt(0)
	v_mul_f16_e32 v30, s15, v30
	s_branch .LBB230_183
.LBB230_182:
	v_mov_b32_e32 v30, 0
.LBB230_183:
	v_pk_add_f16 v31, v16, v26
	v_pk_max_f16 v89, v89, v89
	v_pk_add_f16 v90, v17, v27
	s_delay_alu instid0(VALU_DEP_2) | instskip(NEXT) | instid1(VALU_DEP_1)
	v_pk_min_f16 v31, v89, v31
	v_pk_min_f16 v31, v31, v90
	v_lshlrev_b64 v[89:90], 1, v[32:33]
	s_delay_alu instid0(VALU_DEP_2) | instskip(NEXT) | instid1(VALU_DEP_1)
	v_lshrrev_b32_e32 v91, 16, v31
	v_min3_f16 v91, v30, v31, v91
	s_delay_alu instid0(VALU_DEP_3) | instskip(NEXT) | instid1(VALU_DEP_4)
	v_add_co_u32 v30, vcc_lo, v24, v89
	v_add_co_ci_u32_e32 v31, vcc_lo, v25, v90, vcc_lo
	global_store_b16 v[30:31], v91, off
	s_or_b32 exec_lo, exec_lo, s16
	s_and_b32 s18, s1, s8
	s_delay_alu instid0(SALU_CYCLE_1)
	s_and_saveexec_b32 s16, s18
	s_cbranch_execz .LBB230_174
.LBB230_184:
	v_cmp_ne_u32_e32 vcc_lo, 1, v72
	s_cbranch_vccnz .LBB230_186
; %bb.185:
	v_lshlrev_b64 v[30:31], 1, v[34:35]
	s_delay_alu instid0(VALU_DEP_1) | instskip(NEXT) | instid1(VALU_DEP_2)
	v_add_co_u32 v30, vcc_lo, v28, v30
	v_add_co_ci_u32_e32 v31, vcc_lo, v29, v31, vcc_lo
	flat_load_u16 v30, v[30:31]
	s_waitcnt vmcnt(0) lgkmcnt(0)
	v_mul_f16_e32 v30, s15, v30
	s_branch .LBB230_187
.LBB230_186:
	v_mov_b32_e32 v30, 0
.LBB230_187:
	v_pk_add_f16 v31, v18, v26
	v_pk_max_f16 v88, v88, v88
	v_pk_add_f16 v89, v19, v27
	s_delay_alu instid0(VALU_DEP_2) | instskip(NEXT) | instid1(VALU_DEP_1)
	v_pk_min_f16 v31, v88, v31
	v_pk_min_f16 v31, v31, v89
	v_lshlrev_b64 v[88:89], 1, v[34:35]
	s_delay_alu instid0(VALU_DEP_2) | instskip(NEXT) | instid1(VALU_DEP_1)
	v_lshrrev_b32_e32 v90, 16, v31
	v_min3_f16 v90, v30, v31, v90
	s_delay_alu instid0(VALU_DEP_3) | instskip(NEXT) | instid1(VALU_DEP_4)
	v_add_co_u32 v30, vcc_lo, v24, v88
	v_add_co_ci_u32_e32 v31, vcc_lo, v25, v89, vcc_lo
	global_store_b16 v[30:31], v90, off
	s_or_b32 exec_lo, exec_lo, s16
	s_and_b32 s18, s2, s8
	s_delay_alu instid0(SALU_CYCLE_1)
	s_and_saveexec_b32 s16, s18
	s_cbranch_execz .LBB230_175
.LBB230_188:
	v_cmp_ne_u32_e32 vcc_lo, 1, v72
	s_cbranch_vccnz .LBB230_190
; %bb.189:
	v_lshlrev_b64 v[30:31], 1, v[36:37]
	s_delay_alu instid0(VALU_DEP_1) | instskip(NEXT) | instid1(VALU_DEP_2)
	v_add_co_u32 v30, vcc_lo, v28, v30
	v_add_co_ci_u32_e32 v31, vcc_lo, v29, v31, vcc_lo
	flat_load_u16 v30, v[30:31]
	s_waitcnt vmcnt(0) lgkmcnt(0)
	v_mul_f16_e32 v30, s15, v30
	s_branch .LBB230_191
.LBB230_190:
	v_mov_b32_e32 v30, 0
.LBB230_191:
	v_pk_add_f16 v31, v12, v26
	v_pk_max_f16 v87, v87, v87
	v_pk_add_f16 v88, v13, v27
	s_delay_alu instid0(VALU_DEP_2) | instskip(NEXT) | instid1(VALU_DEP_1)
	v_pk_min_f16 v31, v87, v31
	v_pk_min_f16 v31, v31, v88
	v_lshlrev_b64 v[87:88], 1, v[36:37]
	s_delay_alu instid0(VALU_DEP_2) | instskip(NEXT) | instid1(VALU_DEP_1)
	v_lshrrev_b32_e32 v89, 16, v31
	v_min3_f16 v89, v30, v31, v89
	s_delay_alu instid0(VALU_DEP_3) | instskip(NEXT) | instid1(VALU_DEP_4)
	v_add_co_u32 v30, vcc_lo, v24, v87
	v_add_co_ci_u32_e32 v31, vcc_lo, v25, v88, vcc_lo
	global_store_b16 v[30:31], v89, off
	s_or_b32 exec_lo, exec_lo, s16
	s_and_b32 s18, s3, s8
	s_delay_alu instid0(SALU_CYCLE_1)
	s_and_saveexec_b32 s16, s18
	s_cbranch_execz .LBB230_176
.LBB230_192:
	v_cmp_ne_u32_e32 vcc_lo, 1, v72
	s_cbranch_vccnz .LBB230_194
; %bb.193:
	v_lshlrev_b64 v[30:31], 1, v[38:39]
	s_delay_alu instid0(VALU_DEP_1) | instskip(NEXT) | instid1(VALU_DEP_2)
	v_add_co_u32 v30, vcc_lo, v28, v30
	v_add_co_ci_u32_e32 v31, vcc_lo, v29, v31, vcc_lo
	flat_load_u16 v30, v[30:31]
	s_waitcnt vmcnt(0) lgkmcnt(0)
	v_mul_f16_e32 v30, s15, v30
	s_branch .LBB230_195
.LBB230_194:
	v_mov_b32_e32 v30, 0
.LBB230_195:
	v_pk_add_f16 v31, v14, v26
	v_pk_max_f16 v86, v86, v86
	v_pk_add_f16 v87, v15, v27
	s_delay_alu instid0(VALU_DEP_2) | instskip(NEXT) | instid1(VALU_DEP_1)
	v_pk_min_f16 v31, v86, v31
	v_pk_min_f16 v31, v31, v87
	v_lshlrev_b64 v[86:87], 1, v[38:39]
	s_delay_alu instid0(VALU_DEP_2) | instskip(NEXT) | instid1(VALU_DEP_1)
	v_lshrrev_b32_e32 v88, 16, v31
	v_min3_f16 v88, v30, v31, v88
	s_delay_alu instid0(VALU_DEP_3) | instskip(NEXT) | instid1(VALU_DEP_4)
	v_add_co_u32 v30, vcc_lo, v24, v86
	v_add_co_ci_u32_e32 v31, vcc_lo, v25, v87, vcc_lo
	global_store_b16 v[30:31], v88, off
	s_or_b32 exec_lo, exec_lo, s16
	s_and_b32 s18, s4, s8
	s_delay_alu instid0(SALU_CYCLE_1)
	s_and_saveexec_b32 s16, s18
	s_cbranch_execz .LBB230_177
.LBB230_196:
	v_cmp_ne_u32_e32 vcc_lo, 1, v72
	s_cbranch_vccnz .LBB230_198
; %bb.197:
	v_lshlrev_b64 v[30:31], 1, v[40:41]
	s_delay_alu instid0(VALU_DEP_1) | instskip(NEXT) | instid1(VALU_DEP_2)
	v_add_co_u32 v30, vcc_lo, v28, v30
	v_add_co_ci_u32_e32 v31, vcc_lo, v29, v31, vcc_lo
	flat_load_u16 v30, v[30:31]
	s_waitcnt vmcnt(0) lgkmcnt(0)
	v_mul_f16_e32 v30, s15, v30
	s_branch .LBB230_199
.LBB230_198:
	v_mov_b32_e32 v30, 0
.LBB230_199:
	v_pk_add_f16 v31, v8, v26
	v_pk_max_f16 v85, v85, v85
	v_pk_add_f16 v86, v9, v27
	s_delay_alu instid0(VALU_DEP_2) | instskip(NEXT) | instid1(VALU_DEP_1)
	v_pk_min_f16 v31, v85, v31
	v_pk_min_f16 v31, v31, v86
	v_lshlrev_b64 v[85:86], 1, v[40:41]
	s_delay_alu instid0(VALU_DEP_2) | instskip(NEXT) | instid1(VALU_DEP_1)
	v_lshrrev_b32_e32 v87, 16, v31
	v_min3_f16 v87, v30, v31, v87
	s_delay_alu instid0(VALU_DEP_3) | instskip(NEXT) | instid1(VALU_DEP_4)
	v_add_co_u32 v30, vcc_lo, v24, v85
	v_add_co_ci_u32_e32 v31, vcc_lo, v25, v86, vcc_lo
	global_store_b16 v[30:31], v87, off
	s_or_b32 exec_lo, exec_lo, s16
	s_and_b32 s18, s5, s8
	s_delay_alu instid0(SALU_CYCLE_1)
	s_and_saveexec_b32 s16, s18
	s_cbranch_execz .LBB230_178
.LBB230_200:
	v_cmp_ne_u32_e32 vcc_lo, 1, v72
	s_cbranch_vccnz .LBB230_202
; %bb.201:
	v_lshlrev_b64 v[30:31], 1, v[42:43]
	s_delay_alu instid0(VALU_DEP_1) | instskip(NEXT) | instid1(VALU_DEP_2)
	v_add_co_u32 v30, vcc_lo, v28, v30
	v_add_co_ci_u32_e32 v31, vcc_lo, v29, v31, vcc_lo
	flat_load_u16 v30, v[30:31]
	s_waitcnt vmcnt(0) lgkmcnt(0)
	v_mul_f16_e32 v30, s15, v30
	s_branch .LBB230_203
.LBB230_202:
	v_mov_b32_e32 v30, 0
.LBB230_203:
	v_pk_add_f16 v31, v10, v26
	v_pk_max_f16 v84, v84, v84
	v_pk_add_f16 v85, v11, v27
	s_delay_alu instid0(VALU_DEP_2) | instskip(NEXT) | instid1(VALU_DEP_1)
	v_pk_min_f16 v31, v84, v31
	v_pk_min_f16 v31, v31, v85
	v_lshlrev_b64 v[84:85], 1, v[42:43]
	s_delay_alu instid0(VALU_DEP_2) | instskip(NEXT) | instid1(VALU_DEP_1)
	v_lshrrev_b32_e32 v86, 16, v31
	v_min3_f16 v86, v30, v31, v86
	s_delay_alu instid0(VALU_DEP_3) | instskip(NEXT) | instid1(VALU_DEP_4)
	v_add_co_u32 v30, vcc_lo, v24, v84
	v_add_co_ci_u32_e32 v31, vcc_lo, v25, v85, vcc_lo
	global_store_b16 v[30:31], v86, off
	s_or_b32 exec_lo, exec_lo, s16
	s_and_b32 s18, s6, s8
	s_delay_alu instid0(SALU_CYCLE_1)
	s_and_saveexec_b32 s16, s18
	s_cbranch_execz .LBB230_179
.LBB230_204:
	v_cmp_ne_u32_e32 vcc_lo, 1, v72
	s_cbranch_vccnz .LBB230_206
; %bb.205:
	v_lshlrev_b64 v[30:31], 1, v[44:45]
	s_delay_alu instid0(VALU_DEP_1) | instskip(NEXT) | instid1(VALU_DEP_2)
	v_add_co_u32 v30, vcc_lo, v28, v30
	v_add_co_ci_u32_e32 v31, vcc_lo, v29, v31, vcc_lo
	flat_load_u16 v30, v[30:31]
	s_waitcnt vmcnt(0) lgkmcnt(0)
	v_mul_f16_e32 v30, s15, v30
	s_branch .LBB230_207
.LBB230_206:
	v_mov_b32_e32 v30, 0
.LBB230_207:
	v_pk_add_f16 v31, v0, v26
	v_pk_max_f16 v83, v83, v83
	v_pk_add_f16 v84, v1, v27
	s_delay_alu instid0(VALU_DEP_2) | instskip(NEXT) | instid1(VALU_DEP_1)
	v_pk_min_f16 v31, v83, v31
	v_pk_min_f16 v31, v31, v84
	v_lshlrev_b64 v[83:84], 1, v[44:45]
	s_delay_alu instid0(VALU_DEP_2) | instskip(NEXT) | instid1(VALU_DEP_1)
	v_lshrrev_b32_e32 v85, 16, v31
	v_min3_f16 v85, v30, v31, v85
	s_delay_alu instid0(VALU_DEP_3) | instskip(NEXT) | instid1(VALU_DEP_4)
	v_add_co_u32 v30, vcc_lo, v24, v83
	v_add_co_ci_u32_e32 v31, vcc_lo, v25, v84, vcc_lo
	global_store_b16 v[30:31], v85, off
	s_or_b32 exec_lo, exec_lo, s16
	s_and_b32 s16, s7, s8
	s_delay_alu instid0(SALU_CYCLE_1)
	s_and_saveexec_b32 s8, s16
	s_cbranch_execz .LBB230_212
.LBB230_208:
	v_cmp_ne_u32_e32 vcc_lo, 1, v72
	s_cbranch_vccnz .LBB230_210
; %bb.209:
	v_lshlrev_b64 v[30:31], 1, v[46:47]
	s_delay_alu instid0(VALU_DEP_1) | instskip(NEXT) | instid1(VALU_DEP_2)
	v_add_co_u32 v28, vcc_lo, v28, v30
	v_add_co_ci_u32_e32 v29, vcc_lo, v29, v31, vcc_lo
	flat_load_u16 v28, v[28:29]
	s_waitcnt vmcnt(0) lgkmcnt(0)
	v_mul_f16_e32 v28, s15, v28
	s_branch .LBB230_211
.LBB230_210:
	v_mov_b32_e32 v28, 0
.LBB230_211:
	v_pk_add_f16 v26, v2, v26
	v_pk_max_f16 v29, v82, v82
	v_pk_add_f16 v27, v3, v27
	s_delay_alu instid0(VALU_DEP_2) | instskip(NEXT) | instid1(VALU_DEP_1)
	v_pk_min_f16 v26, v29, v26
	v_pk_min_f16 v29, v26, v27
	v_lshlrev_b64 v[26:27], 1, v[46:47]
	s_delay_alu instid0(VALU_DEP_2) | instskip(NEXT) | instid1(VALU_DEP_2)
	v_lshrrev_b32_e32 v30, 16, v29
	v_add_co_u32 v24, vcc_lo, v24, v26
	s_delay_alu instid0(VALU_DEP_3) | instskip(NEXT) | instid1(VALU_DEP_3)
	v_add_co_ci_u32_e32 v25, vcc_lo, v25, v27, vcc_lo
	v_min3_f16 v28, v28, v29, v30
	global_store_b16 v[24:25], v28, off
.LBB230_212:
	s_or_b32 exec_lo, exec_lo, s8
	v_add_nc_u32_e32 v28, 0x80, v80
	s_delay_alu instid0(VALU_DEP_1) | instskip(SKIP_2) | instid1(VALU_DEP_3)
	v_mad_i64_i32 v[24:25], null, v28, s14, 0
	v_mad_i64_i32 v[26:27], null, v28, s9, 0
	v_cmp_gt_i32_e64 s8, s17, v28
	v_lshlrev_b64 v[24:25], 1, v[24:25]
	s_delay_alu instid0(VALU_DEP_2) | instskip(NEXT) | instid1(VALU_DEP_3)
	s_and_b32 s18, s0, s8
	v_lshlrev_b64 v[28:29], 1, v[26:27]
	s_delay_alu instid0(VALU_DEP_2) | instskip(NEXT) | instid1(VALU_DEP_3)
	v_add_co_u32 v26, vcc_lo, s10, v24
	v_add_co_ci_u32_e32 v27, vcc_lo, s11, v25, vcc_lo
	s_delay_alu instid0(VALU_DEP_3) | instskip(NEXT) | instid1(VALU_DEP_4)
	v_add_co_u32 v24, vcc_lo, s12, v28
	v_add_co_ci_u32_e32 v25, vcc_lo, s13, v29, vcc_lo
	s_and_saveexec_b32 s16, s18
	s_cbranch_execnz .LBB230_220
; %bb.213:
	s_or_b32 exec_lo, exec_lo, s16
	s_and_b32 s18, s1, s8
	s_delay_alu instid0(SALU_CYCLE_1)
	s_and_saveexec_b32 s16, s18
	s_cbranch_execnz .LBB230_224
.LBB230_214:
	s_or_b32 exec_lo, exec_lo, s16
	s_and_b32 s18, s2, s8
	s_delay_alu instid0(SALU_CYCLE_1)
	s_and_saveexec_b32 s16, s18
	s_cbranch_execnz .LBB230_228
.LBB230_215:
	s_or_b32 exec_lo, exec_lo, s16
	s_and_b32 s18, s3, s8
	s_delay_alu instid0(SALU_CYCLE_1)
	s_and_saveexec_b32 s16, s18
	s_cbranch_execnz .LBB230_232
.LBB230_216:
	s_or_b32 exec_lo, exec_lo, s16
	s_and_b32 s18, s4, s8
	s_delay_alu instid0(SALU_CYCLE_1)
	s_and_saveexec_b32 s16, s18
	s_cbranch_execnz .LBB230_236
.LBB230_217:
	s_or_b32 exec_lo, exec_lo, s16
	s_and_b32 s18, s5, s8
	s_delay_alu instid0(SALU_CYCLE_1)
	s_and_saveexec_b32 s16, s18
	s_cbranch_execnz .LBB230_240
.LBB230_218:
	s_or_b32 exec_lo, exec_lo, s16
	s_and_b32 s18, s6, s8
	s_delay_alu instid0(SALU_CYCLE_1)
	s_and_saveexec_b32 s16, s18
	s_cbranch_execnz .LBB230_244
.LBB230_219:
	s_or_b32 exec_lo, exec_lo, s16
	s_and_b32 s16, s7, s8
	s_delay_alu instid0(SALU_CYCLE_1)
	s_and_saveexec_b32 s8, s16
	s_cbranch_execnz .LBB230_248
	s_branch .LBB230_252
.LBB230_220:
	v_cmp_ne_u32_e32 vcc_lo, 1, v72
	s_cbranch_vccnz .LBB230_222
; %bb.221:
	v_lshlrev_b64 v[28:29], 1, v[32:33]
	s_delay_alu instid0(VALU_DEP_1) | instskip(NEXT) | instid1(VALU_DEP_2)
	v_add_co_u32 v28, vcc_lo, v26, v28
	v_add_co_ci_u32_e32 v29, vcc_lo, v27, v29, vcc_lo
	flat_load_u16 v28, v[28:29]
	s_waitcnt vmcnt(0) lgkmcnt(0)
	v_mul_f16_e32 v28, s15, v28
	s_branch .LBB230_223
.LBB230_222:
	v_mov_b32_e32 v28, 0
.LBB230_223:
	v_pk_add_f16 v29, v16, v20
	v_pk_max_f16 v30, v81, v81
	v_pk_add_f16 v31, v17, v21
	s_delay_alu instid0(VALU_DEP_2) | instskip(NEXT) | instid1(VALU_DEP_1)
	v_pk_min_f16 v29, v30, v29
	v_pk_min_f16 v31, v29, v31
	v_lshlrev_b64 v[29:30], 1, v[32:33]
	s_delay_alu instid0(VALU_DEP_2) | instskip(NEXT) | instid1(VALU_DEP_1)
	v_lshrrev_b32_e32 v81, 16, v31
	v_min3_f16 v31, v28, v31, v81
	s_delay_alu instid0(VALU_DEP_3) | instskip(NEXT) | instid1(VALU_DEP_4)
	v_add_co_u32 v28, vcc_lo, v24, v29
	v_add_co_ci_u32_e32 v29, vcc_lo, v25, v30, vcc_lo
	global_store_b16 v[28:29], v31, off
	s_or_b32 exec_lo, exec_lo, s16
	s_and_b32 s18, s1, s8
	s_delay_alu instid0(SALU_CYCLE_1)
	s_and_saveexec_b32 s16, s18
	s_cbranch_execz .LBB230_214
.LBB230_224:
	v_cmp_ne_u32_e32 vcc_lo, 1, v72
	s_cbranch_vccnz .LBB230_226
; %bb.225:
	v_lshlrev_b64 v[28:29], 1, v[34:35]
	s_delay_alu instid0(VALU_DEP_1) | instskip(NEXT) | instid1(VALU_DEP_2)
	v_add_co_u32 v28, vcc_lo, v26, v28
	v_add_co_ci_u32_e32 v29, vcc_lo, v27, v29, vcc_lo
	flat_load_u16 v28, v[28:29]
	s_waitcnt vmcnt(0) lgkmcnt(0)
	v_mul_f16_e32 v28, s15, v28
	s_branch .LBB230_227
.LBB230_226:
	v_mov_b32_e32 v28, 0
.LBB230_227:
	v_pk_add_f16 v29, v18, v20
	v_pk_max_f16 v30, v79, v79
	v_pk_add_f16 v31, v19, v21
	s_delay_alu instid0(VALU_DEP_2) | instskip(NEXT) | instid1(VALU_DEP_1)
	v_pk_min_f16 v29, v30, v29
	v_pk_min_f16 v31, v29, v31
	v_lshlrev_b64 v[29:30], 1, v[34:35]
	s_delay_alu instid0(VALU_DEP_2) | instskip(NEXT) | instid1(VALU_DEP_1)
	v_lshrrev_b32_e32 v79, 16, v31
	v_min3_f16 v31, v28, v31, v79
	s_delay_alu instid0(VALU_DEP_3) | instskip(NEXT) | instid1(VALU_DEP_4)
	v_add_co_u32 v28, vcc_lo, v24, v29
	v_add_co_ci_u32_e32 v29, vcc_lo, v25, v30, vcc_lo
	global_store_b16 v[28:29], v31, off
	s_or_b32 exec_lo, exec_lo, s16
	s_and_b32 s18, s2, s8
	s_delay_alu instid0(SALU_CYCLE_1)
	s_and_saveexec_b32 s16, s18
	s_cbranch_execz .LBB230_215
.LBB230_228:
	v_cmp_ne_u32_e32 vcc_lo, 1, v72
	s_cbranch_vccnz .LBB230_230
; %bb.229:
	v_lshlrev_b64 v[28:29], 1, v[36:37]
	s_delay_alu instid0(VALU_DEP_1) | instskip(NEXT) | instid1(VALU_DEP_2)
	v_add_co_u32 v28, vcc_lo, v26, v28
	v_add_co_ci_u32_e32 v29, vcc_lo, v27, v29, vcc_lo
	flat_load_u16 v28, v[28:29]
	s_waitcnt vmcnt(0) lgkmcnt(0)
	v_mul_f16_e32 v28, s15, v28
	s_branch .LBB230_231
.LBB230_230:
	v_mov_b32_e32 v28, 0
.LBB230_231:
	v_pk_add_f16 v29, v12, v20
	v_pk_max_f16 v30, v78, v78
	v_pk_add_f16 v31, v13, v21
	s_delay_alu instid0(VALU_DEP_2) | instskip(NEXT) | instid1(VALU_DEP_1)
	v_pk_min_f16 v29, v30, v29
	v_pk_min_f16 v31, v29, v31
	v_lshlrev_b64 v[29:30], 1, v[36:37]
	s_delay_alu instid0(VALU_DEP_2) | instskip(NEXT) | instid1(VALU_DEP_1)
	v_lshrrev_b32_e32 v78, 16, v31
	v_min3_f16 v31, v28, v31, v78
	s_delay_alu instid0(VALU_DEP_3) | instskip(NEXT) | instid1(VALU_DEP_4)
	v_add_co_u32 v28, vcc_lo, v24, v29
	v_add_co_ci_u32_e32 v29, vcc_lo, v25, v30, vcc_lo
	global_store_b16 v[28:29], v31, off
	s_or_b32 exec_lo, exec_lo, s16
	s_and_b32 s18, s3, s8
	s_delay_alu instid0(SALU_CYCLE_1)
	s_and_saveexec_b32 s16, s18
	s_cbranch_execz .LBB230_216
.LBB230_232:
	v_cmp_ne_u32_e32 vcc_lo, 1, v72
	s_cbranch_vccnz .LBB230_234
; %bb.233:
	v_lshlrev_b64 v[28:29], 1, v[38:39]
	s_delay_alu instid0(VALU_DEP_1) | instskip(NEXT) | instid1(VALU_DEP_2)
	v_add_co_u32 v28, vcc_lo, v26, v28
	v_add_co_ci_u32_e32 v29, vcc_lo, v27, v29, vcc_lo
	flat_load_u16 v28, v[28:29]
	s_waitcnt vmcnt(0) lgkmcnt(0)
	v_mul_f16_e32 v28, s15, v28
	s_branch .LBB230_235
.LBB230_234:
	v_mov_b32_e32 v28, 0
.LBB230_235:
	v_pk_add_f16 v29, v14, v20
	v_pk_max_f16 v30, v77, v77
	v_pk_add_f16 v31, v15, v21
	s_delay_alu instid0(VALU_DEP_2) | instskip(NEXT) | instid1(VALU_DEP_1)
	v_pk_min_f16 v29, v30, v29
	v_pk_min_f16 v31, v29, v31
	v_lshlrev_b64 v[29:30], 1, v[38:39]
	s_delay_alu instid0(VALU_DEP_2) | instskip(NEXT) | instid1(VALU_DEP_1)
	v_lshrrev_b32_e32 v77, 16, v31
	v_min3_f16 v31, v28, v31, v77
	s_delay_alu instid0(VALU_DEP_3) | instskip(NEXT) | instid1(VALU_DEP_4)
	v_add_co_u32 v28, vcc_lo, v24, v29
	v_add_co_ci_u32_e32 v29, vcc_lo, v25, v30, vcc_lo
	global_store_b16 v[28:29], v31, off
	s_or_b32 exec_lo, exec_lo, s16
	s_and_b32 s18, s4, s8
	s_delay_alu instid0(SALU_CYCLE_1)
	s_and_saveexec_b32 s16, s18
	s_cbranch_execz .LBB230_217
.LBB230_236:
	v_cmp_ne_u32_e32 vcc_lo, 1, v72
	s_cbranch_vccnz .LBB230_238
; %bb.237:
	v_lshlrev_b64 v[28:29], 1, v[40:41]
	s_delay_alu instid0(VALU_DEP_1) | instskip(NEXT) | instid1(VALU_DEP_2)
	v_add_co_u32 v28, vcc_lo, v26, v28
	v_add_co_ci_u32_e32 v29, vcc_lo, v27, v29, vcc_lo
	flat_load_u16 v28, v[28:29]
	s_waitcnt vmcnt(0) lgkmcnt(0)
	v_mul_f16_e32 v28, s15, v28
	s_branch .LBB230_239
.LBB230_238:
	v_mov_b32_e32 v28, 0
.LBB230_239:
	v_pk_add_f16 v29, v8, v20
	v_pk_max_f16 v30, v76, v76
	v_pk_add_f16 v31, v9, v21
	s_delay_alu instid0(VALU_DEP_2) | instskip(NEXT) | instid1(VALU_DEP_1)
	v_pk_min_f16 v29, v30, v29
	v_pk_min_f16 v31, v29, v31
	v_lshlrev_b64 v[29:30], 1, v[40:41]
	s_delay_alu instid0(VALU_DEP_2) | instskip(NEXT) | instid1(VALU_DEP_1)
	v_lshrrev_b32_e32 v76, 16, v31
	v_min3_f16 v31, v28, v31, v76
	s_delay_alu instid0(VALU_DEP_3) | instskip(NEXT) | instid1(VALU_DEP_4)
	v_add_co_u32 v28, vcc_lo, v24, v29
	v_add_co_ci_u32_e32 v29, vcc_lo, v25, v30, vcc_lo
	global_store_b16 v[28:29], v31, off
	s_or_b32 exec_lo, exec_lo, s16
	s_and_b32 s18, s5, s8
	s_delay_alu instid0(SALU_CYCLE_1)
	s_and_saveexec_b32 s16, s18
	s_cbranch_execz .LBB230_218
.LBB230_240:
	v_cmp_ne_u32_e32 vcc_lo, 1, v72
	s_cbranch_vccnz .LBB230_242
; %bb.241:
	v_lshlrev_b64 v[28:29], 1, v[42:43]
	s_delay_alu instid0(VALU_DEP_1) | instskip(NEXT) | instid1(VALU_DEP_2)
	v_add_co_u32 v28, vcc_lo, v26, v28
	v_add_co_ci_u32_e32 v29, vcc_lo, v27, v29, vcc_lo
	flat_load_u16 v28, v[28:29]
	s_waitcnt vmcnt(0) lgkmcnt(0)
	v_mul_f16_e32 v28, s15, v28
	s_branch .LBB230_243
.LBB230_242:
	v_mov_b32_e32 v28, 0
.LBB230_243:
	v_pk_add_f16 v29, v10, v20
	v_pk_max_f16 v30, v75, v75
	v_pk_add_f16 v31, v11, v21
	s_delay_alu instid0(VALU_DEP_2) | instskip(NEXT) | instid1(VALU_DEP_1)
	v_pk_min_f16 v29, v30, v29
	v_pk_min_f16 v31, v29, v31
	v_lshlrev_b64 v[29:30], 1, v[42:43]
	s_delay_alu instid0(VALU_DEP_2) | instskip(NEXT) | instid1(VALU_DEP_1)
	v_lshrrev_b32_e32 v75, 16, v31
	v_min3_f16 v31, v28, v31, v75
	s_delay_alu instid0(VALU_DEP_3) | instskip(NEXT) | instid1(VALU_DEP_4)
	v_add_co_u32 v28, vcc_lo, v24, v29
	v_add_co_ci_u32_e32 v29, vcc_lo, v25, v30, vcc_lo
	global_store_b16 v[28:29], v31, off
	s_or_b32 exec_lo, exec_lo, s16
	s_and_b32 s18, s6, s8
	s_delay_alu instid0(SALU_CYCLE_1)
	s_and_saveexec_b32 s16, s18
	s_cbranch_execz .LBB230_219
.LBB230_244:
	v_cmp_ne_u32_e32 vcc_lo, 1, v72
	s_cbranch_vccnz .LBB230_246
; %bb.245:
	v_lshlrev_b64 v[28:29], 1, v[44:45]
	s_delay_alu instid0(VALU_DEP_1) | instskip(NEXT) | instid1(VALU_DEP_2)
	v_add_co_u32 v28, vcc_lo, v26, v28
	v_add_co_ci_u32_e32 v29, vcc_lo, v27, v29, vcc_lo
	flat_load_u16 v28, v[28:29]
	s_waitcnt vmcnt(0) lgkmcnt(0)
	v_mul_f16_e32 v28, s15, v28
	s_branch .LBB230_247
.LBB230_246:
	v_mov_b32_e32 v28, 0
.LBB230_247:
	v_pk_add_f16 v29, v0, v20
	v_pk_max_f16 v30, v74, v74
	v_pk_add_f16 v31, v1, v21
	s_delay_alu instid0(VALU_DEP_2) | instskip(NEXT) | instid1(VALU_DEP_1)
	v_pk_min_f16 v29, v30, v29
	v_pk_min_f16 v31, v29, v31
	v_lshlrev_b64 v[29:30], 1, v[44:45]
	s_delay_alu instid0(VALU_DEP_2) | instskip(NEXT) | instid1(VALU_DEP_1)
	v_lshrrev_b32_e32 v74, 16, v31
	v_min3_f16 v31, v28, v31, v74
	s_delay_alu instid0(VALU_DEP_3) | instskip(NEXT) | instid1(VALU_DEP_4)
	v_add_co_u32 v28, vcc_lo, v24, v29
	v_add_co_ci_u32_e32 v29, vcc_lo, v25, v30, vcc_lo
	global_store_b16 v[28:29], v31, off
	s_or_b32 exec_lo, exec_lo, s16
	s_and_b32 s16, s7, s8
	s_delay_alu instid0(SALU_CYCLE_1)
	s_and_saveexec_b32 s8, s16
	s_cbranch_execz .LBB230_252
.LBB230_248:
	v_cmp_ne_u32_e32 vcc_lo, 1, v72
	s_cbranch_vccnz .LBB230_250
; %bb.249:
	v_lshlrev_b64 v[28:29], 1, v[46:47]
	s_delay_alu instid0(VALU_DEP_1) | instskip(NEXT) | instid1(VALU_DEP_2)
	v_add_co_u32 v26, vcc_lo, v26, v28
	v_add_co_ci_u32_e32 v27, vcc_lo, v27, v29, vcc_lo
	flat_load_u16 v26, v[26:27]
	s_waitcnt vmcnt(0) lgkmcnt(0)
	v_mul_f16_e32 v26, s15, v26
	s_branch .LBB230_251
.LBB230_250:
	v_mov_b32_e32 v26, 0
.LBB230_251:
	v_pk_add_f16 v20, v2, v20
	v_pk_max_f16 v27, v73, v73
	v_pk_add_f16 v21, v3, v21
	s_delay_alu instid0(VALU_DEP_2) | instskip(NEXT) | instid1(VALU_DEP_1)
	v_pk_min_f16 v20, v27, v20
	v_pk_min_f16 v27, v20, v21
	v_lshlrev_b64 v[20:21], 1, v[46:47]
	s_delay_alu instid0(VALU_DEP_2) | instskip(NEXT) | instid1(VALU_DEP_2)
	v_lshrrev_b32_e32 v28, 16, v27
	v_add_co_u32 v20, vcc_lo, v24, v20
	s_delay_alu instid0(VALU_DEP_3) | instskip(NEXT) | instid1(VALU_DEP_3)
	v_add_co_ci_u32_e32 v21, vcc_lo, v25, v21, vcc_lo
	v_min3_f16 v26, v26, v27, v28
	global_store_b16 v[20:21], v26, off
.LBB230_252:
	s_or_b32 exec_lo, exec_lo, s8
	v_add_nc_u32_e32 v26, 0xa0, v80
	s_delay_alu instid0(VALU_DEP_1) | instskip(SKIP_2) | instid1(VALU_DEP_3)
	v_mad_i64_i32 v[20:21], null, v26, s14, 0
	v_mad_i64_i32 v[24:25], null, v26, s9, 0
	v_cmp_gt_i32_e64 s8, s17, v26
	v_lshlrev_b64 v[20:21], 1, v[20:21]
	s_delay_alu instid0(VALU_DEP_2) | instskip(NEXT) | instid1(VALU_DEP_3)
	s_and_b32 s18, s0, s8
	v_lshlrev_b64 v[26:27], 1, v[24:25]
	s_delay_alu instid0(VALU_DEP_2) | instskip(NEXT) | instid1(VALU_DEP_3)
	v_add_co_u32 v24, vcc_lo, s10, v20
	v_add_co_ci_u32_e32 v25, vcc_lo, s11, v21, vcc_lo
	s_delay_alu instid0(VALU_DEP_3) | instskip(NEXT) | instid1(VALU_DEP_4)
	v_add_co_u32 v20, vcc_lo, s12, v26
	v_add_co_ci_u32_e32 v21, vcc_lo, s13, v27, vcc_lo
	s_and_saveexec_b32 s16, s18
	s_cbranch_execnz .LBB230_260
; %bb.253:
	s_or_b32 exec_lo, exec_lo, s16
	s_and_b32 s18, s1, s8
	s_delay_alu instid0(SALU_CYCLE_1)
	s_and_saveexec_b32 s16, s18
	s_cbranch_execnz .LBB230_264
.LBB230_254:
	s_or_b32 exec_lo, exec_lo, s16
	s_and_b32 s18, s2, s8
	s_delay_alu instid0(SALU_CYCLE_1)
	s_and_saveexec_b32 s16, s18
	s_cbranch_execnz .LBB230_268
.LBB230_255:
	s_or_b32 exec_lo, exec_lo, s16
	s_and_b32 s18, s3, s8
	s_delay_alu instid0(SALU_CYCLE_1)
	s_and_saveexec_b32 s16, s18
	s_cbranch_execnz .LBB230_272
.LBB230_256:
	s_or_b32 exec_lo, exec_lo, s16
	s_and_b32 s18, s4, s8
	s_delay_alu instid0(SALU_CYCLE_1)
	s_and_saveexec_b32 s16, s18
	s_cbranch_execnz .LBB230_276
.LBB230_257:
	s_or_b32 exec_lo, exec_lo, s16
	s_and_b32 s18, s5, s8
	s_delay_alu instid0(SALU_CYCLE_1)
	s_and_saveexec_b32 s16, s18
	s_cbranch_execnz .LBB230_280
.LBB230_258:
	s_or_b32 exec_lo, exec_lo, s16
	s_and_b32 s18, s6, s8
	s_delay_alu instid0(SALU_CYCLE_1)
	s_and_saveexec_b32 s16, s18
	s_cbranch_execnz .LBB230_284
.LBB230_259:
	s_or_b32 exec_lo, exec_lo, s16
	s_and_b32 s16, s7, s8
	s_delay_alu instid0(SALU_CYCLE_1)
	s_and_saveexec_b32 s8, s16
	s_cbranch_execnz .LBB230_288
	s_branch .LBB230_292
.LBB230_260:
	v_cmp_ne_u32_e32 vcc_lo, 1, v72
	s_cbranch_vccnz .LBB230_262
; %bb.261:
	v_lshlrev_b64 v[26:27], 1, v[32:33]
	s_delay_alu instid0(VALU_DEP_1) | instskip(NEXT) | instid1(VALU_DEP_2)
	v_add_co_u32 v26, vcc_lo, v24, v26
	v_add_co_ci_u32_e32 v27, vcc_lo, v25, v27, vcc_lo
	flat_load_u16 v26, v[26:27]
	s_waitcnt vmcnt(0) lgkmcnt(0)
	v_mul_f16_e32 v26, s15, v26
	s_branch .LBB230_263
.LBB230_262:
	v_mov_b32_e32 v26, 0
.LBB230_263:
	v_pk_add_f16 v27, v16, v22
	v_pk_max_f16 v28, v71, v71
	v_pk_add_f16 v29, v17, v23
	s_delay_alu instid0(VALU_DEP_2) | instskip(NEXT) | instid1(VALU_DEP_1)
	v_pk_min_f16 v27, v28, v27
	v_pk_min_f16 v29, v27, v29
	v_lshlrev_b64 v[27:28], 1, v[32:33]
	s_delay_alu instid0(VALU_DEP_2) | instskip(NEXT) | instid1(VALU_DEP_1)
	v_lshrrev_b32_e32 v30, 16, v29
	v_min3_f16 v29, v26, v29, v30
	s_delay_alu instid0(VALU_DEP_3) | instskip(NEXT) | instid1(VALU_DEP_4)
	v_add_co_u32 v26, vcc_lo, v20, v27
	v_add_co_ci_u32_e32 v27, vcc_lo, v21, v28, vcc_lo
	global_store_b16 v[26:27], v29, off
	s_or_b32 exec_lo, exec_lo, s16
	s_and_b32 s18, s1, s8
	s_delay_alu instid0(SALU_CYCLE_1)
	s_and_saveexec_b32 s16, s18
	s_cbranch_execz .LBB230_254
.LBB230_264:
	v_cmp_ne_u32_e32 vcc_lo, 1, v72
	s_cbranch_vccnz .LBB230_266
; %bb.265:
	v_lshlrev_b64 v[26:27], 1, v[34:35]
	s_delay_alu instid0(VALU_DEP_1) | instskip(NEXT) | instid1(VALU_DEP_2)
	v_add_co_u32 v26, vcc_lo, v24, v26
	v_add_co_ci_u32_e32 v27, vcc_lo, v25, v27, vcc_lo
	flat_load_u16 v26, v[26:27]
	s_waitcnt vmcnt(0) lgkmcnt(0)
	v_mul_f16_e32 v26, s15, v26
	s_branch .LBB230_267
.LBB230_266:
	v_mov_b32_e32 v26, 0
.LBB230_267:
	v_pk_add_f16 v27, v18, v22
	v_pk_max_f16 v28, v70, v70
	v_pk_add_f16 v29, v19, v23
	s_delay_alu instid0(VALU_DEP_2) | instskip(NEXT) | instid1(VALU_DEP_1)
	v_pk_min_f16 v27, v28, v27
	v_pk_min_f16 v29, v27, v29
	v_lshlrev_b64 v[27:28], 1, v[34:35]
	s_delay_alu instid0(VALU_DEP_2) | instskip(NEXT) | instid1(VALU_DEP_1)
	v_lshrrev_b32_e32 v30, 16, v29
	v_min3_f16 v29, v26, v29, v30
	s_delay_alu instid0(VALU_DEP_3) | instskip(NEXT) | instid1(VALU_DEP_4)
	v_add_co_u32 v26, vcc_lo, v20, v27
	v_add_co_ci_u32_e32 v27, vcc_lo, v21, v28, vcc_lo
	global_store_b16 v[26:27], v29, off
	s_or_b32 exec_lo, exec_lo, s16
	s_and_b32 s18, s2, s8
	s_delay_alu instid0(SALU_CYCLE_1)
	s_and_saveexec_b32 s16, s18
	s_cbranch_execz .LBB230_255
.LBB230_268:
	v_cmp_ne_u32_e32 vcc_lo, 1, v72
	s_cbranch_vccnz .LBB230_270
; %bb.269:
	v_lshlrev_b64 v[26:27], 1, v[36:37]
	s_delay_alu instid0(VALU_DEP_1) | instskip(NEXT) | instid1(VALU_DEP_2)
	v_add_co_u32 v26, vcc_lo, v24, v26
	v_add_co_ci_u32_e32 v27, vcc_lo, v25, v27, vcc_lo
	flat_load_u16 v26, v[26:27]
	s_waitcnt vmcnt(0) lgkmcnt(0)
	v_mul_f16_e32 v26, s15, v26
	s_branch .LBB230_271
.LBB230_270:
	v_mov_b32_e32 v26, 0
.LBB230_271:
	v_pk_add_f16 v27, v12, v22
	v_pk_max_f16 v28, v69, v69
	v_pk_add_f16 v29, v13, v23
	s_delay_alu instid0(VALU_DEP_2) | instskip(NEXT) | instid1(VALU_DEP_1)
	v_pk_min_f16 v27, v28, v27
	v_pk_min_f16 v29, v27, v29
	v_lshlrev_b64 v[27:28], 1, v[36:37]
	s_delay_alu instid0(VALU_DEP_2) | instskip(NEXT) | instid1(VALU_DEP_1)
	v_lshrrev_b32_e32 v30, 16, v29
	v_min3_f16 v29, v26, v29, v30
	s_delay_alu instid0(VALU_DEP_3) | instskip(NEXT) | instid1(VALU_DEP_4)
	v_add_co_u32 v26, vcc_lo, v20, v27
	v_add_co_ci_u32_e32 v27, vcc_lo, v21, v28, vcc_lo
	global_store_b16 v[26:27], v29, off
	s_or_b32 exec_lo, exec_lo, s16
	s_and_b32 s18, s3, s8
	s_delay_alu instid0(SALU_CYCLE_1)
	s_and_saveexec_b32 s16, s18
	s_cbranch_execz .LBB230_256
.LBB230_272:
	v_cmp_ne_u32_e32 vcc_lo, 1, v72
	s_cbranch_vccnz .LBB230_274
; %bb.273:
	v_lshlrev_b64 v[26:27], 1, v[38:39]
	s_delay_alu instid0(VALU_DEP_1) | instskip(NEXT) | instid1(VALU_DEP_2)
	v_add_co_u32 v26, vcc_lo, v24, v26
	v_add_co_ci_u32_e32 v27, vcc_lo, v25, v27, vcc_lo
	flat_load_u16 v26, v[26:27]
	s_waitcnt vmcnt(0) lgkmcnt(0)
	v_mul_f16_e32 v26, s15, v26
	s_branch .LBB230_275
.LBB230_274:
	v_mov_b32_e32 v26, 0
.LBB230_275:
	v_pk_add_f16 v27, v14, v22
	v_pk_max_f16 v28, v68, v68
	v_pk_add_f16 v29, v15, v23
	s_delay_alu instid0(VALU_DEP_2) | instskip(NEXT) | instid1(VALU_DEP_1)
	v_pk_min_f16 v27, v28, v27
	v_pk_min_f16 v29, v27, v29
	v_lshlrev_b64 v[27:28], 1, v[38:39]
	s_delay_alu instid0(VALU_DEP_2) | instskip(NEXT) | instid1(VALU_DEP_1)
	v_lshrrev_b32_e32 v30, 16, v29
	v_min3_f16 v29, v26, v29, v30
	s_delay_alu instid0(VALU_DEP_3) | instskip(NEXT) | instid1(VALU_DEP_4)
	v_add_co_u32 v26, vcc_lo, v20, v27
	v_add_co_ci_u32_e32 v27, vcc_lo, v21, v28, vcc_lo
	global_store_b16 v[26:27], v29, off
	s_or_b32 exec_lo, exec_lo, s16
	s_and_b32 s18, s4, s8
	s_delay_alu instid0(SALU_CYCLE_1)
	s_and_saveexec_b32 s16, s18
	s_cbranch_execz .LBB230_257
.LBB230_276:
	v_cmp_ne_u32_e32 vcc_lo, 1, v72
	s_cbranch_vccnz .LBB230_278
; %bb.277:
	v_lshlrev_b64 v[26:27], 1, v[40:41]
	s_delay_alu instid0(VALU_DEP_1) | instskip(NEXT) | instid1(VALU_DEP_2)
	v_add_co_u32 v26, vcc_lo, v24, v26
	v_add_co_ci_u32_e32 v27, vcc_lo, v25, v27, vcc_lo
	flat_load_u16 v26, v[26:27]
	s_waitcnt vmcnt(0) lgkmcnt(0)
	v_mul_f16_e32 v26, s15, v26
	s_branch .LBB230_279
.LBB230_278:
	v_mov_b32_e32 v26, 0
.LBB230_279:
	v_pk_add_f16 v27, v8, v22
	v_pk_max_f16 v28, v67, v67
	v_pk_add_f16 v29, v9, v23
	s_delay_alu instid0(VALU_DEP_2) | instskip(NEXT) | instid1(VALU_DEP_1)
	v_pk_min_f16 v27, v28, v27
	v_pk_min_f16 v29, v27, v29
	v_lshlrev_b64 v[27:28], 1, v[40:41]
	s_delay_alu instid0(VALU_DEP_2) | instskip(NEXT) | instid1(VALU_DEP_1)
	v_lshrrev_b32_e32 v30, 16, v29
	v_min3_f16 v29, v26, v29, v30
	s_delay_alu instid0(VALU_DEP_3) | instskip(NEXT) | instid1(VALU_DEP_4)
	v_add_co_u32 v26, vcc_lo, v20, v27
	v_add_co_ci_u32_e32 v27, vcc_lo, v21, v28, vcc_lo
	global_store_b16 v[26:27], v29, off
	s_or_b32 exec_lo, exec_lo, s16
	s_and_b32 s18, s5, s8
	s_delay_alu instid0(SALU_CYCLE_1)
	s_and_saveexec_b32 s16, s18
	s_cbranch_execz .LBB230_258
.LBB230_280:
	v_cmp_ne_u32_e32 vcc_lo, 1, v72
	s_cbranch_vccnz .LBB230_282
; %bb.281:
	v_lshlrev_b64 v[26:27], 1, v[42:43]
	s_delay_alu instid0(VALU_DEP_1) | instskip(NEXT) | instid1(VALU_DEP_2)
	v_add_co_u32 v26, vcc_lo, v24, v26
	v_add_co_ci_u32_e32 v27, vcc_lo, v25, v27, vcc_lo
	flat_load_u16 v26, v[26:27]
	s_waitcnt vmcnt(0) lgkmcnt(0)
	v_mul_f16_e32 v26, s15, v26
	s_branch .LBB230_283
.LBB230_282:
	v_mov_b32_e32 v26, 0
.LBB230_283:
	v_pk_add_f16 v27, v10, v22
	v_pk_max_f16 v28, v66, v66
	v_pk_add_f16 v29, v11, v23
	s_delay_alu instid0(VALU_DEP_2) | instskip(NEXT) | instid1(VALU_DEP_1)
	v_pk_min_f16 v27, v28, v27
	v_pk_min_f16 v29, v27, v29
	v_lshlrev_b64 v[27:28], 1, v[42:43]
	s_delay_alu instid0(VALU_DEP_2) | instskip(NEXT) | instid1(VALU_DEP_1)
	v_lshrrev_b32_e32 v30, 16, v29
	v_min3_f16 v29, v26, v29, v30
	s_delay_alu instid0(VALU_DEP_3) | instskip(NEXT) | instid1(VALU_DEP_4)
	v_add_co_u32 v26, vcc_lo, v20, v27
	v_add_co_ci_u32_e32 v27, vcc_lo, v21, v28, vcc_lo
	global_store_b16 v[26:27], v29, off
	s_or_b32 exec_lo, exec_lo, s16
	s_and_b32 s18, s6, s8
	s_delay_alu instid0(SALU_CYCLE_1)
	s_and_saveexec_b32 s16, s18
	s_cbranch_execz .LBB230_259
.LBB230_284:
	v_cmp_ne_u32_e32 vcc_lo, 1, v72
	s_cbranch_vccnz .LBB230_286
; %bb.285:
	v_lshlrev_b64 v[26:27], 1, v[44:45]
	s_delay_alu instid0(VALU_DEP_1) | instskip(NEXT) | instid1(VALU_DEP_2)
	v_add_co_u32 v26, vcc_lo, v24, v26
	v_add_co_ci_u32_e32 v27, vcc_lo, v25, v27, vcc_lo
	flat_load_u16 v26, v[26:27]
	s_waitcnt vmcnt(0) lgkmcnt(0)
	v_mul_f16_e32 v26, s15, v26
	s_branch .LBB230_287
.LBB230_286:
	v_mov_b32_e32 v26, 0
.LBB230_287:
	v_pk_add_f16 v27, v0, v22
	v_pk_max_f16 v28, v65, v65
	v_pk_add_f16 v29, v1, v23
	s_delay_alu instid0(VALU_DEP_2) | instskip(NEXT) | instid1(VALU_DEP_1)
	v_pk_min_f16 v27, v28, v27
	v_pk_min_f16 v29, v27, v29
	v_lshlrev_b64 v[27:28], 1, v[44:45]
	s_delay_alu instid0(VALU_DEP_2) | instskip(NEXT) | instid1(VALU_DEP_1)
	v_lshrrev_b32_e32 v30, 16, v29
	v_min3_f16 v29, v26, v29, v30
	s_delay_alu instid0(VALU_DEP_3) | instskip(NEXT) | instid1(VALU_DEP_4)
	v_add_co_u32 v26, vcc_lo, v20, v27
	v_add_co_ci_u32_e32 v27, vcc_lo, v21, v28, vcc_lo
	global_store_b16 v[26:27], v29, off
	s_or_b32 exec_lo, exec_lo, s16
	s_and_b32 s16, s7, s8
	s_delay_alu instid0(SALU_CYCLE_1)
	s_and_saveexec_b32 s8, s16
	s_cbranch_execz .LBB230_292
.LBB230_288:
	v_cmp_ne_u32_e32 vcc_lo, 1, v72
	s_cbranch_vccnz .LBB230_290
; %bb.289:
	v_lshlrev_b64 v[26:27], 1, v[46:47]
	s_delay_alu instid0(VALU_DEP_1) | instskip(NEXT) | instid1(VALU_DEP_2)
	v_add_co_u32 v24, vcc_lo, v24, v26
	v_add_co_ci_u32_e32 v25, vcc_lo, v25, v27, vcc_lo
	flat_load_u16 v24, v[24:25]
	s_waitcnt vmcnt(0) lgkmcnt(0)
	v_mul_f16_e32 v24, s15, v24
	s_branch .LBB230_291
.LBB230_290:
	v_mov_b32_e32 v24, 0
.LBB230_291:
	v_pk_add_f16 v22, v2, v22
	v_pk_max_f16 v25, v64, v64
	v_pk_add_f16 v23, v3, v23
	s_delay_alu instid0(VALU_DEP_2) | instskip(NEXT) | instid1(VALU_DEP_1)
	v_pk_min_f16 v22, v25, v22
	v_pk_min_f16 v25, v22, v23
	v_lshlrev_b64 v[22:23], 1, v[46:47]
	s_delay_alu instid0(VALU_DEP_2) | instskip(NEXT) | instid1(VALU_DEP_2)
	v_lshrrev_b32_e32 v26, 16, v25
	v_add_co_u32 v20, vcc_lo, v20, v22
	s_delay_alu instid0(VALU_DEP_3) | instskip(NEXT) | instid1(VALU_DEP_3)
	v_add_co_ci_u32_e32 v21, vcc_lo, v21, v23, vcc_lo
	v_min3_f16 v24, v24, v25, v26
	global_store_b16 v[20:21], v24, off
.LBB230_292:
	s_or_b32 exec_lo, exec_lo, s8
	v_add_nc_u32_e32 v24, 0xc0, v80
	s_delay_alu instid0(VALU_DEP_1) | instskip(SKIP_2) | instid1(VALU_DEP_3)
	v_mad_i64_i32 v[20:21], null, v24, s14, 0
	v_mad_i64_i32 v[22:23], null, v24, s9, 0
	v_cmp_gt_i32_e64 s8, s17, v24
	v_lshlrev_b64 v[20:21], 1, v[20:21]
	s_delay_alu instid0(VALU_DEP_2) | instskip(NEXT) | instid1(VALU_DEP_3)
	s_and_b32 s18, s0, s8
	v_lshlrev_b64 v[24:25], 1, v[22:23]
	s_delay_alu instid0(VALU_DEP_2) | instskip(NEXT) | instid1(VALU_DEP_3)
	v_add_co_u32 v22, vcc_lo, s10, v20
	v_add_co_ci_u32_e32 v23, vcc_lo, s11, v21, vcc_lo
	s_delay_alu instid0(VALU_DEP_3) | instskip(NEXT) | instid1(VALU_DEP_4)
	v_add_co_u32 v20, vcc_lo, s12, v24
	v_add_co_ci_u32_e32 v21, vcc_lo, s13, v25, vcc_lo
	s_and_saveexec_b32 s16, s18
	s_cbranch_execnz .LBB230_300
; %bb.293:
	s_or_b32 exec_lo, exec_lo, s16
	s_and_b32 s18, s1, s8
	s_delay_alu instid0(SALU_CYCLE_1)
	s_and_saveexec_b32 s16, s18
	s_cbranch_execnz .LBB230_304
.LBB230_294:
	s_or_b32 exec_lo, exec_lo, s16
	s_and_b32 s18, s2, s8
	s_delay_alu instid0(SALU_CYCLE_1)
	s_and_saveexec_b32 s16, s18
	s_cbranch_execnz .LBB230_308
.LBB230_295:
	s_or_b32 exec_lo, exec_lo, s16
	s_and_b32 s18, s3, s8
	s_delay_alu instid0(SALU_CYCLE_1)
	s_and_saveexec_b32 s16, s18
	s_cbranch_execnz .LBB230_312
.LBB230_296:
	s_or_b32 exec_lo, exec_lo, s16
	s_and_b32 s18, s4, s8
	s_delay_alu instid0(SALU_CYCLE_1)
	s_and_saveexec_b32 s16, s18
	s_cbranch_execnz .LBB230_316
.LBB230_297:
	s_or_b32 exec_lo, exec_lo, s16
	s_and_b32 s18, s5, s8
	s_delay_alu instid0(SALU_CYCLE_1)
	s_and_saveexec_b32 s16, s18
	s_cbranch_execnz .LBB230_320
.LBB230_298:
	s_or_b32 exec_lo, exec_lo, s16
	s_and_b32 s18, s6, s8
	s_delay_alu instid0(SALU_CYCLE_1)
	s_and_saveexec_b32 s16, s18
	s_cbranch_execnz .LBB230_324
.LBB230_299:
	s_or_b32 exec_lo, exec_lo, s16
	s_and_b32 s16, s7, s8
	s_delay_alu instid0(SALU_CYCLE_1)
	s_and_saveexec_b32 s8, s16
	s_cbranch_execnz .LBB230_328
	s_branch .LBB230_332
.LBB230_300:
	v_cmp_ne_u32_e32 vcc_lo, 1, v72
	s_cbranch_vccnz .LBB230_302
; %bb.301:
	v_lshlrev_b64 v[24:25], 1, v[32:33]
	s_delay_alu instid0(VALU_DEP_1) | instskip(NEXT) | instid1(VALU_DEP_2)
	v_add_co_u32 v24, vcc_lo, v22, v24
	v_add_co_ci_u32_e32 v25, vcc_lo, v23, v25, vcc_lo
	flat_load_u16 v24, v[24:25]
	s_waitcnt vmcnt(0) lgkmcnt(0)
	v_mul_f16_e32 v24, s15, v24
	s_branch .LBB230_303
.LBB230_302:
	v_mov_b32_e32 v24, 0
.LBB230_303:
	v_pk_add_f16 v25, v16, v4
	v_pk_max_f16 v26, v63, v63
	v_pk_add_f16 v27, v17, v5
	s_delay_alu instid0(VALU_DEP_2) | instskip(NEXT) | instid1(VALU_DEP_1)
	v_pk_min_f16 v25, v26, v25
	v_pk_min_f16 v27, v25, v27
	v_lshlrev_b64 v[25:26], 1, v[32:33]
	s_delay_alu instid0(VALU_DEP_2) | instskip(NEXT) | instid1(VALU_DEP_1)
	v_lshrrev_b32_e32 v28, 16, v27
	v_min3_f16 v27, v24, v27, v28
	s_delay_alu instid0(VALU_DEP_3) | instskip(NEXT) | instid1(VALU_DEP_4)
	v_add_co_u32 v24, vcc_lo, v20, v25
	v_add_co_ci_u32_e32 v25, vcc_lo, v21, v26, vcc_lo
	global_store_b16 v[24:25], v27, off
	s_or_b32 exec_lo, exec_lo, s16
	s_and_b32 s18, s1, s8
	s_delay_alu instid0(SALU_CYCLE_1)
	s_and_saveexec_b32 s16, s18
	s_cbranch_execz .LBB230_294
.LBB230_304:
	v_cmp_ne_u32_e32 vcc_lo, 1, v72
	s_cbranch_vccnz .LBB230_306
; %bb.305:
	v_lshlrev_b64 v[24:25], 1, v[34:35]
	s_delay_alu instid0(VALU_DEP_1) | instskip(NEXT) | instid1(VALU_DEP_2)
	v_add_co_u32 v24, vcc_lo, v22, v24
	v_add_co_ci_u32_e32 v25, vcc_lo, v23, v25, vcc_lo
	flat_load_u16 v24, v[24:25]
	s_waitcnt vmcnt(0) lgkmcnt(0)
	v_mul_f16_e32 v24, s15, v24
	s_branch .LBB230_307
.LBB230_306:
	v_mov_b32_e32 v24, 0
.LBB230_307:
	v_pk_add_f16 v25, v18, v4
	v_pk_max_f16 v26, v62, v62
	v_pk_add_f16 v27, v19, v5
	s_delay_alu instid0(VALU_DEP_2) | instskip(NEXT) | instid1(VALU_DEP_1)
	v_pk_min_f16 v25, v26, v25
	v_pk_min_f16 v27, v25, v27
	v_lshlrev_b64 v[25:26], 1, v[34:35]
	s_delay_alu instid0(VALU_DEP_2) | instskip(NEXT) | instid1(VALU_DEP_1)
	v_lshrrev_b32_e32 v28, 16, v27
	v_min3_f16 v27, v24, v27, v28
	s_delay_alu instid0(VALU_DEP_3) | instskip(NEXT) | instid1(VALU_DEP_4)
	v_add_co_u32 v24, vcc_lo, v20, v25
	v_add_co_ci_u32_e32 v25, vcc_lo, v21, v26, vcc_lo
	global_store_b16 v[24:25], v27, off
	s_or_b32 exec_lo, exec_lo, s16
	s_and_b32 s18, s2, s8
	s_delay_alu instid0(SALU_CYCLE_1)
	s_and_saveexec_b32 s16, s18
	s_cbranch_execz .LBB230_295
.LBB230_308:
	v_cmp_ne_u32_e32 vcc_lo, 1, v72
	s_cbranch_vccnz .LBB230_310
; %bb.309:
	v_lshlrev_b64 v[24:25], 1, v[36:37]
	s_delay_alu instid0(VALU_DEP_1) | instskip(NEXT) | instid1(VALU_DEP_2)
	v_add_co_u32 v24, vcc_lo, v22, v24
	v_add_co_ci_u32_e32 v25, vcc_lo, v23, v25, vcc_lo
	flat_load_u16 v24, v[24:25]
	s_waitcnt vmcnt(0) lgkmcnt(0)
	v_mul_f16_e32 v24, s15, v24
	s_branch .LBB230_311
.LBB230_310:
	v_mov_b32_e32 v24, 0
.LBB230_311:
	v_pk_add_f16 v25, v12, v4
	v_pk_max_f16 v26, v61, v61
	v_pk_add_f16 v27, v13, v5
	s_delay_alu instid0(VALU_DEP_2) | instskip(NEXT) | instid1(VALU_DEP_1)
	v_pk_min_f16 v25, v26, v25
	v_pk_min_f16 v27, v25, v27
	v_lshlrev_b64 v[25:26], 1, v[36:37]
	s_delay_alu instid0(VALU_DEP_2) | instskip(NEXT) | instid1(VALU_DEP_1)
	v_lshrrev_b32_e32 v28, 16, v27
	v_min3_f16 v27, v24, v27, v28
	s_delay_alu instid0(VALU_DEP_3) | instskip(NEXT) | instid1(VALU_DEP_4)
	v_add_co_u32 v24, vcc_lo, v20, v25
	v_add_co_ci_u32_e32 v25, vcc_lo, v21, v26, vcc_lo
	global_store_b16 v[24:25], v27, off
	s_or_b32 exec_lo, exec_lo, s16
	s_and_b32 s18, s3, s8
	s_delay_alu instid0(SALU_CYCLE_1)
	s_and_saveexec_b32 s16, s18
	s_cbranch_execz .LBB230_296
.LBB230_312:
	v_cmp_ne_u32_e32 vcc_lo, 1, v72
	s_cbranch_vccnz .LBB230_314
; %bb.313:
	v_lshlrev_b64 v[24:25], 1, v[38:39]
	s_delay_alu instid0(VALU_DEP_1) | instskip(NEXT) | instid1(VALU_DEP_2)
	v_add_co_u32 v24, vcc_lo, v22, v24
	v_add_co_ci_u32_e32 v25, vcc_lo, v23, v25, vcc_lo
	flat_load_u16 v24, v[24:25]
	s_waitcnt vmcnt(0) lgkmcnt(0)
	v_mul_f16_e32 v24, s15, v24
	s_branch .LBB230_315
.LBB230_314:
	v_mov_b32_e32 v24, 0
.LBB230_315:
	v_pk_add_f16 v25, v14, v4
	v_pk_max_f16 v26, v60, v60
	v_pk_add_f16 v27, v15, v5
	s_delay_alu instid0(VALU_DEP_2) | instskip(NEXT) | instid1(VALU_DEP_1)
	v_pk_min_f16 v25, v26, v25
	v_pk_min_f16 v27, v25, v27
	v_lshlrev_b64 v[25:26], 1, v[38:39]
	s_delay_alu instid0(VALU_DEP_2) | instskip(NEXT) | instid1(VALU_DEP_1)
	v_lshrrev_b32_e32 v28, 16, v27
	v_min3_f16 v27, v24, v27, v28
	s_delay_alu instid0(VALU_DEP_3) | instskip(NEXT) | instid1(VALU_DEP_4)
	v_add_co_u32 v24, vcc_lo, v20, v25
	v_add_co_ci_u32_e32 v25, vcc_lo, v21, v26, vcc_lo
	global_store_b16 v[24:25], v27, off
	s_or_b32 exec_lo, exec_lo, s16
	s_and_b32 s18, s4, s8
	s_delay_alu instid0(SALU_CYCLE_1)
	s_and_saveexec_b32 s16, s18
	s_cbranch_execz .LBB230_297
.LBB230_316:
	v_cmp_ne_u32_e32 vcc_lo, 1, v72
	s_cbranch_vccnz .LBB230_318
; %bb.317:
	v_lshlrev_b64 v[24:25], 1, v[40:41]
	s_delay_alu instid0(VALU_DEP_1) | instskip(NEXT) | instid1(VALU_DEP_2)
	v_add_co_u32 v24, vcc_lo, v22, v24
	v_add_co_ci_u32_e32 v25, vcc_lo, v23, v25, vcc_lo
	flat_load_u16 v24, v[24:25]
	s_waitcnt vmcnt(0) lgkmcnt(0)
	v_mul_f16_e32 v24, s15, v24
	s_branch .LBB230_319
.LBB230_318:
	v_mov_b32_e32 v24, 0
.LBB230_319:
	v_pk_add_f16 v25, v8, v4
	v_pk_max_f16 v26, v59, v59
	v_pk_add_f16 v27, v9, v5
	s_delay_alu instid0(VALU_DEP_2) | instskip(NEXT) | instid1(VALU_DEP_1)
	v_pk_min_f16 v25, v26, v25
	v_pk_min_f16 v27, v25, v27
	v_lshlrev_b64 v[25:26], 1, v[40:41]
	s_delay_alu instid0(VALU_DEP_2) | instskip(NEXT) | instid1(VALU_DEP_1)
	v_lshrrev_b32_e32 v28, 16, v27
	v_min3_f16 v27, v24, v27, v28
	s_delay_alu instid0(VALU_DEP_3) | instskip(NEXT) | instid1(VALU_DEP_4)
	v_add_co_u32 v24, vcc_lo, v20, v25
	v_add_co_ci_u32_e32 v25, vcc_lo, v21, v26, vcc_lo
	global_store_b16 v[24:25], v27, off
	s_or_b32 exec_lo, exec_lo, s16
	s_and_b32 s18, s5, s8
	s_delay_alu instid0(SALU_CYCLE_1)
	s_and_saveexec_b32 s16, s18
	s_cbranch_execz .LBB230_298
.LBB230_320:
	v_cmp_ne_u32_e32 vcc_lo, 1, v72
	s_cbranch_vccnz .LBB230_322
; %bb.321:
	v_lshlrev_b64 v[24:25], 1, v[42:43]
	s_delay_alu instid0(VALU_DEP_1) | instskip(NEXT) | instid1(VALU_DEP_2)
	v_add_co_u32 v24, vcc_lo, v22, v24
	v_add_co_ci_u32_e32 v25, vcc_lo, v23, v25, vcc_lo
	flat_load_u16 v24, v[24:25]
	s_waitcnt vmcnt(0) lgkmcnt(0)
	v_mul_f16_e32 v24, s15, v24
	s_branch .LBB230_323
.LBB230_322:
	v_mov_b32_e32 v24, 0
.LBB230_323:
	v_pk_add_f16 v25, v10, v4
	v_pk_max_f16 v26, v58, v58
	v_pk_add_f16 v27, v11, v5
	s_delay_alu instid0(VALU_DEP_2) | instskip(NEXT) | instid1(VALU_DEP_1)
	v_pk_min_f16 v25, v26, v25
	v_pk_min_f16 v27, v25, v27
	v_lshlrev_b64 v[25:26], 1, v[42:43]
	s_delay_alu instid0(VALU_DEP_2) | instskip(NEXT) | instid1(VALU_DEP_1)
	v_lshrrev_b32_e32 v28, 16, v27
	v_min3_f16 v27, v24, v27, v28
	s_delay_alu instid0(VALU_DEP_3) | instskip(NEXT) | instid1(VALU_DEP_4)
	v_add_co_u32 v24, vcc_lo, v20, v25
	v_add_co_ci_u32_e32 v25, vcc_lo, v21, v26, vcc_lo
	global_store_b16 v[24:25], v27, off
	s_or_b32 exec_lo, exec_lo, s16
	s_and_b32 s18, s6, s8
	s_delay_alu instid0(SALU_CYCLE_1)
	s_and_saveexec_b32 s16, s18
	s_cbranch_execz .LBB230_299
.LBB230_324:
	v_cmp_ne_u32_e32 vcc_lo, 1, v72
	s_cbranch_vccnz .LBB230_326
; %bb.325:
	v_lshlrev_b64 v[24:25], 1, v[44:45]
	s_delay_alu instid0(VALU_DEP_1) | instskip(NEXT) | instid1(VALU_DEP_2)
	v_add_co_u32 v24, vcc_lo, v22, v24
	v_add_co_ci_u32_e32 v25, vcc_lo, v23, v25, vcc_lo
	flat_load_u16 v24, v[24:25]
	s_waitcnt vmcnt(0) lgkmcnt(0)
	v_mul_f16_e32 v24, s15, v24
	s_branch .LBB230_327
.LBB230_326:
	v_mov_b32_e32 v24, 0
.LBB230_327:
	v_pk_add_f16 v25, v0, v4
	v_pk_max_f16 v26, v57, v57
	v_pk_add_f16 v27, v1, v5
	s_delay_alu instid0(VALU_DEP_2) | instskip(NEXT) | instid1(VALU_DEP_1)
	v_pk_min_f16 v25, v26, v25
	v_pk_min_f16 v27, v25, v27
	v_lshlrev_b64 v[25:26], 1, v[44:45]
	s_delay_alu instid0(VALU_DEP_2) | instskip(NEXT) | instid1(VALU_DEP_1)
	v_lshrrev_b32_e32 v28, 16, v27
	v_min3_f16 v27, v24, v27, v28
	s_delay_alu instid0(VALU_DEP_3) | instskip(NEXT) | instid1(VALU_DEP_4)
	v_add_co_u32 v24, vcc_lo, v20, v25
	v_add_co_ci_u32_e32 v25, vcc_lo, v21, v26, vcc_lo
	global_store_b16 v[24:25], v27, off
	s_or_b32 exec_lo, exec_lo, s16
	s_and_b32 s16, s7, s8
	s_delay_alu instid0(SALU_CYCLE_1)
	s_and_saveexec_b32 s8, s16
	s_cbranch_execz .LBB230_332
.LBB230_328:
	v_cmp_ne_u32_e32 vcc_lo, 1, v72
	s_cbranch_vccnz .LBB230_330
; %bb.329:
	v_lshlrev_b64 v[24:25], 1, v[46:47]
	s_delay_alu instid0(VALU_DEP_1) | instskip(NEXT) | instid1(VALU_DEP_2)
	v_add_co_u32 v22, vcc_lo, v22, v24
	v_add_co_ci_u32_e32 v23, vcc_lo, v23, v25, vcc_lo
	flat_load_u16 v22, v[22:23]
	s_waitcnt vmcnt(0) lgkmcnt(0)
	v_mul_f16_e32 v22, s15, v22
	s_branch .LBB230_331
.LBB230_330:
	v_mov_b32_e32 v22, 0
.LBB230_331:
	v_pk_add_f16 v4, v2, v4
	v_pk_max_f16 v23, v56, v56
	v_pk_add_f16 v5, v3, v5
	s_delay_alu instid0(VALU_DEP_2) | instskip(NEXT) | instid1(VALU_DEP_1)
	v_pk_min_f16 v4, v23, v4
	v_pk_min_f16 v23, v4, v5
	v_lshlrev_b64 v[4:5], 1, v[46:47]
	s_delay_alu instid0(VALU_DEP_2) | instskip(NEXT) | instid1(VALU_DEP_2)
	v_lshrrev_b32_e32 v24, 16, v23
	v_add_co_u32 v4, vcc_lo, v20, v4
	s_delay_alu instid0(VALU_DEP_3) | instskip(NEXT) | instid1(VALU_DEP_3)
	v_add_co_ci_u32_e32 v5, vcc_lo, v21, v5, vcc_lo
	v_min3_f16 v22, v22, v23, v24
	global_store_b16 v[4:5], v22, off
.LBB230_332:
	s_or_b32 exec_lo, exec_lo, s8
	v_add_nc_u32_e32 v22, 0xe0, v80
	s_delay_alu instid0(VALU_DEP_1) | instskip(SKIP_2) | instid1(VALU_DEP_3)
	v_mad_i64_i32 v[4:5], null, v22, s14, 0
	v_mad_i64_i32 v[20:21], null, v22, s9, 0
	v_cmp_gt_i32_e64 s8, s17, v22
	v_lshlrev_b64 v[4:5], 1, v[4:5]
	s_delay_alu instid0(VALU_DEP_2) | instskip(NEXT) | instid1(VALU_DEP_3)
	s_and_b32 s9, s0, s8
	v_lshlrev_b64 v[20:21], 1, v[20:21]
	s_delay_alu instid0(VALU_DEP_2) | instskip(NEXT) | instid1(VALU_DEP_3)
	v_add_co_u32 v22, vcc_lo, s10, v4
	v_add_co_ci_u32_e32 v23, vcc_lo, s11, v5, vcc_lo
	s_delay_alu instid0(VALU_DEP_3) | instskip(NEXT) | instid1(VALU_DEP_4)
	v_add_co_u32 v20, vcc_lo, s12, v20
	v_add_co_ci_u32_e32 v21, vcc_lo, s13, v21, vcc_lo
	s_and_saveexec_b32 s0, s9
	s_cbranch_execnz .LBB230_341
; %bb.333:
	s_or_b32 exec_lo, exec_lo, s0
	s_and_b32 s1, s1, s8
	s_delay_alu instid0(SALU_CYCLE_1)
	s_and_saveexec_b32 s0, s1
	s_cbranch_execnz .LBB230_345
.LBB230_334:
	s_or_b32 exec_lo, exec_lo, s0
	s_and_b32 s1, s2, s8
	s_delay_alu instid0(SALU_CYCLE_1)
	s_and_saveexec_b32 s0, s1
	s_cbranch_execnz .LBB230_349
.LBB230_335:
	s_or_b32 exec_lo, exec_lo, s0
	s_and_b32 s1, s3, s8
	s_delay_alu instid0(SALU_CYCLE_1)
	s_and_saveexec_b32 s0, s1
	s_cbranch_execnz .LBB230_353
.LBB230_336:
	s_or_b32 exec_lo, exec_lo, s0
	s_and_b32 s1, s4, s8
	s_delay_alu instid0(SALU_CYCLE_1)
	s_and_saveexec_b32 s0, s1
	s_cbranch_execnz .LBB230_357
.LBB230_337:
	s_or_b32 exec_lo, exec_lo, s0
	s_and_b32 s1, s5, s8
	s_delay_alu instid0(SALU_CYCLE_1)
	s_and_saveexec_b32 s0, s1
	s_cbranch_execnz .LBB230_361
.LBB230_338:
	s_or_b32 exec_lo, exec_lo, s0
	s_and_b32 s1, s6, s8
	s_delay_alu instid0(SALU_CYCLE_1)
	s_and_saveexec_b32 s0, s1
	s_cbranch_execnz .LBB230_365
.LBB230_339:
	s_or_b32 exec_lo, exec_lo, s0
	s_and_b32 s0, s7, s8
	s_delay_alu instid0(SALU_CYCLE_1)
	s_and_saveexec_b32 s1, s0
	s_cbranch_execnz .LBB230_369
.LBB230_340:
	s_nop 0
	s_sendmsg sendmsg(MSG_DEALLOC_VGPRS)
	s_endpgm
.LBB230_341:
	v_cmp_ne_u32_e32 vcc_lo, 1, v72
	v_lshlrev_b64 v[4:5], 1, v[32:33]
	s_cbranch_vccnz .LBB230_343
; %bb.342:
	s_delay_alu instid0(VALU_DEP_1) | instskip(NEXT) | instid1(VALU_DEP_2)
	v_add_co_u32 v24, vcc_lo, v22, v4
	v_add_co_ci_u32_e32 v25, vcc_lo, v23, v5, vcc_lo
	flat_load_u16 v24, v[24:25]
	s_waitcnt vmcnt(0) lgkmcnt(0)
	v_mul_f16_e32 v24, s15, v24
	s_branch .LBB230_344
.LBB230_343:
	v_mov_b32_e32 v24, 0
.LBB230_344:
	v_pk_add_f16 v16, v16, v6
	v_pk_max_f16 v25, v55, v55
	v_pk_add_f16 v17, v17, v7
	v_add_co_u32 v4, vcc_lo, v20, v4
	v_add_co_ci_u32_e32 v5, vcc_lo, v21, v5, vcc_lo
	s_delay_alu instid0(VALU_DEP_4) | instskip(NEXT) | instid1(VALU_DEP_1)
	v_pk_min_f16 v16, v25, v16
	v_pk_min_f16 v16, v16, v17
	s_delay_alu instid0(VALU_DEP_1) | instskip(NEXT) | instid1(VALU_DEP_1)
	v_lshrrev_b32_e32 v17, 16, v16
	v_min3_f16 v16, v24, v16, v17
	global_store_b16 v[4:5], v16, off
	s_or_b32 exec_lo, exec_lo, s0
	s_and_b32 s1, s1, s8
	s_delay_alu instid0(SALU_CYCLE_1)
	s_and_saveexec_b32 s0, s1
	s_cbranch_execz .LBB230_334
.LBB230_345:
	v_cmp_ne_u32_e32 vcc_lo, 1, v72
	v_lshlrev_b64 v[4:5], 1, v[34:35]
	s_cbranch_vccnz .LBB230_347
; %bb.346:
	s_delay_alu instid0(VALU_DEP_1) | instskip(NEXT) | instid1(VALU_DEP_2)
	v_add_co_u32 v16, vcc_lo, v22, v4
	v_add_co_ci_u32_e32 v17, vcc_lo, v23, v5, vcc_lo
	flat_load_u16 v16, v[16:17]
	s_waitcnt vmcnt(0) lgkmcnt(0)
	v_mul_f16_e32 v16, s15, v16
	s_branch .LBB230_348
.LBB230_347:
	v_mov_b32_e32 v16, 0
.LBB230_348:
	v_pk_add_f16 v17, v18, v6
	v_pk_max_f16 v18, v54, v54
	v_pk_add_f16 v19, v19, v7
	v_add_co_u32 v4, vcc_lo, v20, v4
	v_add_co_ci_u32_e32 v5, vcc_lo, v21, v5, vcc_lo
	s_delay_alu instid0(VALU_DEP_4) | instskip(NEXT) | instid1(VALU_DEP_1)
	v_pk_min_f16 v17, v18, v17
	v_pk_min_f16 v17, v17, v19
	s_delay_alu instid0(VALU_DEP_1) | instskip(NEXT) | instid1(VALU_DEP_1)
	v_lshrrev_b32_e32 v18, 16, v17
	v_min3_f16 v16, v16, v17, v18
	global_store_b16 v[4:5], v16, off
	s_or_b32 exec_lo, exec_lo, s0
	s_and_b32 s1, s2, s8
	s_delay_alu instid0(SALU_CYCLE_1)
	s_and_saveexec_b32 s0, s1
	s_cbranch_execz .LBB230_335
.LBB230_349:
	v_cmp_ne_u32_e32 vcc_lo, 1, v72
	v_lshlrev_b64 v[4:5], 1, v[36:37]
	s_cbranch_vccnz .LBB230_351
; %bb.350:
	s_delay_alu instid0(VALU_DEP_1) | instskip(NEXT) | instid1(VALU_DEP_2)
	v_add_co_u32 v16, vcc_lo, v22, v4
	v_add_co_ci_u32_e32 v17, vcc_lo, v23, v5, vcc_lo
	flat_load_u16 v16, v[16:17]
	s_waitcnt vmcnt(0) lgkmcnt(0)
	v_mul_f16_e32 v16, s15, v16
	s_branch .LBB230_352
.LBB230_351:
	v_mov_b32_e32 v16, 0
.LBB230_352:
	v_pk_add_f16 v12, v12, v6
	v_pk_max_f16 v17, v53, v53
	v_pk_add_f16 v13, v13, v7
	v_add_co_u32 v4, vcc_lo, v20, v4
	v_add_co_ci_u32_e32 v5, vcc_lo, v21, v5, vcc_lo
	s_delay_alu instid0(VALU_DEP_4) | instskip(NEXT) | instid1(VALU_DEP_1)
	v_pk_min_f16 v12, v17, v12
	v_pk_min_f16 v12, v12, v13
	s_delay_alu instid0(VALU_DEP_1) | instskip(NEXT) | instid1(VALU_DEP_1)
	v_lshrrev_b32_e32 v13, 16, v12
	v_min3_f16 v12, v16, v12, v13
	global_store_b16 v[4:5], v12, off
	s_or_b32 exec_lo, exec_lo, s0
	s_and_b32 s1, s3, s8
	s_delay_alu instid0(SALU_CYCLE_1)
	s_and_saveexec_b32 s0, s1
	s_cbranch_execz .LBB230_336
.LBB230_353:
	v_cmp_ne_u32_e32 vcc_lo, 1, v72
	v_lshlrev_b64 v[4:5], 1, v[38:39]
	s_cbranch_vccnz .LBB230_355
; %bb.354:
	s_delay_alu instid0(VALU_DEP_1) | instskip(NEXT) | instid1(VALU_DEP_2)
	v_add_co_u32 v12, vcc_lo, v22, v4
	v_add_co_ci_u32_e32 v13, vcc_lo, v23, v5, vcc_lo
	flat_load_u16 v12, v[12:13]
	s_waitcnt vmcnt(0) lgkmcnt(0)
	v_mul_f16_e32 v12, s15, v12
	s_branch .LBB230_356
.LBB230_355:
	v_mov_b32_e32 v12, 0
.LBB230_356:
	v_pk_add_f16 v13, v14, v6
	v_pk_max_f16 v14, v52, v52
	v_pk_add_f16 v15, v15, v7
	v_add_co_u32 v4, vcc_lo, v20, v4
	v_add_co_ci_u32_e32 v5, vcc_lo, v21, v5, vcc_lo
	s_delay_alu instid0(VALU_DEP_4) | instskip(NEXT) | instid1(VALU_DEP_1)
	v_pk_min_f16 v13, v14, v13
	v_pk_min_f16 v13, v13, v15
	s_delay_alu instid0(VALU_DEP_1) | instskip(NEXT) | instid1(VALU_DEP_1)
	v_lshrrev_b32_e32 v14, 16, v13
	v_min3_f16 v12, v12, v13, v14
	global_store_b16 v[4:5], v12, off
	s_or_b32 exec_lo, exec_lo, s0
	s_and_b32 s1, s4, s8
	s_delay_alu instid0(SALU_CYCLE_1)
	s_and_saveexec_b32 s0, s1
	s_cbranch_execz .LBB230_337
.LBB230_357:
	v_cmp_ne_u32_e32 vcc_lo, 1, v72
	v_lshlrev_b64 v[4:5], 1, v[40:41]
	s_cbranch_vccnz .LBB230_359
; %bb.358:
	s_delay_alu instid0(VALU_DEP_1) | instskip(NEXT) | instid1(VALU_DEP_2)
	v_add_co_u32 v12, vcc_lo, v22, v4
	v_add_co_ci_u32_e32 v13, vcc_lo, v23, v5, vcc_lo
	flat_load_u16 v12, v[12:13]
	s_waitcnt vmcnt(0) lgkmcnt(0)
	v_mul_f16_e32 v12, s15, v12
	s_branch .LBB230_360
.LBB230_359:
	v_mov_b32_e32 v12, 0
.LBB230_360:
	v_pk_add_f16 v8, v8, v6
	v_pk_max_f16 v13, v51, v51
	v_pk_add_f16 v9, v9, v7
	v_add_co_u32 v4, vcc_lo, v20, v4
	v_add_co_ci_u32_e32 v5, vcc_lo, v21, v5, vcc_lo
	s_delay_alu instid0(VALU_DEP_4) | instskip(NEXT) | instid1(VALU_DEP_1)
	v_pk_min_f16 v8, v13, v8
	v_pk_min_f16 v8, v8, v9
	s_delay_alu instid0(VALU_DEP_1) | instskip(NEXT) | instid1(VALU_DEP_1)
	v_lshrrev_b32_e32 v9, 16, v8
	v_min3_f16 v8, v12, v8, v9
	global_store_b16 v[4:5], v8, off
	s_or_b32 exec_lo, exec_lo, s0
	s_and_b32 s1, s5, s8
	s_delay_alu instid0(SALU_CYCLE_1)
	s_and_saveexec_b32 s0, s1
	s_cbranch_execz .LBB230_338
.LBB230_361:
	v_cmp_ne_u32_e32 vcc_lo, 1, v72
	v_lshlrev_b64 v[4:5], 1, v[42:43]
	s_cbranch_vccnz .LBB230_363
; %bb.362:
	s_delay_alu instid0(VALU_DEP_1) | instskip(NEXT) | instid1(VALU_DEP_2)
	v_add_co_u32 v8, vcc_lo, v22, v4
	v_add_co_ci_u32_e32 v9, vcc_lo, v23, v5, vcc_lo
	flat_load_u16 v8, v[8:9]
	s_waitcnt vmcnt(0) lgkmcnt(0)
	v_mul_f16_e32 v8, s15, v8
	s_branch .LBB230_364
.LBB230_363:
	v_mov_b32_e32 v8, 0
.LBB230_364:
	v_pk_add_f16 v9, v10, v6
	v_pk_max_f16 v10, v50, v50
	v_pk_add_f16 v11, v11, v7
	v_add_co_u32 v4, vcc_lo, v20, v4
	v_add_co_ci_u32_e32 v5, vcc_lo, v21, v5, vcc_lo
	s_delay_alu instid0(VALU_DEP_4) | instskip(NEXT) | instid1(VALU_DEP_1)
	v_pk_min_f16 v9, v10, v9
	v_pk_min_f16 v9, v9, v11
	s_delay_alu instid0(VALU_DEP_1) | instskip(NEXT) | instid1(VALU_DEP_1)
	v_lshrrev_b32_e32 v10, 16, v9
	v_min3_f16 v8, v8, v9, v10
	global_store_b16 v[4:5], v8, off
	s_or_b32 exec_lo, exec_lo, s0
	s_and_b32 s1, s6, s8
	s_delay_alu instid0(SALU_CYCLE_1)
	s_and_saveexec_b32 s0, s1
	s_cbranch_execz .LBB230_339
.LBB230_365:
	v_cmp_ne_u32_e32 vcc_lo, 1, v72
	v_lshlrev_b64 v[4:5], 1, v[44:45]
	s_cbranch_vccnz .LBB230_367
; %bb.366:
	s_delay_alu instid0(VALU_DEP_1) | instskip(NEXT) | instid1(VALU_DEP_2)
	v_add_co_u32 v8, vcc_lo, v22, v4
	v_add_co_ci_u32_e32 v9, vcc_lo, v23, v5, vcc_lo
	flat_load_u16 v8, v[8:9]
	s_waitcnt vmcnt(0) lgkmcnt(0)
	v_mul_f16_e32 v8, s15, v8
	s_branch .LBB230_368
.LBB230_367:
	v_mov_b32_e32 v8, 0
.LBB230_368:
	v_pk_add_f16 v0, v0, v6
	v_pk_max_f16 v9, v49, v49
	v_pk_add_f16 v1, v1, v7
	s_delay_alu instid0(VALU_DEP_2) | instskip(NEXT) | instid1(VALU_DEP_1)
	v_pk_min_f16 v0, v9, v0
	v_pk_min_f16 v0, v0, v1
	s_delay_alu instid0(VALU_DEP_1) | instskip(NEXT) | instid1(VALU_DEP_1)
	v_lshrrev_b32_e32 v1, 16, v0
	v_min3_f16 v8, v8, v0, v1
	v_add_co_u32 v0, vcc_lo, v20, v4
	v_add_co_ci_u32_e32 v1, vcc_lo, v21, v5, vcc_lo
	global_store_b16 v[0:1], v8, off
	s_or_b32 exec_lo, exec_lo, s0
	s_and_b32 s0, s7, s8
	s_delay_alu instid0(SALU_CYCLE_1)
	s_and_saveexec_b32 s1, s0
	s_cbranch_execz .LBB230_340
.LBB230_369:
	v_cmp_ne_u32_e32 vcc_lo, 1, v72
	v_lshlrev_b64 v[0:1], 1, v[46:47]
	s_cbranch_vccnz .LBB230_371
; %bb.370:
	s_delay_alu instid0(VALU_DEP_1) | instskip(NEXT) | instid1(VALU_DEP_2)
	v_add_co_u32 v4, vcc_lo, v22, v0
	v_add_co_ci_u32_e32 v5, vcc_lo, v23, v1, vcc_lo
	flat_load_u16 v4, v[4:5]
	s_waitcnt vmcnt(0) lgkmcnt(0)
	v_mul_f16_e32 v4, s15, v4
	s_branch .LBB230_372
.LBB230_371:
	v_mov_b32_e32 v4, 0
.LBB230_372:
	v_pk_add_f16 v2, v2, v6
	v_pk_max_f16 v5, v48, v48
	v_pk_add_f16 v3, v3, v7
	v_add_co_u32 v0, vcc_lo, v20, v0
	v_add_co_ci_u32_e32 v1, vcc_lo, v21, v1, vcc_lo
	s_delay_alu instid0(VALU_DEP_4) | instskip(NEXT) | instid1(VALU_DEP_1)
	v_pk_min_f16 v2, v5, v2
	v_pk_min_f16 v2, v2, v3
	s_delay_alu instid0(VALU_DEP_1) | instskip(NEXT) | instid1(VALU_DEP_1)
	v_lshrrev_b32_e32 v3, 16, v2
	v_min3_f16 v2, v4, v2, v3
	global_store_b16 v[0:1], v2, off
	s_nop 0
	s_sendmsg sendmsg(MSG_DEALLOC_VGPRS)
	s_endpgm
	.section	.rodata,"a",@progbits
	.p2align	6, 0x0
	.amdhsa_kernel _ZN12_GLOBAL__N_120geam_min_plus_kernelIDF16_Dv2_DF16_S1_Li8ELi32ELi64ELi256ELi4ELi4ELi64ELi64ELi4ELc84ELc84ELb0ELb1ELb1EDF16_KPKDF16_KPDF16_EEviiiT16_PT17_ilS9_ilS7_S9_ilPT18_ili26rocblas_geam_ex_operation_
		.amdhsa_group_segment_fixed_size 5120
		.amdhsa_private_segment_fixed_size 0
		.amdhsa_kernarg_size 128
		.amdhsa_user_sgpr_count 14
		.amdhsa_user_sgpr_dispatch_ptr 0
		.amdhsa_user_sgpr_queue_ptr 0
		.amdhsa_user_sgpr_kernarg_segment_ptr 1
		.amdhsa_user_sgpr_dispatch_id 0
		.amdhsa_user_sgpr_private_segment_size 0
		.amdhsa_wavefront_size32 1
		.amdhsa_uses_dynamic_stack 0
		.amdhsa_enable_private_segment 0
		.amdhsa_system_sgpr_workgroup_id_x 1
		.amdhsa_system_sgpr_workgroup_id_y 0
		.amdhsa_system_sgpr_workgroup_id_z 1
		.amdhsa_system_sgpr_workgroup_info 0
		.amdhsa_system_vgpr_workitem_id 1
		.amdhsa_next_free_vgpr 163
		.amdhsa_next_free_sgpr 29
		.amdhsa_reserve_vcc 1
		.amdhsa_float_round_mode_32 0
		.amdhsa_float_round_mode_16_64 0
		.amdhsa_float_denorm_mode_32 3
		.amdhsa_float_denorm_mode_16_64 3
		.amdhsa_dx10_clamp 1
		.amdhsa_ieee_mode 1
		.amdhsa_fp16_overflow 0
		.amdhsa_workgroup_processor_mode 1
		.amdhsa_memory_ordered 1
		.amdhsa_forward_progress 0
		.amdhsa_shared_vgpr_count 0
		.amdhsa_exception_fp_ieee_invalid_op 0
		.amdhsa_exception_fp_denorm_src 0
		.amdhsa_exception_fp_ieee_div_zero 0
		.amdhsa_exception_fp_ieee_overflow 0
		.amdhsa_exception_fp_ieee_underflow 0
		.amdhsa_exception_fp_ieee_inexact 0
		.amdhsa_exception_int_div_zero 0
	.end_amdhsa_kernel
	.section	.text._ZN12_GLOBAL__N_120geam_min_plus_kernelIDF16_Dv2_DF16_S1_Li8ELi32ELi64ELi256ELi4ELi4ELi64ELi64ELi4ELc84ELc84ELb0ELb1ELb1EDF16_KPKDF16_KPDF16_EEviiiT16_PT17_ilS9_ilS7_S9_ilPT18_ili26rocblas_geam_ex_operation_,"axG",@progbits,_ZN12_GLOBAL__N_120geam_min_plus_kernelIDF16_Dv2_DF16_S1_Li8ELi32ELi64ELi256ELi4ELi4ELi64ELi64ELi4ELc84ELc84ELb0ELb1ELb1EDF16_KPKDF16_KPDF16_EEviiiT16_PT17_ilS9_ilS7_S9_ilPT18_ili26rocblas_geam_ex_operation_,comdat
.Lfunc_end230:
	.size	_ZN12_GLOBAL__N_120geam_min_plus_kernelIDF16_Dv2_DF16_S1_Li8ELi32ELi64ELi256ELi4ELi4ELi64ELi64ELi4ELc84ELc84ELb0ELb1ELb1EDF16_KPKDF16_KPDF16_EEviiiT16_PT17_ilS9_ilS7_S9_ilPT18_ili26rocblas_geam_ex_operation_, .Lfunc_end230-_ZN12_GLOBAL__N_120geam_min_plus_kernelIDF16_Dv2_DF16_S1_Li8ELi32ELi64ELi256ELi4ELi4ELi64ELi64ELi4ELc84ELc84ELb0ELb1ELb1EDF16_KPKDF16_KPDF16_EEviiiT16_PT17_ilS9_ilS7_S9_ilPT18_ili26rocblas_geam_ex_operation_
                                        ; -- End function
	.section	.AMDGPU.csdata,"",@progbits
; Kernel info:
; codeLenInByte = 23456
; NumSgprs: 31
; NumVgprs: 163
; ScratchSize: 0
; MemoryBound: 0
; FloatMode: 240
; IeeeMode: 1
; LDSByteSize: 5120 bytes/workgroup (compile time only)
; SGPRBlocks: 3
; VGPRBlocks: 20
; NumSGPRsForWavesPerEU: 31
; NumVGPRsForWavesPerEU: 163
; Occupancy: 9
; WaveLimiterHint : 1
; COMPUTE_PGM_RSRC2:SCRATCH_EN: 0
; COMPUTE_PGM_RSRC2:USER_SGPR: 14
; COMPUTE_PGM_RSRC2:TRAP_HANDLER: 0
; COMPUTE_PGM_RSRC2:TGID_X_EN: 1
; COMPUTE_PGM_RSRC2:TGID_Y_EN: 0
; COMPUTE_PGM_RSRC2:TGID_Z_EN: 1
; COMPUTE_PGM_RSRC2:TIDIG_COMP_CNT: 1
	.section	.text._ZN12_GLOBAL__N_120geam_min_plus_kernelIDF16_Dv2_DF16_S1_Li8ELi32ELi64ELi128ELi4ELi64ELi4ELi4ELi64ELc78ELc78ELb0ELb0ELb0EPKDF16_KS3_KPDF16_EEviiiT16_PT17_ilS9_ilS7_S9_ilPT18_ili26rocblas_geam_ex_operation_,"axG",@progbits,_ZN12_GLOBAL__N_120geam_min_plus_kernelIDF16_Dv2_DF16_S1_Li8ELi32ELi64ELi128ELi4ELi64ELi4ELi4ELi64ELc78ELc78ELb0ELb0ELb0EPKDF16_KS3_KPDF16_EEviiiT16_PT17_ilS9_ilS7_S9_ilPT18_ili26rocblas_geam_ex_operation_,comdat
	.globl	_ZN12_GLOBAL__N_120geam_min_plus_kernelIDF16_Dv2_DF16_S1_Li8ELi32ELi64ELi128ELi4ELi64ELi4ELi4ELi64ELc78ELc78ELb0ELb0ELb0EPKDF16_KS3_KPDF16_EEviiiT16_PT17_ilS9_ilS7_S9_ilPT18_ili26rocblas_geam_ex_operation_ ; -- Begin function _ZN12_GLOBAL__N_120geam_min_plus_kernelIDF16_Dv2_DF16_S1_Li8ELi32ELi64ELi128ELi4ELi64ELi4ELi4ELi64ELc78ELc78ELb0ELb0ELb0EPKDF16_KS3_KPDF16_EEviiiT16_PT17_ilS9_ilS7_S9_ilPT18_ili26rocblas_geam_ex_operation_
	.p2align	8
	.type	_ZN12_GLOBAL__N_120geam_min_plus_kernelIDF16_Dv2_DF16_S1_Li8ELi32ELi64ELi128ELi4ELi64ELi4ELi4ELi64ELc78ELc78ELb0ELb0ELb0EPKDF16_KS3_KPDF16_EEviiiT16_PT17_ilS9_ilS7_S9_ilPT18_ili26rocblas_geam_ex_operation_,@function
_ZN12_GLOBAL__N_120geam_min_plus_kernelIDF16_Dv2_DF16_S1_Li8ELi32ELi64ELi128ELi4ELi64ELi4ELi4ELi64ELc78ELc78ELb0ELb0ELb0EPKDF16_KS3_KPDF16_EEviiiT16_PT17_ilS9_ilS7_S9_ilPT18_ili26rocblas_geam_ex_operation_: ; @_ZN12_GLOBAL__N_120geam_min_plus_kernelIDF16_Dv2_DF16_S1_Li8ELi32ELi64ELi128ELi4ELi64ELi4ELi4ELi64ELc78ELc78ELb0ELb0ELb0EPKDF16_KS3_KPDF16_EEviiiT16_PT17_ilS9_ilS7_S9_ilPT18_ili26rocblas_geam_ex_operation_
; %bb.0:
	s_clause 0x1
	s_load_b128 s[16:19], s[0:1], 0x10
	s_load_b128 s[4:7], s[0:1], 0x28
	s_mov_b32 s20, s15
	s_mov_b32 s21, 0
	v_mov_b32_e32 v1, 0
	s_lshl_b64 s[2:3], s[20:21], 1
	s_mov_b64 s[12:13], 0
	s_waitcnt lgkmcnt(0)
	s_add_u32 s8, s16, s2
	s_addc_u32 s9, s17, s3
	global_load_u16 v46, v1, s[8:9]
	s_clause 0x1
	s_load_b128 s[8:11], s[0:1], 0x40
	s_load_b64 s[16:17], s[0:1], 0x50
	s_waitcnt lgkmcnt(0)
	s_add_u32 s22, s10, s2
	s_addc_u32 s23, s11, s3
	s_mov_b64 s[10:11], 0
	s_waitcnt vmcnt(0)
	v_cmp_eq_f16_e32 vcc_lo, 0, v46
	v_cmp_neq_f16_e64 s2, 0, v46
	s_cbranch_vccnz .LBB231_2
; %bb.1:
	s_lshl_b64 s[10:11], s[20:21], 3
	s_delay_alu instid0(SALU_CYCLE_1)
	s_add_u32 s10, s18, s10
	s_addc_u32 s11, s19, s11
	s_lshl_b64 s[4:5], s[4:5], 1
	s_load_b64 s[10:11], s[10:11], 0x0
	s_waitcnt lgkmcnt(0)
	s_add_u32 s10, s10, s4
	s_addc_u32 s11, s11, s5
.LBB231_2:
	global_load_u16 v28, v1, s[22:23]
	v_cndmask_b32_e64 v1, 0, 1, s2
	s_and_not1_b32 vcc_lo, exec_lo, s2
	s_delay_alu instid0(VALU_DEP_1)
	v_cmp_ne_u32_e64 s3, 1, v1
	s_cbranch_vccnz .LBB231_4
; %bb.3:
	s_lshl_b64 s[4:5], s[20:21], 3
	s_delay_alu instid0(SALU_CYCLE_1)
	s_add_u32 s4, s6, s4
	s_addc_u32 s5, s7, s5
	s_lshl_b64 s[6:7], s[8:9], 1
	s_load_b64 s[4:5], s[4:5], 0x0
	s_waitcnt lgkmcnt(0)
	s_add_u32 s12, s4, s6
	s_addc_u32 s13, s5, s7
.LBB231_4:
	s_load_b128 s[4:7], s[0:1], 0x60
	s_waitcnt vmcnt(0)
	v_cmp_eq_f16_e32 vcc_lo, 0, v28
	s_and_b32 s2, exec_lo, vcc_lo
	s_delay_alu instid0(SALU_CYCLE_1)
	s_mov_b32 vcc_lo, s2
	s_cbranch_vccnz .LBB231_6
; %bb.5:
	s_lshl_b64 s[8:9], s[20:21], 3
	s_delay_alu instid0(SALU_CYCLE_1)
	s_add_u32 s8, s16, s8
	s_addc_u32 s9, s17, s9
	s_waitcnt lgkmcnt(0)
	s_lshl_b64 s[4:5], s[4:5], 1
	s_load_b64 s[8:9], s[8:9], 0x0
	s_waitcnt lgkmcnt(0)
	s_add_u32 s8, s8, s4
	s_addc_u32 s9, s9, s5
	s_branch .LBB231_7
.LBB231_6:
	s_mov_b64 s[8:9], 0
.LBB231_7:
	s_waitcnt lgkmcnt(0)
	s_clause 0x1
	s_load_b32 s4, s[0:1], 0x20
	s_load_b32 s15, s[0:1], 0x0
	s_lshl_b64 s[16:17], s[20:21], 3
	v_and_b32_e32 v47, 0x3ff, v0
	v_bfe_u32 v48, v0, 10, 10
	s_delay_alu instid0(VALU_DEP_1) | instskip(NEXT) | instid1(VALU_DEP_1)
	v_lshl_add_u32 v4, v48, 3, v47
	v_and_b32_e32 v3, 63, v4
	v_lshrrev_b32_e32 v2, 6, v4
	s_waitcnt lgkmcnt(0)
	s_ashr_i32 s5, s4, 31
	s_add_u32 s6, s6, s16
	s_addc_u32 s7, s7, s17
	s_add_i32 s15, s15, -1
	s_delay_alu instid0(SALU_CYCLE_1) | instskip(NEXT) | instid1(SALU_CYCLE_1)
	s_ashr_i32 s16, s15, 31
	s_lshr_b32 s16, s16, 26
	s_delay_alu instid0(SALU_CYCLE_1) | instskip(NEXT) | instid1(SALU_CYCLE_1)
	s_add_i32 s15, s15, s16
	s_ashr_i32 s15, s15, 6
	s_delay_alu instid0(SALU_CYCLE_1) | instskip(SKIP_2) | instid1(VALU_DEP_1)
	s_add_i32 s17, s15, 1
	s_not_b32 s15, s15
	v_cvt_f32_u32_e32 v1, s17
	v_rcp_iflag_f32_e32 v1, v1
	s_waitcnt_depctr 0xfff
	v_mul_f32_e32 v1, 0x4f7ffffe, v1
	s_delay_alu instid0(VALU_DEP_1) | instskip(NEXT) | instid1(VALU_DEP_1)
	v_cvt_u32_f32_e32 v1, v1
	v_readfirstlane_b32 s16, v1
	s_delay_alu instid0(VALU_DEP_1) | instskip(NEXT) | instid1(SALU_CYCLE_1)
	s_mul_i32 s15, s15, s16
	s_mul_hi_u32 s15, s16, s15
	s_delay_alu instid0(SALU_CYCLE_1) | instskip(NEXT) | instid1(SALU_CYCLE_1)
	s_add_i32 s16, s16, s15
	s_mul_hi_u32 s15, s14, s16
	s_delay_alu instid0(SALU_CYCLE_1) | instskip(SKIP_2) | instid1(SALU_CYCLE_1)
	s_mul_i32 s16, s15, s17
	s_add_i32 s18, s15, 1
	s_sub_i32 s16, s14, s16
	s_sub_i32 s19, s16, s17
	s_cmp_ge_u32 s16, s17
	s_cselect_b32 s15, s18, s15
	s_cselect_b32 s16, s19, s16
	s_add_i32 s18, s15, 1
	s_cmp_ge_u32 s16, s17
	s_cselect_b32 s16, s18, s15
	s_and_b32 vcc_lo, exec_lo, s3
	s_mul_i32 s17, s16, s17
	s_delay_alu instid0(SALU_CYCLE_1) | instskip(NEXT) | instid1(SALU_CYCLE_1)
	s_sub_i32 s15, s14, s17
	s_lshl_b32 s15, s15, 6
	s_delay_alu instid0(SALU_CYCLE_1) | instskip(NEXT) | instid1(VALU_DEP_1)
	v_or_b32_e32 v0, s15, v3
	v_ashrrev_i32_e32 v1, 31, v0
	s_cbranch_vccnz .LBB231_9
; %bb.8:
	v_mad_i64_i32 v[5:6], null, s4, v2, 0
	s_delay_alu instid0(VALU_DEP_2) | instskip(NEXT) | instid1(VALU_DEP_2)
	v_lshlrev_b64 v[7:8], 1, v[0:1]
	v_lshlrev_b64 v[5:6], 1, v[5:6]
	s_delay_alu instid0(VALU_DEP_1) | instskip(NEXT) | instid1(VALU_DEP_2)
	v_add_co_u32 v5, vcc_lo, s10, v5
	v_add_co_ci_u32_e32 v6, vcc_lo, s11, v6, vcc_lo
	s_delay_alu instid0(VALU_DEP_2) | instskip(NEXT) | instid1(VALU_DEP_2)
	v_add_co_u32 v5, vcc_lo, v5, v7
	v_add_co_ci_u32_e32 v6, vcc_lo, v6, v8, vcc_lo
	flat_load_u16 v5, v[5:6]
	s_waitcnt vmcnt(0) lgkmcnt(0)
	v_mul_f16_e32 v8, v46, v5
	s_branch .LBB231_10
.LBB231_9:
	v_mov_b32_e32 v8, 0
.LBB231_10:
	s_load_b32 s18, s[0:1], 0x38
	v_lshrrev_b32_e32 v9, 2, v4
	s_lshl_b32 s16, s16, 7
	v_and_b32_e32 v5, 3, v47
	s_and_b32 vcc_lo, exec_lo, s3
	s_delay_alu instid0(VALU_DEP_2) | instskip(NEXT) | instid1(VALU_DEP_2)
	v_add_nc_u32_e32 v4, s16, v9
	v_lshlrev_b32_e32 v51, 1, v5
	s_delay_alu instid0(VALU_DEP_2)
	v_add_nc_u32_e32 v5, 64, v4
	s_cbranch_vccnz .LBB231_14
; %bb.11:
	s_waitcnt lgkmcnt(0)
	v_mad_i64_i32 v[6:7], null, v4, s18, 0
	s_delay_alu instid0(VALU_DEP_2) | instskip(SKIP_1) | instid1(VALU_DEP_1)
	v_mad_i64_i32 v[10:11], null, v5, s18, 0
	v_add_co_u32 v12, s19, s12, v51
	v_add_co_ci_u32_e64 v13, null, s13, 0, s19
	s_delay_alu instid0(VALU_DEP_4) | instskip(NEXT) | instid1(VALU_DEP_4)
	v_lshlrev_b64 v[6:7], 1, v[6:7]
	v_lshlrev_b64 v[10:11], 1, v[10:11]
	s_delay_alu instid0(VALU_DEP_2) | instskip(NEXT) | instid1(VALU_DEP_3)
	v_add_co_u32 v6, vcc_lo, v12, v6
	v_add_co_ci_u32_e32 v7, vcc_lo, v13, v7, vcc_lo
	s_delay_alu instid0(VALU_DEP_3) | instskip(NEXT) | instid1(VALU_DEP_4)
	v_add_co_u32 v10, vcc_lo, v12, v10
	v_add_co_ci_u32_e32 v11, vcc_lo, v13, v11, vcc_lo
	s_clause 0x1
	flat_load_u16 v6, v[6:7]
	flat_load_u16 v7, v[10:11]
	s_waitcnt vmcnt(1) lgkmcnt(1)
	v_mul_f16_e32 v10, v46, v6
	s_waitcnt vmcnt(0) lgkmcnt(0)
	v_mul_f16_e32 v11, v46, v7
	s_and_b32 vcc_lo, exec_lo, s3
	s_cbranch_vccnz .LBB231_15
.LBB231_12:
	v_add_nc_u32_e32 v12, 4, v2
	v_lshlrev_b64 v[0:1], 1, v[0:1]
	s_delay_alu instid0(VALU_DEP_2) | instskip(NEXT) | instid1(VALU_DEP_1)
	v_mad_i64_i32 v[6:7], null, s4, v12, 0
	v_lshlrev_b64 v[6:7], 1, v[6:7]
	s_delay_alu instid0(VALU_DEP_1) | instskip(NEXT) | instid1(VALU_DEP_2)
	v_add_co_u32 v6, vcc_lo, s10, v6
	v_add_co_ci_u32_e32 v7, vcc_lo, s11, v7, vcc_lo
	s_delay_alu instid0(VALU_DEP_2) | instskip(NEXT) | instid1(VALU_DEP_2)
	v_add_co_u32 v0, vcc_lo, v6, v0
	v_add_co_ci_u32_e32 v1, vcc_lo, v7, v1, vcc_lo
	flat_load_u16 v0, v[0:1]
	s_waitcnt vmcnt(0) lgkmcnt(0)
	v_mul_f16_e32 v0, v46, v0
	s_and_b32 vcc_lo, exec_lo, s3
	s_cbranch_vccnz .LBB231_16
.LBB231_13:
	s_waitcnt lgkmcnt(0)
	v_mad_i64_i32 v[6:7], null, v4, s18, 0
	v_mad_i64_i32 v[12:13], null, v5, s18, 0
	v_add_co_u32 v1, s19, s12, v51
	s_delay_alu instid0(VALU_DEP_1) | instskip(NEXT) | instid1(VALU_DEP_4)
	v_add_co_ci_u32_e64 v14, null, s13, 0, s19
	v_lshlrev_b64 v[6:7], 1, v[6:7]
	s_delay_alu instid0(VALU_DEP_4) | instskip(NEXT) | instid1(VALU_DEP_2)
	v_lshlrev_b64 v[12:13], 1, v[12:13]
	v_add_co_u32 v6, vcc_lo, v1, v6
	s_delay_alu instid0(VALU_DEP_3) | instskip(NEXT) | instid1(VALU_DEP_3)
	v_add_co_ci_u32_e32 v7, vcc_lo, v14, v7, vcc_lo
	v_add_co_u32 v12, vcc_lo, v1, v12
	s_delay_alu instid0(VALU_DEP_4)
	v_add_co_ci_u32_e32 v13, vcc_lo, v14, v13, vcc_lo
	s_clause 0x1
	flat_load_u16 v1, v[6:7] offset:8
	flat_load_u16 v7, v[12:13] offset:8
	s_waitcnt vmcnt(1) lgkmcnt(1)
	v_mul_f16_e32 v6, v46, v1
	s_waitcnt vmcnt(0) lgkmcnt(0)
	v_mul_f16_e32 v7, v46, v7
	s_branch .LBB231_17
.LBB231_14:
	v_dual_mov_b32 v10, 0 :: v_dual_mov_b32 v11, 0
	s_and_b32 vcc_lo, exec_lo, s3
	s_cbranch_vccz .LBB231_12
.LBB231_15:
	v_mov_b32_e32 v0, 0
	s_and_b32 vcc_lo, exec_lo, s3
	s_cbranch_vccz .LBB231_13
.LBB231_16:
	v_dual_mov_b32 v6, 0 :: v_dual_mov_b32 v7, 0
.LBB231_17:
	v_lshlrev_b32_e32 v1, 3, v3
	v_lshlrev_b32_e32 v49, 3, v47
	v_lshl_or_b32 v60, v9, 3, v51
	v_lshlrev_b32_e32 v50, 3, v48
	s_load_b64 s[6:7], s[6:7], 0x0
	v_lshl_add_u32 v1, v2, 1, v1
	v_add_nc_u32_e32 v29, 0x800, v49
	ds_store_b16 v60, v10
	s_load_b32 s19, s[0:1], 0x8
	ds_store_b16 v1, v8 offset:2048
	ds_store_b16 v60, v11 offset:512
	s_waitcnt lgkmcnt(0)
	s_barrier
	buffer_gl0_inv
	ds_load_2addr_b64 v[8:11], v50 offset1:32
	ds_load_2addr_b64 v[12:15], v29 offset0:48 offset1:56
	ds_load_2addr_b64 v[16:19], v50 offset0:64 offset1:96
	ds_load_2addr_b64 v[20:23], v29 offset1:8
	ds_load_2addr_b64 v[24:27], v29 offset0:16 offset1:24
	s_cmp_lt_i32 s19, 9
	s_waitcnt lgkmcnt(4)
	v_pk_max_f16 v8, v8, v8
	s_waitcnt lgkmcnt(3)
	v_pk_max_f16 v14, v14, v14
	v_pk_max_f16 v10, v10, v10
	s_waitcnt lgkmcnt(2)
	v_pk_max_f16 v16, v16, v16
	s_waitcnt lgkmcnt(1)
	;; [unrolled: 2-line block ×3, first 2 shown]
	v_pk_max_f16 v24, v24, v24
	v_pk_min_f16 v30, v14, v8
	v_pk_min_f16 v31, v14, v10
	;; [unrolled: 1-line block ×4, first 2 shown]
	v_pk_max_f16 v26, v26, v26
	v_pk_add_f16 v37, v30, 0
	v_pk_add_f16 v38, v31, 0
	;; [unrolled: 1-line block ×3, first 2 shown]
	ds_load_2addr_b64 v[29:32], v29 offset0:32 offset1:40
	v_pk_add_f16 v42, v36, 0
	v_pk_min_f16 v36, v24, v8
	v_pk_min_f16 v43, v24, v10
	;; [unrolled: 1-line block ×3, first 2 shown]
	v_pk_max_f16 v20, v20, v20
	v_pk_max_f16 v18, v18, v18
	v_pk_add_f16 v52, v36, 0
	v_pk_min_f16 v36, v26, v8
	v_pk_add_f16 v53, v43, 0
	v_pk_min_f16 v43, v26, v10
	;; [unrolled: 2-line block ×3, first 2 shown]
	v_pk_add_f16 v55, v36, 0
	v_pk_max_f16 v12, v12, v12
	v_pk_add_f16 v61, v43, 0
	v_pk_max_f16 v9, v9, v9
	v_pk_max_f16 v15, v15, v15
	v_pk_min_f16 v33, v20, v8
	v_pk_min_f16 v34, v20, v10
	s_waitcnt lgkmcnt(0)
	v_pk_max_f16 v29, v29, v29
	v_pk_max_f16 v31, v31, v31
	v_pk_min_f16 v35, v20, v16
	v_pk_min_f16 v20, v20, v18
	;; [unrolled: 1-line block ×8, first 2 shown]
	v_pk_add_f16 v63, v36, 0
	v_pk_min_f16 v36, v29, v16
	v_pk_min_f16 v26, v26, v18
	v_pk_add_f16 v62, v44, 0
	v_pk_min_f16 v29, v29, v18
	v_pk_add_f16 v68, v43, 0
	v_pk_min_f16 v43, v31, v8
	v_pk_min_f16 v44, v31, v10
	v_pk_add_f16 v69, v36, 0
	v_pk_min_f16 v36, v31, v16
	v_pk_min_f16 v31, v31, v18
	;; [unrolled: 1-line block ×6, first 2 shown]
	v_pk_max_f16 v11, v11, v11
	v_pk_min_f16 v14, v14, v18
	v_pk_max_f16 v17, v17, v17
	v_pk_min_f16 v18, v15, v9
	v_pk_add_f16 v72, v36, 0
	v_pk_add_f16 v73, v31, 0
	v_pk_min_f16 v31, v15, v11
	v_pk_min_f16 v36, v15, v17
	v_pk_max_f16 v21, v21, v21
	v_pk_add_f16 v59, v18, v37
	v_pk_max_f16 v18, v19, v19
	v_pk_add_f16 v33, v33, 0
	v_pk_add_f16 v35, v35, 0
	v_pk_add_f16 v20, v20, 0
	v_pk_add_f16 v45, v31, v38
	v_pk_add_f16 v37, v36, v39
	v_pk_min_f16 v19, v21, v9
	v_pk_min_f16 v31, v21, v11
	v_pk_min_f16 v36, v21, v17
	v_pk_min_f16 v21, v21, v18
	v_pk_max_f16 v23, v23, v23
	v_pk_add_f16 v40, v40, 0
	v_pk_add_f16 v41, v41, 0
	v_pk_add_f16 v22, v22, 0
	v_pk_add_f16 v71, v44, 0
	v_pk_add_f16 v67, v19, v33
	v_pk_add_f16 v44, v36, v35
	v_pk_add_f16 v36, v21, v20
	v_pk_min_f16 v19, v23, v9
	v_pk_min_f16 v20, v23, v11
	v_pk_min_f16 v21, v23, v17
	v_pk_min_f16 v23, v23, v18
	v_pk_max_f16 v25, v25, v25
	v_pk_add_f16 v34, v34, 0
	v_pk_add_f16 v24, v24, 0
	;; [unrolled: 12-line block ×3, first 2 shown]
	v_pk_add_f16 v65, v19, v52
	v_pk_add_f16 v56, v20, v53
	;; [unrolled: 1-line block ×4, first 2 shown]
	v_pk_min_f16 v19, v23, v9
	v_pk_min_f16 v20, v23, v11
	;; [unrolled: 1-line block ×4, first 2 shown]
	v_pk_max_f16 v23, v30, v30
	v_pk_add_f16 v29, v29, 0
	v_pk_add_f16 v64, v19, v55
	v_pk_add_f16 v55, v20, v61
	v_pk_add_f16 v41, v21, v62
	v_pk_add_f16 v33, v22, v26
	v_pk_min_f16 v19, v23, v9
	v_pk_min_f16 v20, v23, v11
	;; [unrolled: 1-line block ×4, first 2 shown]
	v_pk_max_f16 v23, v32, v32
	v_pk_max_f16 v13, v13, v13
	v_pk_add_f16 v8, v8, 0
	v_pk_add_f16 v10, v10, 0
	;; [unrolled: 1-line block ×9, first 2 shown]
	v_pk_min_f16 v19, v23, v9
	v_pk_min_f16 v20, v23, v11
	;; [unrolled: 1-line block ×9, first 2 shown]
	v_pk_add_f16 v62, v19, v70
	v_pk_add_f16 v53, v20, v71
	;; [unrolled: 1-line block ×9, first 2 shown]
	ds_store_b16 v60, v6 offset:1024
	ds_store_b16 v1, v0 offset:2560
	;; [unrolled: 1-line block ×3, first 2 shown]
	s_waitcnt lgkmcnt(0)
	s_barrier
	buffer_gl0_inv
	s_cbranch_scc1 .LBB231_31
; %bb.18:
	v_mad_i64_i32 v[6:7], null, s18, v5, 0
	v_lshl_or_b32 v5, s14, 6, v3
	s_lshl_b32 s14, s17, 6
	v_or_b32_e32 v68, 0x800, v1
	v_add_nc_u32_e32 v70, 0xa00, v1
	v_mad_i64_i32 v[0:1], null, s18, v4, 0
	v_lshlrev_b64 v[3:4], 1, v[6:7]
	v_add_nc_u32_e32 v6, 8, v2
	v_subrev_nc_u32_e32 v5, s14, v5
	v_add_nc_u32_e32 v2, 12, v2
	v_add_nc_u32_e32 v69, 0x800, v49
	;; [unrolled: 1-line block ×3, first 2 shown]
	v_mad_i64_i32 v[7:8], null, v6, s4, 0
	v_ashrrev_i32_e32 v6, 31, v5
	v_lshlrev_b64 v[0:1], 1, v[0:1]
	v_mad_i64_i32 v[9:10], null, v2, s4, 0
	v_add_co_u32 v74, vcc_lo, s12, v3
	s_delay_alu instid0(VALU_DEP_4) | instskip(SKIP_3) | instid1(VALU_DEP_4)
	v_lshlrev_b64 v[2:3], 1, v[5:6]
	v_add_co_ci_u32_e32 v75, vcc_lo, s13, v4, vcc_lo
	v_add_co_u32 v76, vcc_lo, s12, v0
	v_add_co_ci_u32_e32 v77, vcc_lo, s13, v1, vcc_lo
	v_add_co_u32 v78, vcc_lo, s10, v2
	v_lshlrev_b64 v[24:25], 1, v[7:8]
	v_lshlrev_b64 v[26:27], 1, v[9:10]
	v_lshl_add_u32 v72, v47, 3, 0xa00
	v_lshl_add_u32 v73, v48, 3, 0x400
	v_add_co_ci_u32_e32 v79, vcc_lo, s11, v3, vcc_lo
	s_add_i32 s10, s19, -8
	s_lshl_b64 s[4:5], s[4:5], 4
	s_mov_b32 s11, 0
	s_branch .LBB231_21
.LBB231_19:                             ;   in Loop: Header=BB231_21 Depth=1
	v_add_co_u32 v0, vcc_lo, v76, v51
	v_add_co_ci_u32_e32 v1, vcc_lo, 0, v77, vcc_lo
	v_add_co_u32 v123, vcc_lo, v74, v51
	v_add_co_ci_u32_e32 v124, vcc_lo, 0, v75, vcc_lo
	flat_load_u16 v0, v[0:1] offset:24
	flat_load_u16 v1, v[123:124] offset:24
	s_waitcnt vmcnt(1) lgkmcnt(1)
	v_mul_f16_e32 v0, v46, v0
	s_waitcnt vmcnt(0) lgkmcnt(0)
	v_mul_f16_e32 v1, v46, v1
.LBB231_20:                             ;   in Loop: Header=BB231_21 Depth=1
	v_pk_add_f16 v16, v16, v37
	v_pk_add_f16 v22, v22, v36
	;; [unrolled: 1-line block ×30, first 2 shown]
	ds_load_2addr_b64 v[29:32], v69 offset0:48 offset1:56
	ds_load_2addr_b64 v[33:36], v50 offset1:32
	ds_load_2addr_b64 v[37:40], v50 offset0:64 offset1:96
	v_pk_add_f16 v84, v120, v43
	v_pk_add_f16 v85, v122, v42
	v_pk_add_f16 v11, v11, v44
	v_pk_add_f16 v87, v104, v41
	ds_load_2addr_b64 v[41:44], v69 offset1:8
	v_pk_add_f16 v8, v8, v66
	v_pk_add_f16 v53, v95, v53
	;; [unrolled: 1-line block ×12, first 2 shown]
	s_waitcnt lgkmcnt(3)
	v_pk_max_f16 v31, v31, v31
	s_waitcnt lgkmcnt(2)
	v_pk_max_f16 v33, v33, v33
	v_pk_max_f16 v35, v35, v35
	s_waitcnt lgkmcnt(1)
	v_pk_max_f16 v37, v37, v37
	v_pk_add_f16 v15, v15, v53
	v_pk_add_f16 v53, v7, v64
	;; [unrolled: 1-line block ×3, first 2 shown]
	v_pk_min_f16 v6, v31, v33
	v_pk_min_f16 v7, v31, v35
	;; [unrolled: 1-line block ×3, first 2 shown]
	ds_load_2addr_b64 v[2:5], v69 offset0:16 offset1:24
	s_waitcnt lgkmcnt(1)
	v_pk_max_f16 v9, v41, v41
	v_pk_max_f16 v39, v39, v39
	v_pk_add_f16 v14, v112, v14
	v_pk_add_f16 v18, v113, v18
	;; [unrolled: 1-line block ×7, first 2 shown]
	v_pk_min_f16 v6, v9, v33
	v_pk_min_f16 v7, v9, v35
	;; [unrolled: 1-line block ×4, first 2 shown]
	v_pk_add_f16 v61, v98, v61
	v_pk_add_f16 v14, v6, v14
	;; [unrolled: 1-line block ×5, first 2 shown]
	ds_load_2addr_b64 v[6:9], v69 offset0:32 offset1:40
	v_pk_max_f16 v43, v43, v43
	v_pk_add_f16 v17, v17, v59
	v_pk_add_f16 v19, v19, v62
	;; [unrolled: 1-line block ×3, first 2 shown]
	s_waitcnt lgkmcnt(1)
	v_pk_max_f16 v2, v2, v2
	v_pk_min_f16 v59, v43, v33
	v_pk_min_f16 v61, v43, v35
	;; [unrolled: 1-line block ×4, first 2 shown]
	v_pk_max_f16 v4, v4, v4
	v_pk_add_f16 v52, v99, v52
	v_pk_add_f16 v45, v103, v45
	;; [unrolled: 1-line block ×4, first 2 shown]
	v_pk_min_f16 v43, v2, v33
	v_pk_add_f16 v10, v121, v10
	v_pk_add_f16 v56, v106, v56
	;; [unrolled: 1-line block ×5, first 2 shown]
	v_pk_min_f16 v43, v4, v35
	s_waitcnt lgkmcnt(0)
	v_pk_max_f16 v6, v6, v6
	v_pk_add_f16 v63, v59, v67
	v_pk_min_f16 v59, v2, v35
	v_pk_min_f16 v65, v2, v37
	;; [unrolled: 1-line block ×3, first 2 shown]
	v_pk_add_f16 v83, v43, v45
	v_pk_min_f16 v43, v6, v33
	v_pk_add_f16 v55, v105, v55
	v_pk_add_f16 v62, v62, v82
	;; [unrolled: 1-line block ×5, first 2 shown]
	v_pk_min_f16 v11, v4, v33
	v_pk_min_f16 v59, v4, v37
	;; [unrolled: 1-line block ×4, first 2 shown]
	v_pk_max_f16 v8, v8, v8
	v_pk_add_f16 v85, v43, v56
	v_pk_min_f16 v43, v6, v37
	v_pk_max_f16 v29, v29, v29
	v_pk_add_f16 v11, v11, v86
	v_pk_add_f16 v84, v59, v87
	;; [unrolled: 1-line block ×4, first 2 shown]
	v_pk_min_f16 v45, v8, v33
	v_pk_min_f16 v55, v8, v35
	v_pk_add_f16 v87, v43, v54
	v_pk_min_f16 v43, v8, v37
	v_pk_min_f16 v8, v8, v39
	;; [unrolled: 1-line block ×5, first 2 shown]
	v_pk_max_f16 v32, v32, v32
	v_pk_max_f16 v88, v36, v36
	v_pk_add_f16 v8, v8, v19
	v_pk_add_f16 v19, v33, v21
	;; [unrolled: 1-line block ×4, first 2 shown]
	v_pk_max_f16 v52, v34, v34
	v_pk_min_f16 v31, v31, v39
	v_pk_max_f16 v38, v38, v38
	v_pk_min_f16 v34, v32, v88
	v_pk_add_f16 v13, v45, v13
	v_pk_min_f16 v33, v32, v52
	v_pk_add_f16 v89, v31, v58
	v_pk_min_f16 v31, v32, v38
	v_pk_max_f16 v35, v42, v42
	v_pk_add_f16 v45, v34, v12
	v_pk_max_f16 v12, v40, v40
	v_pk_add_f16 v59, v33, v41
	v_pk_add_f16 v37, v31, v16
	v_pk_min_f16 v16, v35, v52
	v_pk_min_f16 v31, v35, v88
	v_pk_min_f16 v33, v35, v38
	v_pk_min_f16 v34, v35, v12
	v_pk_max_f16 v35, v44, v44
	v_pk_min_f16 v6, v6, v39
	v_pk_add_f16 v67, v16, v14
	v_pk_add_f16 v58, v31, v18
	v_pk_max_f16 v3, v3, v3
	v_pk_min_f16 v14, v35, v52
	v_pk_min_f16 v16, v35, v88
	;; [unrolled: 1-line block ×3, first 2 shown]
	v_pk_add_f16 v6, v6, v57
	v_pk_add_f16 v17, v43, v17
	v_pk_add_f16 v66, v14, v63
	v_pk_add_f16 v57, v16, v61
	v_pk_add_f16 v43, v18, v62
	v_pk_min_f16 v14, v3, v52
	v_pk_min_f16 v16, v3, v88
	;; [unrolled: 1-line block ×4, first 2 shown]
	v_pk_max_f16 v5, v5, v5
	v_pk_add_f16 v44, v33, v20
	v_pk_add_f16 v36, v34, v22
	v_pk_min_f16 v20, v35, v12
	v_pk_add_f16 v56, v16, v10
	v_pk_add_f16 v34, v3, v2
	v_pk_min_f16 v2, v5, v52
	v_pk_min_f16 v3, v5, v88
	;; [unrolled: 1-line block ×4, first 2 shown]
	v_pk_max_f16 v7, v7, v7
	v_pk_add_f16 v15, v55, v15
	v_pk_add_f16 v35, v20, v64
	;; [unrolled: 1-line block ×5, first 2 shown]
	v_pk_min_f16 v2, v7, v52
	v_pk_min_f16 v3, v7, v88
	;; [unrolled: 1-line block ×4, first 2 shown]
	v_pk_max_f16 v7, v9, v9
	v_pk_min_f16 v29, v29, v39
	v_pk_add_f16 v63, v2, v85
	v_pk_add_f16 v54, v3, v86
	;; [unrolled: 1-line block ×4, first 2 shown]
	v_pk_min_f16 v2, v7, v52
	v_pk_min_f16 v3, v7, v88
	;; [unrolled: 1-line block ×4, first 2 shown]
	v_pk_max_f16 v6, v30, v30
	v_add_co_u32 v74, vcc_lo, v74, 16
	v_add_co_ci_u32_e32 v75, vcc_lo, 0, v75, vcc_lo
	v_pk_add_f16 v29, v29, v53
	v_pk_add_f16 v62, v2, v13
	;; [unrolled: 1-line block ×5, first 2 shown]
	v_pk_min_f16 v2, v6, v52
	v_pk_min_f16 v3, v6, v88
	;; [unrolled: 1-line block ×5, first 2 shown]
	v_add_co_u32 v76, vcc_lo, v76, 16
	v_add_co_ci_u32_e32 v77, vcc_lo, 0, v77, vcc_lo
	v_add_co_u32 v78, vcc_lo, v78, s4
	v_pk_add_f16 v65, v14, v81
	v_pk_add_f16 v42, v18, v82
	;; [unrolled: 1-line block ×8, first 2 shown]
	v_add_co_ci_u32_e32 v79, vcc_lo, s5, v79, vcc_lo
	s_add_i32 s11, s11, 8
	ds_store_b16 v70, v80
	ds_store_b16 v71, v0
	ds_store_b16 v71, v1 offset:512
	s_cmp_ge_i32 s11, s10
	s_waitcnt lgkmcnt(0)
	s_barrier
	buffer_gl0_inv
	s_cbranch_scc1 .LBB231_31
.LBB231_21:                             ; =>This Inner Loop Header: Depth=1
	v_mov_b32_e32 v80, 0
	s_and_b32 vcc_lo, exec_lo, s3
	s_cbranch_vccnz .LBB231_23
; %bb.22:                               ;   in Loop: Header=BB231_21 Depth=1
	v_add_co_u32 v0, vcc_lo, v78, v24
	v_add_co_ci_u32_e32 v1, vcc_lo, v79, v25, vcc_lo
	flat_load_u16 v0, v[0:1]
	s_waitcnt vmcnt(0) lgkmcnt(0)
	v_mul_f16_e32 v80, v46, v0
.LBB231_23:                             ;   in Loop: Header=BB231_21 Depth=1
	s_and_b32 vcc_lo, exec_lo, s3
	s_cbranch_vccnz .LBB231_25
; %bb.24:                               ;   in Loop: Header=BB231_21 Depth=1
	v_add_co_u32 v0, vcc_lo, v76, v51
	v_add_co_ci_u32_e32 v1, vcc_lo, 0, v77, vcc_lo
	v_add_co_u32 v2, vcc_lo, v74, v51
	v_add_co_ci_u32_e32 v3, vcc_lo, 0, v75, vcc_lo
	flat_load_u16 v0, v[0:1] offset:16
	flat_load_u16 v1, v[2:3] offset:16
	s_waitcnt vmcnt(1) lgkmcnt(1)
	v_mul_f16_e32 v81, v46, v0
	s_waitcnt vmcnt(0) lgkmcnt(0)
	v_mul_f16_e32 v82, v46, v1
	s_branch .LBB231_26
.LBB231_25:                             ;   in Loop: Header=BB231_21 Depth=1
	v_dual_mov_b32 v81, 0 :: v_dual_mov_b32 v82, 0
.LBB231_26:                             ;   in Loop: Header=BB231_21 Depth=1
	ds_load_2addr_b64 v[0:3], v72 offset0:48 offset1:56
	ds_load_2addr_b64 v[12:15], v73 offset0:64 offset1:96
	ds_load_2addr_b64 v[20:23], v73 offset1:32
	ds_load_2addr_b64 v[16:19], v72 offset1:8
	ds_load_2addr_b64 v[8:11], v72 offset0:16 offset1:24
	ds_load_2addr_b64 v[4:7], v72 offset0:32 offset1:40
	s_and_b32 vcc_lo, exec_lo, s3
	ds_store_b16 v68, v80
	ds_store_b16 v60, v81
	ds_store_b16 v60, v82 offset:512
	s_waitcnt lgkmcnt(0)
	s_barrier
	buffer_gl0_inv
	s_cbranch_vccnz .LBB231_28
; %bb.27:                               ;   in Loop: Header=BB231_21 Depth=1
	v_add_co_u32 v80, vcc_lo, v78, v26
	v_add_co_ci_u32_e32 v81, vcc_lo, v79, v27, vcc_lo
	flat_load_u16 v80, v[80:81]
	s_waitcnt vmcnt(0) lgkmcnt(0)
	v_mul_f16_e32 v80, v46, v80
	s_branch .LBB231_29
.LBB231_28:                             ;   in Loop: Header=BB231_21 Depth=1
	v_mov_b32_e32 v80, 0
.LBB231_29:                             ;   in Loop: Header=BB231_21 Depth=1
	v_pk_max_f16 v93, v2, v2
	v_pk_max_f16 v98, v20, v20
	;; [unrolled: 1-line block ×12, first 2 shown]
	v_pk_min_f16 v2, v93, v98
	v_pk_min_f16 v12, v93, v99
	;; [unrolled: 1-line block ×25, first 2 shown]
	v_pk_max_f16 v0, v3, v3
	v_pk_max_f16 v21, v21, v21
	;; [unrolled: 1-line block ×9, first 2 shown]
	v_pk_min_f16 v112, v3, v21
	v_pk_min_f16 v113, v3, v23
	;; [unrolled: 1-line block ×4, first 2 shown]
	v_pk_max_f16 v3, v9, v9
	v_pk_max_f16 v9, v11, v11
	;; [unrolled: 1-line block ×3, first 2 shown]
	v_pk_min_f16 v22, v22, v102
	v_pk_min_f16 v83, v83, v102
	;; [unrolled: 1-line block ×35, first 2 shown]
	s_and_b32 vcc_lo, exec_lo, s3
	s_cbranch_vccz .LBB231_19
; %bb.30:                               ;   in Loop: Header=BB231_21 Depth=1
	v_dual_mov_b32 v0, 0 :: v_dual_mov_b32 v1, 0
	s_branch .LBB231_20
.LBB231_31:
	s_load_b32 s5, s[0:1], 0x58
	v_dual_mov_b32 v48, 0 :: v_dual_add_nc_u32 v25, s16, v48
	ds_load_b64 v[0:1], v50 offset:1024
	ds_load_b64 v[2:3], v49 offset:2560
	v_add_nc_u32_e32 v22, s15, v47
	v_cmp_neq_f16_e64 s3, 0, v28
	v_mov_b32_e32 v20, 0
	s_delay_alu instid0(VALU_DEP_3) | instskip(NEXT) | instid1(VALU_DEP_3)
	v_ashrrev_i32_e32 v23, 31, v22
	s_and_b32 vcc_lo, exec_lo, s3
	s_delay_alu instid0(VALU_DEP_1) | instskip(SKIP_2) | instid1(VALU_DEP_1)
	v_lshlrev_b64 v[16:17], 1, v[22:23]
	s_waitcnt lgkmcnt(0)
	v_mad_i64_i32 v[4:5], null, v25, s5, 0
	v_lshlrev_b64 v[4:5], 1, v[4:5]
	s_delay_alu instid0(VALU_DEP_1) | instskip(NEXT) | instid1(VALU_DEP_1)
	v_add_co_u32 v68, s4, s8, v4
	v_add_co_ci_u32_e64 v69, s4, s9, v5, s4
	s_cbranch_vccz .LBB231_33
; %bb.32:
	s_delay_alu instid0(VALU_DEP_2) | instskip(NEXT) | instid1(VALU_DEP_2)
	v_add_co_u32 v4, vcc_lo, v68, v16
	v_add_co_ci_u32_e32 v5, vcc_lo, v69, v17, vcc_lo
	flat_load_u16 v4, v[4:5]
	s_waitcnt vmcnt(0) lgkmcnt(0)
	v_mul_f16_e32 v20, v28, v4
.LBB231_33:
	s_clause 0x1
	s_load_b32 s4, s[0:1], 0x70
	s_load_b64 s[0:1], s[0:1], 0x78
	v_pk_max_f16 v71, v0, v0
	v_pk_max_f16 v26, v2, v2
	;; [unrolled: 1-line block ×4, first 2 shown]
	ds_load_b64 v[23:24], v49 offset:3008
	ds_load_b64 v[18:19], v50 offset:1792
	ds_load_2addr_b64 v[0:3], v50 offset0:160 offset1:192
	v_pk_min_f16 v4, v26, v71
	v_add_nc_u32_e32 v5, 0x800, v49
	v_pk_min_f16 v6, v27, v70
	v_add_nc_u32_e32 v46, 8, v22
	v_cndmask_b32_e64 v21, 0, 1, s3
	v_pk_add_f16 v4, v4, v67
	ds_load_2addr_b64 v[12:15], v5 offset0:72 offset1:80
	v_ashrrev_i32_e32 v47, 31, v46
	v_pk_add_f16 v51, v6, v4
	ds_load_2addr_b64 v[8:11], v5 offset0:88 offset1:96
	ds_load_2addr_b64 v[4:7], v5 offset0:104 offset1:112
	s_waitcnt lgkmcnt(0)
	v_mad_i64_i32 v[49:50], null, v25, s4, 0
	s_lshl_b64 s[10:11], s[0:1], 1
	v_lshrrev_b32_e32 v60, 16, v51
	s_add_u32 s1, s6, s10
	s_addc_u32 s6, s7, s11
	v_cmp_ne_u32_e64 s0, 1, v21
	s_delay_alu instid0(VALU_DEP_2) | instskip(NEXT) | instid1(VALU_DEP_4)
	v_add_f16_e32 v21, v51, v60
	v_lshlrev_b64 v[49:50], 1, v[49:50]
	s_delay_alu instid0(VALU_DEP_2) | instskip(SKIP_1) | instid1(VALU_DEP_3)
	v_add_f16_e32 v51, v21, v20
	v_lshlrev_b64 v[20:21], 1, v[46:47]
	v_add_co_u32 v67, vcc_lo, s1, v49
	s_delay_alu instid0(VALU_DEP_4) | instskip(NEXT) | instid1(VALU_DEP_2)
	v_add_co_ci_u32_e32 v72, vcc_lo, s6, v50, vcc_lo
	v_add_co_u32 v49, vcc_lo, v67, v16
	s_delay_alu instid0(VALU_DEP_2)
	v_add_co_ci_u32_e32 v50, vcc_lo, v72, v17, vcc_lo
	s_and_not1_b32 vcc_lo, exec_lo, s3
	global_store_b16 v[49:50], v51, off
	s_cbranch_vccnz .LBB231_35
; %bb.34:
	v_add_co_u32 v46, vcc_lo, v68, v20
	v_add_co_ci_u32_e32 v47, vcc_lo, v69, v21, vcc_lo
	flat_load_u16 v46, v[46:47]
	s_waitcnt vmcnt(0) lgkmcnt(0)
	v_mul_f16_e32 v48, v28, v46
.LBB231_35:
	v_pk_max_f16 v46, v12, v12
	v_pk_max_f16 v47, v13, v13
	v_add_co_u32 v73, vcc_lo, v67, v20
	v_add_co_ci_u32_e32 v74, vcc_lo, v72, v21, vcc_lo
	s_delay_alu instid0(VALU_DEP_4) | instskip(NEXT) | instid1(VALU_DEP_4)
	v_pk_min_f16 v12, v46, v71
	v_pk_min_f16 v13, v47, v70
	v_mov_b32_e32 v60, 0
	s_and_b32 vcc_lo, exec_lo, s0
	s_delay_alu instid0(VALU_DEP_3) | instskip(NEXT) | instid1(VALU_DEP_1)
	v_pk_add_f16 v12, v12, v66
	v_pk_add_f16 v49, v13, v12
	v_add_nc_u32_e32 v12, 16, v22
	s_delay_alu instid0(VALU_DEP_2) | instskip(NEXT) | instid1(VALU_DEP_2)
	v_lshrrev_b32_e32 v50, 16, v49
	v_ashrrev_i32_e32 v13, 31, v12
	s_delay_alu instid0(VALU_DEP_2) | instskip(NEXT) | instid1(VALU_DEP_2)
	v_add_f16_e32 v49, v49, v50
	v_lshlrev_b64 v[12:13], 1, v[12:13]
	v_mov_b32_e32 v50, 0
	s_delay_alu instid0(VALU_DEP_3)
	v_add_f16_e32 v48, v49, v48
	global_store_b16 v[73:74], v48, off
	s_cbranch_vccnz .LBB231_37
; %bb.36:
	v_add_co_u32 v48, vcc_lo, v68, v12
	v_add_co_ci_u32_e32 v49, vcc_lo, v69, v13, vcc_lo
	flat_load_u16 v48, v[48:49]
	s_waitcnt vmcnt(0) lgkmcnt(0)
	v_mul_f16_e32 v50, v28, v48
.LBB231_37:
	v_pk_max_f16 v48, v14, v14
	v_pk_max_f16 v49, v15, v15
	s_delay_alu instid0(VALU_DEP_2) | instskip(NEXT) | instid1(VALU_DEP_2)
	v_pk_min_f16 v14, v48, v71
	v_pk_min_f16 v15, v49, v70
	s_delay_alu instid0(VALU_DEP_2) | instskip(NEXT) | instid1(VALU_DEP_1)
	v_pk_add_f16 v14, v14, v65
	v_pk_add_f16 v51, v15, v14
	v_add_nc_u32_e32 v14, 24, v22
	s_delay_alu instid0(VALU_DEP_2) | instskip(NEXT) | instid1(VALU_DEP_2)
	v_lshrrev_b32_e32 v65, 16, v51
	v_ashrrev_i32_e32 v15, 31, v14
	s_delay_alu instid0(VALU_DEP_2) | instskip(SKIP_1) | instid1(VALU_DEP_3)
	v_add_f16_e32 v51, v51, v65
	v_add_co_u32 v65, vcc_lo, v67, v12
	v_lshlrev_b64 v[14:15], 1, v[14:15]
	v_add_co_ci_u32_e32 v66, vcc_lo, v72, v13, vcc_lo
	s_delay_alu instid0(VALU_DEP_4)
	v_add_f16_e32 v50, v51, v50
	s_and_b32 vcc_lo, exec_lo, s0
	global_store_b16 v[65:66], v50, off
	s_cbranch_vccnz .LBB231_39
; %bb.38:
	v_add_co_u32 v50, vcc_lo, v68, v14
	v_add_co_ci_u32_e32 v51, vcc_lo, v69, v15, vcc_lo
	flat_load_u16 v50, v[50:51]
	s_waitcnt vmcnt(0) lgkmcnt(0)
	v_mul_f16_e32 v60, v28, v50
.LBB231_39:
	v_pk_max_f16 v50, v8, v8
	v_pk_max_f16 v51, v9, v9
	v_add_co_u32 v73, vcc_lo, v67, v14
	v_add_co_ci_u32_e32 v74, vcc_lo, v72, v15, vcc_lo
	s_delay_alu instid0(VALU_DEP_4) | instskip(NEXT) | instid1(VALU_DEP_4)
	v_pk_min_f16 v8, v50, v71
	v_pk_min_f16 v9, v51, v70
	v_mov_b32_e32 v66, 0
	s_and_b32 vcc_lo, exec_lo, s0
	s_delay_alu instid0(VALU_DEP_3) | instskip(NEXT) | instid1(VALU_DEP_1)
	v_pk_add_f16 v8, v8, v64
	v_pk_add_f16 v64, v9, v8
	v_add_nc_u32_e32 v8, 32, v22
	s_delay_alu instid0(VALU_DEP_2) | instskip(NEXT) | instid1(VALU_DEP_1)
	v_lshrrev_b32_e32 v65, 16, v64
	v_add_f16_e32 v64, v64, v65
	v_mov_b32_e32 v65, 0
	s_delay_alu instid0(VALU_DEP_4) | instskip(NEXT) | instid1(VALU_DEP_3)
	v_ashrrev_i32_e32 v9, 31, v8
	v_add_f16_e32 v60, v64, v60
	s_delay_alu instid0(VALU_DEP_2)
	v_lshlrev_b64 v[8:9], 1, v[8:9]
	global_store_b16 v[73:74], v60, off
	s_cbranch_vccnz .LBB231_41
; %bb.40:
	v_add_co_u32 v64, vcc_lo, v68, v8
	v_add_co_ci_u32_e32 v65, vcc_lo, v69, v9, vcc_lo
	flat_load_u16 v60, v[64:65]
	s_waitcnt vmcnt(0) lgkmcnt(0)
	v_mul_f16_e32 v65, v28, v60
.LBB231_41:
	v_pk_max_f16 v60, v10, v10
	v_pk_max_f16 v64, v11, v11
	s_delay_alu instid0(VALU_DEP_2) | instskip(NEXT) | instid1(VALU_DEP_2)
	v_pk_min_f16 v10, v60, v71
	v_pk_min_f16 v11, v64, v70
	s_delay_alu instid0(VALU_DEP_2) | instskip(NEXT) | instid1(VALU_DEP_1)
	v_pk_add_f16 v10, v10, v63
	v_pk_add_f16 v63, v11, v10
	v_add_nc_u32_e32 v10, 40, v22
	s_delay_alu instid0(VALU_DEP_2) | instskip(NEXT) | instid1(VALU_DEP_2)
	v_lshrrev_b32_e32 v73, 16, v63
	v_ashrrev_i32_e32 v11, 31, v10
	s_delay_alu instid0(VALU_DEP_2) | instskip(SKIP_1) | instid1(VALU_DEP_3)
	v_add_f16_e32 v63, v63, v73
	v_add_co_u32 v73, vcc_lo, v67, v8
	v_lshlrev_b64 v[10:11], 1, v[10:11]
	v_add_co_ci_u32_e32 v74, vcc_lo, v72, v9, vcc_lo
	s_delay_alu instid0(VALU_DEP_4)
	v_add_f16_e32 v63, v63, v65
	s_and_b32 vcc_lo, exec_lo, s0
	global_store_b16 v[73:74], v63, off
	s_cbranch_vccnz .LBB231_43
; %bb.42:
	v_add_co_u32 v65, vcc_lo, v68, v10
	v_add_co_ci_u32_e32 v66, vcc_lo, v69, v11, vcc_lo
	flat_load_u16 v63, v[65:66]
	s_waitcnt vmcnt(0) lgkmcnt(0)
	v_mul_f16_e32 v66, v28, v63
.LBB231_43:
	v_pk_max_f16 v63, v4, v4
	v_pk_max_f16 v65, v5, v5
	v_add_co_u32 v75, vcc_lo, v67, v10
	v_add_co_ci_u32_e32 v76, vcc_lo, v72, v11, vcc_lo
	s_delay_alu instid0(VALU_DEP_4) | instskip(NEXT) | instid1(VALU_DEP_4)
	v_pk_min_f16 v4, v63, v71
	v_pk_min_f16 v5, v65, v70
	v_mov_b32_e32 v74, 0
	s_and_b32 vcc_lo, exec_lo, s0
	s_delay_alu instid0(VALU_DEP_3) | instskip(NEXT) | instid1(VALU_DEP_1)
	v_pk_add_f16 v4, v4, v62
	v_pk_add_f16 v62, v5, v4
	v_add_nc_u32_e32 v4, 48, v22
	s_delay_alu instid0(VALU_DEP_2) | instskip(NEXT) | instid1(VALU_DEP_1)
	v_lshrrev_b32_e32 v73, 16, v62
	v_add_f16_e32 v62, v62, v73
	v_mov_b32_e32 v73, 0
	s_delay_alu instid0(VALU_DEP_4) | instskip(NEXT) | instid1(VALU_DEP_3)
	v_ashrrev_i32_e32 v5, 31, v4
	v_add_f16_e32 v62, v62, v66
	s_delay_alu instid0(VALU_DEP_2)
	v_lshlrev_b64 v[4:5], 1, v[4:5]
	global_store_b16 v[75:76], v62, off
	s_cbranch_vccnz .LBB231_45
; %bb.44:
	v_add_co_u32 v74, vcc_lo, v68, v4
	v_add_co_ci_u32_e32 v75, vcc_lo, v69, v5, vcc_lo
	flat_load_u16 v62, v[74:75]
	s_waitcnt vmcnt(0) lgkmcnt(0)
	v_mul_f16_e32 v74, v28, v62
.LBB231_45:
	v_pk_max_f16 v62, v6, v6
	v_pk_max_f16 v66, v7, v7
	v_add_co_u32 v75, vcc_lo, v67, v4
	v_add_co_ci_u32_e32 v76, vcc_lo, v72, v5, vcc_lo
	s_delay_alu instid0(VALU_DEP_4) | instskip(NEXT) | instid1(VALU_DEP_4)
	v_pk_min_f16 v6, v62, v71
	v_pk_min_f16 v7, v66, v70
	s_and_b32 vcc_lo, exec_lo, s0
	s_delay_alu instid0(VALU_DEP_2) | instskip(NEXT) | instid1(VALU_DEP_1)
	v_pk_add_f16 v6, v6, v61
	v_pk_add_f16 v61, v7, v6
	v_add_nc_u32_e32 v6, 56, v22
	s_delay_alu instid0(VALU_DEP_2) | instskip(NEXT) | instid1(VALU_DEP_2)
	v_lshrrev_b32_e32 v22, 16, v61
	v_ashrrev_i32_e32 v7, 31, v6
	s_delay_alu instid0(VALU_DEP_2) | instskip(NEXT) | instid1(VALU_DEP_2)
	v_add_f16_e32 v22, v61, v22
	v_lshlrev_b64 v[6:7], 1, v[6:7]
	s_delay_alu instid0(VALU_DEP_2)
	v_add_f16_e32 v22, v22, v74
	global_store_b16 v[75:76], v22, off
	s_cbranch_vccnz .LBB231_47
; %bb.46:
	v_add_co_u32 v68, vcc_lo, v68, v6
	v_add_co_ci_u32_e32 v69, vcc_lo, v69, v7, vcc_lo
	flat_load_u16 v22, v[68:69]
	s_waitcnt vmcnt(0) lgkmcnt(0)
	v_mul_f16_e32 v73, v28, v22
.LBB231_47:
	v_pk_max_f16 v22, v23, v23
	v_pk_max_f16 v23, v24, v24
	v_add_nc_u32_e32 v68, 32, v25
	s_delay_alu instid0(VALU_DEP_3) | instskip(NEXT) | instid1(VALU_DEP_3)
	v_pk_min_f16 v24, v22, v71
	v_pk_min_f16 v61, v23, v70
	v_add_co_u32 v71, vcc_lo, v67, v6
	v_mov_b32_e32 v67, 0
	s_delay_alu instid0(VALU_DEP_4) | instskip(SKIP_2) | instid1(VALU_DEP_3)
	v_pk_add_f16 v24, v24, v59
	v_mad_i64_i32 v[69:70], null, v68, s5, 0
	v_add_co_ci_u32_e32 v72, vcc_lo, v72, v7, vcc_lo
	v_pk_add_f16 v24, v61, v24
	s_delay_alu instid0(VALU_DEP_3) | instskip(NEXT) | instid1(VALU_DEP_2)
	v_lshlrev_b64 v[69:70], 1, v[69:70]
	v_lshrrev_b32_e32 v59, 16, v24
	s_delay_alu instid0(VALU_DEP_1) | instskip(NEXT) | instid1(VALU_DEP_3)
	v_add_f16_e32 v61, v24, v59
	v_add_co_u32 v24, vcc_lo, s8, v69
	s_delay_alu instid0(VALU_DEP_4) | instskip(NEXT) | instid1(VALU_DEP_3)
	v_add_co_ci_u32_e32 v59, vcc_lo, s9, v70, vcc_lo
	v_add_f16_e32 v61, v61, v73
	v_mov_b32_e32 v69, 0
	s_and_b32 vcc_lo, exec_lo, s0
	global_store_b16 v[71:72], v61, off
	s_cbranch_vccnz .LBB231_49
; %bb.48:
	v_add_co_u32 v69, vcc_lo, v24, v16
	v_add_co_ci_u32_e32 v70, vcc_lo, v59, v17, vcc_lo
	flat_load_u16 v61, v[69:70]
	s_waitcnt vmcnt(0) lgkmcnt(0)
	v_mul_f16_e32 v69, v28, v61
.LBB231_49:
	v_pk_max_f16 v61, v0, v0
	v_pk_max_f16 v0, v1, v1
	v_mad_i64_i32 v[70:71], null, v68, s4, 0
	s_delay_alu instid0(VALU_DEP_3) | instskip(NEXT) | instid1(VALU_DEP_3)
	v_pk_min_f16 v1, v26, v61
	v_pk_min_f16 v72, v27, v0
	s_delay_alu instid0(VALU_DEP_3) | instskip(NEXT) | instid1(VALU_DEP_3)
	v_lshlrev_b64 v[70:71], 1, v[70:71]
	v_pk_add_f16 v1, v1, v58
	s_delay_alu instid0(VALU_DEP_1) | instskip(NEXT) | instid1(VALU_DEP_1)
	v_pk_add_f16 v1, v72, v1
	v_lshrrev_b32_e32 v58, 16, v1
	s_delay_alu instid0(VALU_DEP_1) | instskip(SKIP_2) | instid1(VALU_DEP_3)
	v_add_f16_e32 v68, v1, v58
	v_add_co_u32 v1, vcc_lo, s1, v70
	v_add_co_ci_u32_e32 v58, vcc_lo, s6, v71, vcc_lo
	v_add_f16_e32 v70, v68, v69
	s_delay_alu instid0(VALU_DEP_3) | instskip(NEXT) | instid1(VALU_DEP_3)
	v_add_co_u32 v68, vcc_lo, v1, v16
	v_add_co_ci_u32_e32 v69, vcc_lo, v58, v17, vcc_lo
	s_and_b32 vcc_lo, exec_lo, s0
	global_store_b16 v[68:69], v70, off
	s_cbranch_vccnz .LBB231_51
; %bb.50:
	v_add_co_u32 v67, vcc_lo, v24, v20
	v_add_co_ci_u32_e32 v68, vcc_lo, v59, v21, vcc_lo
	flat_load_u16 v67, v[67:68]
	s_waitcnt vmcnt(0) lgkmcnt(0)
	v_mul_f16_e32 v67, v28, v67
.LBB231_51:
	v_pk_min_f16 v68, v46, v61
	v_pk_min_f16 v69, v47, v0
	s_delay_alu instid0(VALU_DEP_2) | instskip(NEXT) | instid1(VALU_DEP_1)
	v_pk_add_f16 v57, v68, v57
	v_pk_add_f16 v57, v69, v57
	s_delay_alu instid0(VALU_DEP_1) | instskip(NEXT) | instid1(VALU_DEP_1)
	v_lshrrev_b32_e32 v68, 16, v57
	v_add_f16_e32 v57, v57, v68
	v_add_co_u32 v68, vcc_lo, v1, v20
	v_add_co_ci_u32_e32 v69, vcc_lo, v58, v21, vcc_lo
	s_delay_alu instid0(VALU_DEP_3)
	v_add_f16_e32 v70, v57, v67
	v_mov_b32_e32 v57, 0
	v_mov_b32_e32 v67, 0
	s_and_b32 vcc_lo, exec_lo, s0
	global_store_b16 v[68:69], v70, off
	s_cbranch_vccnz .LBB231_53
; %bb.52:
	v_add_co_u32 v67, vcc_lo, v24, v12
	v_add_co_ci_u32_e32 v68, vcc_lo, v59, v13, vcc_lo
	flat_load_u16 v67, v[67:68]
	s_waitcnt vmcnt(0) lgkmcnt(0)
	v_mul_f16_e32 v67, v28, v67
.LBB231_53:
	v_pk_min_f16 v68, v48, v61
	v_pk_min_f16 v69, v49, v0
	s_delay_alu instid0(VALU_DEP_2) | instskip(NEXT) | instid1(VALU_DEP_1)
	v_pk_add_f16 v56, v68, v56
	v_pk_add_f16 v56, v69, v56
	s_delay_alu instid0(VALU_DEP_1) | instskip(NEXT) | instid1(VALU_DEP_1)
	v_lshrrev_b32_e32 v68, 16, v56
	v_add_f16_e32 v56, v56, v68
	s_delay_alu instid0(VALU_DEP_1)
	v_add_f16_e32 v56, v56, v67
	v_add_co_u32 v67, vcc_lo, v1, v12
	v_add_co_ci_u32_e32 v68, vcc_lo, v58, v13, vcc_lo
	s_and_b32 vcc_lo, exec_lo, s0
	global_store_b16 v[67:68], v56, off
	s_cbranch_vccnz .LBB231_55
; %bb.54:
	v_add_co_u32 v56, vcc_lo, v24, v14
	v_add_co_ci_u32_e32 v57, vcc_lo, v59, v15, vcc_lo
	flat_load_u16 v56, v[56:57]
	s_waitcnt vmcnt(0) lgkmcnt(0)
	v_mul_f16_e32 v57, v28, v56
.LBB231_55:
	v_pk_min_f16 v56, v50, v61
	v_pk_min_f16 v67, v51, v0
	s_delay_alu instid0(VALU_DEP_2) | instskip(NEXT) | instid1(VALU_DEP_1)
	v_pk_add_f16 v55, v56, v55
	v_pk_add_f16 v55, v67, v55
	v_add_co_u32 v67, vcc_lo, v1, v14
	v_add_co_ci_u32_e32 v68, vcc_lo, v58, v15, vcc_lo
	s_delay_alu instid0(VALU_DEP_3) | instskip(SKIP_1) | instid1(VALU_DEP_1)
	v_lshrrev_b32_e32 v56, 16, v55
	s_and_b32 vcc_lo, exec_lo, s0
	v_add_f16_e32 v55, v55, v56
	v_mov_b32_e32 v56, 0
	s_delay_alu instid0(VALU_DEP_2)
	v_add_f16_e32 v57, v55, v57
	v_mov_b32_e32 v55, 0
	global_store_b16 v[67:68], v57, off
	s_cbranch_vccnz .LBB231_57
; %bb.56:
	v_add_co_u32 v56, vcc_lo, v24, v8
	v_add_co_ci_u32_e32 v57, vcc_lo, v59, v9, vcc_lo
	flat_load_u16 v56, v[56:57]
	s_waitcnt vmcnt(0) lgkmcnt(0)
	v_mul_f16_e32 v56, v28, v56
.LBB231_57:
	v_pk_min_f16 v57, v60, v61
	v_pk_min_f16 v67, v64, v0
	s_delay_alu instid0(VALU_DEP_2) | instskip(NEXT) | instid1(VALU_DEP_1)
	v_pk_add_f16 v54, v57, v54
	v_pk_add_f16 v54, v67, v54
	s_delay_alu instid0(VALU_DEP_1) | instskip(NEXT) | instid1(VALU_DEP_1)
	v_lshrrev_b32_e32 v57, 16, v54
	v_add_f16_e32 v54, v54, v57
	s_delay_alu instid0(VALU_DEP_1)
	v_add_f16_e32 v54, v54, v56
	v_add_co_u32 v56, vcc_lo, v1, v8
	v_add_co_ci_u32_e32 v57, vcc_lo, v58, v9, vcc_lo
	s_and_b32 vcc_lo, exec_lo, s0
	global_store_b16 v[56:57], v54, off
	s_cbranch_vccnz .LBB231_59
; %bb.58:
	v_add_co_u32 v54, vcc_lo, v24, v10
	v_add_co_ci_u32_e32 v55, vcc_lo, v59, v11, vcc_lo
	flat_load_u16 v54, v[54:55]
	s_waitcnt vmcnt(0) lgkmcnt(0)
	v_mul_f16_e32 v55, v28, v54
.LBB231_59:
	v_pk_min_f16 v54, v63, v61
	v_pk_min_f16 v56, v65, v0
	s_delay_alu instid0(VALU_DEP_2) | instskip(NEXT) | instid1(VALU_DEP_1)
	v_pk_add_f16 v53, v54, v53
	v_pk_add_f16 v53, v56, v53
	v_add_co_u32 v56, vcc_lo, v1, v10
	v_add_co_ci_u32_e32 v57, vcc_lo, v58, v11, vcc_lo
	s_delay_alu instid0(VALU_DEP_3) | instskip(SKIP_1) | instid1(VALU_DEP_1)
	v_lshrrev_b32_e32 v54, 16, v53
	s_and_b32 vcc_lo, exec_lo, s0
	v_add_f16_e32 v53, v53, v54
	v_mov_b32_e32 v54, 0
	s_delay_alu instid0(VALU_DEP_2)
	v_add_f16_e32 v55, v53, v55
	v_mov_b32_e32 v53, 0
	global_store_b16 v[56:57], v55, off
	s_cbranch_vccnz .LBB231_61
; %bb.60:
	v_add_co_u32 v54, vcc_lo, v24, v4
	v_add_co_ci_u32_e32 v55, vcc_lo, v59, v5, vcc_lo
	flat_load_u16 v54, v[54:55]
	s_waitcnt vmcnt(0) lgkmcnt(0)
	v_mul_f16_e32 v54, v28, v54
.LBB231_61:
	v_pk_min_f16 v55, v62, v61
	v_pk_min_f16 v56, v66, v0
	s_delay_alu instid0(VALU_DEP_2) | instskip(NEXT) | instid1(VALU_DEP_1)
	v_pk_add_f16 v52, v55, v52
	v_pk_add_f16 v52, v56, v52
	s_delay_alu instid0(VALU_DEP_1) | instskip(NEXT) | instid1(VALU_DEP_1)
	v_lshrrev_b32_e32 v55, 16, v52
	v_add_f16_e32 v52, v52, v55
	s_delay_alu instid0(VALU_DEP_1)
	v_add_f16_e32 v52, v52, v54
	v_add_co_u32 v54, vcc_lo, v1, v4
	v_add_co_ci_u32_e32 v55, vcc_lo, v58, v5, vcc_lo
	s_and_b32 vcc_lo, exec_lo, s0
	global_store_b16 v[54:55], v52, off
	s_cbranch_vccnz .LBB231_63
; %bb.62:
	v_add_co_u32 v52, vcc_lo, v24, v6
	v_add_co_ci_u32_e32 v53, vcc_lo, v59, v7, vcc_lo
	flat_load_u16 v24, v[52:53]
	s_waitcnt vmcnt(0) lgkmcnt(0)
	v_mul_f16_e32 v53, v28, v24
.LBB231_63:
	v_pk_min_f16 v24, v22, v61
	v_pk_min_f16 v0, v23, v0
	v_add_nc_u32_e32 v54, 64, v25
	v_add_co_u32 v57, vcc_lo, v1, v6
	s_delay_alu instid0(VALU_DEP_4) | instskip(SKIP_2) | instid1(VALU_DEP_3)
	v_pk_add_f16 v24, v24, v45
	v_add_co_ci_u32_e32 v58, vcc_lo, v58, v7, vcc_lo
	v_mov_b32_e32 v52, 0
	v_pk_add_f16 v0, v0, v24
	s_delay_alu instid0(VALU_DEP_1) | instskip(NEXT) | instid1(VALU_DEP_1)
	v_lshrrev_b32_e32 v24, 16, v0
	v_add_f16_e32 v0, v0, v24
	s_delay_alu instid0(VALU_DEP_1) | instskip(SKIP_4) | instid1(VALU_DEP_1)
	v_add_f16_e32 v0, v0, v53
	v_mov_b32_e32 v53, 0
	v_mad_i64_i32 v[55:56], null, v54, s5, 0
	global_store_b16 v[57:58], v0, off
	v_lshlrev_b64 v[55:56], 1, v[55:56]
	v_add_co_u32 v1, vcc_lo, s8, v55
	s_delay_alu instid0(VALU_DEP_2)
	v_add_co_ci_u32_e32 v24, vcc_lo, s9, v56, vcc_lo
	s_and_b32 vcc_lo, exec_lo, s0
	s_cbranch_vccnz .LBB231_65
; %bb.64:
	s_delay_alu instid0(VALU_DEP_2) | instskip(NEXT) | instid1(VALU_DEP_2)
	v_add_co_u32 v55, vcc_lo, v1, v16
	v_add_co_ci_u32_e32 v56, vcc_lo, v24, v17, vcc_lo
	flat_load_u16 v0, v[55:56]
	s_waitcnt vmcnt(0) lgkmcnt(0)
	v_mul_f16_e32 v53, v28, v0
.LBB231_65:
	v_pk_max_f16 v45, v2, v2
	v_pk_max_f16 v0, v3, v3
	s_delay_alu instid0(VALU_DEP_2) | instskip(NEXT) | instid1(VALU_DEP_2)
	v_pk_min_f16 v2, v26, v45
	v_pk_min_f16 v55, v27, v0
	s_delay_alu instid0(VALU_DEP_2) | instskip(SKIP_1) | instid1(VALU_DEP_2)
	v_pk_add_f16 v44, v2, v44
	v_mad_i64_i32 v[2:3], null, v54, s4, 0
	v_pk_add_f16 v44, v55, v44
	s_delay_alu instid0(VALU_DEP_2) | instskip(NEXT) | instid1(VALU_DEP_2)
	v_lshlrev_b64 v[2:3], 1, v[2:3]
	v_lshrrev_b32_e32 v54, 16, v44
	s_delay_alu instid0(VALU_DEP_2) | instskip(NEXT) | instid1(VALU_DEP_2)
	v_add_co_u32 v2, vcc_lo, s1, v2
	v_add_f16_e32 v44, v44, v54
	s_delay_alu instid0(VALU_DEP_4) | instskip(NEXT) | instid1(VALU_DEP_2)
	v_add_co_ci_u32_e32 v3, vcc_lo, s6, v3, vcc_lo
	v_add_f16_e32 v44, v44, v53
	s_delay_alu instid0(VALU_DEP_4) | instskip(NEXT) | instid1(VALU_DEP_3)
	v_add_co_u32 v53, vcc_lo, v2, v16
	v_add_co_ci_u32_e32 v54, vcc_lo, v3, v17, vcc_lo
	s_and_b32 vcc_lo, exec_lo, s0
	global_store_b16 v[53:54], v44, off
	s_cbranch_vccnz .LBB231_67
; %bb.66:
	v_add_co_u32 v52, vcc_lo, v1, v20
	v_add_co_ci_u32_e32 v53, vcc_lo, v24, v21, vcc_lo
	flat_load_u16 v44, v[52:53]
	s_waitcnt vmcnt(0) lgkmcnt(0)
	v_mul_f16_e32 v52, v28, v44
.LBB231_67:
	v_pk_min_f16 v44, v46, v45
	v_pk_min_f16 v53, v47, v0
	s_delay_alu instid0(VALU_DEP_2) | instskip(NEXT) | instid1(VALU_DEP_1)
	v_pk_add_f16 v43, v44, v43
	v_pk_add_f16 v43, v53, v43
	v_add_co_u32 v53, vcc_lo, v2, v20
	v_add_co_ci_u32_e32 v54, vcc_lo, v3, v21, vcc_lo
	s_delay_alu instid0(VALU_DEP_3) | instskip(SKIP_1) | instid1(VALU_DEP_1)
	v_lshrrev_b32_e32 v44, 16, v43
	s_and_b32 vcc_lo, exec_lo, s0
	v_add_f16_e32 v43, v43, v44
	v_mov_b32_e32 v44, 0
	s_delay_alu instid0(VALU_DEP_2)
	v_add_f16_e32 v52, v43, v52
	v_mov_b32_e32 v43, 0
	global_store_b16 v[53:54], v52, off
	s_cbranch_vccnz .LBB231_69
; %bb.68:
	v_add_co_u32 v52, vcc_lo, v1, v12
	v_add_co_ci_u32_e32 v53, vcc_lo, v24, v13, vcc_lo
	flat_load_u16 v44, v[52:53]
	s_waitcnt vmcnt(0) lgkmcnt(0)
	v_mul_f16_e32 v44, v28, v44
.LBB231_69:
	v_pk_min_f16 v52, v48, v45
	v_pk_min_f16 v53, v49, v0
	s_delay_alu instid0(VALU_DEP_2) | instskip(NEXT) | instid1(VALU_DEP_1)
	v_pk_add_f16 v42, v52, v42
	v_pk_add_f16 v42, v53, v42
	s_delay_alu instid0(VALU_DEP_1) | instskip(NEXT) | instid1(VALU_DEP_1)
	v_lshrrev_b32_e32 v52, 16, v42
	v_add_f16_e32 v42, v42, v52
	v_add_co_u32 v52, vcc_lo, v2, v12
	v_add_co_ci_u32_e32 v53, vcc_lo, v3, v13, vcc_lo
	s_delay_alu instid0(VALU_DEP_3)
	v_add_f16_e32 v42, v42, v44
	s_and_b32 vcc_lo, exec_lo, s0
	global_store_b16 v[52:53], v42, off
	s_cbranch_vccnz .LBB231_71
; %bb.70:
	v_add_co_u32 v42, vcc_lo, v1, v14
	v_add_co_ci_u32_e32 v43, vcc_lo, v24, v15, vcc_lo
	flat_load_u16 v42, v[42:43]
	s_waitcnt vmcnt(0) lgkmcnt(0)
	v_mul_f16_e32 v43, v28, v42
.LBB231_71:
	v_pk_min_f16 v42, v50, v45
	v_pk_min_f16 v44, v51, v0
	v_add_co_u32 v52, vcc_lo, v2, v14
	v_add_co_ci_u32_e32 v53, vcc_lo, v3, v15, vcc_lo
	s_delay_alu instid0(VALU_DEP_4) | instskip(SKIP_1) | instid1(VALU_DEP_1)
	v_pk_add_f16 v41, v42, v41
	s_and_b32 vcc_lo, exec_lo, s0
	v_pk_add_f16 v41, v44, v41
	s_delay_alu instid0(VALU_DEP_1) | instskip(NEXT) | instid1(VALU_DEP_1)
	v_lshrrev_b32_e32 v42, 16, v41
	v_add_f16_e32 v41, v41, v42
	v_mov_b32_e32 v42, 0
	s_delay_alu instid0(VALU_DEP_2)
	v_add_f16_e32 v43, v41, v43
	v_mov_b32_e32 v41, 0
	global_store_b16 v[52:53], v43, off
	s_cbranch_vccnz .LBB231_73
; %bb.72:
	v_add_co_u32 v42, vcc_lo, v1, v8
	v_add_co_ci_u32_e32 v43, vcc_lo, v24, v9, vcc_lo
	flat_load_u16 v42, v[42:43]
	s_waitcnt vmcnt(0) lgkmcnt(0)
	v_mul_f16_e32 v42, v28, v42
.LBB231_73:
	v_pk_min_f16 v43, v60, v45
	v_pk_min_f16 v44, v64, v0
	s_delay_alu instid0(VALU_DEP_2) | instskip(NEXT) | instid1(VALU_DEP_1)
	v_pk_add_f16 v40, v43, v40
	v_pk_add_f16 v40, v44, v40
	s_delay_alu instid0(VALU_DEP_1) | instskip(NEXT) | instid1(VALU_DEP_1)
	v_lshrrev_b32_e32 v43, 16, v40
	v_add_f16_e32 v40, v40, v43
	s_delay_alu instid0(VALU_DEP_1)
	v_add_f16_e32 v40, v40, v42
	v_add_co_u32 v42, vcc_lo, v2, v8
	v_add_co_ci_u32_e32 v43, vcc_lo, v3, v9, vcc_lo
	s_and_b32 vcc_lo, exec_lo, s0
	global_store_b16 v[42:43], v40, off
	s_cbranch_vccnz .LBB231_75
; %bb.74:
	v_add_co_u32 v40, vcc_lo, v1, v10
	v_add_co_ci_u32_e32 v41, vcc_lo, v24, v11, vcc_lo
	flat_load_u16 v40, v[40:41]
	s_waitcnt vmcnt(0) lgkmcnt(0)
	v_mul_f16_e32 v41, v28, v40
.LBB231_75:
	v_pk_min_f16 v40, v63, v45
	v_pk_min_f16 v42, v65, v0
	s_delay_alu instid0(VALU_DEP_2) | instskip(NEXT) | instid1(VALU_DEP_1)
	v_pk_add_f16 v39, v40, v39
	v_pk_add_f16 v39, v42, v39
	v_add_co_u32 v42, vcc_lo, v2, v10
	v_add_co_ci_u32_e32 v43, vcc_lo, v3, v11, vcc_lo
	s_delay_alu instid0(VALU_DEP_3) | instskip(SKIP_1) | instid1(VALU_DEP_1)
	v_lshrrev_b32_e32 v40, 16, v39
	s_and_b32 vcc_lo, exec_lo, s0
	v_add_f16_e32 v39, v39, v40
	v_mov_b32_e32 v40, 0
	s_delay_alu instid0(VALU_DEP_2)
	v_add_f16_e32 v41, v39, v41
	v_mov_b32_e32 v39, 0
	global_store_b16 v[42:43], v41, off
	s_cbranch_vccnz .LBB231_77
; %bb.76:
	v_add_co_u32 v40, vcc_lo, v1, v4
	v_add_co_ci_u32_e32 v41, vcc_lo, v24, v5, vcc_lo
	flat_load_u16 v40, v[40:41]
	s_waitcnt vmcnt(0) lgkmcnt(0)
	v_mul_f16_e32 v40, v28, v40
.LBB231_77:
	v_pk_min_f16 v41, v62, v45
	v_pk_min_f16 v42, v66, v0
	s_delay_alu instid0(VALU_DEP_2) | instskip(NEXT) | instid1(VALU_DEP_1)
	v_pk_add_f16 v38, v41, v38
	v_pk_add_f16 v38, v42, v38
	s_delay_alu instid0(VALU_DEP_1) | instskip(NEXT) | instid1(VALU_DEP_1)
	v_lshrrev_b32_e32 v41, 16, v38
	v_add_f16_e32 v38, v38, v41
	s_delay_alu instid0(VALU_DEP_1)
	v_add_f16_e32 v38, v38, v40
	v_add_co_u32 v40, vcc_lo, v2, v4
	v_add_co_ci_u32_e32 v41, vcc_lo, v3, v5, vcc_lo
	s_and_b32 vcc_lo, exec_lo, s0
	global_store_b16 v[40:41], v38, off
	s_cbranch_vccnz .LBB231_79
; %bb.78:
	v_add_co_u32 v38, vcc_lo, v1, v6
	v_add_co_ci_u32_e32 v39, vcc_lo, v24, v7, vcc_lo
	flat_load_u16 v1, v[38:39]
	s_waitcnt vmcnt(0) lgkmcnt(0)
	v_mul_f16_e32 v39, v28, v1
.LBB231_79:
	v_pk_min_f16 v1, v22, v45
	v_pk_min_f16 v24, v23, v0
	v_add_nc_u32_e32 v25, 0x60, v25
	v_add_co_u32 v2, vcc_lo, v2, v6
	s_delay_alu instid0(VALU_DEP_4) | instskip(SKIP_1) | instid1(VALU_DEP_2)
	v_pk_add_f16 v37, v1, v37
	v_add_co_ci_u32_e32 v3, vcc_lo, v3, v7, vcc_lo
	v_pk_add_f16 v24, v24, v37
	s_delay_alu instid0(VALU_DEP_1) | instskip(NEXT) | instid1(VALU_DEP_1)
	v_lshrrev_b32_e32 v37, 16, v24
	v_add_f16_e32 v24, v24, v37
	v_mov_b32_e32 v37, 0
	s_delay_alu instid0(VALU_DEP_2) | instskip(SKIP_4) | instid1(VALU_DEP_1)
	v_add_f16_e32 v38, v24, v39
	v_mov_b32_e32 v24, 0
	v_mad_i64_i32 v[0:1], null, v25, s5, 0
	global_store_b16 v[2:3], v38, off
	v_lshlrev_b64 v[0:1], 1, v[0:1]
	v_add_co_u32 v0, vcc_lo, s8, v0
	s_delay_alu instid0(VALU_DEP_2)
	v_add_co_ci_u32_e32 v1, vcc_lo, s9, v1, vcc_lo
	s_and_b32 vcc_lo, exec_lo, s0
	s_cbranch_vccnz .LBB231_81
; %bb.80:
	s_delay_alu instid0(VALU_DEP_2) | instskip(NEXT) | instid1(VALU_DEP_2)
	v_add_co_u32 v2, vcc_lo, v0, v16
	v_add_co_ci_u32_e32 v3, vcc_lo, v1, v17, vcc_lo
	flat_load_u16 v2, v[2:3]
	s_waitcnt vmcnt(0) lgkmcnt(0)
	v_mul_f16_e32 v37, v28, v2
.LBB231_81:
	v_pk_max_f16 v2, v18, v18
	v_pk_max_f16 v3, v19, v19
	s_delay_alu instid0(VALU_DEP_2) | instskip(NEXT) | instid1(VALU_DEP_2)
	v_pk_min_f16 v18, v26, v2
	v_pk_min_f16 v26, v27, v3
	s_delay_alu instid0(VALU_DEP_2) | instskip(SKIP_1) | instid1(VALU_DEP_2)
	v_pk_add_f16 v27, v18, v36
	v_mad_i64_i32 v[18:19], null, v25, s4, 0
	v_pk_add_f16 v25, v26, v27
	s_delay_alu instid0(VALU_DEP_2) | instskip(NEXT) | instid1(VALU_DEP_2)
	v_lshlrev_b64 v[18:19], 1, v[18:19]
	v_lshrrev_b32_e32 v26, 16, v25
	s_delay_alu instid0(VALU_DEP_2) | instskip(NEXT) | instid1(VALU_DEP_2)
	v_add_co_u32 v18, vcc_lo, s1, v18
	v_add_f16_e32 v25, v25, v26
	s_delay_alu instid0(VALU_DEP_4) | instskip(NEXT) | instid1(VALU_DEP_3)
	v_add_co_ci_u32_e32 v19, vcc_lo, s6, v19, vcc_lo
	v_add_co_u32 v16, vcc_lo, v18, v16
	s_delay_alu instid0(VALU_DEP_3) | instskip(NEXT) | instid1(VALU_DEP_3)
	v_add_f16_e32 v25, v25, v37
	v_add_co_ci_u32_e32 v17, vcc_lo, v19, v17, vcc_lo
	s_and_b32 vcc_lo, exec_lo, s0
	global_store_b16 v[16:17], v25, off
	s_cbranch_vccnz .LBB231_83
; %bb.82:
	v_add_co_u32 v16, vcc_lo, v0, v20
	v_add_co_ci_u32_e32 v17, vcc_lo, v1, v21, vcc_lo
	flat_load_u16 v16, v[16:17]
	s_waitcnt vmcnt(0) lgkmcnt(0)
	v_mul_f16_e32 v24, v28, v16
.LBB231_83:
	v_pk_min_f16 v16, v46, v2
	v_pk_min_f16 v17, v47, v3
	v_add_co_u32 v20, vcc_lo, v18, v20
	v_add_co_ci_u32_e32 v21, vcc_lo, v19, v21, vcc_lo
	s_delay_alu instid0(VALU_DEP_4) | instskip(SKIP_1) | instid1(VALU_DEP_1)
	v_pk_add_f16 v16, v16, v35
	s_and_b32 vcc_lo, exec_lo, s0
	v_pk_add_f16 v16, v17, v16
	s_delay_alu instid0(VALU_DEP_1) | instskip(NEXT) | instid1(VALU_DEP_1)
	v_lshrrev_b32_e32 v17, 16, v16
	v_add_f16_e32 v16, v16, v17
	v_mov_b32_e32 v17, 0
	s_delay_alu instid0(VALU_DEP_2)
	v_add_f16_e32 v24, v16, v24
	v_mov_b32_e32 v16, 0
	global_store_b16 v[20:21], v24, off
	s_cbranch_vccnz .LBB231_85
; %bb.84:
	v_add_co_u32 v20, vcc_lo, v0, v12
	v_add_co_ci_u32_e32 v21, vcc_lo, v1, v13, vcc_lo
	flat_load_u16 v17, v[20:21]
	s_waitcnt vmcnt(0) lgkmcnt(0)
	v_mul_f16_e32 v17, v28, v17
.LBB231_85:
	v_pk_min_f16 v20, v48, v2
	v_pk_min_f16 v21, v49, v3
	v_add_co_u32 v12, vcc_lo, v18, v12
	v_add_co_ci_u32_e32 v13, vcc_lo, v19, v13, vcc_lo
	s_delay_alu instid0(VALU_DEP_4) | instskip(SKIP_1) | instid1(VALU_DEP_1)
	v_pk_add_f16 v20, v20, v34
	s_and_b32 vcc_lo, exec_lo, s0
	v_pk_add_f16 v20, v21, v20
	s_delay_alu instid0(VALU_DEP_1) | instskip(NEXT) | instid1(VALU_DEP_1)
	v_lshrrev_b32_e32 v21, 16, v20
	v_add_f16_e32 v20, v20, v21
	s_delay_alu instid0(VALU_DEP_1)
	v_add_f16_e32 v17, v20, v17
	global_store_b16 v[12:13], v17, off
	s_cbranch_vccnz .LBB231_87
; %bb.86:
	v_add_co_u32 v12, vcc_lo, v0, v14
	v_add_co_ci_u32_e32 v13, vcc_lo, v1, v15, vcc_lo
	flat_load_u16 v12, v[12:13]
	s_waitcnt vmcnt(0) lgkmcnt(0)
	v_mul_f16_e32 v16, v28, v12
.LBB231_87:
	v_pk_min_f16 v12, v50, v2
	v_pk_min_f16 v13, v51, v3
	v_add_co_u32 v14, vcc_lo, v18, v14
	v_add_co_ci_u32_e32 v15, vcc_lo, v19, v15, vcc_lo
	s_delay_alu instid0(VALU_DEP_4) | instskip(SKIP_1) | instid1(VALU_DEP_1)
	v_pk_add_f16 v12, v12, v33
	s_and_b32 vcc_lo, exec_lo, s0
	v_pk_add_f16 v12, v13, v12
	s_delay_alu instid0(VALU_DEP_1) | instskip(NEXT) | instid1(VALU_DEP_1)
	v_lshrrev_b32_e32 v13, 16, v12
	v_add_f16_e32 v12, v12, v13
	v_mov_b32_e32 v13, 0
	s_delay_alu instid0(VALU_DEP_2)
	v_add_f16_e32 v16, v12, v16
	v_mov_b32_e32 v12, 0
	global_store_b16 v[14:15], v16, off
	s_cbranch_vccnz .LBB231_89
; %bb.88:
	v_add_co_u32 v13, vcc_lo, v0, v8
	v_add_co_ci_u32_e32 v14, vcc_lo, v1, v9, vcc_lo
	flat_load_u16 v13, v[13:14]
	s_waitcnt vmcnt(0) lgkmcnt(0)
	v_mul_f16_e32 v13, v28, v13
.LBB231_89:
	v_pk_min_f16 v14, v60, v2
	v_pk_min_f16 v15, v64, v3
	v_add_co_u32 v8, vcc_lo, v18, v8
	v_add_co_ci_u32_e32 v9, vcc_lo, v19, v9, vcc_lo
	s_delay_alu instid0(VALU_DEP_4) | instskip(SKIP_1) | instid1(VALU_DEP_1)
	v_pk_add_f16 v14, v14, v31
	s_and_b32 vcc_lo, exec_lo, s0
	v_pk_add_f16 v14, v15, v14
	s_delay_alu instid0(VALU_DEP_1) | instskip(NEXT) | instid1(VALU_DEP_1)
	v_lshrrev_b32_e32 v15, 16, v14
	v_add_f16_e32 v14, v14, v15
	s_delay_alu instid0(VALU_DEP_1)
	v_add_f16_e32 v13, v14, v13
	global_store_b16 v[8:9], v13, off
	s_cbranch_vccnz .LBB231_91
; %bb.90:
	v_add_co_u32 v8, vcc_lo, v0, v10
	v_add_co_ci_u32_e32 v9, vcc_lo, v1, v11, vcc_lo
	flat_load_u16 v8, v[8:9]
	s_waitcnt vmcnt(0) lgkmcnt(0)
	v_mul_f16_e32 v12, v28, v8
.LBB231_91:
	v_pk_min_f16 v8, v63, v2
	v_pk_min_f16 v9, v65, v3
	;; [unrolled: 1-line block ×3, first 2 shown]
	s_delay_alu instid0(VALU_DEP_3) | instskip(NEXT) | instid1(VALU_DEP_2)
	v_pk_add_f16 v8, v8, v30
	v_pk_add_f16 v13, v13, v32
	s_delay_alu instid0(VALU_DEP_2) | instskip(SKIP_1) | instid1(VALU_DEP_2)
	v_pk_add_f16 v8, v9, v8
	v_pk_min_f16 v9, v66, v3
	v_lshrrev_b32_e32 v14, 16, v8
	s_delay_alu instid0(VALU_DEP_2) | instskip(SKIP_2) | instid1(VALU_DEP_4)
	v_pk_add_f16 v13, v9, v13
	v_add_co_u32 v9, vcc_lo, v18, v10
	v_add_co_ci_u32_e32 v10, vcc_lo, v19, v11, vcc_lo
	v_add_f16_e32 v8, v8, v14
	s_delay_alu instid0(VALU_DEP_4) | instskip(SKIP_1) | instid1(VALU_DEP_2)
	v_lshrrev_b32_e32 v11, 16, v13
	s_mov_b32 vcc_lo, s2
	v_add_f16_e32 v12, v8, v12
	s_delay_alu instid0(VALU_DEP_2)
	v_add_f16_e32 v8, v13, v11
	global_store_b16 v[9:10], v12, off
	s_cbranch_vccz .LBB231_94
; %bb.92:
	v_add_co_u32 v9, vcc_lo, v18, v4
	v_add_f16_e32 v11, 0, v8
	v_add_co_ci_u32_e32 v10, vcc_lo, v19, v5, vcc_lo
	s_mov_b32 s0, 0
	global_store_b16 v[9:10], v11, off
	s_cbranch_execz .LBB231_95
; %bb.93:
	v_mov_b32_e32 v0, s0
	s_branch .LBB231_96
.LBB231_94:
	s_mov_b32 s0, -1
.LBB231_95:
	v_add_co_u32 v9, vcc_lo, v0, v4
	v_add_co_ci_u32_e32 v10, vcc_lo, v1, v5, vcc_lo
	v_add_co_u32 v4, vcc_lo, v18, v4
	v_add_co_ci_u32_e32 v5, vcc_lo, v19, v5, vcc_lo
	flat_load_u16 v9, v[9:10]
	v_add_co_u32 v0, vcc_lo, v0, v6
	v_add_co_ci_u32_e32 v1, vcc_lo, v1, v7, vcc_lo
	s_waitcnt vmcnt(0) lgkmcnt(0)
	v_fmac_f16_e32 v8, v28, v9
	global_store_b16 v[4:5], v8, off
	flat_load_u16 v0, v[0:1]
	s_waitcnt vmcnt(0) lgkmcnt(0)
	v_mul_f16_e32 v0, v28, v0
.LBB231_96:
	v_pk_min_f16 v1, v22, v2
	v_pk_min_f16 v2, v23, v3
	s_delay_alu instid0(VALU_DEP_2) | instskip(NEXT) | instid1(VALU_DEP_1)
	v_pk_add_f16 v1, v1, v29
	v_pk_add_f16 v1, v2, v1
	s_delay_alu instid0(VALU_DEP_1) | instskip(NEXT) | instid1(VALU_DEP_1)
	v_lshrrev_b32_e32 v2, 16, v1
	v_add_f16_e32 v1, v1, v2
	s_delay_alu instid0(VALU_DEP_1)
	v_add_f16_e32 v2, v1, v0
	v_add_co_u32 v0, vcc_lo, v18, v6
	v_add_co_ci_u32_e32 v1, vcc_lo, v19, v7, vcc_lo
	global_store_b16 v[0:1], v2, off
	s_nop 0
	s_sendmsg sendmsg(MSG_DEALLOC_VGPRS)
	s_endpgm
	.section	.rodata,"a",@progbits
	.p2align	6, 0x0
	.amdhsa_kernel _ZN12_GLOBAL__N_120geam_min_plus_kernelIDF16_Dv2_DF16_S1_Li8ELi32ELi64ELi128ELi4ELi64ELi4ELi4ELi64ELc78ELc78ELb0ELb0ELb0EPKDF16_KS3_KPDF16_EEviiiT16_PT17_ilS9_ilS7_S9_ilPT18_ili26rocblas_geam_ex_operation_
		.amdhsa_group_segment_fixed_size 3072
		.amdhsa_private_segment_fixed_size 0
		.amdhsa_kernarg_size 136
		.amdhsa_user_sgpr_count 14
		.amdhsa_user_sgpr_dispatch_ptr 0
		.amdhsa_user_sgpr_queue_ptr 0
		.amdhsa_user_sgpr_kernarg_segment_ptr 1
		.amdhsa_user_sgpr_dispatch_id 0
		.amdhsa_user_sgpr_private_segment_size 0
		.amdhsa_wavefront_size32 1
		.amdhsa_uses_dynamic_stack 0
		.amdhsa_enable_private_segment 0
		.amdhsa_system_sgpr_workgroup_id_x 1
		.amdhsa_system_sgpr_workgroup_id_y 0
		.amdhsa_system_sgpr_workgroup_id_z 1
		.amdhsa_system_sgpr_workgroup_info 0
		.amdhsa_system_vgpr_workitem_id 1
		.amdhsa_next_free_vgpr 125
		.amdhsa_next_free_sgpr 24
		.amdhsa_reserve_vcc 1
		.amdhsa_float_round_mode_32 0
		.amdhsa_float_round_mode_16_64 0
		.amdhsa_float_denorm_mode_32 3
		.amdhsa_float_denorm_mode_16_64 3
		.amdhsa_dx10_clamp 1
		.amdhsa_ieee_mode 1
		.amdhsa_fp16_overflow 0
		.amdhsa_workgroup_processor_mode 1
		.amdhsa_memory_ordered 1
		.amdhsa_forward_progress 0
		.amdhsa_shared_vgpr_count 0
		.amdhsa_exception_fp_ieee_invalid_op 0
		.amdhsa_exception_fp_denorm_src 0
		.amdhsa_exception_fp_ieee_div_zero 0
		.amdhsa_exception_fp_ieee_overflow 0
		.amdhsa_exception_fp_ieee_underflow 0
		.amdhsa_exception_fp_ieee_inexact 0
		.amdhsa_exception_int_div_zero 0
	.end_amdhsa_kernel
	.section	.text._ZN12_GLOBAL__N_120geam_min_plus_kernelIDF16_Dv2_DF16_S1_Li8ELi32ELi64ELi128ELi4ELi64ELi4ELi4ELi64ELc78ELc78ELb0ELb0ELb0EPKDF16_KS3_KPDF16_EEviiiT16_PT17_ilS9_ilS7_S9_ilPT18_ili26rocblas_geam_ex_operation_,"axG",@progbits,_ZN12_GLOBAL__N_120geam_min_plus_kernelIDF16_Dv2_DF16_S1_Li8ELi32ELi64ELi128ELi4ELi64ELi4ELi4ELi64ELc78ELc78ELb0ELb0ELb0EPKDF16_KS3_KPDF16_EEviiiT16_PT17_ilS9_ilS7_S9_ilPT18_ili26rocblas_geam_ex_operation_,comdat
.Lfunc_end231:
	.size	_ZN12_GLOBAL__N_120geam_min_plus_kernelIDF16_Dv2_DF16_S1_Li8ELi32ELi64ELi128ELi4ELi64ELi4ELi4ELi64ELc78ELc78ELb0ELb0ELb0EPKDF16_KS3_KPDF16_EEviiiT16_PT17_ilS9_ilS7_S9_ilPT18_ili26rocblas_geam_ex_operation_, .Lfunc_end231-_ZN12_GLOBAL__N_120geam_min_plus_kernelIDF16_Dv2_DF16_S1_Li8ELi32ELi64ELi128ELi4ELi64ELi4ELi4ELi64ELc78ELc78ELb0ELb0ELb0EPKDF16_KS3_KPDF16_EEviiiT16_PT17_ilS9_ilS7_S9_ilPT18_ili26rocblas_geam_ex_operation_
                                        ; -- End function
	.section	.AMDGPU.csdata,"",@progbits
; Kernel info:
; codeLenInByte = 10232
; NumSgprs: 26
; NumVgprs: 125
; ScratchSize: 0
; MemoryBound: 0
; FloatMode: 240
; IeeeMode: 1
; LDSByteSize: 3072 bytes/workgroup (compile time only)
; SGPRBlocks: 3
; VGPRBlocks: 15
; NumSGPRsForWavesPerEU: 26
; NumVGPRsForWavesPerEU: 125
; Occupancy: 10
; WaveLimiterHint : 1
; COMPUTE_PGM_RSRC2:SCRATCH_EN: 0
; COMPUTE_PGM_RSRC2:USER_SGPR: 14
; COMPUTE_PGM_RSRC2:TRAP_HANDLER: 0
; COMPUTE_PGM_RSRC2:TGID_X_EN: 1
; COMPUTE_PGM_RSRC2:TGID_Y_EN: 0
; COMPUTE_PGM_RSRC2:TGID_Z_EN: 1
; COMPUTE_PGM_RSRC2:TIDIG_COMP_CNT: 1
	.section	.text._ZN12_GLOBAL__N_120geam_min_plus_kernelIDF16_Dv2_DF16_S1_Li8ELi32ELi64ELi128ELi4ELi64ELi4ELi4ELi64ELc78ELc78ELb1ELb0ELb0EDF16_KPKDF16_KPDF16_EEviiiT16_PT17_ilS9_ilS7_S9_ilPT18_ili26rocblas_geam_ex_operation_,"axG",@progbits,_ZN12_GLOBAL__N_120geam_min_plus_kernelIDF16_Dv2_DF16_S1_Li8ELi32ELi64ELi128ELi4ELi64ELi4ELi4ELi64ELc78ELc78ELb1ELb0ELb0EDF16_KPKDF16_KPDF16_EEviiiT16_PT17_ilS9_ilS7_S9_ilPT18_ili26rocblas_geam_ex_operation_,comdat
	.globl	_ZN12_GLOBAL__N_120geam_min_plus_kernelIDF16_Dv2_DF16_S1_Li8ELi32ELi64ELi128ELi4ELi64ELi4ELi4ELi64ELc78ELc78ELb1ELb0ELb0EDF16_KPKDF16_KPDF16_EEviiiT16_PT17_ilS9_ilS7_S9_ilPT18_ili26rocblas_geam_ex_operation_ ; -- Begin function _ZN12_GLOBAL__N_120geam_min_plus_kernelIDF16_Dv2_DF16_S1_Li8ELi32ELi64ELi128ELi4ELi64ELi4ELi4ELi64ELc78ELc78ELb1ELb0ELb0EDF16_KPKDF16_KPDF16_EEviiiT16_PT17_ilS9_ilS7_S9_ilPT18_ili26rocblas_geam_ex_operation_
	.p2align	8
	.type	_ZN12_GLOBAL__N_120geam_min_plus_kernelIDF16_Dv2_DF16_S1_Li8ELi32ELi64ELi128ELi4ELi64ELi4ELi4ELi64ELc78ELc78ELb1ELb0ELb0EDF16_KPKDF16_KPDF16_EEviiiT16_PT17_ilS9_ilS7_S9_ilPT18_ili26rocblas_geam_ex_operation_,@function
_ZN12_GLOBAL__N_120geam_min_plus_kernelIDF16_Dv2_DF16_S1_Li8ELi32ELi64ELi128ELi4ELi64ELi4ELi4ELi64ELc78ELc78ELb1ELb0ELb0EDF16_KPKDF16_KPDF16_EEviiiT16_PT17_ilS9_ilS7_S9_ilPT18_ili26rocblas_geam_ex_operation_: ; @_ZN12_GLOBAL__N_120geam_min_plus_kernelIDF16_Dv2_DF16_S1_Li8ELi32ELi64ELi128ELi4ELi64ELi4ELi4ELi64ELc78ELc78ELb1ELb0ELb0EDF16_KPKDF16_KPDF16_EEviiiT16_PT17_ilS9_ilS7_S9_ilPT18_ili26rocblas_geam_ex_operation_
; %bb.0:
	s_clause 0x1
	s_load_b64 s[8:9], s[0:1], 0x8
	s_load_b128 s[4:7], s[0:1], 0x20
	s_mov_b32 s16, s15
	s_mov_b32 s17, 0
	s_waitcnt lgkmcnt(0)
	v_cmp_eq_f16_e64 s2, s9, 0
	s_delay_alu instid0(VALU_DEP_1)
	s_and_b32 vcc_lo, exec_lo, s2
	s_cbranch_vccnz .LBB232_3
; %bb.1:
	s_load_b64 s[10:11], s[0:1], 0x10
	s_lshl_b64 s[12:13], s[16:17], 3
	s_waitcnt lgkmcnt(0)
	s_add_u32 s10, s10, s12
	s_addc_u32 s11, s11, s13
	s_lshl_b64 s[4:5], s[4:5], 1
	s_load_b64 s[10:11], s[10:11], 0x0
	s_waitcnt lgkmcnt(0)
	s_add_u32 s10, s10, s4
	s_addc_u32 s11, s11, s5
	s_and_not1_b32 vcc_lo, exec_lo, s2
	s_cbranch_vccnz .LBB232_4
.LBB232_2:
	s_mov_b64 s[12:13], 0
	s_and_not1_b32 vcc_lo, exec_lo, s17
	s_cbranch_vccz .LBB232_5
	s_branch .LBB232_6
.LBB232_3:
	s_mov_b64 s[10:11], 0
	s_and_not1_b32 vcc_lo, exec_lo, s2
	s_cbranch_vccz .LBB232_2
.LBB232_4:
	s_mov_b32 s17, -1
                                        ; implicit-def: $sgpr12_sgpr13
.LBB232_5:
	s_mov_b32 s17, 0
	s_load_b64 s[4:5], s[0:1], 0x38
	s_lshl_b64 s[2:3], s[16:17], 3
	s_delay_alu instid0(SALU_CYCLE_1) | instskip(SKIP_4) | instid1(SALU_CYCLE_1)
	s_add_u32 s2, s6, s2
	s_addc_u32 s3, s7, s3
	s_load_b64 s[2:3], s[2:3], 0x0
	s_waitcnt lgkmcnt(0)
	s_lshl_b64 s[4:5], s[4:5], 1
	s_add_u32 s12, s2, s4
	s_addc_u32 s13, s3, s5
.LBB232_6:
	s_clause 0x1
	s_load_b32 s15, s[0:1], 0x40
	s_load_b128 s[4:7], s[0:1], 0x58
	s_waitcnt lgkmcnt(0)
	v_cmp_eq_f16_e64 s2, s15, 0
	s_delay_alu instid0(VALU_DEP_1) | instskip(NEXT) | instid1(SALU_CYCLE_1)
	s_and_b32 s2, exec_lo, s2
	s_mov_b32 vcc_lo, s2
	s_cbranch_vccnz .LBB232_8
; %bb.7:
	s_load_b64 s[18:19], s[0:1], 0x48
	s_lshl_b64 s[20:21], s[16:17], 3
	s_waitcnt lgkmcnt(0)
	s_add_u32 s18, s18, s20
	s_addc_u32 s19, s19, s21
	s_lshl_b64 s[4:5], s[4:5], 1
	s_load_b64 s[18:19], s[18:19], 0x0
	s_waitcnt lgkmcnt(0)
	s_add_u32 s4, s18, s4
	s_addc_u32 s5, s19, s5
	s_branch .LBB232_9
.LBB232_8:
	s_mov_b64 s[4:5], 0
.LBB232_9:
	s_load_b32 s3, s[0:1], 0x0
	s_lshl_b64 s[18:19], s[16:17], 3
	v_bfe_u32 v51, v0, 10, 10
	s_add_u32 s6, s6, s18
	s_addc_u32 s7, s7, s19
	s_clause 0x1
	s_load_b32 s16, s[0:1], 0x18
	s_load_b32 s9, s[0:1], 0x30
	v_and_b32_e32 v50, 0x3ff, v0
	v_lshlrev_b32_e32 v48, 3, v51
	s_delay_alu instid0(VALU_DEP_2) | instskip(SKIP_1) | instid1(VALU_DEP_2)
	v_and_b32_e32 v0, 3, v50
	v_lshlrev_b32_e32 v53, 3, v50
	v_lshlrev_b32_e32 v58, 1, v0
	s_delay_alu instid0(VALU_DEP_2) | instskip(SKIP_2) | instid1(SALU_CYCLE_1)
	v_add_nc_u32_e32 v28, 0x800, v53
	s_waitcnt lgkmcnt(0)
	s_add_i32 s3, s3, -1
	s_ashr_i32 s17, s3, 31
	s_delay_alu instid0(SALU_CYCLE_1) | instskip(NEXT) | instid1(SALU_CYCLE_1)
	s_lshr_b32 s17, s17, 26
	s_add_i32 s3, s3, s17
	s_delay_alu instid0(SALU_CYCLE_1) | instskip(NEXT) | instid1(SALU_CYCLE_1)
	s_ashr_i32 s3, s3, 6
	s_add_i32 s17, s3, 1
	s_not_b32 s3, s3
	v_cvt_f32_u32_e32 v1, s17
	s_delay_alu instid0(VALU_DEP_1) | instskip(SKIP_2) | instid1(VALU_DEP_1)
	v_rcp_iflag_f32_e32 v1, v1
	s_waitcnt_depctr 0xfff
	v_mul_f32_e32 v1, 0x4f7ffffe, v1
	v_cvt_u32_f32_e32 v1, v1
	s_delay_alu instid0(VALU_DEP_1) | instskip(SKIP_1) | instid1(VALU_DEP_2)
	v_readfirstlane_b32 s18, v1
	v_add_nc_u32_e32 v1, v48, v50
	s_mul_i32 s3, s3, s18
	s_delay_alu instid0(VALU_DEP_1)
	v_lshrrev_b32_e32 v14, 2, v1
	s_mul_hi_u32 s3, s18, s3
	v_lshrrev_b32_e32 v6, 6, v1
	s_add_i32 s18, s18, s3
	v_and_b32_e32 v13, 63, v1
	s_mul_hi_u32 s3, s14, s18
	v_lshl_or_b32 v61, v14, 3, v58
	s_mul_i32 s18, s3, s17
	s_add_i32 s19, s3, 1
	s_sub_i32 s18, s14, s18
	v_mad_i64_i32 v[0:1], null, s16, v6, 0
	s_sub_i32 s20, s18, s17
	s_cmp_ge_u32 s18, s17
	s_cselect_b32 s3, s19, s3
	s_cselect_b32 s18, s20, s18
	s_add_i32 s19, s3, 1
	s_cmp_ge_u32 s18, s17
	s_delay_alu instid0(VALU_DEP_1) | instskip(SKIP_1) | instid1(SALU_CYCLE_1)
	v_lshlrev_b64 v[7:8], 1, v[0:1]
	s_cselect_b32 s3, s19, s3
	s_lshl_b32 s18, s3, 7
	s_mul_i32 s17, s3, s17
	v_add_nc_u32_e32 v3, s18, v14
	s_sub_i32 s3, s14, s17
	v_add_co_u32 v11, s14, s12, v58
	s_lshl_b32 s3, s3, 6
	s_delay_alu instid0(VALU_DEP_2) | instskip(SKIP_4) | instid1(VALU_DEP_3)
	v_mad_i64_i32 v[4:5], null, v3, s9, 0
	v_or_b32_e32 v2, s3, v13
	v_add_nc_u32_e32 v3, 64, v3
	v_add_co_ci_u32_e64 v12, null, s13, 0, s14
	v_add_co_u32 v15, vcc_lo, s10, v7
	v_mad_i64_i32 v[9:10], null, v3, s9, 0
	v_ashrrev_i32_e32 v3, 31, v2
	v_lshlrev_b64 v[0:1], 1, v[4:5]
	v_add_co_ci_u32_e32 v16, vcc_lo, s11, v8, vcc_lo
	s_cmp_lt_i32 s8, 9
	s_delay_alu instid0(VALU_DEP_3) | instskip(SKIP_1) | instid1(VALU_DEP_4)
	v_lshlrev_b64 v[4:5], 1, v[2:3]
	v_lshlrev_b64 v[2:3], 1, v[9:10]
	v_add_co_u32 v7, vcc_lo, v11, v0
	v_add_co_ci_u32_e32 v8, vcc_lo, v12, v1, vcc_lo
	s_delay_alu instid0(VALU_DEP_4)
	v_add_co_u32 v9, vcc_lo, v15, v4
	v_add_co_ci_u32_e32 v10, vcc_lo, v16, v5, vcc_lo
	v_add_co_u32 v11, vcc_lo, v11, v2
	v_add_co_ci_u32_e32 v12, vcc_lo, v12, v3, vcc_lo
	flat_load_u16 v15, v[7:8]
	flat_load_u16 v9, v[9:10]
	s_clause 0x2
	flat_load_u16 v10, v[11:12]
	flat_load_u16 v70, v[11:12] offset:8
	flat_load_u16 v32, v[7:8] offset:8
	v_add_nc_u32_e32 v11, 4, v6
	s_load_b64 s[6:7], s[6:7], 0x0
	s_delay_alu instid0(VALU_DEP_1) | instskip(NEXT) | instid1(VALU_DEP_1)
	v_mad_i64_i32 v[7:8], null, s16, v11, 0
	v_lshlrev_b64 v[7:8], 1, v[7:8]
	s_delay_alu instid0(VALU_DEP_1) | instskip(NEXT) | instid1(VALU_DEP_2)
	v_add_co_u32 v7, vcc_lo, s10, v7
	v_add_co_ci_u32_e32 v8, vcc_lo, s11, v8, vcc_lo
	s_delay_alu instid0(VALU_DEP_2) | instskip(NEXT) | instid1(VALU_DEP_2)
	v_add_co_u32 v7, vcc_lo, v7, v4
	v_add_co_ci_u32_e32 v8, vcc_lo, v8, v5, vcc_lo
	flat_load_u16 v71, v[7:8]
	v_lshlrev_b32_e32 v7, 3, v13
	s_delay_alu instid0(VALU_DEP_1)
	v_lshl_add_u32 v7, v6, 1, v7
	s_waitcnt vmcnt(5) lgkmcnt(0)
	ds_store_b16 v61, v15
	s_waitcnt vmcnt(4)
	ds_store_b16 v7, v9 offset:2048
	s_waitcnt vmcnt(3)
	ds_store_b16 v61, v10 offset:512
	s_waitcnt vmcnt(0) lgkmcnt(0)
	s_barrier
	buffer_gl0_inv
	ds_load_2addr_b64 v[8:11], v48 offset1:32
	ds_load_2addr_b64 v[12:15], v28 offset0:48 offset1:56
	ds_load_2addr_b64 v[16:19], v48 offset0:64 offset1:96
	ds_load_2addr_b64 v[20:23], v28 offset1:8
	ds_load_2addr_b64 v[24:27], v28 offset0:16 offset1:24
	ds_load_2addr_b64 v[28:31], v28 offset0:32 offset1:40
	ds_store_b16 v61, v32 offset:1024
	ds_store_b16 v7, v71 offset:2560
	;; [unrolled: 1-line block ×3, first 2 shown]
	s_waitcnt lgkmcnt(8)
	v_pk_max_f16 v8, v8, v8
	s_waitcnt lgkmcnt(7)
	v_pk_max_f16 v14, v14, v14
	v_pk_max_f16 v10, v10, v10
	s_waitcnt lgkmcnt(6)
	v_pk_max_f16 v16, v16, v16
	s_waitcnt lgkmcnt(5)
	v_pk_max_f16 v20, v20, v20
	v_pk_max_f16 v18, v18, v18
	;; [unrolled: 1-line block ×3, first 2 shown]
	s_waitcnt lgkmcnt(4)
	v_pk_max_f16 v24, v24, v24
	v_pk_max_f16 v26, v26, v26
	s_waitcnt lgkmcnt(3)
	v_pk_max_f16 v28, v28, v28
	v_pk_max_f16 v30, v30, v30
	v_pk_max_f16 v12, v12, v12
	v_pk_max_f16 v9, v9, v9
	v_pk_max_f16 v15, v15, v15
	v_pk_max_f16 v11, v11, v11
	v_pk_max_f16 v17, v17, v17
	v_pk_max_f16 v21, v21, v21
	v_pk_max_f16 v19, v19, v19
	v_pk_max_f16 v23, v23, v23
	v_pk_max_f16 v25, v25, v25
	v_pk_max_f16 v27, v27, v27
	v_pk_max_f16 v29, v29, v29
	v_pk_max_f16 v31, v31, v31
	v_pk_max_f16 v13, v13, v13
	v_pk_min_f16 v32, v14, v8
	v_pk_min_f16 v33, v14, v10
	;; [unrolled: 1-line block ×64, first 2 shown]
	v_pk_add_f16 v19, v32, 0
	v_pk_add_f16 v32, v33, 0
	;; [unrolled: 1-line block ×64, first 2 shown]
	s_waitcnt lgkmcnt(0)
	s_barrier
	buffer_gl0_inv
	s_cbranch_scc1 .LBB232_12
; %bb.10:
	v_or_b32_e32 v70, 0x800, v7
	v_add_nc_u32_e32 v72, 0xa00, v7
	v_add_nc_u32_e32 v7, 8, v6
	;; [unrolled: 1-line block ×3, first 2 shown]
	v_add_co_u32 v74, vcc_lo, s10, v4
	v_add_co_ci_u32_e32 v75, vcc_lo, s11, v5, vcc_lo
	s_delay_alu instid0(VALU_DEP_4) | instskip(NEXT) | instid1(VALU_DEP_4)
	v_mad_i64_i32 v[4:5], null, v7, s16, 0
	v_mad_i64_i32 v[6:7], null, v8, s16, 0
	v_add_co_u32 v78, vcc_lo, s12, v2
	v_add_co_ci_u32_e32 v79, vcc_lo, s13, v3, vcc_lo
	v_add_co_u32 v80, vcc_lo, s12, v0
	v_lshlrev_b64 v[24:25], 1, v[4:5]
	v_lshlrev_b64 v[26:27], 1, v[6:7]
	v_add_nc_u32_e32 v71, 0x800, v53
	v_add_nc_u32_e32 v73, 0x400, v61
	v_lshl_add_u32 v76, v50, 3, 0xa00
	v_add_nc_u32_e32 v77, 0x400, v48
	v_add_co_ci_u32_e32 v81, vcc_lo, s13, v1, vcc_lo
	s_ashr_i32 s17, s16, 31
	s_add_i32 s10, s8, -8
	s_lshl_b64 s[8:9], s[16:17], 4
	s_mov_b32 s11, 0
.LBB232_11:                             ; =>This Inner Loop Header: Depth=1
	v_add_co_u32 v0, vcc_lo, v74, v24
	v_add_co_ci_u32_e32 v1, vcc_lo, v75, v25, vcc_lo
	v_add_co_u32 v28, vcc_lo, v80, v58
	v_add_co_ci_u32_e32 v29, vcc_lo, 0, v81, vcc_lo
	;; [unrolled: 2-line block ×3, first 2 shown]
	flat_load_u16 v82, v[0:1]
	flat_load_u16 v83, v[28:29] offset:16
	flat_load_u16 v84, v[30:31] offset:16
	v_add_co_u32 v85, vcc_lo, v74, v26
	v_add_co_ci_u32_e32 v86, vcc_lo, v75, v27, vcc_lo
	ds_load_2addr_b64 v[0:3], v76 offset0:48 offset1:56
	ds_load_2addr_b64 v[12:15], v77 offset1:32
	ds_load_2addr_b64 v[4:7], v77 offset0:64 offset1:96
	ds_load_2addr_b64 v[8:11], v76 offset1:8
	ds_load_2addr_b64 v[16:19], v76 offset0:16 offset1:24
	ds_load_2addr_b64 v[20:23], v76 offset0:32 offset1:40
	v_add_co_u32 v78, vcc_lo, v78, 16
	v_add_co_ci_u32_e32 v79, vcc_lo, 0, v79, vcc_lo
	v_add_co_u32 v80, vcc_lo, v80, 16
	v_add_co_ci_u32_e32 v81, vcc_lo, 0, v81, vcc_lo
	;; [unrolled: 2-line block ×3, first 2 shown]
	s_add_i32 s11, s11, 8
	s_waitcnt vmcnt(2) lgkmcnt(8)
	ds_store_b16 v70, v82
	s_waitcnt vmcnt(1) lgkmcnt(8)
	ds_store_b16 v61, v83
	s_waitcnt vmcnt(0) lgkmcnt(8)
	ds_store_b16 v61, v84 offset:512
	s_waitcnt lgkmcnt(0)
	s_barrier
	buffer_gl0_inv
	flat_load_u16 v82, v[85:86]
	flat_load_u16 v28, v[28:29] offset:24
	flat_load_u16 v29, v[30:31] offset:24
	v_pk_max_f16 v2, v2, v2
	v_pk_max_f16 v12, v12, v12
	;; [unrolled: 1-line block ×24, first 2 shown]
	v_pk_min_f16 v30, v8, v12
	v_pk_min_f16 v31, v8, v14
	;; [unrolled: 1-line block ×64, first 2 shown]
	v_pk_add_f16 v7, v99, v62
	v_pk_add_f16 v49, v100, v49
	;; [unrolled: 1-line block ×41, first 2 shown]
	ds_load_2addr_b64 v[0:3], v48 offset1:32
	ds_load_2addr_b64 v[4:7], v71 offset0:48 offset1:56
	ds_load_2addr_b64 v[8:11], v48 offset0:64 offset1:96
	ds_load_2addr_b64 v[12:15], v71 offset1:8
	ds_load_2addr_b64 v[16:19], v71 offset0:16 offset1:24
	ds_load_2addr_b64 v[20:23], v71 offset0:32 offset1:40
	v_pk_add_f16 v39, v84, v68
	v_pk_add_f16 v46, v86, v46
	;; [unrolled: 1-line block ×14, first 2 shown]
	s_waitcnt lgkmcnt(5)
	v_pk_max_f16 v0, v0, v0
	s_waitcnt lgkmcnt(4)
	v_pk_max_f16 v6, v6, v6
	v_pk_max_f16 v2, v2, v2
	s_waitcnt lgkmcnt(3)
	v_pk_max_f16 v8, v8, v8
	s_waitcnt lgkmcnt(2)
	v_pk_max_f16 v12, v12, v12
	v_pk_max_f16 v10, v10, v10
	;; [unrolled: 1-line block ×3, first 2 shown]
	s_waitcnt lgkmcnt(1)
	v_pk_max_f16 v16, v16, v16
	v_pk_max_f16 v18, v18, v18
	s_waitcnt lgkmcnt(0)
	v_pk_max_f16 v20, v20, v20
	v_pk_max_f16 v22, v22, v22
	;; [unrolled: 1-line block ×3, first 2 shown]
	v_pk_add_f16 v37, v110, v37
	v_pk_add_f16 v56, v111, v56
	;; [unrolled: 1-line block ×9, first 2 shown]
	v_pk_max_f16 v1, v1, v1
	v_pk_max_f16 v7, v7, v7
	;; [unrolled: 1-line block ×12, first 2 shown]
	v_pk_min_f16 v68, v12, v0
	v_pk_min_f16 v69, v12, v2
	;; [unrolled: 1-line block ×64, first 2 shown]
	v_pk_add_f16 v11, v99, v32
	v_pk_add_f16 v32, v100, v33
	;; [unrolled: 1-line block ×64, first 2 shown]
	s_cmp_ge_i32 s11, s10
	s_waitcnt vmcnt(2)
	ds_store_b16 v72, v82
	s_waitcnt vmcnt(1)
	ds_store_b16 v73, v28
	s_waitcnt vmcnt(0)
	ds_store_b16 v73, v29 offset:512
	s_waitcnt lgkmcnt(0)
	s_barrier
	buffer_gl0_inv
	s_cbranch_scc0 .LBB232_11
.LBB232_12:
	s_load_b32 s8, s[0:1], 0x50
	v_dual_mov_b32 v30, 0 :: v_dual_add_nc_u32 v25, s18, v51
	ds_load_b64 v[0:1], v48 offset:1024
	ds_load_b64 v[2:3], v53 offset:2560
	v_add_nc_u32_e32 v22, s3, v50
	v_cmp_neq_f16_e64 s9, s15, 0
	v_mov_b32_e32 v20, 0
	s_delay_alu instid0(VALU_DEP_3) | instskip(NEXT) | instid1(VALU_DEP_3)
	v_ashrrev_i32_e32 v23, 31, v22
	s_and_b32 vcc_lo, exec_lo, s9
	s_delay_alu instid0(VALU_DEP_1) | instskip(SKIP_2) | instid1(VALU_DEP_1)
	v_lshlrev_b64 v[16:17], 1, v[22:23]
	s_waitcnt lgkmcnt(0)
	v_mad_i64_i32 v[4:5], null, v25, s8, 0
	v_lshlrev_b64 v[4:5], 1, v[4:5]
	s_delay_alu instid0(VALU_DEP_1) | instskip(NEXT) | instid1(VALU_DEP_1)
	v_add_co_u32 v70, s3, s4, v4
	v_add_co_ci_u32_e64 v71, s3, s5, v5, s3
	s_cbranch_vccz .LBB232_14
; %bb.13:
	s_delay_alu instid0(VALU_DEP_2) | instskip(NEXT) | instid1(VALU_DEP_2)
	v_add_co_u32 v4, vcc_lo, v70, v16
	v_add_co_ci_u32_e32 v5, vcc_lo, v71, v17, vcc_lo
	flat_load_u16 v4, v[4:5]
	s_waitcnt vmcnt(0) lgkmcnt(0)
	v_mul_f16_e32 v20, s15, v4
.LBB232_14:
	s_clause 0x1
	s_load_b32 s3, s[0:1], 0x68
	s_load_b64 s[0:1], s[0:1], 0x70
	v_pk_max_f16 v73, v0, v0
	v_pk_max_f16 v26, v2, v2
	;; [unrolled: 1-line block ×4, first 2 shown]
	v_add_nc_u32_e32 v5, 0x800, v53
	ds_load_b64 v[23:24], v53 offset:3008
	ds_load_b64 v[18:19], v48 offset:1792
	v_pk_min_f16 v4, v26, v73
	ds_load_2addr_b64 v[0:3], v48 offset0:160 offset1:192
	v_pk_min_f16 v6, v27, v72
	ds_load_2addr_b64 v[12:15], v5 offset0:72 offset1:80
	v_add_nc_u32_e32 v28, 8, v22
	v_pk_add_f16 v4, v4, v69
	v_cndmask_b32_e64 v21, 0, 1, s9
	s_delay_alu instid0(VALU_DEP_3) | instskip(NEXT) | instid1(VALU_DEP_3)
	v_ashrrev_i32_e32 v29, 31, v28
	v_pk_add_f16 v31, v6, v4
	ds_load_2addr_b64 v[8:11], v5 offset0:88 offset1:96
	ds_load_2addr_b64 v[4:7], v5 offset0:104 offset1:112
	s_waitcnt lgkmcnt(0)
	v_mad_i64_i32 v[50:51], null, v25, s3, 0
	s_lshl_b64 s[10:11], s[0:1], 1
	v_lshrrev_b32_e32 v48, 16, v31
	s_add_u32 s1, s6, s10
	s_addc_u32 s6, s7, s11
	v_cmp_ne_u32_e64 s0, 1, v21
	s_delay_alu instid0(VALU_DEP_2) | instskip(NEXT) | instid1(VALU_DEP_4)
	v_add_f16_e32 v21, v31, v48
	v_lshlrev_b64 v[50:51], 1, v[50:51]
	s_delay_alu instid0(VALU_DEP_2) | instskip(SKIP_1) | instid1(VALU_DEP_3)
	v_add_f16_e32 v31, v21, v20
	v_lshlrev_b64 v[20:21], 1, v[28:29]
	v_add_co_u32 v69, vcc_lo, s1, v50
	s_delay_alu instid0(VALU_DEP_4) | instskip(NEXT) | instid1(VALU_DEP_2)
	v_add_co_ci_u32_e32 v74, vcc_lo, s6, v51, vcc_lo
	v_add_co_u32 v50, vcc_lo, v69, v16
	s_delay_alu instid0(VALU_DEP_2)
	v_add_co_ci_u32_e32 v51, vcc_lo, v74, v17, vcc_lo
	s_and_not1_b32 vcc_lo, exec_lo, s9
	global_store_b16 v[50:51], v31, off
	s_cbranch_vccnz .LBB232_16
; %bb.15:
	v_add_co_u32 v28, vcc_lo, v70, v20
	v_add_co_ci_u32_e32 v29, vcc_lo, v71, v21, vcc_lo
	flat_load_u16 v28, v[28:29]
	s_waitcnt vmcnt(0) lgkmcnt(0)
	v_mul_f16_e32 v30, s15, v28
.LBB232_16:
	v_pk_max_f16 v28, v12, v12
	v_pk_max_f16 v29, v13, v13
	v_add_co_u32 v75, vcc_lo, v69, v20
	v_add_co_ci_u32_e32 v76, vcc_lo, v74, v21, vcc_lo
	s_delay_alu instid0(VALU_DEP_4) | instskip(NEXT) | instid1(VALU_DEP_4)
	v_pk_min_f16 v12, v28, v73
	v_pk_min_f16 v13, v29, v72
	s_and_b32 vcc_lo, exec_lo, s0
	v_mov_b32_e32 v51, 0
	s_delay_alu instid0(VALU_DEP_3) | instskip(NEXT) | instid1(VALU_DEP_1)
	v_pk_add_f16 v12, v12, v68
	v_pk_add_f16 v31, v13, v12
	v_add_nc_u32_e32 v12, 16, v22
	s_delay_alu instid0(VALU_DEP_2) | instskip(NEXT) | instid1(VALU_DEP_2)
	v_lshrrev_b32_e32 v48, 16, v31
	v_ashrrev_i32_e32 v13, 31, v12
	s_delay_alu instid0(VALU_DEP_2) | instskip(NEXT) | instid1(VALU_DEP_2)
	v_add_f16_e32 v31, v31, v48
	v_lshlrev_b64 v[12:13], 1, v[12:13]
	v_mov_b32_e32 v48, 0
	s_delay_alu instid0(VALU_DEP_3)
	v_add_f16_e32 v30, v31, v30
	global_store_b16 v[75:76], v30, off
	s_cbranch_vccnz .LBB232_18
; %bb.17:
	v_add_co_u32 v30, vcc_lo, v70, v12
	v_add_co_ci_u32_e32 v31, vcc_lo, v71, v13, vcc_lo
	flat_load_u16 v30, v[30:31]
	s_waitcnt vmcnt(0) lgkmcnt(0)
	v_mul_f16_e32 v48, s15, v30
.LBB232_18:
	v_pk_max_f16 v30, v14, v14
	v_pk_max_f16 v31, v15, v15
	s_delay_alu instid0(VALU_DEP_2) | instskip(NEXT) | instid1(VALU_DEP_2)
	v_pk_min_f16 v14, v30, v73
	v_pk_min_f16 v15, v31, v72
	s_delay_alu instid0(VALU_DEP_2) | instskip(SKIP_2) | instid1(VALU_DEP_3)
	v_pk_add_f16 v14, v14, v67
	v_add_co_u32 v67, vcc_lo, v69, v12
	v_add_co_ci_u32_e32 v68, vcc_lo, v74, v13, vcc_lo
	v_pk_add_f16 v50, v15, v14
	v_add_nc_u32_e32 v14, 24, v22
	s_and_b32 vcc_lo, exec_lo, s0
	s_delay_alu instid0(VALU_DEP_2) | instskip(NEXT) | instid1(VALU_DEP_2)
	v_lshrrev_b32_e32 v53, 16, v50
	v_ashrrev_i32_e32 v15, 31, v14
	s_delay_alu instid0(VALU_DEP_2) | instskip(NEXT) | instid1(VALU_DEP_2)
	v_add_f16_e32 v50, v50, v53
	v_lshlrev_b64 v[14:15], 1, v[14:15]
	s_delay_alu instid0(VALU_DEP_2)
	v_add_f16_e32 v48, v50, v48
	global_store_b16 v[67:68], v48, off
	s_cbranch_vccnz .LBB232_20
; %bb.19:
	v_add_co_u32 v50, vcc_lo, v70, v14
	v_add_co_ci_u32_e32 v51, vcc_lo, v71, v15, vcc_lo
	flat_load_u16 v48, v[50:51]
	s_waitcnt vmcnt(0) lgkmcnt(0)
	v_mul_f16_e32 v51, s15, v48
.LBB232_20:
	v_pk_max_f16 v48, v8, v8
	v_pk_max_f16 v50, v9, v9
	v_add_co_u32 v75, vcc_lo, v69, v14
	v_add_co_ci_u32_e32 v76, vcc_lo, v74, v15, vcc_lo
	s_delay_alu instid0(VALU_DEP_4) | instskip(NEXT) | instid1(VALU_DEP_4)
	v_pk_min_f16 v8, v48, v73
	v_pk_min_f16 v9, v50, v72
	s_and_b32 vcc_lo, exec_lo, s0
	v_mov_b32_e32 v67, 0
	s_delay_alu instid0(VALU_DEP_3) | instskip(NEXT) | instid1(VALU_DEP_1)
	v_pk_add_f16 v8, v8, v66
	v_pk_add_f16 v53, v9, v8
	v_add_nc_u32_e32 v8, 32, v22
	s_delay_alu instid0(VALU_DEP_2) | instskip(NEXT) | instid1(VALU_DEP_2)
	v_lshrrev_b32_e32 v58, 16, v53
	v_ashrrev_i32_e32 v9, 31, v8
	s_delay_alu instid0(VALU_DEP_2) | instskip(NEXT) | instid1(VALU_DEP_2)
	v_add_f16_e32 v53, v53, v58
	v_lshlrev_b64 v[8:9], 1, v[8:9]
	v_mov_b32_e32 v58, 0
	s_delay_alu instid0(VALU_DEP_3)
	v_add_f16_e32 v51, v53, v51
	global_store_b16 v[75:76], v51, off
	s_cbranch_vccnz .LBB232_22
; %bb.21:
	v_add_co_u32 v75, vcc_lo, v70, v8
	v_add_co_ci_u32_e32 v76, vcc_lo, v71, v9, vcc_lo
	flat_load_u16 v51, v[75:76]
	s_waitcnt vmcnt(0) lgkmcnt(0)
	v_mul_f16_e32 v58, s15, v51
.LBB232_22:
	v_pk_max_f16 v51, v10, v10
	v_pk_max_f16 v53, v11, v11
	s_delay_alu instid0(VALU_DEP_2) | instskip(NEXT) | instid1(VALU_DEP_2)
	v_pk_min_f16 v10, v51, v73
	v_pk_min_f16 v11, v53, v72
	s_delay_alu instid0(VALU_DEP_2) | instskip(NEXT) | instid1(VALU_DEP_1)
	v_pk_add_f16 v10, v10, v65
	v_pk_add_f16 v61, v11, v10
	v_add_nc_u32_e32 v10, 40, v22
	s_delay_alu instid0(VALU_DEP_2) | instskip(NEXT) | instid1(VALU_DEP_2)
	v_lshrrev_b32_e32 v65, 16, v61
	v_ashrrev_i32_e32 v11, 31, v10
	s_delay_alu instid0(VALU_DEP_2) | instskip(SKIP_1) | instid1(VALU_DEP_3)
	v_add_f16_e32 v61, v61, v65
	v_add_co_u32 v65, vcc_lo, v69, v8
	v_lshlrev_b64 v[10:11], 1, v[10:11]
	v_add_co_ci_u32_e32 v66, vcc_lo, v74, v9, vcc_lo
	s_delay_alu instid0(VALU_DEP_4)
	v_add_f16_e32 v58, v61, v58
	s_and_b32 vcc_lo, exec_lo, s0
	global_store_b16 v[65:66], v58, off
	s_cbranch_vccnz .LBB232_24
; %bb.23:
	v_add_co_u32 v65, vcc_lo, v70, v10
	v_add_co_ci_u32_e32 v66, vcc_lo, v71, v11, vcc_lo
	flat_load_u16 v58, v[65:66]
	s_waitcnt vmcnt(0) lgkmcnt(0)
	v_mul_f16_e32 v67, s15, v58
.LBB232_24:
	v_pk_max_f16 v58, v4, v4
	v_pk_max_f16 v61, v5, v5
	v_mov_b32_e32 v66, 0
	s_delay_alu instid0(VALU_DEP_3) | instskip(NEXT) | instid1(VALU_DEP_3)
	v_pk_min_f16 v4, v58, v73
	v_pk_min_f16 v5, v61, v72
	s_delay_alu instid0(VALU_DEP_2) | instskip(NEXT) | instid1(VALU_DEP_1)
	v_pk_add_f16 v4, v4, v64
	v_pk_add_f16 v64, v5, v4
	v_add_nc_u32_e32 v4, 48, v22
	s_delay_alu instid0(VALU_DEP_2) | instskip(NEXT) | instid1(VALU_DEP_1)
	v_lshrrev_b32_e32 v65, 16, v64
	v_add_f16_e32 v68, v64, v65
	v_add_co_u32 v64, vcc_lo, v69, v10
	v_add_co_ci_u32_e32 v65, vcc_lo, v74, v11, vcc_lo
	s_delay_alu instid0(VALU_DEP_3)
	v_add_f16_e32 v68, v68, v67
	v_mov_b32_e32 v67, 0
	v_ashrrev_i32_e32 v5, 31, v4
	s_and_b32 vcc_lo, exec_lo, s0
	global_store_b16 v[64:65], v68, off
	v_lshlrev_b64 v[4:5], 1, v[4:5]
	s_cbranch_vccnz .LBB232_26
; %bb.25:
	s_delay_alu instid0(VALU_DEP_1) | instskip(NEXT) | instid1(VALU_DEP_2)
	v_add_co_u32 v64, vcc_lo, v70, v4
	v_add_co_ci_u32_e32 v65, vcc_lo, v71, v5, vcc_lo
	flat_load_u16 v64, v[64:65]
	s_waitcnt vmcnt(0) lgkmcnt(0)
	v_mul_f16_e32 v67, s15, v64
.LBB232_26:
	v_pk_max_f16 v64, v6, v6
	v_pk_max_f16 v65, v7, v7
	s_delay_alu instid0(VALU_DEP_3) | instskip(NEXT) | instid1(VALU_DEP_4)
	v_add_co_u32 v75, vcc_lo, v69, v4
	v_add_co_ci_u32_e32 v76, vcc_lo, v74, v5, vcc_lo
	s_delay_alu instid0(VALU_DEP_4) | instskip(NEXT) | instid1(VALU_DEP_4)
	v_pk_min_f16 v6, v64, v73
	v_pk_min_f16 v7, v65, v72
	s_and_b32 vcc_lo, exec_lo, s0
	s_delay_alu instid0(VALU_DEP_2) | instskip(NEXT) | instid1(VALU_DEP_1)
	v_pk_add_f16 v6, v6, v63
	v_pk_add_f16 v63, v7, v6
	v_add_nc_u32_e32 v6, 56, v22
	s_delay_alu instid0(VALU_DEP_2) | instskip(NEXT) | instid1(VALU_DEP_2)
	v_lshrrev_b32_e32 v22, 16, v63
	v_ashrrev_i32_e32 v7, 31, v6
	s_delay_alu instid0(VALU_DEP_2) | instskip(NEXT) | instid1(VALU_DEP_2)
	v_add_f16_e32 v22, v63, v22
	v_lshlrev_b64 v[6:7], 1, v[6:7]
	s_delay_alu instid0(VALU_DEP_2)
	v_add_f16_e32 v22, v22, v67
	global_store_b16 v[75:76], v22, off
	s_cbranch_vccnz .LBB232_28
; %bb.27:
	v_add_co_u32 v66, vcc_lo, v70, v6
	v_add_co_ci_u32_e32 v67, vcc_lo, v71, v7, vcc_lo
	flat_load_u16 v22, v[66:67]
	s_waitcnt vmcnt(0) lgkmcnt(0)
	v_mul_f16_e32 v66, s15, v22
.LBB232_28:
	v_pk_max_f16 v22, v23, v23
	v_pk_max_f16 v23, v24, v24
	v_add_nc_u32_e32 v67, 32, v25
	v_add_co_u32 v69, vcc_lo, v69, v6
	s_delay_alu instid0(VALU_DEP_4) | instskip(NEXT) | instid1(VALU_DEP_4)
	v_pk_min_f16 v24, v22, v73
	v_pk_min_f16 v68, v23, v72
	v_add_co_ci_u32_e32 v70, vcc_lo, v74, v7, vcc_lo
	s_delay_alu instid0(VALU_DEP_3) | instskip(SKIP_1) | instid1(VALU_DEP_2)
	v_pk_add_f16 v24, v24, v62
	v_mad_i64_i32 v[62:63], null, v67, s8, 0
	v_pk_add_f16 v24, v68, v24
	s_delay_alu instid0(VALU_DEP_2) | instskip(NEXT) | instid1(VALU_DEP_2)
	v_lshlrev_b64 v[62:63], 1, v[62:63]
	v_lshrrev_b32_e32 v68, 16, v24
	s_delay_alu instid0(VALU_DEP_1) | instskip(NEXT) | instid1(VALU_DEP_3)
	v_add_f16_e32 v68, v24, v68
	v_add_co_u32 v24, vcc_lo, s4, v62
	s_delay_alu instid0(VALU_DEP_4) | instskip(NEXT) | instid1(VALU_DEP_3)
	v_add_co_ci_u32_e32 v62, vcc_lo, s5, v63, vcc_lo
	v_add_f16_e32 v63, v68, v66
	v_mov_b32_e32 v66, 0
	v_mov_b32_e32 v68, 0
	s_and_b32 vcc_lo, exec_lo, s0
	global_store_b16 v[69:70], v63, off
	s_cbranch_vccnz .LBB232_30
; %bb.29:
	v_add_co_u32 v68, vcc_lo, v24, v16
	v_add_co_ci_u32_e32 v69, vcc_lo, v62, v17, vcc_lo
	flat_load_u16 v63, v[68:69]
	s_waitcnt vmcnt(0) lgkmcnt(0)
	v_mul_f16_e32 v68, s15, v63
.LBB232_30:
	v_pk_max_f16 v63, v0, v0
	v_pk_max_f16 v0, v1, v1
	v_mad_i64_i32 v[69:70], null, v67, s3, 0
	s_delay_alu instid0(VALU_DEP_3) | instskip(NEXT) | instid1(VALU_DEP_3)
	v_pk_min_f16 v1, v26, v63
	v_pk_min_f16 v71, v27, v0
	s_delay_alu instid0(VALU_DEP_3) | instskip(NEXT) | instid1(VALU_DEP_3)
	v_lshlrev_b64 v[69:70], 1, v[69:70]
	v_pk_add_f16 v1, v1, v60
	s_delay_alu instid0(VALU_DEP_1) | instskip(NEXT) | instid1(VALU_DEP_1)
	v_pk_add_f16 v1, v71, v1
	v_lshrrev_b32_e32 v60, 16, v1
	s_delay_alu instid0(VALU_DEP_1) | instskip(SKIP_2) | instid1(VALU_DEP_3)
	v_add_f16_e32 v67, v1, v60
	v_add_co_u32 v1, vcc_lo, s1, v69
	v_add_co_ci_u32_e32 v60, vcc_lo, s6, v70, vcc_lo
	v_add_f16_e32 v69, v67, v68
	s_delay_alu instid0(VALU_DEP_3) | instskip(NEXT) | instid1(VALU_DEP_3)
	v_add_co_u32 v67, vcc_lo, v1, v16
	v_add_co_ci_u32_e32 v68, vcc_lo, v60, v17, vcc_lo
	s_and_b32 vcc_lo, exec_lo, s0
	global_store_b16 v[67:68], v69, off
	s_cbranch_vccnz .LBB232_32
; %bb.31:
	v_add_co_u32 v66, vcc_lo, v24, v20
	v_add_co_ci_u32_e32 v67, vcc_lo, v62, v21, vcc_lo
	flat_load_u16 v66, v[66:67]
	s_waitcnt vmcnt(0) lgkmcnt(0)
	v_mul_f16_e32 v66, s15, v66
.LBB232_32:
	v_pk_min_f16 v67, v28, v63
	v_pk_min_f16 v68, v29, v0
	s_delay_alu instid0(VALU_DEP_2) | instskip(NEXT) | instid1(VALU_DEP_1)
	v_pk_add_f16 v59, v67, v59
	v_pk_add_f16 v59, v68, v59
	s_delay_alu instid0(VALU_DEP_1) | instskip(NEXT) | instid1(VALU_DEP_1)
	v_lshrrev_b32_e32 v67, 16, v59
	v_add_f16_e32 v59, v59, v67
	v_add_co_u32 v67, vcc_lo, v1, v20
	v_add_co_ci_u32_e32 v68, vcc_lo, v60, v21, vcc_lo
	s_delay_alu instid0(VALU_DEP_3)
	v_add_f16_e32 v69, v59, v66
	v_dual_mov_b32 v59, 0 :: v_dual_mov_b32 v66, 0
	s_and_b32 vcc_lo, exec_lo, s0
	global_store_b16 v[67:68], v69, off
	s_cbranch_vccnz .LBB232_34
; %bb.33:
	v_add_co_u32 v66, vcc_lo, v24, v12
	v_add_co_ci_u32_e32 v67, vcc_lo, v62, v13, vcc_lo
	flat_load_u16 v66, v[66:67]
	s_waitcnt vmcnt(0) lgkmcnt(0)
	v_mul_f16_e32 v66, s15, v66
.LBB232_34:
	v_pk_min_f16 v67, v30, v63
	v_pk_min_f16 v68, v31, v0
	s_delay_alu instid0(VALU_DEP_2) | instskip(NEXT) | instid1(VALU_DEP_1)
	v_pk_add_f16 v57, v67, v57
	v_pk_add_f16 v57, v68, v57
	s_delay_alu instid0(VALU_DEP_1) | instskip(NEXT) | instid1(VALU_DEP_1)
	v_lshrrev_b32_e32 v67, 16, v57
	v_add_f16_e32 v57, v57, v67
	s_delay_alu instid0(VALU_DEP_1)
	v_add_f16_e32 v57, v57, v66
	v_add_co_u32 v66, vcc_lo, v1, v12
	v_add_co_ci_u32_e32 v67, vcc_lo, v60, v13, vcc_lo
	s_and_b32 vcc_lo, exec_lo, s0
	global_store_b16 v[66:67], v57, off
	s_cbranch_vccnz .LBB232_36
; %bb.35:
	v_add_co_u32 v66, vcc_lo, v24, v14
	v_add_co_ci_u32_e32 v67, vcc_lo, v62, v15, vcc_lo
	flat_load_u16 v57, v[66:67]
	s_waitcnt vmcnt(0) lgkmcnt(0)
	v_mul_f16_e32 v59, s15, v57
.LBB232_36:
	v_pk_min_f16 v57, v48, v63
	v_pk_min_f16 v66, v50, v0
	s_delay_alu instid0(VALU_DEP_2) | instskip(NEXT) | instid1(VALU_DEP_1)
	v_pk_add_f16 v56, v57, v56
	v_pk_add_f16 v56, v66, v56
	v_add_co_u32 v66, vcc_lo, v1, v14
	v_add_co_ci_u32_e32 v67, vcc_lo, v60, v15, vcc_lo
	s_delay_alu instid0(VALU_DEP_3) | instskip(SKIP_1) | instid1(VALU_DEP_1)
	v_lshrrev_b32_e32 v57, 16, v56
	s_and_b32 vcc_lo, exec_lo, s0
	v_add_f16_e32 v56, v56, v57
	v_mov_b32_e32 v57, 0
	s_delay_alu instid0(VALU_DEP_2)
	v_add_f16_e32 v59, v56, v59
	v_mov_b32_e32 v56, 0
	global_store_b16 v[66:67], v59, off
	s_cbranch_vccnz .LBB232_38
; %bb.37:
	v_add_co_u32 v66, vcc_lo, v24, v8
	v_add_co_ci_u32_e32 v67, vcc_lo, v62, v9, vcc_lo
	flat_load_u16 v57, v[66:67]
	s_waitcnt vmcnt(0) lgkmcnt(0)
	v_mul_f16_e32 v57, s15, v57
.LBB232_38:
	v_pk_min_f16 v59, v51, v63
	v_pk_min_f16 v66, v53, v0
	s_delay_alu instid0(VALU_DEP_2) | instskip(NEXT) | instid1(VALU_DEP_1)
	v_pk_add_f16 v55, v59, v55
	v_pk_add_f16 v55, v66, v55
	v_add_co_u32 v66, vcc_lo, v1, v8
	v_add_co_ci_u32_e32 v67, vcc_lo, v60, v9, vcc_lo
	s_delay_alu instid0(VALU_DEP_3) | instskip(SKIP_1) | instid1(VALU_DEP_1)
	v_lshrrev_b32_e32 v59, 16, v55
	s_and_b32 vcc_lo, exec_lo, s0
	v_add_f16_e32 v55, v55, v59
	s_delay_alu instid0(VALU_DEP_1)
	v_add_f16_e32 v55, v55, v57
	global_store_b16 v[66:67], v55, off
	s_cbranch_vccnz .LBB232_40
; %bb.39:
	v_add_co_u32 v55, vcc_lo, v24, v10
	v_add_co_ci_u32_e32 v56, vcc_lo, v62, v11, vcc_lo
	flat_load_u16 v55, v[55:56]
	s_waitcnt vmcnt(0) lgkmcnt(0)
	v_mul_f16_e32 v56, s15, v55
.LBB232_40:
	v_pk_min_f16 v55, v58, v63
	v_pk_min_f16 v57, v61, v0
	v_add_co_u32 v66, vcc_lo, v1, v10
	v_add_co_ci_u32_e32 v67, vcc_lo, v60, v11, vcc_lo
	s_delay_alu instid0(VALU_DEP_4) | instskip(SKIP_1) | instid1(VALU_DEP_1)
	v_pk_add_f16 v54, v55, v54
	s_and_b32 vcc_lo, exec_lo, s0
	v_pk_add_f16 v54, v57, v54
	s_delay_alu instid0(VALU_DEP_1) | instskip(NEXT) | instid1(VALU_DEP_1)
	v_lshrrev_b32_e32 v55, 16, v54
	v_add_f16_e32 v54, v54, v55
	v_mov_b32_e32 v55, 0
	s_delay_alu instid0(VALU_DEP_2)
	v_add_f16_e32 v56, v54, v56
	v_mov_b32_e32 v54, 0
	global_store_b16 v[66:67], v56, off
	s_cbranch_vccnz .LBB232_42
; %bb.41:
	v_add_co_u32 v55, vcc_lo, v24, v4
	v_add_co_ci_u32_e32 v56, vcc_lo, v62, v5, vcc_lo
	flat_load_u16 v55, v[55:56]
	s_waitcnt vmcnt(0) lgkmcnt(0)
	v_mul_f16_e32 v55, s15, v55
.LBB232_42:
	v_pk_min_f16 v56, v64, v63
	v_pk_min_f16 v57, v65, v0
	s_delay_alu instid0(VALU_DEP_2) | instskip(NEXT) | instid1(VALU_DEP_1)
	v_pk_add_f16 v52, v56, v52
	v_pk_add_f16 v52, v57, v52
	s_delay_alu instid0(VALU_DEP_1) | instskip(NEXT) | instid1(VALU_DEP_1)
	v_lshrrev_b32_e32 v56, 16, v52
	v_add_f16_e32 v52, v52, v56
	s_delay_alu instid0(VALU_DEP_1)
	v_add_f16_e32 v52, v52, v55
	v_add_co_u32 v55, vcc_lo, v1, v4
	v_add_co_ci_u32_e32 v56, vcc_lo, v60, v5, vcc_lo
	s_and_b32 vcc_lo, exec_lo, s0
	global_store_b16 v[55:56], v52, off
	s_cbranch_vccnz .LBB232_44
; %bb.43:
	v_add_co_u32 v54, vcc_lo, v24, v6
	v_add_co_ci_u32_e32 v55, vcc_lo, v62, v7, vcc_lo
	flat_load_u16 v24, v[54:55]
	s_waitcnt vmcnt(0) lgkmcnt(0)
	v_mul_f16_e32 v54, s15, v24
.LBB232_44:
	v_pk_min_f16 v24, v22, v63
	v_dual_mov_b32 v52, 0 :: v_dual_add_nc_u32 v55, 64, v25
	v_pk_min_f16 v0, v23, v0
	v_add_co_u32 v59, vcc_lo, v1, v6
	s_delay_alu instid0(VALU_DEP_4) | instskip(NEXT) | instid1(VALU_DEP_4)
	v_pk_add_f16 v24, v24, v49
	v_mad_i64_i32 v[56:57], null, v55, s8, 0
	v_add_co_ci_u32_e32 v60, vcc_lo, v60, v7, vcc_lo
	s_delay_alu instid0(VALU_DEP_3) | instskip(NEXT) | instid1(VALU_DEP_3)
	v_pk_add_f16 v0, v0, v24
	v_lshlrev_b64 v[56:57], 1, v[56:57]
	s_delay_alu instid0(VALU_DEP_2) | instskip(NEXT) | instid1(VALU_DEP_2)
	v_lshrrev_b32_e32 v24, 16, v0
	v_add_co_u32 v1, vcc_lo, s4, v56
	s_delay_alu instid0(VALU_DEP_2) | instskip(NEXT) | instid1(VALU_DEP_4)
	v_add_f16_e32 v0, v0, v24
	v_add_co_ci_u32_e32 v24, vcc_lo, s5, v57, vcc_lo
	s_and_b32 vcc_lo, exec_lo, s0
	s_delay_alu instid0(VALU_DEP_2)
	v_add_f16_e32 v0, v0, v54
	v_mov_b32_e32 v54, 0
	global_store_b16 v[59:60], v0, off
	s_cbranch_vccnz .LBB232_46
; %bb.45:
	v_add_co_u32 v56, vcc_lo, v1, v16
	v_add_co_ci_u32_e32 v57, vcc_lo, v24, v17, vcc_lo
	flat_load_u16 v0, v[56:57]
	s_waitcnt vmcnt(0) lgkmcnt(0)
	v_mul_f16_e32 v54, s15, v0
.LBB232_46:
	v_pk_max_f16 v49, v2, v2
	v_pk_max_f16 v0, v3, v3
	s_delay_alu instid0(VALU_DEP_2) | instskip(NEXT) | instid1(VALU_DEP_2)
	v_pk_min_f16 v2, v26, v49
	v_pk_min_f16 v56, v27, v0
	s_delay_alu instid0(VALU_DEP_2) | instskip(SKIP_1) | instid1(VALU_DEP_2)
	v_pk_add_f16 v47, v2, v47
	v_mad_i64_i32 v[2:3], null, v55, s3, 0
	v_pk_add_f16 v47, v56, v47
	s_delay_alu instid0(VALU_DEP_2) | instskip(NEXT) | instid1(VALU_DEP_2)
	v_lshlrev_b64 v[2:3], 1, v[2:3]
	v_lshrrev_b32_e32 v55, 16, v47
	s_delay_alu instid0(VALU_DEP_2) | instskip(NEXT) | instid1(VALU_DEP_2)
	v_add_co_u32 v2, vcc_lo, s1, v2
	v_add_f16_e32 v47, v47, v55
	s_delay_alu instid0(VALU_DEP_4) | instskip(NEXT) | instid1(VALU_DEP_2)
	v_add_co_ci_u32_e32 v3, vcc_lo, s6, v3, vcc_lo
	v_add_f16_e32 v47, v47, v54
	s_delay_alu instid0(VALU_DEP_4) | instskip(NEXT) | instid1(VALU_DEP_3)
	v_add_co_u32 v54, vcc_lo, v2, v16
	v_add_co_ci_u32_e32 v55, vcc_lo, v3, v17, vcc_lo
	s_and_b32 vcc_lo, exec_lo, s0
	global_store_b16 v[54:55], v47, off
	s_cbranch_vccnz .LBB232_48
; %bb.47:
	v_add_co_u32 v54, vcc_lo, v1, v20
	v_add_co_ci_u32_e32 v55, vcc_lo, v24, v21, vcc_lo
	flat_load_u16 v47, v[54:55]
	s_waitcnt vmcnt(0) lgkmcnt(0)
	v_mul_f16_e32 v52, s15, v47
.LBB232_48:
	v_pk_min_f16 v47, v28, v49
	v_pk_min_f16 v54, v29, v0
	s_delay_alu instid0(VALU_DEP_2) | instskip(NEXT) | instid1(VALU_DEP_1)
	v_pk_add_f16 v46, v47, v46
	v_pk_add_f16 v46, v54, v46
	v_add_co_u32 v54, vcc_lo, v2, v20
	v_add_co_ci_u32_e32 v55, vcc_lo, v3, v21, vcc_lo
	s_delay_alu instid0(VALU_DEP_3) | instskip(SKIP_1) | instid1(VALU_DEP_1)
	v_lshrrev_b32_e32 v47, 16, v46
	s_and_b32 vcc_lo, exec_lo, s0
	v_add_f16_e32 v46, v46, v47
	v_mov_b32_e32 v47, 0
	s_delay_alu instid0(VALU_DEP_2)
	v_add_f16_e32 v52, v46, v52
	v_mov_b32_e32 v46, 0
	global_store_b16 v[54:55], v52, off
	s_cbranch_vccnz .LBB232_50
; %bb.49:
	v_add_co_u32 v54, vcc_lo, v1, v12
	v_add_co_ci_u32_e32 v55, vcc_lo, v24, v13, vcc_lo
	flat_load_u16 v47, v[54:55]
	s_waitcnt vmcnt(0) lgkmcnt(0)
	v_mul_f16_e32 v47, s15, v47
.LBB232_50:
	v_pk_min_f16 v52, v30, v49
	v_pk_min_f16 v54, v31, v0
	s_delay_alu instid0(VALU_DEP_2) | instskip(NEXT) | instid1(VALU_DEP_1)
	v_pk_add_f16 v45, v52, v45
	v_pk_add_f16 v45, v54, v45
	v_add_co_u32 v54, vcc_lo, v2, v12
	v_add_co_ci_u32_e32 v55, vcc_lo, v3, v13, vcc_lo
	s_delay_alu instid0(VALU_DEP_3) | instskip(SKIP_1) | instid1(VALU_DEP_1)
	v_lshrrev_b32_e32 v52, 16, v45
	s_and_b32 vcc_lo, exec_lo, s0
	v_add_f16_e32 v45, v45, v52
	s_delay_alu instid0(VALU_DEP_1)
	v_add_f16_e32 v45, v45, v47
	global_store_b16 v[54:55], v45, off
	s_cbranch_vccnz .LBB232_52
; %bb.51:
	v_add_co_u32 v45, vcc_lo, v1, v14
	v_add_co_ci_u32_e32 v46, vcc_lo, v24, v15, vcc_lo
	flat_load_u16 v45, v[45:46]
	s_waitcnt vmcnt(0) lgkmcnt(0)
	v_mul_f16_e32 v46, s15, v45
.LBB232_52:
	v_pk_min_f16 v45, v48, v49
	v_pk_min_f16 v47, v50, v0
	v_add_co_u32 v54, vcc_lo, v2, v14
	v_add_co_ci_u32_e32 v55, vcc_lo, v3, v15, vcc_lo
	s_delay_alu instid0(VALU_DEP_4) | instskip(SKIP_1) | instid1(VALU_DEP_1)
	v_pk_add_f16 v44, v45, v44
	s_and_b32 vcc_lo, exec_lo, s0
	v_pk_add_f16 v44, v47, v44
	s_delay_alu instid0(VALU_DEP_1) | instskip(NEXT) | instid1(VALU_DEP_1)
	v_lshrrev_b32_e32 v45, 16, v44
	v_add_f16_e32 v44, v44, v45
	v_mov_b32_e32 v45, 0
	s_delay_alu instid0(VALU_DEP_2)
	v_add_f16_e32 v46, v44, v46
	v_mov_b32_e32 v44, 0
	global_store_b16 v[54:55], v46, off
	s_cbranch_vccnz .LBB232_54
; %bb.53:
	v_add_co_u32 v45, vcc_lo, v1, v8
	v_add_co_ci_u32_e32 v46, vcc_lo, v24, v9, vcc_lo
	flat_load_u16 v45, v[45:46]
	s_waitcnt vmcnt(0) lgkmcnt(0)
	v_mul_f16_e32 v45, s15, v45
.LBB232_54:
	v_pk_min_f16 v46, v51, v49
	v_pk_min_f16 v47, v53, v0
	s_delay_alu instid0(VALU_DEP_2) | instskip(NEXT) | instid1(VALU_DEP_1)
	v_pk_add_f16 v43, v46, v43
	v_pk_add_f16 v43, v47, v43
	s_delay_alu instid0(VALU_DEP_1) | instskip(NEXT) | instid1(VALU_DEP_1)
	v_lshrrev_b32_e32 v46, 16, v43
	v_add_f16_e32 v43, v43, v46
	s_delay_alu instid0(VALU_DEP_1)
	v_add_f16_e32 v43, v43, v45
	v_add_co_u32 v45, vcc_lo, v2, v8
	v_add_co_ci_u32_e32 v46, vcc_lo, v3, v9, vcc_lo
	s_and_b32 vcc_lo, exec_lo, s0
	global_store_b16 v[45:46], v43, off
	s_cbranch_vccnz .LBB232_56
; %bb.55:
	v_add_co_u32 v43, vcc_lo, v1, v10
	v_add_co_ci_u32_e32 v44, vcc_lo, v24, v11, vcc_lo
	flat_load_u16 v43, v[43:44]
	s_waitcnt vmcnt(0) lgkmcnt(0)
	v_mul_f16_e32 v44, s15, v43
.LBB232_56:
	v_pk_min_f16 v43, v58, v49
	v_pk_min_f16 v45, v61, v0
	s_delay_alu instid0(VALU_DEP_2) | instskip(NEXT) | instid1(VALU_DEP_1)
	v_pk_add_f16 v42, v43, v42
	v_pk_add_f16 v42, v45, v42
	v_add_co_u32 v45, vcc_lo, v2, v10
	v_add_co_ci_u32_e32 v46, vcc_lo, v3, v11, vcc_lo
	s_delay_alu instid0(VALU_DEP_3) | instskip(SKIP_1) | instid1(VALU_DEP_1)
	v_lshrrev_b32_e32 v43, 16, v42
	s_and_b32 vcc_lo, exec_lo, s0
	v_add_f16_e32 v42, v42, v43
	v_mov_b32_e32 v43, 0
	s_delay_alu instid0(VALU_DEP_2)
	v_add_f16_e32 v44, v42, v44
	v_mov_b32_e32 v42, 0
	global_store_b16 v[45:46], v44, off
	s_cbranch_vccnz .LBB232_58
; %bb.57:
	v_add_co_u32 v43, vcc_lo, v1, v4
	v_add_co_ci_u32_e32 v44, vcc_lo, v24, v5, vcc_lo
	flat_load_u16 v43, v[43:44]
	s_waitcnt vmcnt(0) lgkmcnt(0)
	v_mul_f16_e32 v43, s15, v43
.LBB232_58:
	v_pk_min_f16 v44, v64, v49
	v_pk_min_f16 v45, v65, v0
	s_delay_alu instid0(VALU_DEP_2) | instskip(NEXT) | instid1(VALU_DEP_1)
	v_pk_add_f16 v41, v44, v41
	v_pk_add_f16 v41, v45, v41
	s_delay_alu instid0(VALU_DEP_1) | instskip(NEXT) | instid1(VALU_DEP_1)
	v_lshrrev_b32_e32 v44, 16, v41
	v_add_f16_e32 v41, v41, v44
	s_delay_alu instid0(VALU_DEP_1)
	v_add_f16_e32 v41, v41, v43
	v_add_co_u32 v43, vcc_lo, v2, v4
	v_add_co_ci_u32_e32 v44, vcc_lo, v3, v5, vcc_lo
	s_and_b32 vcc_lo, exec_lo, s0
	global_store_b16 v[43:44], v41, off
	s_cbranch_vccnz .LBB232_60
; %bb.59:
	v_add_co_u32 v41, vcc_lo, v1, v6
	v_add_co_ci_u32_e32 v42, vcc_lo, v24, v7, vcc_lo
	flat_load_u16 v1, v[41:42]
	s_waitcnt vmcnt(0) lgkmcnt(0)
	v_mul_f16_e32 v42, s15, v1
.LBB232_60:
	v_pk_min_f16 v1, v22, v49
	v_pk_min_f16 v24, v23, v0
	v_add_nc_u32_e32 v25, 0x60, v25
	v_add_co_u32 v2, vcc_lo, v2, v6
	s_delay_alu instid0(VALU_DEP_4) | instskip(SKIP_1) | instid1(VALU_DEP_2)
	v_pk_add_f16 v40, v1, v40
	v_add_co_ci_u32_e32 v3, vcc_lo, v3, v7, vcc_lo
	v_pk_add_f16 v24, v24, v40
	s_delay_alu instid0(VALU_DEP_1) | instskip(NEXT) | instid1(VALU_DEP_1)
	v_lshrrev_b32_e32 v40, 16, v24
	v_add_f16_e32 v24, v24, v40
	v_mov_b32_e32 v40, 0
	s_delay_alu instid0(VALU_DEP_2) | instskip(SKIP_4) | instid1(VALU_DEP_1)
	v_add_f16_e32 v41, v24, v42
	v_mov_b32_e32 v24, 0
	v_mad_i64_i32 v[0:1], null, v25, s8, 0
	global_store_b16 v[2:3], v41, off
	v_lshlrev_b64 v[0:1], 1, v[0:1]
	v_add_co_u32 v0, vcc_lo, s4, v0
	s_delay_alu instid0(VALU_DEP_2)
	v_add_co_ci_u32_e32 v1, vcc_lo, s5, v1, vcc_lo
	s_and_b32 vcc_lo, exec_lo, s0
	s_cbranch_vccnz .LBB232_62
; %bb.61:
	s_delay_alu instid0(VALU_DEP_2) | instskip(NEXT) | instid1(VALU_DEP_2)
	v_add_co_u32 v2, vcc_lo, v0, v16
	v_add_co_ci_u32_e32 v3, vcc_lo, v1, v17, vcc_lo
	flat_load_u16 v2, v[2:3]
	s_waitcnt vmcnt(0) lgkmcnt(0)
	v_mul_f16_e32 v40, s15, v2
.LBB232_62:
	v_pk_max_f16 v2, v18, v18
	v_pk_max_f16 v3, v19, v19
	s_delay_alu instid0(VALU_DEP_2) | instskip(NEXT) | instid1(VALU_DEP_2)
	v_pk_min_f16 v18, v26, v2
	v_pk_min_f16 v26, v27, v3
	s_delay_alu instid0(VALU_DEP_2) | instskip(SKIP_1) | instid1(VALU_DEP_2)
	v_pk_add_f16 v27, v18, v39
	v_mad_i64_i32 v[18:19], null, v25, s3, 0
	v_pk_add_f16 v25, v26, v27
	s_delay_alu instid0(VALU_DEP_2) | instskip(NEXT) | instid1(VALU_DEP_2)
	v_lshlrev_b64 v[18:19], 1, v[18:19]
	v_lshrrev_b32_e32 v26, 16, v25
	s_delay_alu instid0(VALU_DEP_2) | instskip(NEXT) | instid1(VALU_DEP_2)
	v_add_co_u32 v18, vcc_lo, s1, v18
	v_add_f16_e32 v25, v25, v26
	s_delay_alu instid0(VALU_DEP_4) | instskip(NEXT) | instid1(VALU_DEP_3)
	v_add_co_ci_u32_e32 v19, vcc_lo, s6, v19, vcc_lo
	v_add_co_u32 v16, vcc_lo, v18, v16
	s_delay_alu instid0(VALU_DEP_3) | instskip(NEXT) | instid1(VALU_DEP_3)
	v_add_f16_e32 v25, v25, v40
	v_add_co_ci_u32_e32 v17, vcc_lo, v19, v17, vcc_lo
	s_and_b32 vcc_lo, exec_lo, s0
	global_store_b16 v[16:17], v25, off
	s_cbranch_vccnz .LBB232_64
; %bb.63:
	v_add_co_u32 v16, vcc_lo, v0, v20
	v_add_co_ci_u32_e32 v17, vcc_lo, v1, v21, vcc_lo
	flat_load_u16 v16, v[16:17]
	s_waitcnt vmcnt(0) lgkmcnt(0)
	v_mul_f16_e32 v24, s15, v16
.LBB232_64:
	v_pk_min_f16 v16, v28, v2
	v_pk_min_f16 v17, v29, v3
	v_add_co_u32 v20, vcc_lo, v18, v20
	v_add_co_ci_u32_e32 v21, vcc_lo, v19, v21, vcc_lo
	s_delay_alu instid0(VALU_DEP_4) | instskip(SKIP_1) | instid1(VALU_DEP_1)
	v_pk_add_f16 v16, v16, v38
	s_and_b32 vcc_lo, exec_lo, s0
	v_pk_add_f16 v16, v17, v16
	s_delay_alu instid0(VALU_DEP_1) | instskip(NEXT) | instid1(VALU_DEP_1)
	v_lshrrev_b32_e32 v17, 16, v16
	v_add_f16_e32 v16, v16, v17
	v_mov_b32_e32 v17, 0
	s_delay_alu instid0(VALU_DEP_2)
	v_add_f16_e32 v24, v16, v24
	v_mov_b32_e32 v16, 0
	global_store_b16 v[20:21], v24, off
	s_cbranch_vccnz .LBB232_66
; %bb.65:
	v_add_co_u32 v20, vcc_lo, v0, v12
	v_add_co_ci_u32_e32 v21, vcc_lo, v1, v13, vcc_lo
	flat_load_u16 v17, v[20:21]
	s_waitcnt vmcnt(0) lgkmcnt(0)
	v_mul_f16_e32 v17, s15, v17
.LBB232_66:
	v_pk_min_f16 v20, v30, v2
	v_pk_min_f16 v21, v31, v3
	v_add_co_u32 v12, vcc_lo, v18, v12
	v_add_co_ci_u32_e32 v13, vcc_lo, v19, v13, vcc_lo
	s_delay_alu instid0(VALU_DEP_4) | instskip(SKIP_1) | instid1(VALU_DEP_1)
	v_pk_add_f16 v20, v20, v37
	s_and_b32 vcc_lo, exec_lo, s0
	v_pk_add_f16 v20, v21, v20
	s_delay_alu instid0(VALU_DEP_1) | instskip(NEXT) | instid1(VALU_DEP_1)
	v_lshrrev_b32_e32 v21, 16, v20
	v_add_f16_e32 v20, v20, v21
	s_delay_alu instid0(VALU_DEP_1)
	v_add_f16_e32 v17, v20, v17
	global_store_b16 v[12:13], v17, off
	s_cbranch_vccnz .LBB232_68
; %bb.67:
	v_add_co_u32 v12, vcc_lo, v0, v14
	v_add_co_ci_u32_e32 v13, vcc_lo, v1, v15, vcc_lo
	flat_load_u16 v12, v[12:13]
	s_waitcnt vmcnt(0) lgkmcnt(0)
	v_mul_f16_e32 v16, s15, v12
.LBB232_68:
	v_pk_min_f16 v12, v48, v2
	v_pk_min_f16 v13, v50, v3
	v_add_co_u32 v14, vcc_lo, v18, v14
	v_add_co_ci_u32_e32 v15, vcc_lo, v19, v15, vcc_lo
	s_delay_alu instid0(VALU_DEP_4) | instskip(SKIP_1) | instid1(VALU_DEP_1)
	v_pk_add_f16 v12, v12, v36
	s_and_b32 vcc_lo, exec_lo, s0
	v_pk_add_f16 v12, v13, v12
	s_delay_alu instid0(VALU_DEP_1) | instskip(NEXT) | instid1(VALU_DEP_1)
	v_lshrrev_b32_e32 v13, 16, v12
	v_add_f16_e32 v12, v12, v13
	v_mov_b32_e32 v13, 0
	s_delay_alu instid0(VALU_DEP_2)
	v_add_f16_e32 v16, v12, v16
	v_mov_b32_e32 v12, 0
	global_store_b16 v[14:15], v16, off
	s_cbranch_vccnz .LBB232_70
; %bb.69:
	v_add_co_u32 v13, vcc_lo, v0, v8
	v_add_co_ci_u32_e32 v14, vcc_lo, v1, v9, vcc_lo
	flat_load_u16 v13, v[13:14]
	s_waitcnt vmcnt(0) lgkmcnt(0)
	v_mul_f16_e32 v13, s15, v13
.LBB232_70:
	v_pk_min_f16 v14, v51, v2
	v_pk_min_f16 v15, v53, v3
	v_add_co_u32 v8, vcc_lo, v18, v8
	v_add_co_ci_u32_e32 v9, vcc_lo, v19, v9, vcc_lo
	s_delay_alu instid0(VALU_DEP_4) | instskip(SKIP_1) | instid1(VALU_DEP_1)
	v_pk_add_f16 v14, v14, v35
	s_and_b32 vcc_lo, exec_lo, s0
	v_pk_add_f16 v14, v15, v14
	s_delay_alu instid0(VALU_DEP_1) | instskip(NEXT) | instid1(VALU_DEP_1)
	v_lshrrev_b32_e32 v15, 16, v14
	v_add_f16_e32 v14, v14, v15
	s_delay_alu instid0(VALU_DEP_1)
	v_add_f16_e32 v13, v14, v13
	global_store_b16 v[8:9], v13, off
	s_cbranch_vccnz .LBB232_72
; %bb.71:
	v_add_co_u32 v8, vcc_lo, v0, v10
	v_add_co_ci_u32_e32 v9, vcc_lo, v1, v11, vcc_lo
	flat_load_u16 v8, v[8:9]
	s_waitcnt vmcnt(0) lgkmcnt(0)
	v_mul_f16_e32 v12, s15, v8
.LBB232_72:
	v_pk_min_f16 v8, v58, v2
	v_pk_min_f16 v9, v61, v3
	;; [unrolled: 1-line block ×3, first 2 shown]
	s_delay_alu instid0(VALU_DEP_3) | instskip(NEXT) | instid1(VALU_DEP_2)
	v_pk_add_f16 v8, v8, v34
	v_pk_add_f16 v13, v13, v33
	s_delay_alu instid0(VALU_DEP_2) | instskip(SKIP_1) | instid1(VALU_DEP_2)
	v_pk_add_f16 v8, v9, v8
	v_pk_min_f16 v9, v65, v3
	v_lshrrev_b32_e32 v14, 16, v8
	s_delay_alu instid0(VALU_DEP_2) | instskip(SKIP_2) | instid1(VALU_DEP_4)
	v_pk_add_f16 v13, v9, v13
	v_add_co_u32 v9, vcc_lo, v18, v10
	v_add_co_ci_u32_e32 v10, vcc_lo, v19, v11, vcc_lo
	v_add_f16_e32 v8, v8, v14
	s_delay_alu instid0(VALU_DEP_4) | instskip(SKIP_1) | instid1(VALU_DEP_2)
	v_lshrrev_b32_e32 v11, 16, v13
	s_mov_b32 vcc_lo, s2
	v_add_f16_e32 v12, v8, v12
	s_delay_alu instid0(VALU_DEP_2)
	v_add_f16_e32 v8, v13, v11
	global_store_b16 v[9:10], v12, off
	s_cbranch_vccz .LBB232_75
; %bb.73:
	v_add_co_u32 v9, vcc_lo, v18, v4
	v_add_f16_e32 v11, 0, v8
	v_add_co_ci_u32_e32 v10, vcc_lo, v19, v5, vcc_lo
	s_mov_b32 s0, 0
	global_store_b16 v[9:10], v11, off
	s_cbranch_execz .LBB232_76
; %bb.74:
	v_mov_b32_e32 v0, s0
	s_branch .LBB232_77
.LBB232_75:
	s_mov_b32 s0, -1
.LBB232_76:
	v_add_co_u32 v9, vcc_lo, v0, v4
	v_add_co_ci_u32_e32 v10, vcc_lo, v1, v5, vcc_lo
	v_add_co_u32 v4, vcc_lo, v18, v4
	v_add_co_ci_u32_e32 v5, vcc_lo, v19, v5, vcc_lo
	flat_load_u16 v9, v[9:10]
	v_add_co_u32 v0, vcc_lo, v0, v6
	v_add_co_ci_u32_e32 v1, vcc_lo, v1, v7, vcc_lo
	s_waitcnt vmcnt(0) lgkmcnt(0)
	v_fmac_f16_e32 v8, s15, v9
	global_store_b16 v[4:5], v8, off
	flat_load_u16 v0, v[0:1]
	s_waitcnt vmcnt(0) lgkmcnt(0)
	v_mul_f16_e32 v0, s15, v0
.LBB232_77:
	v_pk_min_f16 v1, v22, v2
	v_pk_min_f16 v2, v23, v3
	s_delay_alu instid0(VALU_DEP_2) | instskip(NEXT) | instid1(VALU_DEP_1)
	v_pk_add_f16 v1, v1, v32
	v_pk_add_f16 v1, v2, v1
	s_delay_alu instid0(VALU_DEP_1) | instskip(NEXT) | instid1(VALU_DEP_1)
	v_lshrrev_b32_e32 v2, 16, v1
	v_add_f16_e32 v1, v1, v2
	s_delay_alu instid0(VALU_DEP_1)
	v_add_f16_e32 v2, v1, v0
	v_add_co_u32 v0, vcc_lo, v18, v6
	v_add_co_ci_u32_e32 v1, vcc_lo, v19, v7, vcc_lo
	global_store_b16 v[0:1], v2, off
	s_nop 0
	s_sendmsg sendmsg(MSG_DEALLOC_VGPRS)
	s_endpgm
	.section	.rodata,"a",@progbits
	.p2align	6, 0x0
	.amdhsa_kernel _ZN12_GLOBAL__N_120geam_min_plus_kernelIDF16_Dv2_DF16_S1_Li8ELi32ELi64ELi128ELi4ELi64ELi4ELi4ELi64ELc78ELc78ELb1ELb0ELb0EDF16_KPKDF16_KPDF16_EEviiiT16_PT17_ilS9_ilS7_S9_ilPT18_ili26rocblas_geam_ex_operation_
		.amdhsa_group_segment_fixed_size 3072
		.amdhsa_private_segment_fixed_size 0
		.amdhsa_kernarg_size 128
		.amdhsa_user_sgpr_count 14
		.amdhsa_user_sgpr_dispatch_ptr 0
		.amdhsa_user_sgpr_queue_ptr 0
		.amdhsa_user_sgpr_kernarg_segment_ptr 1
		.amdhsa_user_sgpr_dispatch_id 0
		.amdhsa_user_sgpr_private_segment_size 0
		.amdhsa_wavefront_size32 1
		.amdhsa_uses_dynamic_stack 0
		.amdhsa_enable_private_segment 0
		.amdhsa_system_sgpr_workgroup_id_x 1
		.amdhsa_system_sgpr_workgroup_id_y 0
		.amdhsa_system_sgpr_workgroup_id_z 1
		.amdhsa_system_sgpr_workgroup_info 0
		.amdhsa_system_vgpr_workitem_id 1
		.amdhsa_next_free_vgpr 122
		.amdhsa_next_free_sgpr 22
		.amdhsa_reserve_vcc 1
		.amdhsa_float_round_mode_32 0
		.amdhsa_float_round_mode_16_64 0
		.amdhsa_float_denorm_mode_32 3
		.amdhsa_float_denorm_mode_16_64 3
		.amdhsa_dx10_clamp 1
		.amdhsa_ieee_mode 1
		.amdhsa_fp16_overflow 0
		.amdhsa_workgroup_processor_mode 1
		.amdhsa_memory_ordered 1
		.amdhsa_forward_progress 0
		.amdhsa_shared_vgpr_count 0
		.amdhsa_exception_fp_ieee_invalid_op 0
		.amdhsa_exception_fp_denorm_src 0
		.amdhsa_exception_fp_ieee_div_zero 0
		.amdhsa_exception_fp_ieee_overflow 0
		.amdhsa_exception_fp_ieee_underflow 0
		.amdhsa_exception_fp_ieee_inexact 0
		.amdhsa_exception_int_div_zero 0
	.end_amdhsa_kernel
	.section	.text._ZN12_GLOBAL__N_120geam_min_plus_kernelIDF16_Dv2_DF16_S1_Li8ELi32ELi64ELi128ELi4ELi64ELi4ELi4ELi64ELc78ELc78ELb1ELb0ELb0EDF16_KPKDF16_KPDF16_EEviiiT16_PT17_ilS9_ilS7_S9_ilPT18_ili26rocblas_geam_ex_operation_,"axG",@progbits,_ZN12_GLOBAL__N_120geam_min_plus_kernelIDF16_Dv2_DF16_S1_Li8ELi32ELi64ELi128ELi4ELi64ELi4ELi4ELi64ELc78ELc78ELb1ELb0ELb0EDF16_KPKDF16_KPDF16_EEviiiT16_PT17_ilS9_ilS7_S9_ilPT18_ili26rocblas_geam_ex_operation_,comdat
.Lfunc_end232:
	.size	_ZN12_GLOBAL__N_120geam_min_plus_kernelIDF16_Dv2_DF16_S1_Li8ELi32ELi64ELi128ELi4ELi64ELi4ELi4ELi64ELc78ELc78ELb1ELb0ELb0EDF16_KPKDF16_KPDF16_EEviiiT16_PT17_ilS9_ilS7_S9_ilPT18_ili26rocblas_geam_ex_operation_, .Lfunc_end232-_ZN12_GLOBAL__N_120geam_min_plus_kernelIDF16_Dv2_DF16_S1_Li8ELi32ELi64ELi128ELi4ELi64ELi4ELi4ELi64ELc78ELc78ELb1ELb0ELb0EDF16_KPKDF16_KPDF16_EEviiiT16_PT17_ilS9_ilS7_S9_ilPT18_ili26rocblas_geam_ex_operation_
                                        ; -- End function
	.section	.AMDGPU.csdata,"",@progbits
; Kernel info:
; codeLenInByte = 9768
; NumSgprs: 24
; NumVgprs: 122
; ScratchSize: 0
; MemoryBound: 0
; FloatMode: 240
; IeeeMode: 1
; LDSByteSize: 3072 bytes/workgroup (compile time only)
; SGPRBlocks: 2
; VGPRBlocks: 15
; NumSGPRsForWavesPerEU: 24
; NumVGPRsForWavesPerEU: 122
; Occupancy: 10
; WaveLimiterHint : 1
; COMPUTE_PGM_RSRC2:SCRATCH_EN: 0
; COMPUTE_PGM_RSRC2:USER_SGPR: 14
; COMPUTE_PGM_RSRC2:TRAP_HANDLER: 0
; COMPUTE_PGM_RSRC2:TGID_X_EN: 1
; COMPUTE_PGM_RSRC2:TGID_Y_EN: 0
; COMPUTE_PGM_RSRC2:TGID_Z_EN: 1
; COMPUTE_PGM_RSRC2:TIDIG_COMP_CNT: 1
	.section	.text._ZN12_GLOBAL__N_120geam_min_plus_kernelIDF16_Dv2_DF16_S1_Li8ELi32ELi64ELi128ELi4ELi64ELi4ELi4ELi64ELc78ELc78ELb0ELb0ELb0EDF16_KPKDF16_KPDF16_EEviiiT16_PT17_ilS9_ilS7_S9_ilPT18_ili26rocblas_geam_ex_operation_,"axG",@progbits,_ZN12_GLOBAL__N_120geam_min_plus_kernelIDF16_Dv2_DF16_S1_Li8ELi32ELi64ELi128ELi4ELi64ELi4ELi4ELi64ELc78ELc78ELb0ELb0ELb0EDF16_KPKDF16_KPDF16_EEviiiT16_PT17_ilS9_ilS7_S9_ilPT18_ili26rocblas_geam_ex_operation_,comdat
	.globl	_ZN12_GLOBAL__N_120geam_min_plus_kernelIDF16_Dv2_DF16_S1_Li8ELi32ELi64ELi128ELi4ELi64ELi4ELi4ELi64ELc78ELc78ELb0ELb0ELb0EDF16_KPKDF16_KPDF16_EEviiiT16_PT17_ilS9_ilS7_S9_ilPT18_ili26rocblas_geam_ex_operation_ ; -- Begin function _ZN12_GLOBAL__N_120geam_min_plus_kernelIDF16_Dv2_DF16_S1_Li8ELi32ELi64ELi128ELi4ELi64ELi4ELi4ELi64ELc78ELc78ELb0ELb0ELb0EDF16_KPKDF16_KPDF16_EEviiiT16_PT17_ilS9_ilS7_S9_ilPT18_ili26rocblas_geam_ex_operation_
	.p2align	8
	.type	_ZN12_GLOBAL__N_120geam_min_plus_kernelIDF16_Dv2_DF16_S1_Li8ELi32ELi64ELi128ELi4ELi64ELi4ELi4ELi64ELc78ELc78ELb0ELb0ELb0EDF16_KPKDF16_KPDF16_EEviiiT16_PT17_ilS9_ilS7_S9_ilPT18_ili26rocblas_geam_ex_operation_,@function
_ZN12_GLOBAL__N_120geam_min_plus_kernelIDF16_Dv2_DF16_S1_Li8ELi32ELi64ELi128ELi4ELi64ELi4ELi4ELi64ELc78ELc78ELb0ELb0ELb0EDF16_KPKDF16_KPDF16_EEviiiT16_PT17_ilS9_ilS7_S9_ilPT18_ili26rocblas_geam_ex_operation_: ; @_ZN12_GLOBAL__N_120geam_min_plus_kernelIDF16_Dv2_DF16_S1_Li8ELi32ELi64ELi128ELi4ELi64ELi4ELi4ELi64ELc78ELc78ELb0ELb0ELb0EDF16_KPKDF16_KPDF16_EEviiiT16_PT17_ilS9_ilS7_S9_ilPT18_ili26rocblas_geam_ex_operation_
; %bb.0:
	s_clause 0x1
	s_load_b64 s[8:9], s[0:1], 0x8
	s_load_b128 s[4:7], s[0:1], 0x20
	s_mov_b32 s18, s15
	s_mov_b32 s19, 0
	s_waitcnt lgkmcnt(0)
	v_cmp_eq_f16_e64 s2, s9, 0
	s_delay_alu instid0(VALU_DEP_1)
	s_and_b32 vcc_lo, exec_lo, s2
	s_cbranch_vccnz .LBB233_3
; %bb.1:
	s_load_b64 s[10:11], s[0:1], 0x10
	s_lshl_b64 s[12:13], s[18:19], 3
	s_waitcnt lgkmcnt(0)
	s_add_u32 s10, s10, s12
	s_addc_u32 s11, s11, s13
	s_lshl_b64 s[4:5], s[4:5], 1
	s_load_b64 s[10:11], s[10:11], 0x0
	s_waitcnt lgkmcnt(0)
	s_add_u32 s10, s10, s4
	s_addc_u32 s11, s11, s5
	s_and_not1_b32 vcc_lo, exec_lo, s2
	s_cbranch_vccnz .LBB233_4
.LBB233_2:
	s_mov_b64 s[12:13], 0
	s_and_not1_b32 vcc_lo, exec_lo, s19
	s_cbranch_vccz .LBB233_5
	s_branch .LBB233_6
.LBB233_3:
	s_mov_b64 s[10:11], 0
	s_and_not1_b32 vcc_lo, exec_lo, s2
	s_cbranch_vccz .LBB233_2
.LBB233_4:
	s_mov_b32 s19, -1
                                        ; implicit-def: $sgpr12_sgpr13
.LBB233_5:
	s_mov_b32 s19, 0
	s_load_b64 s[4:5], s[0:1], 0x38
	s_lshl_b64 s[2:3], s[18:19], 3
	s_delay_alu instid0(SALU_CYCLE_1) | instskip(SKIP_4) | instid1(SALU_CYCLE_1)
	s_add_u32 s2, s6, s2
	s_addc_u32 s3, s7, s3
	s_load_b64 s[2:3], s[2:3], 0x0
	s_waitcnt lgkmcnt(0)
	s_lshl_b64 s[4:5], s[4:5], 1
	s_add_u32 s12, s2, s4
	s_addc_u32 s13, s3, s5
.LBB233_6:
	s_clause 0x1
	s_load_b32 s15, s[0:1], 0x40
	s_load_b128 s[4:7], s[0:1], 0x58
	v_cmp_neq_f16_e64 s21, s9, 0
	s_waitcnt lgkmcnt(0)
	v_cmp_eq_f16_e64 s2, s15, 0
	s_delay_alu instid0(VALU_DEP_1) | instskip(NEXT) | instid1(SALU_CYCLE_1)
	s_and_b32 s2, exec_lo, s2
	s_mov_b32 vcc_lo, s2
	s_cbranch_vccnz .LBB233_8
; %bb.7:
	s_load_b64 s[16:17], s[0:1], 0x48
	s_lshl_b64 s[22:23], s[18:19], 3
	s_waitcnt lgkmcnt(0)
	s_add_u32 s16, s16, s22
	s_addc_u32 s17, s17, s23
	s_lshl_b64 s[4:5], s[4:5], 1
	s_load_b64 s[16:17], s[16:17], 0x0
	s_waitcnt lgkmcnt(0)
	s_add_u32 s4, s16, s4
	s_addc_u32 s5, s17, s5
	s_branch .LBB233_9
.LBB233_8:
	s_mov_b64 s[4:5], 0
.LBB233_9:
	s_clause 0x1
	s_load_b32 s16, s[0:1], 0x18
	s_load_b32 s3, s[0:1], 0x0
	s_lshl_b64 s[18:19], s[18:19], 3
	v_and_b32_e32 v45, 0x3ff, v0
	v_bfe_u32 v46, v0, 10, 10
	s_delay_alu instid0(VALU_DEP_1) | instskip(NEXT) | instid1(VALU_DEP_1)
	v_lshl_add_u32 v4, v46, 3, v45
	v_and_b32_e32 v3, 63, v4
	v_lshrrev_b32_e32 v2, 6, v4
	s_waitcnt lgkmcnt(0)
	s_ashr_i32 s17, s16, 31
	s_add_u32 s6, s6, s18
	s_addc_u32 s7, s7, s19
	s_add_i32 s3, s3, -1
	s_delay_alu instid0(SALU_CYCLE_1) | instskip(NEXT) | instid1(SALU_CYCLE_1)
	s_ashr_i32 s18, s3, 31
	s_lshr_b32 s18, s18, 26
	s_delay_alu instid0(SALU_CYCLE_1) | instskip(NEXT) | instid1(SALU_CYCLE_1)
	s_add_i32 s3, s3, s18
	s_ashr_i32 s3, s3, 6
	s_delay_alu instid0(SALU_CYCLE_1) | instskip(SKIP_2) | instid1(VALU_DEP_1)
	s_add_i32 s18, s3, 1
	s_not_b32 s3, s3
	v_cvt_f32_u32_e32 v1, s18
	v_rcp_iflag_f32_e32 v1, v1
	s_waitcnt_depctr 0xfff
	v_mul_f32_e32 v1, 0x4f7ffffe, v1
	s_delay_alu instid0(VALU_DEP_1) | instskip(NEXT) | instid1(VALU_DEP_1)
	v_cvt_u32_f32_e32 v1, v1
	v_readfirstlane_b32 s19, v1
	v_cndmask_b32_e64 v1, 0, 1, s21
	s_delay_alu instid0(VALU_DEP_2) | instskip(NEXT) | instid1(SALU_CYCLE_1)
	s_mul_i32 s3, s3, s19
	s_mul_hi_u32 s3, s19, s3
	s_delay_alu instid0(SALU_CYCLE_1) | instskip(NEXT) | instid1(SALU_CYCLE_1)
	s_add_i32 s19, s19, s3
	s_mul_hi_u32 s3, s14, s19
	s_delay_alu instid0(SALU_CYCLE_1) | instskip(SKIP_2) | instid1(SALU_CYCLE_1)
	s_mul_i32 s19, s3, s18
	s_add_i32 s20, s3, 1
	s_sub_i32 s19, s14, s19
	s_sub_i32 s22, s19, s18
	s_cmp_ge_u32 s19, s18
	s_cselect_b32 s3, s20, s3
	s_cselect_b32 s19, s22, s19
	s_add_i32 s20, s3, 1
	s_cmp_ge_u32 s19, s18
	s_cselect_b32 s19, s20, s3
	s_and_not1_b32 vcc_lo, exec_lo, s21
	s_mul_i32 s20, s19, s18
	s_delay_alu instid0(SALU_CYCLE_1) | instskip(NEXT) | instid1(SALU_CYCLE_1)
	s_sub_i32 s3, s14, s20
	s_lshl_b32 s18, s3, 6
	v_cmp_ne_u32_e64 s3, 1, v1
	v_or_b32_e32 v0, s18, v3
	s_delay_alu instid0(VALU_DEP_1)
	v_ashrrev_i32_e32 v1, 31, v0
	s_cbranch_vccnz .LBB233_11
; %bb.10:
	v_mad_i64_i32 v[5:6], null, s16, v2, 0
	s_delay_alu instid0(VALU_DEP_2) | instskip(NEXT) | instid1(VALU_DEP_2)
	v_lshlrev_b64 v[7:8], 1, v[0:1]
	v_lshlrev_b64 v[5:6], 1, v[5:6]
	s_delay_alu instid0(VALU_DEP_1) | instskip(NEXT) | instid1(VALU_DEP_2)
	v_add_co_u32 v5, vcc_lo, s10, v5
	v_add_co_ci_u32_e32 v6, vcc_lo, s11, v6, vcc_lo
	s_delay_alu instid0(VALU_DEP_2) | instskip(NEXT) | instid1(VALU_DEP_2)
	v_add_co_u32 v5, vcc_lo, v5, v7
	v_add_co_ci_u32_e32 v6, vcc_lo, v6, v8, vcc_lo
	flat_load_u16 v5, v[5:6]
	s_waitcnt vmcnt(0) lgkmcnt(0)
	v_mul_f16_e32 v8, s9, v5
	s_branch .LBB233_12
.LBB233_11:
	v_mov_b32_e32 v8, 0
.LBB233_12:
	s_load_b32 s21, s[0:1], 0x30
	v_lshrrev_b32_e32 v9, 2, v4
	s_lshl_b32 s19, s19, 7
	v_and_b32_e32 v5, 3, v45
	s_and_b32 vcc_lo, exec_lo, s3
	s_delay_alu instid0(VALU_DEP_2) | instskip(NEXT) | instid1(VALU_DEP_2)
	v_add_nc_u32_e32 v4, s19, v9
	v_lshlrev_b32_e32 v49, 1, v5
	s_delay_alu instid0(VALU_DEP_2)
	v_add_nc_u32_e32 v5, 64, v4
	s_cbranch_vccnz .LBB233_16
; %bb.13:
	s_waitcnt lgkmcnt(0)
	v_mad_i64_i32 v[6:7], null, v4, s21, 0
	s_delay_alu instid0(VALU_DEP_2) | instskip(SKIP_1) | instid1(VALU_DEP_1)
	v_mad_i64_i32 v[10:11], null, v5, s21, 0
	v_add_co_u32 v12, s22, s12, v49
	v_add_co_ci_u32_e64 v13, null, s13, 0, s22
	s_delay_alu instid0(VALU_DEP_4) | instskip(NEXT) | instid1(VALU_DEP_4)
	v_lshlrev_b64 v[6:7], 1, v[6:7]
	v_lshlrev_b64 v[10:11], 1, v[10:11]
	s_delay_alu instid0(VALU_DEP_2) | instskip(NEXT) | instid1(VALU_DEP_3)
	v_add_co_u32 v6, vcc_lo, v12, v6
	v_add_co_ci_u32_e32 v7, vcc_lo, v13, v7, vcc_lo
	s_delay_alu instid0(VALU_DEP_3) | instskip(NEXT) | instid1(VALU_DEP_4)
	v_add_co_u32 v10, vcc_lo, v12, v10
	v_add_co_ci_u32_e32 v11, vcc_lo, v13, v11, vcc_lo
	s_clause 0x1
	flat_load_u16 v6, v[6:7]
	flat_load_u16 v7, v[10:11]
	s_waitcnt vmcnt(1) lgkmcnt(1)
	v_mul_f16_e32 v10, s9, v6
	s_waitcnt vmcnt(0) lgkmcnt(0)
	v_mul_f16_e32 v11, s9, v7
	s_and_b32 vcc_lo, exec_lo, s3
	s_cbranch_vccnz .LBB233_17
.LBB233_14:
	v_add_nc_u32_e32 v12, 4, v2
	v_lshlrev_b64 v[0:1], 1, v[0:1]
	s_delay_alu instid0(VALU_DEP_2) | instskip(NEXT) | instid1(VALU_DEP_1)
	v_mad_i64_i32 v[6:7], null, s16, v12, 0
	v_lshlrev_b64 v[6:7], 1, v[6:7]
	s_delay_alu instid0(VALU_DEP_1) | instskip(NEXT) | instid1(VALU_DEP_2)
	v_add_co_u32 v6, vcc_lo, s10, v6
	v_add_co_ci_u32_e32 v7, vcc_lo, s11, v7, vcc_lo
	s_delay_alu instid0(VALU_DEP_2) | instskip(NEXT) | instid1(VALU_DEP_2)
	v_add_co_u32 v0, vcc_lo, v6, v0
	v_add_co_ci_u32_e32 v1, vcc_lo, v7, v1, vcc_lo
	flat_load_u16 v0, v[0:1]
	s_waitcnt vmcnt(0) lgkmcnt(0)
	v_mul_f16_e32 v0, s9, v0
	s_and_b32 vcc_lo, exec_lo, s3
	s_cbranch_vccnz .LBB233_18
.LBB233_15:
	s_waitcnt lgkmcnt(0)
	v_mad_i64_i32 v[6:7], null, v4, s21, 0
	v_mad_i64_i32 v[12:13], null, v5, s21, 0
	v_add_co_u32 v1, s22, s12, v49
	s_delay_alu instid0(VALU_DEP_1) | instskip(NEXT) | instid1(VALU_DEP_4)
	v_add_co_ci_u32_e64 v14, null, s13, 0, s22
	v_lshlrev_b64 v[6:7], 1, v[6:7]
	s_delay_alu instid0(VALU_DEP_4) | instskip(NEXT) | instid1(VALU_DEP_2)
	v_lshlrev_b64 v[12:13], 1, v[12:13]
	v_add_co_u32 v6, vcc_lo, v1, v6
	s_delay_alu instid0(VALU_DEP_3) | instskip(NEXT) | instid1(VALU_DEP_3)
	v_add_co_ci_u32_e32 v7, vcc_lo, v14, v7, vcc_lo
	v_add_co_u32 v12, vcc_lo, v1, v12
	s_delay_alu instid0(VALU_DEP_4)
	v_add_co_ci_u32_e32 v13, vcc_lo, v14, v13, vcc_lo
	s_clause 0x1
	flat_load_u16 v1, v[6:7] offset:8
	flat_load_u16 v7, v[12:13] offset:8
	s_waitcnt vmcnt(1) lgkmcnt(1)
	v_mul_f16_e32 v6, s9, v1
	s_waitcnt vmcnt(0) lgkmcnt(0)
	v_mul_f16_e32 v7, s9, v7
	s_branch .LBB233_19
.LBB233_16:
	v_dual_mov_b32 v10, 0 :: v_dual_mov_b32 v11, 0
	s_and_b32 vcc_lo, exec_lo, s3
	s_cbranch_vccz .LBB233_14
.LBB233_17:
	v_mov_b32_e32 v0, 0
	s_and_b32 vcc_lo, exec_lo, s3
	s_cbranch_vccz .LBB233_15
.LBB233_18:
	v_dual_mov_b32 v6, 0 :: v_dual_mov_b32 v7, 0
.LBB233_19:
	v_lshlrev_b32_e32 v1, 3, v3
	v_lshlrev_b32_e32 v47, 3, v45
	v_lshl_or_b32 v58, v9, 3, v49
	v_lshlrev_b32_e32 v48, 3, v46
	s_load_b64 s[6:7], s[6:7], 0x0
	v_lshl_add_u32 v1, v2, 1, v1
	v_add_nc_u32_e32 v28, 0x800, v47
	ds_store_b16 v58, v10
	s_cmp_lt_i32 s8, 9
	ds_store_b16 v1, v8 offset:2048
	ds_store_b16 v58, v11 offset:512
	s_waitcnt lgkmcnt(0)
	s_barrier
	buffer_gl0_inv
	ds_load_2addr_b64 v[8:11], v48 offset1:32
	ds_load_2addr_b64 v[12:15], v28 offset0:48 offset1:56
	ds_load_2addr_b64 v[16:19], v48 offset0:64 offset1:96
	ds_load_2addr_b64 v[20:23], v28 offset1:8
	ds_load_2addr_b64 v[24:27], v28 offset0:16 offset1:24
	ds_load_2addr_b64 v[28:31], v28 offset0:32 offset1:40
	ds_store_b16 v58, v6 offset:1024
	ds_store_b16 v1, v0 offset:2560
	;; [unrolled: 1-line block ×3, first 2 shown]
	s_waitcnt lgkmcnt(0)
	s_barrier
	buffer_gl0_inv
	v_pk_max_f16 v10, v10, v10
	v_pk_max_f16 v8, v8, v8
	;; [unrolled: 1-line block ×8, first 2 shown]
	v_pk_min_f16 v36, v20, v10
	v_pk_max_f16 v14, v14, v14
	v_pk_min_f16 v42, v24, v10
	v_pk_min_f16 v43, v24, v16
	v_pk_max_f16 v18, v18, v18
	v_pk_add_f16 v39, v36, 0
	v_pk_min_f16 v36, v22, v10
	v_pk_add_f16 v51, v42, 0
	v_pk_min_f16 v42, v26, v10
	v_pk_min_f16 v32, v14, v8
	v_pk_add_f16 v52, v43, 0
	v_pk_add_f16 v41, v36, 0
	v_pk_min_f16 v36, v24, v8
	v_pk_min_f16 v43, v26, v16
	v_pk_add_f16 v59, v42, 0
	v_pk_min_f16 v42, v28, v10
	v_pk_max_f16 v30, v30, v30
	v_pk_add_f16 v50, v36, 0
	v_pk_min_f16 v36, v26, v8
	v_pk_max_f16 v12, v12, v12
	v_pk_max_f16 v9, v9, v9
	;; [unrolled: 1-line block ×3, first 2 shown]
	v_pk_min_f16 v33, v14, v10
	v_pk_add_f16 v53, v36, 0
	v_pk_min_f16 v36, v28, v8
	v_pk_min_f16 v34, v14, v16
	;; [unrolled: 1-line block ×5, first 2 shown]
	v_pk_add_f16 v61, v36, 0
	v_pk_min_f16 v36, v28, v16
	v_pk_min_f16 v38, v22, v8
	v_pk_add_f16 v32, v32, 0
	v_pk_min_f16 v40, v22, v16
	v_pk_min_f16 v22, v22, v18
	;; [unrolled: 1-line block ×4, first 2 shown]
	v_pk_add_f16 v60, v43, 0
	v_pk_min_f16 v28, v28, v18
	v_pk_add_f16 v66, v42, 0
	v_pk_min_f16 v42, v30, v8
	v_pk_min_f16 v43, v30, v10
	v_pk_add_f16 v67, v36, 0
	v_pk_min_f16 v36, v30, v16
	v_pk_min_f16 v30, v30, v18
	;; [unrolled: 1-line block ×6, first 2 shown]
	v_pk_max_f16 v11, v11, v11
	v_pk_min_f16 v14, v14, v18
	v_pk_min_f16 v18, v15, v9
	v_pk_add_f16 v33, v33, 0
	v_pk_add_f16 v71, v30, 0
	v_pk_max_f16 v17, v17, v17
	v_pk_min_f16 v30, v15, v11
	v_pk_max_f16 v21, v21, v21
	v_pk_add_f16 v57, v18, v32
	v_pk_max_f16 v18, v19, v19
	v_pk_add_f16 v35, v35, 0
	v_pk_add_f16 v20, v20, 0
	;; [unrolled: 1-line block ×3, first 2 shown]
	v_pk_min_f16 v19, v21, v9
	v_pk_min_f16 v30, v21, v11
	;; [unrolled: 1-line block ×4, first 2 shown]
	v_pk_max_f16 v23, v23, v23
	v_pk_add_f16 v34, v34, 0
	v_pk_add_f16 v38, v38, 0
	;; [unrolled: 1-line block ×5, first 2 shown]
	v_pk_min_f16 v36, v15, v17
	v_pk_add_f16 v65, v19, v35
	v_pk_add_f16 v35, v21, v20
	v_pk_min_f16 v19, v23, v9
	v_pk_min_f16 v20, v23, v11
	;; [unrolled: 1-line block ×4, first 2 shown]
	v_pk_max_f16 v25, v25, v25
	v_pk_add_f16 v24, v24, 0
	v_pk_add_f16 v68, v42, 0
	;; [unrolled: 1-line block ×7, first 2 shown]
	v_pk_min_f16 v19, v25, v9
	v_pk_min_f16 v20, v25, v11
	;; [unrolled: 1-line block ×4, first 2 shown]
	v_pk_max_f16 v23, v27, v27
	v_pk_add_f16 v37, v37, 0
	v_pk_add_f16 v26, v26, 0
	;; [unrolled: 1-line block ×6, first 2 shown]
	v_pk_min_f16 v19, v23, v9
	v_pk_min_f16 v20, v23, v11
	;; [unrolled: 1-line block ×4, first 2 shown]
	v_pk_max_f16 v23, v29, v29
	v_pk_add_f16 v28, v28, 0
	v_pk_add_f16 v69, v43, 0
	;; [unrolled: 1-line block ×7, first 2 shown]
	v_pk_min_f16 v19, v23, v9
	v_pk_min_f16 v20, v23, v11
	;; [unrolled: 1-line block ×4, first 2 shown]
	v_pk_max_f16 v23, v31, v31
	v_pk_max_f16 v13, v13, v13
	v_pk_add_f16 v8, v8, 0
	v_pk_add_f16 v10, v10, 0
	;; [unrolled: 1-line block ×10, first 2 shown]
	v_pk_min_f16 v19, v23, v9
	v_pk_min_f16 v20, v23, v11
	;; [unrolled: 1-line block ×9, first 2 shown]
	v_pk_add_f16 v60, v19, v68
	v_pk_add_f16 v51, v20, v69
	;; [unrolled: 1-line block ×9, first 2 shown]
	s_cbranch_scc1 .LBB233_33
; %bb.20:
	v_mad_i64_i32 v[6:7], null, s21, v5, 0
	v_lshl_or_b32 v5, s14, 6, v3
	s_lshl_b32 s14, s20, 6
	v_or_b32_e32 v66, 0x800, v1
	v_add_nc_u32_e32 v68, 0xa00, v1
	v_mad_i64_i32 v[0:1], null, s21, v4, 0
	v_lshlrev_b64 v[3:4], 1, v[6:7]
	v_add_nc_u32_e32 v6, 8, v2
	v_subrev_nc_u32_e32 v5, s14, v5
	v_add_nc_u32_e32 v2, 12, v2
	v_add_nc_u32_e32 v67, 0x800, v47
	;; [unrolled: 1-line block ×3, first 2 shown]
	v_mad_i64_i32 v[7:8], null, v6, s16, 0
	v_ashrrev_i32_e32 v6, 31, v5
	v_lshlrev_b64 v[0:1], 1, v[0:1]
	v_mad_i64_i32 v[9:10], null, v2, s16, 0
	v_add_co_u32 v72, vcc_lo, s12, v3
	s_delay_alu instid0(VALU_DEP_4) | instskip(SKIP_3) | instid1(VALU_DEP_4)
	v_lshlrev_b64 v[2:3], 1, v[5:6]
	v_add_co_ci_u32_e32 v73, vcc_lo, s13, v4, vcc_lo
	v_add_co_u32 v74, vcc_lo, s12, v0
	v_add_co_ci_u32_e32 v75, vcc_lo, s13, v1, vcc_lo
	v_add_co_u32 v76, vcc_lo, s10, v2
	v_lshlrev_b64 v[24:25], 1, v[7:8]
	v_lshlrev_b64 v[26:27], 1, v[9:10]
	v_lshl_add_u32 v70, v45, 3, 0xa00
	v_lshl_add_u32 v71, v46, 3, 0x400
	v_add_co_ci_u32_e32 v77, vcc_lo, s11, v3, vcc_lo
	s_add_i32 s8, s8, -8
	s_lshl_b64 s[10:11], s[16:17], 4
	s_mov_b32 s12, 0
	s_branch .LBB233_23
.LBB233_21:                             ;   in Loop: Header=BB233_23 Depth=1
	v_add_co_u32 v0, vcc_lo, v74, v49
	v_add_co_ci_u32_e32 v1, vcc_lo, 0, v75, vcc_lo
	v_add_co_u32 v121, vcc_lo, v72, v49
	v_add_co_ci_u32_e32 v122, vcc_lo, 0, v73, vcc_lo
	flat_load_u16 v0, v[0:1] offset:24
	flat_load_u16 v1, v[121:122] offset:24
	s_waitcnt vmcnt(1) lgkmcnt(1)
	v_mul_f16_e32 v0, s9, v0
	s_waitcnt vmcnt(0) lgkmcnt(0)
	v_mul_f16_e32 v1, s9, v1
.LBB233_22:                             ;   in Loop: Header=BB233_23 Depth=1
	v_pk_add_f16 v16, v16, v36
	v_pk_add_f16 v22, v22, v35
	;; [unrolled: 1-line block ×30, first 2 shown]
	ds_load_2addr_b64 v[28:31], v67 offset0:48 offset1:56
	ds_load_2addr_b64 v[32:35], v48 offset1:32
	ds_load_2addr_b64 v[36:39], v48 offset0:64 offset1:96
	v_pk_add_f16 v82, v118, v42
	v_pk_add_f16 v83, v120, v41
	;; [unrolled: 1-line block ×4, first 2 shown]
	ds_load_2addr_b64 v[40:43], v67 offset1:8
	v_pk_add_f16 v8, v8, v64
	v_pk_add_f16 v51, v93, v51
	;; [unrolled: 1-line block ×12, first 2 shown]
	s_waitcnt lgkmcnt(3)
	v_pk_max_f16 v30, v30, v30
	s_waitcnt lgkmcnt(2)
	v_pk_max_f16 v32, v32, v32
	v_pk_max_f16 v34, v34, v34
	s_waitcnt lgkmcnt(1)
	v_pk_max_f16 v36, v36, v36
	v_pk_add_f16 v15, v15, v51
	v_pk_add_f16 v51, v7, v62
	;; [unrolled: 1-line block ×3, first 2 shown]
	v_pk_min_f16 v6, v30, v32
	v_pk_min_f16 v7, v30, v34
	;; [unrolled: 1-line block ×3, first 2 shown]
	ds_load_2addr_b64 v[2:5], v67 offset0:16 offset1:24
	s_waitcnt lgkmcnt(1)
	v_pk_max_f16 v9, v40, v40
	v_pk_max_f16 v38, v38, v38
	v_pk_add_f16 v14, v110, v14
	v_pk_add_f16 v18, v111, v18
	;; [unrolled: 1-line block ×7, first 2 shown]
	v_pk_min_f16 v6, v9, v32
	v_pk_min_f16 v7, v9, v34
	;; [unrolled: 1-line block ×4, first 2 shown]
	v_pk_add_f16 v59, v96, v59
	v_pk_add_f16 v14, v6, v14
	;; [unrolled: 1-line block ×5, first 2 shown]
	ds_load_2addr_b64 v[6:9], v67 offset0:32 offset1:40
	v_pk_max_f16 v42, v42, v42
	v_pk_add_f16 v17, v17, v57
	v_pk_add_f16 v19, v19, v60
	;; [unrolled: 1-line block ×3, first 2 shown]
	s_waitcnt lgkmcnt(1)
	v_pk_max_f16 v2, v2, v2
	v_pk_min_f16 v57, v42, v32
	v_pk_min_f16 v59, v42, v34
	;; [unrolled: 1-line block ×4, first 2 shown]
	v_pk_max_f16 v4, v4, v4
	v_pk_add_f16 v50, v97, v50
	v_pk_add_f16 v44, v101, v44
	;; [unrolled: 1-line block ×4, first 2 shown]
	v_pk_min_f16 v42, v2, v32
	v_pk_add_f16 v10, v119, v10
	v_pk_add_f16 v54, v104, v54
	;; [unrolled: 1-line block ×5, first 2 shown]
	v_pk_min_f16 v42, v4, v34
	s_waitcnt lgkmcnt(0)
	v_pk_max_f16 v6, v6, v6
	v_pk_add_f16 v61, v57, v65
	v_pk_min_f16 v57, v2, v34
	v_pk_min_f16 v63, v2, v36
	;; [unrolled: 1-line block ×3, first 2 shown]
	v_pk_add_f16 v81, v42, v44
	v_pk_min_f16 v42, v6, v32
	v_pk_add_f16 v53, v103, v53
	v_pk_add_f16 v60, v60, v80
	v_pk_add_f16 v10, v57, v10
	v_pk_add_f16 v80, v63, v83
	v_pk_add_f16 v2, v2, v11
	v_pk_min_f16 v11, v4, v32
	v_pk_min_f16 v57, v4, v36
	;; [unrolled: 1-line block ×4, first 2 shown]
	v_pk_max_f16 v8, v8, v8
	v_pk_add_f16 v83, v42, v54
	v_pk_min_f16 v42, v6, v36
	v_pk_max_f16 v28, v28, v28
	v_pk_add_f16 v11, v11, v84
	v_pk_add_f16 v82, v57, v85
	;; [unrolled: 1-line block ×4, first 2 shown]
	v_pk_min_f16 v44, v8, v32
	v_pk_min_f16 v53, v8, v34
	v_pk_add_f16 v85, v42, v52
	v_pk_min_f16 v42, v8, v36
	v_pk_min_f16 v8, v8, v38
	;; [unrolled: 1-line block ×5, first 2 shown]
	v_pk_max_f16 v31, v31, v31
	v_pk_max_f16 v86, v35, v35
	v_pk_add_f16 v8, v8, v19
	v_pk_add_f16 v19, v32, v21
	;; [unrolled: 1-line block ×4, first 2 shown]
	v_pk_max_f16 v50, v33, v33
	v_pk_min_f16 v30, v30, v38
	v_pk_max_f16 v37, v37, v37
	v_pk_min_f16 v33, v31, v86
	v_pk_add_f16 v13, v44, v13
	v_pk_min_f16 v32, v31, v50
	v_pk_add_f16 v87, v30, v56
	v_pk_min_f16 v30, v31, v37
	v_pk_max_f16 v34, v41, v41
	v_pk_add_f16 v44, v33, v12
	v_pk_max_f16 v12, v39, v39
	v_pk_add_f16 v57, v32, v40
	v_pk_add_f16 v36, v30, v16
	v_pk_min_f16 v16, v34, v50
	v_pk_min_f16 v30, v34, v86
	;; [unrolled: 1-line block ×4, first 2 shown]
	v_pk_max_f16 v34, v43, v43
	v_pk_min_f16 v6, v6, v38
	v_pk_add_f16 v65, v16, v14
	v_pk_add_f16 v56, v30, v18
	v_pk_max_f16 v3, v3, v3
	v_pk_min_f16 v14, v34, v50
	v_pk_min_f16 v16, v34, v86
	;; [unrolled: 1-line block ×3, first 2 shown]
	v_pk_add_f16 v6, v6, v55
	v_pk_add_f16 v17, v42, v17
	;; [unrolled: 1-line block ×5, first 2 shown]
	v_pk_min_f16 v14, v3, v50
	v_pk_min_f16 v16, v3, v86
	;; [unrolled: 1-line block ×4, first 2 shown]
	v_pk_max_f16 v5, v5, v5
	v_pk_add_f16 v43, v32, v20
	v_pk_add_f16 v35, v33, v22
	v_pk_min_f16 v20, v34, v12
	v_pk_add_f16 v54, v16, v10
	v_pk_add_f16 v33, v3, v2
	v_pk_min_f16 v2, v5, v50
	v_pk_min_f16 v3, v5, v86
	;; [unrolled: 1-line block ×4, first 2 shown]
	v_pk_max_f16 v7, v7, v7
	v_pk_add_f16 v15, v53, v15
	v_pk_add_f16 v34, v20, v62
	;; [unrolled: 1-line block ×5, first 2 shown]
	v_pk_min_f16 v2, v7, v50
	v_pk_min_f16 v3, v7, v86
	;; [unrolled: 1-line block ×4, first 2 shown]
	v_pk_max_f16 v7, v9, v9
	v_pk_min_f16 v28, v28, v38
	v_pk_add_f16 v61, v2, v83
	v_pk_add_f16 v52, v3, v84
	;; [unrolled: 1-line block ×4, first 2 shown]
	v_pk_min_f16 v2, v7, v50
	v_pk_min_f16 v3, v7, v86
	;; [unrolled: 1-line block ×4, first 2 shown]
	v_pk_max_f16 v6, v29, v29
	v_add_co_u32 v72, vcc_lo, v72, 16
	v_add_co_ci_u32_e32 v73, vcc_lo, 0, v73, vcc_lo
	v_pk_add_f16 v28, v28, v51
	v_pk_add_f16 v60, v2, v13
	;; [unrolled: 1-line block ×5, first 2 shown]
	v_pk_min_f16 v2, v6, v50
	v_pk_min_f16 v3, v6, v86
	;; [unrolled: 1-line block ×5, first 2 shown]
	v_add_co_u32 v74, vcc_lo, v74, 16
	v_add_co_ci_u32_e32 v75, vcc_lo, 0, v75, vcc_lo
	v_add_co_u32 v76, vcc_lo, v76, s10
	v_pk_add_f16 v63, v14, v79
	v_pk_add_f16 v41, v18, v80
	;; [unrolled: 1-line block ×8, first 2 shown]
	v_add_co_ci_u32_e32 v77, vcc_lo, s11, v77, vcc_lo
	s_add_i32 s12, s12, 8
	ds_store_b16 v68, v78
	ds_store_b16 v69, v0
	ds_store_b16 v69, v1 offset:512
	s_cmp_ge_i32 s12, s8
	s_waitcnt lgkmcnt(0)
	s_barrier
	buffer_gl0_inv
	s_cbranch_scc1 .LBB233_33
.LBB233_23:                             ; =>This Inner Loop Header: Depth=1
	v_mov_b32_e32 v78, 0
	s_and_b32 vcc_lo, exec_lo, s3
	s_cbranch_vccnz .LBB233_25
; %bb.24:                               ;   in Loop: Header=BB233_23 Depth=1
	v_add_co_u32 v0, vcc_lo, v76, v24
	v_add_co_ci_u32_e32 v1, vcc_lo, v77, v25, vcc_lo
	flat_load_u16 v0, v[0:1]
	s_waitcnt vmcnt(0) lgkmcnt(0)
	v_mul_f16_e32 v78, s9, v0
.LBB233_25:                             ;   in Loop: Header=BB233_23 Depth=1
	s_and_b32 vcc_lo, exec_lo, s3
	s_cbranch_vccnz .LBB233_27
; %bb.26:                               ;   in Loop: Header=BB233_23 Depth=1
	v_add_co_u32 v0, vcc_lo, v74, v49
	v_add_co_ci_u32_e32 v1, vcc_lo, 0, v75, vcc_lo
	v_add_co_u32 v2, vcc_lo, v72, v49
	v_add_co_ci_u32_e32 v3, vcc_lo, 0, v73, vcc_lo
	flat_load_u16 v0, v[0:1] offset:16
	flat_load_u16 v1, v[2:3] offset:16
	s_waitcnt vmcnt(1) lgkmcnt(1)
	v_mul_f16_e32 v79, s9, v0
	s_waitcnt vmcnt(0) lgkmcnt(0)
	v_mul_f16_e32 v80, s9, v1
	s_branch .LBB233_28
.LBB233_27:                             ;   in Loop: Header=BB233_23 Depth=1
	v_dual_mov_b32 v79, 0 :: v_dual_mov_b32 v80, 0
.LBB233_28:                             ;   in Loop: Header=BB233_23 Depth=1
	ds_load_2addr_b64 v[0:3], v70 offset0:48 offset1:56
	ds_load_2addr_b64 v[12:15], v71 offset0:64 offset1:96
	ds_load_2addr_b64 v[20:23], v71 offset1:32
	ds_load_2addr_b64 v[16:19], v70 offset1:8
	ds_load_2addr_b64 v[8:11], v70 offset0:16 offset1:24
	ds_load_2addr_b64 v[4:7], v70 offset0:32 offset1:40
	s_and_b32 vcc_lo, exec_lo, s3
	ds_store_b16 v66, v78
	ds_store_b16 v58, v79
	ds_store_b16 v58, v80 offset:512
	s_waitcnt lgkmcnt(0)
	s_barrier
	buffer_gl0_inv
	s_cbranch_vccnz .LBB233_30
; %bb.29:                               ;   in Loop: Header=BB233_23 Depth=1
	v_add_co_u32 v78, vcc_lo, v76, v26
	v_add_co_ci_u32_e32 v79, vcc_lo, v77, v27, vcc_lo
	flat_load_u16 v78, v[78:79]
	s_waitcnt vmcnt(0) lgkmcnt(0)
	v_mul_f16_e32 v78, s9, v78
	s_branch .LBB233_31
.LBB233_30:                             ;   in Loop: Header=BB233_23 Depth=1
	v_mov_b32_e32 v78, 0
.LBB233_31:                             ;   in Loop: Header=BB233_23 Depth=1
	v_pk_max_f16 v91, v2, v2
	v_pk_max_f16 v96, v20, v20
	v_pk_max_f16 v97, v22, v22
	v_pk_max_f16 v98, v12, v12
	v_pk_max_f16 v22, v16, v16
	v_pk_max_f16 v100, v14, v14
	v_pk_max_f16 v81, v18, v18
	v_pk_max_f16 v84, v8, v8
	v_pk_max_f16 v87, v10, v10
	v_pk_max_f16 v90, v4, v4
	v_pk_max_f16 v95, v6, v6
	v_pk_max_f16 v0, v0, v0
	v_pk_min_f16 v2, v91, v96
	v_pk_min_f16 v12, v91, v97
	v_pk_min_f16 v16, v91, v98
	v_pk_min_f16 v14, v22, v96
	v_pk_min_f16 v18, v22, v97
	v_pk_min_f16 v20, v22, v98
	v_pk_min_f16 v8, v81, v96
	v_pk_min_f16 v79, v81, v97
	v_pk_min_f16 v80, v81, v98
	v_pk_min_f16 v82, v84, v96
	v_pk_min_f16 v10, v84, v97
	v_pk_min_f16 v83, v84, v98
	v_pk_min_f16 v4, v87, v96
	v_pk_min_f16 v85, v87, v97
	v_pk_min_f16 v86, v87, v98
	v_pk_min_f16 v88, v90, v96
	v_pk_min_f16 v6, v90, v97
	v_pk_min_f16 v89, v90, v98
	v_pk_min_f16 v92, v95, v96
	v_pk_min_f16 v93, v95, v97
	v_pk_min_f16 v94, v95, v98
	v_pk_min_f16 v96, v0, v96
	v_pk_min_f16 v97, v0, v97
	v_pk_min_f16 v98, v0, v98
	v_pk_min_f16 v99, v0, v100
	v_pk_max_f16 v0, v3, v3
	v_pk_max_f16 v21, v21, v21
	;; [unrolled: 1-line block ×9, first 2 shown]
	v_pk_min_f16 v110, v3, v21
	v_pk_min_f16 v111, v3, v23
	;; [unrolled: 1-line block ×4, first 2 shown]
	v_pk_max_f16 v3, v9, v9
	v_pk_max_f16 v9, v11, v11
	;; [unrolled: 1-line block ×3, first 2 shown]
	v_pk_min_f16 v22, v22, v100
	v_pk_min_f16 v81, v81, v100
	;; [unrolled: 1-line block ×35, first 2 shown]
	s_and_b32 vcc_lo, exec_lo, s3
	s_cbranch_vccz .LBB233_21
; %bb.32:                               ;   in Loop: Header=BB233_23 Depth=1
	v_dual_mov_b32 v0, 0 :: v_dual_mov_b32 v1, 0
	s_branch .LBB233_22
.LBB233_33:
	s_load_b32 s8, s[0:1], 0x50
	v_dual_mov_b32 v20, 0 :: v_dual_add_nc_u32 v25, s19, v46
	ds_load_b64 v[0:1], v48 offset:1024
	ds_load_b64 v[2:3], v47 offset:2560
	v_dual_mov_b32 v49, 0 :: v_dual_add_nc_u32 v22, s18, v45
	v_cmp_neq_f16_e64 s9, s15, 0
	s_delay_alu instid0(VALU_DEP_2) | instskip(NEXT) | instid1(VALU_DEP_2)
	v_ashrrev_i32_e32 v23, 31, v22
	s_and_b32 vcc_lo, exec_lo, s9
	s_delay_alu instid0(VALU_DEP_1) | instskip(SKIP_2) | instid1(VALU_DEP_1)
	v_lshlrev_b64 v[16:17], 1, v[22:23]
	s_waitcnt lgkmcnt(0)
	v_mad_i64_i32 v[4:5], null, v25, s8, 0
	v_lshlrev_b64 v[4:5], 1, v[4:5]
	s_delay_alu instid0(VALU_DEP_1) | instskip(NEXT) | instid1(VALU_DEP_1)
	v_add_co_u32 v66, s3, s4, v4
	v_add_co_ci_u32_e64 v67, s3, s5, v5, s3
	s_cbranch_vccz .LBB233_35
; %bb.34:
	s_delay_alu instid0(VALU_DEP_2) | instskip(NEXT) | instid1(VALU_DEP_2)
	v_add_co_u32 v4, vcc_lo, v66, v16
	v_add_co_ci_u32_e32 v5, vcc_lo, v67, v17, vcc_lo
	flat_load_u16 v4, v[4:5]
	s_waitcnt vmcnt(0) lgkmcnt(0)
	v_mul_f16_e32 v20, s15, v4
.LBB233_35:
	s_clause 0x1
	s_load_b32 s3, s[0:1], 0x68
	s_load_b64 s[0:1], s[0:1], 0x70
	v_pk_max_f16 v69, v0, v0
	v_pk_max_f16 v26, v2, v2
	;; [unrolled: 1-line block ×4, first 2 shown]
	ds_load_b64 v[23:24], v47 offset:3008
	ds_load_b64 v[18:19], v48 offset:1792
	ds_load_2addr_b64 v[0:3], v48 offset0:160 offset1:192
	v_pk_min_f16 v4, v26, v69
	v_add_nc_u32_e32 v5, 0x800, v47
	v_pk_min_f16 v6, v27, v68
	v_add_nc_u32_e32 v45, 8, v22
	v_cndmask_b32_e64 v21, 0, 1, s9
	v_pk_add_f16 v4, v4, v65
	ds_load_2addr_b64 v[12:15], v5 offset0:72 offset1:80
	v_ashrrev_i32_e32 v46, 31, v45
	v_pk_add_f16 v58, v6, v4
	ds_load_2addr_b64 v[8:11], v5 offset0:88 offset1:96
	ds_load_2addr_b64 v[4:7], v5 offset0:104 offset1:112
	s_waitcnt lgkmcnt(0)
	v_mad_i64_i32 v[47:48], null, v25, s3, 0
	s_lshl_b64 s[10:11], s[0:1], 1
	v_lshrrev_b32_e32 v65, 16, v58
	s_add_u32 s1, s6, s10
	s_addc_u32 s6, s7, s11
	v_cmp_ne_u32_e64 s0, 1, v21
	s_delay_alu instid0(VALU_DEP_2) | instskip(NEXT) | instid1(VALU_DEP_4)
	v_add_f16_e32 v21, v58, v65
	v_lshlrev_b64 v[47:48], 1, v[47:48]
	s_delay_alu instid0(VALU_DEP_2) | instskip(SKIP_1) | instid1(VALU_DEP_3)
	v_add_f16_e32 v58, v21, v20
	v_lshlrev_b64 v[20:21], 1, v[45:46]
	v_add_co_u32 v70, vcc_lo, s1, v47
	s_delay_alu instid0(VALU_DEP_4) | instskip(NEXT) | instid1(VALU_DEP_2)
	v_add_co_ci_u32_e32 v71, vcc_lo, s6, v48, vcc_lo
	v_add_co_u32 v47, vcc_lo, v70, v16
	s_delay_alu instid0(VALU_DEP_2)
	v_add_co_ci_u32_e32 v48, vcc_lo, v71, v17, vcc_lo
	s_and_not1_b32 vcc_lo, exec_lo, s9
	global_store_b16 v[47:48], v58, off
	s_cbranch_vccnz .LBB233_37
; %bb.36:
	v_add_co_u32 v45, vcc_lo, v66, v20
	v_add_co_ci_u32_e32 v46, vcc_lo, v67, v21, vcc_lo
	flat_load_u16 v45, v[45:46]
	s_waitcnt vmcnt(0) lgkmcnt(0)
	v_mul_f16_e32 v49, s15, v45
.LBB233_37:
	v_pk_max_f16 v45, v12, v12
	v_pk_max_f16 v46, v13, v13
	s_delay_alu instid0(VALU_DEP_2) | instskip(NEXT) | instid1(VALU_DEP_2)
	v_pk_min_f16 v12, v45, v69
	v_pk_min_f16 v13, v46, v68
	s_delay_alu instid0(VALU_DEP_2) | instskip(SKIP_1) | instid1(VALU_DEP_2)
	v_pk_add_f16 v12, v12, v64
	v_mov_b32_e32 v64, 0
	v_pk_add_f16 v47, v13, v12
	v_add_nc_u32_e32 v12, 16, v22
	s_delay_alu instid0(VALU_DEP_2) | instskip(NEXT) | instid1(VALU_DEP_1)
	v_lshrrev_b32_e32 v48, 16, v47
	v_add_f16_e32 v58, v47, v48
	v_add_co_u32 v47, vcc_lo, v70, v20
	v_add_co_ci_u32_e32 v48, vcc_lo, v71, v21, vcc_lo
	s_delay_alu instid0(VALU_DEP_3)
	v_add_f16_e32 v58, v58, v49
	v_mov_b32_e32 v49, 0
	v_ashrrev_i32_e32 v13, 31, v12
	s_and_b32 vcc_lo, exec_lo, s0
	global_store_b16 v[47:48], v58, off
	v_lshlrev_b64 v[12:13], 1, v[12:13]
	s_cbranch_vccnz .LBB233_39
; %bb.38:
	s_delay_alu instid0(VALU_DEP_1) | instskip(NEXT) | instid1(VALU_DEP_2)
	v_add_co_u32 v47, vcc_lo, v66, v12
	v_add_co_ci_u32_e32 v48, vcc_lo, v67, v13, vcc_lo
	flat_load_u16 v47, v[47:48]
	s_waitcnt vmcnt(0) lgkmcnt(0)
	v_mul_f16_e32 v49, s15, v47
.LBB233_39:
	v_pk_max_f16 v47, v14, v14
	v_pk_max_f16 v48, v15, v15
	s_delay_alu instid0(VALU_DEP_3) | instskip(NEXT) | instid1(VALU_DEP_4)
	v_add_co_u32 v72, vcc_lo, v70, v12
	v_add_co_ci_u32_e32 v73, vcc_lo, v71, v13, vcc_lo
	s_delay_alu instid0(VALU_DEP_4) | instskip(NEXT) | instid1(VALU_DEP_4)
	v_pk_min_f16 v14, v47, v69
	v_pk_min_f16 v15, v48, v68
	s_and_b32 vcc_lo, exec_lo, s0
	s_delay_alu instid0(VALU_DEP_2) | instskip(NEXT) | instid1(VALU_DEP_1)
	v_pk_add_f16 v14, v14, v63
	v_pk_add_f16 v58, v15, v14
	v_add_nc_u32_e32 v14, 24, v22
	s_delay_alu instid0(VALU_DEP_2) | instskip(NEXT) | instid1(VALU_DEP_2)
	v_lshrrev_b32_e32 v63, 16, v58
	v_ashrrev_i32_e32 v15, 31, v14
	s_delay_alu instid0(VALU_DEP_2) | instskip(NEXT) | instid1(VALU_DEP_2)
	v_add_f16_e32 v58, v58, v63
	v_lshlrev_b64 v[14:15], 1, v[14:15]
	s_delay_alu instid0(VALU_DEP_2)
	v_add_f16_e32 v49, v58, v49
	global_store_b16 v[72:73], v49, off
	s_cbranch_vccnz .LBB233_41
; %bb.40:
	v_add_co_u32 v63, vcc_lo, v66, v14
	v_add_co_ci_u32_e32 v64, vcc_lo, v67, v15, vcc_lo
	flat_load_u16 v49, v[63:64]
	s_waitcnt vmcnt(0) lgkmcnt(0)
	v_mul_f16_e32 v64, s15, v49
.LBB233_41:
	v_pk_max_f16 v49, v8, v8
	v_pk_max_f16 v58, v9, v9
	v_mov_b32_e32 v65, 0
	s_delay_alu instid0(VALU_DEP_3) | instskip(NEXT) | instid1(VALU_DEP_3)
	v_pk_min_f16 v8, v49, v69
	v_pk_min_f16 v9, v58, v68
	s_delay_alu instid0(VALU_DEP_2) | instskip(NEXT) | instid1(VALU_DEP_1)
	v_pk_add_f16 v8, v8, v62
	v_pk_add_f16 v62, v9, v8
	v_add_nc_u32_e32 v8, 32, v22
	s_delay_alu instid0(VALU_DEP_2) | instskip(NEXT) | instid1(VALU_DEP_2)
	v_lshrrev_b32_e32 v63, 16, v62
	v_ashrrev_i32_e32 v9, 31, v8
	s_delay_alu instid0(VALU_DEP_2) | instskip(SKIP_1) | instid1(VALU_DEP_3)
	v_add_f16_e32 v72, v62, v63
	v_add_co_u32 v62, vcc_lo, v70, v14
	v_lshlrev_b64 v[8:9], 1, v[8:9]
	v_add_co_ci_u32_e32 v63, vcc_lo, v71, v15, vcc_lo
	s_delay_alu instid0(VALU_DEP_4)
	v_add_f16_e32 v72, v72, v64
	v_mov_b32_e32 v64, 0
	s_and_b32 vcc_lo, exec_lo, s0
	global_store_b16 v[62:63], v72, off
	s_cbranch_vccnz .LBB233_43
; %bb.42:
	v_add_co_u32 v62, vcc_lo, v66, v8
	v_add_co_ci_u32_e32 v63, vcc_lo, v67, v9, vcc_lo
	flat_load_u16 v62, v[62:63]
	s_waitcnt vmcnt(0) lgkmcnt(0)
	v_mul_f16_e32 v64, s15, v62
.LBB233_43:
	v_pk_max_f16 v62, v10, v10
	v_pk_max_f16 v63, v11, v11
	s_delay_alu instid0(VALU_DEP_2) | instskip(NEXT) | instid1(VALU_DEP_2)
	v_pk_min_f16 v10, v62, v69
	v_pk_min_f16 v11, v63, v68
	s_delay_alu instid0(VALU_DEP_2) | instskip(NEXT) | instid1(VALU_DEP_1)
	v_pk_add_f16 v10, v10, v61
	v_pk_add_f16 v61, v11, v10
	v_add_nc_u32_e32 v10, 40, v22
	s_delay_alu instid0(VALU_DEP_2) | instskip(NEXT) | instid1(VALU_DEP_2)
	v_lshrrev_b32_e32 v72, 16, v61
	v_ashrrev_i32_e32 v11, 31, v10
	s_delay_alu instid0(VALU_DEP_2) | instskip(SKIP_1) | instid1(VALU_DEP_3)
	v_add_f16_e32 v61, v61, v72
	v_add_co_u32 v72, vcc_lo, v70, v8
	v_lshlrev_b64 v[10:11], 1, v[10:11]
	v_add_co_ci_u32_e32 v73, vcc_lo, v71, v9, vcc_lo
	s_delay_alu instid0(VALU_DEP_4)
	v_add_f16_e32 v61, v61, v64
	s_and_b32 vcc_lo, exec_lo, s0
	global_store_b16 v[72:73], v61, off
	s_cbranch_vccnz .LBB233_45
; %bb.44:
	v_add_co_u32 v64, vcc_lo, v66, v10
	v_add_co_ci_u32_e32 v65, vcc_lo, v67, v11, vcc_lo
	flat_load_u16 v61, v[64:65]
	s_waitcnt vmcnt(0) lgkmcnt(0)
	v_mul_f16_e32 v65, s15, v61
.LBB233_45:
	v_pk_max_f16 v61, v4, v4
	v_pk_max_f16 v64, v5, v5
	v_add_co_u32 v74, vcc_lo, v70, v10
	v_add_co_ci_u32_e32 v75, vcc_lo, v71, v11, vcc_lo
	s_delay_alu instid0(VALU_DEP_4) | instskip(NEXT) | instid1(VALU_DEP_4)
	v_pk_min_f16 v4, v61, v69
	v_pk_min_f16 v5, v64, v68
	s_and_b32 vcc_lo, exec_lo, s0
	v_mov_b32_e32 v73, 0
	s_delay_alu instid0(VALU_DEP_3) | instskip(NEXT) | instid1(VALU_DEP_1)
	v_pk_add_f16 v4, v4, v60
	v_pk_add_f16 v60, v5, v4
	v_add_nc_u32_e32 v4, 48, v22
	s_delay_alu instid0(VALU_DEP_2) | instskip(NEXT) | instid1(VALU_DEP_2)
	v_lshrrev_b32_e32 v72, 16, v60
	v_ashrrev_i32_e32 v5, 31, v4
	s_delay_alu instid0(VALU_DEP_2) | instskip(NEXT) | instid1(VALU_DEP_2)
	v_add_f16_e32 v60, v60, v72
	v_lshlrev_b64 v[4:5], 1, v[4:5]
	v_mov_b32_e32 v72, 0
	s_delay_alu instid0(VALU_DEP_3)
	v_add_f16_e32 v60, v60, v65
	global_store_b16 v[74:75], v60, off
	s_cbranch_vccnz .LBB233_47
; %bb.46:
	v_add_co_u32 v73, vcc_lo, v66, v4
	v_add_co_ci_u32_e32 v74, vcc_lo, v67, v5, vcc_lo
	flat_load_u16 v60, v[73:74]
	s_waitcnt vmcnt(0) lgkmcnt(0)
	v_mul_f16_e32 v73, s15, v60
.LBB233_47:
	v_pk_max_f16 v60, v6, v6
	v_pk_max_f16 v65, v7, v7
	v_add_co_u32 v74, vcc_lo, v70, v4
	v_add_co_ci_u32_e32 v75, vcc_lo, v71, v5, vcc_lo
	s_delay_alu instid0(VALU_DEP_4) | instskip(NEXT) | instid1(VALU_DEP_4)
	v_pk_min_f16 v6, v60, v69
	v_pk_min_f16 v7, v65, v68
	s_and_b32 vcc_lo, exec_lo, s0
	s_delay_alu instid0(VALU_DEP_2) | instskip(NEXT) | instid1(VALU_DEP_1)
	v_pk_add_f16 v6, v6, v59
	v_pk_add_f16 v59, v7, v6
	v_add_nc_u32_e32 v6, 56, v22
	s_delay_alu instid0(VALU_DEP_2) | instskip(NEXT) | instid1(VALU_DEP_2)
	v_lshrrev_b32_e32 v22, 16, v59
	v_ashrrev_i32_e32 v7, 31, v6
	s_delay_alu instid0(VALU_DEP_2) | instskip(NEXT) | instid1(VALU_DEP_2)
	v_add_f16_e32 v22, v59, v22
	v_lshlrev_b64 v[6:7], 1, v[6:7]
	s_delay_alu instid0(VALU_DEP_2)
	v_add_f16_e32 v22, v22, v73
	global_store_b16 v[74:75], v22, off
	s_cbranch_vccnz .LBB233_49
; %bb.48:
	v_add_co_u32 v66, vcc_lo, v66, v6
	v_add_co_ci_u32_e32 v67, vcc_lo, v67, v7, vcc_lo
	flat_load_u16 v22, v[66:67]
	s_waitcnt vmcnt(0) lgkmcnt(0)
	v_mul_f16_e32 v72, s15, v22
.LBB233_49:
	v_pk_max_f16 v22, v23, v23
	v_pk_max_f16 v23, v24, v24
	v_dual_mov_b32 v66, 0 :: v_dual_add_nc_u32 v67, 32, v25
	v_add_co_u32 v70, vcc_lo, v70, v6
	s_delay_alu instid0(VALU_DEP_4) | instskip(NEXT) | instid1(VALU_DEP_4)
	v_pk_min_f16 v24, v22, v69
	v_pk_min_f16 v59, v23, v68
	s_delay_alu instid0(VALU_DEP_4) | instskip(SKIP_1) | instid1(VALU_DEP_4)
	v_mad_i64_i32 v[68:69], null, v67, s8, 0
	v_add_co_ci_u32_e32 v71, vcc_lo, v71, v7, vcc_lo
	v_pk_add_f16 v24, v24, v57
	s_delay_alu instid0(VALU_DEP_3) | instskip(NEXT) | instid1(VALU_DEP_2)
	v_lshlrev_b64 v[68:69], 1, v[68:69]
	v_pk_add_f16 v24, v59, v24
	s_delay_alu instid0(VALU_DEP_1) | instskip(NEXT) | instid1(VALU_DEP_1)
	v_lshrrev_b32_e32 v57, 16, v24
	v_add_f16_e32 v59, v24, v57
	s_delay_alu instid0(VALU_DEP_4) | instskip(SKIP_1) | instid1(VALU_DEP_3)
	v_add_co_u32 v24, vcc_lo, s4, v68
	v_add_co_ci_u32_e32 v57, vcc_lo, s5, v69, vcc_lo
	v_add_f16_e32 v59, v59, v72
	v_mov_b32_e32 v68, 0
	s_and_b32 vcc_lo, exec_lo, s0
	global_store_b16 v[70:71], v59, off
	s_cbranch_vccnz .LBB233_51
; %bb.50:
	v_add_co_u32 v68, vcc_lo, v24, v16
	v_add_co_ci_u32_e32 v69, vcc_lo, v57, v17, vcc_lo
	flat_load_u16 v59, v[68:69]
	s_waitcnt vmcnt(0) lgkmcnt(0)
	v_mul_f16_e32 v68, s15, v59
.LBB233_51:
	v_pk_max_f16 v59, v0, v0
	v_pk_max_f16 v0, v1, v1
	v_mad_i64_i32 v[69:70], null, v67, s3, 0
	s_delay_alu instid0(VALU_DEP_3) | instskip(NEXT) | instid1(VALU_DEP_3)
	v_pk_min_f16 v1, v26, v59
	v_pk_min_f16 v71, v27, v0
	s_delay_alu instid0(VALU_DEP_3) | instskip(NEXT) | instid1(VALU_DEP_3)
	v_lshlrev_b64 v[69:70], 1, v[69:70]
	v_pk_add_f16 v1, v1, v56
	s_delay_alu instid0(VALU_DEP_1) | instskip(NEXT) | instid1(VALU_DEP_1)
	v_pk_add_f16 v1, v71, v1
	v_lshrrev_b32_e32 v56, 16, v1
	s_delay_alu instid0(VALU_DEP_1) | instskip(SKIP_2) | instid1(VALU_DEP_3)
	v_add_f16_e32 v67, v1, v56
	v_add_co_u32 v1, vcc_lo, s1, v69
	v_add_co_ci_u32_e32 v56, vcc_lo, s6, v70, vcc_lo
	v_add_f16_e32 v69, v67, v68
	s_delay_alu instid0(VALU_DEP_3) | instskip(NEXT) | instid1(VALU_DEP_3)
	v_add_co_u32 v67, vcc_lo, v1, v16
	v_add_co_ci_u32_e32 v68, vcc_lo, v56, v17, vcc_lo
	s_and_b32 vcc_lo, exec_lo, s0
	global_store_b16 v[67:68], v69, off
	s_cbranch_vccnz .LBB233_53
; %bb.52:
	v_add_co_u32 v66, vcc_lo, v24, v20
	v_add_co_ci_u32_e32 v67, vcc_lo, v57, v21, vcc_lo
	flat_load_u16 v66, v[66:67]
	s_waitcnt vmcnt(0) lgkmcnt(0)
	v_mul_f16_e32 v66, s15, v66
.LBB233_53:
	v_pk_min_f16 v67, v45, v59
	v_pk_min_f16 v68, v46, v0
	s_delay_alu instid0(VALU_DEP_2) | instskip(NEXT) | instid1(VALU_DEP_1)
	v_pk_add_f16 v55, v67, v55
	v_pk_add_f16 v55, v68, v55
	s_delay_alu instid0(VALU_DEP_1) | instskip(NEXT) | instid1(VALU_DEP_1)
	v_lshrrev_b32_e32 v67, 16, v55
	v_add_f16_e32 v55, v55, v67
	v_add_co_u32 v67, vcc_lo, v1, v20
	v_add_co_ci_u32_e32 v68, vcc_lo, v56, v21, vcc_lo
	s_delay_alu instid0(VALU_DEP_3)
	v_add_f16_e32 v69, v55, v66
	v_dual_mov_b32 v55, 0 :: v_dual_mov_b32 v66, 0
	s_and_b32 vcc_lo, exec_lo, s0
	global_store_b16 v[67:68], v69, off
	s_cbranch_vccnz .LBB233_55
; %bb.54:
	v_add_co_u32 v66, vcc_lo, v24, v12
	v_add_co_ci_u32_e32 v67, vcc_lo, v57, v13, vcc_lo
	flat_load_u16 v66, v[66:67]
	s_waitcnt vmcnt(0) lgkmcnt(0)
	v_mul_f16_e32 v66, s15, v66
.LBB233_55:
	v_pk_min_f16 v67, v47, v59
	v_pk_min_f16 v68, v48, v0
	s_delay_alu instid0(VALU_DEP_2) | instskip(NEXT) | instid1(VALU_DEP_1)
	v_pk_add_f16 v54, v67, v54
	v_pk_add_f16 v54, v68, v54
	s_delay_alu instid0(VALU_DEP_1) | instskip(NEXT) | instid1(VALU_DEP_1)
	v_lshrrev_b32_e32 v67, 16, v54
	v_add_f16_e32 v54, v54, v67
	s_delay_alu instid0(VALU_DEP_1)
	v_add_f16_e32 v54, v54, v66
	v_add_co_u32 v66, vcc_lo, v1, v12
	v_add_co_ci_u32_e32 v67, vcc_lo, v56, v13, vcc_lo
	s_and_b32 vcc_lo, exec_lo, s0
	global_store_b16 v[66:67], v54, off
	s_cbranch_vccnz .LBB233_57
; %bb.56:
	v_add_co_u32 v54, vcc_lo, v24, v14
	v_add_co_ci_u32_e32 v55, vcc_lo, v57, v15, vcc_lo
	flat_load_u16 v54, v[54:55]
	s_waitcnt vmcnt(0) lgkmcnt(0)
	v_mul_f16_e32 v55, s15, v54
.LBB233_57:
	v_pk_min_f16 v54, v49, v59
	v_pk_min_f16 v66, v58, v0
	s_delay_alu instid0(VALU_DEP_2) | instskip(NEXT) | instid1(VALU_DEP_1)
	v_pk_add_f16 v53, v54, v53
	v_pk_add_f16 v53, v66, v53
	v_add_co_u32 v66, vcc_lo, v1, v14
	v_add_co_ci_u32_e32 v67, vcc_lo, v56, v15, vcc_lo
	s_delay_alu instid0(VALU_DEP_3) | instskip(SKIP_1) | instid1(VALU_DEP_1)
	v_lshrrev_b32_e32 v54, 16, v53
	s_and_b32 vcc_lo, exec_lo, s0
	v_add_f16_e32 v53, v53, v54
	v_mov_b32_e32 v54, 0
	s_delay_alu instid0(VALU_DEP_2)
	v_add_f16_e32 v55, v53, v55
	v_mov_b32_e32 v53, 0
	global_store_b16 v[66:67], v55, off
	s_cbranch_vccnz .LBB233_59
; %bb.58:
	v_add_co_u32 v54, vcc_lo, v24, v8
	v_add_co_ci_u32_e32 v55, vcc_lo, v57, v9, vcc_lo
	flat_load_u16 v54, v[54:55]
	s_waitcnt vmcnt(0) lgkmcnt(0)
	v_mul_f16_e32 v54, s15, v54
.LBB233_59:
	v_pk_min_f16 v55, v62, v59
	v_pk_min_f16 v66, v63, v0
	s_delay_alu instid0(VALU_DEP_2) | instskip(NEXT) | instid1(VALU_DEP_1)
	v_pk_add_f16 v52, v55, v52
	v_pk_add_f16 v52, v66, v52
	s_delay_alu instid0(VALU_DEP_1) | instskip(NEXT) | instid1(VALU_DEP_1)
	v_lshrrev_b32_e32 v55, 16, v52
	v_add_f16_e32 v52, v52, v55
	s_delay_alu instid0(VALU_DEP_1)
	v_add_f16_e32 v52, v52, v54
	v_add_co_u32 v54, vcc_lo, v1, v8
	v_add_co_ci_u32_e32 v55, vcc_lo, v56, v9, vcc_lo
	s_and_b32 vcc_lo, exec_lo, s0
	global_store_b16 v[54:55], v52, off
	s_cbranch_vccnz .LBB233_61
; %bb.60:
	v_add_co_u32 v52, vcc_lo, v24, v10
	v_add_co_ci_u32_e32 v53, vcc_lo, v57, v11, vcc_lo
	flat_load_u16 v52, v[52:53]
	s_waitcnt vmcnt(0) lgkmcnt(0)
	v_mul_f16_e32 v53, s15, v52
.LBB233_61:
	v_pk_min_f16 v52, v61, v59
	v_pk_min_f16 v54, v64, v0
	s_delay_alu instid0(VALU_DEP_2) | instskip(NEXT) | instid1(VALU_DEP_1)
	v_pk_add_f16 v51, v52, v51
	v_pk_add_f16 v51, v54, v51
	v_add_co_u32 v54, vcc_lo, v1, v10
	v_add_co_ci_u32_e32 v55, vcc_lo, v56, v11, vcc_lo
	s_delay_alu instid0(VALU_DEP_3) | instskip(SKIP_1) | instid1(VALU_DEP_1)
	v_lshrrev_b32_e32 v52, 16, v51
	s_and_b32 vcc_lo, exec_lo, s0
	v_add_f16_e32 v51, v51, v52
	v_mov_b32_e32 v52, 0
	s_delay_alu instid0(VALU_DEP_2)
	v_add_f16_e32 v53, v51, v53
	v_mov_b32_e32 v51, 0
	global_store_b16 v[54:55], v53, off
	s_cbranch_vccnz .LBB233_63
; %bb.62:
	v_add_co_u32 v52, vcc_lo, v24, v4
	v_add_co_ci_u32_e32 v53, vcc_lo, v57, v5, vcc_lo
	flat_load_u16 v52, v[52:53]
	s_waitcnt vmcnt(0) lgkmcnt(0)
	v_mul_f16_e32 v52, s15, v52
.LBB233_63:
	v_pk_min_f16 v53, v60, v59
	v_pk_min_f16 v54, v65, v0
	s_delay_alu instid0(VALU_DEP_2) | instskip(NEXT) | instid1(VALU_DEP_1)
	v_pk_add_f16 v50, v53, v50
	v_pk_add_f16 v50, v54, v50
	s_delay_alu instid0(VALU_DEP_1) | instskip(NEXT) | instid1(VALU_DEP_1)
	v_lshrrev_b32_e32 v53, 16, v50
	v_add_f16_e32 v50, v50, v53
	s_delay_alu instid0(VALU_DEP_1)
	v_add_f16_e32 v50, v50, v52
	v_add_co_u32 v52, vcc_lo, v1, v4
	v_add_co_ci_u32_e32 v53, vcc_lo, v56, v5, vcc_lo
	s_and_b32 vcc_lo, exec_lo, s0
	global_store_b16 v[52:53], v50, off
	s_cbranch_vccnz .LBB233_65
; %bb.64:
	v_add_co_u32 v50, vcc_lo, v24, v6
	v_add_co_ci_u32_e32 v51, vcc_lo, v57, v7, vcc_lo
	flat_load_u16 v24, v[50:51]
	s_waitcnt vmcnt(0) lgkmcnt(0)
	v_mul_f16_e32 v51, s15, v24
.LBB233_65:
	v_pk_min_f16 v24, v22, v59
	v_pk_min_f16 v0, v23, v0
	v_add_nc_u32_e32 v52, 64, v25
	v_add_co_u32 v55, vcc_lo, v1, v6
	s_delay_alu instid0(VALU_DEP_4) | instskip(SKIP_2) | instid1(VALU_DEP_3)
	v_pk_add_f16 v24, v24, v44
	v_add_co_ci_u32_e32 v56, vcc_lo, v56, v7, vcc_lo
	v_mov_b32_e32 v50, 0
	v_pk_add_f16 v0, v0, v24
	s_delay_alu instid0(VALU_DEP_1) | instskip(NEXT) | instid1(VALU_DEP_1)
	v_lshrrev_b32_e32 v24, 16, v0
	v_add_f16_e32 v0, v0, v24
	s_delay_alu instid0(VALU_DEP_1) | instskip(SKIP_4) | instid1(VALU_DEP_1)
	v_add_f16_e32 v0, v0, v51
	v_mov_b32_e32 v51, 0
	v_mad_i64_i32 v[53:54], null, v52, s8, 0
	global_store_b16 v[55:56], v0, off
	v_lshlrev_b64 v[53:54], 1, v[53:54]
	v_add_co_u32 v1, vcc_lo, s4, v53
	s_delay_alu instid0(VALU_DEP_2)
	v_add_co_ci_u32_e32 v24, vcc_lo, s5, v54, vcc_lo
	s_and_b32 vcc_lo, exec_lo, s0
	s_cbranch_vccnz .LBB233_67
; %bb.66:
	s_delay_alu instid0(VALU_DEP_2) | instskip(NEXT) | instid1(VALU_DEP_2)
	v_add_co_u32 v53, vcc_lo, v1, v16
	v_add_co_ci_u32_e32 v54, vcc_lo, v24, v17, vcc_lo
	flat_load_u16 v0, v[53:54]
	s_waitcnt vmcnt(0) lgkmcnt(0)
	v_mul_f16_e32 v51, s15, v0
.LBB233_67:
	v_pk_max_f16 v44, v2, v2
	v_pk_max_f16 v0, v3, v3
	s_delay_alu instid0(VALU_DEP_2) | instskip(NEXT) | instid1(VALU_DEP_2)
	v_pk_min_f16 v2, v26, v44
	v_pk_min_f16 v53, v27, v0
	s_delay_alu instid0(VALU_DEP_2) | instskip(SKIP_1) | instid1(VALU_DEP_2)
	v_pk_add_f16 v43, v2, v43
	v_mad_i64_i32 v[2:3], null, v52, s3, 0
	v_pk_add_f16 v43, v53, v43
	s_delay_alu instid0(VALU_DEP_2) | instskip(NEXT) | instid1(VALU_DEP_2)
	v_lshlrev_b64 v[2:3], 1, v[2:3]
	v_lshrrev_b32_e32 v52, 16, v43
	s_delay_alu instid0(VALU_DEP_2) | instskip(NEXT) | instid1(VALU_DEP_2)
	v_add_co_u32 v2, vcc_lo, s1, v2
	v_add_f16_e32 v43, v43, v52
	s_delay_alu instid0(VALU_DEP_4) | instskip(NEXT) | instid1(VALU_DEP_2)
	v_add_co_ci_u32_e32 v3, vcc_lo, s6, v3, vcc_lo
	v_add_f16_e32 v43, v43, v51
	s_delay_alu instid0(VALU_DEP_4) | instskip(NEXT) | instid1(VALU_DEP_3)
	v_add_co_u32 v51, vcc_lo, v2, v16
	v_add_co_ci_u32_e32 v52, vcc_lo, v3, v17, vcc_lo
	s_and_b32 vcc_lo, exec_lo, s0
	global_store_b16 v[51:52], v43, off
	s_cbranch_vccnz .LBB233_69
; %bb.68:
	v_add_co_u32 v50, vcc_lo, v1, v20
	v_add_co_ci_u32_e32 v51, vcc_lo, v24, v21, vcc_lo
	flat_load_u16 v43, v[50:51]
	s_waitcnt vmcnt(0) lgkmcnt(0)
	v_mul_f16_e32 v50, s15, v43
.LBB233_69:
	v_pk_min_f16 v43, v45, v44
	v_pk_min_f16 v51, v46, v0
	s_delay_alu instid0(VALU_DEP_2) | instskip(NEXT) | instid1(VALU_DEP_1)
	v_pk_add_f16 v42, v43, v42
	v_pk_add_f16 v42, v51, v42
	v_add_co_u32 v51, vcc_lo, v2, v20
	v_add_co_ci_u32_e32 v52, vcc_lo, v3, v21, vcc_lo
	s_delay_alu instid0(VALU_DEP_3) | instskip(SKIP_1) | instid1(VALU_DEP_1)
	v_lshrrev_b32_e32 v43, 16, v42
	s_and_b32 vcc_lo, exec_lo, s0
	v_add_f16_e32 v42, v42, v43
	v_mov_b32_e32 v43, 0
	s_delay_alu instid0(VALU_DEP_2)
	v_add_f16_e32 v50, v42, v50
	v_mov_b32_e32 v42, 0
	global_store_b16 v[51:52], v50, off
	s_cbranch_vccnz .LBB233_71
; %bb.70:
	v_add_co_u32 v50, vcc_lo, v1, v12
	v_add_co_ci_u32_e32 v51, vcc_lo, v24, v13, vcc_lo
	flat_load_u16 v43, v[50:51]
	s_waitcnt vmcnt(0) lgkmcnt(0)
	v_mul_f16_e32 v43, s15, v43
.LBB233_71:
	v_pk_min_f16 v50, v47, v44
	v_pk_min_f16 v51, v48, v0
	s_delay_alu instid0(VALU_DEP_2) | instskip(NEXT) | instid1(VALU_DEP_1)
	v_pk_add_f16 v41, v50, v41
	v_pk_add_f16 v41, v51, v41
	s_delay_alu instid0(VALU_DEP_1) | instskip(NEXT) | instid1(VALU_DEP_1)
	v_lshrrev_b32_e32 v50, 16, v41
	v_add_f16_e32 v41, v41, v50
	v_add_co_u32 v50, vcc_lo, v2, v12
	v_add_co_ci_u32_e32 v51, vcc_lo, v3, v13, vcc_lo
	s_delay_alu instid0(VALU_DEP_3)
	v_add_f16_e32 v41, v41, v43
	s_and_b32 vcc_lo, exec_lo, s0
	global_store_b16 v[50:51], v41, off
	s_cbranch_vccnz .LBB233_73
; %bb.72:
	v_add_co_u32 v41, vcc_lo, v1, v14
	v_add_co_ci_u32_e32 v42, vcc_lo, v24, v15, vcc_lo
	flat_load_u16 v41, v[41:42]
	s_waitcnt vmcnt(0) lgkmcnt(0)
	v_mul_f16_e32 v42, s15, v41
.LBB233_73:
	v_pk_min_f16 v41, v49, v44
	v_pk_min_f16 v43, v58, v0
	v_add_co_u32 v50, vcc_lo, v2, v14
	v_add_co_ci_u32_e32 v51, vcc_lo, v3, v15, vcc_lo
	s_delay_alu instid0(VALU_DEP_4) | instskip(SKIP_1) | instid1(VALU_DEP_1)
	v_pk_add_f16 v40, v41, v40
	s_and_b32 vcc_lo, exec_lo, s0
	v_pk_add_f16 v40, v43, v40
	s_delay_alu instid0(VALU_DEP_1) | instskip(NEXT) | instid1(VALU_DEP_1)
	v_lshrrev_b32_e32 v41, 16, v40
	v_add_f16_e32 v40, v40, v41
	v_mov_b32_e32 v41, 0
	s_delay_alu instid0(VALU_DEP_2)
	v_add_f16_e32 v42, v40, v42
	v_mov_b32_e32 v40, 0
	global_store_b16 v[50:51], v42, off
	s_cbranch_vccnz .LBB233_75
; %bb.74:
	v_add_co_u32 v41, vcc_lo, v1, v8
	v_add_co_ci_u32_e32 v42, vcc_lo, v24, v9, vcc_lo
	flat_load_u16 v41, v[41:42]
	s_waitcnt vmcnt(0) lgkmcnt(0)
	v_mul_f16_e32 v41, s15, v41
.LBB233_75:
	v_pk_min_f16 v42, v62, v44
	v_pk_min_f16 v43, v63, v0
	s_delay_alu instid0(VALU_DEP_2) | instskip(NEXT) | instid1(VALU_DEP_1)
	v_pk_add_f16 v39, v42, v39
	v_pk_add_f16 v39, v43, v39
	s_delay_alu instid0(VALU_DEP_1) | instskip(NEXT) | instid1(VALU_DEP_1)
	v_lshrrev_b32_e32 v42, 16, v39
	v_add_f16_e32 v39, v39, v42
	s_delay_alu instid0(VALU_DEP_1)
	v_add_f16_e32 v39, v39, v41
	v_add_co_u32 v41, vcc_lo, v2, v8
	v_add_co_ci_u32_e32 v42, vcc_lo, v3, v9, vcc_lo
	s_and_b32 vcc_lo, exec_lo, s0
	global_store_b16 v[41:42], v39, off
	s_cbranch_vccnz .LBB233_77
; %bb.76:
	v_add_co_u32 v39, vcc_lo, v1, v10
	v_add_co_ci_u32_e32 v40, vcc_lo, v24, v11, vcc_lo
	flat_load_u16 v39, v[39:40]
	s_waitcnt vmcnt(0) lgkmcnt(0)
	v_mul_f16_e32 v40, s15, v39
.LBB233_77:
	v_pk_min_f16 v39, v61, v44
	v_pk_min_f16 v41, v64, v0
	s_delay_alu instid0(VALU_DEP_2) | instskip(NEXT) | instid1(VALU_DEP_1)
	v_pk_add_f16 v38, v39, v38
	v_pk_add_f16 v38, v41, v38
	v_add_co_u32 v41, vcc_lo, v2, v10
	v_add_co_ci_u32_e32 v42, vcc_lo, v3, v11, vcc_lo
	s_delay_alu instid0(VALU_DEP_3) | instskip(SKIP_1) | instid1(VALU_DEP_1)
	v_lshrrev_b32_e32 v39, 16, v38
	s_and_b32 vcc_lo, exec_lo, s0
	v_add_f16_e32 v38, v38, v39
	v_mov_b32_e32 v39, 0
	s_delay_alu instid0(VALU_DEP_2)
	v_add_f16_e32 v40, v38, v40
	v_mov_b32_e32 v38, 0
	global_store_b16 v[41:42], v40, off
	s_cbranch_vccnz .LBB233_79
; %bb.78:
	v_add_co_u32 v39, vcc_lo, v1, v4
	v_add_co_ci_u32_e32 v40, vcc_lo, v24, v5, vcc_lo
	flat_load_u16 v39, v[39:40]
	s_waitcnt vmcnt(0) lgkmcnt(0)
	v_mul_f16_e32 v39, s15, v39
.LBB233_79:
	v_pk_min_f16 v40, v60, v44
	v_pk_min_f16 v41, v65, v0
	s_delay_alu instid0(VALU_DEP_2) | instskip(NEXT) | instid1(VALU_DEP_1)
	v_pk_add_f16 v37, v40, v37
	v_pk_add_f16 v37, v41, v37
	s_delay_alu instid0(VALU_DEP_1) | instskip(NEXT) | instid1(VALU_DEP_1)
	v_lshrrev_b32_e32 v40, 16, v37
	v_add_f16_e32 v37, v37, v40
	s_delay_alu instid0(VALU_DEP_1)
	v_add_f16_e32 v37, v37, v39
	v_add_co_u32 v39, vcc_lo, v2, v4
	v_add_co_ci_u32_e32 v40, vcc_lo, v3, v5, vcc_lo
	s_and_b32 vcc_lo, exec_lo, s0
	global_store_b16 v[39:40], v37, off
	s_cbranch_vccnz .LBB233_81
; %bb.80:
	v_add_co_u32 v37, vcc_lo, v1, v6
	v_add_co_ci_u32_e32 v38, vcc_lo, v24, v7, vcc_lo
	flat_load_u16 v1, v[37:38]
	s_waitcnt vmcnt(0) lgkmcnt(0)
	v_mul_f16_e32 v38, s15, v1
.LBB233_81:
	v_pk_min_f16 v1, v22, v44
	v_pk_min_f16 v24, v23, v0
	v_add_nc_u32_e32 v25, 0x60, v25
	v_add_co_u32 v2, vcc_lo, v2, v6
	s_delay_alu instid0(VALU_DEP_4) | instskip(SKIP_1) | instid1(VALU_DEP_2)
	v_pk_add_f16 v36, v1, v36
	v_add_co_ci_u32_e32 v3, vcc_lo, v3, v7, vcc_lo
	v_pk_add_f16 v24, v24, v36
	s_delay_alu instid0(VALU_DEP_1) | instskip(NEXT) | instid1(VALU_DEP_1)
	v_lshrrev_b32_e32 v36, 16, v24
	v_add_f16_e32 v24, v24, v36
	v_mov_b32_e32 v36, 0
	s_delay_alu instid0(VALU_DEP_2) | instskip(SKIP_4) | instid1(VALU_DEP_1)
	v_add_f16_e32 v37, v24, v38
	v_mov_b32_e32 v24, 0
	v_mad_i64_i32 v[0:1], null, v25, s8, 0
	global_store_b16 v[2:3], v37, off
	v_lshlrev_b64 v[0:1], 1, v[0:1]
	v_add_co_u32 v0, vcc_lo, s4, v0
	s_delay_alu instid0(VALU_DEP_2)
	v_add_co_ci_u32_e32 v1, vcc_lo, s5, v1, vcc_lo
	s_and_b32 vcc_lo, exec_lo, s0
	s_cbranch_vccnz .LBB233_83
; %bb.82:
	s_delay_alu instid0(VALU_DEP_2) | instskip(NEXT) | instid1(VALU_DEP_2)
	v_add_co_u32 v2, vcc_lo, v0, v16
	v_add_co_ci_u32_e32 v3, vcc_lo, v1, v17, vcc_lo
	flat_load_u16 v2, v[2:3]
	s_waitcnt vmcnt(0) lgkmcnt(0)
	v_mul_f16_e32 v36, s15, v2
.LBB233_83:
	v_pk_max_f16 v2, v18, v18
	v_pk_max_f16 v3, v19, v19
	s_delay_alu instid0(VALU_DEP_2) | instskip(NEXT) | instid1(VALU_DEP_2)
	v_pk_min_f16 v18, v26, v2
	v_pk_min_f16 v26, v27, v3
	s_delay_alu instid0(VALU_DEP_2) | instskip(SKIP_1) | instid1(VALU_DEP_2)
	v_pk_add_f16 v27, v18, v35
	v_mad_i64_i32 v[18:19], null, v25, s3, 0
	v_pk_add_f16 v25, v26, v27
	s_delay_alu instid0(VALU_DEP_2) | instskip(NEXT) | instid1(VALU_DEP_2)
	v_lshlrev_b64 v[18:19], 1, v[18:19]
	v_lshrrev_b32_e32 v26, 16, v25
	s_delay_alu instid0(VALU_DEP_2) | instskip(NEXT) | instid1(VALU_DEP_2)
	v_add_co_u32 v18, vcc_lo, s1, v18
	v_add_f16_e32 v25, v25, v26
	s_delay_alu instid0(VALU_DEP_4) | instskip(NEXT) | instid1(VALU_DEP_3)
	v_add_co_ci_u32_e32 v19, vcc_lo, s6, v19, vcc_lo
	v_add_co_u32 v16, vcc_lo, v18, v16
	s_delay_alu instid0(VALU_DEP_3) | instskip(NEXT) | instid1(VALU_DEP_3)
	v_add_f16_e32 v25, v25, v36
	v_add_co_ci_u32_e32 v17, vcc_lo, v19, v17, vcc_lo
	s_and_b32 vcc_lo, exec_lo, s0
	global_store_b16 v[16:17], v25, off
	s_cbranch_vccnz .LBB233_85
; %bb.84:
	v_add_co_u32 v16, vcc_lo, v0, v20
	v_add_co_ci_u32_e32 v17, vcc_lo, v1, v21, vcc_lo
	flat_load_u16 v16, v[16:17]
	s_waitcnt vmcnt(0) lgkmcnt(0)
	v_mul_f16_e32 v24, s15, v16
.LBB233_85:
	v_pk_min_f16 v16, v45, v2
	v_pk_min_f16 v17, v46, v3
	v_add_co_u32 v20, vcc_lo, v18, v20
	v_add_co_ci_u32_e32 v21, vcc_lo, v19, v21, vcc_lo
	s_delay_alu instid0(VALU_DEP_4) | instskip(SKIP_1) | instid1(VALU_DEP_1)
	v_pk_add_f16 v16, v16, v34
	s_and_b32 vcc_lo, exec_lo, s0
	v_pk_add_f16 v16, v17, v16
	s_delay_alu instid0(VALU_DEP_1) | instskip(NEXT) | instid1(VALU_DEP_1)
	v_lshrrev_b32_e32 v17, 16, v16
	v_add_f16_e32 v16, v16, v17
	v_mov_b32_e32 v17, 0
	s_delay_alu instid0(VALU_DEP_2)
	v_add_f16_e32 v24, v16, v24
	v_mov_b32_e32 v16, 0
	global_store_b16 v[20:21], v24, off
	s_cbranch_vccnz .LBB233_87
; %bb.86:
	v_add_co_u32 v20, vcc_lo, v0, v12
	v_add_co_ci_u32_e32 v21, vcc_lo, v1, v13, vcc_lo
	flat_load_u16 v17, v[20:21]
	s_waitcnt vmcnt(0) lgkmcnt(0)
	v_mul_f16_e32 v17, s15, v17
.LBB233_87:
	v_pk_min_f16 v20, v47, v2
	v_pk_min_f16 v21, v48, v3
	v_add_co_u32 v12, vcc_lo, v18, v12
	v_add_co_ci_u32_e32 v13, vcc_lo, v19, v13, vcc_lo
	s_delay_alu instid0(VALU_DEP_4) | instskip(SKIP_1) | instid1(VALU_DEP_1)
	v_pk_add_f16 v20, v20, v33
	s_and_b32 vcc_lo, exec_lo, s0
	v_pk_add_f16 v20, v21, v20
	s_delay_alu instid0(VALU_DEP_1) | instskip(NEXT) | instid1(VALU_DEP_1)
	v_lshrrev_b32_e32 v21, 16, v20
	v_add_f16_e32 v20, v20, v21
	s_delay_alu instid0(VALU_DEP_1)
	v_add_f16_e32 v17, v20, v17
	global_store_b16 v[12:13], v17, off
	s_cbranch_vccnz .LBB233_89
; %bb.88:
	v_add_co_u32 v12, vcc_lo, v0, v14
	v_add_co_ci_u32_e32 v13, vcc_lo, v1, v15, vcc_lo
	flat_load_u16 v12, v[12:13]
	s_waitcnt vmcnt(0) lgkmcnt(0)
	v_mul_f16_e32 v16, s15, v12
.LBB233_89:
	v_pk_min_f16 v12, v49, v2
	v_pk_min_f16 v13, v58, v3
	v_add_co_u32 v14, vcc_lo, v18, v14
	v_add_co_ci_u32_e32 v15, vcc_lo, v19, v15, vcc_lo
	s_delay_alu instid0(VALU_DEP_4) | instskip(SKIP_1) | instid1(VALU_DEP_1)
	v_pk_add_f16 v12, v12, v32
	s_and_b32 vcc_lo, exec_lo, s0
	v_pk_add_f16 v12, v13, v12
	s_delay_alu instid0(VALU_DEP_1) | instskip(NEXT) | instid1(VALU_DEP_1)
	v_lshrrev_b32_e32 v13, 16, v12
	v_add_f16_e32 v12, v12, v13
	v_mov_b32_e32 v13, 0
	s_delay_alu instid0(VALU_DEP_2)
	v_add_f16_e32 v16, v12, v16
	v_mov_b32_e32 v12, 0
	global_store_b16 v[14:15], v16, off
	s_cbranch_vccnz .LBB233_91
; %bb.90:
	v_add_co_u32 v13, vcc_lo, v0, v8
	v_add_co_ci_u32_e32 v14, vcc_lo, v1, v9, vcc_lo
	flat_load_u16 v13, v[13:14]
	s_waitcnt vmcnt(0) lgkmcnt(0)
	v_mul_f16_e32 v13, s15, v13
.LBB233_91:
	v_pk_min_f16 v14, v62, v2
	v_pk_min_f16 v15, v63, v3
	v_add_co_u32 v8, vcc_lo, v18, v8
	v_add_co_ci_u32_e32 v9, vcc_lo, v19, v9, vcc_lo
	s_delay_alu instid0(VALU_DEP_4) | instskip(SKIP_1) | instid1(VALU_DEP_1)
	v_pk_add_f16 v14, v14, v30
	s_and_b32 vcc_lo, exec_lo, s0
	v_pk_add_f16 v14, v15, v14
	s_delay_alu instid0(VALU_DEP_1) | instskip(NEXT) | instid1(VALU_DEP_1)
	v_lshrrev_b32_e32 v15, 16, v14
	v_add_f16_e32 v14, v14, v15
	s_delay_alu instid0(VALU_DEP_1)
	v_add_f16_e32 v13, v14, v13
	global_store_b16 v[8:9], v13, off
	s_cbranch_vccnz .LBB233_93
; %bb.92:
	v_add_co_u32 v8, vcc_lo, v0, v10
	v_add_co_ci_u32_e32 v9, vcc_lo, v1, v11, vcc_lo
	flat_load_u16 v8, v[8:9]
	s_waitcnt vmcnt(0) lgkmcnt(0)
	v_mul_f16_e32 v12, s15, v8
.LBB233_93:
	v_pk_min_f16 v8, v61, v2
	v_pk_min_f16 v9, v64, v3
	;; [unrolled: 1-line block ×3, first 2 shown]
	s_delay_alu instid0(VALU_DEP_3) | instskip(NEXT) | instid1(VALU_DEP_2)
	v_pk_add_f16 v8, v8, v29
	v_pk_add_f16 v13, v13, v31
	s_delay_alu instid0(VALU_DEP_2) | instskip(SKIP_1) | instid1(VALU_DEP_2)
	v_pk_add_f16 v8, v9, v8
	v_pk_min_f16 v9, v65, v3
	v_lshrrev_b32_e32 v14, 16, v8
	s_delay_alu instid0(VALU_DEP_2) | instskip(SKIP_2) | instid1(VALU_DEP_4)
	v_pk_add_f16 v13, v9, v13
	v_add_co_u32 v9, vcc_lo, v18, v10
	v_add_co_ci_u32_e32 v10, vcc_lo, v19, v11, vcc_lo
	v_add_f16_e32 v8, v8, v14
	s_delay_alu instid0(VALU_DEP_4) | instskip(SKIP_1) | instid1(VALU_DEP_2)
	v_lshrrev_b32_e32 v11, 16, v13
	s_mov_b32 vcc_lo, s2
	v_add_f16_e32 v12, v8, v12
	s_delay_alu instid0(VALU_DEP_2)
	v_add_f16_e32 v8, v13, v11
	global_store_b16 v[9:10], v12, off
	s_cbranch_vccz .LBB233_96
; %bb.94:
	v_add_co_u32 v9, vcc_lo, v18, v4
	v_add_f16_e32 v11, 0, v8
	v_add_co_ci_u32_e32 v10, vcc_lo, v19, v5, vcc_lo
	s_mov_b32 s0, 0
	global_store_b16 v[9:10], v11, off
	s_cbranch_execz .LBB233_97
; %bb.95:
	v_mov_b32_e32 v0, s0
	s_branch .LBB233_98
.LBB233_96:
	s_mov_b32 s0, -1
.LBB233_97:
	v_add_co_u32 v9, vcc_lo, v0, v4
	v_add_co_ci_u32_e32 v10, vcc_lo, v1, v5, vcc_lo
	v_add_co_u32 v4, vcc_lo, v18, v4
	v_add_co_ci_u32_e32 v5, vcc_lo, v19, v5, vcc_lo
	flat_load_u16 v9, v[9:10]
	v_add_co_u32 v0, vcc_lo, v0, v6
	v_add_co_ci_u32_e32 v1, vcc_lo, v1, v7, vcc_lo
	s_waitcnt vmcnt(0) lgkmcnt(0)
	v_fmac_f16_e32 v8, s15, v9
	global_store_b16 v[4:5], v8, off
	flat_load_u16 v0, v[0:1]
	s_waitcnt vmcnt(0) lgkmcnt(0)
	v_mul_f16_e32 v0, s15, v0
.LBB233_98:
	v_pk_min_f16 v1, v22, v2
	v_pk_min_f16 v2, v23, v3
	s_delay_alu instid0(VALU_DEP_2) | instskip(NEXT) | instid1(VALU_DEP_1)
	v_pk_add_f16 v1, v1, v28
	v_pk_add_f16 v1, v2, v1
	s_delay_alu instid0(VALU_DEP_1) | instskip(NEXT) | instid1(VALU_DEP_1)
	v_lshrrev_b32_e32 v2, 16, v1
	v_add_f16_e32 v1, v1, v2
	s_delay_alu instid0(VALU_DEP_1)
	v_add_f16_e32 v2, v1, v0
	v_add_co_u32 v0, vcc_lo, v18, v6
	v_add_co_ci_u32_e32 v1, vcc_lo, v19, v7, vcc_lo
	global_store_b16 v[0:1], v2, off
	s_nop 0
	s_sendmsg sendmsg(MSG_DEALLOC_VGPRS)
	s_endpgm
	.section	.rodata,"a",@progbits
	.p2align	6, 0x0
	.amdhsa_kernel _ZN12_GLOBAL__N_120geam_min_plus_kernelIDF16_Dv2_DF16_S1_Li8ELi32ELi64ELi128ELi4ELi64ELi4ELi4ELi64ELc78ELc78ELb0ELb0ELb0EDF16_KPKDF16_KPDF16_EEviiiT16_PT17_ilS9_ilS7_S9_ilPT18_ili26rocblas_geam_ex_operation_
		.amdhsa_group_segment_fixed_size 3072
		.amdhsa_private_segment_fixed_size 0
		.amdhsa_kernarg_size 128
		.amdhsa_user_sgpr_count 14
		.amdhsa_user_sgpr_dispatch_ptr 0
		.amdhsa_user_sgpr_queue_ptr 0
		.amdhsa_user_sgpr_kernarg_segment_ptr 1
		.amdhsa_user_sgpr_dispatch_id 0
		.amdhsa_user_sgpr_private_segment_size 0
		.amdhsa_wavefront_size32 1
		.amdhsa_uses_dynamic_stack 0
		.amdhsa_enable_private_segment 0
		.amdhsa_system_sgpr_workgroup_id_x 1
		.amdhsa_system_sgpr_workgroup_id_y 0
		.amdhsa_system_sgpr_workgroup_id_z 1
		.amdhsa_system_sgpr_workgroup_info 0
		.amdhsa_system_vgpr_workitem_id 1
		.amdhsa_next_free_vgpr 123
		.amdhsa_next_free_sgpr 24
		.amdhsa_reserve_vcc 1
		.amdhsa_float_round_mode_32 0
		.amdhsa_float_round_mode_16_64 0
		.amdhsa_float_denorm_mode_32 3
		.amdhsa_float_denorm_mode_16_64 3
		.amdhsa_dx10_clamp 1
		.amdhsa_ieee_mode 1
		.amdhsa_fp16_overflow 0
		.amdhsa_workgroup_processor_mode 1
		.amdhsa_memory_ordered 1
		.amdhsa_forward_progress 0
		.amdhsa_shared_vgpr_count 0
		.amdhsa_exception_fp_ieee_invalid_op 0
		.amdhsa_exception_fp_denorm_src 0
		.amdhsa_exception_fp_ieee_div_zero 0
		.amdhsa_exception_fp_ieee_overflow 0
		.amdhsa_exception_fp_ieee_underflow 0
		.amdhsa_exception_fp_ieee_inexact 0
		.amdhsa_exception_int_div_zero 0
	.end_amdhsa_kernel
	.section	.text._ZN12_GLOBAL__N_120geam_min_plus_kernelIDF16_Dv2_DF16_S1_Li8ELi32ELi64ELi128ELi4ELi64ELi4ELi4ELi64ELc78ELc78ELb0ELb0ELb0EDF16_KPKDF16_KPDF16_EEviiiT16_PT17_ilS9_ilS7_S9_ilPT18_ili26rocblas_geam_ex_operation_,"axG",@progbits,_ZN12_GLOBAL__N_120geam_min_plus_kernelIDF16_Dv2_DF16_S1_Li8ELi32ELi64ELi128ELi4ELi64ELi4ELi4ELi64ELc78ELc78ELb0ELb0ELb0EDF16_KPKDF16_KPDF16_EEviiiT16_PT17_ilS9_ilS7_S9_ilPT18_ili26rocblas_geam_ex_operation_,comdat
.Lfunc_end233:
	.size	_ZN12_GLOBAL__N_120geam_min_plus_kernelIDF16_Dv2_DF16_S1_Li8ELi32ELi64ELi128ELi4ELi64ELi4ELi4ELi64ELc78ELc78ELb0ELb0ELb0EDF16_KPKDF16_KPDF16_EEviiiT16_PT17_ilS9_ilS7_S9_ilPT18_ili26rocblas_geam_ex_operation_, .Lfunc_end233-_ZN12_GLOBAL__N_120geam_min_plus_kernelIDF16_Dv2_DF16_S1_Li8ELi32ELi64ELi128ELi4ELi64ELi4ELi4ELi64ELc78ELc78ELb0ELb0ELb0EDF16_KPKDF16_KPDF16_EEviiiT16_PT17_ilS9_ilS7_S9_ilPT18_ili26rocblas_geam_ex_operation_
                                        ; -- End function
	.section	.AMDGPU.csdata,"",@progbits
; Kernel info:
; codeLenInByte = 10204
; NumSgprs: 26
; NumVgprs: 123
; ScratchSize: 0
; MemoryBound: 0
; FloatMode: 240
; IeeeMode: 1
; LDSByteSize: 3072 bytes/workgroup (compile time only)
; SGPRBlocks: 3
; VGPRBlocks: 15
; NumSGPRsForWavesPerEU: 26
; NumVGPRsForWavesPerEU: 123
; Occupancy: 10
; WaveLimiterHint : 1
; COMPUTE_PGM_RSRC2:SCRATCH_EN: 0
; COMPUTE_PGM_RSRC2:USER_SGPR: 14
; COMPUTE_PGM_RSRC2:TRAP_HANDLER: 0
; COMPUTE_PGM_RSRC2:TGID_X_EN: 1
; COMPUTE_PGM_RSRC2:TGID_Y_EN: 0
; COMPUTE_PGM_RSRC2:TGID_Z_EN: 1
; COMPUTE_PGM_RSRC2:TIDIG_COMP_CNT: 1
	.section	.text._ZN12_GLOBAL__N_120geam_min_plus_kernelIDF16_Dv2_DF16_S1_Li8ELi32ELi64ELi128ELi4ELi64ELi4ELi4ELi64ELc78ELc78ELb0ELb1ELb0EPKDF16_KS3_KPDF16_EEviiiT16_PT17_ilS9_ilS7_S9_ilPT18_ili26rocblas_geam_ex_operation_,"axG",@progbits,_ZN12_GLOBAL__N_120geam_min_plus_kernelIDF16_Dv2_DF16_S1_Li8ELi32ELi64ELi128ELi4ELi64ELi4ELi4ELi64ELc78ELc78ELb0ELb1ELb0EPKDF16_KS3_KPDF16_EEviiiT16_PT17_ilS9_ilS7_S9_ilPT18_ili26rocblas_geam_ex_operation_,comdat
	.globl	_ZN12_GLOBAL__N_120geam_min_plus_kernelIDF16_Dv2_DF16_S1_Li8ELi32ELi64ELi128ELi4ELi64ELi4ELi4ELi64ELc78ELc78ELb0ELb1ELb0EPKDF16_KS3_KPDF16_EEviiiT16_PT17_ilS9_ilS7_S9_ilPT18_ili26rocblas_geam_ex_operation_ ; -- Begin function _ZN12_GLOBAL__N_120geam_min_plus_kernelIDF16_Dv2_DF16_S1_Li8ELi32ELi64ELi128ELi4ELi64ELi4ELi4ELi64ELc78ELc78ELb0ELb1ELb0EPKDF16_KS3_KPDF16_EEviiiT16_PT17_ilS9_ilS7_S9_ilPT18_ili26rocblas_geam_ex_operation_
	.p2align	8
	.type	_ZN12_GLOBAL__N_120geam_min_plus_kernelIDF16_Dv2_DF16_S1_Li8ELi32ELi64ELi128ELi4ELi64ELi4ELi4ELi64ELc78ELc78ELb0ELb1ELb0EPKDF16_KS3_KPDF16_EEviiiT16_PT17_ilS9_ilS7_S9_ilPT18_ili26rocblas_geam_ex_operation_,@function
_ZN12_GLOBAL__N_120geam_min_plus_kernelIDF16_Dv2_DF16_S1_Li8ELi32ELi64ELi128ELi4ELi64ELi4ELi4ELi64ELc78ELc78ELb0ELb1ELb0EPKDF16_KS3_KPDF16_EEviiiT16_PT17_ilS9_ilS7_S9_ilPT18_ili26rocblas_geam_ex_operation_: ; @_ZN12_GLOBAL__N_120geam_min_plus_kernelIDF16_Dv2_DF16_S1_Li8ELi32ELi64ELi128ELi4ELi64ELi4ELi4ELi64ELc78ELc78ELb0ELb1ELb0EPKDF16_KS3_KPDF16_EEviiiT16_PT17_ilS9_ilS7_S9_ilPT18_ili26rocblas_geam_ex_operation_
; %bb.0:
	s_clause 0x1
	s_load_b128 s[16:19], s[0:1], 0x10
	s_load_b128 s[4:7], s[0:1], 0x40
	s_mov_b32 s22, s15
	s_mov_b32 s23, 0
	v_mov_b32_e32 v1, 0
	s_lshl_b64 s[2:3], s[22:23], 1
	s_load_b128 s[8:11], s[0:1], 0x28
	s_mov_b64 s[20:21], 0
	s_waitcnt lgkmcnt(0)
	s_add_u32 s12, s16, s2
	s_addc_u32 s13, s17, s3
	s_load_b64 s[16:17], s[0:1], 0x50
	global_load_u16 v32, v1, s[12:13]
	s_add_u32 s2, s6, s2
	s_addc_u32 s3, s7, s3
	global_load_u16 v42, v1, s[2:3]
	s_mov_b64 s[12:13], 0
	s_waitcnt vmcnt(1)
	v_cmp_eq_f16_e32 vcc_lo, 0, v32
	v_cmp_neq_f16_e64 s3, 0, v32
	s_cbranch_vccnz .LBB234_2
; %bb.1:
	s_lshl_b64 s[6:7], s[22:23], 3
	s_delay_alu instid0(SALU_CYCLE_1)
	s_add_u32 s6, s18, s6
	s_addc_u32 s7, s19, s7
	s_lshl_b64 s[8:9], s[8:9], 1
	s_load_b64 s[6:7], s[6:7], 0x0
	s_waitcnt lgkmcnt(0)
	s_add_u32 s20, s6, s8
	s_addc_u32 s21, s7, s9
.LBB234_2:
	s_delay_alu instid0(VALU_DEP_1)
	s_and_not1_b32 vcc_lo, exec_lo, s3
	s_cbranch_vccnz .LBB234_4
; %bb.3:
	s_lshl_b64 s[6:7], s[22:23], 3
	s_delay_alu instid0(SALU_CYCLE_1)
	s_add_u32 s6, s10, s6
	s_addc_u32 s7, s11, s7
	s_lshl_b64 s[4:5], s[4:5], 1
	s_load_b64 s[6:7], s[6:7], 0x0
	s_waitcnt lgkmcnt(0)
	s_add_u32 s12, s6, s4
	s_addc_u32 s13, s7, s5
.LBB234_4:
	s_load_b128 s[4:7], s[0:1], 0x60
	s_waitcnt vmcnt(0)
	v_cmp_eq_f16_e32 vcc_lo, 0, v42
	v_cmp_neq_f16_e64 s2, 0, v42
	s_cbranch_vccnz .LBB234_6
; %bb.5:
	s_lshl_b64 s[8:9], s[22:23], 3
	s_waitcnt lgkmcnt(0)
	s_add_u32 s8, s16, s8
	s_addc_u32 s9, s17, s9
	s_lshl_b64 s[4:5], s[4:5], 1
	s_load_b64 s[8:9], s[8:9], 0x0
	s_waitcnt lgkmcnt(0)
	s_add_u32 s10, s8, s4
	s_addc_u32 s11, s9, s5
	s_branch .LBB234_7
.LBB234_6:
	s_mov_b64 s[10:11], 0
.LBB234_7:
	s_load_b32 s8, s[0:1], 0x20
	s_waitcnt lgkmcnt(0)
	s_load_b128 s[16:19], s[0:1], 0x0
	s_lshl_b64 s[4:5], s[22:23], 3
	v_and_b32_e32 v33, 0x3ff, v0
	v_bfe_u32 v34, v0, 10, 10
	v_dual_mov_b32 v9, 0 :: v_dual_mov_b32 v8, 0
	s_delay_alu instid0(VALU_DEP_2) | instskip(NEXT) | instid1(VALU_DEP_1)
	v_lshl_add_u32 v2, v34, 3, v33
	v_and_b32_e32 v7, 63, v2
	v_lshrrev_b32_e32 v35, 6, v2
	s_ashr_i32 s9, s8, 31
	s_add_u32 s6, s6, s4
	s_addc_u32 s7, s7, s5
	s_waitcnt lgkmcnt(0)
	s_add_i32 s4, s16, -1
	s_load_b64 s[6:7], s[6:7], 0x0
	s_ashr_i32 s5, s4, 31
	s_delay_alu instid0(SALU_CYCLE_1) | instskip(NEXT) | instid1(SALU_CYCLE_1)
	s_lshr_b32 s5, s5, 26
	s_add_i32 s4, s4, s5
	s_delay_alu instid0(SALU_CYCLE_1) | instskip(NEXT) | instid1(SALU_CYCLE_1)
	s_ashr_i32 s4, s4, 6
	s_add_i32 s15, s4, 1
	s_not_b32 s4, s4
	v_cvt_f32_u32_e32 v1, s15
	s_delay_alu instid0(VALU_DEP_1) | instskip(SKIP_2) | instid1(VALU_DEP_1)
	v_rcp_iflag_f32_e32 v1, v1
	s_waitcnt_depctr 0xfff
	v_mul_f32_e32 v1, 0x4f7ffffe, v1
	v_cvt_u32_f32_e32 v1, v1
	s_delay_alu instid0(VALU_DEP_1) | instskip(NEXT) | instid1(VALU_DEP_1)
	v_readfirstlane_b32 s5, v1
	s_mul_i32 s4, s4, s5
	s_delay_alu instid0(SALU_CYCLE_1) | instskip(NEXT) | instid1(SALU_CYCLE_1)
	s_mul_hi_u32 s4, s5, s4
	s_add_i32 s5, s5, s4
	s_delay_alu instid0(SALU_CYCLE_1) | instskip(NEXT) | instid1(SALU_CYCLE_1)
	s_mul_hi_u32 s4, s14, s5
	s_mul_i32 s5, s4, s15
	s_add_i32 s19, s4, 1
	s_sub_i32 s5, s14, s5
	s_delay_alu instid0(SALU_CYCLE_1)
	s_sub_i32 s22, s5, s15
	s_cmp_ge_u32 s5, s15
	s_cselect_b32 s4, s19, s4
	s_cselect_b32 s5, s22, s5
	s_add_i32 s19, s4, 1
	s_cmp_ge_u32 s5, s15
	s_cselect_b32 s5, s19, s4
	s_delay_alu instid0(SALU_CYCLE_1) | instskip(NEXT) | instid1(SALU_CYCLE_1)
	s_mul_i32 s4, s5, s15
	s_sub_i32 s4, s14, s4
	s_delay_alu instid0(SALU_CYCLE_1) | instskip(SKIP_2) | instid1(VALU_DEP_1)
	s_lshl_b32 s14, s4, 6
	v_cmp_gt_i32_e64 s4, s18, v35
	v_or_b32_e32 v0, s14, v7
	v_cmp_gt_i32_e32 vcc_lo, s16, v0
	v_ashrrev_i32_e32 v1, 31, v0
	s_delay_alu instid0(VALU_DEP_4) | instskip(NEXT) | instid1(SALU_CYCLE_1)
	s_and_b32 s4, s4, vcc_lo
	s_and_b32 s4, s3, s4
	s_delay_alu instid0(SALU_CYCLE_1)
	s_and_saveexec_b32 s15, s4
	s_cbranch_execz .LBB234_9
; %bb.8:
	v_mad_i64_i32 v[3:4], null, s8, v35, 0
	v_lshlrev_b64 v[5:6], 1, v[0:1]
	s_delay_alu instid0(VALU_DEP_2) | instskip(NEXT) | instid1(VALU_DEP_1)
	v_lshlrev_b64 v[3:4], 1, v[3:4]
	v_add_co_u32 v3, s4, s20, v3
	s_delay_alu instid0(VALU_DEP_1) | instskip(NEXT) | instid1(VALU_DEP_2)
	v_add_co_ci_u32_e64 v4, s4, s21, v4, s4
	v_add_co_u32 v3, s4, v3, v5
	s_delay_alu instid0(VALU_DEP_1)
	v_add_co_ci_u32_e64 v4, s4, v4, v6, s4
	flat_load_u16 v3, v[3:4]
	s_waitcnt vmcnt(0) lgkmcnt(0)
	v_mul_f16_e32 v9, v32, v3
.LBB234_9:
	s_or_b32 exec_lo, exec_lo, s15
	v_and_b32_e32 v36, 3, v33
	s_add_i32 s19, s18, -1
	v_lshrrev_b32_e32 v10, 2, v2
	s_load_b32 s25, s[0:1], 0x38
	s_lshl_b32 s15, s5, 7
	v_min_i32_e32 v3, s19, v36
	s_xor_b32 s23, s3, -1
	v_add_nc_u32_e32 v2, s15, v10
	v_cmp_le_i32_e64 s4, s18, v36
	s_delay_alu instid0(VALU_DEP_3) | instskip(NEXT) | instid1(VALU_DEP_3)
	v_ashrrev_i32_e32 v4, 31, v3
	v_cmp_le_i32_e64 s5, s17, v2
	s_delay_alu instid0(VALU_DEP_2) | instskip(NEXT) | instid1(VALU_DEP_2)
	v_lshlrev_b64 v[3:4], 1, v[3:4]
	s_or_b32 s22, s5, s23
	s_delay_alu instid0(VALU_DEP_1) | instskip(NEXT) | instid1(VALU_DEP_1)
	v_add_co_u32 v5, s5, s12, v3
	v_add_co_ci_u32_e64 v6, s5, s13, v4, s5
	s_or_b32 s5, s4, s22
	s_delay_alu instid0(SALU_CYCLE_1) | instskip(NEXT) | instid1(SALU_CYCLE_1)
	s_xor_b32 s5, s5, -1
	s_and_saveexec_b32 s24, s5
	s_cbranch_execz .LBB234_11
; %bb.10:
	s_waitcnt lgkmcnt(0)
	v_mad_i64_i32 v[3:4], null, v2, s25, 0
	s_delay_alu instid0(VALU_DEP_1) | instskip(NEXT) | instid1(VALU_DEP_1)
	v_lshlrev_b64 v[3:4], 1, v[3:4]
	v_add_co_u32 v3, s5, v5, v3
	s_delay_alu instid0(VALU_DEP_1)
	v_add_co_ci_u32_e64 v4, s5, v6, v4, s5
	flat_load_u16 v3, v[3:4]
	s_waitcnt vmcnt(0) lgkmcnt(0)
	v_mul_f16_e32 v8, v32, v3
.LBB234_11:
	s_or_b32 exec_lo, exec_lo, s24
	v_dual_mov_b32 v4, 0 :: v_dual_add_nc_u32 v3, 64, v2
	v_mov_b32_e32 v11, 0
	s_delay_alu instid0(VALU_DEP_2) | instskip(NEXT) | instid1(VALU_DEP_1)
	v_cmp_le_i32_e64 s5, s17, v3
	s_or_b32 s23, s5, s23
	s_delay_alu instid0(SALU_CYCLE_1) | instskip(NEXT) | instid1(SALU_CYCLE_1)
	s_or_b32 s4, s4, s23
	s_xor_b32 s4, s4, -1
	s_delay_alu instid0(SALU_CYCLE_1)
	s_and_saveexec_b32 s5, s4
	s_cbranch_execz .LBB234_13
; %bb.12:
	s_waitcnt lgkmcnt(0)
	v_mad_i64_i32 v[11:12], null, v3, s25, 0
	s_delay_alu instid0(VALU_DEP_1) | instskip(NEXT) | instid1(VALU_DEP_1)
	v_lshlrev_b64 v[11:12], 1, v[11:12]
	v_add_co_u32 v5, s4, v5, v11
	s_delay_alu instid0(VALU_DEP_1)
	v_add_co_ci_u32_e64 v6, s4, v6, v12, s4
	flat_load_u16 v5, v[5:6]
	s_waitcnt vmcnt(0) lgkmcnt(0)
	v_mul_f16_e32 v11, v32, v5
.LBB234_13:
	s_or_b32 exec_lo, exec_lo, s5
	v_add_nc_u32_e32 v5, 4, v35
	s_delay_alu instid0(VALU_DEP_1) | instskip(NEXT) | instid1(VALU_DEP_1)
	v_cmp_gt_i32_e64 s4, s18, v5
	s_and_b32 s4, vcc_lo, s4
	s_delay_alu instid0(SALU_CYCLE_1) | instskip(NEXT) | instid1(SALU_CYCLE_1)
	s_and_b32 s4, s3, s4
	s_and_saveexec_b32 s5, s4
	s_cbranch_execz .LBB234_15
; %bb.14:
	v_mad_u64_u32 v[12:13], null, s8, v5, 0
	s_delay_alu instid0(VALU_DEP_1) | instskip(NEXT) | instid1(VALU_DEP_1)
	v_mov_b32_e32 v4, v13
	v_mad_u64_u32 v[13:14], null, s9, v5, v[4:5]
	s_delay_alu instid0(VALU_DEP_1) | instskip(SKIP_1) | instid1(VALU_DEP_2)
	v_lshlrev_b64 v[4:5], 1, v[12:13]
	v_lshlrev_b64 v[12:13], 1, v[0:1]
	v_add_co_u32 v4, s4, s20, v4
	s_delay_alu instid0(VALU_DEP_1) | instskip(NEXT) | instid1(VALU_DEP_2)
	v_add_co_ci_u32_e64 v5, s4, s21, v5, s4
	v_add_co_u32 v4, s4, v4, v12
	s_delay_alu instid0(VALU_DEP_1)
	v_add_co_ci_u32_e64 v5, s4, v5, v13, s4
	flat_load_u16 v4, v[4:5]
	s_waitcnt vmcnt(0) lgkmcnt(0)
	v_mul_f16_e32 v4, v32, v4
.LBB234_15:
	s_or_b32 exec_lo, exec_lo, s5
	v_or_b32_e32 v14, 4, v36
	s_delay_alu instid0(VALU_DEP_1) | instskip(SKIP_1) | instid1(VALU_DEP_2)
	v_min_i32_e32 v5, s19, v14
	v_cmp_le_i32_e64 s4, s18, v14
	v_ashrrev_i32_e32 v6, 31, v5
	s_delay_alu instid0(VALU_DEP_1) | instskip(SKIP_1) | instid1(VALU_DEP_2)
	v_lshlrev_b64 v[12:13], 1, v[5:6]
	v_dual_mov_b32 v5, 0 :: v_dual_mov_b32 v6, 0
	v_add_co_u32 v12, s5, s12, v12
	s_delay_alu instid0(VALU_DEP_1) | instskip(SKIP_1) | instid1(SALU_CYCLE_1)
	v_add_co_ci_u32_e64 v13, s5, s13, v13, s5
	s_or_b32 s5, s4, s22
	s_xor_b32 s5, s5, -1
	s_delay_alu instid0(SALU_CYCLE_1)
	s_and_saveexec_b32 s24, s5
	s_cbranch_execz .LBB234_17
; %bb.16:
	s_waitcnt lgkmcnt(0)
	v_mad_i64_i32 v[14:15], null, v2, s25, 0
	s_delay_alu instid0(VALU_DEP_1) | instskip(NEXT) | instid1(VALU_DEP_1)
	v_lshlrev_b64 v[14:15], 1, v[14:15]
	v_add_co_u32 v14, s5, v12, v14
	s_delay_alu instid0(VALU_DEP_1)
	v_add_co_ci_u32_e64 v15, s5, v13, v15, s5
	flat_load_u16 v6, v[14:15]
	s_waitcnt vmcnt(0) lgkmcnt(0)
	v_mul_f16_e32 v6, v32, v6
.LBB234_17:
	s_or_b32 exec_lo, exec_lo, s24
	s_or_b32 s4, s4, s23
	s_delay_alu instid0(SALU_CYCLE_1) | instskip(NEXT) | instid1(SALU_CYCLE_1)
	s_xor_b32 s4, s4, -1
	s_and_saveexec_b32 s5, s4
	s_cbranch_execz .LBB234_19
; %bb.18:
	s_waitcnt lgkmcnt(0)
	v_mad_i64_i32 v[14:15], null, v3, s25, 0
	s_delay_alu instid0(VALU_DEP_1) | instskip(NEXT) | instid1(VALU_DEP_1)
	v_lshlrev_b64 v[14:15], 1, v[14:15]
	v_add_co_u32 v12, s4, v12, v14
	s_delay_alu instid0(VALU_DEP_1)
	v_add_co_ci_u32_e64 v13, s4, v13, v15, s4
	flat_load_u16 v5, v[12:13]
	s_waitcnt vmcnt(0) lgkmcnt(0)
	v_mul_f16_e32 v5, v32, v5
.LBB234_19:
	s_or_b32 exec_lo, exec_lo, s5
	v_lshlrev_b32_e32 v12, 1, v36
	v_lshlrev_b32_e32 v7, 3, v7
	;; [unrolled: 1-line block ×4, first 2 shown]
	s_mov_b32 s24, 0
	v_lshl_or_b32 v39, v10, 3, v12
	v_lshl_add_u32 v7, v35, 1, v7
	v_add_nc_u32_e32 v28, 0x800, v38
	s_cmp_lt_i32 s18, 9
	ds_store_b16 v39, v8
	ds_store_b16 v7, v9 offset:2048
	ds_store_b16 v39, v11 offset:512
	s_waitcnt lgkmcnt(0)
	s_barrier
	buffer_gl0_inv
	ds_load_2addr_b64 v[8:11], v37 offset1:32
	ds_load_2addr_b64 v[12:15], v28 offset0:48 offset1:56
	ds_load_2addr_b64 v[16:19], v37 offset0:64 offset1:96
	ds_load_2addr_b64 v[20:23], v28 offset1:8
	ds_load_2addr_b64 v[24:27], v28 offset0:16 offset1:24
	s_waitcnt lgkmcnt(4)
	v_pk_max_f16 v8, v8, v8
	s_waitcnt lgkmcnt(3)
	v_pk_max_f16 v14, v14, v14
	v_pk_max_f16 v10, v10, v10
	s_waitcnt lgkmcnt(2)
	v_pk_max_f16 v16, v16, v16
	s_waitcnt lgkmcnt(0)
	v_pk_max_f16 v24, v24, v24
	v_pk_max_f16 v26, v26, v26
	v_pk_min_f16 v29, v14, v8
	v_pk_min_f16 v30, v14, v10
	;; [unrolled: 1-line block ×5, first 2 shown]
	v_pk_add_f16 v45, v29, 0
	v_pk_add_f16 v46, v30, 0
	;; [unrolled: 1-line block ×3, first 2 shown]
	ds_load_2addr_b64 v[28:31], v28 offset0:32 offset1:40
	v_pk_add_f16 v53, v50, 0
	v_pk_min_f16 v50, v26, v8
	v_pk_add_f16 v54, v51, 0
	v_pk_min_f16 v51, v26, v10
	v_pk_max_f16 v20, v20, v20
	v_pk_max_f16 v18, v18, v18
	v_pk_add_f16 v60, v50, 0
	v_pk_max_f16 v22, v22, v22
	v_pk_add_f16 v61, v51, 0
	v_pk_max_f16 v12, v12, v12
	v_pk_max_f16 v9, v9, v9
	;; [unrolled: 1-line block ×3, first 2 shown]
	v_pk_min_f16 v40, v20, v8
	v_pk_min_f16 v41, v20, v10
	;; [unrolled: 1-line block ×7, first 2 shown]
	s_waitcnt lgkmcnt(0)
	v_pk_max_f16 v28, v28, v28
	v_pk_max_f16 v30, v30, v30
	v_pk_min_f16 v22, v22, v18
	v_pk_min_f16 v52, v24, v16
	;; [unrolled: 1-line block ×8, first 2 shown]
	v_pk_add_f16 v62, v50, 0
	v_pk_min_f16 v50, v28, v16
	v_pk_min_f16 v28, v28, v18
	v_pk_add_f16 v63, v51, 0
	v_pk_min_f16 v51, v30, v8
	v_pk_min_f16 v8, v12, v8
	;; [unrolled: 3-line block ×3, first 2 shown]
	v_pk_min_f16 v10, v12, v10
	v_pk_min_f16 v16, v12, v16
	;; [unrolled: 1-line block ×3, first 2 shown]
	v_pk_max_f16 v11, v11, v11
	v_pk_min_f16 v14, v14, v18
	v_pk_min_f16 v18, v15, v9
	v_pk_add_f16 v77, v50, 0
	v_pk_max_f16 v17, v17, v17
	v_pk_min_f16 v50, v15, v11
	v_pk_max_f16 v21, v21, v21
	v_pk_add_f16 v69, v45, v18
	v_pk_max_f16 v18, v19, v19
	v_pk_add_f16 v40, v40, 0
	v_pk_add_f16 v20, v20, 0
	v_pk_add_f16 v59, v46, v50
	v_pk_min_f16 v19, v21, v9
	v_pk_min_f16 v45, v21, v11
	v_pk_min_f16 v46, v21, v17
	v_pk_min_f16 v21, v21, v18
	v_pk_max_f16 v23, v23, v23
	v_pk_add_f16 v44, v44, 0
	v_pk_add_f16 v48, v48, 0
	v_pk_add_f16 v49, v49, 0
	v_pk_add_f16 v22, v22, 0
	v_pk_add_f16 v74, v40, v19
	v_pk_add_f16 v50, v20, v21
	v_pk_min_f16 v19, v23, v9
	v_pk_min_f16 v20, v23, v11
	v_pk_min_f16 v21, v23, v17
	v_pk_min_f16 v23, v23, v18
	v_pk_max_f16 v25, v25, v25
	v_pk_add_f16 v52, v52, 0
	v_pk_add_f16 v24, v24, 0
	v_pk_add_f16 v73, v44, v19
	;; [unrolled: 11-line block ×3, first 2 shown]
	v_pk_add_f16 v76, v56, 0
	v_pk_min_f16 v51, v15, v17
	v_pk_add_f16 v72, v53, v19
	v_pk_add_f16 v65, v54, v20
	;; [unrolled: 1-line block ×4, first 2 shown]
	v_pk_min_f16 v19, v23, v9
	v_pk_min_f16 v20, v23, v11
	;; [unrolled: 1-line block ×4, first 2 shown]
	v_pk_max_f16 v23, v29, v29
	v_pk_add_f16 v43, v43, 0
	v_pk_add_f16 v28, v28, 0
	;; [unrolled: 1-line block ×7, first 2 shown]
	v_pk_min_f16 v19, v23, v9
	v_pk_min_f16 v20, v23, v11
	;; [unrolled: 1-line block ×4, first 2 shown]
	v_pk_max_f16 v23, v31, v31
	v_pk_max_f16 v13, v13, v13
	v_pk_add_f16 v41, v41, 0
	v_pk_add_f16 v30, v30, 0
	;; [unrolled: 1-line block ×12, first 2 shown]
	v_pk_min_f16 v19, v23, v9
	v_pk_min_f16 v20, v23, v11
	;; [unrolled: 1-line block ×9, first 2 shown]
	v_pk_add_f16 v68, v41, v45
	v_pk_add_f16 v41, v75, v19
	;; [unrolled: 1-line block ×10, first 2 shown]
	ds_store_b16 v39, v6 offset:1024
	ds_store_b16 v7, v4 offset:2560
	;; [unrolled: 1-line block ×3, first 2 shown]
	s_waitcnt lgkmcnt(0)
	s_barrier
	buffer_gl0_inv
	s_cbranch_scc1 .LBB234_34
; %bb.20:
	v_add_nc_u32_e32 v4, v37, v33
	v_or_b32_e32 v60, 0x800, v7
	v_add_nc_u32_e32 v75, 0xa00, v7
	v_lshlrev_b64 v[0:1], 1, v[0:1]
	v_add_nc_u32_e32 v67, 0x800, v38
	v_lshrrev_b32_e32 v4, 6, v4
	v_add_nc_u32_e32 v76, 0x400, v39
	v_lshl_add_u32 v77, v33, 3, 0xa00
	v_add_nc_u32_e32 v80, 0x400, v37
	v_add_co_u32 v78, s4, s20, v0
	v_add_nc_u32_e32 v8, 12, v4
	v_add_nc_u32_e32 v10, 8, v4
	v_mad_i64_i32 v[4:5], null, v2, s25, 0
	v_add_co_ci_u32_e64 v79, s4, s21, v1, s4
	s_delay_alu instid0(VALU_DEP_4) | instskip(NEXT) | instid1(VALU_DEP_4)
	v_mad_i64_i32 v[6:7], null, v8, s8, 0
	v_mad_i64_i32 v[8:9], null, v10, s8, 0
	;; [unrolled: 1-line block ×3, first 2 shown]
	v_lshlrev_b64 v[28:29], 1, v[4:5]
	s_add_i32 s20, s18, -8
	s_delay_alu instid0(VALU_DEP_4) | instskip(SKIP_1) | instid1(VALU_DEP_4)
	v_lshlrev_b64 v[24:25], 1, v[6:7]
	s_lshl_b64 s[8:9], s[8:9], 4
	v_lshlrev_b64 v[26:27], 1, v[8:9]
	s_delay_alu instid0(VALU_DEP_4)
	v_lshlrev_b64 v[30:31], 1, v[10:11]
	s_branch .LBB234_22
.LBB234_21:                             ;   in Loop: Header=BB234_22 Depth=1
	s_or_b32 exec_lo, exec_lo, s5
	v_pk_add_f16 v16, v51, v16
	v_pk_add_f16 v22, v50, v22
	;; [unrolled: 1-line block ×30, first 2 shown]
	ds_load_2addr_b64 v[43:46], v67 offset0:48 offset1:56
	ds_load_2addr_b64 v[47:50], v37 offset1:32
	ds_load_2addr_b64 v[51:54], v37 offset0:64 offset1:96
	v_pk_add_f16 v86, v57, v123
	v_pk_add_f16 v87, v56, v125
	;; [unrolled: 1-line block ×4, first 2 shown]
	ds_load_2addr_b64 v[55:58], v67 offset1:8
	v_pk_add_f16 v40, v40, v102
	v_pk_add_f16 v41, v41, v98
	;; [unrolled: 1-line block ×12, first 2 shown]
	s_waitcnt lgkmcnt(3)
	v_pk_max_f16 v40, v45, v45
	s_waitcnt lgkmcnt(2)
	v_pk_max_f16 v45, v47, v47
	v_pk_max_f16 v47, v49, v49
	s_waitcnt lgkmcnt(1)
	v_pk_max_f16 v49, v51, v51
	v_pk_add_f16 v41, v41, v7
	v_pk_add_f16 v19, v61, v19
	;; [unrolled: 1-line block ×4, first 2 shown]
	v_pk_min_f16 v4, v40, v45
	v_pk_min_f16 v5, v40, v47
	v_pk_min_f16 v6, v40, v49
	ds_load_2addr_b64 v[0:3], v67 offset0:16 offset1:24
	s_waitcnt lgkmcnt(1)
	v_pk_max_f16 v7, v55, v55
	v_pk_max_f16 v53, v53, v53
	v_pk_add_f16 v14, v14, v115
	v_pk_add_f16 v18, v18, v116
	;; [unrolled: 1-line block ×7, first 2 shown]
	v_pk_min_f16 v4, v7, v45
	v_pk_min_f16 v5, v7, v47
	;; [unrolled: 1-line block ×4, first 2 shown]
	v_pk_add_f16 v62, v62, v99
	v_pk_add_f16 v14, v14, v4
	;; [unrolled: 1-line block ×5, first 2 shown]
	ds_load_2addr_b64 v[4:7], v67 offset0:32 offset1:40
	v_pk_max_f16 v57, v57, v57
	v_pk_add_f16 v8, v8, v119
	v_pk_add_f16 v11, v62, v11
	;; [unrolled: 1-line block ×4, first 2 shown]
	v_pk_min_f16 v62, v57, v45
	v_pk_min_f16 v68, v57, v47
	;; [unrolled: 1-line block ×4, first 2 shown]
	s_waitcnt lgkmcnt(1)
	v_pk_max_f16 v0, v0, v0
	v_pk_add_f16 v21, v70, v21
	v_pk_add_f16 v8, v8, v62
	;; [unrolled: 1-line block ×5, first 2 shown]
	v_pk_min_f16 v57, v0, v45
	v_pk_min_f16 v68, v0, v47
	;; [unrolled: 1-line block ×4, first 2 shown]
	v_pk_max_f16 v2, v2, v2
	v_pk_add_f16 v59, v59, v106
	v_pk_add_f16 v72, v86, v57
	s_waitcnt lgkmcnt(0)
	v_pk_max_f16 v4, v4, v4
	v_pk_add_f16 v0, v9, v0
	v_pk_min_f16 v9, v2, v45
	v_pk_min_f16 v57, v2, v47
	v_pk_add_f16 v10, v10, v124
	v_pk_add_f16 v65, v65, v109
	;; [unrolled: 1-line block ×5, first 2 shown]
	v_pk_min_f16 v57, v4, v45
	v_pk_add_f16 v10, v10, v68
	v_pk_min_f16 v68, v2, v49
	v_pk_min_f16 v2, v2, v53
	;; [unrolled: 1-line block ×3, first 2 shown]
	v_pk_max_f16 v6, v6, v6
	v_pk_add_f16 v86, v65, v57
	v_pk_min_f16 v57, v4, v49
	v_pk_max_f16 v43, v43, v43
	v_pk_add_f16 v84, v87, v69
	v_pk_add_f16 v85, v88, v68
	;; [unrolled: 1-line block ×4, first 2 shown]
	v_pk_min_f16 v59, v6, v45
	v_pk_min_f16 v64, v6, v47
	v_pk_add_f16 v88, v63, v57
	v_pk_min_f16 v57, v6, v49
	v_pk_min_f16 v6, v6, v53
	;; [unrolled: 1-line block ×5, first 2 shown]
	v_pk_max_f16 v90, v50, v50
	v_pk_add_f16 v6, v15, v6
	v_pk_add_f16 v15, v17, v45
	;; [unrolled: 1-line block ×4, first 2 shown]
	v_pk_min_f16 v21, v43, v53
	v_pk_max_f16 v43, v46, v46
	v_pk_max_f16 v89, v48, v48
	v_pk_min_f16 v40, v40, v53
	v_pk_max_f16 v52, v52, v52
	v_pk_add_f16 v41, v41, v59
	v_pk_min_f16 v46, v43, v90
	v_pk_min_f16 v45, v43, v89
	v_pk_add_f16 v91, v61, v40
	v_pk_min_f16 v40, v43, v52
	v_pk_max_f16 v47, v56, v56
	v_pk_add_f16 v59, v12, v46
	v_pk_max_f16 v12, v54, v54
	v_pk_add_f16 v21, v51, v21
	v_pk_add_f16 v69, v55, v45
	;; [unrolled: 1-line block ×3, first 2 shown]
	v_pk_min_f16 v16, v47, v89
	v_pk_min_f16 v40, v47, v90
	;; [unrolled: 1-line block ×4, first 2 shown]
	v_pk_max_f16 v47, v58, v58
	v_pk_min_f16 v4, v4, v53
	v_pk_add_f16 v74, v14, v16
	v_pk_max_f16 v1, v1, v1
	v_pk_max_f16 v3, v3, v3
	v_pk_min_f16 v14, v47, v89
	v_pk_min_f16 v16, v47, v90
	v_pk_add_f16 v4, v66, v4
	v_pk_add_f16 v58, v20, v45
	v_pk_min_f16 v20, v47, v12
	v_pk_add_f16 v73, v8, v14
	v_pk_add_f16 v66, v62, v16
	v_pk_min_f16 v8, v1, v89
	v_pk_min_f16 v14, v1, v90
	;; [unrolled: 1-line block ×4, first 2 shown]
	v_pk_max_f16 v5, v5, v5
	v_pk_add_f16 v72, v72, v8
	v_pk_min_f16 v8, v3, v52
	v_pk_add_f16 v11, v11, v64
	v_pk_add_f16 v48, v0, v1
	v_pk_min_f16 v0, v3, v89
	v_pk_min_f16 v1, v3, v90
	;; [unrolled: 1-line block ×3, first 2 shown]
	v_pk_add_f16 v68, v18, v40
	v_pk_min_f16 v18, v47, v52
	v_pk_add_f16 v49, v71, v20
	v_pk_add_f16 v71, v9, v0
	;; [unrolled: 1-line block ×4, first 2 shown]
	v_pk_min_f16 v0, v5, v89
	v_pk_min_f16 v1, v5, v90
	;; [unrolled: 1-line block ×4, first 2 shown]
	v_pk_max_f16 v5, v7, v7
	v_pk_add_f16 v13, v13, v57
	v_pk_add_f16 v50, v22, v46
	;; [unrolled: 1-line block ×7, first 2 shown]
	v_pk_min_f16 v0, v5, v89
	v_pk_min_f16 v1, v5, v90
	;; [unrolled: 1-line block ×4, first 2 shown]
	v_pk_max_f16 v4, v44, v44
	v_pk_add_f16 v41, v41, v0
	v_pk_add_f16 v62, v11, v1
	;; [unrolled: 1-line block ×4, first 2 shown]
	v_pk_min_f16 v0, v4, v89
	v_pk_min_f16 v1, v4, v90
	;; [unrolled: 1-line block ×5, first 2 shown]
	v_add_co_u32 v78, s4, v78, s8
	v_pk_add_f16 v65, v10, v14
	v_pk_add_f16 v56, v84, v16
	;; [unrolled: 1-line block ×8, first 2 shown]
	v_add_co_ci_u32_e64 v79, s4, s9, v79, s4
	s_add_i32 s24, s24, 8
	ds_store_b16 v75, v81
	ds_store_b16 v76, v83
	ds_store_b16 v76, v82 offset:512
	s_cmp_ge_i32 s24, s20
	s_waitcnt lgkmcnt(0)
	s_barrier
	buffer_gl0_inv
	s_cbranch_scc1 .LBB234_34
.LBB234_22:                             ; =>This Inner Loop Header: Depth=1
	v_dual_mov_b32 v84, 0 :: v_dual_add_nc_u32 v83, s24, v35
	s_delay_alu instid0(VALU_DEP_1) | instskip(NEXT) | instid1(VALU_DEP_1)
	v_dual_mov_b32 v85, 0 :: v_dual_add_nc_u32 v0, 8, v83
	v_cmp_gt_i32_e64 s4, s18, v0
	s_delay_alu instid0(VALU_DEP_1) | instskip(NEXT) | instid1(SALU_CYCLE_1)
	s_and_b32 s4, vcc_lo, s4
	s_and_b32 s4, s3, s4
	s_delay_alu instid0(SALU_CYCLE_1)
	s_and_saveexec_b32 s5, s4
	s_cbranch_execz .LBB234_24
; %bb.23:                               ;   in Loop: Header=BB234_22 Depth=1
	v_add_co_u32 v0, s4, v78, v26
	s_delay_alu instid0(VALU_DEP_1)
	v_add_co_ci_u32_e64 v1, s4, v79, v27, s4
	flat_load_u16 v0, v[0:1]
	s_waitcnt vmcnt(0) lgkmcnt(0)
	v_mul_f16_e32 v85, v32, v0
.LBB234_24:                             ;   in Loop: Header=BB234_22 Depth=1
	s_or_b32 exec_lo, exec_lo, s5
	v_add_nc_u32_e32 v82, s24, v36
	s_delay_alu instid0(VALU_DEP_1) | instskip(NEXT) | instid1(VALU_DEP_1)
	v_add_nc_u32_e32 v2, 8, v82
	v_min_i32_e32 v0, s19, v2
	v_cmp_le_i32_e64 s4, s18, v2
	s_delay_alu instid0(VALU_DEP_2) | instskip(NEXT) | instid1(VALU_DEP_1)
	v_ashrrev_i32_e32 v1, 31, v0
	v_lshlrev_b64 v[0:1], 1, v[0:1]
	s_delay_alu instid0(VALU_DEP_1) | instskip(NEXT) | instid1(VALU_DEP_1)
	v_add_co_u32 v0, s5, s12, v0
	v_add_co_ci_u32_e64 v1, s5, s13, v1, s5
	s_or_b32 s5, s22, s4
	s_delay_alu instid0(SALU_CYCLE_1) | instskip(NEXT) | instid1(SALU_CYCLE_1)
	s_xor_b32 s5, s5, -1
	s_and_saveexec_b32 s21, s5
	s_cbranch_execz .LBB234_26
; %bb.25:                               ;   in Loop: Header=BB234_22 Depth=1
	v_add_co_u32 v2, s5, v0, v28
	s_delay_alu instid0(VALU_DEP_1)
	v_add_co_ci_u32_e64 v3, s5, v1, v29, s5
	flat_load_u16 v2, v[2:3]
	s_waitcnt vmcnt(0) lgkmcnt(0)
	v_mul_f16_e32 v84, v32, v2
.LBB234_26:                             ;   in Loop: Header=BB234_22 Depth=1
	s_or_b32 exec_lo, exec_lo, s21
	v_dual_mov_b32 v81, 0 :: v_dual_mov_b32 v86, 0
	s_or_b32 s4, s23, s4
	s_delay_alu instid0(SALU_CYCLE_1) | instskip(NEXT) | instid1(SALU_CYCLE_1)
	s_xor_b32 s4, s4, -1
	s_and_saveexec_b32 s5, s4
	s_cbranch_execz .LBB234_28
; %bb.27:                               ;   in Loop: Header=BB234_22 Depth=1
	v_add_co_u32 v0, s4, v0, v30
	s_delay_alu instid0(VALU_DEP_1)
	v_add_co_ci_u32_e64 v1, s4, v1, v31, s4
	flat_load_u16 v0, v[0:1]
	s_waitcnt vmcnt(0) lgkmcnt(0)
	v_mul_f16_e32 v86, v32, v0
.LBB234_28:                             ;   in Loop: Header=BB234_22 Depth=1
	s_or_b32 exec_lo, exec_lo, s5
	ds_load_2addr_b64 v[0:3], v77 offset0:48 offset1:56
	ds_load_2addr_b64 v[12:15], v80 offset0:64 offset1:96
	ds_load_2addr_b64 v[20:23], v80 offset1:32
	ds_load_2addr_b64 v[16:19], v77 offset1:8
	ds_load_2addr_b64 v[8:11], v77 offset0:16 offset1:24
	ds_load_2addr_b64 v[4:7], v77 offset0:32 offset1:40
	v_add_nc_u32_e32 v83, 12, v83
	ds_store_b16 v60, v85
	ds_store_b16 v39, v84
	ds_store_b16 v39, v86 offset:512
	s_waitcnt lgkmcnt(0)
	s_barrier
	buffer_gl0_inv
	v_cmp_gt_i32_e64 s4, s18, v83
	s_delay_alu instid0(VALU_DEP_1) | instskip(NEXT) | instid1(SALU_CYCLE_1)
	s_and_b32 s4, vcc_lo, s4
	s_and_b32 s4, s3, s4
	s_delay_alu instid0(SALU_CYCLE_1)
	s_and_saveexec_b32 s5, s4
	s_cbranch_execz .LBB234_30
; %bb.29:                               ;   in Loop: Header=BB234_22 Depth=1
	v_add_co_u32 v83, s4, v78, v24
	s_delay_alu instid0(VALU_DEP_1)
	v_add_co_ci_u32_e64 v84, s4, v79, v25, s4
	flat_load_u16 v81, v[83:84]
	s_waitcnt vmcnt(0) lgkmcnt(0)
	v_mul_f16_e32 v81, v32, v81
.LBB234_30:                             ;   in Loop: Header=BB234_22 Depth=1
	s_or_b32 exec_lo, exec_lo, s5
	v_add_nc_u32_e32 v86, 12, v82
	s_delay_alu instid0(VALU_DEP_1) | instskip(NEXT) | instid1(VALU_DEP_1)
	v_min_i32_e32 v82, s19, v86
	v_ashrrev_i32_e32 v83, 31, v82
	s_delay_alu instid0(VALU_DEP_1) | instskip(SKIP_3) | instid1(VALU_DEP_4)
	v_lshlrev_b64 v[84:85], 1, v[82:83]
	v_mov_b32_e32 v83, 0
	v_cmp_le_i32_e64 s4, s18, v86
	v_mov_b32_e32 v82, 0
	v_add_co_u32 v84, s5, s12, v84
	s_delay_alu instid0(VALU_DEP_1) | instskip(NEXT) | instid1(VALU_DEP_4)
	v_add_co_ci_u32_e64 v85, s5, s13, v85, s5
	s_or_b32 s5, s22, s4
	s_delay_alu instid0(SALU_CYCLE_1) | instskip(NEXT) | instid1(SALU_CYCLE_1)
	s_xor_b32 s5, s5, -1
	s_and_saveexec_b32 s21, s5
	s_cbranch_execz .LBB234_32
; %bb.31:                               ;   in Loop: Header=BB234_22 Depth=1
	v_add_co_u32 v86, s5, v84, v28
	s_delay_alu instid0(VALU_DEP_1)
	v_add_co_ci_u32_e64 v87, s5, v85, v29, s5
	flat_load_u16 v83, v[86:87]
	s_waitcnt vmcnt(0) lgkmcnt(0)
	v_mul_f16_e32 v83, v32, v83
.LBB234_32:                             ;   in Loop: Header=BB234_22 Depth=1
	s_or_b32 exec_lo, exec_lo, s21
	v_pk_max_f16 v106, v2, v2
	v_pk_max_f16 v102, v20, v20
	;; [unrolled: 1-line block ×12, first 2 shown]
	v_pk_min_f16 v2, v106, v102
	v_pk_min_f16 v12, v106, v103
	;; [unrolled: 1-line block ×25, first 2 shown]
	v_pk_max_f16 v126, v3, v3
	v_pk_max_f16 v21, v21, v21
	;; [unrolled: 1-line block ×9, first 2 shown]
	v_pk_min_f16 v115, v0, v21
	v_pk_min_f16 v116, v0, v127
	;; [unrolled: 1-line block ×4, first 2 shown]
	v_pk_max_f16 v0, v9, v9
	v_pk_min_f16 v119, v3, v21
	v_pk_min_f16 v120, v3, v127
	;; [unrolled: 1-line block ×4, first 2 shown]
	v_pk_max_f16 v3, v11, v11
	v_pk_max_f16 v1, v1, v1
	v_pk_min_f16 v22, v22, v107
	v_pk_min_f16 v88, v88, v107
	;; [unrolled: 1-line block ×31, first 2 shown]
	s_or_b32 s4, s23, s4
	s_delay_alu instid0(SALU_CYCLE_1) | instskip(NEXT) | instid1(SALU_CYCLE_1)
	s_xor_b32 s4, s4, -1
	s_and_saveexec_b32 s5, s4
	s_cbranch_execz .LBB234_21
; %bb.33:                               ;   in Loop: Header=BB234_22 Depth=1
	v_add_co_u32 v84, s4, v84, v30
	s_delay_alu instid0(VALU_DEP_1)
	v_add_co_ci_u32_e64 v85, s4, v85, v31, s4
	flat_load_u16 v82, v[84:85]
	s_waitcnt vmcnt(0) lgkmcnt(0)
	v_mul_f16_e32 v82, v32, v82
	s_branch .LBB234_21
.LBB234_34:
	s_clause 0x2
	s_load_b32 s12, s[0:1], 0x58
	s_load_b32 s9, s[0:1], 0x70
	s_load_b64 s[4:5], s[0:1], 0x78
	v_add_nc_u32_e32 v67, s15, v34
	v_add_nc_u32_e32 v8, 0x800, v38
	ds_load_2addr_b64 v[0:3], v37 offset0:192 offset1:224
	ds_load_2addr_b64 v[20:23], v37 offset0:128 offset1:160
	v_add_nc_u32_e32 v24, s14, v33
	ds_load_2addr_b64 v[4:7], v8 offset0:112 offset1:120
	ds_load_2addr_b64 v[16:19], v8 offset0:64 offset1:72
	;; [unrolled: 1-line block ×4, first 2 shown]
	v_cmp_gt_i32_e64 s8, s17, v67
	v_cmp_gt_i32_e64 s0, s16, v24
	v_cndmask_b32_e64 v60, 0, 1, s2
	s_waitcnt lgkmcnt(0)
	v_mad_i64_i32 v[25:26], null, v67, s12, 0
	v_mad_i64_i32 v[27:28], null, v67, s9, 0
	s_lshl_b64 s[4:5], s[4:5], 1
	s_delay_alu instid0(SALU_CYCLE_1) | instskip(SKIP_1) | instid1(VALU_DEP_2)
	s_add_u32 s13, s6, s4
	s_addc_u32 s14, s7, s5
	v_lshlrev_b64 v[29:30], 1, v[25:26]
	v_ashrrev_i32_e32 v25, 31, v24
	s_delay_alu instid0(VALU_DEP_3) | instskip(SKIP_1) | instid1(VALU_DEP_3)
	v_lshlrev_b64 v[26:27], 1, v[27:28]
	s_and_b32 s3, s0, s8
	v_add_co_u32 v77, vcc_lo, s10, v29
	s_delay_alu instid0(VALU_DEP_4) | instskip(NEXT) | instid1(VALU_DEP_3)
	v_add_co_ci_u32_e32 v78, vcc_lo, s11, v30, vcc_lo
	v_add_co_u32 v75, vcc_lo, s13, v26
	s_delay_alu instid0(VALU_DEP_4)
	v_add_co_ci_u32_e32 v76, vcc_lo, s14, v27, vcc_lo
	s_and_saveexec_b32 s1, s3
	s_cbranch_execz .LBB234_39
; %bb.35:
	v_lshlrev_b64 v[26:27], 1, v[24:25]
	s_and_not1_b32 vcc_lo, exec_lo, s2
	s_cbranch_vccnz .LBB234_37
; %bb.36:
	s_delay_alu instid0(VALU_DEP_1) | instskip(NEXT) | instid1(VALU_DEP_2)
	v_add_co_u32 v28, vcc_lo, v77, v26
	v_add_co_ci_u32_e32 v29, vcc_lo, v78, v27, vcc_lo
	flat_load_u16 v28, v[28:29]
	s_waitcnt vmcnt(0) lgkmcnt(0)
	v_mul_f16_e32 v28, v42, v28
	s_branch .LBB234_38
.LBB234_37:
	v_mov_b32_e32 v28, 0
.LBB234_38:
	v_pk_max_f16 v29, v20, v20
	v_pk_max_f16 v30, v16, v16
	;; [unrolled: 1-line block ×4, first 2 shown]
	v_add_co_u32 v26, vcc_lo, v75, v26
	s_delay_alu instid0(VALU_DEP_4) | instskip(SKIP_1) | instid1(VALU_DEP_4)
	v_pk_min_f16 v29, v30, v29
	v_add_co_ci_u32_e32 v27, vcc_lo, v76, v27, vcc_lo
	v_pk_min_f16 v30, v32, v31
	s_delay_alu instid0(VALU_DEP_3) | instskip(NEXT) | instid1(VALU_DEP_1)
	v_pk_add_f16 v29, v74, v29
	v_pk_add_f16 v29, v29, v30
	s_delay_alu instid0(VALU_DEP_1) | instskip(NEXT) | instid1(VALU_DEP_1)
	v_lshrrev_b32_e32 v30, 16, v29
	v_add_f16_e32 v29, v29, v30
	s_delay_alu instid0(VALU_DEP_1)
	v_add_f16_e32 v28, v29, v28
	global_store_b16 v[26:27], v28, off
.LBB234_39:
	s_or_b32 exec_lo, exec_lo, s1
	v_add_nc_u32_e32 v26, 8, v24
	s_delay_alu instid0(VALU_DEP_1) | instskip(SKIP_1) | instid1(VALU_DEP_2)
	v_cmp_gt_i32_e64 s1, s16, v26
	v_ashrrev_i32_e32 v27, 31, v26
	s_and_b32 s3, s1, s8
	s_delay_alu instid0(SALU_CYCLE_1)
	s_and_saveexec_b32 s2, s3
	s_cbranch_execz .LBB234_44
; %bb.40:
	v_cmp_ne_u32_e32 vcc_lo, 1, v60
	v_lshlrev_b64 v[28:29], 1, v[26:27]
	s_cbranch_vccnz .LBB234_42
; %bb.41:
	s_delay_alu instid0(VALU_DEP_1) | instskip(NEXT) | instid1(VALU_DEP_2)
	v_add_co_u32 v30, vcc_lo, v77, v28
	v_add_co_ci_u32_e32 v31, vcc_lo, v78, v29, vcc_lo
	flat_load_u16 v30, v[30:31]
	s_waitcnt vmcnt(0) lgkmcnt(0)
	v_mul_f16_e32 v30, v42, v30
	s_branch .LBB234_43
.LBB234_42:
	v_mov_b32_e32 v30, 0
.LBB234_43:
	v_pk_max_f16 v31, v20, v20
	v_pk_max_f16 v32, v18, v18
	v_pk_max_f16 v33, v21, v21
	v_pk_max_f16 v34, v19, v19
	v_add_co_u32 v28, vcc_lo, v75, v28
	s_delay_alu instid0(VALU_DEP_4) | instskip(SKIP_1) | instid1(VALU_DEP_4)
	v_pk_min_f16 v31, v32, v31
	v_add_co_ci_u32_e32 v29, vcc_lo, v76, v29, vcc_lo
	v_pk_min_f16 v32, v34, v33
	s_delay_alu instid0(VALU_DEP_3) | instskip(NEXT) | instid1(VALU_DEP_1)
	v_pk_add_f16 v31, v73, v31
	v_pk_add_f16 v31, v31, v32
	s_delay_alu instid0(VALU_DEP_1) | instskip(NEXT) | instid1(VALU_DEP_1)
	v_lshrrev_b32_e32 v32, 16, v31
	v_add_f16_e32 v31, v31, v32
	s_delay_alu instid0(VALU_DEP_1)
	v_add_f16_e32 v30, v31, v30
	global_store_b16 v[28:29], v30, off
.LBB234_44:
	s_or_b32 exec_lo, exec_lo, s2
	v_add_nc_u32_e32 v28, 16, v24
	s_delay_alu instid0(VALU_DEP_1) | instskip(SKIP_1) | instid1(VALU_DEP_2)
	v_cmp_gt_i32_e64 s2, s16, v28
	v_ashrrev_i32_e32 v29, 31, v28
	s_and_b32 s4, s2, s8
	s_delay_alu instid0(SALU_CYCLE_1)
	s_and_saveexec_b32 s3, s4
	s_cbranch_execz .LBB234_49
; %bb.45:
	v_cmp_ne_u32_e32 vcc_lo, 1, v60
	v_lshlrev_b64 v[30:31], 1, v[28:29]
	s_cbranch_vccnz .LBB234_47
; %bb.46:
	s_delay_alu instid0(VALU_DEP_1) | instskip(NEXT) | instid1(VALU_DEP_2)
	v_add_co_u32 v32, vcc_lo, v77, v30
	v_add_co_ci_u32_e32 v33, vcc_lo, v78, v31, vcc_lo
	flat_load_u16 v32, v[32:33]
	s_waitcnt vmcnt(0) lgkmcnt(0)
	v_mul_f16_e32 v32, v42, v32
	s_branch .LBB234_48
.LBB234_47:
	v_mov_b32_e32 v32, 0
.LBB234_48:
	v_pk_max_f16 v33, v20, v20
	v_pk_max_f16 v34, v12, v12
	v_pk_max_f16 v35, v21, v21
	v_pk_max_f16 v36, v13, v13
	v_add_co_u32 v30, vcc_lo, v75, v30
	s_delay_alu instid0(VALU_DEP_4) | instskip(SKIP_1) | instid1(VALU_DEP_4)
	v_pk_min_f16 v33, v34, v33
	v_add_co_ci_u32_e32 v31, vcc_lo, v76, v31, vcc_lo
	v_pk_min_f16 v34, v36, v35
	s_delay_alu instid0(VALU_DEP_3) | instskip(NEXT) | instid1(VALU_DEP_1)
	v_pk_add_f16 v33, v72, v33
	v_pk_add_f16 v33, v33, v34
	s_delay_alu instid0(VALU_DEP_1) | instskip(NEXT) | instid1(VALU_DEP_1)
	v_lshrrev_b32_e32 v34, 16, v33
	v_add_f16_e32 v33, v33, v34
	s_delay_alu instid0(VALU_DEP_1)
	v_add_f16_e32 v32, v33, v32
	global_store_b16 v[30:31], v32, off
.LBB234_49:
	;; [unrolled: 43-line block ×6, first 2 shown]
	s_or_b32 exec_lo, exec_lo, s7
	v_add_nc_u32_e32 v38, 56, v24
	s_delay_alu instid0(VALU_DEP_1) | instskip(SKIP_1) | instid1(VALU_DEP_2)
	v_cmp_gt_i32_e64 s7, s16, v38
	v_ashrrev_i32_e32 v39, 31, v38
	s_and_b32 s15, s7, s8
	s_delay_alu instid0(SALU_CYCLE_1)
	s_and_saveexec_b32 s8, s15
	s_cbranch_execz .LBB234_74
; %bb.70:
	v_cmp_ne_u32_e32 vcc_lo, 1, v60
	v_lshlrev_b64 v[40:41], 1, v[38:39]
	s_cbranch_vccnz .LBB234_72
; %bb.71:
	s_delay_alu instid0(VALU_DEP_1) | instskip(NEXT) | instid1(VALU_DEP_2)
	v_add_co_u32 v70, vcc_lo, v77, v40
	v_add_co_ci_u32_e32 v71, vcc_lo, v78, v41, vcc_lo
	flat_load_u16 v70, v[70:71]
	s_waitcnt vmcnt(0) lgkmcnt(0)
	v_mul_f16_e32 v70, v42, v70
	s_branch .LBB234_73
.LBB234_72:
	v_mov_b32_e32 v70, 0
.LBB234_73:
	v_pk_max_f16 v20, v20, v20
	v_pk_max_f16 v71, v6, v6
	;; [unrolled: 1-line block ×4, first 2 shown]
	s_delay_alu instid0(VALU_DEP_3) | instskip(NEXT) | instid1(VALU_DEP_2)
	v_pk_min_f16 v20, v71, v20
	v_pk_min_f16 v21, v72, v21
	s_delay_alu instid0(VALU_DEP_2) | instskip(NEXT) | instid1(VALU_DEP_1)
	v_pk_add_f16 v20, v69, v20
	v_pk_add_f16 v20, v20, v21
	s_delay_alu instid0(VALU_DEP_1) | instskip(NEXT) | instid1(VALU_DEP_1)
	v_lshrrev_b32_e32 v21, 16, v20
	v_add_f16_e32 v20, v20, v21
	s_delay_alu instid0(VALU_DEP_1)
	v_add_f16_e32 v69, v20, v70
	v_add_co_u32 v20, vcc_lo, v75, v40
	v_add_co_ci_u32_e32 v21, vcc_lo, v76, v41, vcc_lo
	global_store_b16 v[20:21], v69, off
.LBB234_74:
	s_or_b32 exec_lo, exec_lo, s8
	v_add_nc_u32_e32 v69, 32, v67
	s_delay_alu instid0(VALU_DEP_1) | instskip(SKIP_2) | instid1(VALU_DEP_3)
	v_mad_i64_i32 v[20:21], null, v69, s12, 0
	v_mad_i64_i32 v[40:41], null, v69, s9, 0
	v_cmp_gt_i32_e64 s8, s17, v69
	v_lshlrev_b64 v[20:21], 1, v[20:21]
	s_delay_alu instid0(VALU_DEP_2) | instskip(NEXT) | instid1(VALU_DEP_3)
	s_and_b32 s16, s0, s8
	v_lshlrev_b64 v[40:41], 1, v[40:41]
	s_delay_alu instid0(VALU_DEP_2) | instskip(NEXT) | instid1(VALU_DEP_3)
	v_add_co_u32 v69, vcc_lo, s10, v20
	v_add_co_ci_u32_e32 v70, vcc_lo, s11, v21, vcc_lo
	s_delay_alu instid0(VALU_DEP_3) | instskip(NEXT) | instid1(VALU_DEP_4)
	v_add_co_u32 v40, vcc_lo, s13, v40
	v_add_co_ci_u32_e32 v41, vcc_lo, s14, v41, vcc_lo
	s_and_saveexec_b32 s15, s16
	s_cbranch_execnz .LBB234_82
; %bb.75:
	s_or_b32 exec_lo, exec_lo, s15
	s_and_b32 s16, s1, s8
	s_delay_alu instid0(SALU_CYCLE_1)
	s_and_saveexec_b32 s15, s16
	s_cbranch_execnz .LBB234_86
.LBB234_76:
	s_or_b32 exec_lo, exec_lo, s15
	s_and_b32 s16, s2, s8
	s_delay_alu instid0(SALU_CYCLE_1)
	s_and_saveexec_b32 s15, s16
	s_cbranch_execnz .LBB234_90
.LBB234_77:
	s_or_b32 exec_lo, exec_lo, s15
	s_and_b32 s16, s3, s8
	s_delay_alu instid0(SALU_CYCLE_1)
	s_and_saveexec_b32 s15, s16
	s_cbranch_execnz .LBB234_94
.LBB234_78:
	s_or_b32 exec_lo, exec_lo, s15
	s_and_b32 s16, s4, s8
	s_delay_alu instid0(SALU_CYCLE_1)
	s_and_saveexec_b32 s15, s16
	s_cbranch_execnz .LBB234_98
.LBB234_79:
	s_or_b32 exec_lo, exec_lo, s15
	s_and_b32 s16, s5, s8
	s_delay_alu instid0(SALU_CYCLE_1)
	s_and_saveexec_b32 s15, s16
	s_cbranch_execnz .LBB234_102
.LBB234_80:
	s_or_b32 exec_lo, exec_lo, s15
	s_and_b32 s16, s6, s8
	s_delay_alu instid0(SALU_CYCLE_1)
	s_and_saveexec_b32 s15, s16
	s_cbranch_execnz .LBB234_106
.LBB234_81:
	s_or_b32 exec_lo, exec_lo, s15
	s_and_b32 s15, s7, s8
	s_delay_alu instid0(SALU_CYCLE_1)
	s_and_saveexec_b32 s8, s15
	s_cbranch_execnz .LBB234_110
	s_branch .LBB234_114
.LBB234_82:
	v_cmp_ne_u32_e32 vcc_lo, 1, v60
	v_lshlrev_b64 v[20:21], 1, v[24:25]
	s_cbranch_vccnz .LBB234_84
; %bb.83:
	s_delay_alu instid0(VALU_DEP_1) | instskip(NEXT) | instid1(VALU_DEP_2)
	v_add_co_u32 v71, vcc_lo, v69, v20
	v_add_co_ci_u32_e32 v72, vcc_lo, v70, v21, vcc_lo
	flat_load_u16 v71, v[71:72]
	s_waitcnt vmcnt(0) lgkmcnt(0)
	v_mul_f16_e32 v71, v42, v71
	s_branch .LBB234_85
.LBB234_84:
	v_mov_b32_e32 v71, 0
.LBB234_85:
	v_pk_max_f16 v72, v22, v22
	v_pk_max_f16 v73, v16, v16
	;; [unrolled: 1-line block ×4, first 2 shown]
	v_add_co_u32 v20, vcc_lo, v40, v20
	s_delay_alu instid0(VALU_DEP_4) | instskip(SKIP_1) | instid1(VALU_DEP_4)
	v_pk_min_f16 v72, v73, v72
	v_add_co_ci_u32_e32 v21, vcc_lo, v41, v21, vcc_lo
	v_pk_min_f16 v73, v75, v74
	s_delay_alu instid0(VALU_DEP_3) | instskip(NEXT) | instid1(VALU_DEP_1)
	v_pk_add_f16 v68, v68, v72
	v_pk_add_f16 v68, v68, v73
	s_delay_alu instid0(VALU_DEP_1) | instskip(NEXT) | instid1(VALU_DEP_1)
	v_lshrrev_b32_e32 v72, 16, v68
	v_add_f16_e32 v68, v68, v72
	s_delay_alu instid0(VALU_DEP_1) | instskip(SKIP_3) | instid1(SALU_CYCLE_1)
	v_add_f16_e32 v68, v68, v71
	global_store_b16 v[20:21], v68, off
	s_or_b32 exec_lo, exec_lo, s15
	s_and_b32 s16, s1, s8
	s_and_saveexec_b32 s15, s16
	s_cbranch_execz .LBB234_76
.LBB234_86:
	v_cmp_ne_u32_e32 vcc_lo, 1, v60
	v_lshlrev_b64 v[20:21], 1, v[26:27]
	s_cbranch_vccnz .LBB234_88
; %bb.87:
	s_delay_alu instid0(VALU_DEP_1) | instskip(NEXT) | instid1(VALU_DEP_2)
	v_add_co_u32 v71, vcc_lo, v69, v20
	v_add_co_ci_u32_e32 v72, vcc_lo, v70, v21, vcc_lo
	flat_load_u16 v68, v[71:72]
	s_waitcnt vmcnt(0) lgkmcnt(0)
	v_mul_f16_e32 v68, v42, v68
	s_branch .LBB234_89
.LBB234_88:
	v_mov_b32_e32 v68, 0
.LBB234_89:
	v_pk_max_f16 v71, v22, v22
	v_pk_max_f16 v72, v18, v18
	;; [unrolled: 1-line block ×4, first 2 shown]
	v_add_co_u32 v20, vcc_lo, v40, v20
	s_delay_alu instid0(VALU_DEP_4) | instskip(SKIP_1) | instid1(VALU_DEP_4)
	v_pk_min_f16 v71, v72, v71
	v_add_co_ci_u32_e32 v21, vcc_lo, v41, v21, vcc_lo
	v_pk_min_f16 v72, v74, v73
	s_delay_alu instid0(VALU_DEP_3) | instskip(NEXT) | instid1(VALU_DEP_1)
	v_pk_add_f16 v66, v66, v71
	v_pk_add_f16 v66, v66, v72
	s_delay_alu instid0(VALU_DEP_1) | instskip(NEXT) | instid1(VALU_DEP_1)
	v_lshrrev_b32_e32 v71, 16, v66
	v_add_f16_e32 v66, v66, v71
	s_delay_alu instid0(VALU_DEP_1) | instskip(SKIP_3) | instid1(SALU_CYCLE_1)
	v_add_f16_e32 v66, v66, v68
	global_store_b16 v[20:21], v66, off
	s_or_b32 exec_lo, exec_lo, s15
	s_and_b32 s16, s2, s8
	s_and_saveexec_b32 s15, s16
	s_cbranch_execz .LBB234_77
.LBB234_90:
	v_cmp_ne_u32_e32 vcc_lo, 1, v60
	v_lshlrev_b64 v[20:21], 1, v[28:29]
	s_cbranch_vccnz .LBB234_92
; %bb.91:
	s_delay_alu instid0(VALU_DEP_1) | instskip(NEXT) | instid1(VALU_DEP_2)
	v_add_co_u32 v71, vcc_lo, v69, v20
	v_add_co_ci_u32_e32 v72, vcc_lo, v70, v21, vcc_lo
	flat_load_u16 v66, v[71:72]
	s_waitcnt vmcnt(0) lgkmcnt(0)
	v_mul_f16_e32 v66, v42, v66
	s_branch .LBB234_93
.LBB234_92:
	v_mov_b32_e32 v66, 0
.LBB234_93:
	v_pk_max_f16 v68, v22, v22
	v_pk_max_f16 v71, v12, v12
	;; [unrolled: 1-line block ×4, first 2 shown]
	v_add_co_u32 v20, vcc_lo, v40, v20
	s_delay_alu instid0(VALU_DEP_4) | instskip(SKIP_1) | instid1(VALU_DEP_4)
	v_pk_min_f16 v68, v71, v68
	v_add_co_ci_u32_e32 v21, vcc_lo, v41, v21, vcc_lo
	v_pk_min_f16 v71, v73, v72
	s_delay_alu instid0(VALU_DEP_3) | instskip(NEXT) | instid1(VALU_DEP_1)
	v_pk_add_f16 v65, v65, v68
	v_pk_add_f16 v65, v65, v71
	s_delay_alu instid0(VALU_DEP_1) | instskip(NEXT) | instid1(VALU_DEP_1)
	v_lshrrev_b32_e32 v68, 16, v65
	v_add_f16_e32 v65, v65, v68
	s_delay_alu instid0(VALU_DEP_1) | instskip(SKIP_3) | instid1(SALU_CYCLE_1)
	v_add_f16_e32 v65, v65, v66
	global_store_b16 v[20:21], v65, off
	s_or_b32 exec_lo, exec_lo, s15
	s_and_b32 s16, s3, s8
	s_and_saveexec_b32 s15, s16
	s_cbranch_execz .LBB234_78
.LBB234_94:
	v_cmp_ne_u32_e32 vcc_lo, 1, v60
	v_lshlrev_b64 v[20:21], 1, v[30:31]
	s_cbranch_vccnz .LBB234_96
; %bb.95:
	s_delay_alu instid0(VALU_DEP_1) | instskip(NEXT) | instid1(VALU_DEP_2)
	v_add_co_u32 v65, vcc_lo, v69, v20
	v_add_co_ci_u32_e32 v66, vcc_lo, v70, v21, vcc_lo
	flat_load_u16 v65, v[65:66]
	s_waitcnt vmcnt(0) lgkmcnt(0)
	v_mul_f16_e32 v65, v42, v65
	s_branch .LBB234_97
.LBB234_96:
	v_mov_b32_e32 v65, 0
.LBB234_97:
	v_pk_max_f16 v66, v22, v22
	v_pk_max_f16 v68, v14, v14
	;; [unrolled: 1-line block ×4, first 2 shown]
	v_add_co_u32 v20, vcc_lo, v40, v20
	s_delay_alu instid0(VALU_DEP_4) | instskip(SKIP_1) | instid1(VALU_DEP_4)
	v_pk_min_f16 v66, v68, v66
	v_add_co_ci_u32_e32 v21, vcc_lo, v41, v21, vcc_lo
	v_pk_min_f16 v68, v72, v71
	s_delay_alu instid0(VALU_DEP_3) | instskip(NEXT) | instid1(VALU_DEP_1)
	v_pk_add_f16 v64, v64, v66
	v_pk_add_f16 v64, v64, v68
	s_delay_alu instid0(VALU_DEP_1) | instskip(NEXT) | instid1(VALU_DEP_1)
	v_lshrrev_b32_e32 v66, 16, v64
	v_add_f16_e32 v64, v64, v66
	s_delay_alu instid0(VALU_DEP_1) | instskip(SKIP_3) | instid1(SALU_CYCLE_1)
	v_add_f16_e32 v64, v64, v65
	global_store_b16 v[20:21], v64, off
	s_or_b32 exec_lo, exec_lo, s15
	s_and_b32 s16, s4, s8
	s_and_saveexec_b32 s15, s16
	s_cbranch_execz .LBB234_79
.LBB234_98:
	v_cmp_ne_u32_e32 vcc_lo, 1, v60
	v_lshlrev_b64 v[20:21], 1, v[32:33]
	s_cbranch_vccnz .LBB234_100
; %bb.99:
	s_delay_alu instid0(VALU_DEP_1) | instskip(NEXT) | instid1(VALU_DEP_2)
	v_add_co_u32 v64, vcc_lo, v69, v20
	v_add_co_ci_u32_e32 v65, vcc_lo, v70, v21, vcc_lo
	flat_load_u16 v64, v[64:65]
	s_waitcnt vmcnt(0) lgkmcnt(0)
	v_mul_f16_e32 v64, v42, v64
	s_branch .LBB234_101
.LBB234_100:
	v_mov_b32_e32 v64, 0
.LBB234_101:
	v_pk_max_f16 v65, v22, v22
	v_pk_max_f16 v66, v8, v8
	;; [unrolled: 1-line block ×4, first 2 shown]
	v_add_co_u32 v20, vcc_lo, v40, v20
	s_delay_alu instid0(VALU_DEP_4) | instskip(SKIP_1) | instid1(VALU_DEP_4)
	v_pk_min_f16 v65, v66, v65
	v_add_co_ci_u32_e32 v21, vcc_lo, v41, v21, vcc_lo
	v_pk_min_f16 v66, v71, v68
	s_delay_alu instid0(VALU_DEP_3) | instskip(NEXT) | instid1(VALU_DEP_1)
	v_pk_add_f16 v63, v63, v65
	v_pk_add_f16 v63, v63, v66
	s_delay_alu instid0(VALU_DEP_1) | instskip(NEXT) | instid1(VALU_DEP_1)
	v_lshrrev_b32_e32 v65, 16, v63
	v_add_f16_e32 v63, v63, v65
	s_delay_alu instid0(VALU_DEP_1) | instskip(SKIP_3) | instid1(SALU_CYCLE_1)
	v_add_f16_e32 v63, v63, v64
	global_store_b16 v[20:21], v63, off
	s_or_b32 exec_lo, exec_lo, s15
	s_and_b32 s16, s5, s8
	s_and_saveexec_b32 s15, s16
	s_cbranch_execz .LBB234_80
.LBB234_102:
	v_cmp_ne_u32_e32 vcc_lo, 1, v60
	v_lshlrev_b64 v[20:21], 1, v[34:35]
	s_cbranch_vccnz .LBB234_104
; %bb.103:
	s_delay_alu instid0(VALU_DEP_1) | instskip(NEXT) | instid1(VALU_DEP_2)
	v_add_co_u32 v63, vcc_lo, v69, v20
	v_add_co_ci_u32_e32 v64, vcc_lo, v70, v21, vcc_lo
	flat_load_u16 v63, v[63:64]
	s_waitcnt vmcnt(0) lgkmcnt(0)
	v_mul_f16_e32 v63, v42, v63
	s_branch .LBB234_105
.LBB234_104:
	v_mov_b32_e32 v63, 0
.LBB234_105:
	v_pk_max_f16 v64, v22, v22
	v_pk_max_f16 v65, v10, v10
	v_pk_max_f16 v66, v23, v23
	v_pk_max_f16 v68, v11, v11
	v_add_co_u32 v20, vcc_lo, v40, v20
	s_delay_alu instid0(VALU_DEP_4) | instskip(SKIP_1) | instid1(VALU_DEP_4)
	v_pk_min_f16 v64, v65, v64
	v_add_co_ci_u32_e32 v21, vcc_lo, v41, v21, vcc_lo
	v_pk_min_f16 v65, v68, v66
	s_delay_alu instid0(VALU_DEP_3) | instskip(NEXT) | instid1(VALU_DEP_1)
	v_pk_add_f16 v62, v62, v64
	v_pk_add_f16 v62, v62, v65
	s_delay_alu instid0(VALU_DEP_1) | instskip(NEXT) | instid1(VALU_DEP_1)
	v_lshrrev_b32_e32 v64, 16, v62
	v_add_f16_e32 v62, v62, v64
	s_delay_alu instid0(VALU_DEP_1) | instskip(SKIP_3) | instid1(SALU_CYCLE_1)
	v_add_f16_e32 v62, v62, v63
	global_store_b16 v[20:21], v62, off
	s_or_b32 exec_lo, exec_lo, s15
	s_and_b32 s16, s6, s8
	s_and_saveexec_b32 s15, s16
	s_cbranch_execz .LBB234_81
.LBB234_106:
	v_cmp_ne_u32_e32 vcc_lo, 1, v60
	v_lshlrev_b64 v[20:21], 1, v[36:37]
	s_cbranch_vccnz .LBB234_108
; %bb.107:
	s_delay_alu instid0(VALU_DEP_1) | instskip(NEXT) | instid1(VALU_DEP_2)
	v_add_co_u32 v62, vcc_lo, v69, v20
	v_add_co_ci_u32_e32 v63, vcc_lo, v70, v21, vcc_lo
	flat_load_u16 v62, v[62:63]
	s_waitcnt vmcnt(0) lgkmcnt(0)
	v_mul_f16_e32 v62, v42, v62
	s_branch .LBB234_109
.LBB234_108:
	v_mov_b32_e32 v62, 0
.LBB234_109:
	v_pk_max_f16 v63, v22, v22
	v_pk_max_f16 v64, v4, v4
	;; [unrolled: 1-line block ×4, first 2 shown]
	v_add_co_u32 v20, vcc_lo, v40, v20
	s_delay_alu instid0(VALU_DEP_4) | instskip(SKIP_1) | instid1(VALU_DEP_4)
	v_pk_min_f16 v63, v64, v63
	v_add_co_ci_u32_e32 v21, vcc_lo, v41, v21, vcc_lo
	v_pk_min_f16 v64, v66, v65
	s_delay_alu instid0(VALU_DEP_3) | instskip(NEXT) | instid1(VALU_DEP_1)
	v_pk_add_f16 v61, v61, v63
	v_pk_add_f16 v61, v61, v64
	s_delay_alu instid0(VALU_DEP_1) | instskip(NEXT) | instid1(VALU_DEP_1)
	v_lshrrev_b32_e32 v63, 16, v61
	v_add_f16_e32 v61, v61, v63
	s_delay_alu instid0(VALU_DEP_1) | instskip(SKIP_3) | instid1(SALU_CYCLE_1)
	v_add_f16_e32 v61, v61, v62
	global_store_b16 v[20:21], v61, off
	s_or_b32 exec_lo, exec_lo, s15
	s_and_b32 s15, s7, s8
	s_and_saveexec_b32 s8, s15
	s_cbranch_execz .LBB234_114
.LBB234_110:
	v_cmp_ne_u32_e32 vcc_lo, 1, v60
	v_lshlrev_b64 v[20:21], 1, v[38:39]
	s_cbranch_vccnz .LBB234_112
; %bb.111:
	s_delay_alu instid0(VALU_DEP_1) | instskip(NEXT) | instid1(VALU_DEP_2)
	v_add_co_u32 v61, vcc_lo, v69, v20
	v_add_co_ci_u32_e32 v62, vcc_lo, v70, v21, vcc_lo
	flat_load_u16 v61, v[61:62]
	s_waitcnt vmcnt(0) lgkmcnt(0)
	v_mul_f16_e32 v61, v42, v61
	s_branch .LBB234_113
.LBB234_112:
	v_mov_b32_e32 v61, 0
.LBB234_113:
	v_pk_max_f16 v22, v22, v22
	v_pk_max_f16 v62, v6, v6
	;; [unrolled: 1-line block ×4, first 2 shown]
	v_add_co_u32 v20, vcc_lo, v40, v20
	s_delay_alu instid0(VALU_DEP_4) | instskip(SKIP_1) | instid1(VALU_DEP_4)
	v_pk_min_f16 v22, v62, v22
	v_add_co_ci_u32_e32 v21, vcc_lo, v41, v21, vcc_lo
	v_pk_min_f16 v23, v63, v23
	s_delay_alu instid0(VALU_DEP_3) | instskip(NEXT) | instid1(VALU_DEP_1)
	v_pk_add_f16 v22, v59, v22
	v_pk_add_f16 v22, v22, v23
	s_delay_alu instid0(VALU_DEP_1) | instskip(NEXT) | instid1(VALU_DEP_1)
	v_lshrrev_b32_e32 v23, 16, v22
	v_add_f16_e32 v22, v22, v23
	s_delay_alu instid0(VALU_DEP_1)
	v_add_f16_e32 v22, v22, v61
	global_store_b16 v[20:21], v22, off
.LBB234_114:
	s_or_b32 exec_lo, exec_lo, s8
	v_add_nc_u32_e32 v40, 64, v67
	s_delay_alu instid0(VALU_DEP_1) | instskip(SKIP_2) | instid1(VALU_DEP_3)
	v_mad_i64_i32 v[20:21], null, v40, s12, 0
	v_mad_i64_i32 v[22:23], null, v40, s9, 0
	v_cmp_gt_i32_e64 s8, s17, v40
	v_lshlrev_b64 v[20:21], 1, v[20:21]
	s_delay_alu instid0(VALU_DEP_2) | instskip(NEXT) | instid1(VALU_DEP_3)
	s_and_b32 s16, s0, s8
	v_lshlrev_b64 v[22:23], 1, v[22:23]
	s_delay_alu instid0(VALU_DEP_2) | instskip(NEXT) | instid1(VALU_DEP_3)
	v_add_co_u32 v40, vcc_lo, s10, v20
	v_add_co_ci_u32_e32 v41, vcc_lo, s11, v21, vcc_lo
	s_delay_alu instid0(VALU_DEP_3) | instskip(NEXT) | instid1(VALU_DEP_4)
	v_add_co_u32 v22, vcc_lo, s13, v22
	v_add_co_ci_u32_e32 v23, vcc_lo, s14, v23, vcc_lo
	s_and_saveexec_b32 s15, s16
	s_cbranch_execnz .LBB234_122
; %bb.115:
	s_or_b32 exec_lo, exec_lo, s15
	s_and_b32 s16, s1, s8
	s_delay_alu instid0(SALU_CYCLE_1)
	s_and_saveexec_b32 s15, s16
	s_cbranch_execnz .LBB234_126
.LBB234_116:
	s_or_b32 exec_lo, exec_lo, s15
	s_and_b32 s16, s2, s8
	s_delay_alu instid0(SALU_CYCLE_1)
	s_and_saveexec_b32 s15, s16
	s_cbranch_execnz .LBB234_130
.LBB234_117:
	s_or_b32 exec_lo, exec_lo, s15
	s_and_b32 s16, s3, s8
	s_delay_alu instid0(SALU_CYCLE_1)
	s_and_saveexec_b32 s15, s16
	s_cbranch_execnz .LBB234_134
.LBB234_118:
	s_or_b32 exec_lo, exec_lo, s15
	s_and_b32 s16, s4, s8
	s_delay_alu instid0(SALU_CYCLE_1)
	s_and_saveexec_b32 s15, s16
	s_cbranch_execnz .LBB234_138
.LBB234_119:
	s_or_b32 exec_lo, exec_lo, s15
	s_and_b32 s16, s5, s8
	s_delay_alu instid0(SALU_CYCLE_1)
	s_and_saveexec_b32 s15, s16
	s_cbranch_execnz .LBB234_142
.LBB234_120:
	s_or_b32 exec_lo, exec_lo, s15
	s_and_b32 s16, s6, s8
	s_delay_alu instid0(SALU_CYCLE_1)
	s_and_saveexec_b32 s15, s16
	s_cbranch_execnz .LBB234_146
.LBB234_121:
	s_or_b32 exec_lo, exec_lo, s15
	s_and_b32 s15, s7, s8
	s_delay_alu instid0(SALU_CYCLE_1)
	s_and_saveexec_b32 s8, s15
	s_cbranch_execnz .LBB234_150
	s_branch .LBB234_154
.LBB234_122:
	v_cmp_ne_u32_e32 vcc_lo, 1, v60
	v_lshlrev_b64 v[20:21], 1, v[24:25]
	s_cbranch_vccnz .LBB234_124
; %bb.123:
	s_delay_alu instid0(VALU_DEP_1) | instskip(NEXT) | instid1(VALU_DEP_2)
	v_add_co_u32 v61, vcc_lo, v40, v20
	v_add_co_ci_u32_e32 v62, vcc_lo, v41, v21, vcc_lo
	flat_load_u16 v59, v[61:62]
	s_waitcnt vmcnt(0) lgkmcnt(0)
	v_mul_f16_e32 v59, v42, v59
	s_branch .LBB234_125
.LBB234_124:
	v_mov_b32_e32 v59, 0
.LBB234_125:
	v_pk_max_f16 v61, v0, v0
	v_pk_max_f16 v62, v16, v16
	;; [unrolled: 1-line block ×4, first 2 shown]
	v_add_co_u32 v20, vcc_lo, v22, v20
	s_delay_alu instid0(VALU_DEP_4) | instskip(SKIP_1) | instid1(VALU_DEP_4)
	v_pk_min_f16 v61, v62, v61
	v_add_co_ci_u32_e32 v21, vcc_lo, v23, v21, vcc_lo
	v_pk_min_f16 v62, v64, v63
	s_delay_alu instid0(VALU_DEP_3) | instskip(NEXT) | instid1(VALU_DEP_1)
	v_pk_add_f16 v58, v58, v61
	v_pk_add_f16 v58, v58, v62
	s_delay_alu instid0(VALU_DEP_1) | instskip(NEXT) | instid1(VALU_DEP_1)
	v_lshrrev_b32_e32 v61, 16, v58
	v_add_f16_e32 v58, v58, v61
	s_delay_alu instid0(VALU_DEP_1) | instskip(SKIP_3) | instid1(SALU_CYCLE_1)
	v_add_f16_e32 v58, v58, v59
	global_store_b16 v[20:21], v58, off
	s_or_b32 exec_lo, exec_lo, s15
	s_and_b32 s16, s1, s8
	s_and_saveexec_b32 s15, s16
	s_cbranch_execz .LBB234_116
.LBB234_126:
	v_cmp_ne_u32_e32 vcc_lo, 1, v60
	v_lshlrev_b64 v[20:21], 1, v[26:27]
	s_cbranch_vccnz .LBB234_128
; %bb.127:
	s_delay_alu instid0(VALU_DEP_1) | instskip(NEXT) | instid1(VALU_DEP_2)
	v_add_co_u32 v58, vcc_lo, v40, v20
	v_add_co_ci_u32_e32 v59, vcc_lo, v41, v21, vcc_lo
	flat_load_u16 v58, v[58:59]
	s_waitcnt vmcnt(0) lgkmcnt(0)
	v_mul_f16_e32 v58, v42, v58
	s_branch .LBB234_129
.LBB234_128:
	v_mov_b32_e32 v58, 0
.LBB234_129:
	v_pk_max_f16 v59, v0, v0
	v_pk_max_f16 v61, v18, v18
	;; [unrolled: 1-line block ×4, first 2 shown]
	v_add_co_u32 v20, vcc_lo, v22, v20
	s_delay_alu instid0(VALU_DEP_4) | instskip(SKIP_1) | instid1(VALU_DEP_4)
	v_pk_min_f16 v59, v61, v59
	v_add_co_ci_u32_e32 v21, vcc_lo, v23, v21, vcc_lo
	v_pk_min_f16 v61, v63, v62
	s_delay_alu instid0(VALU_DEP_3) | instskip(NEXT) | instid1(VALU_DEP_1)
	v_pk_add_f16 v57, v57, v59
	v_pk_add_f16 v57, v57, v61
	s_delay_alu instid0(VALU_DEP_1) | instskip(NEXT) | instid1(VALU_DEP_1)
	v_lshrrev_b32_e32 v59, 16, v57
	v_add_f16_e32 v57, v57, v59
	s_delay_alu instid0(VALU_DEP_1) | instskip(SKIP_3) | instid1(SALU_CYCLE_1)
	v_add_f16_e32 v57, v57, v58
	global_store_b16 v[20:21], v57, off
	s_or_b32 exec_lo, exec_lo, s15
	s_and_b32 s16, s2, s8
	s_and_saveexec_b32 s15, s16
	s_cbranch_execz .LBB234_117
.LBB234_130:
	v_cmp_ne_u32_e32 vcc_lo, 1, v60
	v_lshlrev_b64 v[20:21], 1, v[28:29]
	s_cbranch_vccnz .LBB234_132
; %bb.131:
	s_delay_alu instid0(VALU_DEP_1) | instskip(NEXT) | instid1(VALU_DEP_2)
	v_add_co_u32 v57, vcc_lo, v40, v20
	v_add_co_ci_u32_e32 v58, vcc_lo, v41, v21, vcc_lo
	flat_load_u16 v57, v[57:58]
	s_waitcnt vmcnt(0) lgkmcnt(0)
	v_mul_f16_e32 v57, v42, v57
	s_branch .LBB234_133
.LBB234_132:
	v_mov_b32_e32 v57, 0
.LBB234_133:
	v_pk_max_f16 v58, v0, v0
	v_pk_max_f16 v59, v12, v12
	;; [unrolled: 1-line block ×4, first 2 shown]
	v_add_co_u32 v20, vcc_lo, v22, v20
	s_delay_alu instid0(VALU_DEP_4) | instskip(SKIP_1) | instid1(VALU_DEP_4)
	v_pk_min_f16 v58, v59, v58
	v_add_co_ci_u32_e32 v21, vcc_lo, v23, v21, vcc_lo
	v_pk_min_f16 v59, v62, v61
	s_delay_alu instid0(VALU_DEP_3) | instskip(NEXT) | instid1(VALU_DEP_1)
	v_pk_add_f16 v56, v56, v58
	v_pk_add_f16 v56, v56, v59
	s_delay_alu instid0(VALU_DEP_1) | instskip(NEXT) | instid1(VALU_DEP_1)
	v_lshrrev_b32_e32 v58, 16, v56
	v_add_f16_e32 v56, v56, v58
	s_delay_alu instid0(VALU_DEP_1) | instskip(SKIP_3) | instid1(SALU_CYCLE_1)
	v_add_f16_e32 v56, v56, v57
	global_store_b16 v[20:21], v56, off
	s_or_b32 exec_lo, exec_lo, s15
	s_and_b32 s16, s3, s8
	s_and_saveexec_b32 s15, s16
	s_cbranch_execz .LBB234_118
.LBB234_134:
	v_cmp_ne_u32_e32 vcc_lo, 1, v60
	v_lshlrev_b64 v[20:21], 1, v[30:31]
	s_cbranch_vccnz .LBB234_136
; %bb.135:
	s_delay_alu instid0(VALU_DEP_1) | instskip(NEXT) | instid1(VALU_DEP_2)
	v_add_co_u32 v56, vcc_lo, v40, v20
	v_add_co_ci_u32_e32 v57, vcc_lo, v41, v21, vcc_lo
	flat_load_u16 v56, v[56:57]
	s_waitcnt vmcnt(0) lgkmcnt(0)
	v_mul_f16_e32 v56, v42, v56
	s_branch .LBB234_137
.LBB234_136:
	v_mov_b32_e32 v56, 0
.LBB234_137:
	v_pk_max_f16 v57, v0, v0
	v_pk_max_f16 v58, v14, v14
	v_pk_max_f16 v59, v1, v1
	v_pk_max_f16 v61, v15, v15
	v_add_co_u32 v20, vcc_lo, v22, v20
	s_delay_alu instid0(VALU_DEP_4) | instskip(SKIP_1) | instid1(VALU_DEP_4)
	v_pk_min_f16 v57, v58, v57
	v_add_co_ci_u32_e32 v21, vcc_lo, v23, v21, vcc_lo
	v_pk_min_f16 v58, v61, v59
	s_delay_alu instid0(VALU_DEP_3) | instskip(NEXT) | instid1(VALU_DEP_1)
	v_pk_add_f16 v55, v55, v57
	v_pk_add_f16 v55, v55, v58
	s_delay_alu instid0(VALU_DEP_1) | instskip(NEXT) | instid1(VALU_DEP_1)
	v_lshrrev_b32_e32 v57, 16, v55
	v_add_f16_e32 v55, v55, v57
	s_delay_alu instid0(VALU_DEP_1) | instskip(SKIP_3) | instid1(SALU_CYCLE_1)
	v_add_f16_e32 v55, v55, v56
	global_store_b16 v[20:21], v55, off
	s_or_b32 exec_lo, exec_lo, s15
	s_and_b32 s16, s4, s8
	s_and_saveexec_b32 s15, s16
	s_cbranch_execz .LBB234_119
.LBB234_138:
	v_cmp_ne_u32_e32 vcc_lo, 1, v60
	v_lshlrev_b64 v[20:21], 1, v[32:33]
	s_cbranch_vccnz .LBB234_140
; %bb.139:
	s_delay_alu instid0(VALU_DEP_1) | instskip(NEXT) | instid1(VALU_DEP_2)
	v_add_co_u32 v55, vcc_lo, v40, v20
	v_add_co_ci_u32_e32 v56, vcc_lo, v41, v21, vcc_lo
	flat_load_u16 v55, v[55:56]
	s_waitcnt vmcnt(0) lgkmcnt(0)
	v_mul_f16_e32 v55, v42, v55
	s_branch .LBB234_141
.LBB234_140:
	v_mov_b32_e32 v55, 0
.LBB234_141:
	v_pk_max_f16 v56, v0, v0
	v_pk_max_f16 v57, v8, v8
	;; [unrolled: 1-line block ×4, first 2 shown]
	v_add_co_u32 v20, vcc_lo, v22, v20
	s_delay_alu instid0(VALU_DEP_4) | instskip(SKIP_1) | instid1(VALU_DEP_4)
	v_pk_min_f16 v56, v57, v56
	v_add_co_ci_u32_e32 v21, vcc_lo, v23, v21, vcc_lo
	v_pk_min_f16 v57, v59, v58
	s_delay_alu instid0(VALU_DEP_3) | instskip(NEXT) | instid1(VALU_DEP_1)
	v_pk_add_f16 v54, v54, v56
	v_pk_add_f16 v54, v54, v57
	s_delay_alu instid0(VALU_DEP_1) | instskip(NEXT) | instid1(VALU_DEP_1)
	v_lshrrev_b32_e32 v56, 16, v54
	v_add_f16_e32 v54, v54, v56
	s_delay_alu instid0(VALU_DEP_1) | instskip(SKIP_3) | instid1(SALU_CYCLE_1)
	v_add_f16_e32 v54, v54, v55
	global_store_b16 v[20:21], v54, off
	s_or_b32 exec_lo, exec_lo, s15
	s_and_b32 s16, s5, s8
	s_and_saveexec_b32 s15, s16
	s_cbranch_execz .LBB234_120
.LBB234_142:
	v_cmp_ne_u32_e32 vcc_lo, 1, v60
	v_lshlrev_b64 v[20:21], 1, v[34:35]
	s_cbranch_vccnz .LBB234_144
; %bb.143:
	s_delay_alu instid0(VALU_DEP_1) | instskip(NEXT) | instid1(VALU_DEP_2)
	v_add_co_u32 v54, vcc_lo, v40, v20
	v_add_co_ci_u32_e32 v55, vcc_lo, v41, v21, vcc_lo
	flat_load_u16 v54, v[54:55]
	s_waitcnt vmcnt(0) lgkmcnt(0)
	v_mul_f16_e32 v54, v42, v54
	s_branch .LBB234_145
.LBB234_144:
	v_mov_b32_e32 v54, 0
.LBB234_145:
	v_pk_max_f16 v55, v0, v0
	v_pk_max_f16 v56, v10, v10
	;; [unrolled: 1-line block ×4, first 2 shown]
	v_add_co_u32 v20, vcc_lo, v22, v20
	s_delay_alu instid0(VALU_DEP_4) | instskip(SKIP_1) | instid1(VALU_DEP_4)
	v_pk_min_f16 v55, v56, v55
	v_add_co_ci_u32_e32 v21, vcc_lo, v23, v21, vcc_lo
	v_pk_min_f16 v56, v58, v57
	s_delay_alu instid0(VALU_DEP_3) | instskip(NEXT) | instid1(VALU_DEP_1)
	v_pk_add_f16 v53, v53, v55
	v_pk_add_f16 v53, v53, v56
	s_delay_alu instid0(VALU_DEP_1) | instskip(NEXT) | instid1(VALU_DEP_1)
	v_lshrrev_b32_e32 v55, 16, v53
	v_add_f16_e32 v53, v53, v55
	s_delay_alu instid0(VALU_DEP_1) | instskip(SKIP_3) | instid1(SALU_CYCLE_1)
	v_add_f16_e32 v53, v53, v54
	global_store_b16 v[20:21], v53, off
	s_or_b32 exec_lo, exec_lo, s15
	s_and_b32 s16, s6, s8
	s_and_saveexec_b32 s15, s16
	s_cbranch_execz .LBB234_121
.LBB234_146:
	v_cmp_ne_u32_e32 vcc_lo, 1, v60
	v_lshlrev_b64 v[20:21], 1, v[36:37]
	s_cbranch_vccnz .LBB234_148
; %bb.147:
	s_delay_alu instid0(VALU_DEP_1) | instskip(NEXT) | instid1(VALU_DEP_2)
	v_add_co_u32 v53, vcc_lo, v40, v20
	v_add_co_ci_u32_e32 v54, vcc_lo, v41, v21, vcc_lo
	flat_load_u16 v53, v[53:54]
	s_waitcnt vmcnt(0) lgkmcnt(0)
	v_mul_f16_e32 v53, v42, v53
	s_branch .LBB234_149
.LBB234_148:
	v_mov_b32_e32 v53, 0
.LBB234_149:
	v_pk_max_f16 v54, v0, v0
	v_pk_max_f16 v55, v4, v4
	;; [unrolled: 1-line block ×4, first 2 shown]
	v_add_co_u32 v20, vcc_lo, v22, v20
	s_delay_alu instid0(VALU_DEP_4) | instskip(SKIP_1) | instid1(VALU_DEP_4)
	v_pk_min_f16 v54, v55, v54
	v_add_co_ci_u32_e32 v21, vcc_lo, v23, v21, vcc_lo
	v_pk_min_f16 v55, v57, v56
	s_delay_alu instid0(VALU_DEP_3) | instskip(NEXT) | instid1(VALU_DEP_1)
	v_pk_add_f16 v52, v52, v54
	v_pk_add_f16 v52, v52, v55
	s_delay_alu instid0(VALU_DEP_1) | instskip(NEXT) | instid1(VALU_DEP_1)
	v_lshrrev_b32_e32 v54, 16, v52
	v_add_f16_e32 v52, v52, v54
	s_delay_alu instid0(VALU_DEP_1) | instskip(SKIP_3) | instid1(SALU_CYCLE_1)
	v_add_f16_e32 v52, v52, v53
	global_store_b16 v[20:21], v52, off
	s_or_b32 exec_lo, exec_lo, s15
	s_and_b32 s15, s7, s8
	s_and_saveexec_b32 s8, s15
	s_cbranch_execz .LBB234_154
.LBB234_150:
	v_cmp_ne_u32_e32 vcc_lo, 1, v60
	v_lshlrev_b64 v[20:21], 1, v[38:39]
	s_cbranch_vccnz .LBB234_152
; %bb.151:
	s_delay_alu instid0(VALU_DEP_1) | instskip(NEXT) | instid1(VALU_DEP_2)
	v_add_co_u32 v40, vcc_lo, v40, v20
	v_add_co_ci_u32_e32 v41, vcc_lo, v41, v21, vcc_lo
	flat_load_u16 v40, v[40:41]
	s_waitcnt vmcnt(0) lgkmcnt(0)
	v_mul_f16_e32 v40, v42, v40
	s_branch .LBB234_153
.LBB234_152:
	v_mov_b32_e32 v40, 0
.LBB234_153:
	v_pk_max_f16 v0, v0, v0
	v_pk_max_f16 v41, v6, v6
	;; [unrolled: 1-line block ×4, first 2 shown]
	s_delay_alu instid0(VALU_DEP_3) | instskip(NEXT) | instid1(VALU_DEP_2)
	v_pk_min_f16 v0, v41, v0
	v_pk_min_f16 v1, v52, v1
	s_delay_alu instid0(VALU_DEP_2) | instskip(NEXT) | instid1(VALU_DEP_1)
	v_pk_add_f16 v0, v51, v0
	v_pk_add_f16 v0, v0, v1
	s_delay_alu instid0(VALU_DEP_1) | instskip(NEXT) | instid1(VALU_DEP_1)
	v_lshrrev_b32_e32 v1, 16, v0
	v_add_f16_e32 v0, v0, v1
	s_delay_alu instid0(VALU_DEP_1)
	v_add_f16_e32 v40, v0, v40
	v_add_co_u32 v0, vcc_lo, v22, v20
	v_add_co_ci_u32_e32 v1, vcc_lo, v23, v21, vcc_lo
	global_store_b16 v[0:1], v40, off
.LBB234_154:
	s_or_b32 exec_lo, exec_lo, s8
	v_add_nc_u32_e32 v22, 0x60, v67
	s_delay_alu instid0(VALU_DEP_1) | instskip(SKIP_2) | instid1(VALU_DEP_3)
	v_mad_i64_i32 v[0:1], null, v22, s12, 0
	v_mad_i64_i32 v[20:21], null, v22, s9, 0
	v_cmp_gt_i32_e64 s8, s17, v22
	v_lshlrev_b64 v[0:1], 1, v[0:1]
	s_delay_alu instid0(VALU_DEP_2) | instskip(NEXT) | instid1(VALU_DEP_3)
	s_and_b32 s9, s0, s8
	v_lshlrev_b64 v[20:21], 1, v[20:21]
	s_delay_alu instid0(VALU_DEP_2) | instskip(NEXT) | instid1(VALU_DEP_3)
	v_add_co_u32 v22, vcc_lo, s10, v0
	v_add_co_ci_u32_e32 v23, vcc_lo, s11, v1, vcc_lo
	s_delay_alu instid0(VALU_DEP_3) | instskip(NEXT) | instid1(VALU_DEP_4)
	v_add_co_u32 v20, vcc_lo, s13, v20
	v_add_co_ci_u32_e32 v21, vcc_lo, s14, v21, vcc_lo
	s_and_saveexec_b32 s0, s9
	s_cbranch_execnz .LBB234_163
; %bb.155:
	s_or_b32 exec_lo, exec_lo, s0
	s_and_b32 s1, s1, s8
	s_delay_alu instid0(SALU_CYCLE_1)
	s_and_saveexec_b32 s0, s1
	s_cbranch_execnz .LBB234_167
.LBB234_156:
	s_or_b32 exec_lo, exec_lo, s0
	s_and_b32 s1, s2, s8
	s_delay_alu instid0(SALU_CYCLE_1)
	s_and_saveexec_b32 s0, s1
	s_cbranch_execnz .LBB234_171
.LBB234_157:
	s_or_b32 exec_lo, exec_lo, s0
	s_and_b32 s1, s3, s8
	s_delay_alu instid0(SALU_CYCLE_1)
	s_and_saveexec_b32 s0, s1
	s_cbranch_execnz .LBB234_175
.LBB234_158:
	s_or_b32 exec_lo, exec_lo, s0
	s_and_b32 s1, s4, s8
	s_delay_alu instid0(SALU_CYCLE_1)
	s_and_saveexec_b32 s0, s1
	s_cbranch_execnz .LBB234_179
.LBB234_159:
	s_or_b32 exec_lo, exec_lo, s0
	s_and_b32 s1, s5, s8
	s_delay_alu instid0(SALU_CYCLE_1)
	s_and_saveexec_b32 s0, s1
	s_cbranch_execnz .LBB234_183
.LBB234_160:
	s_or_b32 exec_lo, exec_lo, s0
	s_and_b32 s1, s6, s8
	s_delay_alu instid0(SALU_CYCLE_1)
	s_and_saveexec_b32 s0, s1
	s_cbranch_execnz .LBB234_187
.LBB234_161:
	s_or_b32 exec_lo, exec_lo, s0
	s_and_b32 s0, s7, s8
	s_delay_alu instid0(SALU_CYCLE_1)
	s_and_saveexec_b32 s1, s0
	s_cbranch_execnz .LBB234_191
.LBB234_162:
	s_nop 0
	s_sendmsg sendmsg(MSG_DEALLOC_VGPRS)
	s_endpgm
.LBB234_163:
	v_cmp_ne_u32_e32 vcc_lo, 1, v60
	v_lshlrev_b64 v[0:1], 1, v[24:25]
	s_cbranch_vccnz .LBB234_165
; %bb.164:
	s_delay_alu instid0(VALU_DEP_1) | instskip(NEXT) | instid1(VALU_DEP_2)
	v_add_co_u32 v24, vcc_lo, v22, v0
	v_add_co_ci_u32_e32 v25, vcc_lo, v23, v1, vcc_lo
	flat_load_u16 v24, v[24:25]
	s_waitcnt vmcnt(0) lgkmcnt(0)
	v_mul_f16_e32 v24, v42, v24
	s_branch .LBB234_166
.LBB234_165:
	v_mov_b32_e32 v24, 0
.LBB234_166:
	v_pk_max_f16 v25, v2, v2
	v_pk_max_f16 v16, v16, v16
	;; [unrolled: 1-line block ×4, first 2 shown]
	v_add_co_u32 v0, vcc_lo, v20, v0
	s_delay_alu instid0(VALU_DEP_4) | instskip(SKIP_1) | instid1(VALU_DEP_4)
	v_pk_min_f16 v16, v16, v25
	v_add_co_ci_u32_e32 v1, vcc_lo, v21, v1, vcc_lo
	v_pk_min_f16 v17, v17, v40
	s_delay_alu instid0(VALU_DEP_3) | instskip(NEXT) | instid1(VALU_DEP_1)
	v_pk_add_f16 v16, v50, v16
	v_pk_add_f16 v16, v16, v17
	s_delay_alu instid0(VALU_DEP_1) | instskip(NEXT) | instid1(VALU_DEP_1)
	v_lshrrev_b32_e32 v17, 16, v16
	v_add_f16_e32 v16, v16, v17
	s_delay_alu instid0(VALU_DEP_1) | instskip(SKIP_3) | instid1(SALU_CYCLE_1)
	v_add_f16_e32 v16, v16, v24
	global_store_b16 v[0:1], v16, off
	s_or_b32 exec_lo, exec_lo, s0
	s_and_b32 s1, s1, s8
	s_and_saveexec_b32 s0, s1
	s_cbranch_execz .LBB234_156
.LBB234_167:
	v_cmp_ne_u32_e32 vcc_lo, 1, v60
	v_lshlrev_b64 v[0:1], 1, v[26:27]
	s_cbranch_vccnz .LBB234_169
; %bb.168:
	s_delay_alu instid0(VALU_DEP_1) | instskip(NEXT) | instid1(VALU_DEP_2)
	v_add_co_u32 v16, vcc_lo, v22, v0
	v_add_co_ci_u32_e32 v17, vcc_lo, v23, v1, vcc_lo
	flat_load_u16 v16, v[16:17]
	s_waitcnt vmcnt(0) lgkmcnt(0)
	v_mul_f16_e32 v16, v42, v16
	s_branch .LBB234_170
.LBB234_169:
	v_mov_b32_e32 v16, 0
.LBB234_170:
	v_pk_max_f16 v17, v2, v2
	v_pk_max_f16 v18, v18, v18
	;; [unrolled: 1-line block ×4, first 2 shown]
	v_add_co_u32 v0, vcc_lo, v20, v0
	s_delay_alu instid0(VALU_DEP_4) | instskip(SKIP_1) | instid1(VALU_DEP_4)
	v_pk_min_f16 v17, v18, v17
	v_add_co_ci_u32_e32 v1, vcc_lo, v21, v1, vcc_lo
	v_pk_min_f16 v18, v19, v24
	s_delay_alu instid0(VALU_DEP_3) | instskip(NEXT) | instid1(VALU_DEP_1)
	v_pk_add_f16 v17, v49, v17
	v_pk_add_f16 v17, v17, v18
	s_delay_alu instid0(VALU_DEP_1) | instskip(NEXT) | instid1(VALU_DEP_1)
	v_lshrrev_b32_e32 v18, 16, v17
	v_add_f16_e32 v17, v17, v18
	s_delay_alu instid0(VALU_DEP_1) | instskip(SKIP_3) | instid1(SALU_CYCLE_1)
	v_add_f16_e32 v16, v17, v16
	global_store_b16 v[0:1], v16, off
	s_or_b32 exec_lo, exec_lo, s0
	s_and_b32 s1, s2, s8
	s_and_saveexec_b32 s0, s1
	s_cbranch_execz .LBB234_157
.LBB234_171:
	v_cmp_ne_u32_e32 vcc_lo, 1, v60
	v_lshlrev_b64 v[0:1], 1, v[28:29]
	s_cbranch_vccnz .LBB234_173
; %bb.172:
	s_delay_alu instid0(VALU_DEP_1) | instskip(NEXT) | instid1(VALU_DEP_2)
	v_add_co_u32 v16, vcc_lo, v22, v0
	v_add_co_ci_u32_e32 v17, vcc_lo, v23, v1, vcc_lo
	flat_load_u16 v16, v[16:17]
	s_waitcnt vmcnt(0) lgkmcnt(0)
	v_mul_f16_e32 v16, v42, v16
	s_branch .LBB234_174
.LBB234_173:
	v_mov_b32_e32 v16, 0
.LBB234_174:
	v_pk_max_f16 v17, v2, v2
	v_pk_max_f16 v12, v12, v12
	;; [unrolled: 1-line block ×4, first 2 shown]
	v_add_co_u32 v0, vcc_lo, v20, v0
	s_delay_alu instid0(VALU_DEP_4) | instskip(SKIP_1) | instid1(VALU_DEP_4)
	v_pk_min_f16 v12, v12, v17
	v_add_co_ci_u32_e32 v1, vcc_lo, v21, v1, vcc_lo
	v_pk_min_f16 v13, v13, v18
	s_delay_alu instid0(VALU_DEP_3) | instskip(NEXT) | instid1(VALU_DEP_1)
	v_pk_add_f16 v12, v48, v12
	v_pk_add_f16 v12, v12, v13
	s_delay_alu instid0(VALU_DEP_1) | instskip(NEXT) | instid1(VALU_DEP_1)
	v_lshrrev_b32_e32 v13, 16, v12
	v_add_f16_e32 v12, v12, v13
	s_delay_alu instid0(VALU_DEP_1) | instskip(SKIP_3) | instid1(SALU_CYCLE_1)
	v_add_f16_e32 v12, v12, v16
	global_store_b16 v[0:1], v12, off
	s_or_b32 exec_lo, exec_lo, s0
	s_and_b32 s1, s3, s8
	s_and_saveexec_b32 s0, s1
	s_cbranch_execz .LBB234_158
.LBB234_175:
	v_cmp_ne_u32_e32 vcc_lo, 1, v60
	v_lshlrev_b64 v[0:1], 1, v[30:31]
	s_cbranch_vccnz .LBB234_177
; %bb.176:
	s_delay_alu instid0(VALU_DEP_1) | instskip(NEXT) | instid1(VALU_DEP_2)
	v_add_co_u32 v12, vcc_lo, v22, v0
	v_add_co_ci_u32_e32 v13, vcc_lo, v23, v1, vcc_lo
	flat_load_u16 v12, v[12:13]
	s_waitcnt vmcnt(0) lgkmcnt(0)
	v_mul_f16_e32 v12, v42, v12
	s_branch .LBB234_178
.LBB234_177:
	v_mov_b32_e32 v12, 0
.LBB234_178:
	v_pk_max_f16 v13, v2, v2
	v_pk_max_f16 v14, v14, v14
	v_pk_max_f16 v16, v3, v3
	v_pk_max_f16 v15, v15, v15
	v_add_co_u32 v0, vcc_lo, v20, v0
	s_delay_alu instid0(VALU_DEP_4) | instskip(SKIP_1) | instid1(VALU_DEP_4)
	v_pk_min_f16 v13, v14, v13
	v_add_co_ci_u32_e32 v1, vcc_lo, v21, v1, vcc_lo
	v_pk_min_f16 v14, v15, v16
	s_delay_alu instid0(VALU_DEP_3) | instskip(NEXT) | instid1(VALU_DEP_1)
	v_pk_add_f16 v13, v47, v13
	v_pk_add_f16 v13, v13, v14
	s_delay_alu instid0(VALU_DEP_1) | instskip(NEXT) | instid1(VALU_DEP_1)
	v_lshrrev_b32_e32 v14, 16, v13
	v_add_f16_e32 v13, v13, v14
	s_delay_alu instid0(VALU_DEP_1) | instskip(SKIP_3) | instid1(SALU_CYCLE_1)
	v_add_f16_e32 v12, v13, v12
	global_store_b16 v[0:1], v12, off
	s_or_b32 exec_lo, exec_lo, s0
	s_and_b32 s1, s4, s8
	s_and_saveexec_b32 s0, s1
	s_cbranch_execz .LBB234_159
.LBB234_179:
	v_cmp_ne_u32_e32 vcc_lo, 1, v60
	v_lshlrev_b64 v[0:1], 1, v[32:33]
	s_cbranch_vccnz .LBB234_181
; %bb.180:
	s_delay_alu instid0(VALU_DEP_1) | instskip(NEXT) | instid1(VALU_DEP_2)
	v_add_co_u32 v12, vcc_lo, v22, v0
	v_add_co_ci_u32_e32 v13, vcc_lo, v23, v1, vcc_lo
	flat_load_u16 v12, v[12:13]
	s_waitcnt vmcnt(0) lgkmcnt(0)
	v_mul_f16_e32 v12, v42, v12
	s_branch .LBB234_182
.LBB234_181:
	v_mov_b32_e32 v12, 0
.LBB234_182:
	v_pk_max_f16 v13, v2, v2
	v_pk_max_f16 v8, v8, v8
	;; [unrolled: 1-line block ×4, first 2 shown]
	v_add_co_u32 v0, vcc_lo, v20, v0
	s_delay_alu instid0(VALU_DEP_4) | instskip(SKIP_1) | instid1(VALU_DEP_4)
	v_pk_min_f16 v8, v8, v13
	v_add_co_ci_u32_e32 v1, vcc_lo, v21, v1, vcc_lo
	v_pk_min_f16 v9, v9, v14
	s_delay_alu instid0(VALU_DEP_3) | instskip(NEXT) | instid1(VALU_DEP_1)
	v_pk_add_f16 v8, v46, v8
	v_pk_add_f16 v8, v8, v9
	s_delay_alu instid0(VALU_DEP_1) | instskip(NEXT) | instid1(VALU_DEP_1)
	v_lshrrev_b32_e32 v9, 16, v8
	v_add_f16_e32 v8, v8, v9
	s_delay_alu instid0(VALU_DEP_1) | instskip(SKIP_3) | instid1(SALU_CYCLE_1)
	v_add_f16_e32 v8, v8, v12
	global_store_b16 v[0:1], v8, off
	s_or_b32 exec_lo, exec_lo, s0
	s_and_b32 s1, s5, s8
	s_and_saveexec_b32 s0, s1
	s_cbranch_execz .LBB234_160
.LBB234_183:
	v_cmp_ne_u32_e32 vcc_lo, 1, v60
	v_lshlrev_b64 v[0:1], 1, v[34:35]
	s_cbranch_vccnz .LBB234_185
; %bb.184:
	s_delay_alu instid0(VALU_DEP_1) | instskip(NEXT) | instid1(VALU_DEP_2)
	v_add_co_u32 v8, vcc_lo, v22, v0
	v_add_co_ci_u32_e32 v9, vcc_lo, v23, v1, vcc_lo
	flat_load_u16 v8, v[8:9]
	s_waitcnt vmcnt(0) lgkmcnt(0)
	v_mul_f16_e32 v8, v42, v8
	s_branch .LBB234_186
.LBB234_185:
	v_mov_b32_e32 v8, 0
.LBB234_186:
	v_pk_max_f16 v9, v2, v2
	v_pk_max_f16 v10, v10, v10
	;; [unrolled: 1-line block ×4, first 2 shown]
	v_add_co_u32 v0, vcc_lo, v20, v0
	s_delay_alu instid0(VALU_DEP_4) | instskip(SKIP_1) | instid1(VALU_DEP_4)
	v_pk_min_f16 v9, v10, v9
	v_add_co_ci_u32_e32 v1, vcc_lo, v21, v1, vcc_lo
	v_pk_min_f16 v10, v11, v12
	s_delay_alu instid0(VALU_DEP_3) | instskip(NEXT) | instid1(VALU_DEP_1)
	v_pk_add_f16 v9, v45, v9
	v_pk_add_f16 v9, v9, v10
	s_delay_alu instid0(VALU_DEP_1) | instskip(NEXT) | instid1(VALU_DEP_1)
	v_lshrrev_b32_e32 v10, 16, v9
	v_add_f16_e32 v9, v9, v10
	s_delay_alu instid0(VALU_DEP_1) | instskip(SKIP_3) | instid1(SALU_CYCLE_1)
	v_add_f16_e32 v8, v9, v8
	global_store_b16 v[0:1], v8, off
	s_or_b32 exec_lo, exec_lo, s0
	s_and_b32 s1, s6, s8
	s_and_saveexec_b32 s0, s1
	s_cbranch_execz .LBB234_161
.LBB234_187:
	v_cmp_ne_u32_e32 vcc_lo, 1, v60
	v_lshlrev_b64 v[0:1], 1, v[36:37]
	s_cbranch_vccnz .LBB234_189
; %bb.188:
	s_delay_alu instid0(VALU_DEP_1) | instskip(NEXT) | instid1(VALU_DEP_2)
	v_add_co_u32 v8, vcc_lo, v22, v0
	v_add_co_ci_u32_e32 v9, vcc_lo, v23, v1, vcc_lo
	flat_load_u16 v8, v[8:9]
	s_waitcnt vmcnt(0) lgkmcnt(0)
	v_mul_f16_e32 v8, v42, v8
	s_branch .LBB234_190
.LBB234_189:
	v_mov_b32_e32 v8, 0
.LBB234_190:
	v_pk_max_f16 v9, v2, v2
	v_pk_max_f16 v4, v4, v4
	;; [unrolled: 1-line block ×4, first 2 shown]
	v_add_co_u32 v0, vcc_lo, v20, v0
	s_delay_alu instid0(VALU_DEP_4) | instskip(SKIP_1) | instid1(VALU_DEP_4)
	v_pk_min_f16 v4, v4, v9
	v_add_co_ci_u32_e32 v1, vcc_lo, v21, v1, vcc_lo
	v_pk_min_f16 v5, v5, v10
	s_delay_alu instid0(VALU_DEP_3) | instskip(NEXT) | instid1(VALU_DEP_1)
	v_pk_add_f16 v4, v44, v4
	v_pk_add_f16 v4, v4, v5
	s_delay_alu instid0(VALU_DEP_1) | instskip(NEXT) | instid1(VALU_DEP_1)
	v_lshrrev_b32_e32 v5, 16, v4
	v_add_f16_e32 v4, v4, v5
	s_delay_alu instid0(VALU_DEP_1) | instskip(SKIP_3) | instid1(SALU_CYCLE_1)
	v_add_f16_e32 v4, v4, v8
	global_store_b16 v[0:1], v4, off
	s_or_b32 exec_lo, exec_lo, s0
	s_and_b32 s0, s7, s8
	s_and_saveexec_b32 s1, s0
	s_cbranch_execz .LBB234_162
.LBB234_191:
	v_cmp_ne_u32_e32 vcc_lo, 1, v60
	v_lshlrev_b64 v[0:1], 1, v[38:39]
	s_cbranch_vccnz .LBB234_193
; %bb.192:
	s_delay_alu instid0(VALU_DEP_1) | instskip(NEXT) | instid1(VALU_DEP_2)
	v_add_co_u32 v4, vcc_lo, v22, v0
	v_add_co_ci_u32_e32 v5, vcc_lo, v23, v1, vcc_lo
	flat_load_u16 v4, v[4:5]
	s_waitcnt vmcnt(0) lgkmcnt(0)
	v_mul_f16_e32 v4, v42, v4
	s_branch .LBB234_194
.LBB234_193:
	v_mov_b32_e32 v4, 0
.LBB234_194:
	v_pk_max_f16 v2, v2, v2
	v_pk_max_f16 v5, v6, v6
	v_pk_max_f16 v3, v3, v3
	v_pk_max_f16 v6, v7, v7
	v_add_co_u32 v0, vcc_lo, v20, v0
	s_delay_alu instid0(VALU_DEP_4) | instskip(SKIP_1) | instid1(VALU_DEP_4)
	v_pk_min_f16 v2, v5, v2
	v_add_co_ci_u32_e32 v1, vcc_lo, v21, v1, vcc_lo
	v_pk_min_f16 v3, v6, v3
	s_delay_alu instid0(VALU_DEP_3) | instskip(NEXT) | instid1(VALU_DEP_1)
	v_pk_add_f16 v2, v43, v2
	v_pk_add_f16 v2, v2, v3
	s_delay_alu instid0(VALU_DEP_1) | instskip(NEXT) | instid1(VALU_DEP_1)
	v_lshrrev_b32_e32 v3, 16, v2
	v_add_f16_e32 v2, v2, v3
	s_delay_alu instid0(VALU_DEP_1)
	v_add_f16_e32 v2, v2, v4
	global_store_b16 v[0:1], v2, off
	s_nop 0
	s_sendmsg sendmsg(MSG_DEALLOC_VGPRS)
	s_endpgm
	.section	.rodata,"a",@progbits
	.p2align	6, 0x0
	.amdhsa_kernel _ZN12_GLOBAL__N_120geam_min_plus_kernelIDF16_Dv2_DF16_S1_Li8ELi32ELi64ELi128ELi4ELi64ELi4ELi4ELi64ELc78ELc78ELb0ELb1ELb0EPKDF16_KS3_KPDF16_EEviiiT16_PT17_ilS9_ilS7_S9_ilPT18_ili26rocblas_geam_ex_operation_
		.amdhsa_group_segment_fixed_size 3072
		.amdhsa_private_segment_fixed_size 0
		.amdhsa_kernarg_size 136
		.amdhsa_user_sgpr_count 14
		.amdhsa_user_sgpr_dispatch_ptr 0
		.amdhsa_user_sgpr_queue_ptr 0
		.amdhsa_user_sgpr_kernarg_segment_ptr 1
		.amdhsa_user_sgpr_dispatch_id 0
		.amdhsa_user_sgpr_private_segment_size 0
		.amdhsa_wavefront_size32 1
		.amdhsa_uses_dynamic_stack 0
		.amdhsa_enable_private_segment 0
		.amdhsa_system_sgpr_workgroup_id_x 1
		.amdhsa_system_sgpr_workgroup_id_y 0
		.amdhsa_system_sgpr_workgroup_id_z 1
		.amdhsa_system_sgpr_workgroup_info 0
		.amdhsa_system_vgpr_workitem_id 1
		.amdhsa_next_free_vgpr 130
		.amdhsa_next_free_sgpr 26
		.amdhsa_reserve_vcc 1
		.amdhsa_float_round_mode_32 0
		.amdhsa_float_round_mode_16_64 0
		.amdhsa_float_denorm_mode_32 3
		.amdhsa_float_denorm_mode_16_64 3
		.amdhsa_dx10_clamp 1
		.amdhsa_ieee_mode 1
		.amdhsa_fp16_overflow 0
		.amdhsa_workgroup_processor_mode 1
		.amdhsa_memory_ordered 1
		.amdhsa_forward_progress 0
		.amdhsa_shared_vgpr_count 0
		.amdhsa_exception_fp_ieee_invalid_op 0
		.amdhsa_exception_fp_denorm_src 0
		.amdhsa_exception_fp_ieee_div_zero 0
		.amdhsa_exception_fp_ieee_overflow 0
		.amdhsa_exception_fp_ieee_underflow 0
		.amdhsa_exception_fp_ieee_inexact 0
		.amdhsa_exception_int_div_zero 0
	.end_amdhsa_kernel
	.section	.text._ZN12_GLOBAL__N_120geam_min_plus_kernelIDF16_Dv2_DF16_S1_Li8ELi32ELi64ELi128ELi4ELi64ELi4ELi4ELi64ELc78ELc78ELb0ELb1ELb0EPKDF16_KS3_KPDF16_EEviiiT16_PT17_ilS9_ilS7_S9_ilPT18_ili26rocblas_geam_ex_operation_,"axG",@progbits,_ZN12_GLOBAL__N_120geam_min_plus_kernelIDF16_Dv2_DF16_S1_Li8ELi32ELi64ELi128ELi4ELi64ELi4ELi4ELi64ELc78ELc78ELb0ELb1ELb0EPKDF16_KS3_KPDF16_EEviiiT16_PT17_ilS9_ilS7_S9_ilPT18_ili26rocblas_geam_ex_operation_,comdat
.Lfunc_end234:
	.size	_ZN12_GLOBAL__N_120geam_min_plus_kernelIDF16_Dv2_DF16_S1_Li8ELi32ELi64ELi128ELi4ELi64ELi4ELi4ELi64ELc78ELc78ELb0ELb1ELb0EPKDF16_KS3_KPDF16_EEviiiT16_PT17_ilS9_ilS7_S9_ilPT18_ili26rocblas_geam_ex_operation_, .Lfunc_end234-_ZN12_GLOBAL__N_120geam_min_plus_kernelIDF16_Dv2_DF16_S1_Li8ELi32ELi64ELi128ELi4ELi64ELi4ELi4ELi64ELc78ELc78ELb0ELb1ELb0EPKDF16_KS3_KPDF16_EEviiiT16_PT17_ilS9_ilS7_S9_ilPT18_ili26rocblas_geam_ex_operation_
                                        ; -- End function
	.section	.AMDGPU.csdata,"",@progbits
; Kernel info:
; codeLenInByte = 13104
; NumSgprs: 28
; NumVgprs: 130
; ScratchSize: 0
; MemoryBound: 0
; FloatMode: 240
; IeeeMode: 1
; LDSByteSize: 3072 bytes/workgroup (compile time only)
; SGPRBlocks: 3
; VGPRBlocks: 16
; NumSGPRsForWavesPerEU: 28
; NumVGPRsForWavesPerEU: 130
; Occupancy: 10
; WaveLimiterHint : 1
; COMPUTE_PGM_RSRC2:SCRATCH_EN: 0
; COMPUTE_PGM_RSRC2:USER_SGPR: 14
; COMPUTE_PGM_RSRC2:TRAP_HANDLER: 0
; COMPUTE_PGM_RSRC2:TGID_X_EN: 1
; COMPUTE_PGM_RSRC2:TGID_Y_EN: 0
; COMPUTE_PGM_RSRC2:TGID_Z_EN: 1
; COMPUTE_PGM_RSRC2:TIDIG_COMP_CNT: 1
	.section	.text._ZN12_GLOBAL__N_120geam_min_plus_kernelIDF16_Dv2_DF16_S1_Li8ELi32ELi64ELi128ELi4ELi64ELi4ELi4ELi64ELc78ELc78ELb1ELb1ELb0EDF16_KPKDF16_KPDF16_EEviiiT16_PT17_ilS9_ilS7_S9_ilPT18_ili26rocblas_geam_ex_operation_,"axG",@progbits,_ZN12_GLOBAL__N_120geam_min_plus_kernelIDF16_Dv2_DF16_S1_Li8ELi32ELi64ELi128ELi4ELi64ELi4ELi4ELi64ELc78ELc78ELb1ELb1ELb0EDF16_KPKDF16_KPDF16_EEviiiT16_PT17_ilS9_ilS7_S9_ilPT18_ili26rocblas_geam_ex_operation_,comdat
	.globl	_ZN12_GLOBAL__N_120geam_min_plus_kernelIDF16_Dv2_DF16_S1_Li8ELi32ELi64ELi128ELi4ELi64ELi4ELi4ELi64ELc78ELc78ELb1ELb1ELb0EDF16_KPKDF16_KPDF16_EEviiiT16_PT17_ilS9_ilS7_S9_ilPT18_ili26rocblas_geam_ex_operation_ ; -- Begin function _ZN12_GLOBAL__N_120geam_min_plus_kernelIDF16_Dv2_DF16_S1_Li8ELi32ELi64ELi128ELi4ELi64ELi4ELi4ELi64ELc78ELc78ELb1ELb1ELb0EDF16_KPKDF16_KPDF16_EEviiiT16_PT17_ilS9_ilS7_S9_ilPT18_ili26rocblas_geam_ex_operation_
	.p2align	8
	.type	_ZN12_GLOBAL__N_120geam_min_plus_kernelIDF16_Dv2_DF16_S1_Li8ELi32ELi64ELi128ELi4ELi64ELi4ELi4ELi64ELc78ELc78ELb1ELb1ELb0EDF16_KPKDF16_KPDF16_EEviiiT16_PT17_ilS9_ilS7_S9_ilPT18_ili26rocblas_geam_ex_operation_,@function
_ZN12_GLOBAL__N_120geam_min_plus_kernelIDF16_Dv2_DF16_S1_Li8ELi32ELi64ELi128ELi4ELi64ELi4ELi4ELi64ELc78ELc78ELb1ELb1ELb0EDF16_KPKDF16_KPDF16_EEviiiT16_PT17_ilS9_ilS7_S9_ilPT18_ili26rocblas_geam_ex_operation_: ; @_ZN12_GLOBAL__N_120geam_min_plus_kernelIDF16_Dv2_DF16_S1_Li8ELi32ELi64ELi128ELi4ELi64ELi4ELi4ELi64ELc78ELc78ELb1ELb1ELb0EDF16_KPKDF16_KPDF16_EEviiiT16_PT17_ilS9_ilS7_S9_ilPT18_ili26rocblas_geam_ex_operation_
; %bb.0:
	s_clause 0x1
	s_load_b128 s[16:19], s[0:1], 0x0
	s_load_b128 s[4:7], s[0:1], 0x20
	s_mov_b32 s2, s15
	s_mov_b32 s3, 0
	s_waitcnt lgkmcnt(0)
	v_cmp_eq_f16_e64 s10, s19, 0
	s_delay_alu instid0(VALU_DEP_1)
	s_and_b32 vcc_lo, exec_lo, s10
	s_cbranch_vccnz .LBB235_3
; %bb.1:
	s_load_b64 s[8:9], s[0:1], 0x10
	s_lshl_b64 s[12:13], s[2:3], 3
	s_waitcnt lgkmcnt(0)
	s_add_u32 s8, s8, s12
	s_addc_u32 s9, s9, s13
	s_lshl_b64 s[4:5], s[4:5], 1
	s_load_b64 s[8:9], s[8:9], 0x0
	s_waitcnt lgkmcnt(0)
	s_add_u32 s8, s8, s4
	s_addc_u32 s9, s9, s5
	s_and_not1_b32 vcc_lo, exec_lo, s10
	s_cbranch_vccnz .LBB235_4
.LBB235_2:
	s_mov_b64 s[12:13], 0
	s_and_not1_b32 vcc_lo, exec_lo, s3
	s_cbranch_vccz .LBB235_5
	s_branch .LBB235_6
.LBB235_3:
	s_mov_b64 s[8:9], 0
	s_and_not1_b32 vcc_lo, exec_lo, s10
	s_cbranch_vccz .LBB235_2
.LBB235_4:
	s_mov_b32 s3, -1
                                        ; implicit-def: $sgpr12_sgpr13
.LBB235_5:
	s_mov_b32 s3, 0
	s_load_b64 s[10:11], s[0:1], 0x38
	s_lshl_b64 s[4:5], s[2:3], 3
	s_delay_alu instid0(SALU_CYCLE_1) | instskip(SKIP_4) | instid1(SALU_CYCLE_1)
	s_add_u32 s4, s6, s4
	s_addc_u32 s5, s7, s5
	s_load_b64 s[4:5], s[4:5], 0x0
	s_waitcnt lgkmcnt(0)
	s_lshl_b64 s[6:7], s[10:11], 1
	s_add_u32 s12, s4, s6
	s_addc_u32 s13, s5, s7
.LBB235_6:
	s_clause 0x1
	s_load_b32 s15, s[0:1], 0x40
	s_load_b128 s[4:7], s[0:1], 0x58
	s_waitcnt lgkmcnt(0)
	v_cmp_eq_f16_e64 s10, s15, 0
	v_cmp_neq_f16_e64 s19, s15, 0
	s_delay_alu instid0(VALU_DEP_2)
	s_and_b32 vcc_lo, exec_lo, s10
	s_cbranch_vccnz .LBB235_8
; %bb.7:
	s_load_b64 s[10:11], s[0:1], 0x48
	s_lshl_b64 s[20:21], s[2:3], 3
	s_waitcnt lgkmcnt(0)
	s_add_u32 s10, s10, s20
	s_addc_u32 s11, s11, s21
	s_lshl_b64 s[4:5], s[4:5], 1
	s_load_b64 s[10:11], s[10:11], 0x0
	s_waitcnt lgkmcnt(0)
	s_add_u32 s10, s10, s4
	s_addc_u32 s11, s11, s5
	s_branch .LBB235_9
.LBB235_8:
	s_mov_b64 s[10:11], 0
.LBB235_9:
	s_load_b32 s20, s[0:1], 0x18
	s_lshl_b64 s[2:3], s[2:3], 3
	v_dual_mov_b32 v9, 0 :: v_dual_and_b32 v28, 0x3ff, v0
	v_bfe_u32 v29, v0, 10, 10
	v_mov_b32_e32 v8, 0
	s_delay_alu instid0(VALU_DEP_2) | instskip(NEXT) | instid1(VALU_DEP_1)
	v_lshl_add_u32 v2, v29, 3, v28
	v_and_b32_e32 v7, 63, v2
	v_lshrrev_b32_e32 v30, 6, v2
	s_waitcnt lgkmcnt(0)
	s_ashr_i32 s21, s20, 31
	s_add_u32 s2, s6, s2
	s_addc_u32 s3, s7, s3
	s_add_i32 s4, s16, -1
	v_cmp_gt_i32_e32 vcc_lo, s18, v30
	s_ashr_i32 s5, s4, 31
	s_delay_alu instid0(SALU_CYCLE_1) | instskip(NEXT) | instid1(SALU_CYCLE_1)
	s_lshr_b32 s5, s5, 26
	s_add_i32 s4, s4, s5
	s_delay_alu instid0(SALU_CYCLE_1) | instskip(NEXT) | instid1(SALU_CYCLE_1)
	s_ashr_i32 s4, s4, 6
	s_add_i32 s5, s4, 1
	s_not_b32 s4, s4
	v_cvt_f32_u32_e32 v1, s5
	s_delay_alu instid0(VALU_DEP_1) | instskip(SKIP_2) | instid1(VALU_DEP_1)
	v_rcp_iflag_f32_e32 v1, v1
	s_waitcnt_depctr 0xfff
	v_mul_f32_e32 v1, 0x4f7ffffe, v1
	v_cvt_u32_f32_e32 v1, v1
	s_delay_alu instid0(VALU_DEP_1) | instskip(NEXT) | instid1(VALU_DEP_1)
	v_readfirstlane_b32 s6, v1
	s_mul_i32 s4, s4, s6
	s_delay_alu instid0(SALU_CYCLE_1) | instskip(NEXT) | instid1(SALU_CYCLE_1)
	s_mul_hi_u32 s4, s6, s4
	s_add_i32 s6, s6, s4
	s_delay_alu instid0(SALU_CYCLE_1) | instskip(NEXT) | instid1(SALU_CYCLE_1)
	s_mul_hi_u32 s4, s14, s6
	s_mul_i32 s6, s4, s5
	s_add_i32 s7, s4, 1
	s_sub_i32 s6, s14, s6
	s_delay_alu instid0(SALU_CYCLE_1)
	s_sub_i32 s22, s6, s5
	s_cmp_ge_u32 s6, s5
	s_cselect_b32 s4, s7, s4
	s_cselect_b32 s6, s22, s6
	s_add_i32 s7, s4, 1
	s_cmp_ge_u32 s6, s5
	s_cselect_b32 s4, s7, s4
	s_load_b64 s[6:7], s[2:3], 0x0
	s_mul_i32 s2, s4, s5
	s_delay_alu instid0(SALU_CYCLE_1) | instskip(NEXT) | instid1(SALU_CYCLE_1)
	s_sub_i32 s2, s14, s2
	s_lshl_b32 s5, s2, 6
	s_delay_alu instid0(SALU_CYCLE_1) | instskip(NEXT) | instid1(VALU_DEP_1)
	v_or_b32_e32 v0, s5, v7
	v_cmp_gt_i32_e64 s2, s16, v0
	v_cmp_le_i32_e64 s3, s16, v0
	v_ashrrev_i32_e32 v1, 31, v0
	s_delay_alu instid0(VALU_DEP_3) | instskip(NEXT) | instid1(SALU_CYCLE_1)
	s_and_b32 s14, vcc_lo, s2
	s_and_saveexec_b32 s2, s14
	s_cbranch_execz .LBB235_11
; %bb.10:
	v_mad_i64_i32 v[3:4], null, s20, v30, 0
	v_lshlrev_b64 v[5:6], 1, v[0:1]
	s_delay_alu instid0(VALU_DEP_2) | instskip(NEXT) | instid1(VALU_DEP_1)
	v_lshlrev_b64 v[3:4], 1, v[3:4]
	v_add_co_u32 v3, vcc_lo, s8, v3
	s_delay_alu instid0(VALU_DEP_2) | instskip(NEXT) | instid1(VALU_DEP_2)
	v_add_co_ci_u32_e32 v4, vcc_lo, s9, v4, vcc_lo
	v_add_co_u32 v3, vcc_lo, v3, v5
	s_delay_alu instid0(VALU_DEP_2)
	v_add_co_ci_u32_e32 v4, vcc_lo, v4, v6, vcc_lo
	flat_load_u16 v9, v[3:4]
.LBB235_11:
	s_or_b32 exec_lo, exec_lo, s2
	s_load_b32 s24, s[0:1], 0x30
	v_lshrrev_b32_e32 v10, 2, v2
	v_and_b32_e32 v31, 3, v28
	s_lshl_b32 s14, s4, 7
	s_delay_alu instid0(VALU_DEP_2) | instid1(SALU_CYCLE_1)
	v_add_nc_u32_e32 v2, s14, v10
	s_delay_alu instid0(VALU_DEP_2) | instskip(SKIP_1) | instid1(VALU_DEP_3)
	v_lshlrev_b32_e32 v32, 1, v31
	v_cmp_le_i32_e64 s4, s18, v31
	v_cmp_le_i32_e32 vcc_lo, s17, v2
	s_delay_alu instid0(VALU_DEP_3) | instskip(NEXT) | instid1(VALU_DEP_1)
	v_add_co_u32 v11, s2, s12, v32
	v_add_co_ci_u32_e64 v12, null, s13, 0, s2
	s_delay_alu instid0(VALU_DEP_4) | instskip(NEXT) | instid1(SALU_CYCLE_1)
	s_or_b32 s2, s4, vcc_lo
	s_xor_b32 s2, s2, -1
	s_delay_alu instid0(SALU_CYCLE_1)
	s_and_saveexec_b32 s22, s2
	s_cbranch_execz .LBB235_13
; %bb.12:
	s_waitcnt lgkmcnt(0)
	v_mad_i64_i32 v[3:4], null, v2, s24, 0
	s_delay_alu instid0(VALU_DEP_1) | instskip(NEXT) | instid1(VALU_DEP_1)
	v_lshlrev_b64 v[3:4], 1, v[3:4]
	v_add_co_u32 v3, s2, v11, v3
	s_delay_alu instid0(VALU_DEP_1)
	v_add_co_ci_u32_e64 v4, s2, v12, v4, s2
	flat_load_u16 v8, v[3:4]
.LBB235_13:
	s_or_b32 exec_lo, exec_lo, s22
	v_dual_mov_b32 v4, 0 :: v_dual_add_nc_u32 v3, 64, v2
	v_mov_b32_e32 v13, 0
	s_delay_alu instid0(VALU_DEP_2) | instskip(NEXT) | instid1(VALU_DEP_1)
	v_cmp_le_i32_e64 s2, s17, v3
	s_or_b32 s4, s4, s2
	s_delay_alu instid0(SALU_CYCLE_1) | instskip(NEXT) | instid1(SALU_CYCLE_1)
	s_xor_b32 s4, s4, -1
	s_and_saveexec_b32 s22, s4
	s_cbranch_execz .LBB235_15
; %bb.14:
	s_waitcnt lgkmcnt(0)
	v_mad_i64_i32 v[5:6], null, v3, s24, 0
	s_delay_alu instid0(VALU_DEP_1) | instskip(NEXT) | instid1(VALU_DEP_1)
	v_lshlrev_b64 v[5:6], 1, v[5:6]
	v_add_co_u32 v5, s4, v11, v5
	s_delay_alu instid0(VALU_DEP_1)
	v_add_co_ci_u32_e64 v6, s4, v12, v6, s4
	flat_load_u16 v13, v[5:6]
.LBB235_15:
	s_or_b32 exec_lo, exec_lo, s22
	v_add_nc_u32_e32 v5, 4, v30
	s_xor_b32 s22, s3, -1
	s_delay_alu instid0(VALU_DEP_1) | instskip(NEXT) | instid1(VALU_DEP_1)
	v_cmp_gt_i32_e64 s4, s18, v5
	s_and_b32 s3, s22, s4
	s_delay_alu instid0(SALU_CYCLE_1)
	s_and_saveexec_b32 s4, s3
	s_cbranch_execz .LBB235_17
; %bb.16:
	v_mad_u64_u32 v[14:15], null, s20, v5, 0
	s_delay_alu instid0(VALU_DEP_1) | instskip(NEXT) | instid1(VALU_DEP_1)
	v_mov_b32_e32 v4, v15
	v_mad_u64_u32 v[15:16], null, s21, v5, v[4:5]
	s_delay_alu instid0(VALU_DEP_1) | instskip(SKIP_1) | instid1(VALU_DEP_2)
	v_lshlrev_b64 v[4:5], 1, v[14:15]
	v_lshlrev_b64 v[14:15], 1, v[0:1]
	v_add_co_u32 v4, s3, s8, v4
	s_delay_alu instid0(VALU_DEP_1) | instskip(NEXT) | instid1(VALU_DEP_2)
	v_add_co_ci_u32_e64 v5, s3, s9, v5, s3
	v_add_co_u32 v4, s3, v4, v14
	s_delay_alu instid0(VALU_DEP_1)
	v_add_co_ci_u32_e64 v5, s3, v5, v15, s3
	flat_load_u16 v4, v[4:5]
.LBB235_17:
	s_or_b32 exec_lo, exec_lo, s4
	v_or_b32_e32 v5, 4, v31
	v_mov_b32_e32 v6, 0
	s_delay_alu instid0(VALU_DEP_2) | instskip(SKIP_1) | instid1(VALU_DEP_2)
	v_cmp_le_i32_e64 s3, s18, v5
	v_mov_b32_e32 v5, 0
	s_or_b32 s4, s3, vcc_lo
	s_delay_alu instid0(SALU_CYCLE_1) | instskip(NEXT) | instid1(SALU_CYCLE_1)
	s_xor_b32 s4, s4, -1
	s_and_saveexec_b32 s23, s4
	s_cbranch_execz .LBB235_19
; %bb.18:
	s_waitcnt lgkmcnt(0)
	v_mad_i64_i32 v[14:15], null, v2, s24, 0
	s_delay_alu instid0(VALU_DEP_1) | instskip(NEXT) | instid1(VALU_DEP_1)
	v_lshlrev_b64 v[14:15], 1, v[14:15]
	v_add_co_u32 v14, s4, v11, v14
	s_delay_alu instid0(VALU_DEP_1)
	v_add_co_ci_u32_e64 v15, s4, v12, v15, s4
	flat_load_u16 v6, v[14:15] offset:8
.LBB235_19:
	s_or_b32 exec_lo, exec_lo, s23
	s_or_b32 s3, s3, s2
	s_delay_alu instid0(SALU_CYCLE_1) | instskip(NEXT) | instid1(SALU_CYCLE_1)
	s_xor_b32 s3, s3, -1
	s_and_saveexec_b32 s4, s3
	s_cbranch_execz .LBB235_21
; %bb.20:
	s_waitcnt lgkmcnt(0)
	v_mad_i64_i32 v[14:15], null, v3, s24, 0
	s_delay_alu instid0(VALU_DEP_1) | instskip(NEXT) | instid1(VALU_DEP_1)
	v_lshlrev_b64 v[14:15], 1, v[14:15]
	v_add_co_u32 v11, s3, v11, v14
	s_delay_alu instid0(VALU_DEP_1)
	v_add_co_ci_u32_e64 v12, s3, v12, v15, s3
	flat_load_u16 v5, v[11:12] offset:8
.LBB235_21:
	s_or_b32 exec_lo, exec_lo, s4
	v_lshlrev_b32_e32 v7, 3, v7
	v_lshlrev_b32_e32 v34, 3, v28
	v_lshl_or_b32 v35, v10, 3, v32
	v_lshlrev_b32_e32 v33, 3, v29
	s_mov_b32 s23, 0
	v_lshl_add_u32 v7, v30, 1, v7
	v_add_nc_u32_e32 v36, 0x800, v34
	s_waitcnt vmcnt(0) lgkmcnt(0)
	ds_store_b16 v35, v8
	s_cmp_lt_i32 s18, 9
	ds_store_b16 v7, v9 offset:2048
	ds_store_b16 v35, v13 offset:512
	s_waitcnt lgkmcnt(0)
	s_barrier
	buffer_gl0_inv
	ds_load_2addr_b64 v[8:11], v33 offset1:32
	ds_load_2addr_b64 v[12:15], v36 offset0:48 offset1:56
	ds_load_2addr_b64 v[16:19], v33 offset0:64 offset1:96
	ds_load_2addr_b64 v[20:23], v36 offset1:8
	ds_load_2addr_b64 v[24:27], v36 offset0:16 offset1:24
	ds_load_2addr_b64 v[37:40], v36 offset0:32 offset1:40
	ds_store_b16 v35, v6 offset:1024
	ds_store_b16 v7, v4 offset:2560
	;; [unrolled: 1-line block ×3, first 2 shown]
	s_waitcnt lgkmcnt(0)
	s_barrier
	buffer_gl0_inv
	v_pk_max_f16 v8, v8, v8
	v_pk_max_f16 v10, v10, v10
	;; [unrolled: 1-line block ×8, first 2 shown]
	v_pk_min_f16 v49, v24, v8
	v_pk_min_f16 v50, v24, v10
	v_pk_max_f16 v20, v20, v20
	v_pk_max_f16 v22, v22, v22
	v_pk_min_f16 v36, v14, v8
	v_pk_add_f16 v52, v49, 0
	v_pk_min_f16 v49, v26, v8
	v_pk_add_f16 v53, v50, 0
	v_pk_min_f16 v50, v26, v10
	v_pk_max_f16 v39, v39, v39
	v_pk_max_f16 v12, v12, v12
	v_pk_add_f16 v59, v49, 0
	v_pk_min_f16 v49, v37, v8
	v_pk_add_f16 v60, v50, 0
	v_pk_min_f16 v50, v37, v10
	v_pk_max_f16 v9, v9, v9
	v_pk_max_f16 v15, v15, v15
	v_pk_add_f16 v61, v49, 0
	v_pk_min_f16 v49, v37, v16
	v_pk_min_f16 v37, v37, v18
	;; [unrolled: 1-line block ×9, first 2 shown]
	v_pk_add_f16 v36, v36, 0
	v_pk_min_f16 v47, v22, v10
	v_pk_min_f16 v48, v22, v16
	;; [unrolled: 1-line block ×7, first 2 shown]
	v_pk_add_f16 v62, v50, 0
	v_pk_min_f16 v50, v39, v8
	v_pk_min_f16 v55, v39, v10
	v_pk_add_f16 v70, v37, 0
	v_pk_min_f16 v37, v39, v16
	v_pk_min_f16 v39, v39, v18
	;; [unrolled: 1-line block ×6, first 2 shown]
	v_pk_max_f16 v11, v11, v11
	v_pk_min_f16 v14, v14, v18
	v_pk_min_f16 v18, v15, v9
	v_pk_add_f16 v41, v41, 0
	v_pk_add_f16 v73, v37, 0
	v_pk_max_f16 v17, v17, v17
	v_pk_min_f16 v37, v15, v11
	v_pk_max_f16 v21, v21, v21
	v_pk_add_f16 v68, v36, v18
	v_pk_max_f16 v18, v19, v19
	v_pk_add_f16 v43, v43, 0
	v_pk_add_f16 v20, v20, 0
	;; [unrolled: 1-line block ×3, first 2 shown]
	v_pk_min_f16 v19, v21, v9
	v_pk_min_f16 v36, v21, v11
	;; [unrolled: 1-line block ×4, first 2 shown]
	v_pk_max_f16 v23, v23, v23
	v_pk_add_f16 v46, v46, 0
	v_pk_add_f16 v47, v47, 0
	;; [unrolled: 1-line block ×7, first 2 shown]
	v_pk_min_f16 v19, v23, v9
	v_pk_min_f16 v20, v23, v11
	;; [unrolled: 1-line block ×4, first 2 shown]
	v_pk_max_f16 v25, v25, v25
	v_pk_add_f16 v42, v42, 0
	v_pk_add_f16 v51, v51, 0
	;; [unrolled: 1-line block ×4, first 2 shown]
	v_pk_min_f16 v39, v15, v17
	v_pk_add_f16 v41, v46, v19
	v_pk_add_f16 v65, v47, v20
	;; [unrolled: 1-line block ×4, first 2 shown]
	v_pk_min_f16 v19, v25, v9
	v_pk_min_f16 v20, v25, v11
	;; [unrolled: 1-line block ×4, first 2 shown]
	v_pk_max_f16 v23, v27, v27
	v_pk_add_f16 v45, v45, 0
	v_pk_add_f16 v54, v54, 0
	;; [unrolled: 1-line block ×10, first 2 shown]
	v_pk_min_f16 v19, v23, v9
	v_pk_min_f16 v20, v23, v11
	;; [unrolled: 1-line block ×4, first 2 shown]
	v_pk_max_f16 v23, v38, v38
	v_pk_add_f16 v44, v44, 0
	v_pk_add_f16 v57, v45, v37
	;; [unrolled: 1-line block ×6, first 2 shown]
	v_pk_min_f16 v19, v23, v9
	v_pk_min_f16 v20, v23, v11
	v_pk_min_f16 v21, v23, v17
	v_pk_min_f16 v22, v23, v18
	v_pk_max_f16 v23, v40, v40
	v_pk_max_f16 v13, v13, v13
	v_pk_add_f16 v8, v8, 0
	v_pk_add_f16 v10, v10, 0
	;; [unrolled: 1-line block ×10, first 2 shown]
	v_pk_min_f16 v19, v23, v9
	v_pk_min_f16 v20, v23, v11
	;; [unrolled: 1-line block ×9, first 2 shown]
	v_pk_add_f16 v38, v71, v19
	v_pk_add_f16 v61, v72, v20
	;; [unrolled: 1-line block ×9, first 2 shown]
	s_cbranch_scc1 .LBB235_36
; %bb.22:
	v_add_nc_u32_e32 v6, v33, v28
	v_lshlrev_b64 v[0:1], 1, v[0:1]
	v_mad_i64_i32 v[4:5], null, s24, v2, 0
	v_or_b32_e32 v59, 0x800, v7
	s_delay_alu instid0(VALU_DEP_4) | instskip(SKIP_2) | instid1(VALU_DEP_1)
	v_lshrrev_b32_e32 v2, 6, v6
	v_add_nc_u32_e32 v70, 0xa00, v7
	v_add_co_u32 v72, s3, s8, v0
	v_add_co_ci_u32_e64 v73, s3, s9, v1, s3
	v_mad_i64_i32 v[0:1], null, s24, v3, 0
	v_add_nc_u32_e32 v6, 12, v2
	v_add_nc_u32_e32 v8, 8, v2
	v_lshlrev_b64 v[2:3], 1, v[4:5]
	v_add_nc_u32_e32 v66, 0x800, v34
	v_add_nc_u32_e32 v71, 0x400, v35
	v_mad_i64_i32 v[4:5], null, v6, s20, 0
	v_mad_i64_i32 v[6:7], null, v8, s20, 0
	v_lshlrev_b64 v[0:1], 1, v[0:1]
	v_add_co_u32 v76, s3, s12, v2
	s_delay_alu instid0(VALU_DEP_1) | instskip(SKIP_1) | instid1(VALU_DEP_4)
	v_add_co_ci_u32_e64 v77, s3, s13, v3, s3
	v_lshlrev_b64 v[24:25], 1, v[4:5]
	v_add_co_u32 v78, s3, s12, v0
	v_lshlrev_b64 v[26:27], 1, v[6:7]
	v_lshl_add_u32 v74, v28, 3, 0xa00
	v_add_nc_u32_e32 v75, 0x400, v33
	v_add_co_ci_u32_e64 v79, s3, s13, v1, s3
	s_add_i32 s12, s18, -8
	s_lshl_b64 s[8:9], s[20:21], 4
	s_branch .LBB235_24
.LBB235_23:                             ;   in Loop: Header=BB235_24 Depth=1
	s_or_b32 exec_lo, exec_lo, s4
	v_pk_add_f16 v8, v41, v8
	v_pk_add_f16 v41, v65, v82
	;; [unrolled: 1-line block ×26, first 2 shown]
	ds_load_2addr_b64 v[37:40], v66 offset0:48 offset1:56
	ds_load_2addr_b64 v[41:44], v33 offset1:32
	v_pk_add_f16 v9, v47, v9
	ds_load_2addr_b64 v[45:48], v33 offset0:64 offset1:96
	v_pk_add_f16 v6, v62, v6
	v_pk_add_f16 v62, v52, v96
	;; [unrolled: 1-line block ×5, first 2 shown]
	ds_load_2addr_b64 v[49:52], v66 offset1:8
	v_pk_add_f16 v53, v53, v92
	v_pk_add_f16 v60, v60, v99
	;; [unrolled: 1-line block ×10, first 2 shown]
	s_waitcnt lgkmcnt(3)
	v_pk_max_f16 v39, v39, v39
	s_waitcnt lgkmcnt(2)
	v_pk_max_f16 v41, v41, v41
	v_pk_max_f16 v43, v43, v43
	s_waitcnt lgkmcnt(1)
	v_pk_max_f16 v45, v45, v45
	v_pk_add_f16 v53, v53, v3
	v_pk_add_f16 v57, v57, v5
	;; [unrolled: 1-line block ×6, first 2 shown]
	v_pk_min_f16 v5, v39, v41
	v_pk_min_f16 v6, v39, v43
	;; [unrolled: 1-line block ×3, first 2 shown]
	ds_load_2addr_b64 v[1:4], v66 offset0:16 offset1:24
	s_waitcnt lgkmcnt(1)
	v_pk_max_f16 v8, v49, v49
	v_pk_max_f16 v47, v47, v47
	v_pk_add_f16 v14, v14, v112
	v_pk_add_f16 v18, v18, v113
	;; [unrolled: 1-line block ×7, first 2 shown]
	v_pk_min_f16 v5, v8, v41
	v_pk_min_f16 v6, v8, v43
	;; [unrolled: 1-line block ×4, first 2 shown]
	v_pk_add_f16 v61, v61, v95
	v_pk_add_f16 v14, v14, v5
	;; [unrolled: 1-line block ×5, first 2 shown]
	ds_load_2addr_b64 v[5:8], v66 offset0:32 offset1:40
	s_waitcnt lgkmcnt(1)
	v_pk_max_f16 v1, v1, v1
	v_pk_add_f16 v10, v10, v121
	v_pk_add_f16 v23, v65, v23
	v_pk_max_f16 v51, v51, v51
	v_pk_max_f16 v3, v3, v3
	v_pk_min_f16 v65, v1, v43
	v_pk_add_f16 v36, v36, v91
	v_pk_add_f16 v55, v55, v103
	v_pk_add_f16 v13, v61, v13
	v_pk_add_f16 v15, v62, v15
	v_pk_add_f16 v19, v64, v19
	v_pk_min_f16 v61, v51, v41
	v_pk_min_f16 v62, v51, v43
	;; [unrolled: 1-line block ×5, first 2 shown]
	v_pk_add_f16 v10, v10, v65
	v_pk_min_f16 v65, v3, v43
	v_pk_add_f16 v56, v56, v105
	s_waitcnt lgkmcnt(0)
	v_pk_max_f16 v5, v5, v5
	v_pk_add_f16 v36, v36, v106
	v_pk_add_f16 v61, v82, v61
	;; [unrolled: 1-line block ×5, first 2 shown]
	v_pk_min_f16 v9, v3, v41
	v_pk_min_f16 v67, v3, v45
	;; [unrolled: 1-line block ×3, first 2 shown]
	v_pk_add_f16 v83, v55, v65
	v_pk_min_f16 v55, v5, v41
	v_pk_add_f16 v17, v63, v17
	v_pk_min_f16 v63, v51, v45
	;; [unrolled: 2-line block ×3, first 2 shown]
	v_pk_max_f16 v7, v7, v7
	v_pk_add_f16 v36, v36, v55
	v_pk_min_f16 v55, v5, v45
	v_pk_max_f16 v37, v37, v37
	v_pk_add_f16 v63, v84, v63
	v_pk_add_f16 v84, v89, v56
	v_pk_min_f16 v56, v7, v41
	v_pk_min_f16 v65, v7, v43
	v_pk_add_f16 v53, v53, v55
	v_pk_min_f16 v55, v7, v45
	v_pk_min_f16 v7, v7, v47
	;; [unrolled: 1-line block ×6, first 2 shown]
	v_pk_add_f16 v7, v17, v7
	v_pk_add_f16 v17, v19, v41
	;; [unrolled: 1-line block ×3, first 2 shown]
	v_pk_max_f16 v40, v40, v40
	v_pk_max_f16 v43, v44, v44
	v_pk_add_f16 v51, v85, v51
	v_pk_add_f16 v21, v23, v45
	v_pk_min_f16 v23, v37, v47
	v_pk_max_f16 v42, v42, v42
	v_pk_min_f16 v37, v39, v47
	v_pk_max_f16 v85, v46, v46
	v_pk_min_f16 v41, v40, v43
	v_pk_add_f16 v64, v86, v64
	v_pk_add_f16 v23, v58, v23
	v_pk_min_f16 v39, v40, v42
	v_pk_add_f16 v86, v60, v37
	v_pk_min_f16 v37, v40, v85
	v_pk_max_f16 v44, v50, v50
	v_pk_add_f16 v58, v12, v41
	v_pk_max_f16 v12, v48, v48
	v_pk_add_f16 v54, v54, v104
	v_pk_add_f16 v68, v49, v39
	v_pk_add_f16 v50, v16, v37
	v_pk_min_f16 v16, v44, v42
	v_pk_min_f16 v37, v44, v43
	;; [unrolled: 1-line block ×4, first 2 shown]
	v_pk_max_f16 v44, v52, v52
	v_pk_add_f16 v54, v54, v67
	v_pk_add_f16 v69, v14, v16
	;; [unrolled: 1-line block ×3, first 2 shown]
	v_pk_max_f16 v2, v2, v2
	v_pk_min_f16 v14, v44, v42
	v_pk_min_f16 v16, v44, v43
	;; [unrolled: 1-line block ×4, first 2 shown]
	v_pk_add_f16 v11, v11, v56
	v_pk_add_f16 v13, v13, v65
	;; [unrolled: 1-line block ×6, first 2 shown]
	v_pk_min_f16 v14, v2, v42
	v_pk_min_f16 v16, v2, v43
	;; [unrolled: 1-line block ×4, first 2 shown]
	v_pk_max_f16 v4, v4, v4
	v_pk_add_f16 v9, v88, v9
	v_pk_add_f16 v5, v57, v5
	;; [unrolled: 1-line block ×6, first 2 shown]
	v_pk_min_f16 v1, v4, v42
	v_pk_min_f16 v2, v4, v43
	;; [unrolled: 1-line block ×4, first 2 shown]
	v_pk_max_f16 v6, v6, v6
	v_pk_add_f16 v37, v9, v1
	v_pk_add_f16 v63, v83, v2
	;; [unrolled: 1-line block ×4, first 2 shown]
	v_pk_min_f16 v1, v6, v42
	v_pk_min_f16 v2, v6, v43
	;; [unrolled: 1-line block ×4, first 2 shown]
	v_pk_max_f16 v6, v8, v8
	v_pk_add_f16 v36, v36, v1
	v_pk_add_f16 v62, v84, v2
	;; [unrolled: 1-line block ×4, first 2 shown]
	v_pk_min_f16 v1, v6, v42
	v_pk_min_f16 v2, v6, v43
	;; [unrolled: 1-line block ×4, first 2 shown]
	v_pk_max_f16 v5, v38, v38
	v_add_co_u32 v76, s3, v76, 16
	s_delay_alu instid0(VALU_DEP_1)
	v_add_co_ci_u32_e64 v77, s3, 0, v77, s3
	v_pk_min_f16 v20, v44, v12
	v_pk_add_f16 v38, v11, v1
	v_pk_add_f16 v61, v13, v2
	;; [unrolled: 1-line block ×4, first 2 shown]
	v_pk_min_f16 v1, v5, v42
	v_pk_min_f16 v2, v5, v43
	;; [unrolled: 1-line block ×5, first 2 shown]
	v_add_co_u32 v78, s3, v78, 16
	s_delay_alu instid0(VALU_DEP_1)
	v_add_co_ci_u32_e64 v79, s3, 0, v79, s3
	v_add_co_u32 v72, s3, v72, s8
	v_pk_add_f16 v48, v51, v20
	v_pk_add_f16 v55, v82, v18
	;; [unrolled: 1-line block ×8, first 2 shown]
	v_add_co_ci_u32_e64 v73, s3, s9, v73, s3
	s_add_i32 s23, s23, 8
	s_waitcnt vmcnt(0)
	ds_store_b16 v70, v81
	ds_store_b16 v71, v80
	ds_store_b16 v71, v0 offset:512
	s_cmp_ge_i32 s23, s12
	s_waitcnt lgkmcnt(0)
	s_barrier
	buffer_gl0_inv
	s_cbranch_scc1 .LBB235_36
.LBB235_24:                             ; =>This Inner Loop Header: Depth=1
	v_dual_mov_b32 v81, 0 :: v_dual_add_nc_u32 v80, s23, v30
	s_delay_alu instid0(VALU_DEP_1) | instskip(NEXT) | instid1(VALU_DEP_1)
	v_add_nc_u32_e32 v0, 8, v80
	v_cmp_gt_i32_e64 s3, s18, v0
	s_delay_alu instid0(VALU_DEP_1) | instskip(NEXT) | instid1(SALU_CYCLE_1)
	s_and_b32 s3, s22, s3
	s_and_saveexec_b32 s4, s3
	s_cbranch_execz .LBB235_26
; %bb.25:                               ;   in Loop: Header=BB235_24 Depth=1
	v_add_co_u32 v0, s3, v72, v26
	s_delay_alu instid0(VALU_DEP_1)
	v_add_co_ci_u32_e64 v1, s3, v73, v27, s3
	flat_load_u16 v81, v[0:1]
.LBB235_26:                             ;   in Loop: Header=BB235_24 Depth=1
	s_or_b32 exec_lo, exec_lo, s4
	v_dual_mov_b32 v83, 0 :: v_dual_add_nc_u32 v82, s23, v31
	v_mov_b32_e32 v84, 0
	s_delay_alu instid0(VALU_DEP_2) | instskip(NEXT) | instid1(VALU_DEP_1)
	v_add_nc_u32_e32 v0, 8, v82
	v_cmp_le_i32_e64 s3, s18, v0
	s_delay_alu instid0(VALU_DEP_1) | instskip(NEXT) | instid1(SALU_CYCLE_1)
	s_or_b32 s4, vcc_lo, s3
	s_xor_b32 s4, s4, -1
	s_delay_alu instid0(SALU_CYCLE_1)
	s_and_saveexec_b32 s13, s4
	s_cbranch_execz .LBB235_28
; %bb.27:                               ;   in Loop: Header=BB235_24 Depth=1
	v_add_co_u32 v0, s4, v76, v32
	s_delay_alu instid0(VALU_DEP_1)
	v_add_co_ci_u32_e64 v1, s4, 0, v77, s4
	flat_load_u16 v84, v[0:1] offset:16
.LBB235_28:                             ;   in Loop: Header=BB235_24 Depth=1
	s_or_b32 exec_lo, exec_lo, s13
	s_or_b32 s3, s2, s3
	s_delay_alu instid0(SALU_CYCLE_1) | instskip(NEXT) | instid1(SALU_CYCLE_1)
	s_xor_b32 s3, s3, -1
	s_and_saveexec_b32 s4, s3
	s_cbranch_execz .LBB235_30
; %bb.29:                               ;   in Loop: Header=BB235_24 Depth=1
	v_add_co_u32 v0, s3, v78, v32
	s_delay_alu instid0(VALU_DEP_1)
	v_add_co_ci_u32_e64 v1, s3, 0, v79, s3
	flat_load_u16 v83, v[0:1] offset:16
.LBB235_30:                             ;   in Loop: Header=BB235_24 Depth=1
	s_or_b32 exec_lo, exec_lo, s4
	ds_load_2addr_b64 v[0:3], v74 offset0:48 offset1:56
	ds_load_2addr_b64 v[12:15], v75 offset0:64 offset1:96
	ds_load_2addr_b64 v[20:23], v75 offset1:32
	ds_load_2addr_b64 v[16:19], v74 offset1:8
	ds_load_2addr_b64 v[8:11], v74 offset0:16 offset1:24
	ds_load_2addr_b64 v[4:7], v74 offset0:32 offset1:40
	v_add_nc_u32_e32 v80, 12, v80
	s_waitcnt vmcnt(0) lgkmcnt(6)
	ds_store_b16 v59, v81
	ds_store_b16 v35, v84
	ds_store_b16 v35, v83 offset:512
	v_mov_b32_e32 v81, 0
	s_waitcnt lgkmcnt(0)
	s_barrier
	v_cmp_gt_i32_e64 s3, s18, v80
	v_mov_b32_e32 v80, 0
	buffer_gl0_inv
	s_and_b32 s3, s22, s3
	s_delay_alu instid0(SALU_CYCLE_1)
	s_and_saveexec_b32 s4, s3
	s_cbranch_execz .LBB235_32
; %bb.31:                               ;   in Loop: Header=BB235_24 Depth=1
	v_add_co_u32 v83, s3, v72, v24
	s_delay_alu instid0(VALU_DEP_1)
	v_add_co_ci_u32_e64 v84, s3, v73, v25, s3
	flat_load_u16 v81, v[83:84]
.LBB235_32:                             ;   in Loop: Header=BB235_24 Depth=1
	s_or_b32 exec_lo, exec_lo, s4
	v_add_nc_u32_e32 v82, 12, v82
	s_delay_alu instid0(VALU_DEP_1) | instskip(NEXT) | instid1(VALU_DEP_1)
	v_cmp_le_i32_e64 s3, s18, v82
	s_or_b32 s4, vcc_lo, s3
	s_delay_alu instid0(SALU_CYCLE_1) | instskip(NEXT) | instid1(SALU_CYCLE_1)
	s_xor_b32 s4, s4, -1
	s_and_saveexec_b32 s13, s4
	s_cbranch_execz .LBB235_34
; %bb.33:                               ;   in Loop: Header=BB235_24 Depth=1
	v_add_co_u32 v82, s4, v76, v32
	s_delay_alu instid0(VALU_DEP_1)
	v_add_co_ci_u32_e64 v83, s4, 0, v77, s4
	flat_load_u16 v80, v[82:83] offset:24
.LBB235_34:                             ;   in Loop: Header=BB235_24 Depth=1
	s_or_b32 exec_lo, exec_lo, s13
	v_pk_max_f16 v102, v2, v2
	v_pk_max_f16 v98, v20, v20
	;; [unrolled: 1-line block ×12, first 2 shown]
	v_pk_min_f16 v2, v102, v98
	v_pk_min_f16 v12, v102, v99
	;; [unrolled: 1-line block ×25, first 2 shown]
	v_pk_max_f16 v0, v3, v3
	v_pk_max_f16 v21, v21, v21
	;; [unrolled: 1-line block ×9, first 2 shown]
	v_pk_min_f16 v112, v3, v21
	v_pk_min_f16 v113, v3, v23
	;; [unrolled: 1-line block ×4, first 2 shown]
	v_pk_max_f16 v3, v9, v9
	v_pk_max_f16 v7, v7, v7
	;; [unrolled: 1-line block ×3, first 2 shown]
	v_pk_min_f16 v22, v22, v103
	v_pk_min_f16 v84, v84, v103
	;; [unrolled: 1-line block ×35, first 2 shown]
	v_mov_b32_e32 v0, 0
	s_or_b32 s3, s2, s3
	s_delay_alu instid0(SALU_CYCLE_1) | instskip(NEXT) | instid1(SALU_CYCLE_1)
	s_xor_b32 s3, s3, -1
	s_and_saveexec_b32 s4, s3
	s_cbranch_execz .LBB235_23
; %bb.35:                               ;   in Loop: Header=BB235_24 Depth=1
	v_add_co_u32 v123, s3, v78, v32
	s_delay_alu instid0(VALU_DEP_1)
	v_add_co_ci_u32_e64 v124, s3, 0, v79, s3
	flat_load_u16 v0, v[123:124] offset:24
	s_branch .LBB235_23
.LBB235_36:
	s_clause 0x2
	s_load_b32 s12, s[0:1], 0x50
	s_load_b32 s9, s[0:1], 0x68
	s_load_b64 s[2:3], s[0:1], 0x70
	v_add_nc_u32_e32 v66, s14, v29
	v_add_nc_u32_e32 v8, 0x800, v34
	;; [unrolled: 1-line block ×3, first 2 shown]
	ds_load_2addr_b64 v[0:3], v33 offset0:192 offset1:224
	ds_load_2addr_b64 v[20:23], v33 offset0:128 offset1:160
	;; [unrolled: 1-line block ×6, first 2 shown]
	v_cmp_gt_i32_e64 s8, s17, v66
	v_cmp_gt_i32_e64 s0, s16, v24
	v_cndmask_b32_e64 v59, 0, 1, s19
	s_waitcnt lgkmcnt(0)
	v_mad_i64_i32 v[25:26], null, v66, s12, 0
	v_mad_i64_i32 v[27:28], null, v66, s9, 0
	s_lshl_b64 s[2:3], s[2:3], 1
	s_delay_alu instid0(SALU_CYCLE_1) | instskip(SKIP_1) | instid1(VALU_DEP_2)
	s_add_u32 s13, s6, s2
	s_addc_u32 s14, s7, s3
	v_lshlrev_b64 v[29:30], 1, v[25:26]
	v_ashrrev_i32_e32 v25, 31, v24
	s_delay_alu instid0(VALU_DEP_3) | instskip(SKIP_1) | instid1(VALU_DEP_3)
	v_lshlrev_b64 v[26:27], 1, v[27:28]
	s_and_b32 s2, s0, s8
	v_add_co_u32 v72, vcc_lo, s10, v29
	s_delay_alu instid0(VALU_DEP_4) | instskip(NEXT) | instid1(VALU_DEP_3)
	v_add_co_ci_u32_e32 v73, vcc_lo, s11, v30, vcc_lo
	v_add_co_u32 v70, vcc_lo, s13, v26
	s_delay_alu instid0(VALU_DEP_4)
	v_add_co_ci_u32_e32 v71, vcc_lo, s14, v27, vcc_lo
	s_and_saveexec_b32 s1, s2
	s_cbranch_execz .LBB235_41
; %bb.37:
	v_lshlrev_b64 v[26:27], 1, v[24:25]
	s_and_not1_b32 vcc_lo, exec_lo, s19
	s_cbranch_vccnz .LBB235_39
; %bb.38:
	s_delay_alu instid0(VALU_DEP_1) | instskip(NEXT) | instid1(VALU_DEP_2)
	v_add_co_u32 v28, vcc_lo, v72, v26
	v_add_co_ci_u32_e32 v29, vcc_lo, v73, v27, vcc_lo
	flat_load_u16 v28, v[28:29]
	s_waitcnt vmcnt(0) lgkmcnt(0)
	v_mul_f16_e32 v28, s15, v28
	s_branch .LBB235_40
.LBB235_39:
	v_mov_b32_e32 v28, 0
.LBB235_40:
	v_pk_max_f16 v29, v20, v20
	v_pk_max_f16 v30, v16, v16
	;; [unrolled: 1-line block ×4, first 2 shown]
	v_add_co_u32 v26, vcc_lo, v70, v26
	s_delay_alu instid0(VALU_DEP_4) | instskip(SKIP_1) | instid1(VALU_DEP_4)
	v_pk_min_f16 v29, v30, v29
	v_add_co_ci_u32_e32 v27, vcc_lo, v71, v27, vcc_lo
	v_pk_min_f16 v30, v32, v31
	s_delay_alu instid0(VALU_DEP_3) | instskip(NEXT) | instid1(VALU_DEP_1)
	v_pk_add_f16 v29, v69, v29
	v_pk_add_f16 v29, v29, v30
	s_delay_alu instid0(VALU_DEP_1) | instskip(NEXT) | instid1(VALU_DEP_1)
	v_lshrrev_b32_e32 v30, 16, v29
	v_add_f16_e32 v29, v29, v30
	s_delay_alu instid0(VALU_DEP_1)
	v_add_f16_e32 v28, v29, v28
	global_store_b16 v[26:27], v28, off
.LBB235_41:
	s_or_b32 exec_lo, exec_lo, s1
	v_add_nc_u32_e32 v26, 8, v24
	s_delay_alu instid0(VALU_DEP_1) | instskip(SKIP_1) | instid1(VALU_DEP_2)
	v_cmp_gt_i32_e64 s1, s16, v26
	v_ashrrev_i32_e32 v27, 31, v26
	s_and_b32 s3, s1, s8
	s_delay_alu instid0(SALU_CYCLE_1)
	s_and_saveexec_b32 s2, s3
	s_cbranch_execz .LBB235_46
; %bb.42:
	v_cmp_ne_u32_e32 vcc_lo, 1, v59
	v_lshlrev_b64 v[28:29], 1, v[26:27]
	s_cbranch_vccnz .LBB235_44
; %bb.43:
	s_delay_alu instid0(VALU_DEP_1) | instskip(NEXT) | instid1(VALU_DEP_2)
	v_add_co_u32 v30, vcc_lo, v72, v28
	v_add_co_ci_u32_e32 v31, vcc_lo, v73, v29, vcc_lo
	flat_load_u16 v30, v[30:31]
	s_waitcnt vmcnt(0) lgkmcnt(0)
	v_mul_f16_e32 v30, s15, v30
	s_branch .LBB235_45
.LBB235_44:
	v_mov_b32_e32 v30, 0
.LBB235_45:
	v_pk_max_f16 v31, v20, v20
	v_pk_max_f16 v32, v18, v18
	v_pk_max_f16 v33, v21, v21
	v_pk_max_f16 v34, v19, v19
	v_add_co_u32 v28, vcc_lo, v70, v28
	s_delay_alu instid0(VALU_DEP_4) | instskip(SKIP_1) | instid1(VALU_DEP_4)
	v_pk_min_f16 v31, v32, v31
	v_add_co_ci_u32_e32 v29, vcc_lo, v71, v29, vcc_lo
	v_pk_min_f16 v32, v34, v33
	s_delay_alu instid0(VALU_DEP_3) | instskip(NEXT) | instid1(VALU_DEP_1)
	v_pk_add_f16 v31, v41, v31
	v_pk_add_f16 v31, v31, v32
	s_delay_alu instid0(VALU_DEP_1) | instskip(NEXT) | instid1(VALU_DEP_1)
	v_lshrrev_b32_e32 v32, 16, v31
	v_add_f16_e32 v31, v31, v32
	s_delay_alu instid0(VALU_DEP_1)
	v_add_f16_e32 v30, v31, v30
	global_store_b16 v[28:29], v30, off
.LBB235_46:
	s_or_b32 exec_lo, exec_lo, s2
	v_add_nc_u32_e32 v28, 16, v24
	s_delay_alu instid0(VALU_DEP_1) | instskip(SKIP_1) | instid1(VALU_DEP_2)
	v_cmp_gt_i32_e64 s2, s16, v28
	v_ashrrev_i32_e32 v29, 31, v28
	s_and_b32 s4, s2, s8
	s_delay_alu instid0(SALU_CYCLE_1)
	s_and_saveexec_b32 s3, s4
	s_cbranch_execz .LBB235_51
; %bb.47:
	v_cmp_ne_u32_e32 vcc_lo, 1, v59
	v_lshlrev_b64 v[30:31], 1, v[28:29]
	s_cbranch_vccnz .LBB235_49
; %bb.48:
	s_delay_alu instid0(VALU_DEP_1) | instskip(NEXT) | instid1(VALU_DEP_2)
	v_add_co_u32 v32, vcc_lo, v72, v30
	v_add_co_ci_u32_e32 v33, vcc_lo, v73, v31, vcc_lo
	flat_load_u16 v32, v[32:33]
	s_waitcnt vmcnt(0) lgkmcnt(0)
	v_mul_f16_e32 v32, s15, v32
	s_branch .LBB235_50
.LBB235_49:
	v_mov_b32_e32 v32, 0
.LBB235_50:
	v_pk_max_f16 v33, v20, v20
	v_pk_max_f16 v34, v12, v12
	v_pk_max_f16 v35, v21, v21
	v_pk_max_f16 v41, v13, v13
	v_add_co_u32 v30, vcc_lo, v70, v30
	s_delay_alu instid0(VALU_DEP_4) | instskip(SKIP_1) | instid1(VALU_DEP_4)
	v_pk_min_f16 v33, v34, v33
	v_add_co_ci_u32_e32 v31, vcc_lo, v71, v31, vcc_lo
	v_pk_min_f16 v34, v41, v35
	s_delay_alu instid0(VALU_DEP_3) | instskip(NEXT) | instid1(VALU_DEP_1)
	v_pk_add_f16 v33, v39, v33
	v_pk_add_f16 v33, v33, v34
	s_delay_alu instid0(VALU_DEP_1) | instskip(NEXT) | instid1(VALU_DEP_1)
	v_lshrrev_b32_e32 v34, 16, v33
	v_add_f16_e32 v33, v33, v34
	s_delay_alu instid0(VALU_DEP_1)
	v_add_f16_e32 v32, v33, v32
	global_store_b16 v[30:31], v32, off
.LBB235_51:
	;; [unrolled: 43-line block ×6, first 2 shown]
	s_or_b32 exec_lo, exec_lo, s7
	v_add_nc_u32_e32 v38, 56, v24
	s_delay_alu instid0(VALU_DEP_1) | instskip(SKIP_1) | instid1(VALU_DEP_2)
	v_cmp_gt_i32_e64 s7, s16, v38
	v_ashrrev_i32_e32 v39, 31, v38
	s_and_b32 s16, s7, s8
	s_delay_alu instid0(SALU_CYCLE_1)
	s_and_saveexec_b32 s8, s16
	s_cbranch_execz .LBB235_76
; %bb.72:
	v_cmp_ne_u32_e32 vcc_lo, 1, v59
	v_lshlrev_b64 v[40:41], 1, v[38:39]
	s_cbranch_vccnz .LBB235_74
; %bb.73:
	s_delay_alu instid0(VALU_DEP_1) | instskip(NEXT) | instid1(VALU_DEP_2)
	v_add_co_u32 v72, vcc_lo, v72, v40
	v_add_co_ci_u32_e32 v73, vcc_lo, v73, v41, vcc_lo
	flat_load_u16 v69, v[72:73]
	s_waitcnt vmcnt(0) lgkmcnt(0)
	v_mul_f16_e32 v69, s15, v69
	s_branch .LBB235_75
.LBB235_74:
	v_mov_b32_e32 v69, 0
.LBB235_75:
	v_pk_max_f16 v20, v20, v20
	v_pk_max_f16 v72, v6, v6
	;; [unrolled: 1-line block ×4, first 2 shown]
	s_delay_alu instid0(VALU_DEP_3) | instskip(NEXT) | instid1(VALU_DEP_2)
	v_pk_min_f16 v20, v72, v20
	v_pk_min_f16 v21, v73, v21
	s_delay_alu instid0(VALU_DEP_2) | instskip(NEXT) | instid1(VALU_DEP_1)
	v_pk_add_f16 v20, v68, v20
	v_pk_add_f16 v20, v20, v21
	s_delay_alu instid0(VALU_DEP_1) | instskip(NEXT) | instid1(VALU_DEP_1)
	v_lshrrev_b32_e32 v21, 16, v20
	v_add_f16_e32 v20, v20, v21
	s_delay_alu instid0(VALU_DEP_1)
	v_add_f16_e32 v68, v20, v69
	v_add_co_u32 v20, vcc_lo, v70, v40
	v_add_co_ci_u32_e32 v21, vcc_lo, v71, v41, vcc_lo
	global_store_b16 v[20:21], v68, off
.LBB235_76:
	s_or_b32 exec_lo, exec_lo, s8
	v_add_nc_u32_e32 v68, 32, v66
	s_delay_alu instid0(VALU_DEP_1) | instskip(SKIP_2) | instid1(VALU_DEP_3)
	v_mad_i64_i32 v[20:21], null, v68, s12, 0
	v_mad_i64_i32 v[40:41], null, v68, s9, 0
	v_cmp_gt_i32_e64 s8, s17, v68
	v_lshlrev_b64 v[20:21], 1, v[20:21]
	s_delay_alu instid0(VALU_DEP_2) | instskip(NEXT) | instid1(VALU_DEP_3)
	s_and_b32 s18, s0, s8
	v_lshlrev_b64 v[40:41], 1, v[40:41]
	s_delay_alu instid0(VALU_DEP_2) | instskip(NEXT) | instid1(VALU_DEP_3)
	v_add_co_u32 v68, vcc_lo, s10, v20
	v_add_co_ci_u32_e32 v69, vcc_lo, s11, v21, vcc_lo
	s_delay_alu instid0(VALU_DEP_3) | instskip(NEXT) | instid1(VALU_DEP_4)
	v_add_co_u32 v40, vcc_lo, s13, v40
	v_add_co_ci_u32_e32 v41, vcc_lo, s14, v41, vcc_lo
	s_and_saveexec_b32 s16, s18
	s_cbranch_execnz .LBB235_84
; %bb.77:
	s_or_b32 exec_lo, exec_lo, s16
	s_and_b32 s18, s1, s8
	s_delay_alu instid0(SALU_CYCLE_1)
	s_and_saveexec_b32 s16, s18
	s_cbranch_execnz .LBB235_88
.LBB235_78:
	s_or_b32 exec_lo, exec_lo, s16
	s_and_b32 s18, s2, s8
	s_delay_alu instid0(SALU_CYCLE_1)
	s_and_saveexec_b32 s16, s18
	s_cbranch_execnz .LBB235_92
.LBB235_79:
	s_or_b32 exec_lo, exec_lo, s16
	s_and_b32 s18, s3, s8
	s_delay_alu instid0(SALU_CYCLE_1)
	s_and_saveexec_b32 s16, s18
	s_cbranch_execnz .LBB235_96
.LBB235_80:
	s_or_b32 exec_lo, exec_lo, s16
	s_and_b32 s18, s4, s8
	s_delay_alu instid0(SALU_CYCLE_1)
	s_and_saveexec_b32 s16, s18
	s_cbranch_execnz .LBB235_100
.LBB235_81:
	s_or_b32 exec_lo, exec_lo, s16
	s_and_b32 s18, s5, s8
	s_delay_alu instid0(SALU_CYCLE_1)
	s_and_saveexec_b32 s16, s18
	s_cbranch_execnz .LBB235_104
.LBB235_82:
	s_or_b32 exec_lo, exec_lo, s16
	s_and_b32 s18, s6, s8
	s_delay_alu instid0(SALU_CYCLE_1)
	s_and_saveexec_b32 s16, s18
	s_cbranch_execnz .LBB235_108
.LBB235_83:
	s_or_b32 exec_lo, exec_lo, s16
	s_and_b32 s16, s7, s8
	s_delay_alu instid0(SALU_CYCLE_1)
	s_and_saveexec_b32 s8, s16
	s_cbranch_execnz .LBB235_112
	s_branch .LBB235_116
.LBB235_84:
	v_cmp_ne_u32_e32 vcc_lo, 1, v59
	v_lshlrev_b64 v[20:21], 1, v[24:25]
	s_cbranch_vccnz .LBB235_86
; %bb.85:
	s_delay_alu instid0(VALU_DEP_1) | instskip(NEXT) | instid1(VALU_DEP_2)
	v_add_co_u32 v70, vcc_lo, v68, v20
	v_add_co_ci_u32_e32 v71, vcc_lo, v69, v21, vcc_lo
	flat_load_u16 v70, v[70:71]
	s_waitcnt vmcnt(0) lgkmcnt(0)
	v_mul_f16_e32 v70, s15, v70
	s_branch .LBB235_87
.LBB235_86:
	v_mov_b32_e32 v70, 0
.LBB235_87:
	v_pk_max_f16 v71, v22, v22
	v_pk_max_f16 v72, v16, v16
	;; [unrolled: 1-line block ×4, first 2 shown]
	v_add_co_u32 v20, vcc_lo, v40, v20
	s_delay_alu instid0(VALU_DEP_4) | instskip(SKIP_1) | instid1(VALU_DEP_4)
	v_pk_min_f16 v71, v72, v71
	v_add_co_ci_u32_e32 v21, vcc_lo, v41, v21, vcc_lo
	v_pk_min_f16 v72, v74, v73
	s_delay_alu instid0(VALU_DEP_3) | instskip(NEXT) | instid1(VALU_DEP_1)
	v_pk_add_f16 v67, v67, v71
	v_pk_add_f16 v67, v67, v72
	s_delay_alu instid0(VALU_DEP_1) | instskip(NEXT) | instid1(VALU_DEP_1)
	v_lshrrev_b32_e32 v71, 16, v67
	v_add_f16_e32 v67, v67, v71
	s_delay_alu instid0(VALU_DEP_1) | instskip(SKIP_3) | instid1(SALU_CYCLE_1)
	v_add_f16_e32 v67, v67, v70
	global_store_b16 v[20:21], v67, off
	s_or_b32 exec_lo, exec_lo, s16
	s_and_b32 s18, s1, s8
	s_and_saveexec_b32 s16, s18
	s_cbranch_execz .LBB235_78
.LBB235_88:
	v_cmp_ne_u32_e32 vcc_lo, 1, v59
	v_lshlrev_b64 v[20:21], 1, v[26:27]
	s_cbranch_vccnz .LBB235_90
; %bb.89:
	s_delay_alu instid0(VALU_DEP_1) | instskip(NEXT) | instid1(VALU_DEP_2)
	v_add_co_u32 v70, vcc_lo, v68, v20
	v_add_co_ci_u32_e32 v71, vcc_lo, v69, v21, vcc_lo
	flat_load_u16 v67, v[70:71]
	s_waitcnt vmcnt(0) lgkmcnt(0)
	v_mul_f16_e32 v67, s15, v67
	s_branch .LBB235_91
.LBB235_90:
	v_mov_b32_e32 v67, 0
.LBB235_91:
	v_pk_max_f16 v70, v22, v22
	v_pk_max_f16 v71, v18, v18
	;; [unrolled: 1-line block ×4, first 2 shown]
	v_add_co_u32 v20, vcc_lo, v40, v20
	s_delay_alu instid0(VALU_DEP_4) | instskip(SKIP_1) | instid1(VALU_DEP_4)
	v_pk_min_f16 v70, v71, v70
	v_add_co_ci_u32_e32 v21, vcc_lo, v41, v21, vcc_lo
	v_pk_min_f16 v71, v73, v72
	s_delay_alu instid0(VALU_DEP_3) | instskip(NEXT) | instid1(VALU_DEP_1)
	v_pk_add_f16 v65, v65, v70
	v_pk_add_f16 v65, v65, v71
	s_delay_alu instid0(VALU_DEP_1) | instskip(NEXT) | instid1(VALU_DEP_1)
	v_lshrrev_b32_e32 v70, 16, v65
	v_add_f16_e32 v65, v65, v70
	s_delay_alu instid0(VALU_DEP_1) | instskip(SKIP_3) | instid1(SALU_CYCLE_1)
	v_add_f16_e32 v65, v65, v67
	global_store_b16 v[20:21], v65, off
	s_or_b32 exec_lo, exec_lo, s16
	s_and_b32 s18, s2, s8
	s_and_saveexec_b32 s16, s18
	s_cbranch_execz .LBB235_79
.LBB235_92:
	v_cmp_ne_u32_e32 vcc_lo, 1, v59
	v_lshlrev_b64 v[20:21], 1, v[28:29]
	s_cbranch_vccnz .LBB235_94
; %bb.93:
	s_delay_alu instid0(VALU_DEP_1) | instskip(NEXT) | instid1(VALU_DEP_2)
	v_add_co_u32 v70, vcc_lo, v68, v20
	v_add_co_ci_u32_e32 v71, vcc_lo, v69, v21, vcc_lo
	flat_load_u16 v65, v[70:71]
	s_waitcnt vmcnt(0) lgkmcnt(0)
	v_mul_f16_e32 v65, s15, v65
	s_branch .LBB235_95
.LBB235_94:
	v_mov_b32_e32 v65, 0
.LBB235_95:
	v_pk_max_f16 v67, v22, v22
	v_pk_max_f16 v70, v12, v12
	;; [unrolled: 1-line block ×4, first 2 shown]
	v_add_co_u32 v20, vcc_lo, v40, v20
	s_delay_alu instid0(VALU_DEP_4) | instskip(SKIP_1) | instid1(VALU_DEP_4)
	v_pk_min_f16 v67, v70, v67
	v_add_co_ci_u32_e32 v21, vcc_lo, v41, v21, vcc_lo
	v_pk_min_f16 v70, v72, v71
	s_delay_alu instid0(VALU_DEP_3) | instskip(NEXT) | instid1(VALU_DEP_1)
	v_pk_add_f16 v64, v64, v67
	v_pk_add_f16 v64, v64, v70
	s_delay_alu instid0(VALU_DEP_1) | instskip(NEXT) | instid1(VALU_DEP_1)
	v_lshrrev_b32_e32 v67, 16, v64
	v_add_f16_e32 v64, v64, v67
	s_delay_alu instid0(VALU_DEP_1) | instskip(SKIP_3) | instid1(SALU_CYCLE_1)
	v_add_f16_e32 v64, v64, v65
	global_store_b16 v[20:21], v64, off
	s_or_b32 exec_lo, exec_lo, s16
	s_and_b32 s18, s3, s8
	s_and_saveexec_b32 s16, s18
	s_cbranch_execz .LBB235_80
.LBB235_96:
	v_cmp_ne_u32_e32 vcc_lo, 1, v59
	v_lshlrev_b64 v[20:21], 1, v[30:31]
	s_cbranch_vccnz .LBB235_98
; %bb.97:
	s_delay_alu instid0(VALU_DEP_1) | instskip(NEXT) | instid1(VALU_DEP_2)
	v_add_co_u32 v64, vcc_lo, v68, v20
	v_add_co_ci_u32_e32 v65, vcc_lo, v69, v21, vcc_lo
	flat_load_u16 v64, v[64:65]
	s_waitcnt vmcnt(0) lgkmcnt(0)
	v_mul_f16_e32 v64, s15, v64
	s_branch .LBB235_99
.LBB235_98:
	v_mov_b32_e32 v64, 0
.LBB235_99:
	v_pk_max_f16 v65, v22, v22
	v_pk_max_f16 v67, v14, v14
	v_pk_max_f16 v70, v23, v23
	v_pk_max_f16 v71, v15, v15
	v_add_co_u32 v20, vcc_lo, v40, v20
	s_delay_alu instid0(VALU_DEP_4) | instskip(SKIP_1) | instid1(VALU_DEP_4)
	v_pk_min_f16 v65, v67, v65
	v_add_co_ci_u32_e32 v21, vcc_lo, v41, v21, vcc_lo
	v_pk_min_f16 v67, v71, v70
	s_delay_alu instid0(VALU_DEP_3) | instskip(NEXT) | instid1(VALU_DEP_1)
	v_pk_add_f16 v63, v63, v65
	v_pk_add_f16 v63, v63, v67
	s_delay_alu instid0(VALU_DEP_1) | instskip(NEXT) | instid1(VALU_DEP_1)
	v_lshrrev_b32_e32 v65, 16, v63
	v_add_f16_e32 v63, v63, v65
	s_delay_alu instid0(VALU_DEP_1) | instskip(SKIP_3) | instid1(SALU_CYCLE_1)
	v_add_f16_e32 v63, v63, v64
	global_store_b16 v[20:21], v63, off
	s_or_b32 exec_lo, exec_lo, s16
	s_and_b32 s18, s4, s8
	s_and_saveexec_b32 s16, s18
	s_cbranch_execz .LBB235_81
.LBB235_100:
	v_cmp_ne_u32_e32 vcc_lo, 1, v59
	v_lshlrev_b64 v[20:21], 1, v[32:33]
	s_cbranch_vccnz .LBB235_102
; %bb.101:
	s_delay_alu instid0(VALU_DEP_1) | instskip(NEXT) | instid1(VALU_DEP_2)
	v_add_co_u32 v63, vcc_lo, v68, v20
	v_add_co_ci_u32_e32 v64, vcc_lo, v69, v21, vcc_lo
	flat_load_u16 v63, v[63:64]
	s_waitcnt vmcnt(0) lgkmcnt(0)
	v_mul_f16_e32 v63, s15, v63
	s_branch .LBB235_103
.LBB235_102:
	v_mov_b32_e32 v63, 0
.LBB235_103:
	v_pk_max_f16 v64, v22, v22
	v_pk_max_f16 v65, v8, v8
	v_pk_max_f16 v67, v23, v23
	v_pk_max_f16 v70, v9, v9
	v_add_co_u32 v20, vcc_lo, v40, v20
	s_delay_alu instid0(VALU_DEP_4) | instskip(SKIP_1) | instid1(VALU_DEP_4)
	v_pk_min_f16 v64, v65, v64
	v_add_co_ci_u32_e32 v21, vcc_lo, v41, v21, vcc_lo
	v_pk_min_f16 v65, v70, v67
	s_delay_alu instid0(VALU_DEP_3) | instskip(NEXT) | instid1(VALU_DEP_1)
	v_pk_add_f16 v62, v62, v64
	v_pk_add_f16 v62, v62, v65
	s_delay_alu instid0(VALU_DEP_1) | instskip(NEXT) | instid1(VALU_DEP_1)
	v_lshrrev_b32_e32 v64, 16, v62
	v_add_f16_e32 v62, v62, v64
	s_delay_alu instid0(VALU_DEP_1) | instskip(SKIP_3) | instid1(SALU_CYCLE_1)
	v_add_f16_e32 v62, v62, v63
	global_store_b16 v[20:21], v62, off
	s_or_b32 exec_lo, exec_lo, s16
	s_and_b32 s18, s5, s8
	s_and_saveexec_b32 s16, s18
	s_cbranch_execz .LBB235_82
.LBB235_104:
	v_cmp_ne_u32_e32 vcc_lo, 1, v59
	v_lshlrev_b64 v[20:21], 1, v[34:35]
	s_cbranch_vccnz .LBB235_106
; %bb.105:
	s_delay_alu instid0(VALU_DEP_1) | instskip(NEXT) | instid1(VALU_DEP_2)
	v_add_co_u32 v62, vcc_lo, v68, v20
	v_add_co_ci_u32_e32 v63, vcc_lo, v69, v21, vcc_lo
	flat_load_u16 v62, v[62:63]
	s_waitcnt vmcnt(0) lgkmcnt(0)
	v_mul_f16_e32 v62, s15, v62
	s_branch .LBB235_107
.LBB235_106:
	v_mov_b32_e32 v62, 0
.LBB235_107:
	v_pk_max_f16 v63, v22, v22
	v_pk_max_f16 v64, v10, v10
	;; [unrolled: 1-line block ×4, first 2 shown]
	v_add_co_u32 v20, vcc_lo, v40, v20
	s_delay_alu instid0(VALU_DEP_4) | instskip(SKIP_1) | instid1(VALU_DEP_4)
	v_pk_min_f16 v63, v64, v63
	v_add_co_ci_u32_e32 v21, vcc_lo, v41, v21, vcc_lo
	v_pk_min_f16 v64, v67, v65
	s_delay_alu instid0(VALU_DEP_3) | instskip(NEXT) | instid1(VALU_DEP_1)
	v_pk_add_f16 v61, v61, v63
	v_pk_add_f16 v61, v61, v64
	s_delay_alu instid0(VALU_DEP_1) | instskip(NEXT) | instid1(VALU_DEP_1)
	v_lshrrev_b32_e32 v63, 16, v61
	v_add_f16_e32 v61, v61, v63
	s_delay_alu instid0(VALU_DEP_1) | instskip(SKIP_3) | instid1(SALU_CYCLE_1)
	v_add_f16_e32 v61, v61, v62
	global_store_b16 v[20:21], v61, off
	s_or_b32 exec_lo, exec_lo, s16
	s_and_b32 s18, s6, s8
	s_and_saveexec_b32 s16, s18
	s_cbranch_execz .LBB235_83
.LBB235_108:
	v_cmp_ne_u32_e32 vcc_lo, 1, v59
	v_lshlrev_b64 v[20:21], 1, v[36:37]
	s_cbranch_vccnz .LBB235_110
; %bb.109:
	s_delay_alu instid0(VALU_DEP_1) | instskip(NEXT) | instid1(VALU_DEP_2)
	v_add_co_u32 v61, vcc_lo, v68, v20
	v_add_co_ci_u32_e32 v62, vcc_lo, v69, v21, vcc_lo
	flat_load_u16 v61, v[61:62]
	s_waitcnt vmcnt(0) lgkmcnt(0)
	v_mul_f16_e32 v61, s15, v61
	s_branch .LBB235_111
.LBB235_110:
	v_mov_b32_e32 v61, 0
.LBB235_111:
	v_pk_max_f16 v62, v22, v22
	v_pk_max_f16 v63, v4, v4
	;; [unrolled: 1-line block ×4, first 2 shown]
	v_add_co_u32 v20, vcc_lo, v40, v20
	s_delay_alu instid0(VALU_DEP_4) | instskip(SKIP_1) | instid1(VALU_DEP_4)
	v_pk_min_f16 v62, v63, v62
	v_add_co_ci_u32_e32 v21, vcc_lo, v41, v21, vcc_lo
	v_pk_min_f16 v63, v65, v64
	s_delay_alu instid0(VALU_DEP_3) | instskip(NEXT) | instid1(VALU_DEP_1)
	v_pk_add_f16 v60, v60, v62
	v_pk_add_f16 v60, v60, v63
	s_delay_alu instid0(VALU_DEP_1) | instskip(NEXT) | instid1(VALU_DEP_1)
	v_lshrrev_b32_e32 v62, 16, v60
	v_add_f16_e32 v60, v60, v62
	s_delay_alu instid0(VALU_DEP_1) | instskip(SKIP_3) | instid1(SALU_CYCLE_1)
	v_add_f16_e32 v60, v60, v61
	global_store_b16 v[20:21], v60, off
	s_or_b32 exec_lo, exec_lo, s16
	s_and_b32 s16, s7, s8
	s_and_saveexec_b32 s8, s16
	s_cbranch_execz .LBB235_116
.LBB235_112:
	v_cmp_ne_u32_e32 vcc_lo, 1, v59
	v_lshlrev_b64 v[20:21], 1, v[38:39]
	s_cbranch_vccnz .LBB235_114
; %bb.113:
	s_delay_alu instid0(VALU_DEP_1) | instskip(NEXT) | instid1(VALU_DEP_2)
	v_add_co_u32 v60, vcc_lo, v68, v20
	v_add_co_ci_u32_e32 v61, vcc_lo, v69, v21, vcc_lo
	flat_load_u16 v60, v[60:61]
	s_waitcnt vmcnt(0) lgkmcnt(0)
	v_mul_f16_e32 v60, s15, v60
	s_branch .LBB235_115
.LBB235_114:
	v_mov_b32_e32 v60, 0
.LBB235_115:
	v_pk_max_f16 v22, v22, v22
	v_pk_max_f16 v61, v6, v6
	;; [unrolled: 1-line block ×4, first 2 shown]
	v_add_co_u32 v20, vcc_lo, v40, v20
	s_delay_alu instid0(VALU_DEP_4) | instskip(SKIP_1) | instid1(VALU_DEP_4)
	v_pk_min_f16 v22, v61, v22
	v_add_co_ci_u32_e32 v21, vcc_lo, v41, v21, vcc_lo
	v_pk_min_f16 v23, v62, v23
	s_delay_alu instid0(VALU_DEP_3) | instskip(NEXT) | instid1(VALU_DEP_1)
	v_pk_add_f16 v22, v58, v22
	v_pk_add_f16 v22, v22, v23
	s_delay_alu instid0(VALU_DEP_1) | instskip(NEXT) | instid1(VALU_DEP_1)
	v_lshrrev_b32_e32 v23, 16, v22
	v_add_f16_e32 v22, v22, v23
	s_delay_alu instid0(VALU_DEP_1)
	v_add_f16_e32 v22, v22, v60
	global_store_b16 v[20:21], v22, off
.LBB235_116:
	s_or_b32 exec_lo, exec_lo, s8
	v_add_nc_u32_e32 v40, 64, v66
	s_delay_alu instid0(VALU_DEP_1) | instskip(SKIP_2) | instid1(VALU_DEP_3)
	v_mad_i64_i32 v[20:21], null, v40, s12, 0
	v_mad_i64_i32 v[22:23], null, v40, s9, 0
	v_cmp_gt_i32_e64 s8, s17, v40
	v_lshlrev_b64 v[20:21], 1, v[20:21]
	s_delay_alu instid0(VALU_DEP_2) | instskip(NEXT) | instid1(VALU_DEP_3)
	s_and_b32 s18, s0, s8
	v_lshlrev_b64 v[22:23], 1, v[22:23]
	s_delay_alu instid0(VALU_DEP_2) | instskip(NEXT) | instid1(VALU_DEP_3)
	v_add_co_u32 v40, vcc_lo, s10, v20
	v_add_co_ci_u32_e32 v41, vcc_lo, s11, v21, vcc_lo
	s_delay_alu instid0(VALU_DEP_3) | instskip(NEXT) | instid1(VALU_DEP_4)
	v_add_co_u32 v22, vcc_lo, s13, v22
	v_add_co_ci_u32_e32 v23, vcc_lo, s14, v23, vcc_lo
	s_and_saveexec_b32 s16, s18
	s_cbranch_execnz .LBB235_124
; %bb.117:
	s_or_b32 exec_lo, exec_lo, s16
	s_and_b32 s18, s1, s8
	s_delay_alu instid0(SALU_CYCLE_1)
	s_and_saveexec_b32 s16, s18
	s_cbranch_execnz .LBB235_128
.LBB235_118:
	s_or_b32 exec_lo, exec_lo, s16
	s_and_b32 s18, s2, s8
	s_delay_alu instid0(SALU_CYCLE_1)
	s_and_saveexec_b32 s16, s18
	s_cbranch_execnz .LBB235_132
.LBB235_119:
	s_or_b32 exec_lo, exec_lo, s16
	s_and_b32 s18, s3, s8
	s_delay_alu instid0(SALU_CYCLE_1)
	s_and_saveexec_b32 s16, s18
	s_cbranch_execnz .LBB235_136
.LBB235_120:
	s_or_b32 exec_lo, exec_lo, s16
	s_and_b32 s18, s4, s8
	s_delay_alu instid0(SALU_CYCLE_1)
	s_and_saveexec_b32 s16, s18
	s_cbranch_execnz .LBB235_140
.LBB235_121:
	s_or_b32 exec_lo, exec_lo, s16
	s_and_b32 s18, s5, s8
	s_delay_alu instid0(SALU_CYCLE_1)
	s_and_saveexec_b32 s16, s18
	s_cbranch_execnz .LBB235_144
.LBB235_122:
	s_or_b32 exec_lo, exec_lo, s16
	s_and_b32 s18, s6, s8
	s_delay_alu instid0(SALU_CYCLE_1)
	s_and_saveexec_b32 s16, s18
	s_cbranch_execnz .LBB235_148
.LBB235_123:
	s_or_b32 exec_lo, exec_lo, s16
	s_and_b32 s16, s7, s8
	s_delay_alu instid0(SALU_CYCLE_1)
	s_and_saveexec_b32 s8, s16
	s_cbranch_execnz .LBB235_152
	s_branch .LBB235_156
.LBB235_124:
	v_cmp_ne_u32_e32 vcc_lo, 1, v59
	v_lshlrev_b64 v[20:21], 1, v[24:25]
	s_cbranch_vccnz .LBB235_126
; %bb.125:
	s_delay_alu instid0(VALU_DEP_1) | instskip(NEXT) | instid1(VALU_DEP_2)
	v_add_co_u32 v60, vcc_lo, v40, v20
	v_add_co_ci_u32_e32 v61, vcc_lo, v41, v21, vcc_lo
	flat_load_u16 v58, v[60:61]
	s_waitcnt vmcnt(0) lgkmcnt(0)
	v_mul_f16_e32 v58, s15, v58
	s_branch .LBB235_127
.LBB235_126:
	v_mov_b32_e32 v58, 0
.LBB235_127:
	v_pk_max_f16 v60, v0, v0
	v_pk_max_f16 v61, v16, v16
	;; [unrolled: 1-line block ×4, first 2 shown]
	v_add_co_u32 v20, vcc_lo, v22, v20
	s_delay_alu instid0(VALU_DEP_4) | instskip(SKIP_1) | instid1(VALU_DEP_4)
	v_pk_min_f16 v60, v61, v60
	v_add_co_ci_u32_e32 v21, vcc_lo, v23, v21, vcc_lo
	v_pk_min_f16 v61, v63, v62
	s_delay_alu instid0(VALU_DEP_3) | instskip(NEXT) | instid1(VALU_DEP_1)
	v_pk_add_f16 v57, v57, v60
	v_pk_add_f16 v57, v57, v61
	s_delay_alu instid0(VALU_DEP_1) | instskip(NEXT) | instid1(VALU_DEP_1)
	v_lshrrev_b32_e32 v60, 16, v57
	v_add_f16_e32 v57, v57, v60
	s_delay_alu instid0(VALU_DEP_1) | instskip(SKIP_3) | instid1(SALU_CYCLE_1)
	v_add_f16_e32 v57, v57, v58
	global_store_b16 v[20:21], v57, off
	s_or_b32 exec_lo, exec_lo, s16
	s_and_b32 s18, s1, s8
	s_and_saveexec_b32 s16, s18
	s_cbranch_execz .LBB235_118
.LBB235_128:
	v_cmp_ne_u32_e32 vcc_lo, 1, v59
	v_lshlrev_b64 v[20:21], 1, v[26:27]
	s_cbranch_vccnz .LBB235_130
; %bb.129:
	s_delay_alu instid0(VALU_DEP_1) | instskip(NEXT) | instid1(VALU_DEP_2)
	v_add_co_u32 v57, vcc_lo, v40, v20
	v_add_co_ci_u32_e32 v58, vcc_lo, v41, v21, vcc_lo
	flat_load_u16 v57, v[57:58]
	s_waitcnt vmcnt(0) lgkmcnt(0)
	v_mul_f16_e32 v57, s15, v57
	s_branch .LBB235_131
.LBB235_130:
	v_mov_b32_e32 v57, 0
.LBB235_131:
	v_pk_max_f16 v58, v0, v0
	v_pk_max_f16 v60, v18, v18
	;; [unrolled: 1-line block ×4, first 2 shown]
	v_add_co_u32 v20, vcc_lo, v22, v20
	s_delay_alu instid0(VALU_DEP_4) | instskip(SKIP_1) | instid1(VALU_DEP_4)
	v_pk_min_f16 v58, v60, v58
	v_add_co_ci_u32_e32 v21, vcc_lo, v23, v21, vcc_lo
	v_pk_min_f16 v60, v62, v61
	s_delay_alu instid0(VALU_DEP_3) | instskip(NEXT) | instid1(VALU_DEP_1)
	v_pk_add_f16 v56, v56, v58
	v_pk_add_f16 v56, v56, v60
	s_delay_alu instid0(VALU_DEP_1) | instskip(NEXT) | instid1(VALU_DEP_1)
	v_lshrrev_b32_e32 v58, 16, v56
	v_add_f16_e32 v56, v56, v58
	s_delay_alu instid0(VALU_DEP_1) | instskip(SKIP_3) | instid1(SALU_CYCLE_1)
	v_add_f16_e32 v56, v56, v57
	global_store_b16 v[20:21], v56, off
	s_or_b32 exec_lo, exec_lo, s16
	s_and_b32 s18, s2, s8
	s_and_saveexec_b32 s16, s18
	s_cbranch_execz .LBB235_119
.LBB235_132:
	v_cmp_ne_u32_e32 vcc_lo, 1, v59
	v_lshlrev_b64 v[20:21], 1, v[28:29]
	s_cbranch_vccnz .LBB235_134
; %bb.133:
	s_delay_alu instid0(VALU_DEP_1) | instskip(NEXT) | instid1(VALU_DEP_2)
	v_add_co_u32 v56, vcc_lo, v40, v20
	v_add_co_ci_u32_e32 v57, vcc_lo, v41, v21, vcc_lo
	flat_load_u16 v56, v[56:57]
	s_waitcnt vmcnt(0) lgkmcnt(0)
	v_mul_f16_e32 v56, s15, v56
	s_branch .LBB235_135
.LBB235_134:
	v_mov_b32_e32 v56, 0
.LBB235_135:
	v_pk_max_f16 v57, v0, v0
	v_pk_max_f16 v58, v12, v12
	;; [unrolled: 1-line block ×4, first 2 shown]
	v_add_co_u32 v20, vcc_lo, v22, v20
	s_delay_alu instid0(VALU_DEP_4) | instskip(SKIP_1) | instid1(VALU_DEP_4)
	v_pk_min_f16 v57, v58, v57
	v_add_co_ci_u32_e32 v21, vcc_lo, v23, v21, vcc_lo
	v_pk_min_f16 v58, v61, v60
	s_delay_alu instid0(VALU_DEP_3) | instskip(NEXT) | instid1(VALU_DEP_1)
	v_pk_add_f16 v55, v55, v57
	v_pk_add_f16 v55, v55, v58
	s_delay_alu instid0(VALU_DEP_1) | instskip(NEXT) | instid1(VALU_DEP_1)
	v_lshrrev_b32_e32 v57, 16, v55
	v_add_f16_e32 v55, v55, v57
	s_delay_alu instid0(VALU_DEP_1) | instskip(SKIP_3) | instid1(SALU_CYCLE_1)
	v_add_f16_e32 v55, v55, v56
	global_store_b16 v[20:21], v55, off
	s_or_b32 exec_lo, exec_lo, s16
	s_and_b32 s18, s3, s8
	s_and_saveexec_b32 s16, s18
	s_cbranch_execz .LBB235_120
.LBB235_136:
	v_cmp_ne_u32_e32 vcc_lo, 1, v59
	v_lshlrev_b64 v[20:21], 1, v[30:31]
	s_cbranch_vccnz .LBB235_138
; %bb.137:
	s_delay_alu instid0(VALU_DEP_1) | instskip(NEXT) | instid1(VALU_DEP_2)
	v_add_co_u32 v55, vcc_lo, v40, v20
	v_add_co_ci_u32_e32 v56, vcc_lo, v41, v21, vcc_lo
	flat_load_u16 v55, v[55:56]
	s_waitcnt vmcnt(0) lgkmcnt(0)
	v_mul_f16_e32 v55, s15, v55
	s_branch .LBB235_139
.LBB235_138:
	v_mov_b32_e32 v55, 0
.LBB235_139:
	v_pk_max_f16 v56, v0, v0
	v_pk_max_f16 v57, v14, v14
	;; [unrolled: 1-line block ×4, first 2 shown]
	v_add_co_u32 v20, vcc_lo, v22, v20
	s_delay_alu instid0(VALU_DEP_4) | instskip(SKIP_1) | instid1(VALU_DEP_4)
	v_pk_min_f16 v56, v57, v56
	v_add_co_ci_u32_e32 v21, vcc_lo, v23, v21, vcc_lo
	v_pk_min_f16 v57, v60, v58
	s_delay_alu instid0(VALU_DEP_3) | instskip(NEXT) | instid1(VALU_DEP_1)
	v_pk_add_f16 v54, v54, v56
	v_pk_add_f16 v54, v54, v57
	s_delay_alu instid0(VALU_DEP_1) | instskip(NEXT) | instid1(VALU_DEP_1)
	v_lshrrev_b32_e32 v56, 16, v54
	v_add_f16_e32 v54, v54, v56
	s_delay_alu instid0(VALU_DEP_1) | instskip(SKIP_3) | instid1(SALU_CYCLE_1)
	v_add_f16_e32 v54, v54, v55
	global_store_b16 v[20:21], v54, off
	s_or_b32 exec_lo, exec_lo, s16
	s_and_b32 s18, s4, s8
	s_and_saveexec_b32 s16, s18
	s_cbranch_execz .LBB235_121
.LBB235_140:
	v_cmp_ne_u32_e32 vcc_lo, 1, v59
	v_lshlrev_b64 v[20:21], 1, v[32:33]
	s_cbranch_vccnz .LBB235_142
; %bb.141:
	s_delay_alu instid0(VALU_DEP_1) | instskip(NEXT) | instid1(VALU_DEP_2)
	v_add_co_u32 v54, vcc_lo, v40, v20
	v_add_co_ci_u32_e32 v55, vcc_lo, v41, v21, vcc_lo
	flat_load_u16 v54, v[54:55]
	s_waitcnt vmcnt(0) lgkmcnt(0)
	v_mul_f16_e32 v54, s15, v54
	s_branch .LBB235_143
.LBB235_142:
	v_mov_b32_e32 v54, 0
.LBB235_143:
	v_pk_max_f16 v55, v0, v0
	v_pk_max_f16 v56, v8, v8
	;; [unrolled: 1-line block ×4, first 2 shown]
	v_add_co_u32 v20, vcc_lo, v22, v20
	s_delay_alu instid0(VALU_DEP_4) | instskip(SKIP_1) | instid1(VALU_DEP_4)
	v_pk_min_f16 v55, v56, v55
	v_add_co_ci_u32_e32 v21, vcc_lo, v23, v21, vcc_lo
	v_pk_min_f16 v56, v58, v57
	s_delay_alu instid0(VALU_DEP_3) | instskip(NEXT) | instid1(VALU_DEP_1)
	v_pk_add_f16 v53, v53, v55
	v_pk_add_f16 v53, v53, v56
	s_delay_alu instid0(VALU_DEP_1) | instskip(NEXT) | instid1(VALU_DEP_1)
	v_lshrrev_b32_e32 v55, 16, v53
	v_add_f16_e32 v53, v53, v55
	s_delay_alu instid0(VALU_DEP_1) | instskip(SKIP_3) | instid1(SALU_CYCLE_1)
	v_add_f16_e32 v53, v53, v54
	global_store_b16 v[20:21], v53, off
	s_or_b32 exec_lo, exec_lo, s16
	s_and_b32 s18, s5, s8
	s_and_saveexec_b32 s16, s18
	s_cbranch_execz .LBB235_122
.LBB235_144:
	v_cmp_ne_u32_e32 vcc_lo, 1, v59
	v_lshlrev_b64 v[20:21], 1, v[34:35]
	s_cbranch_vccnz .LBB235_146
; %bb.145:
	s_delay_alu instid0(VALU_DEP_1) | instskip(NEXT) | instid1(VALU_DEP_2)
	v_add_co_u32 v53, vcc_lo, v40, v20
	v_add_co_ci_u32_e32 v54, vcc_lo, v41, v21, vcc_lo
	flat_load_u16 v53, v[53:54]
	s_waitcnt vmcnt(0) lgkmcnt(0)
	v_mul_f16_e32 v53, s15, v53
	s_branch .LBB235_147
.LBB235_146:
	v_mov_b32_e32 v53, 0
.LBB235_147:
	v_pk_max_f16 v54, v0, v0
	v_pk_max_f16 v55, v10, v10
	;; [unrolled: 1-line block ×4, first 2 shown]
	v_add_co_u32 v20, vcc_lo, v22, v20
	s_delay_alu instid0(VALU_DEP_4) | instskip(SKIP_1) | instid1(VALU_DEP_4)
	v_pk_min_f16 v54, v55, v54
	v_add_co_ci_u32_e32 v21, vcc_lo, v23, v21, vcc_lo
	v_pk_min_f16 v55, v57, v56
	s_delay_alu instid0(VALU_DEP_3) | instskip(NEXT) | instid1(VALU_DEP_1)
	v_pk_add_f16 v52, v52, v54
	v_pk_add_f16 v52, v52, v55
	s_delay_alu instid0(VALU_DEP_1) | instskip(NEXT) | instid1(VALU_DEP_1)
	v_lshrrev_b32_e32 v54, 16, v52
	v_add_f16_e32 v52, v52, v54
	s_delay_alu instid0(VALU_DEP_1) | instskip(SKIP_3) | instid1(SALU_CYCLE_1)
	v_add_f16_e32 v52, v52, v53
	global_store_b16 v[20:21], v52, off
	s_or_b32 exec_lo, exec_lo, s16
	s_and_b32 s18, s6, s8
	s_and_saveexec_b32 s16, s18
	s_cbranch_execz .LBB235_123
.LBB235_148:
	v_cmp_ne_u32_e32 vcc_lo, 1, v59
	v_lshlrev_b64 v[20:21], 1, v[36:37]
	s_cbranch_vccnz .LBB235_150
; %bb.149:
	s_delay_alu instid0(VALU_DEP_1) | instskip(NEXT) | instid1(VALU_DEP_2)
	v_add_co_u32 v52, vcc_lo, v40, v20
	v_add_co_ci_u32_e32 v53, vcc_lo, v41, v21, vcc_lo
	flat_load_u16 v52, v[52:53]
	s_waitcnt vmcnt(0) lgkmcnt(0)
	v_mul_f16_e32 v52, s15, v52
	s_branch .LBB235_151
.LBB235_150:
	v_mov_b32_e32 v52, 0
.LBB235_151:
	v_pk_max_f16 v53, v0, v0
	v_pk_max_f16 v54, v4, v4
	;; [unrolled: 1-line block ×4, first 2 shown]
	v_add_co_u32 v20, vcc_lo, v22, v20
	s_delay_alu instid0(VALU_DEP_4) | instskip(SKIP_1) | instid1(VALU_DEP_4)
	v_pk_min_f16 v53, v54, v53
	v_add_co_ci_u32_e32 v21, vcc_lo, v23, v21, vcc_lo
	v_pk_min_f16 v54, v56, v55
	s_delay_alu instid0(VALU_DEP_3) | instskip(NEXT) | instid1(VALU_DEP_1)
	v_pk_add_f16 v51, v51, v53
	v_pk_add_f16 v51, v51, v54
	s_delay_alu instid0(VALU_DEP_1) | instskip(NEXT) | instid1(VALU_DEP_1)
	v_lshrrev_b32_e32 v53, 16, v51
	v_add_f16_e32 v51, v51, v53
	s_delay_alu instid0(VALU_DEP_1) | instskip(SKIP_3) | instid1(SALU_CYCLE_1)
	v_add_f16_e32 v51, v51, v52
	global_store_b16 v[20:21], v51, off
	s_or_b32 exec_lo, exec_lo, s16
	s_and_b32 s16, s7, s8
	s_and_saveexec_b32 s8, s16
	s_cbranch_execz .LBB235_156
.LBB235_152:
	v_cmp_ne_u32_e32 vcc_lo, 1, v59
	v_lshlrev_b64 v[20:21], 1, v[38:39]
	s_cbranch_vccnz .LBB235_154
; %bb.153:
	s_delay_alu instid0(VALU_DEP_1) | instskip(NEXT) | instid1(VALU_DEP_2)
	v_add_co_u32 v40, vcc_lo, v40, v20
	v_add_co_ci_u32_e32 v41, vcc_lo, v41, v21, vcc_lo
	flat_load_u16 v40, v[40:41]
	s_waitcnt vmcnt(0) lgkmcnt(0)
	v_mul_f16_e32 v40, s15, v40
	s_branch .LBB235_155
.LBB235_154:
	v_mov_b32_e32 v40, 0
.LBB235_155:
	v_pk_max_f16 v0, v0, v0
	v_pk_max_f16 v41, v6, v6
	;; [unrolled: 1-line block ×4, first 2 shown]
	s_delay_alu instid0(VALU_DEP_3) | instskip(NEXT) | instid1(VALU_DEP_2)
	v_pk_min_f16 v0, v41, v0
	v_pk_min_f16 v1, v51, v1
	s_delay_alu instid0(VALU_DEP_2) | instskip(NEXT) | instid1(VALU_DEP_1)
	v_pk_add_f16 v0, v50, v0
	v_pk_add_f16 v0, v0, v1
	s_delay_alu instid0(VALU_DEP_1) | instskip(NEXT) | instid1(VALU_DEP_1)
	v_lshrrev_b32_e32 v1, 16, v0
	v_add_f16_e32 v0, v0, v1
	s_delay_alu instid0(VALU_DEP_1)
	v_add_f16_e32 v40, v0, v40
	v_add_co_u32 v0, vcc_lo, v22, v20
	v_add_co_ci_u32_e32 v1, vcc_lo, v23, v21, vcc_lo
	global_store_b16 v[0:1], v40, off
.LBB235_156:
	s_or_b32 exec_lo, exec_lo, s8
	v_add_nc_u32_e32 v22, 0x60, v66
	s_delay_alu instid0(VALU_DEP_1) | instskip(SKIP_2) | instid1(VALU_DEP_3)
	v_mad_i64_i32 v[0:1], null, v22, s12, 0
	v_mad_i64_i32 v[20:21], null, v22, s9, 0
	v_cmp_gt_i32_e64 s8, s17, v22
	v_lshlrev_b64 v[0:1], 1, v[0:1]
	s_delay_alu instid0(VALU_DEP_2) | instskip(NEXT) | instid1(VALU_DEP_3)
	s_and_b32 s9, s0, s8
	v_lshlrev_b64 v[20:21], 1, v[20:21]
	s_delay_alu instid0(VALU_DEP_2) | instskip(NEXT) | instid1(VALU_DEP_3)
	v_add_co_u32 v22, vcc_lo, s10, v0
	v_add_co_ci_u32_e32 v23, vcc_lo, s11, v1, vcc_lo
	s_delay_alu instid0(VALU_DEP_3) | instskip(NEXT) | instid1(VALU_DEP_4)
	v_add_co_u32 v20, vcc_lo, s13, v20
	v_add_co_ci_u32_e32 v21, vcc_lo, s14, v21, vcc_lo
	s_and_saveexec_b32 s0, s9
	s_cbranch_execnz .LBB235_165
; %bb.157:
	s_or_b32 exec_lo, exec_lo, s0
	s_and_b32 s1, s1, s8
	s_delay_alu instid0(SALU_CYCLE_1)
	s_and_saveexec_b32 s0, s1
	s_cbranch_execnz .LBB235_169
.LBB235_158:
	s_or_b32 exec_lo, exec_lo, s0
	s_and_b32 s1, s2, s8
	s_delay_alu instid0(SALU_CYCLE_1)
	s_and_saveexec_b32 s0, s1
	s_cbranch_execnz .LBB235_173
.LBB235_159:
	s_or_b32 exec_lo, exec_lo, s0
	s_and_b32 s1, s3, s8
	s_delay_alu instid0(SALU_CYCLE_1)
	s_and_saveexec_b32 s0, s1
	s_cbranch_execnz .LBB235_177
.LBB235_160:
	s_or_b32 exec_lo, exec_lo, s0
	s_and_b32 s1, s4, s8
	s_delay_alu instid0(SALU_CYCLE_1)
	s_and_saveexec_b32 s0, s1
	s_cbranch_execnz .LBB235_181
.LBB235_161:
	s_or_b32 exec_lo, exec_lo, s0
	s_and_b32 s1, s5, s8
	s_delay_alu instid0(SALU_CYCLE_1)
	s_and_saveexec_b32 s0, s1
	s_cbranch_execnz .LBB235_185
.LBB235_162:
	s_or_b32 exec_lo, exec_lo, s0
	s_and_b32 s1, s6, s8
	s_delay_alu instid0(SALU_CYCLE_1)
	s_and_saveexec_b32 s0, s1
	s_cbranch_execnz .LBB235_189
.LBB235_163:
	s_or_b32 exec_lo, exec_lo, s0
	s_and_b32 s0, s7, s8
	s_delay_alu instid0(SALU_CYCLE_1)
	s_and_saveexec_b32 s1, s0
	s_cbranch_execnz .LBB235_193
.LBB235_164:
	s_nop 0
	s_sendmsg sendmsg(MSG_DEALLOC_VGPRS)
	s_endpgm
.LBB235_165:
	v_cmp_ne_u32_e32 vcc_lo, 1, v59
	v_lshlrev_b64 v[0:1], 1, v[24:25]
	s_cbranch_vccnz .LBB235_167
; %bb.166:
	s_delay_alu instid0(VALU_DEP_1) | instskip(NEXT) | instid1(VALU_DEP_2)
	v_add_co_u32 v24, vcc_lo, v22, v0
	v_add_co_ci_u32_e32 v25, vcc_lo, v23, v1, vcc_lo
	flat_load_u16 v24, v[24:25]
	s_waitcnt vmcnt(0) lgkmcnt(0)
	v_mul_f16_e32 v24, s15, v24
	s_branch .LBB235_168
.LBB235_167:
	v_mov_b32_e32 v24, 0
.LBB235_168:
	v_pk_max_f16 v25, v2, v2
	v_pk_max_f16 v16, v16, v16
	;; [unrolled: 1-line block ×4, first 2 shown]
	v_add_co_u32 v0, vcc_lo, v20, v0
	s_delay_alu instid0(VALU_DEP_4) | instskip(SKIP_1) | instid1(VALU_DEP_4)
	v_pk_min_f16 v16, v16, v25
	v_add_co_ci_u32_e32 v1, vcc_lo, v21, v1, vcc_lo
	v_pk_min_f16 v17, v17, v40
	s_delay_alu instid0(VALU_DEP_3) | instskip(NEXT) | instid1(VALU_DEP_1)
	v_pk_add_f16 v16, v49, v16
	v_pk_add_f16 v16, v16, v17
	s_delay_alu instid0(VALU_DEP_1) | instskip(NEXT) | instid1(VALU_DEP_1)
	v_lshrrev_b32_e32 v17, 16, v16
	v_add_f16_e32 v16, v16, v17
	s_delay_alu instid0(VALU_DEP_1) | instskip(SKIP_3) | instid1(SALU_CYCLE_1)
	v_add_f16_e32 v16, v16, v24
	global_store_b16 v[0:1], v16, off
	s_or_b32 exec_lo, exec_lo, s0
	s_and_b32 s1, s1, s8
	s_and_saveexec_b32 s0, s1
	s_cbranch_execz .LBB235_158
.LBB235_169:
	v_cmp_ne_u32_e32 vcc_lo, 1, v59
	v_lshlrev_b64 v[0:1], 1, v[26:27]
	s_cbranch_vccnz .LBB235_171
; %bb.170:
	s_delay_alu instid0(VALU_DEP_1) | instskip(NEXT) | instid1(VALU_DEP_2)
	v_add_co_u32 v16, vcc_lo, v22, v0
	v_add_co_ci_u32_e32 v17, vcc_lo, v23, v1, vcc_lo
	flat_load_u16 v16, v[16:17]
	s_waitcnt vmcnt(0) lgkmcnt(0)
	v_mul_f16_e32 v16, s15, v16
	s_branch .LBB235_172
.LBB235_171:
	v_mov_b32_e32 v16, 0
.LBB235_172:
	v_pk_max_f16 v17, v2, v2
	v_pk_max_f16 v18, v18, v18
	;; [unrolled: 1-line block ×4, first 2 shown]
	v_add_co_u32 v0, vcc_lo, v20, v0
	s_delay_alu instid0(VALU_DEP_4) | instskip(SKIP_1) | instid1(VALU_DEP_4)
	v_pk_min_f16 v17, v18, v17
	v_add_co_ci_u32_e32 v1, vcc_lo, v21, v1, vcc_lo
	v_pk_min_f16 v18, v19, v24
	s_delay_alu instid0(VALU_DEP_3) | instskip(NEXT) | instid1(VALU_DEP_1)
	v_pk_add_f16 v17, v48, v17
	v_pk_add_f16 v17, v17, v18
	s_delay_alu instid0(VALU_DEP_1) | instskip(NEXT) | instid1(VALU_DEP_1)
	v_lshrrev_b32_e32 v18, 16, v17
	v_add_f16_e32 v17, v17, v18
	s_delay_alu instid0(VALU_DEP_1) | instskip(SKIP_3) | instid1(SALU_CYCLE_1)
	v_add_f16_e32 v16, v17, v16
	global_store_b16 v[0:1], v16, off
	s_or_b32 exec_lo, exec_lo, s0
	s_and_b32 s1, s2, s8
	s_and_saveexec_b32 s0, s1
	s_cbranch_execz .LBB235_159
.LBB235_173:
	v_cmp_ne_u32_e32 vcc_lo, 1, v59
	v_lshlrev_b64 v[0:1], 1, v[28:29]
	s_cbranch_vccnz .LBB235_175
; %bb.174:
	s_delay_alu instid0(VALU_DEP_1) | instskip(NEXT) | instid1(VALU_DEP_2)
	v_add_co_u32 v16, vcc_lo, v22, v0
	v_add_co_ci_u32_e32 v17, vcc_lo, v23, v1, vcc_lo
	flat_load_u16 v16, v[16:17]
	s_waitcnt vmcnt(0) lgkmcnt(0)
	v_mul_f16_e32 v16, s15, v16
	s_branch .LBB235_176
.LBB235_175:
	v_mov_b32_e32 v16, 0
.LBB235_176:
	v_pk_max_f16 v17, v2, v2
	v_pk_max_f16 v12, v12, v12
	;; [unrolled: 1-line block ×4, first 2 shown]
	v_add_co_u32 v0, vcc_lo, v20, v0
	s_delay_alu instid0(VALU_DEP_4) | instskip(SKIP_1) | instid1(VALU_DEP_4)
	v_pk_min_f16 v12, v12, v17
	v_add_co_ci_u32_e32 v1, vcc_lo, v21, v1, vcc_lo
	v_pk_min_f16 v13, v13, v18
	s_delay_alu instid0(VALU_DEP_3) | instskip(NEXT) | instid1(VALU_DEP_1)
	v_pk_add_f16 v12, v47, v12
	v_pk_add_f16 v12, v12, v13
	s_delay_alu instid0(VALU_DEP_1) | instskip(NEXT) | instid1(VALU_DEP_1)
	v_lshrrev_b32_e32 v13, 16, v12
	v_add_f16_e32 v12, v12, v13
	s_delay_alu instid0(VALU_DEP_1) | instskip(SKIP_3) | instid1(SALU_CYCLE_1)
	v_add_f16_e32 v12, v12, v16
	global_store_b16 v[0:1], v12, off
	s_or_b32 exec_lo, exec_lo, s0
	s_and_b32 s1, s3, s8
	s_and_saveexec_b32 s0, s1
	s_cbranch_execz .LBB235_160
.LBB235_177:
	v_cmp_ne_u32_e32 vcc_lo, 1, v59
	v_lshlrev_b64 v[0:1], 1, v[30:31]
	s_cbranch_vccnz .LBB235_179
; %bb.178:
	s_delay_alu instid0(VALU_DEP_1) | instskip(NEXT) | instid1(VALU_DEP_2)
	v_add_co_u32 v12, vcc_lo, v22, v0
	v_add_co_ci_u32_e32 v13, vcc_lo, v23, v1, vcc_lo
	flat_load_u16 v12, v[12:13]
	s_waitcnt vmcnt(0) lgkmcnt(0)
	v_mul_f16_e32 v12, s15, v12
	s_branch .LBB235_180
.LBB235_179:
	v_mov_b32_e32 v12, 0
.LBB235_180:
	v_pk_max_f16 v13, v2, v2
	v_pk_max_f16 v14, v14, v14
	;; [unrolled: 1-line block ×4, first 2 shown]
	v_add_co_u32 v0, vcc_lo, v20, v0
	s_delay_alu instid0(VALU_DEP_4) | instskip(SKIP_1) | instid1(VALU_DEP_4)
	v_pk_min_f16 v13, v14, v13
	v_add_co_ci_u32_e32 v1, vcc_lo, v21, v1, vcc_lo
	v_pk_min_f16 v14, v15, v16
	s_delay_alu instid0(VALU_DEP_3) | instskip(NEXT) | instid1(VALU_DEP_1)
	v_pk_add_f16 v13, v46, v13
	v_pk_add_f16 v13, v13, v14
	s_delay_alu instid0(VALU_DEP_1) | instskip(NEXT) | instid1(VALU_DEP_1)
	v_lshrrev_b32_e32 v14, 16, v13
	v_add_f16_e32 v13, v13, v14
	s_delay_alu instid0(VALU_DEP_1) | instskip(SKIP_3) | instid1(SALU_CYCLE_1)
	v_add_f16_e32 v12, v13, v12
	global_store_b16 v[0:1], v12, off
	s_or_b32 exec_lo, exec_lo, s0
	s_and_b32 s1, s4, s8
	s_and_saveexec_b32 s0, s1
	s_cbranch_execz .LBB235_161
.LBB235_181:
	v_cmp_ne_u32_e32 vcc_lo, 1, v59
	v_lshlrev_b64 v[0:1], 1, v[32:33]
	s_cbranch_vccnz .LBB235_183
; %bb.182:
	s_delay_alu instid0(VALU_DEP_1) | instskip(NEXT) | instid1(VALU_DEP_2)
	v_add_co_u32 v12, vcc_lo, v22, v0
	v_add_co_ci_u32_e32 v13, vcc_lo, v23, v1, vcc_lo
	flat_load_u16 v12, v[12:13]
	s_waitcnt vmcnt(0) lgkmcnt(0)
	v_mul_f16_e32 v12, s15, v12
	s_branch .LBB235_184
.LBB235_183:
	v_mov_b32_e32 v12, 0
.LBB235_184:
	v_pk_max_f16 v13, v2, v2
	v_pk_max_f16 v8, v8, v8
	;; [unrolled: 1-line block ×4, first 2 shown]
	v_add_co_u32 v0, vcc_lo, v20, v0
	s_delay_alu instid0(VALU_DEP_4) | instskip(SKIP_1) | instid1(VALU_DEP_4)
	v_pk_min_f16 v8, v8, v13
	v_add_co_ci_u32_e32 v1, vcc_lo, v21, v1, vcc_lo
	v_pk_min_f16 v9, v9, v14
	s_delay_alu instid0(VALU_DEP_3) | instskip(NEXT) | instid1(VALU_DEP_1)
	v_pk_add_f16 v8, v45, v8
	v_pk_add_f16 v8, v8, v9
	s_delay_alu instid0(VALU_DEP_1) | instskip(NEXT) | instid1(VALU_DEP_1)
	v_lshrrev_b32_e32 v9, 16, v8
	v_add_f16_e32 v8, v8, v9
	s_delay_alu instid0(VALU_DEP_1) | instskip(SKIP_3) | instid1(SALU_CYCLE_1)
	v_add_f16_e32 v8, v8, v12
	global_store_b16 v[0:1], v8, off
	s_or_b32 exec_lo, exec_lo, s0
	s_and_b32 s1, s5, s8
	s_and_saveexec_b32 s0, s1
	s_cbranch_execz .LBB235_162
.LBB235_185:
	v_cmp_ne_u32_e32 vcc_lo, 1, v59
	v_lshlrev_b64 v[0:1], 1, v[34:35]
	s_cbranch_vccnz .LBB235_187
; %bb.186:
	s_delay_alu instid0(VALU_DEP_1) | instskip(NEXT) | instid1(VALU_DEP_2)
	v_add_co_u32 v8, vcc_lo, v22, v0
	v_add_co_ci_u32_e32 v9, vcc_lo, v23, v1, vcc_lo
	flat_load_u16 v8, v[8:9]
	s_waitcnt vmcnt(0) lgkmcnt(0)
	v_mul_f16_e32 v8, s15, v8
	s_branch .LBB235_188
.LBB235_187:
	v_mov_b32_e32 v8, 0
.LBB235_188:
	v_pk_max_f16 v9, v2, v2
	v_pk_max_f16 v10, v10, v10
	;; [unrolled: 1-line block ×4, first 2 shown]
	v_add_co_u32 v0, vcc_lo, v20, v0
	s_delay_alu instid0(VALU_DEP_4) | instskip(SKIP_1) | instid1(VALU_DEP_4)
	v_pk_min_f16 v9, v10, v9
	v_add_co_ci_u32_e32 v1, vcc_lo, v21, v1, vcc_lo
	v_pk_min_f16 v10, v11, v12
	s_delay_alu instid0(VALU_DEP_3) | instskip(NEXT) | instid1(VALU_DEP_1)
	v_pk_add_f16 v9, v44, v9
	v_pk_add_f16 v9, v9, v10
	s_delay_alu instid0(VALU_DEP_1) | instskip(NEXT) | instid1(VALU_DEP_1)
	v_lshrrev_b32_e32 v10, 16, v9
	v_add_f16_e32 v9, v9, v10
	s_delay_alu instid0(VALU_DEP_1) | instskip(SKIP_3) | instid1(SALU_CYCLE_1)
	v_add_f16_e32 v8, v9, v8
	global_store_b16 v[0:1], v8, off
	s_or_b32 exec_lo, exec_lo, s0
	s_and_b32 s1, s6, s8
	s_and_saveexec_b32 s0, s1
	s_cbranch_execz .LBB235_163
.LBB235_189:
	v_cmp_ne_u32_e32 vcc_lo, 1, v59
	v_lshlrev_b64 v[0:1], 1, v[36:37]
	s_cbranch_vccnz .LBB235_191
; %bb.190:
	s_delay_alu instid0(VALU_DEP_1) | instskip(NEXT) | instid1(VALU_DEP_2)
	v_add_co_u32 v8, vcc_lo, v22, v0
	v_add_co_ci_u32_e32 v9, vcc_lo, v23, v1, vcc_lo
	flat_load_u16 v8, v[8:9]
	s_waitcnt vmcnt(0) lgkmcnt(0)
	v_mul_f16_e32 v8, s15, v8
	s_branch .LBB235_192
.LBB235_191:
	v_mov_b32_e32 v8, 0
.LBB235_192:
	v_pk_max_f16 v9, v2, v2
	v_pk_max_f16 v4, v4, v4
	;; [unrolled: 1-line block ×4, first 2 shown]
	v_add_co_u32 v0, vcc_lo, v20, v0
	s_delay_alu instid0(VALU_DEP_4) | instskip(SKIP_1) | instid1(VALU_DEP_4)
	v_pk_min_f16 v4, v4, v9
	v_add_co_ci_u32_e32 v1, vcc_lo, v21, v1, vcc_lo
	v_pk_min_f16 v5, v5, v10
	s_delay_alu instid0(VALU_DEP_3) | instskip(NEXT) | instid1(VALU_DEP_1)
	v_pk_add_f16 v4, v43, v4
	v_pk_add_f16 v4, v4, v5
	s_delay_alu instid0(VALU_DEP_1) | instskip(NEXT) | instid1(VALU_DEP_1)
	v_lshrrev_b32_e32 v5, 16, v4
	v_add_f16_e32 v4, v4, v5
	s_delay_alu instid0(VALU_DEP_1) | instskip(SKIP_3) | instid1(SALU_CYCLE_1)
	v_add_f16_e32 v4, v4, v8
	global_store_b16 v[0:1], v4, off
	s_or_b32 exec_lo, exec_lo, s0
	s_and_b32 s0, s7, s8
	s_and_saveexec_b32 s1, s0
	s_cbranch_execz .LBB235_164
.LBB235_193:
	v_cmp_ne_u32_e32 vcc_lo, 1, v59
	v_lshlrev_b64 v[0:1], 1, v[38:39]
	s_cbranch_vccnz .LBB235_195
; %bb.194:
	s_delay_alu instid0(VALU_DEP_1) | instskip(NEXT) | instid1(VALU_DEP_2)
	v_add_co_u32 v4, vcc_lo, v22, v0
	v_add_co_ci_u32_e32 v5, vcc_lo, v23, v1, vcc_lo
	flat_load_u16 v4, v[4:5]
	s_waitcnt vmcnt(0) lgkmcnt(0)
	v_mul_f16_e32 v4, s15, v4
	s_branch .LBB235_196
.LBB235_195:
	v_mov_b32_e32 v4, 0
.LBB235_196:
	v_pk_max_f16 v2, v2, v2
	v_pk_max_f16 v5, v6, v6
	;; [unrolled: 1-line block ×4, first 2 shown]
	v_add_co_u32 v0, vcc_lo, v20, v0
	s_delay_alu instid0(VALU_DEP_4) | instskip(SKIP_1) | instid1(VALU_DEP_4)
	v_pk_min_f16 v2, v5, v2
	v_add_co_ci_u32_e32 v1, vcc_lo, v21, v1, vcc_lo
	v_pk_min_f16 v3, v6, v3
	s_delay_alu instid0(VALU_DEP_3) | instskip(NEXT) | instid1(VALU_DEP_1)
	v_pk_add_f16 v2, v42, v2
	v_pk_add_f16 v2, v2, v3
	s_delay_alu instid0(VALU_DEP_1) | instskip(NEXT) | instid1(VALU_DEP_1)
	v_lshrrev_b32_e32 v3, 16, v2
	v_add_f16_e32 v2, v2, v3
	s_delay_alu instid0(VALU_DEP_1)
	v_add_f16_e32 v2, v2, v4
	global_store_b16 v[0:1], v2, off
	s_nop 0
	s_sendmsg sendmsg(MSG_DEALLOC_VGPRS)
	s_endpgm
	.section	.rodata,"a",@progbits
	.p2align	6, 0x0
	.amdhsa_kernel _ZN12_GLOBAL__N_120geam_min_plus_kernelIDF16_Dv2_DF16_S1_Li8ELi32ELi64ELi128ELi4ELi64ELi4ELi4ELi64ELc78ELc78ELb1ELb1ELb0EDF16_KPKDF16_KPDF16_EEviiiT16_PT17_ilS9_ilS7_S9_ilPT18_ili26rocblas_geam_ex_operation_
		.amdhsa_group_segment_fixed_size 3072
		.amdhsa_private_segment_fixed_size 0
		.amdhsa_kernarg_size 128
		.amdhsa_user_sgpr_count 14
		.amdhsa_user_sgpr_dispatch_ptr 0
		.amdhsa_user_sgpr_queue_ptr 0
		.amdhsa_user_sgpr_kernarg_segment_ptr 1
		.amdhsa_user_sgpr_dispatch_id 0
		.amdhsa_user_sgpr_private_segment_size 0
		.amdhsa_wavefront_size32 1
		.amdhsa_uses_dynamic_stack 0
		.amdhsa_enable_private_segment 0
		.amdhsa_system_sgpr_workgroup_id_x 1
		.amdhsa_system_sgpr_workgroup_id_y 0
		.amdhsa_system_sgpr_workgroup_id_z 1
		.amdhsa_system_sgpr_workgroup_info 0
		.amdhsa_system_vgpr_workitem_id 1
		.amdhsa_next_free_vgpr 125
		.amdhsa_next_free_sgpr 25
		.amdhsa_reserve_vcc 1
		.amdhsa_float_round_mode_32 0
		.amdhsa_float_round_mode_16_64 0
		.amdhsa_float_denorm_mode_32 3
		.amdhsa_float_denorm_mode_16_64 3
		.amdhsa_dx10_clamp 1
		.amdhsa_ieee_mode 1
		.amdhsa_fp16_overflow 0
		.amdhsa_workgroup_processor_mode 1
		.amdhsa_memory_ordered 1
		.amdhsa_forward_progress 0
		.amdhsa_shared_vgpr_count 0
		.amdhsa_exception_fp_ieee_invalid_op 0
		.amdhsa_exception_fp_denorm_src 0
		.amdhsa_exception_fp_ieee_div_zero 0
		.amdhsa_exception_fp_ieee_overflow 0
		.amdhsa_exception_fp_ieee_underflow 0
		.amdhsa_exception_fp_ieee_inexact 0
		.amdhsa_exception_int_div_zero 0
	.end_amdhsa_kernel
	.section	.text._ZN12_GLOBAL__N_120geam_min_plus_kernelIDF16_Dv2_DF16_S1_Li8ELi32ELi64ELi128ELi4ELi64ELi4ELi4ELi64ELc78ELc78ELb1ELb1ELb0EDF16_KPKDF16_KPDF16_EEviiiT16_PT17_ilS9_ilS7_S9_ilPT18_ili26rocblas_geam_ex_operation_,"axG",@progbits,_ZN12_GLOBAL__N_120geam_min_plus_kernelIDF16_Dv2_DF16_S1_Li8ELi32ELi64ELi128ELi4ELi64ELi4ELi4ELi64ELc78ELc78ELb1ELb1ELb0EDF16_KPKDF16_KPDF16_EEviiiT16_PT17_ilS9_ilS7_S9_ilPT18_ili26rocblas_geam_ex_operation_,comdat
.Lfunc_end235:
	.size	_ZN12_GLOBAL__N_120geam_min_plus_kernelIDF16_Dv2_DF16_S1_Li8ELi32ELi64ELi128ELi4ELi64ELi4ELi4ELi64ELc78ELc78ELb1ELb1ELb0EDF16_KPKDF16_KPDF16_EEviiiT16_PT17_ilS9_ilS7_S9_ilPT18_ili26rocblas_geam_ex_operation_, .Lfunc_end235-_ZN12_GLOBAL__N_120geam_min_plus_kernelIDF16_Dv2_DF16_S1_Li8ELi32ELi64ELi128ELi4ELi64ELi4ELi4ELi64ELc78ELc78ELb1ELb1ELb0EDF16_KPKDF16_KPDF16_EEviiiT16_PT17_ilS9_ilS7_S9_ilPT18_ili26rocblas_geam_ex_operation_
                                        ; -- End function
	.section	.AMDGPU.csdata,"",@progbits
; Kernel info:
; codeLenInByte = 12896
; NumSgprs: 27
; NumVgprs: 125
; ScratchSize: 0
; MemoryBound: 0
; FloatMode: 240
; IeeeMode: 1
; LDSByteSize: 3072 bytes/workgroup (compile time only)
; SGPRBlocks: 3
; VGPRBlocks: 15
; NumSGPRsForWavesPerEU: 27
; NumVGPRsForWavesPerEU: 125
; Occupancy: 10
; WaveLimiterHint : 1
; COMPUTE_PGM_RSRC2:SCRATCH_EN: 0
; COMPUTE_PGM_RSRC2:USER_SGPR: 14
; COMPUTE_PGM_RSRC2:TRAP_HANDLER: 0
; COMPUTE_PGM_RSRC2:TGID_X_EN: 1
; COMPUTE_PGM_RSRC2:TGID_Y_EN: 0
; COMPUTE_PGM_RSRC2:TGID_Z_EN: 1
; COMPUTE_PGM_RSRC2:TIDIG_COMP_CNT: 1
	.section	.text._ZN12_GLOBAL__N_120geam_min_plus_kernelIDF16_Dv2_DF16_S1_Li8ELi32ELi64ELi128ELi4ELi64ELi4ELi4ELi64ELc78ELc78ELb0ELb1ELb0EDF16_KPKDF16_KPDF16_EEviiiT16_PT17_ilS9_ilS7_S9_ilPT18_ili26rocblas_geam_ex_operation_,"axG",@progbits,_ZN12_GLOBAL__N_120geam_min_plus_kernelIDF16_Dv2_DF16_S1_Li8ELi32ELi64ELi128ELi4ELi64ELi4ELi4ELi64ELc78ELc78ELb0ELb1ELb0EDF16_KPKDF16_KPDF16_EEviiiT16_PT17_ilS9_ilS7_S9_ilPT18_ili26rocblas_geam_ex_operation_,comdat
	.globl	_ZN12_GLOBAL__N_120geam_min_plus_kernelIDF16_Dv2_DF16_S1_Li8ELi32ELi64ELi128ELi4ELi64ELi4ELi4ELi64ELc78ELc78ELb0ELb1ELb0EDF16_KPKDF16_KPDF16_EEviiiT16_PT17_ilS9_ilS7_S9_ilPT18_ili26rocblas_geam_ex_operation_ ; -- Begin function _ZN12_GLOBAL__N_120geam_min_plus_kernelIDF16_Dv2_DF16_S1_Li8ELi32ELi64ELi128ELi4ELi64ELi4ELi4ELi64ELc78ELc78ELb0ELb1ELb0EDF16_KPKDF16_KPDF16_EEviiiT16_PT17_ilS9_ilS7_S9_ilPT18_ili26rocblas_geam_ex_operation_
	.p2align	8
	.type	_ZN12_GLOBAL__N_120geam_min_plus_kernelIDF16_Dv2_DF16_S1_Li8ELi32ELi64ELi128ELi4ELi64ELi4ELi4ELi64ELc78ELc78ELb0ELb1ELb0EDF16_KPKDF16_KPDF16_EEviiiT16_PT17_ilS9_ilS7_S9_ilPT18_ili26rocblas_geam_ex_operation_,@function
_ZN12_GLOBAL__N_120geam_min_plus_kernelIDF16_Dv2_DF16_S1_Li8ELi32ELi64ELi128ELi4ELi64ELi4ELi4ELi64ELc78ELc78ELb0ELb1ELb0EDF16_KPKDF16_KPDF16_EEviiiT16_PT17_ilS9_ilS7_S9_ilPT18_ili26rocblas_geam_ex_operation_: ; @_ZN12_GLOBAL__N_120geam_min_plus_kernelIDF16_Dv2_DF16_S1_Li8ELi32ELi64ELi128ELi4ELi64ELi4ELi4ELi64ELc78ELc78ELb0ELb1ELb0EDF16_KPKDF16_KPDF16_EEviiiT16_PT17_ilS9_ilS7_S9_ilPT18_ili26rocblas_geam_ex_operation_
; %bb.0:
	s_clause 0x1
	s_load_b128 s[16:19], s[0:1], 0x0
	s_load_b128 s[4:7], s[0:1], 0x20
	s_mov_b32 s2, s15
	s_mov_b32 s3, 0
	s_waitcnt lgkmcnt(0)
	v_cmp_eq_f16_e64 s8, s19, 0
	v_cmp_neq_f16_e64 s23, s19, 0
	s_delay_alu instid0(VALU_DEP_2)
	s_and_b32 vcc_lo, exec_lo, s8
	s_cbranch_vccnz .LBB236_3
; %bb.1:
	s_load_b64 s[10:11], s[0:1], 0x10
	s_lshl_b64 s[12:13], s[2:3], 3
	s_waitcnt lgkmcnt(0)
	s_add_u32 s10, s10, s12
	s_addc_u32 s11, s11, s13
	s_lshl_b64 s[4:5], s[4:5], 1
	s_load_b64 s[10:11], s[10:11], 0x0
	s_waitcnt lgkmcnt(0)
	s_add_u32 s12, s10, s4
	s_addc_u32 s13, s11, s5
	s_and_not1_b32 vcc_lo, exec_lo, s8
	s_cbranch_vccnz .LBB236_4
.LBB236_2:
	s_mov_b64 s[8:9], 0
	s_and_not1_b32 vcc_lo, exec_lo, s3
	s_cbranch_vccz .LBB236_5
	s_branch .LBB236_6
.LBB236_3:
	s_mov_b64 s[12:13], 0
	s_and_not1_b32 vcc_lo, exec_lo, s8
	s_cbranch_vccz .LBB236_2
.LBB236_4:
	s_mov_b32 s3, -1
                                        ; implicit-def: $sgpr8_sgpr9
.LBB236_5:
	s_mov_b32 s3, 0
	s_load_b64 s[8:9], s[0:1], 0x38
	s_lshl_b64 s[4:5], s[2:3], 3
	s_delay_alu instid0(SALU_CYCLE_1) | instskip(SKIP_4) | instid1(SALU_CYCLE_1)
	s_add_u32 s4, s6, s4
	s_addc_u32 s5, s7, s5
	s_load_b64 s[4:5], s[4:5], 0x0
	s_waitcnt lgkmcnt(0)
	s_lshl_b64 s[6:7], s[8:9], 1
	s_add_u32 s8, s4, s6
	s_addc_u32 s9, s5, s7
.LBB236_6:
	s_clause 0x1
	s_load_b32 s15, s[0:1], 0x40
	s_load_b128 s[4:7], s[0:1], 0x58
	s_waitcnt lgkmcnt(0)
	v_cmp_eq_f16_e64 s10, s15, 0
	v_cmp_neq_f16_e64 s22, s15, 0
	s_delay_alu instid0(VALU_DEP_2)
	s_and_b32 vcc_lo, exec_lo, s10
	s_cbranch_vccnz .LBB236_8
; %bb.7:
	s_load_b64 s[10:11], s[0:1], 0x48
	s_lshl_b64 s[20:21], s[2:3], 3
	s_waitcnt lgkmcnt(0)
	s_add_u32 s10, s10, s20
	s_addc_u32 s11, s11, s21
	s_lshl_b64 s[4:5], s[4:5], 1
	s_load_b64 s[10:11], s[10:11], 0x0
	s_waitcnt lgkmcnt(0)
	s_add_u32 s10, s10, s4
	s_addc_u32 s11, s11, s5
	s_branch .LBB236_9
.LBB236_8:
	s_mov_b64 s[10:11], 0
.LBB236_9:
	s_load_b32 s20, s[0:1], 0x18
	s_lshl_b64 s[2:3], s[2:3], 3
	v_dual_mov_b32 v9, 0 :: v_dual_and_b32 v32, 0x3ff, v0
	v_bfe_u32 v33, v0, 10, 10
	v_mov_b32_e32 v8, 0
	s_delay_alu instid0(VALU_DEP_2) | instskip(NEXT) | instid1(VALU_DEP_1)
	v_lshl_add_u32 v2, v33, 3, v32
	v_and_b32_e32 v7, 63, v2
	v_lshrrev_b32_e32 v34, 6, v2
	s_waitcnt lgkmcnt(0)
	s_ashr_i32 s21, s20, 31
	s_add_u32 s4, s6, s2
	s_addc_u32 s5, s7, s3
	s_add_i32 s2, s16, -1
	s_load_b64 s[4:5], s[4:5], 0x0
	s_ashr_i32 s3, s2, 31
	s_delay_alu instid0(SALU_CYCLE_1) | instskip(NEXT) | instid1(SALU_CYCLE_1)
	s_lshr_b32 s3, s3, 26
	s_add_i32 s2, s2, s3
	s_delay_alu instid0(SALU_CYCLE_1) | instskip(NEXT) | instid1(SALU_CYCLE_1)
	s_ashr_i32 s2, s2, 6
	s_add_i32 s6, s2, 1
	s_not_b32 s2, s2
	v_cvt_f32_u32_e32 v1, s6
	s_delay_alu instid0(VALU_DEP_1) | instskip(SKIP_2) | instid1(VALU_DEP_1)
	v_rcp_iflag_f32_e32 v1, v1
	s_waitcnt_depctr 0xfff
	v_mul_f32_e32 v1, 0x4f7ffffe, v1
	v_cvt_u32_f32_e32 v1, v1
	s_delay_alu instid0(VALU_DEP_1) | instskip(NEXT) | instid1(VALU_DEP_1)
	v_readfirstlane_b32 s3, v1
	s_mul_i32 s2, s2, s3
	s_delay_alu instid0(SALU_CYCLE_1) | instskip(NEXT) | instid1(SALU_CYCLE_1)
	s_mul_hi_u32 s2, s3, s2
	s_add_i32 s3, s3, s2
	s_delay_alu instid0(SALU_CYCLE_1) | instskip(NEXT) | instid1(SALU_CYCLE_1)
	s_mul_hi_u32 s2, s14, s3
	s_mul_i32 s3, s2, s6
	s_add_i32 s7, s2, 1
	s_sub_i32 s3, s14, s3
	s_delay_alu instid0(SALU_CYCLE_1)
	s_sub_i32 s24, s3, s6
	s_cmp_ge_u32 s3, s6
	s_cselect_b32 s2, s7, s2
	s_cselect_b32 s3, s24, s3
	s_add_i32 s7, s2, 1
	s_cmp_ge_u32 s3, s6
	s_cselect_b32 s3, s7, s2
	s_delay_alu instid0(SALU_CYCLE_1) | instskip(NEXT) | instid1(SALU_CYCLE_1)
	s_mul_i32 s2, s3, s6
	s_sub_i32 s2, s14, s2
	s_delay_alu instid0(SALU_CYCLE_1) | instskip(SKIP_2) | instid1(VALU_DEP_1)
	s_lshl_b32 s14, s2, 6
	v_cmp_gt_i32_e64 s2, s18, v34
	v_or_b32_e32 v0, s14, v7
	v_cmp_gt_i32_e32 vcc_lo, s16, v0
	v_ashrrev_i32_e32 v1, 31, v0
	s_delay_alu instid0(VALU_DEP_4) | instskip(NEXT) | instid1(SALU_CYCLE_1)
	s_and_b32 s2, s2, vcc_lo
	s_and_b32 s2, s23, s2
	s_delay_alu instid0(SALU_CYCLE_1)
	s_and_saveexec_b32 s6, s2
	s_cbranch_execz .LBB236_11
; %bb.10:
	v_mad_i64_i32 v[3:4], null, s20, v34, 0
	v_lshlrev_b64 v[5:6], 1, v[0:1]
	s_delay_alu instid0(VALU_DEP_2) | instskip(NEXT) | instid1(VALU_DEP_1)
	v_lshlrev_b64 v[3:4], 1, v[3:4]
	v_add_co_u32 v3, s2, s12, v3
	s_delay_alu instid0(VALU_DEP_1) | instskip(NEXT) | instid1(VALU_DEP_2)
	v_add_co_ci_u32_e64 v4, s2, s13, v4, s2
	v_add_co_u32 v3, s2, v3, v5
	s_delay_alu instid0(VALU_DEP_1)
	v_add_co_ci_u32_e64 v4, s2, v4, v6, s2
	flat_load_u16 v3, v[3:4]
	s_waitcnt vmcnt(0) lgkmcnt(0)
	v_mul_f16_e32 v9, s19, v3
.LBB236_11:
	s_or_b32 exec_lo, exec_lo, s6
	v_and_b32_e32 v35, 3, v32
	s_add_i32 s25, s18, -1
	v_lshrrev_b32_e32 v10, 2, v2
	s_load_b32 s6, s[0:1], 0x30
	s_lshl_b32 s24, s3, 7
	v_min_i32_e32 v3, s25, v35
	s_xor_b32 s7, s23, -1
	v_add_nc_u32_e32 v2, s24, v10
	v_cmp_le_i32_e64 s2, s18, v35
	s_delay_alu instid0(VALU_DEP_3) | instskip(NEXT) | instid1(VALU_DEP_3)
	v_ashrrev_i32_e32 v4, 31, v3
	v_cmp_le_i32_e64 s3, s17, v2
	s_delay_alu instid0(VALU_DEP_2) | instskip(NEXT) | instid1(VALU_DEP_2)
	v_lshlrev_b64 v[3:4], 1, v[3:4]
	s_or_b32 s26, s3, s7
	s_delay_alu instid0(VALU_DEP_1) | instskip(NEXT) | instid1(VALU_DEP_1)
	v_add_co_u32 v5, s3, s8, v3
	v_add_co_ci_u32_e64 v6, s3, s9, v4, s3
	s_or_b32 s3, s2, s26
	s_delay_alu instid0(SALU_CYCLE_1) | instskip(NEXT) | instid1(SALU_CYCLE_1)
	s_xor_b32 s3, s3, -1
	s_and_saveexec_b32 s27, s3
	s_cbranch_execz .LBB236_13
; %bb.12:
	s_waitcnt lgkmcnt(0)
	v_mad_i64_i32 v[3:4], null, v2, s6, 0
	s_delay_alu instid0(VALU_DEP_1) | instskip(NEXT) | instid1(VALU_DEP_1)
	v_lshlrev_b64 v[3:4], 1, v[3:4]
	v_add_co_u32 v3, s3, v5, v3
	s_delay_alu instid0(VALU_DEP_1)
	v_add_co_ci_u32_e64 v4, s3, v6, v4, s3
	flat_load_u16 v3, v[3:4]
	s_waitcnt vmcnt(0) lgkmcnt(0)
	v_mul_f16_e32 v8, s19, v3
.LBB236_13:
	s_or_b32 exec_lo, exec_lo, s27
	v_dual_mov_b32 v4, 0 :: v_dual_add_nc_u32 v3, 64, v2
	v_mov_b32_e32 v11, 0
	s_delay_alu instid0(VALU_DEP_2) | instskip(NEXT) | instid1(VALU_DEP_1)
	v_cmp_le_i32_e64 s3, s17, v3
	s_or_b32 s27, s3, s7
	s_delay_alu instid0(SALU_CYCLE_1) | instskip(NEXT) | instid1(SALU_CYCLE_1)
	s_or_b32 s2, s2, s27
	s_xor_b32 s2, s2, -1
	s_delay_alu instid0(SALU_CYCLE_1)
	s_and_saveexec_b32 s3, s2
	s_cbranch_execz .LBB236_15
; %bb.14:
	s_waitcnt lgkmcnt(0)
	v_mad_i64_i32 v[11:12], null, v3, s6, 0
	s_delay_alu instid0(VALU_DEP_1) | instskip(NEXT) | instid1(VALU_DEP_1)
	v_lshlrev_b64 v[11:12], 1, v[11:12]
	v_add_co_u32 v5, s2, v5, v11
	s_delay_alu instid0(VALU_DEP_1)
	v_add_co_ci_u32_e64 v6, s2, v6, v12, s2
	flat_load_u16 v5, v[5:6]
	s_waitcnt vmcnt(0) lgkmcnt(0)
	v_mul_f16_e32 v11, s19, v5
.LBB236_15:
	s_or_b32 exec_lo, exec_lo, s3
	v_add_nc_u32_e32 v5, 4, v34
	s_delay_alu instid0(VALU_DEP_1) | instskip(NEXT) | instid1(VALU_DEP_1)
	v_cmp_gt_i32_e64 s2, s18, v5
	s_and_b32 s2, vcc_lo, s2
	s_delay_alu instid0(SALU_CYCLE_1) | instskip(NEXT) | instid1(SALU_CYCLE_1)
	s_and_b32 s2, s23, s2
	s_and_saveexec_b32 s3, s2
	s_cbranch_execz .LBB236_17
; %bb.16:
	v_mad_u64_u32 v[12:13], null, s20, v5, 0
	s_delay_alu instid0(VALU_DEP_1) | instskip(NEXT) | instid1(VALU_DEP_1)
	v_mov_b32_e32 v4, v13
	v_mad_u64_u32 v[13:14], null, s21, v5, v[4:5]
	s_delay_alu instid0(VALU_DEP_1) | instskip(SKIP_1) | instid1(VALU_DEP_2)
	v_lshlrev_b64 v[4:5], 1, v[12:13]
	v_lshlrev_b64 v[12:13], 1, v[0:1]
	v_add_co_u32 v4, s2, s12, v4
	s_delay_alu instid0(VALU_DEP_1) | instskip(NEXT) | instid1(VALU_DEP_2)
	v_add_co_ci_u32_e64 v5, s2, s13, v5, s2
	v_add_co_u32 v4, s2, v4, v12
	s_delay_alu instid0(VALU_DEP_1)
	v_add_co_ci_u32_e64 v5, s2, v5, v13, s2
	flat_load_u16 v4, v[4:5]
	s_waitcnt vmcnt(0) lgkmcnt(0)
	v_mul_f16_e32 v4, s19, v4
.LBB236_17:
	s_or_b32 exec_lo, exec_lo, s3
	v_or_b32_e32 v14, 4, v35
	s_delay_alu instid0(VALU_DEP_1) | instskip(SKIP_1) | instid1(VALU_DEP_2)
	v_min_i32_e32 v5, s25, v14
	v_cmp_le_i32_e64 s2, s18, v14
	v_ashrrev_i32_e32 v6, 31, v5
	s_delay_alu instid0(VALU_DEP_1) | instskip(SKIP_1) | instid1(VALU_DEP_2)
	v_lshlrev_b64 v[12:13], 1, v[5:6]
	v_dual_mov_b32 v5, 0 :: v_dual_mov_b32 v6, 0
	v_add_co_u32 v12, s3, s8, v12
	s_delay_alu instid0(VALU_DEP_1) | instskip(SKIP_1) | instid1(SALU_CYCLE_1)
	v_add_co_ci_u32_e64 v13, s3, s9, v13, s3
	s_or_b32 s3, s2, s26
	s_xor_b32 s3, s3, -1
	s_delay_alu instid0(SALU_CYCLE_1)
	s_and_saveexec_b32 s7, s3
	s_cbranch_execz .LBB236_19
; %bb.18:
	s_waitcnt lgkmcnt(0)
	v_mad_i64_i32 v[14:15], null, v2, s6, 0
	s_delay_alu instid0(VALU_DEP_1) | instskip(NEXT) | instid1(VALU_DEP_1)
	v_lshlrev_b64 v[14:15], 1, v[14:15]
	v_add_co_u32 v14, s3, v12, v14
	s_delay_alu instid0(VALU_DEP_1)
	v_add_co_ci_u32_e64 v15, s3, v13, v15, s3
	flat_load_u16 v6, v[14:15]
	s_waitcnt vmcnt(0) lgkmcnt(0)
	v_mul_f16_e32 v6, s19, v6
.LBB236_19:
	s_or_b32 exec_lo, exec_lo, s7
	s_or_b32 s2, s2, s27
	s_delay_alu instid0(SALU_CYCLE_1) | instskip(NEXT) | instid1(SALU_CYCLE_1)
	s_xor_b32 s2, s2, -1
	s_and_saveexec_b32 s3, s2
	s_cbranch_execz .LBB236_21
; %bb.20:
	s_waitcnt lgkmcnt(0)
	v_mad_i64_i32 v[14:15], null, v3, s6, 0
	s_delay_alu instid0(VALU_DEP_1) | instskip(NEXT) | instid1(VALU_DEP_1)
	v_lshlrev_b64 v[14:15], 1, v[14:15]
	v_add_co_u32 v12, s2, v12, v14
	s_delay_alu instid0(VALU_DEP_1)
	v_add_co_ci_u32_e64 v13, s2, v13, v15, s2
	flat_load_u16 v5, v[12:13]
	s_waitcnt vmcnt(0) lgkmcnt(0)
	v_mul_f16_e32 v5, s19, v5
.LBB236_21:
	s_or_b32 exec_lo, exec_lo, s3
	v_lshlrev_b32_e32 v12, 1, v35
	v_lshlrev_b32_e32 v7, 3, v7
	;; [unrolled: 1-line block ×4, first 2 shown]
	s_mov_b32 s28, 0
	v_lshl_or_b32 v38, v10, 3, v12
	v_lshl_add_u32 v7, v34, 1, v7
	v_add_nc_u32_e32 v28, 0x800, v37
	s_cmp_lt_i32 s18, 9
	ds_store_b16 v38, v8
	ds_store_b16 v7, v9 offset:2048
	ds_store_b16 v38, v11 offset:512
	s_waitcnt lgkmcnt(0)
	s_barrier
	buffer_gl0_inv
	ds_load_2addr_b64 v[8:11], v36 offset1:32
	ds_load_2addr_b64 v[12:15], v28 offset0:48 offset1:56
	ds_load_2addr_b64 v[16:19], v36 offset0:64 offset1:96
	ds_load_2addr_b64 v[20:23], v28 offset1:8
	ds_load_2addr_b64 v[24:27], v28 offset0:16 offset1:24
	s_waitcnt lgkmcnt(4)
	v_pk_max_f16 v8, v8, v8
	s_waitcnt lgkmcnt(3)
	v_pk_max_f16 v14, v14, v14
	v_pk_max_f16 v10, v10, v10
	s_waitcnt lgkmcnt(2)
	v_pk_max_f16 v16, v16, v16
	s_waitcnt lgkmcnt(0)
	v_pk_max_f16 v24, v24, v24
	v_pk_max_f16 v26, v26, v26
	v_pk_min_f16 v29, v14, v8
	v_pk_min_f16 v30, v14, v10
	;; [unrolled: 1-line block ×5, first 2 shown]
	v_pk_add_f16 v43, v29, 0
	v_pk_add_f16 v44, v30, 0
	;; [unrolled: 1-line block ×3, first 2 shown]
	ds_load_2addr_b64 v[28:31], v28 offset0:32 offset1:40
	v_pk_add_f16 v51, v48, 0
	v_pk_min_f16 v48, v26, v8
	v_pk_min_f16 v50, v24, v16
	v_pk_add_f16 v52, v49, 0
	v_pk_min_f16 v49, v26, v10
	v_pk_max_f16 v20, v20, v20
	v_pk_add_f16 v54, v48, 0
	v_pk_max_f16 v18, v18, v18
	v_pk_max_f16 v22, v22, v22
	v_pk_add_f16 v53, v50, 0
	v_pk_min_f16 v50, v26, v16
	v_pk_add_f16 v59, v49, 0
	v_pk_max_f16 v12, v12, v12
	v_pk_max_f16 v9, v9, v9
	;; [unrolled: 1-line block ×3, first 2 shown]
	v_pk_min_f16 v39, v20, v8
	v_pk_min_f16 v40, v20, v10
	;; [unrolled: 1-line block ×4, first 2 shown]
	s_waitcnt lgkmcnt(0)
	v_pk_max_f16 v28, v28, v28
	v_pk_max_f16 v30, v30, v30
	v_pk_min_f16 v42, v22, v8
	v_pk_min_f16 v46, v22, v10
	;; [unrolled: 1-line block ×8, first 2 shown]
	v_pk_add_f16 v61, v48, 0
	v_pk_min_f16 v48, v28, v16
	v_pk_add_f16 v60, v50, 0
	v_pk_min_f16 v28, v28, v18
	v_pk_add_f16 v62, v49, 0
	v_pk_min_f16 v49, v30, v8
	v_pk_min_f16 v50, v30, v10
	v_pk_add_f16 v66, v48, 0
	v_pk_min_f16 v48, v30, v16
	v_pk_min_f16 v30, v30, v18
	;; [unrolled: 1-line block ×6, first 2 shown]
	v_pk_max_f16 v11, v11, v11
	v_pk_min_f16 v14, v14, v18
	v_pk_min_f16 v18, v15, v9
	v_pk_add_f16 v75, v48, 0
	v_pk_max_f16 v17, v17, v17
	v_pk_min_f16 v48, v15, v11
	v_pk_max_f16 v21, v21, v21
	v_pk_add_f16 v68, v43, v18
	v_pk_max_f16 v18, v19, v19
	v_pk_add_f16 v39, v39, 0
	v_pk_add_f16 v20, v20, 0
	;; [unrolled: 1-line block ×3, first 2 shown]
	v_pk_min_f16 v49, v15, v17
	v_pk_add_f16 v58, v44, v48
	v_pk_min_f16 v19, v21, v9
	v_pk_min_f16 v43, v21, v11
	;; [unrolled: 1-line block ×4, first 2 shown]
	v_pk_max_f16 v23, v23, v23
	v_pk_add_f16 v42, v42, 0
	v_pk_add_f16 v46, v46, 0
	;; [unrolled: 1-line block ×8, first 2 shown]
	v_pk_min_f16 v19, v23, v9
	v_pk_min_f16 v20, v23, v11
	v_pk_min_f16 v21, v23, v17
	v_pk_min_f16 v23, v23, v18
	v_pk_max_f16 v25, v25, v25
	v_pk_add_f16 v24, v24, 0
	v_pk_add_f16 v71, v42, v19
	v_pk_add_f16 v65, v46, v20
	v_pk_add_f16 v56, v47, v21
	v_pk_add_f16 v48, v22, v23
	v_pk_min_f16 v19, v25, v9
	v_pk_min_f16 v20, v25, v11
	v_pk_min_f16 v21, v25, v17
	v_pk_min_f16 v22, v25, v18
	v_pk_max_f16 v23, v27, v27
	v_pk_add_f16 v26, v26, 0
	v_pk_add_f16 v70, v51, v19
	v_pk_add_f16 v64, v52, v20
	v_pk_add_f16 v55, v53, v21
	v_pk_add_f16 v47, v24, v22
	;; [unrolled: 10-line block ×3, first 2 shown]
	v_pk_add_f16 v46, v26, v22
	v_pk_min_f16 v19, v23, v9
	v_pk_min_f16 v20, v23, v11
	;; [unrolled: 1-line block ×4, first 2 shown]
	v_pk_max_f16 v23, v31, v31
	v_pk_max_f16 v13, v13, v13
	v_pk_add_f16 v40, v40, 0
	v_pk_add_f16 v30, v30, 0
	;; [unrolled: 1-line block ×12, first 2 shown]
	v_pk_min_f16 v19, v23, v9
	v_pk_min_f16 v20, v23, v11
	;; [unrolled: 1-line block ×9, first 2 shown]
	v_pk_add_f16 v67, v40, v43
	v_pk_add_f16 v39, v73, v19
	;; [unrolled: 1-line block ×10, first 2 shown]
	ds_store_b16 v38, v6 offset:1024
	ds_store_b16 v7, v4 offset:2560
	;; [unrolled: 1-line block ×3, first 2 shown]
	s_waitcnt lgkmcnt(0)
	s_barrier
	buffer_gl0_inv
	s_cbranch_scc1 .LBB236_36
; %bb.22:
	v_add_nc_u32_e32 v4, v36, v32
	v_or_b32_e32 v59, 0x800, v7
	v_add_nc_u32_e32 v73, 0xa00, v7
	v_lshlrev_b64 v[0:1], 1, v[0:1]
	v_add_nc_u32_e32 v66, 0x800, v37
	v_lshrrev_b32_e32 v4, 6, v4
	v_add_nc_u32_e32 v74, 0x400, v38
	v_lshl_add_u32 v75, v32, 3, 0xa00
	v_add_nc_u32_e32 v78, 0x400, v36
	v_add_co_u32 v76, s2, s12, v0
	v_add_nc_u32_e32 v8, 12, v4
	v_add_nc_u32_e32 v10, 8, v4
	v_mad_i64_i32 v[4:5], null, v2, s6, 0
	v_add_co_ci_u32_e64 v77, s2, s13, v1, s2
	s_delay_alu instid0(VALU_DEP_4) | instskip(NEXT) | instid1(VALU_DEP_4)
	v_mad_i64_i32 v[6:7], null, v8, s20, 0
	v_mad_i64_i32 v[8:9], null, v10, s20, 0
	;; [unrolled: 1-line block ×3, first 2 shown]
	v_lshlrev_b64 v[28:29], 1, v[4:5]
	s_add_i32 s12, s18, -8
	s_delay_alu instid0(VALU_DEP_4) | instskip(SKIP_1) | instid1(VALU_DEP_4)
	v_lshlrev_b64 v[24:25], 1, v[6:7]
	s_lshl_b64 s[6:7], s[20:21], 4
	v_lshlrev_b64 v[26:27], 1, v[8:9]
	s_delay_alu instid0(VALU_DEP_4)
	v_lshlrev_b64 v[30:31], 1, v[10:11]
	s_branch .LBB236_24
.LBB236_23:                             ;   in Loop: Header=BB236_24 Depth=1
	s_or_b32 exec_lo, exec_lo, s3
	v_pk_add_f16 v16, v50, v16
	v_pk_add_f16 v22, v49, v22
	;; [unrolled: 1-line block ×26, first 2 shown]
	ds_load_2addr_b64 v[39:42], v66 offset0:48 offset1:56
	ds_load_2addr_b64 v[43:46], v36 offset1:32
	v_pk_add_f16 v9, v47, v9
	ds_load_2addr_b64 v[47:50], v36 offset0:64 offset1:96
	v_pk_add_f16 v18, v67, v18
	v_pk_add_f16 v56, v70, v87
	;; [unrolled: 1-line block ×7, first 2 shown]
	ds_load_2addr_b64 v[51:54], v66 offset1:8
	v_pk_add_f16 v61, v61, v97
	v_pk_add_f16 v60, v60, v101
	;; [unrolled: 1-line block ×8, first 2 shown]
	s_waitcnt lgkmcnt(3)
	v_pk_max_f16 v41, v41, v41
	s_waitcnt lgkmcnt(2)
	v_pk_max_f16 v43, v43, v43
	v_pk_max_f16 v45, v45, v45
	s_waitcnt lgkmcnt(1)
	v_pk_max_f16 v47, v47, v47
	v_pk_add_f16 v64, v64, v3
	v_pk_add_f16 v65, v65, v7
	;; [unrolled: 1-line block ×6, first 2 shown]
	v_pk_min_f16 v4, v41, v43
	v_pk_min_f16 v5, v41, v45
	;; [unrolled: 1-line block ×3, first 2 shown]
	ds_load_2addr_b64 v[0:3], v66 offset0:16 offset1:24
	s_waitcnt lgkmcnt(1)
	v_pk_max_f16 v7, v51, v51
	v_pk_max_f16 v49, v49, v49
	v_pk_add_f16 v14, v14, v113
	v_pk_add_f16 v18, v18, v114
	;; [unrolled: 1-line block ×7, first 2 shown]
	v_pk_min_f16 v4, v7, v43
	v_pk_min_f16 v5, v7, v45
	;; [unrolled: 1-line block ×4, first 2 shown]
	v_pk_max_f16 v53, v53, v53
	v_pk_add_f16 v14, v14, v4
	v_pk_add_f16 v18, v18, v5
	;; [unrolled: 1-line block ×4, first 2 shown]
	ds_load_2addr_b64 v[4:7], v66 offset0:32 offset1:40
	v_pk_add_f16 v8, v8, v117
	v_pk_add_f16 v13, v67, v13
	;; [unrolled: 1-line block ×3, first 2 shown]
	v_pk_min_f16 v67, v53, v43
	v_pk_min_f16 v68, v53, v45
	s_waitcnt lgkmcnt(1)
	v_pk_max_f16 v0, v0, v0
	v_pk_add_f16 v56, v56, v121
	v_pk_add_f16 v21, v70, v21
	;; [unrolled: 1-line block ×4, first 2 shown]
	v_pk_min_f16 v67, v0, v43
	v_pk_min_f16 v68, v0, v45
	;; [unrolled: 1-line block ×4, first 2 shown]
	v_pk_max_f16 v2, v2, v2
	v_pk_add_f16 v57, v57, v104
	v_pk_add_f16 v82, v56, v67
	v_pk_add_f16 v63, v63, v107
	v_pk_add_f16 v0, v9, v0
	v_pk_min_f16 v9, v2, v43
	v_pk_min_f16 v56, v2, v45
	s_waitcnt lgkmcnt(0)
	v_pk_max_f16 v4, v4, v4
	v_pk_add_f16 v17, v69, v17
	v_pk_min_f16 v69, v53, v47
	v_pk_add_f16 v9, v23, v9
	v_pk_add_f16 v23, v57, v56
	v_pk_min_f16 v56, v4, v43
	v_pk_add_f16 v58, v58, v106
	v_pk_min_f16 v53, v53, v49
	;; [unrolled: 2-line block ×3, first 2 shown]
	v_pk_min_f16 v2, v2, v49
	v_pk_min_f16 v57, v4, v45
	v_pk_max_f16 v6, v6, v6
	v_pk_add_f16 v84, v63, v56
	v_pk_min_f16 v56, v4, v47
	v_pk_max_f16 v39, v39, v39
	v_pk_add_f16 v55, v55, v88
	v_pk_add_f16 v53, v85, v53
	v_pk_add_f16 v83, v86, v67
	v_pk_add_f16 v2, v58, v2
	v_pk_add_f16 v85, v87, v57
	v_pk_min_f16 v57, v6, v43
	v_pk_min_f16 v58, v6, v45
	v_pk_add_f16 v86, v62, v56
	v_pk_min_f16 v56, v6, v47
	v_pk_min_f16 v6, v6, v49
	;; [unrolled: 1-line block ×5, first 2 shown]
	v_pk_max_f16 v42, v42, v42
	v_pk_max_f16 v88, v46, v46
	v_pk_add_f16 v6, v15, v6
	v_pk_add_f16 v15, v17, v43
	;; [unrolled: 1-line block ×4, first 2 shown]
	v_pk_min_f16 v21, v39, v49
	v_pk_max_f16 v43, v44, v44
	v_pk_min_f16 v39, v41, v49
	v_pk_max_f16 v89, v48, v48
	v_pk_min_f16 v44, v42, v88
	v_pk_add_f16 v10, v10, v122
	v_pk_add_f16 v11, v11, v58
	v_pk_min_f16 v41, v42, v43
	v_pk_add_f16 v90, v61, v39
	v_pk_min_f16 v39, v42, v89
	v_pk_max_f16 v45, v52, v52
	v_pk_add_f16 v58, v12, v44
	v_pk_max_f16 v12, v50, v50
	v_pk_add_f16 v10, v10, v68
	v_pk_add_f16 v68, v51, v41
	;; [unrolled: 1-line block ×3, first 2 shown]
	v_pk_min_f16 v16, v45, v43
	v_pk_min_f16 v39, v45, v88
	;; [unrolled: 1-line block ×4, first 2 shown]
	v_pk_max_f16 v45, v54, v54
	v_pk_add_f16 v55, v55, v123
	v_pk_add_f16 v72, v14, v16
	v_pk_max_f16 v1, v1, v1
	v_pk_add_f16 v87, v65, v57
	v_pk_min_f16 v14, v45, v43
	v_pk_min_f16 v16, v45, v88
	v_pk_add_f16 v55, v55, v71
	v_pk_max_f16 v3, v3, v3
	v_pk_min_f16 v4, v4, v49
	v_pk_add_f16 v71, v8, v14
	v_pk_add_f16 v65, v70, v16
	v_pk_min_f16 v8, v1, v43
	v_pk_min_f16 v14, v1, v88
	;; [unrolled: 1-line block ×4, first 2 shown]
	v_pk_add_f16 v67, v18, v39
	v_pk_min_f16 v18, v45, v89
	v_pk_add_f16 v70, v82, v8
	v_pk_min_f16 v8, v3, v89
	;; [unrolled: 2-line block ×3, first 2 shown]
	v_pk_min_f16 v1, v3, v88
	v_pk_min_f16 v3, v3, v12
	v_pk_max_f16 v5, v5, v5
	v_pk_add_f16 v4, v64, v4
	v_pk_add_f16 v13, v13, v56
	;; [unrolled: 1-line block ×3, first 2 shown]
	v_pk_min_f16 v20, v45, v12
	v_pk_add_f16 v56, v69, v18
	v_pk_add_f16 v69, v9, v0
	;; [unrolled: 1-line block ×4, first 2 shown]
	v_pk_min_f16 v0, v5, v43
	v_pk_min_f16 v1, v5, v88
	;; [unrolled: 1-line block ×4, first 2 shown]
	v_pk_max_f16 v5, v7, v7
	v_pk_add_f16 v48, v53, v20
	v_pk_add_f16 v41, v84, v0
	;; [unrolled: 1-line block ×5, first 2 shown]
	v_pk_min_f16 v0, v5, v43
	v_pk_min_f16 v1, v5, v88
	;; [unrolled: 1-line block ×4, first 2 shown]
	v_pk_max_f16 v4, v40, v40
	v_pk_add_f16 v21, v60, v21
	v_pk_add_f16 v49, v22, v44
	;; [unrolled: 1-line block ×6, first 2 shown]
	v_pk_min_f16 v0, v4, v43
	v_pk_min_f16 v1, v4, v88
	;; [unrolled: 1-line block ×5, first 2 shown]
	v_add_co_u32 v76, s2, v76, s6
	v_pk_add_f16 v64, v10, v14
	v_pk_add_f16 v55, v55, v16
	;; [unrolled: 1-line block ×8, first 2 shown]
	v_add_co_ci_u32_e64 v77, s2, s7, v77, s2
	s_add_i32 s28, s28, 8
	ds_store_b16 v73, v79
	ds_store_b16 v74, v81
	ds_store_b16 v74, v80 offset:512
	s_cmp_ge_i32 s28, s12
	s_waitcnt lgkmcnt(0)
	s_barrier
	buffer_gl0_inv
	s_cbranch_scc1 .LBB236_36
.LBB236_24:                             ; =>This Inner Loop Header: Depth=1
	v_dual_mov_b32 v82, 0 :: v_dual_add_nc_u32 v81, s28, v34
	s_delay_alu instid0(VALU_DEP_1) | instskip(NEXT) | instid1(VALU_DEP_1)
	v_dual_mov_b32 v83, 0 :: v_dual_add_nc_u32 v0, 8, v81
	v_cmp_gt_i32_e64 s2, s18, v0
	s_delay_alu instid0(VALU_DEP_1) | instskip(NEXT) | instid1(SALU_CYCLE_1)
	s_and_b32 s2, vcc_lo, s2
	s_and_b32 s2, s23, s2
	s_delay_alu instid0(SALU_CYCLE_1)
	s_and_saveexec_b32 s3, s2
	s_cbranch_execz .LBB236_26
; %bb.25:                               ;   in Loop: Header=BB236_24 Depth=1
	v_add_co_u32 v0, s2, v76, v26
	s_delay_alu instid0(VALU_DEP_1)
	v_add_co_ci_u32_e64 v1, s2, v77, v27, s2
	flat_load_u16 v0, v[0:1]
	s_waitcnt vmcnt(0) lgkmcnt(0)
	v_mul_f16_e32 v83, s19, v0
.LBB236_26:                             ;   in Loop: Header=BB236_24 Depth=1
	s_or_b32 exec_lo, exec_lo, s3
	v_add_nc_u32_e32 v80, s28, v35
	s_delay_alu instid0(VALU_DEP_1) | instskip(NEXT) | instid1(VALU_DEP_1)
	v_add_nc_u32_e32 v2, 8, v80
	v_min_i32_e32 v0, s25, v2
	v_cmp_le_i32_e64 s2, s18, v2
	s_delay_alu instid0(VALU_DEP_2) | instskip(NEXT) | instid1(VALU_DEP_1)
	v_ashrrev_i32_e32 v1, 31, v0
	v_lshlrev_b64 v[0:1], 1, v[0:1]
	s_delay_alu instid0(VALU_DEP_1) | instskip(NEXT) | instid1(VALU_DEP_1)
	v_add_co_u32 v0, s3, s8, v0
	v_add_co_ci_u32_e64 v1, s3, s9, v1, s3
	s_or_b32 s3, s26, s2
	s_delay_alu instid0(SALU_CYCLE_1) | instskip(NEXT) | instid1(SALU_CYCLE_1)
	s_xor_b32 s3, s3, -1
	s_and_saveexec_b32 s13, s3
	s_cbranch_execz .LBB236_28
; %bb.27:                               ;   in Loop: Header=BB236_24 Depth=1
	v_add_co_u32 v2, s3, v0, v28
	s_delay_alu instid0(VALU_DEP_1)
	v_add_co_ci_u32_e64 v3, s3, v1, v29, s3
	flat_load_u16 v2, v[2:3]
	s_waitcnt vmcnt(0) lgkmcnt(0)
	v_mul_f16_e32 v82, s19, v2
.LBB236_28:                             ;   in Loop: Header=BB236_24 Depth=1
	s_or_b32 exec_lo, exec_lo, s13
	v_dual_mov_b32 v79, 0 :: v_dual_mov_b32 v84, 0
	s_or_b32 s2, s27, s2
	s_delay_alu instid0(SALU_CYCLE_1) | instskip(NEXT) | instid1(SALU_CYCLE_1)
	s_xor_b32 s2, s2, -1
	s_and_saveexec_b32 s3, s2
	s_cbranch_execz .LBB236_30
; %bb.29:                               ;   in Loop: Header=BB236_24 Depth=1
	v_add_co_u32 v0, s2, v0, v30
	s_delay_alu instid0(VALU_DEP_1)
	v_add_co_ci_u32_e64 v1, s2, v1, v31, s2
	flat_load_u16 v0, v[0:1]
	s_waitcnt vmcnt(0) lgkmcnt(0)
	v_mul_f16_e32 v84, s19, v0
.LBB236_30:                             ;   in Loop: Header=BB236_24 Depth=1
	s_or_b32 exec_lo, exec_lo, s3
	ds_load_2addr_b64 v[0:3], v75 offset0:48 offset1:56
	ds_load_2addr_b64 v[12:15], v78 offset0:64 offset1:96
	ds_load_2addr_b64 v[20:23], v78 offset1:32
	ds_load_2addr_b64 v[16:19], v75 offset1:8
	ds_load_2addr_b64 v[8:11], v75 offset0:16 offset1:24
	ds_load_2addr_b64 v[4:7], v75 offset0:32 offset1:40
	v_add_nc_u32_e32 v81, 12, v81
	ds_store_b16 v59, v83
	ds_store_b16 v38, v82
	ds_store_b16 v38, v84 offset:512
	s_waitcnt lgkmcnt(0)
	s_barrier
	buffer_gl0_inv
	v_cmp_gt_i32_e64 s2, s18, v81
	s_delay_alu instid0(VALU_DEP_1) | instskip(NEXT) | instid1(SALU_CYCLE_1)
	s_and_b32 s2, vcc_lo, s2
	s_and_b32 s2, s23, s2
	s_delay_alu instid0(SALU_CYCLE_1)
	s_and_saveexec_b32 s3, s2
	s_cbranch_execz .LBB236_32
; %bb.31:                               ;   in Loop: Header=BB236_24 Depth=1
	v_add_co_u32 v81, s2, v76, v24
	s_delay_alu instid0(VALU_DEP_1)
	v_add_co_ci_u32_e64 v82, s2, v77, v25, s2
	flat_load_u16 v79, v[81:82]
	s_waitcnt vmcnt(0) lgkmcnt(0)
	v_mul_f16_e32 v79, s19, v79
.LBB236_32:                             ;   in Loop: Header=BB236_24 Depth=1
	s_or_b32 exec_lo, exec_lo, s3
	v_add_nc_u32_e32 v84, 12, v80
	s_delay_alu instid0(VALU_DEP_1) | instskip(NEXT) | instid1(VALU_DEP_1)
	v_min_i32_e32 v80, s25, v84
	v_ashrrev_i32_e32 v81, 31, v80
	s_delay_alu instid0(VALU_DEP_1) | instskip(SKIP_3) | instid1(VALU_DEP_4)
	v_lshlrev_b64 v[82:83], 1, v[80:81]
	v_mov_b32_e32 v81, 0
	v_cmp_le_i32_e64 s2, s18, v84
	v_mov_b32_e32 v80, 0
	v_add_co_u32 v82, s3, s8, v82
	s_delay_alu instid0(VALU_DEP_1) | instskip(NEXT) | instid1(VALU_DEP_4)
	v_add_co_ci_u32_e64 v83, s3, s9, v83, s3
	s_or_b32 s3, s26, s2
	s_delay_alu instid0(SALU_CYCLE_1) | instskip(NEXT) | instid1(SALU_CYCLE_1)
	s_xor_b32 s3, s3, -1
	s_and_saveexec_b32 s13, s3
	s_cbranch_execz .LBB236_34
; %bb.33:                               ;   in Loop: Header=BB236_24 Depth=1
	v_add_co_u32 v84, s3, v82, v28
	s_delay_alu instid0(VALU_DEP_1)
	v_add_co_ci_u32_e64 v85, s3, v83, v29, s3
	flat_load_u16 v81, v[84:85]
	s_waitcnt vmcnt(0) lgkmcnt(0)
	v_mul_f16_e32 v81, s19, v81
.LBB236_34:                             ;   in Loop: Header=BB236_24 Depth=1
	s_or_b32 exec_lo, exec_lo, s13
	v_pk_max_f16 v104, v2, v2
	v_pk_max_f16 v100, v20, v20
	;; [unrolled: 1-line block ×12, first 2 shown]
	v_pk_min_f16 v2, v104, v100
	v_pk_min_f16 v12, v104, v101
	v_pk_min_f16 v16, v104, v102
	v_pk_min_f16 v14, v22, v100
	v_pk_min_f16 v18, v22, v101
	v_pk_min_f16 v20, v22, v102
	v_pk_min_f16 v8, v86, v100
	v_pk_min_f16 v84, v86, v101
	v_pk_min_f16 v85, v86, v102
	v_pk_min_f16 v87, v89, v100
	v_pk_min_f16 v10, v89, v101
	v_pk_min_f16 v88, v89, v102
	v_pk_min_f16 v4, v92, v100
	v_pk_min_f16 v90, v92, v101
	v_pk_min_f16 v91, v92, v102
	v_pk_min_f16 v93, v95, v100
	v_pk_min_f16 v6, v95, v101
	v_pk_min_f16 v94, v95, v102
	v_pk_min_f16 v96, v99, v100
	v_pk_min_f16 v97, v99, v101
	v_pk_min_f16 v98, v99, v102
	v_pk_min_f16 v100, v0, v100
	v_pk_min_f16 v101, v0, v101
	v_pk_min_f16 v102, v0, v102
	v_pk_min_f16 v103, v0, v105
	v_pk_max_f16 v124, v3, v3
	v_pk_max_f16 v21, v21, v21
	;; [unrolled: 1-line block ×9, first 2 shown]
	v_pk_min_f16 v113, v0, v21
	v_pk_min_f16 v114, v0, v125
	;; [unrolled: 1-line block ×4, first 2 shown]
	v_pk_max_f16 v0, v9, v9
	v_pk_min_f16 v117, v3, v21
	v_pk_min_f16 v118, v3, v125
	;; [unrolled: 1-line block ×4, first 2 shown]
	v_pk_max_f16 v3, v11, v11
	v_pk_max_f16 v1, v1, v1
	v_pk_min_f16 v22, v22, v105
	v_pk_min_f16 v86, v86, v105
	;; [unrolled: 1-line block ×31, first 2 shown]
	s_or_b32 s2, s27, s2
	s_delay_alu instid0(SALU_CYCLE_1) | instskip(NEXT) | instid1(SALU_CYCLE_1)
	s_xor_b32 s2, s2, -1
	s_and_saveexec_b32 s3, s2
	s_cbranch_execz .LBB236_23
; %bb.35:                               ;   in Loop: Header=BB236_24 Depth=1
	v_add_co_u32 v82, s2, v82, v30
	s_delay_alu instid0(VALU_DEP_1)
	v_add_co_ci_u32_e64 v83, s2, v83, v31, s2
	flat_load_u16 v80, v[82:83]
	s_waitcnt vmcnt(0) lgkmcnt(0)
	v_mul_f16_e32 v80, s19, v80
	s_branch .LBB236_23
.LBB236_36:
	s_clause 0x2
	s_load_b32 s12, s[0:1], 0x50
	s_load_b32 s9, s[0:1], 0x68
	s_load_b64 s[2:3], s[0:1], 0x70
	v_add_nc_u32_e32 v66, s24, v33
	v_add_nc_u32_e32 v8, 0x800, v37
	ds_load_2addr_b64 v[0:3], v36 offset0:192 offset1:224
	ds_load_2addr_b64 v[20:23], v36 offset0:128 offset1:160
	v_add_nc_u32_e32 v24, s14, v32
	ds_load_2addr_b64 v[4:7], v8 offset0:112 offset1:120
	ds_load_2addr_b64 v[16:19], v8 offset0:64 offset1:72
	;; [unrolled: 1-line block ×4, first 2 shown]
	v_cmp_gt_i32_e64 s8, s17, v66
	v_cmp_gt_i32_e64 s0, s16, v24
	v_cndmask_b32_e64 v59, 0, 1, s22
	s_waitcnt lgkmcnt(0)
	v_mad_i64_i32 v[25:26], null, v66, s12, 0
	v_mad_i64_i32 v[27:28], null, v66, s9, 0
	s_lshl_b64 s[2:3], s[2:3], 1
	s_delay_alu instid0(SALU_CYCLE_1) | instskip(SKIP_1) | instid1(VALU_DEP_2)
	s_add_u32 s13, s4, s2
	s_addc_u32 s14, s5, s3
	v_lshlrev_b64 v[29:30], 1, v[25:26]
	v_ashrrev_i32_e32 v25, 31, v24
	s_delay_alu instid0(VALU_DEP_3) | instskip(SKIP_1) | instid1(VALU_DEP_3)
	v_lshlrev_b64 v[26:27], 1, v[27:28]
	s_and_b32 s2, s0, s8
	v_add_co_u32 v75, vcc_lo, s10, v29
	s_delay_alu instid0(VALU_DEP_4) | instskip(NEXT) | instid1(VALU_DEP_3)
	v_add_co_ci_u32_e32 v76, vcc_lo, s11, v30, vcc_lo
	v_add_co_u32 v73, vcc_lo, s13, v26
	s_delay_alu instid0(VALU_DEP_4)
	v_add_co_ci_u32_e32 v74, vcc_lo, s14, v27, vcc_lo
	s_and_saveexec_b32 s1, s2
	s_cbranch_execz .LBB236_41
; %bb.37:
	v_lshlrev_b64 v[26:27], 1, v[24:25]
	s_and_not1_b32 vcc_lo, exec_lo, s22
	s_cbranch_vccnz .LBB236_39
; %bb.38:
	s_delay_alu instid0(VALU_DEP_1) | instskip(NEXT) | instid1(VALU_DEP_2)
	v_add_co_u32 v28, vcc_lo, v75, v26
	v_add_co_ci_u32_e32 v29, vcc_lo, v76, v27, vcc_lo
	flat_load_u16 v28, v[28:29]
	s_waitcnt vmcnt(0) lgkmcnt(0)
	v_mul_f16_e32 v28, s15, v28
	s_branch .LBB236_40
.LBB236_39:
	v_mov_b32_e32 v28, 0
.LBB236_40:
	v_pk_max_f16 v29, v20, v20
	v_pk_max_f16 v30, v16, v16
	;; [unrolled: 1-line block ×4, first 2 shown]
	v_add_co_u32 v26, vcc_lo, v73, v26
	s_delay_alu instid0(VALU_DEP_4) | instskip(SKIP_1) | instid1(VALU_DEP_4)
	v_pk_min_f16 v29, v30, v29
	v_add_co_ci_u32_e32 v27, vcc_lo, v74, v27, vcc_lo
	v_pk_min_f16 v30, v32, v31
	s_delay_alu instid0(VALU_DEP_3) | instskip(NEXT) | instid1(VALU_DEP_1)
	v_pk_add_f16 v29, v72, v29
	v_pk_add_f16 v29, v29, v30
	s_delay_alu instid0(VALU_DEP_1) | instskip(NEXT) | instid1(VALU_DEP_1)
	v_lshrrev_b32_e32 v30, 16, v29
	v_add_f16_e32 v29, v29, v30
	s_delay_alu instid0(VALU_DEP_1)
	v_add_f16_e32 v28, v29, v28
	global_store_b16 v[26:27], v28, off
.LBB236_41:
	s_or_b32 exec_lo, exec_lo, s1
	v_add_nc_u32_e32 v26, 8, v24
	s_delay_alu instid0(VALU_DEP_1) | instskip(SKIP_1) | instid1(VALU_DEP_2)
	v_cmp_gt_i32_e64 s1, s16, v26
	v_ashrrev_i32_e32 v27, 31, v26
	s_and_b32 s3, s1, s8
	s_delay_alu instid0(SALU_CYCLE_1)
	s_and_saveexec_b32 s2, s3
	s_cbranch_execz .LBB236_46
; %bb.42:
	v_cmp_ne_u32_e32 vcc_lo, 1, v59
	v_lshlrev_b64 v[28:29], 1, v[26:27]
	s_cbranch_vccnz .LBB236_44
; %bb.43:
	s_delay_alu instid0(VALU_DEP_1) | instskip(NEXT) | instid1(VALU_DEP_2)
	v_add_co_u32 v30, vcc_lo, v75, v28
	v_add_co_ci_u32_e32 v31, vcc_lo, v76, v29, vcc_lo
	flat_load_u16 v30, v[30:31]
	s_waitcnt vmcnt(0) lgkmcnt(0)
	v_mul_f16_e32 v30, s15, v30
	s_branch .LBB236_45
.LBB236_44:
	v_mov_b32_e32 v30, 0
.LBB236_45:
	v_pk_max_f16 v31, v20, v20
	v_pk_max_f16 v32, v18, v18
	v_pk_max_f16 v33, v21, v21
	v_pk_max_f16 v34, v19, v19
	v_add_co_u32 v28, vcc_lo, v73, v28
	s_delay_alu instid0(VALU_DEP_4) | instskip(SKIP_1) | instid1(VALU_DEP_4)
	v_pk_min_f16 v31, v32, v31
	v_add_co_ci_u32_e32 v29, vcc_lo, v74, v29, vcc_lo
	v_pk_min_f16 v32, v34, v33
	s_delay_alu instid0(VALU_DEP_3) | instskip(NEXT) | instid1(VALU_DEP_1)
	v_pk_add_f16 v31, v71, v31
	v_pk_add_f16 v31, v31, v32
	s_delay_alu instid0(VALU_DEP_1) | instskip(NEXT) | instid1(VALU_DEP_1)
	v_lshrrev_b32_e32 v32, 16, v31
	v_add_f16_e32 v31, v31, v32
	s_delay_alu instid0(VALU_DEP_1)
	v_add_f16_e32 v30, v31, v30
	global_store_b16 v[28:29], v30, off
.LBB236_46:
	s_or_b32 exec_lo, exec_lo, s2
	v_add_nc_u32_e32 v28, 16, v24
	s_delay_alu instid0(VALU_DEP_1) | instskip(SKIP_1) | instid1(VALU_DEP_2)
	v_cmp_gt_i32_e64 s2, s16, v28
	v_ashrrev_i32_e32 v29, 31, v28
	s_and_b32 s4, s2, s8
	s_delay_alu instid0(SALU_CYCLE_1)
	s_and_saveexec_b32 s3, s4
	s_cbranch_execz .LBB236_51
; %bb.47:
	v_cmp_ne_u32_e32 vcc_lo, 1, v59
	v_lshlrev_b64 v[30:31], 1, v[28:29]
	s_cbranch_vccnz .LBB236_49
; %bb.48:
	s_delay_alu instid0(VALU_DEP_1) | instskip(NEXT) | instid1(VALU_DEP_2)
	v_add_co_u32 v32, vcc_lo, v75, v30
	v_add_co_ci_u32_e32 v33, vcc_lo, v76, v31, vcc_lo
	flat_load_u16 v32, v[32:33]
	s_waitcnt vmcnt(0) lgkmcnt(0)
	v_mul_f16_e32 v32, s15, v32
	s_branch .LBB236_50
.LBB236_49:
	v_mov_b32_e32 v32, 0
.LBB236_50:
	v_pk_max_f16 v33, v20, v20
	v_pk_max_f16 v34, v12, v12
	v_pk_max_f16 v35, v21, v21
	v_pk_max_f16 v36, v13, v13
	v_add_co_u32 v30, vcc_lo, v73, v30
	s_delay_alu instid0(VALU_DEP_4) | instskip(SKIP_1) | instid1(VALU_DEP_4)
	v_pk_min_f16 v33, v34, v33
	v_add_co_ci_u32_e32 v31, vcc_lo, v74, v31, vcc_lo
	v_pk_min_f16 v34, v36, v35
	s_delay_alu instid0(VALU_DEP_3) | instskip(NEXT) | instid1(VALU_DEP_1)
	v_pk_add_f16 v33, v70, v33
	v_pk_add_f16 v33, v33, v34
	s_delay_alu instid0(VALU_DEP_1) | instskip(NEXT) | instid1(VALU_DEP_1)
	v_lshrrev_b32_e32 v34, 16, v33
	v_add_f16_e32 v33, v33, v34
	s_delay_alu instid0(VALU_DEP_1)
	v_add_f16_e32 v32, v33, v32
	global_store_b16 v[30:31], v32, off
.LBB236_51:
	;; [unrolled: 43-line block ×6, first 2 shown]
	s_or_b32 exec_lo, exec_lo, s7
	v_add_nc_u32_e32 v38, 56, v24
	s_delay_alu instid0(VALU_DEP_1) | instskip(SKIP_1) | instid1(VALU_DEP_2)
	v_cmp_gt_i32_e64 s7, s16, v38
	v_ashrrev_i32_e32 v39, 31, v38
	s_and_b32 s16, s7, s8
	s_delay_alu instid0(SALU_CYCLE_1)
	s_and_saveexec_b32 s8, s16
	s_cbranch_execz .LBB236_76
; %bb.72:
	v_cmp_ne_u32_e32 vcc_lo, 1, v59
	v_lshlrev_b64 v[40:41], 1, v[38:39]
	s_cbranch_vccnz .LBB236_74
; %bb.73:
	s_delay_alu instid0(VALU_DEP_1) | instskip(NEXT) | instid1(VALU_DEP_2)
	v_add_co_u32 v69, vcc_lo, v75, v40
	v_add_co_ci_u32_e32 v70, vcc_lo, v76, v41, vcc_lo
	flat_load_u16 v69, v[69:70]
	s_waitcnt vmcnt(0) lgkmcnt(0)
	v_mul_f16_e32 v69, s15, v69
	s_branch .LBB236_75
.LBB236_74:
	v_mov_b32_e32 v69, 0
.LBB236_75:
	v_pk_max_f16 v20, v20, v20
	v_pk_max_f16 v70, v6, v6
	;; [unrolled: 1-line block ×4, first 2 shown]
	s_delay_alu instid0(VALU_DEP_3) | instskip(NEXT) | instid1(VALU_DEP_2)
	v_pk_min_f16 v20, v70, v20
	v_pk_min_f16 v21, v71, v21
	s_delay_alu instid0(VALU_DEP_2) | instskip(NEXT) | instid1(VALU_DEP_1)
	v_pk_add_f16 v20, v68, v20
	v_pk_add_f16 v20, v20, v21
	s_delay_alu instid0(VALU_DEP_1) | instskip(NEXT) | instid1(VALU_DEP_1)
	v_lshrrev_b32_e32 v21, 16, v20
	v_add_f16_e32 v20, v20, v21
	s_delay_alu instid0(VALU_DEP_1)
	v_add_f16_e32 v68, v20, v69
	v_add_co_u32 v20, vcc_lo, v73, v40
	v_add_co_ci_u32_e32 v21, vcc_lo, v74, v41, vcc_lo
	global_store_b16 v[20:21], v68, off
.LBB236_76:
	s_or_b32 exec_lo, exec_lo, s8
	v_add_nc_u32_e32 v68, 32, v66
	s_delay_alu instid0(VALU_DEP_1) | instskip(SKIP_2) | instid1(VALU_DEP_3)
	v_mad_i64_i32 v[20:21], null, v68, s12, 0
	v_mad_i64_i32 v[40:41], null, v68, s9, 0
	v_cmp_gt_i32_e64 s8, s17, v68
	v_lshlrev_b64 v[20:21], 1, v[20:21]
	s_delay_alu instid0(VALU_DEP_2) | instskip(NEXT) | instid1(VALU_DEP_3)
	s_and_b32 s18, s0, s8
	v_lshlrev_b64 v[40:41], 1, v[40:41]
	s_delay_alu instid0(VALU_DEP_2) | instskip(NEXT) | instid1(VALU_DEP_3)
	v_add_co_u32 v68, vcc_lo, s10, v20
	v_add_co_ci_u32_e32 v69, vcc_lo, s11, v21, vcc_lo
	s_delay_alu instid0(VALU_DEP_3) | instskip(NEXT) | instid1(VALU_DEP_4)
	v_add_co_u32 v40, vcc_lo, s13, v40
	v_add_co_ci_u32_e32 v41, vcc_lo, s14, v41, vcc_lo
	s_and_saveexec_b32 s16, s18
	s_cbranch_execnz .LBB236_84
; %bb.77:
	s_or_b32 exec_lo, exec_lo, s16
	s_and_b32 s18, s1, s8
	s_delay_alu instid0(SALU_CYCLE_1)
	s_and_saveexec_b32 s16, s18
	s_cbranch_execnz .LBB236_88
.LBB236_78:
	s_or_b32 exec_lo, exec_lo, s16
	s_and_b32 s18, s2, s8
	s_delay_alu instid0(SALU_CYCLE_1)
	s_and_saveexec_b32 s16, s18
	s_cbranch_execnz .LBB236_92
.LBB236_79:
	s_or_b32 exec_lo, exec_lo, s16
	s_and_b32 s18, s3, s8
	s_delay_alu instid0(SALU_CYCLE_1)
	s_and_saveexec_b32 s16, s18
	s_cbranch_execnz .LBB236_96
.LBB236_80:
	s_or_b32 exec_lo, exec_lo, s16
	s_and_b32 s18, s4, s8
	s_delay_alu instid0(SALU_CYCLE_1)
	s_and_saveexec_b32 s16, s18
	s_cbranch_execnz .LBB236_100
.LBB236_81:
	s_or_b32 exec_lo, exec_lo, s16
	s_and_b32 s18, s5, s8
	s_delay_alu instid0(SALU_CYCLE_1)
	s_and_saveexec_b32 s16, s18
	s_cbranch_execnz .LBB236_104
.LBB236_82:
	s_or_b32 exec_lo, exec_lo, s16
	s_and_b32 s18, s6, s8
	s_delay_alu instid0(SALU_CYCLE_1)
	s_and_saveexec_b32 s16, s18
	s_cbranch_execnz .LBB236_108
.LBB236_83:
	s_or_b32 exec_lo, exec_lo, s16
	s_and_b32 s16, s7, s8
	s_delay_alu instid0(SALU_CYCLE_1)
	s_and_saveexec_b32 s8, s16
	s_cbranch_execnz .LBB236_112
	s_branch .LBB236_116
.LBB236_84:
	v_cmp_ne_u32_e32 vcc_lo, 1, v59
	v_lshlrev_b64 v[20:21], 1, v[24:25]
	s_cbranch_vccnz .LBB236_86
; %bb.85:
	s_delay_alu instid0(VALU_DEP_1) | instskip(NEXT) | instid1(VALU_DEP_2)
	v_add_co_u32 v70, vcc_lo, v68, v20
	v_add_co_ci_u32_e32 v71, vcc_lo, v69, v21, vcc_lo
	flat_load_u16 v70, v[70:71]
	s_waitcnt vmcnt(0) lgkmcnt(0)
	v_mul_f16_e32 v70, s15, v70
	s_branch .LBB236_87
.LBB236_86:
	v_mov_b32_e32 v70, 0
.LBB236_87:
	v_pk_max_f16 v71, v22, v22
	v_pk_max_f16 v72, v16, v16
	;; [unrolled: 1-line block ×4, first 2 shown]
	v_add_co_u32 v20, vcc_lo, v40, v20
	s_delay_alu instid0(VALU_DEP_4) | instskip(SKIP_1) | instid1(VALU_DEP_4)
	v_pk_min_f16 v71, v72, v71
	v_add_co_ci_u32_e32 v21, vcc_lo, v41, v21, vcc_lo
	v_pk_min_f16 v72, v74, v73
	s_delay_alu instid0(VALU_DEP_3) | instskip(NEXT) | instid1(VALU_DEP_1)
	v_pk_add_f16 v67, v67, v71
	v_pk_add_f16 v67, v67, v72
	s_delay_alu instid0(VALU_DEP_1) | instskip(NEXT) | instid1(VALU_DEP_1)
	v_lshrrev_b32_e32 v71, 16, v67
	v_add_f16_e32 v67, v67, v71
	s_delay_alu instid0(VALU_DEP_1) | instskip(SKIP_3) | instid1(SALU_CYCLE_1)
	v_add_f16_e32 v67, v67, v70
	global_store_b16 v[20:21], v67, off
	s_or_b32 exec_lo, exec_lo, s16
	s_and_b32 s18, s1, s8
	s_and_saveexec_b32 s16, s18
	s_cbranch_execz .LBB236_78
.LBB236_88:
	v_cmp_ne_u32_e32 vcc_lo, 1, v59
	v_lshlrev_b64 v[20:21], 1, v[26:27]
	s_cbranch_vccnz .LBB236_90
; %bb.89:
	s_delay_alu instid0(VALU_DEP_1) | instskip(NEXT) | instid1(VALU_DEP_2)
	v_add_co_u32 v70, vcc_lo, v68, v20
	v_add_co_ci_u32_e32 v71, vcc_lo, v69, v21, vcc_lo
	flat_load_u16 v67, v[70:71]
	s_waitcnt vmcnt(0) lgkmcnt(0)
	v_mul_f16_e32 v67, s15, v67
	s_branch .LBB236_91
.LBB236_90:
	v_mov_b32_e32 v67, 0
.LBB236_91:
	v_pk_max_f16 v70, v22, v22
	v_pk_max_f16 v71, v18, v18
	;; [unrolled: 1-line block ×4, first 2 shown]
	v_add_co_u32 v20, vcc_lo, v40, v20
	s_delay_alu instid0(VALU_DEP_4) | instskip(SKIP_1) | instid1(VALU_DEP_4)
	v_pk_min_f16 v70, v71, v70
	v_add_co_ci_u32_e32 v21, vcc_lo, v41, v21, vcc_lo
	v_pk_min_f16 v71, v73, v72
	s_delay_alu instid0(VALU_DEP_3) | instskip(NEXT) | instid1(VALU_DEP_1)
	v_pk_add_f16 v65, v65, v70
	v_pk_add_f16 v65, v65, v71
	s_delay_alu instid0(VALU_DEP_1) | instskip(NEXT) | instid1(VALU_DEP_1)
	v_lshrrev_b32_e32 v70, 16, v65
	v_add_f16_e32 v65, v65, v70
	s_delay_alu instid0(VALU_DEP_1) | instskip(SKIP_3) | instid1(SALU_CYCLE_1)
	v_add_f16_e32 v65, v65, v67
	global_store_b16 v[20:21], v65, off
	s_or_b32 exec_lo, exec_lo, s16
	s_and_b32 s18, s2, s8
	s_and_saveexec_b32 s16, s18
	s_cbranch_execz .LBB236_79
.LBB236_92:
	v_cmp_ne_u32_e32 vcc_lo, 1, v59
	v_lshlrev_b64 v[20:21], 1, v[28:29]
	s_cbranch_vccnz .LBB236_94
; %bb.93:
	s_delay_alu instid0(VALU_DEP_1) | instskip(NEXT) | instid1(VALU_DEP_2)
	v_add_co_u32 v70, vcc_lo, v68, v20
	v_add_co_ci_u32_e32 v71, vcc_lo, v69, v21, vcc_lo
	flat_load_u16 v65, v[70:71]
	s_waitcnt vmcnt(0) lgkmcnt(0)
	v_mul_f16_e32 v65, s15, v65
	s_branch .LBB236_95
.LBB236_94:
	v_mov_b32_e32 v65, 0
.LBB236_95:
	v_pk_max_f16 v67, v22, v22
	v_pk_max_f16 v70, v12, v12
	;; [unrolled: 1-line block ×4, first 2 shown]
	v_add_co_u32 v20, vcc_lo, v40, v20
	s_delay_alu instid0(VALU_DEP_4) | instskip(SKIP_1) | instid1(VALU_DEP_4)
	v_pk_min_f16 v67, v70, v67
	v_add_co_ci_u32_e32 v21, vcc_lo, v41, v21, vcc_lo
	v_pk_min_f16 v70, v72, v71
	s_delay_alu instid0(VALU_DEP_3) | instskip(NEXT) | instid1(VALU_DEP_1)
	v_pk_add_f16 v64, v64, v67
	v_pk_add_f16 v64, v64, v70
	s_delay_alu instid0(VALU_DEP_1) | instskip(NEXT) | instid1(VALU_DEP_1)
	v_lshrrev_b32_e32 v67, 16, v64
	v_add_f16_e32 v64, v64, v67
	s_delay_alu instid0(VALU_DEP_1) | instskip(SKIP_3) | instid1(SALU_CYCLE_1)
	v_add_f16_e32 v64, v64, v65
	global_store_b16 v[20:21], v64, off
	s_or_b32 exec_lo, exec_lo, s16
	s_and_b32 s18, s3, s8
	s_and_saveexec_b32 s16, s18
	s_cbranch_execz .LBB236_80
.LBB236_96:
	v_cmp_ne_u32_e32 vcc_lo, 1, v59
	v_lshlrev_b64 v[20:21], 1, v[30:31]
	s_cbranch_vccnz .LBB236_98
; %bb.97:
	s_delay_alu instid0(VALU_DEP_1) | instskip(NEXT) | instid1(VALU_DEP_2)
	v_add_co_u32 v64, vcc_lo, v68, v20
	v_add_co_ci_u32_e32 v65, vcc_lo, v69, v21, vcc_lo
	flat_load_u16 v64, v[64:65]
	s_waitcnt vmcnt(0) lgkmcnt(0)
	v_mul_f16_e32 v64, s15, v64
	s_branch .LBB236_99
.LBB236_98:
	v_mov_b32_e32 v64, 0
.LBB236_99:
	v_pk_max_f16 v65, v22, v22
	v_pk_max_f16 v67, v14, v14
	;; [unrolled: 1-line block ×4, first 2 shown]
	v_add_co_u32 v20, vcc_lo, v40, v20
	s_delay_alu instid0(VALU_DEP_4) | instskip(SKIP_1) | instid1(VALU_DEP_4)
	v_pk_min_f16 v65, v67, v65
	v_add_co_ci_u32_e32 v21, vcc_lo, v41, v21, vcc_lo
	v_pk_min_f16 v67, v71, v70
	s_delay_alu instid0(VALU_DEP_3) | instskip(NEXT) | instid1(VALU_DEP_1)
	v_pk_add_f16 v63, v63, v65
	v_pk_add_f16 v63, v63, v67
	s_delay_alu instid0(VALU_DEP_1) | instskip(NEXT) | instid1(VALU_DEP_1)
	v_lshrrev_b32_e32 v65, 16, v63
	v_add_f16_e32 v63, v63, v65
	s_delay_alu instid0(VALU_DEP_1) | instskip(SKIP_3) | instid1(SALU_CYCLE_1)
	v_add_f16_e32 v63, v63, v64
	global_store_b16 v[20:21], v63, off
	s_or_b32 exec_lo, exec_lo, s16
	s_and_b32 s18, s4, s8
	s_and_saveexec_b32 s16, s18
	s_cbranch_execz .LBB236_81
.LBB236_100:
	v_cmp_ne_u32_e32 vcc_lo, 1, v59
	v_lshlrev_b64 v[20:21], 1, v[32:33]
	s_cbranch_vccnz .LBB236_102
; %bb.101:
	s_delay_alu instid0(VALU_DEP_1) | instskip(NEXT) | instid1(VALU_DEP_2)
	v_add_co_u32 v63, vcc_lo, v68, v20
	v_add_co_ci_u32_e32 v64, vcc_lo, v69, v21, vcc_lo
	flat_load_u16 v63, v[63:64]
	s_waitcnt vmcnt(0) lgkmcnt(0)
	v_mul_f16_e32 v63, s15, v63
	s_branch .LBB236_103
.LBB236_102:
	v_mov_b32_e32 v63, 0
.LBB236_103:
	v_pk_max_f16 v64, v22, v22
	v_pk_max_f16 v65, v8, v8
	v_pk_max_f16 v67, v23, v23
	v_pk_max_f16 v70, v9, v9
	v_add_co_u32 v20, vcc_lo, v40, v20
	s_delay_alu instid0(VALU_DEP_4) | instskip(SKIP_1) | instid1(VALU_DEP_4)
	v_pk_min_f16 v64, v65, v64
	v_add_co_ci_u32_e32 v21, vcc_lo, v41, v21, vcc_lo
	v_pk_min_f16 v65, v70, v67
	s_delay_alu instid0(VALU_DEP_3) | instskip(NEXT) | instid1(VALU_DEP_1)
	v_pk_add_f16 v62, v62, v64
	v_pk_add_f16 v62, v62, v65
	s_delay_alu instid0(VALU_DEP_1) | instskip(NEXT) | instid1(VALU_DEP_1)
	v_lshrrev_b32_e32 v64, 16, v62
	v_add_f16_e32 v62, v62, v64
	s_delay_alu instid0(VALU_DEP_1) | instskip(SKIP_3) | instid1(SALU_CYCLE_1)
	v_add_f16_e32 v62, v62, v63
	global_store_b16 v[20:21], v62, off
	s_or_b32 exec_lo, exec_lo, s16
	s_and_b32 s18, s5, s8
	s_and_saveexec_b32 s16, s18
	s_cbranch_execz .LBB236_82
.LBB236_104:
	v_cmp_ne_u32_e32 vcc_lo, 1, v59
	v_lshlrev_b64 v[20:21], 1, v[34:35]
	s_cbranch_vccnz .LBB236_106
; %bb.105:
	s_delay_alu instid0(VALU_DEP_1) | instskip(NEXT) | instid1(VALU_DEP_2)
	v_add_co_u32 v62, vcc_lo, v68, v20
	v_add_co_ci_u32_e32 v63, vcc_lo, v69, v21, vcc_lo
	flat_load_u16 v62, v[62:63]
	s_waitcnt vmcnt(0) lgkmcnt(0)
	v_mul_f16_e32 v62, s15, v62
	s_branch .LBB236_107
.LBB236_106:
	v_mov_b32_e32 v62, 0
.LBB236_107:
	v_pk_max_f16 v63, v22, v22
	v_pk_max_f16 v64, v10, v10
	;; [unrolled: 1-line block ×4, first 2 shown]
	v_add_co_u32 v20, vcc_lo, v40, v20
	s_delay_alu instid0(VALU_DEP_4) | instskip(SKIP_1) | instid1(VALU_DEP_4)
	v_pk_min_f16 v63, v64, v63
	v_add_co_ci_u32_e32 v21, vcc_lo, v41, v21, vcc_lo
	v_pk_min_f16 v64, v67, v65
	s_delay_alu instid0(VALU_DEP_3) | instskip(NEXT) | instid1(VALU_DEP_1)
	v_pk_add_f16 v61, v61, v63
	v_pk_add_f16 v61, v61, v64
	s_delay_alu instid0(VALU_DEP_1) | instskip(NEXT) | instid1(VALU_DEP_1)
	v_lshrrev_b32_e32 v63, 16, v61
	v_add_f16_e32 v61, v61, v63
	s_delay_alu instid0(VALU_DEP_1) | instskip(SKIP_3) | instid1(SALU_CYCLE_1)
	v_add_f16_e32 v61, v61, v62
	global_store_b16 v[20:21], v61, off
	s_or_b32 exec_lo, exec_lo, s16
	s_and_b32 s18, s6, s8
	s_and_saveexec_b32 s16, s18
	s_cbranch_execz .LBB236_83
.LBB236_108:
	v_cmp_ne_u32_e32 vcc_lo, 1, v59
	v_lshlrev_b64 v[20:21], 1, v[36:37]
	s_cbranch_vccnz .LBB236_110
; %bb.109:
	s_delay_alu instid0(VALU_DEP_1) | instskip(NEXT) | instid1(VALU_DEP_2)
	v_add_co_u32 v61, vcc_lo, v68, v20
	v_add_co_ci_u32_e32 v62, vcc_lo, v69, v21, vcc_lo
	flat_load_u16 v61, v[61:62]
	s_waitcnt vmcnt(0) lgkmcnt(0)
	v_mul_f16_e32 v61, s15, v61
	s_branch .LBB236_111
.LBB236_110:
	v_mov_b32_e32 v61, 0
.LBB236_111:
	v_pk_max_f16 v62, v22, v22
	v_pk_max_f16 v63, v4, v4
	;; [unrolled: 1-line block ×4, first 2 shown]
	v_add_co_u32 v20, vcc_lo, v40, v20
	s_delay_alu instid0(VALU_DEP_4) | instskip(SKIP_1) | instid1(VALU_DEP_4)
	v_pk_min_f16 v62, v63, v62
	v_add_co_ci_u32_e32 v21, vcc_lo, v41, v21, vcc_lo
	v_pk_min_f16 v63, v65, v64
	s_delay_alu instid0(VALU_DEP_3) | instskip(NEXT) | instid1(VALU_DEP_1)
	v_pk_add_f16 v60, v60, v62
	v_pk_add_f16 v60, v60, v63
	s_delay_alu instid0(VALU_DEP_1) | instskip(NEXT) | instid1(VALU_DEP_1)
	v_lshrrev_b32_e32 v62, 16, v60
	v_add_f16_e32 v60, v60, v62
	s_delay_alu instid0(VALU_DEP_1) | instskip(SKIP_3) | instid1(SALU_CYCLE_1)
	v_add_f16_e32 v60, v60, v61
	global_store_b16 v[20:21], v60, off
	s_or_b32 exec_lo, exec_lo, s16
	s_and_b32 s16, s7, s8
	s_and_saveexec_b32 s8, s16
	s_cbranch_execz .LBB236_116
.LBB236_112:
	v_cmp_ne_u32_e32 vcc_lo, 1, v59
	v_lshlrev_b64 v[20:21], 1, v[38:39]
	s_cbranch_vccnz .LBB236_114
; %bb.113:
	s_delay_alu instid0(VALU_DEP_1) | instskip(NEXT) | instid1(VALU_DEP_2)
	v_add_co_u32 v60, vcc_lo, v68, v20
	v_add_co_ci_u32_e32 v61, vcc_lo, v69, v21, vcc_lo
	flat_load_u16 v60, v[60:61]
	s_waitcnt vmcnt(0) lgkmcnt(0)
	v_mul_f16_e32 v60, s15, v60
	s_branch .LBB236_115
.LBB236_114:
	v_mov_b32_e32 v60, 0
.LBB236_115:
	v_pk_max_f16 v22, v22, v22
	v_pk_max_f16 v61, v6, v6
	;; [unrolled: 1-line block ×4, first 2 shown]
	v_add_co_u32 v20, vcc_lo, v40, v20
	s_delay_alu instid0(VALU_DEP_4) | instskip(SKIP_1) | instid1(VALU_DEP_4)
	v_pk_min_f16 v22, v61, v22
	v_add_co_ci_u32_e32 v21, vcc_lo, v41, v21, vcc_lo
	v_pk_min_f16 v23, v62, v23
	s_delay_alu instid0(VALU_DEP_3) | instskip(NEXT) | instid1(VALU_DEP_1)
	v_pk_add_f16 v22, v58, v22
	v_pk_add_f16 v22, v22, v23
	s_delay_alu instid0(VALU_DEP_1) | instskip(NEXT) | instid1(VALU_DEP_1)
	v_lshrrev_b32_e32 v23, 16, v22
	v_add_f16_e32 v22, v22, v23
	s_delay_alu instid0(VALU_DEP_1)
	v_add_f16_e32 v22, v22, v60
	global_store_b16 v[20:21], v22, off
.LBB236_116:
	s_or_b32 exec_lo, exec_lo, s8
	v_add_nc_u32_e32 v40, 64, v66
	s_delay_alu instid0(VALU_DEP_1) | instskip(SKIP_2) | instid1(VALU_DEP_3)
	v_mad_i64_i32 v[20:21], null, v40, s12, 0
	v_mad_i64_i32 v[22:23], null, v40, s9, 0
	v_cmp_gt_i32_e64 s8, s17, v40
	v_lshlrev_b64 v[20:21], 1, v[20:21]
	s_delay_alu instid0(VALU_DEP_2) | instskip(NEXT) | instid1(VALU_DEP_3)
	s_and_b32 s18, s0, s8
	v_lshlrev_b64 v[22:23], 1, v[22:23]
	s_delay_alu instid0(VALU_DEP_2) | instskip(NEXT) | instid1(VALU_DEP_3)
	v_add_co_u32 v40, vcc_lo, s10, v20
	v_add_co_ci_u32_e32 v41, vcc_lo, s11, v21, vcc_lo
	s_delay_alu instid0(VALU_DEP_3) | instskip(NEXT) | instid1(VALU_DEP_4)
	v_add_co_u32 v22, vcc_lo, s13, v22
	v_add_co_ci_u32_e32 v23, vcc_lo, s14, v23, vcc_lo
	s_and_saveexec_b32 s16, s18
	s_cbranch_execnz .LBB236_124
; %bb.117:
	s_or_b32 exec_lo, exec_lo, s16
	s_and_b32 s18, s1, s8
	s_delay_alu instid0(SALU_CYCLE_1)
	s_and_saveexec_b32 s16, s18
	s_cbranch_execnz .LBB236_128
.LBB236_118:
	s_or_b32 exec_lo, exec_lo, s16
	s_and_b32 s18, s2, s8
	s_delay_alu instid0(SALU_CYCLE_1)
	s_and_saveexec_b32 s16, s18
	s_cbranch_execnz .LBB236_132
.LBB236_119:
	s_or_b32 exec_lo, exec_lo, s16
	s_and_b32 s18, s3, s8
	s_delay_alu instid0(SALU_CYCLE_1)
	s_and_saveexec_b32 s16, s18
	s_cbranch_execnz .LBB236_136
.LBB236_120:
	s_or_b32 exec_lo, exec_lo, s16
	s_and_b32 s18, s4, s8
	s_delay_alu instid0(SALU_CYCLE_1)
	s_and_saveexec_b32 s16, s18
	s_cbranch_execnz .LBB236_140
.LBB236_121:
	s_or_b32 exec_lo, exec_lo, s16
	s_and_b32 s18, s5, s8
	s_delay_alu instid0(SALU_CYCLE_1)
	s_and_saveexec_b32 s16, s18
	s_cbranch_execnz .LBB236_144
.LBB236_122:
	s_or_b32 exec_lo, exec_lo, s16
	s_and_b32 s18, s6, s8
	s_delay_alu instid0(SALU_CYCLE_1)
	s_and_saveexec_b32 s16, s18
	s_cbranch_execnz .LBB236_148
.LBB236_123:
	s_or_b32 exec_lo, exec_lo, s16
	s_and_b32 s16, s7, s8
	s_delay_alu instid0(SALU_CYCLE_1)
	s_and_saveexec_b32 s8, s16
	s_cbranch_execnz .LBB236_152
	s_branch .LBB236_156
.LBB236_124:
	v_cmp_ne_u32_e32 vcc_lo, 1, v59
	v_lshlrev_b64 v[20:21], 1, v[24:25]
	s_cbranch_vccnz .LBB236_126
; %bb.125:
	s_delay_alu instid0(VALU_DEP_1) | instskip(NEXT) | instid1(VALU_DEP_2)
	v_add_co_u32 v60, vcc_lo, v40, v20
	v_add_co_ci_u32_e32 v61, vcc_lo, v41, v21, vcc_lo
	flat_load_u16 v58, v[60:61]
	s_waitcnt vmcnt(0) lgkmcnt(0)
	v_mul_f16_e32 v58, s15, v58
	s_branch .LBB236_127
.LBB236_126:
	v_mov_b32_e32 v58, 0
.LBB236_127:
	v_pk_max_f16 v60, v0, v0
	v_pk_max_f16 v61, v16, v16
	;; [unrolled: 1-line block ×4, first 2 shown]
	v_add_co_u32 v20, vcc_lo, v22, v20
	s_delay_alu instid0(VALU_DEP_4) | instskip(SKIP_1) | instid1(VALU_DEP_4)
	v_pk_min_f16 v60, v61, v60
	v_add_co_ci_u32_e32 v21, vcc_lo, v23, v21, vcc_lo
	v_pk_min_f16 v61, v63, v62
	s_delay_alu instid0(VALU_DEP_3) | instskip(NEXT) | instid1(VALU_DEP_1)
	v_pk_add_f16 v57, v57, v60
	v_pk_add_f16 v57, v57, v61
	s_delay_alu instid0(VALU_DEP_1) | instskip(NEXT) | instid1(VALU_DEP_1)
	v_lshrrev_b32_e32 v60, 16, v57
	v_add_f16_e32 v57, v57, v60
	s_delay_alu instid0(VALU_DEP_1) | instskip(SKIP_3) | instid1(SALU_CYCLE_1)
	v_add_f16_e32 v57, v57, v58
	global_store_b16 v[20:21], v57, off
	s_or_b32 exec_lo, exec_lo, s16
	s_and_b32 s18, s1, s8
	s_and_saveexec_b32 s16, s18
	s_cbranch_execz .LBB236_118
.LBB236_128:
	v_cmp_ne_u32_e32 vcc_lo, 1, v59
	v_lshlrev_b64 v[20:21], 1, v[26:27]
	s_cbranch_vccnz .LBB236_130
; %bb.129:
	s_delay_alu instid0(VALU_DEP_1) | instskip(NEXT) | instid1(VALU_DEP_2)
	v_add_co_u32 v57, vcc_lo, v40, v20
	v_add_co_ci_u32_e32 v58, vcc_lo, v41, v21, vcc_lo
	flat_load_u16 v57, v[57:58]
	s_waitcnt vmcnt(0) lgkmcnt(0)
	v_mul_f16_e32 v57, s15, v57
	s_branch .LBB236_131
.LBB236_130:
	v_mov_b32_e32 v57, 0
.LBB236_131:
	v_pk_max_f16 v58, v0, v0
	v_pk_max_f16 v60, v18, v18
	;; [unrolled: 1-line block ×4, first 2 shown]
	v_add_co_u32 v20, vcc_lo, v22, v20
	s_delay_alu instid0(VALU_DEP_4) | instskip(SKIP_1) | instid1(VALU_DEP_4)
	v_pk_min_f16 v58, v60, v58
	v_add_co_ci_u32_e32 v21, vcc_lo, v23, v21, vcc_lo
	v_pk_min_f16 v60, v62, v61
	s_delay_alu instid0(VALU_DEP_3) | instskip(NEXT) | instid1(VALU_DEP_1)
	v_pk_add_f16 v56, v56, v58
	v_pk_add_f16 v56, v56, v60
	s_delay_alu instid0(VALU_DEP_1) | instskip(NEXT) | instid1(VALU_DEP_1)
	v_lshrrev_b32_e32 v58, 16, v56
	v_add_f16_e32 v56, v56, v58
	s_delay_alu instid0(VALU_DEP_1) | instskip(SKIP_3) | instid1(SALU_CYCLE_1)
	v_add_f16_e32 v56, v56, v57
	global_store_b16 v[20:21], v56, off
	s_or_b32 exec_lo, exec_lo, s16
	s_and_b32 s18, s2, s8
	s_and_saveexec_b32 s16, s18
	s_cbranch_execz .LBB236_119
.LBB236_132:
	v_cmp_ne_u32_e32 vcc_lo, 1, v59
	v_lshlrev_b64 v[20:21], 1, v[28:29]
	s_cbranch_vccnz .LBB236_134
; %bb.133:
	s_delay_alu instid0(VALU_DEP_1) | instskip(NEXT) | instid1(VALU_DEP_2)
	v_add_co_u32 v56, vcc_lo, v40, v20
	v_add_co_ci_u32_e32 v57, vcc_lo, v41, v21, vcc_lo
	flat_load_u16 v56, v[56:57]
	s_waitcnt vmcnt(0) lgkmcnt(0)
	v_mul_f16_e32 v56, s15, v56
	s_branch .LBB236_135
.LBB236_134:
	v_mov_b32_e32 v56, 0
.LBB236_135:
	v_pk_max_f16 v57, v0, v0
	v_pk_max_f16 v58, v12, v12
	;; [unrolled: 1-line block ×4, first 2 shown]
	v_add_co_u32 v20, vcc_lo, v22, v20
	s_delay_alu instid0(VALU_DEP_4) | instskip(SKIP_1) | instid1(VALU_DEP_4)
	v_pk_min_f16 v57, v58, v57
	v_add_co_ci_u32_e32 v21, vcc_lo, v23, v21, vcc_lo
	v_pk_min_f16 v58, v61, v60
	s_delay_alu instid0(VALU_DEP_3) | instskip(NEXT) | instid1(VALU_DEP_1)
	v_pk_add_f16 v55, v55, v57
	v_pk_add_f16 v55, v55, v58
	s_delay_alu instid0(VALU_DEP_1) | instskip(NEXT) | instid1(VALU_DEP_1)
	v_lshrrev_b32_e32 v57, 16, v55
	v_add_f16_e32 v55, v55, v57
	s_delay_alu instid0(VALU_DEP_1) | instskip(SKIP_3) | instid1(SALU_CYCLE_1)
	v_add_f16_e32 v55, v55, v56
	global_store_b16 v[20:21], v55, off
	s_or_b32 exec_lo, exec_lo, s16
	s_and_b32 s18, s3, s8
	s_and_saveexec_b32 s16, s18
	s_cbranch_execz .LBB236_120
.LBB236_136:
	v_cmp_ne_u32_e32 vcc_lo, 1, v59
	v_lshlrev_b64 v[20:21], 1, v[30:31]
	s_cbranch_vccnz .LBB236_138
; %bb.137:
	s_delay_alu instid0(VALU_DEP_1) | instskip(NEXT) | instid1(VALU_DEP_2)
	v_add_co_u32 v55, vcc_lo, v40, v20
	v_add_co_ci_u32_e32 v56, vcc_lo, v41, v21, vcc_lo
	flat_load_u16 v55, v[55:56]
	s_waitcnt vmcnt(0) lgkmcnt(0)
	v_mul_f16_e32 v55, s15, v55
	s_branch .LBB236_139
.LBB236_138:
	v_mov_b32_e32 v55, 0
.LBB236_139:
	v_pk_max_f16 v56, v0, v0
	v_pk_max_f16 v57, v14, v14
	;; [unrolled: 1-line block ×4, first 2 shown]
	v_add_co_u32 v20, vcc_lo, v22, v20
	s_delay_alu instid0(VALU_DEP_4) | instskip(SKIP_1) | instid1(VALU_DEP_4)
	v_pk_min_f16 v56, v57, v56
	v_add_co_ci_u32_e32 v21, vcc_lo, v23, v21, vcc_lo
	v_pk_min_f16 v57, v60, v58
	s_delay_alu instid0(VALU_DEP_3) | instskip(NEXT) | instid1(VALU_DEP_1)
	v_pk_add_f16 v54, v54, v56
	v_pk_add_f16 v54, v54, v57
	s_delay_alu instid0(VALU_DEP_1) | instskip(NEXT) | instid1(VALU_DEP_1)
	v_lshrrev_b32_e32 v56, 16, v54
	v_add_f16_e32 v54, v54, v56
	s_delay_alu instid0(VALU_DEP_1) | instskip(SKIP_3) | instid1(SALU_CYCLE_1)
	v_add_f16_e32 v54, v54, v55
	global_store_b16 v[20:21], v54, off
	s_or_b32 exec_lo, exec_lo, s16
	s_and_b32 s18, s4, s8
	s_and_saveexec_b32 s16, s18
	s_cbranch_execz .LBB236_121
.LBB236_140:
	v_cmp_ne_u32_e32 vcc_lo, 1, v59
	v_lshlrev_b64 v[20:21], 1, v[32:33]
	s_cbranch_vccnz .LBB236_142
; %bb.141:
	s_delay_alu instid0(VALU_DEP_1) | instskip(NEXT) | instid1(VALU_DEP_2)
	v_add_co_u32 v54, vcc_lo, v40, v20
	v_add_co_ci_u32_e32 v55, vcc_lo, v41, v21, vcc_lo
	flat_load_u16 v54, v[54:55]
	s_waitcnt vmcnt(0) lgkmcnt(0)
	v_mul_f16_e32 v54, s15, v54
	s_branch .LBB236_143
.LBB236_142:
	v_mov_b32_e32 v54, 0
.LBB236_143:
	v_pk_max_f16 v55, v0, v0
	v_pk_max_f16 v56, v8, v8
	;; [unrolled: 1-line block ×4, first 2 shown]
	v_add_co_u32 v20, vcc_lo, v22, v20
	s_delay_alu instid0(VALU_DEP_4) | instskip(SKIP_1) | instid1(VALU_DEP_4)
	v_pk_min_f16 v55, v56, v55
	v_add_co_ci_u32_e32 v21, vcc_lo, v23, v21, vcc_lo
	v_pk_min_f16 v56, v58, v57
	s_delay_alu instid0(VALU_DEP_3) | instskip(NEXT) | instid1(VALU_DEP_1)
	v_pk_add_f16 v53, v53, v55
	v_pk_add_f16 v53, v53, v56
	s_delay_alu instid0(VALU_DEP_1) | instskip(NEXT) | instid1(VALU_DEP_1)
	v_lshrrev_b32_e32 v55, 16, v53
	v_add_f16_e32 v53, v53, v55
	s_delay_alu instid0(VALU_DEP_1) | instskip(SKIP_3) | instid1(SALU_CYCLE_1)
	v_add_f16_e32 v53, v53, v54
	global_store_b16 v[20:21], v53, off
	s_or_b32 exec_lo, exec_lo, s16
	s_and_b32 s18, s5, s8
	s_and_saveexec_b32 s16, s18
	s_cbranch_execz .LBB236_122
.LBB236_144:
	v_cmp_ne_u32_e32 vcc_lo, 1, v59
	v_lshlrev_b64 v[20:21], 1, v[34:35]
	s_cbranch_vccnz .LBB236_146
; %bb.145:
	s_delay_alu instid0(VALU_DEP_1) | instskip(NEXT) | instid1(VALU_DEP_2)
	v_add_co_u32 v53, vcc_lo, v40, v20
	v_add_co_ci_u32_e32 v54, vcc_lo, v41, v21, vcc_lo
	flat_load_u16 v53, v[53:54]
	s_waitcnt vmcnt(0) lgkmcnt(0)
	v_mul_f16_e32 v53, s15, v53
	s_branch .LBB236_147
.LBB236_146:
	v_mov_b32_e32 v53, 0
.LBB236_147:
	v_pk_max_f16 v54, v0, v0
	v_pk_max_f16 v55, v10, v10
	;; [unrolled: 1-line block ×4, first 2 shown]
	v_add_co_u32 v20, vcc_lo, v22, v20
	s_delay_alu instid0(VALU_DEP_4) | instskip(SKIP_1) | instid1(VALU_DEP_4)
	v_pk_min_f16 v54, v55, v54
	v_add_co_ci_u32_e32 v21, vcc_lo, v23, v21, vcc_lo
	v_pk_min_f16 v55, v57, v56
	s_delay_alu instid0(VALU_DEP_3) | instskip(NEXT) | instid1(VALU_DEP_1)
	v_pk_add_f16 v52, v52, v54
	v_pk_add_f16 v52, v52, v55
	s_delay_alu instid0(VALU_DEP_1) | instskip(NEXT) | instid1(VALU_DEP_1)
	v_lshrrev_b32_e32 v54, 16, v52
	v_add_f16_e32 v52, v52, v54
	s_delay_alu instid0(VALU_DEP_1) | instskip(SKIP_3) | instid1(SALU_CYCLE_1)
	v_add_f16_e32 v52, v52, v53
	global_store_b16 v[20:21], v52, off
	s_or_b32 exec_lo, exec_lo, s16
	s_and_b32 s18, s6, s8
	s_and_saveexec_b32 s16, s18
	s_cbranch_execz .LBB236_123
.LBB236_148:
	v_cmp_ne_u32_e32 vcc_lo, 1, v59
	v_lshlrev_b64 v[20:21], 1, v[36:37]
	s_cbranch_vccnz .LBB236_150
; %bb.149:
	s_delay_alu instid0(VALU_DEP_1) | instskip(NEXT) | instid1(VALU_DEP_2)
	v_add_co_u32 v52, vcc_lo, v40, v20
	v_add_co_ci_u32_e32 v53, vcc_lo, v41, v21, vcc_lo
	flat_load_u16 v52, v[52:53]
	s_waitcnt vmcnt(0) lgkmcnt(0)
	v_mul_f16_e32 v52, s15, v52
	s_branch .LBB236_151
.LBB236_150:
	v_mov_b32_e32 v52, 0
.LBB236_151:
	v_pk_max_f16 v53, v0, v0
	v_pk_max_f16 v54, v4, v4
	;; [unrolled: 1-line block ×4, first 2 shown]
	v_add_co_u32 v20, vcc_lo, v22, v20
	s_delay_alu instid0(VALU_DEP_4) | instskip(SKIP_1) | instid1(VALU_DEP_4)
	v_pk_min_f16 v53, v54, v53
	v_add_co_ci_u32_e32 v21, vcc_lo, v23, v21, vcc_lo
	v_pk_min_f16 v54, v56, v55
	s_delay_alu instid0(VALU_DEP_3) | instskip(NEXT) | instid1(VALU_DEP_1)
	v_pk_add_f16 v51, v51, v53
	v_pk_add_f16 v51, v51, v54
	s_delay_alu instid0(VALU_DEP_1) | instskip(NEXT) | instid1(VALU_DEP_1)
	v_lshrrev_b32_e32 v53, 16, v51
	v_add_f16_e32 v51, v51, v53
	s_delay_alu instid0(VALU_DEP_1) | instskip(SKIP_3) | instid1(SALU_CYCLE_1)
	v_add_f16_e32 v51, v51, v52
	global_store_b16 v[20:21], v51, off
	s_or_b32 exec_lo, exec_lo, s16
	s_and_b32 s16, s7, s8
	s_and_saveexec_b32 s8, s16
	s_cbranch_execz .LBB236_156
.LBB236_152:
	v_cmp_ne_u32_e32 vcc_lo, 1, v59
	v_lshlrev_b64 v[20:21], 1, v[38:39]
	s_cbranch_vccnz .LBB236_154
; %bb.153:
	s_delay_alu instid0(VALU_DEP_1) | instskip(NEXT) | instid1(VALU_DEP_2)
	v_add_co_u32 v40, vcc_lo, v40, v20
	v_add_co_ci_u32_e32 v41, vcc_lo, v41, v21, vcc_lo
	flat_load_u16 v40, v[40:41]
	s_waitcnt vmcnt(0) lgkmcnt(0)
	v_mul_f16_e32 v40, s15, v40
	s_branch .LBB236_155
.LBB236_154:
	v_mov_b32_e32 v40, 0
.LBB236_155:
	v_pk_max_f16 v0, v0, v0
	v_pk_max_f16 v41, v6, v6
	;; [unrolled: 1-line block ×4, first 2 shown]
	s_delay_alu instid0(VALU_DEP_3) | instskip(NEXT) | instid1(VALU_DEP_2)
	v_pk_min_f16 v0, v41, v0
	v_pk_min_f16 v1, v51, v1
	s_delay_alu instid0(VALU_DEP_2) | instskip(NEXT) | instid1(VALU_DEP_1)
	v_pk_add_f16 v0, v50, v0
	v_pk_add_f16 v0, v0, v1
	s_delay_alu instid0(VALU_DEP_1) | instskip(NEXT) | instid1(VALU_DEP_1)
	v_lshrrev_b32_e32 v1, 16, v0
	v_add_f16_e32 v0, v0, v1
	s_delay_alu instid0(VALU_DEP_1)
	v_add_f16_e32 v40, v0, v40
	v_add_co_u32 v0, vcc_lo, v22, v20
	v_add_co_ci_u32_e32 v1, vcc_lo, v23, v21, vcc_lo
	global_store_b16 v[0:1], v40, off
.LBB236_156:
	s_or_b32 exec_lo, exec_lo, s8
	v_add_nc_u32_e32 v22, 0x60, v66
	s_delay_alu instid0(VALU_DEP_1) | instskip(SKIP_2) | instid1(VALU_DEP_3)
	v_mad_i64_i32 v[0:1], null, v22, s12, 0
	v_mad_i64_i32 v[20:21], null, v22, s9, 0
	v_cmp_gt_i32_e64 s8, s17, v22
	v_lshlrev_b64 v[0:1], 1, v[0:1]
	s_delay_alu instid0(VALU_DEP_2) | instskip(NEXT) | instid1(VALU_DEP_3)
	s_and_b32 s9, s0, s8
	v_lshlrev_b64 v[20:21], 1, v[20:21]
	s_delay_alu instid0(VALU_DEP_2) | instskip(NEXT) | instid1(VALU_DEP_3)
	v_add_co_u32 v22, vcc_lo, s10, v0
	v_add_co_ci_u32_e32 v23, vcc_lo, s11, v1, vcc_lo
	s_delay_alu instid0(VALU_DEP_3) | instskip(NEXT) | instid1(VALU_DEP_4)
	v_add_co_u32 v20, vcc_lo, s13, v20
	v_add_co_ci_u32_e32 v21, vcc_lo, s14, v21, vcc_lo
	s_and_saveexec_b32 s0, s9
	s_cbranch_execnz .LBB236_165
; %bb.157:
	s_or_b32 exec_lo, exec_lo, s0
	s_and_b32 s1, s1, s8
	s_delay_alu instid0(SALU_CYCLE_1)
	s_and_saveexec_b32 s0, s1
	s_cbranch_execnz .LBB236_169
.LBB236_158:
	s_or_b32 exec_lo, exec_lo, s0
	s_and_b32 s1, s2, s8
	s_delay_alu instid0(SALU_CYCLE_1)
	s_and_saveexec_b32 s0, s1
	s_cbranch_execnz .LBB236_173
.LBB236_159:
	s_or_b32 exec_lo, exec_lo, s0
	s_and_b32 s1, s3, s8
	s_delay_alu instid0(SALU_CYCLE_1)
	s_and_saveexec_b32 s0, s1
	s_cbranch_execnz .LBB236_177
.LBB236_160:
	s_or_b32 exec_lo, exec_lo, s0
	s_and_b32 s1, s4, s8
	s_delay_alu instid0(SALU_CYCLE_1)
	s_and_saveexec_b32 s0, s1
	s_cbranch_execnz .LBB236_181
.LBB236_161:
	s_or_b32 exec_lo, exec_lo, s0
	s_and_b32 s1, s5, s8
	s_delay_alu instid0(SALU_CYCLE_1)
	s_and_saveexec_b32 s0, s1
	s_cbranch_execnz .LBB236_185
.LBB236_162:
	s_or_b32 exec_lo, exec_lo, s0
	s_and_b32 s1, s6, s8
	s_delay_alu instid0(SALU_CYCLE_1)
	s_and_saveexec_b32 s0, s1
	s_cbranch_execnz .LBB236_189
.LBB236_163:
	s_or_b32 exec_lo, exec_lo, s0
	s_and_b32 s0, s7, s8
	s_delay_alu instid0(SALU_CYCLE_1)
	s_and_saveexec_b32 s1, s0
	s_cbranch_execnz .LBB236_193
.LBB236_164:
	s_nop 0
	s_sendmsg sendmsg(MSG_DEALLOC_VGPRS)
	s_endpgm
.LBB236_165:
	v_cmp_ne_u32_e32 vcc_lo, 1, v59
	v_lshlrev_b64 v[0:1], 1, v[24:25]
	s_cbranch_vccnz .LBB236_167
; %bb.166:
	s_delay_alu instid0(VALU_DEP_1) | instskip(NEXT) | instid1(VALU_DEP_2)
	v_add_co_u32 v24, vcc_lo, v22, v0
	v_add_co_ci_u32_e32 v25, vcc_lo, v23, v1, vcc_lo
	flat_load_u16 v24, v[24:25]
	s_waitcnt vmcnt(0) lgkmcnt(0)
	v_mul_f16_e32 v24, s15, v24
	s_branch .LBB236_168
.LBB236_167:
	v_mov_b32_e32 v24, 0
.LBB236_168:
	v_pk_max_f16 v25, v2, v2
	v_pk_max_f16 v16, v16, v16
	v_pk_max_f16 v40, v3, v3
	v_pk_max_f16 v17, v17, v17
	v_add_co_u32 v0, vcc_lo, v20, v0
	s_delay_alu instid0(VALU_DEP_4) | instskip(SKIP_1) | instid1(VALU_DEP_4)
	v_pk_min_f16 v16, v16, v25
	v_add_co_ci_u32_e32 v1, vcc_lo, v21, v1, vcc_lo
	v_pk_min_f16 v17, v17, v40
	s_delay_alu instid0(VALU_DEP_3) | instskip(NEXT) | instid1(VALU_DEP_1)
	v_pk_add_f16 v16, v49, v16
	v_pk_add_f16 v16, v16, v17
	s_delay_alu instid0(VALU_DEP_1) | instskip(NEXT) | instid1(VALU_DEP_1)
	v_lshrrev_b32_e32 v17, 16, v16
	v_add_f16_e32 v16, v16, v17
	s_delay_alu instid0(VALU_DEP_1) | instskip(SKIP_3) | instid1(SALU_CYCLE_1)
	v_add_f16_e32 v16, v16, v24
	global_store_b16 v[0:1], v16, off
	s_or_b32 exec_lo, exec_lo, s0
	s_and_b32 s1, s1, s8
	s_and_saveexec_b32 s0, s1
	s_cbranch_execz .LBB236_158
.LBB236_169:
	v_cmp_ne_u32_e32 vcc_lo, 1, v59
	v_lshlrev_b64 v[0:1], 1, v[26:27]
	s_cbranch_vccnz .LBB236_171
; %bb.170:
	s_delay_alu instid0(VALU_DEP_1) | instskip(NEXT) | instid1(VALU_DEP_2)
	v_add_co_u32 v16, vcc_lo, v22, v0
	v_add_co_ci_u32_e32 v17, vcc_lo, v23, v1, vcc_lo
	flat_load_u16 v16, v[16:17]
	s_waitcnt vmcnt(0) lgkmcnt(0)
	v_mul_f16_e32 v16, s15, v16
	s_branch .LBB236_172
.LBB236_171:
	v_mov_b32_e32 v16, 0
.LBB236_172:
	v_pk_max_f16 v17, v2, v2
	v_pk_max_f16 v18, v18, v18
	;; [unrolled: 1-line block ×4, first 2 shown]
	v_add_co_u32 v0, vcc_lo, v20, v0
	s_delay_alu instid0(VALU_DEP_4) | instskip(SKIP_1) | instid1(VALU_DEP_4)
	v_pk_min_f16 v17, v18, v17
	v_add_co_ci_u32_e32 v1, vcc_lo, v21, v1, vcc_lo
	v_pk_min_f16 v18, v19, v24
	s_delay_alu instid0(VALU_DEP_3) | instskip(NEXT) | instid1(VALU_DEP_1)
	v_pk_add_f16 v17, v48, v17
	v_pk_add_f16 v17, v17, v18
	s_delay_alu instid0(VALU_DEP_1) | instskip(NEXT) | instid1(VALU_DEP_1)
	v_lshrrev_b32_e32 v18, 16, v17
	v_add_f16_e32 v17, v17, v18
	s_delay_alu instid0(VALU_DEP_1) | instskip(SKIP_3) | instid1(SALU_CYCLE_1)
	v_add_f16_e32 v16, v17, v16
	global_store_b16 v[0:1], v16, off
	s_or_b32 exec_lo, exec_lo, s0
	s_and_b32 s1, s2, s8
	s_and_saveexec_b32 s0, s1
	s_cbranch_execz .LBB236_159
.LBB236_173:
	v_cmp_ne_u32_e32 vcc_lo, 1, v59
	v_lshlrev_b64 v[0:1], 1, v[28:29]
	s_cbranch_vccnz .LBB236_175
; %bb.174:
	s_delay_alu instid0(VALU_DEP_1) | instskip(NEXT) | instid1(VALU_DEP_2)
	v_add_co_u32 v16, vcc_lo, v22, v0
	v_add_co_ci_u32_e32 v17, vcc_lo, v23, v1, vcc_lo
	flat_load_u16 v16, v[16:17]
	s_waitcnt vmcnt(0) lgkmcnt(0)
	v_mul_f16_e32 v16, s15, v16
	s_branch .LBB236_176
.LBB236_175:
	v_mov_b32_e32 v16, 0
.LBB236_176:
	v_pk_max_f16 v17, v2, v2
	v_pk_max_f16 v12, v12, v12
	;; [unrolled: 1-line block ×4, first 2 shown]
	v_add_co_u32 v0, vcc_lo, v20, v0
	s_delay_alu instid0(VALU_DEP_4) | instskip(SKIP_1) | instid1(VALU_DEP_4)
	v_pk_min_f16 v12, v12, v17
	v_add_co_ci_u32_e32 v1, vcc_lo, v21, v1, vcc_lo
	v_pk_min_f16 v13, v13, v18
	s_delay_alu instid0(VALU_DEP_3) | instskip(NEXT) | instid1(VALU_DEP_1)
	v_pk_add_f16 v12, v47, v12
	v_pk_add_f16 v12, v12, v13
	s_delay_alu instid0(VALU_DEP_1) | instskip(NEXT) | instid1(VALU_DEP_1)
	v_lshrrev_b32_e32 v13, 16, v12
	v_add_f16_e32 v12, v12, v13
	s_delay_alu instid0(VALU_DEP_1) | instskip(SKIP_3) | instid1(SALU_CYCLE_1)
	v_add_f16_e32 v12, v12, v16
	global_store_b16 v[0:1], v12, off
	s_or_b32 exec_lo, exec_lo, s0
	s_and_b32 s1, s3, s8
	s_and_saveexec_b32 s0, s1
	s_cbranch_execz .LBB236_160
.LBB236_177:
	v_cmp_ne_u32_e32 vcc_lo, 1, v59
	v_lshlrev_b64 v[0:1], 1, v[30:31]
	s_cbranch_vccnz .LBB236_179
; %bb.178:
	s_delay_alu instid0(VALU_DEP_1) | instskip(NEXT) | instid1(VALU_DEP_2)
	v_add_co_u32 v12, vcc_lo, v22, v0
	v_add_co_ci_u32_e32 v13, vcc_lo, v23, v1, vcc_lo
	flat_load_u16 v12, v[12:13]
	s_waitcnt vmcnt(0) lgkmcnt(0)
	v_mul_f16_e32 v12, s15, v12
	s_branch .LBB236_180
.LBB236_179:
	v_mov_b32_e32 v12, 0
.LBB236_180:
	v_pk_max_f16 v13, v2, v2
	v_pk_max_f16 v14, v14, v14
	;; [unrolled: 1-line block ×4, first 2 shown]
	v_add_co_u32 v0, vcc_lo, v20, v0
	s_delay_alu instid0(VALU_DEP_4) | instskip(SKIP_1) | instid1(VALU_DEP_4)
	v_pk_min_f16 v13, v14, v13
	v_add_co_ci_u32_e32 v1, vcc_lo, v21, v1, vcc_lo
	v_pk_min_f16 v14, v15, v16
	s_delay_alu instid0(VALU_DEP_3) | instskip(NEXT) | instid1(VALU_DEP_1)
	v_pk_add_f16 v13, v46, v13
	v_pk_add_f16 v13, v13, v14
	s_delay_alu instid0(VALU_DEP_1) | instskip(NEXT) | instid1(VALU_DEP_1)
	v_lshrrev_b32_e32 v14, 16, v13
	v_add_f16_e32 v13, v13, v14
	s_delay_alu instid0(VALU_DEP_1) | instskip(SKIP_3) | instid1(SALU_CYCLE_1)
	v_add_f16_e32 v12, v13, v12
	global_store_b16 v[0:1], v12, off
	s_or_b32 exec_lo, exec_lo, s0
	s_and_b32 s1, s4, s8
	s_and_saveexec_b32 s0, s1
	s_cbranch_execz .LBB236_161
.LBB236_181:
	v_cmp_ne_u32_e32 vcc_lo, 1, v59
	v_lshlrev_b64 v[0:1], 1, v[32:33]
	s_cbranch_vccnz .LBB236_183
; %bb.182:
	s_delay_alu instid0(VALU_DEP_1) | instskip(NEXT) | instid1(VALU_DEP_2)
	v_add_co_u32 v12, vcc_lo, v22, v0
	v_add_co_ci_u32_e32 v13, vcc_lo, v23, v1, vcc_lo
	flat_load_u16 v12, v[12:13]
	s_waitcnt vmcnt(0) lgkmcnt(0)
	v_mul_f16_e32 v12, s15, v12
	s_branch .LBB236_184
.LBB236_183:
	v_mov_b32_e32 v12, 0
.LBB236_184:
	v_pk_max_f16 v13, v2, v2
	v_pk_max_f16 v8, v8, v8
	;; [unrolled: 1-line block ×4, first 2 shown]
	v_add_co_u32 v0, vcc_lo, v20, v0
	s_delay_alu instid0(VALU_DEP_4) | instskip(SKIP_1) | instid1(VALU_DEP_4)
	v_pk_min_f16 v8, v8, v13
	v_add_co_ci_u32_e32 v1, vcc_lo, v21, v1, vcc_lo
	v_pk_min_f16 v9, v9, v14
	s_delay_alu instid0(VALU_DEP_3) | instskip(NEXT) | instid1(VALU_DEP_1)
	v_pk_add_f16 v8, v45, v8
	v_pk_add_f16 v8, v8, v9
	s_delay_alu instid0(VALU_DEP_1) | instskip(NEXT) | instid1(VALU_DEP_1)
	v_lshrrev_b32_e32 v9, 16, v8
	v_add_f16_e32 v8, v8, v9
	s_delay_alu instid0(VALU_DEP_1) | instskip(SKIP_3) | instid1(SALU_CYCLE_1)
	v_add_f16_e32 v8, v8, v12
	global_store_b16 v[0:1], v8, off
	s_or_b32 exec_lo, exec_lo, s0
	s_and_b32 s1, s5, s8
	s_and_saveexec_b32 s0, s1
	s_cbranch_execz .LBB236_162
.LBB236_185:
	v_cmp_ne_u32_e32 vcc_lo, 1, v59
	v_lshlrev_b64 v[0:1], 1, v[34:35]
	s_cbranch_vccnz .LBB236_187
; %bb.186:
	s_delay_alu instid0(VALU_DEP_1) | instskip(NEXT) | instid1(VALU_DEP_2)
	v_add_co_u32 v8, vcc_lo, v22, v0
	v_add_co_ci_u32_e32 v9, vcc_lo, v23, v1, vcc_lo
	flat_load_u16 v8, v[8:9]
	s_waitcnt vmcnt(0) lgkmcnt(0)
	v_mul_f16_e32 v8, s15, v8
	s_branch .LBB236_188
.LBB236_187:
	v_mov_b32_e32 v8, 0
.LBB236_188:
	v_pk_max_f16 v9, v2, v2
	v_pk_max_f16 v10, v10, v10
	;; [unrolled: 1-line block ×4, first 2 shown]
	v_add_co_u32 v0, vcc_lo, v20, v0
	s_delay_alu instid0(VALU_DEP_4) | instskip(SKIP_1) | instid1(VALU_DEP_4)
	v_pk_min_f16 v9, v10, v9
	v_add_co_ci_u32_e32 v1, vcc_lo, v21, v1, vcc_lo
	v_pk_min_f16 v10, v11, v12
	s_delay_alu instid0(VALU_DEP_3) | instskip(NEXT) | instid1(VALU_DEP_1)
	v_pk_add_f16 v9, v44, v9
	v_pk_add_f16 v9, v9, v10
	s_delay_alu instid0(VALU_DEP_1) | instskip(NEXT) | instid1(VALU_DEP_1)
	v_lshrrev_b32_e32 v10, 16, v9
	v_add_f16_e32 v9, v9, v10
	s_delay_alu instid0(VALU_DEP_1) | instskip(SKIP_3) | instid1(SALU_CYCLE_1)
	v_add_f16_e32 v8, v9, v8
	global_store_b16 v[0:1], v8, off
	s_or_b32 exec_lo, exec_lo, s0
	s_and_b32 s1, s6, s8
	s_and_saveexec_b32 s0, s1
	s_cbranch_execz .LBB236_163
.LBB236_189:
	v_cmp_ne_u32_e32 vcc_lo, 1, v59
	v_lshlrev_b64 v[0:1], 1, v[36:37]
	s_cbranch_vccnz .LBB236_191
; %bb.190:
	s_delay_alu instid0(VALU_DEP_1) | instskip(NEXT) | instid1(VALU_DEP_2)
	v_add_co_u32 v8, vcc_lo, v22, v0
	v_add_co_ci_u32_e32 v9, vcc_lo, v23, v1, vcc_lo
	flat_load_u16 v8, v[8:9]
	s_waitcnt vmcnt(0) lgkmcnt(0)
	v_mul_f16_e32 v8, s15, v8
	s_branch .LBB236_192
.LBB236_191:
	v_mov_b32_e32 v8, 0
.LBB236_192:
	v_pk_max_f16 v9, v2, v2
	v_pk_max_f16 v4, v4, v4
	;; [unrolled: 1-line block ×4, first 2 shown]
	v_add_co_u32 v0, vcc_lo, v20, v0
	s_delay_alu instid0(VALU_DEP_4) | instskip(SKIP_1) | instid1(VALU_DEP_4)
	v_pk_min_f16 v4, v4, v9
	v_add_co_ci_u32_e32 v1, vcc_lo, v21, v1, vcc_lo
	v_pk_min_f16 v5, v5, v10
	s_delay_alu instid0(VALU_DEP_3) | instskip(NEXT) | instid1(VALU_DEP_1)
	v_pk_add_f16 v4, v43, v4
	v_pk_add_f16 v4, v4, v5
	s_delay_alu instid0(VALU_DEP_1) | instskip(NEXT) | instid1(VALU_DEP_1)
	v_lshrrev_b32_e32 v5, 16, v4
	v_add_f16_e32 v4, v4, v5
	s_delay_alu instid0(VALU_DEP_1) | instskip(SKIP_3) | instid1(SALU_CYCLE_1)
	v_add_f16_e32 v4, v4, v8
	global_store_b16 v[0:1], v4, off
	s_or_b32 exec_lo, exec_lo, s0
	s_and_b32 s0, s7, s8
	s_and_saveexec_b32 s1, s0
	s_cbranch_execz .LBB236_164
.LBB236_193:
	v_cmp_ne_u32_e32 vcc_lo, 1, v59
	v_lshlrev_b64 v[0:1], 1, v[38:39]
	s_cbranch_vccnz .LBB236_195
; %bb.194:
	s_delay_alu instid0(VALU_DEP_1) | instskip(NEXT) | instid1(VALU_DEP_2)
	v_add_co_u32 v4, vcc_lo, v22, v0
	v_add_co_ci_u32_e32 v5, vcc_lo, v23, v1, vcc_lo
	flat_load_u16 v4, v[4:5]
	s_waitcnt vmcnt(0) lgkmcnt(0)
	v_mul_f16_e32 v4, s15, v4
	s_branch .LBB236_196
.LBB236_195:
	v_mov_b32_e32 v4, 0
.LBB236_196:
	v_pk_max_f16 v2, v2, v2
	v_pk_max_f16 v5, v6, v6
	;; [unrolled: 1-line block ×4, first 2 shown]
	v_add_co_u32 v0, vcc_lo, v20, v0
	s_delay_alu instid0(VALU_DEP_4) | instskip(SKIP_1) | instid1(VALU_DEP_4)
	v_pk_min_f16 v2, v5, v2
	v_add_co_ci_u32_e32 v1, vcc_lo, v21, v1, vcc_lo
	v_pk_min_f16 v3, v6, v3
	s_delay_alu instid0(VALU_DEP_3) | instskip(NEXT) | instid1(VALU_DEP_1)
	v_pk_add_f16 v2, v42, v2
	v_pk_add_f16 v2, v2, v3
	s_delay_alu instid0(VALU_DEP_1) | instskip(NEXT) | instid1(VALU_DEP_1)
	v_lshrrev_b32_e32 v3, 16, v2
	v_add_f16_e32 v2, v2, v3
	s_delay_alu instid0(VALU_DEP_1)
	v_add_f16_e32 v2, v2, v4
	global_store_b16 v[0:1], v2, off
	s_nop 0
	s_sendmsg sendmsg(MSG_DEALLOC_VGPRS)
	s_endpgm
	.section	.rodata,"a",@progbits
	.p2align	6, 0x0
	.amdhsa_kernel _ZN12_GLOBAL__N_120geam_min_plus_kernelIDF16_Dv2_DF16_S1_Li8ELi32ELi64ELi128ELi4ELi64ELi4ELi4ELi64ELc78ELc78ELb0ELb1ELb0EDF16_KPKDF16_KPDF16_EEviiiT16_PT17_ilS9_ilS7_S9_ilPT18_ili26rocblas_geam_ex_operation_
		.amdhsa_group_segment_fixed_size 3072
		.amdhsa_private_segment_fixed_size 0
		.amdhsa_kernarg_size 128
		.amdhsa_user_sgpr_count 14
		.amdhsa_user_sgpr_dispatch_ptr 0
		.amdhsa_user_sgpr_queue_ptr 0
		.amdhsa_user_sgpr_kernarg_segment_ptr 1
		.amdhsa_user_sgpr_dispatch_id 0
		.amdhsa_user_sgpr_private_segment_size 0
		.amdhsa_wavefront_size32 1
		.amdhsa_uses_dynamic_stack 0
		.amdhsa_enable_private_segment 0
		.amdhsa_system_sgpr_workgroup_id_x 1
		.amdhsa_system_sgpr_workgroup_id_y 0
		.amdhsa_system_sgpr_workgroup_id_z 1
		.amdhsa_system_sgpr_workgroup_info 0
		.amdhsa_system_vgpr_workitem_id 1
		.amdhsa_next_free_vgpr 128
		.amdhsa_next_free_sgpr 29
		.amdhsa_reserve_vcc 1
		.amdhsa_float_round_mode_32 0
		.amdhsa_float_round_mode_16_64 0
		.amdhsa_float_denorm_mode_32 3
		.amdhsa_float_denorm_mode_16_64 3
		.amdhsa_dx10_clamp 1
		.amdhsa_ieee_mode 1
		.amdhsa_fp16_overflow 0
		.amdhsa_workgroup_processor_mode 1
		.amdhsa_memory_ordered 1
		.amdhsa_forward_progress 0
		.amdhsa_shared_vgpr_count 0
		.amdhsa_exception_fp_ieee_invalid_op 0
		.amdhsa_exception_fp_denorm_src 0
		.amdhsa_exception_fp_ieee_div_zero 0
		.amdhsa_exception_fp_ieee_overflow 0
		.amdhsa_exception_fp_ieee_underflow 0
		.amdhsa_exception_fp_ieee_inexact 0
		.amdhsa_exception_int_div_zero 0
	.end_amdhsa_kernel
	.section	.text._ZN12_GLOBAL__N_120geam_min_plus_kernelIDF16_Dv2_DF16_S1_Li8ELi32ELi64ELi128ELi4ELi64ELi4ELi4ELi64ELc78ELc78ELb0ELb1ELb0EDF16_KPKDF16_KPDF16_EEviiiT16_PT17_ilS9_ilS7_S9_ilPT18_ili26rocblas_geam_ex_operation_,"axG",@progbits,_ZN12_GLOBAL__N_120geam_min_plus_kernelIDF16_Dv2_DF16_S1_Li8ELi32ELi64ELi128ELi4ELi64ELi4ELi4ELi64ELc78ELc78ELb0ELb1ELb0EDF16_KPKDF16_KPDF16_EEviiiT16_PT17_ilS9_ilS7_S9_ilPT18_ili26rocblas_geam_ex_operation_,comdat
.Lfunc_end236:
	.size	_ZN12_GLOBAL__N_120geam_min_plus_kernelIDF16_Dv2_DF16_S1_Li8ELi32ELi64ELi128ELi4ELi64ELi4ELi4ELi64ELc78ELc78ELb0ELb1ELb0EDF16_KPKDF16_KPDF16_EEviiiT16_PT17_ilS9_ilS7_S9_ilPT18_ili26rocblas_geam_ex_operation_, .Lfunc_end236-_ZN12_GLOBAL__N_120geam_min_plus_kernelIDF16_Dv2_DF16_S1_Li8ELi32ELi64ELi128ELi4ELi64ELi4ELi4ELi64ELc78ELc78ELb0ELb1ELb0EDF16_KPKDF16_KPDF16_EEviiiT16_PT17_ilS9_ilS7_S9_ilPT18_ili26rocblas_geam_ex_operation_
                                        ; -- End function
	.section	.AMDGPU.csdata,"",@progbits
; Kernel info:
; codeLenInByte = 13116
; NumSgprs: 31
; NumVgprs: 128
; ScratchSize: 0
; MemoryBound: 0
; FloatMode: 240
; IeeeMode: 1
; LDSByteSize: 3072 bytes/workgroup (compile time only)
; SGPRBlocks: 3
; VGPRBlocks: 15
; NumSGPRsForWavesPerEU: 31
; NumVGPRsForWavesPerEU: 128
; Occupancy: 10
; WaveLimiterHint : 1
; COMPUTE_PGM_RSRC2:SCRATCH_EN: 0
; COMPUTE_PGM_RSRC2:USER_SGPR: 14
; COMPUTE_PGM_RSRC2:TRAP_HANDLER: 0
; COMPUTE_PGM_RSRC2:TGID_X_EN: 1
; COMPUTE_PGM_RSRC2:TGID_Y_EN: 0
; COMPUTE_PGM_RSRC2:TGID_Z_EN: 1
; COMPUTE_PGM_RSRC2:TIDIG_COMP_CNT: 1
	.section	.text._ZN12_GLOBAL__N_120geam_min_plus_kernelIDF16_Dv2_DF16_S1_Li8ELi32ELi64ELi128ELi4ELi4ELi64ELi4ELi64ELc84ELc78ELb0ELb0ELb0EPKDF16_KS3_KPDF16_EEviiiT16_PT17_ilS9_ilS7_S9_ilPT18_ili26rocblas_geam_ex_operation_,"axG",@progbits,_ZN12_GLOBAL__N_120geam_min_plus_kernelIDF16_Dv2_DF16_S1_Li8ELi32ELi64ELi128ELi4ELi4ELi64ELi4ELi64ELc84ELc78ELb0ELb0ELb0EPKDF16_KS3_KPDF16_EEviiiT16_PT17_ilS9_ilS7_S9_ilPT18_ili26rocblas_geam_ex_operation_,comdat
	.globl	_ZN12_GLOBAL__N_120geam_min_plus_kernelIDF16_Dv2_DF16_S1_Li8ELi32ELi64ELi128ELi4ELi4ELi64ELi4ELi64ELc84ELc78ELb0ELb0ELb0EPKDF16_KS3_KPDF16_EEviiiT16_PT17_ilS9_ilS7_S9_ilPT18_ili26rocblas_geam_ex_operation_ ; -- Begin function _ZN12_GLOBAL__N_120geam_min_plus_kernelIDF16_Dv2_DF16_S1_Li8ELi32ELi64ELi128ELi4ELi4ELi64ELi4ELi64ELc84ELc78ELb0ELb0ELb0EPKDF16_KS3_KPDF16_EEviiiT16_PT17_ilS9_ilS7_S9_ilPT18_ili26rocblas_geam_ex_operation_
	.p2align	8
	.type	_ZN12_GLOBAL__N_120geam_min_plus_kernelIDF16_Dv2_DF16_S1_Li8ELi32ELi64ELi128ELi4ELi4ELi64ELi4ELi64ELc84ELc78ELb0ELb0ELb0EPKDF16_KS3_KPDF16_EEviiiT16_PT17_ilS9_ilS7_S9_ilPT18_ili26rocblas_geam_ex_operation_,@function
_ZN12_GLOBAL__N_120geam_min_plus_kernelIDF16_Dv2_DF16_S1_Li8ELi32ELi64ELi128ELi4ELi4ELi64ELi4ELi64ELc84ELc78ELb0ELb0ELb0EPKDF16_KS3_KPDF16_EEviiiT16_PT17_ilS9_ilS7_S9_ilPT18_ili26rocblas_geam_ex_operation_: ; @_ZN12_GLOBAL__N_120geam_min_plus_kernelIDF16_Dv2_DF16_S1_Li8ELi32ELi64ELi128ELi4ELi4ELi64ELi4ELi64ELc84ELc78ELb0ELb0ELb0EPKDF16_KS3_KPDF16_EEviiiT16_PT17_ilS9_ilS7_S9_ilPT18_ili26rocblas_geam_ex_operation_
; %bb.0:
	s_clause 0x1
	s_load_b128 s[16:19], s[0:1], 0x10
	s_load_b128 s[4:7], s[0:1], 0x28
	s_mov_b32 s20, s15
	s_mov_b32 s21, 0
	v_mov_b32_e32 v1, 0
	s_lshl_b64 s[2:3], s[20:21], 1
	s_mov_b64 s[12:13], 0
	s_waitcnt lgkmcnt(0)
	s_add_u32 s8, s16, s2
	s_addc_u32 s9, s17, s3
	global_load_u16 v24, v1, s[8:9]
	s_clause 0x1
	s_load_b128 s[8:11], s[0:1], 0x40
	s_load_b64 s[16:17], s[0:1], 0x50
	s_waitcnt lgkmcnt(0)
	s_add_u32 s22, s10, s2
	s_addc_u32 s23, s11, s3
	s_mov_b64 s[10:11], 0
	s_waitcnt vmcnt(0)
	v_cmp_eq_f16_e32 vcc_lo, 0, v24
	v_cmp_neq_f16_e64 s2, 0, v24
	s_cbranch_vccnz .LBB237_2
; %bb.1:
	s_lshl_b64 s[12:13], s[20:21], 3
	s_delay_alu instid0(SALU_CYCLE_1)
	s_add_u32 s12, s18, s12
	s_addc_u32 s13, s19, s13
	s_lshl_b64 s[4:5], s[4:5], 1
	s_load_b64 s[12:13], s[12:13], 0x0
	s_waitcnt lgkmcnt(0)
	s_add_u32 s12, s12, s4
	s_addc_u32 s13, s13, s5
.LBB237_2:
	global_load_u16 v25, v1, s[22:23]
	v_cndmask_b32_e64 v1, 0, 1, s2
	s_and_not1_b32 vcc_lo, exec_lo, s2
	s_delay_alu instid0(VALU_DEP_1)
	v_cmp_ne_u32_e64 s3, 1, v1
	s_cbranch_vccnz .LBB237_4
; %bb.3:
	s_lshl_b64 s[4:5], s[20:21], 3
	s_delay_alu instid0(SALU_CYCLE_1)
	s_add_u32 s4, s6, s4
	s_addc_u32 s5, s7, s5
	s_lshl_b64 s[6:7], s[8:9], 1
	s_load_b64 s[4:5], s[4:5], 0x0
	s_waitcnt lgkmcnt(0)
	s_add_u32 s10, s4, s6
	s_addc_u32 s11, s5, s7
.LBB237_4:
	s_load_b128 s[4:7], s[0:1], 0x60
	s_waitcnt vmcnt(0)
	v_cmp_eq_f16_e32 vcc_lo, 0, v25
	s_and_b32 s2, exec_lo, vcc_lo
	s_delay_alu instid0(SALU_CYCLE_1)
	s_mov_b32 vcc_lo, s2
	s_cbranch_vccnz .LBB237_6
; %bb.5:
	s_lshl_b64 s[8:9], s[20:21], 3
	s_delay_alu instid0(SALU_CYCLE_1)
	s_add_u32 s8, s16, s8
	s_addc_u32 s9, s17, s9
	s_waitcnt lgkmcnt(0)
	s_lshl_b64 s[4:5], s[4:5], 1
	s_load_b64 s[8:9], s[8:9], 0x0
	s_waitcnt lgkmcnt(0)
	s_add_u32 s8, s8, s4
	s_addc_u32 s9, s9, s5
	s_branch .LBB237_7
.LBB237_6:
	s_mov_b64 s[8:9], 0
.LBB237_7:
	s_clause 0x1
	s_load_b32 s15, s[0:1], 0x0
	s_load_b32 s16, s[0:1], 0x20
	s_waitcnt lgkmcnt(0)
	s_lshl_b64 s[4:5], s[20:21], 3
	v_and_b32_e32 v43, 0x3ff, v0
	s_add_u32 s4, s6, s4
	s_addc_u32 s5, s7, s5
	v_bfe_u32 v44, v0, 10, 10
	s_delay_alu instid0(VALU_DEP_1) | instskip(NEXT) | instid1(VALU_DEP_1)
	v_lshl_add_u32 v0, v44, 3, v43
	v_lshrrev_b32_e32 v6, 2, v0
	s_add_i32 s6, s15, -1
	s_delay_alu instid0(SALU_CYCLE_1) | instskip(NEXT) | instid1(SALU_CYCLE_1)
	s_ashr_i32 s7, s6, 31
	s_lshr_b32 s7, s7, 26
	s_delay_alu instid0(SALU_CYCLE_1) | instskip(NEXT) | instid1(SALU_CYCLE_1)
	s_add_i32 s6, s6, s7
	s_ashr_i32 s6, s6, 6
	s_delay_alu instid0(SALU_CYCLE_1) | instskip(SKIP_2) | instid1(VALU_DEP_1)
	s_add_i32 s7, s6, 1
	s_not_b32 s6, s6
	v_cvt_f32_u32_e32 v1, s7
	v_rcp_iflag_f32_e32 v1, v1
	s_waitcnt_depctr 0xfff
	v_mul_f32_e32 v1, 0x4f7ffffe, v1
	s_delay_alu instid0(VALU_DEP_1) | instskip(NEXT) | instid1(VALU_DEP_1)
	v_cvt_u32_f32_e32 v1, v1
	v_readfirstlane_b32 s15, v1
	v_and_b32_e32 v1, 3, v43
	s_delay_alu instid0(VALU_DEP_2) | instskip(NEXT) | instid1(VALU_DEP_1)
	s_mul_i32 s6, s6, s15
	v_lshlrev_b32_e32 v47, 1, v1
	s_mul_hi_u32 s6, s15, s6
	s_delay_alu instid0(SALU_CYCLE_1) | instskip(NEXT) | instid1(SALU_CYCLE_1)
	s_add_i32 s15, s15, s6
	s_mul_hi_u32 s6, s14, s15
	s_delay_alu instid0(SALU_CYCLE_1) | instskip(SKIP_2) | instid1(SALU_CYCLE_1)
	s_mul_i32 s15, s6, s7
	s_add_i32 s17, s6, 1
	s_sub_i32 s15, s14, s15
	s_sub_i32 s18, s15, s7
	s_cmp_ge_u32 s15, s7
	s_cselect_b32 s6, s17, s6
	s_cselect_b32 s15, s18, s15
	s_add_i32 s17, s6, 1
	s_cmp_ge_u32 s15, s7
	s_cselect_b32 s6, s17, s6
	s_and_b32 vcc_lo, exec_lo, s3
	s_mul_i32 s7, s6, s7
	s_delay_alu instid0(SALU_CYCLE_1) | instskip(NEXT) | instid1(SALU_CYCLE_1)
	s_sub_i32 s7, s14, s7
	s_lshl_b32 s14, s7, 6
	s_delay_alu instid0(SALU_CYCLE_1)
	v_add_nc_u32_e32 v0, s14, v6
	s_cbranch_vccnz .LBB237_9
; %bb.8:
	s_delay_alu instid0(VALU_DEP_1) | instskip(NEXT) | instid1(VALU_DEP_1)
	v_mad_i64_i32 v[1:2], null, v0, s16, 0
	v_lshlrev_b64 v[1:2], 1, v[1:2]
	s_delay_alu instid0(VALU_DEP_1) | instskip(NEXT) | instid1(VALU_DEP_2)
	v_add_co_u32 v1, vcc_lo, s12, v1
	v_add_co_ci_u32_e32 v2, vcc_lo, s13, v2, vcc_lo
	s_delay_alu instid0(VALU_DEP_2) | instskip(NEXT) | instid1(VALU_DEP_2)
	v_add_co_u32 v1, vcc_lo, v1, v47
	v_add_co_ci_u32_e32 v2, vcc_lo, 0, v2, vcc_lo
	flat_load_u16 v1, v[1:2]
	s_waitcnt vmcnt(0) lgkmcnt(0)
	v_mul_f16_e32 v7, v24, v1
	s_branch .LBB237_10
.LBB237_9:
	v_mov_b32_e32 v7, 0
.LBB237_10:
	s_load_b32 s17, s[0:1], 0x38
	s_lshl_b32 s15, s6, 7
	s_and_b32 vcc_lo, exec_lo, s3
	v_add_nc_u32_e32 v1, s15, v6
	s_delay_alu instid0(VALU_DEP_1)
	v_add_nc_u32_e32 v2, 64, v1
	s_cbranch_vccnz .LBB237_14
; %bb.11:
	s_waitcnt lgkmcnt(0)
	v_mad_i64_i32 v[3:4], null, v1, s17, 0
	s_delay_alu instid0(VALU_DEP_2) | instskip(SKIP_1) | instid1(VALU_DEP_1)
	v_mad_i64_i32 v[8:9], null, v2, s17, 0
	v_add_co_u32 v5, s6, s10, v47
	v_add_co_ci_u32_e64 v10, null, s11, 0, s6
	s_delay_alu instid0(VALU_DEP_4) | instskip(NEXT) | instid1(VALU_DEP_4)
	v_lshlrev_b64 v[3:4], 1, v[3:4]
	v_lshlrev_b64 v[8:9], 1, v[8:9]
	s_delay_alu instid0(VALU_DEP_2) | instskip(NEXT) | instid1(VALU_DEP_3)
	v_add_co_u32 v3, vcc_lo, v5, v3
	v_add_co_ci_u32_e32 v4, vcc_lo, v10, v4, vcc_lo
	s_delay_alu instid0(VALU_DEP_3) | instskip(NEXT) | instid1(VALU_DEP_4)
	v_add_co_u32 v8, vcc_lo, v5, v8
	v_add_co_ci_u32_e32 v9, vcc_lo, v10, v9, vcc_lo
	s_clause 0x1
	flat_load_u16 v3, v[3:4]
	flat_load_u16 v4, v[8:9]
	s_waitcnt vmcnt(1) lgkmcnt(1)
	v_mul_f16_e32 v8, v24, v3
	s_waitcnt vmcnt(0) lgkmcnt(0)
	v_mul_f16_e32 v9, v24, v4
	s_and_b32 vcc_lo, exec_lo, s3
	s_cbranch_vccnz .LBB237_15
.LBB237_12:
	v_mad_i64_i32 v[3:4], null, v0, s16, 0
	s_delay_alu instid0(VALU_DEP_1) | instskip(NEXT) | instid1(VALU_DEP_1)
	v_lshlrev_b64 v[3:4], 1, v[3:4]
	v_add_co_u32 v3, vcc_lo, s12, v3
	s_delay_alu instid0(VALU_DEP_2) | instskip(NEXT) | instid1(VALU_DEP_2)
	v_add_co_ci_u32_e32 v4, vcc_lo, s13, v4, vcc_lo
	v_add_co_u32 v3, vcc_lo, v3, v47
	s_delay_alu instid0(VALU_DEP_2)
	v_add_co_ci_u32_e32 v4, vcc_lo, 0, v4, vcc_lo
	flat_load_u16 v3, v[3:4] offset:8
	s_waitcnt vmcnt(0) lgkmcnt(0)
	v_mul_f16_e32 v3, v24, v3
	s_and_b32 vcc_lo, exec_lo, s3
	s_cbranch_vccnz .LBB237_16
.LBB237_13:
	s_waitcnt lgkmcnt(0)
	v_mad_i64_i32 v[4:5], null, v1, s17, 0
	v_mad_i64_i32 v[10:11], null, v2, s17, 0
	v_add_co_u32 v12, s6, s10, v47
	s_delay_alu instid0(VALU_DEP_1) | instskip(NEXT) | instid1(VALU_DEP_4)
	v_add_co_ci_u32_e64 v13, null, s11, 0, s6
	v_lshlrev_b64 v[4:5], 1, v[4:5]
	s_delay_alu instid0(VALU_DEP_4) | instskip(NEXT) | instid1(VALU_DEP_2)
	v_lshlrev_b64 v[10:11], 1, v[10:11]
	v_add_co_u32 v4, vcc_lo, v12, v4
	s_delay_alu instid0(VALU_DEP_3) | instskip(NEXT) | instid1(VALU_DEP_3)
	v_add_co_ci_u32_e32 v5, vcc_lo, v13, v5, vcc_lo
	v_add_co_u32 v10, vcc_lo, v12, v10
	s_delay_alu instid0(VALU_DEP_4)
	v_add_co_ci_u32_e32 v11, vcc_lo, v13, v11, vcc_lo
	s_clause 0x1
	flat_load_u16 v4, v[4:5] offset:8
	flat_load_u16 v5, v[10:11] offset:8
	s_waitcnt vmcnt(1) lgkmcnt(1)
	v_mul_f16_e32 v4, v24, v4
	s_waitcnt vmcnt(0) lgkmcnt(0)
	v_mul_f16_e32 v5, v24, v5
	s_branch .LBB237_17
.LBB237_14:
	v_dual_mov_b32 v8, 0 :: v_dual_mov_b32 v9, 0
	s_and_b32 vcc_lo, exec_lo, s3
	s_cbranch_vccz .LBB237_12
.LBB237_15:
	v_mov_b32_e32 v3, 0
	s_and_b32 vcc_lo, exec_lo, s3
	s_cbranch_vccz .LBB237_13
.LBB237_16:
	v_dual_mov_b32 v4, 0 :: v_dual_mov_b32 v5, 0
.LBB237_17:
	v_lshlrev_b32_e32 v45, 3, v43
	v_lshl_or_b32 v56, v6, 3, v47
	v_lshlrev_b32_e32 v46, 3, v44
	s_load_b64 s[6:7], s[4:5], 0x0
	s_load_b32 s4, s[0:1], 0x8
	v_add_nc_u32_e32 v22, 0x800, v45
	ds_store_b16 v56, v8
	ds_store_b16 v56, v7 offset:2048
	ds_store_b16 v56, v9 offset:512
	s_waitcnt lgkmcnt(0)
	s_barrier
	buffer_gl0_inv
	ds_load_2addr_b64 v[6:9], v46 offset1:32
	ds_load_2addr_b64 v[10:13], v22 offset0:48 offset1:56
	ds_load_2addr_b64 v[14:17], v46 offset0:64 offset1:96
	ds_load_2addr_b64 v[18:21], v22 offset1:8
	ds_load_2addr_b64 v[26:29], v22 offset0:16 offset1:24
	ds_load_2addr_b64 v[34:37], v22 offset0:32 offset1:40
	ds_store_b16 v56, v4 offset:1024
	ds_store_b16 v56, v3 offset:2560
	;; [unrolled: 1-line block ×3, first 2 shown]
	s_waitcnt lgkmcnt(0)
	s_barrier
	buffer_gl0_inv
	s_cmp_lt_i32 s4, 9
	v_pk_max_f16 v6, v6, v6
	v_pk_max_f16 v8, v8, v8
	;; [unrolled: 1-line block ×8, first 2 shown]
	v_pk_min_f16 v41, v26, v6
	v_pk_min_f16 v42, v26, v8
	v_pk_max_f16 v18, v18, v18
	v_pk_max_f16 v20, v20, v20
	v_pk_min_f16 v22, v12, v6
	v_pk_add_f16 v49, v41, 0
	v_pk_min_f16 v41, v28, v6
	v_pk_add_f16 v50, v42, 0
	v_pk_min_f16 v42, v28, v8
	v_pk_min_f16 v51, v28, v14
	v_pk_max_f16 v36, v36, v36
	v_pk_add_f16 v57, v41, 0
	v_pk_min_f16 v41, v34, v6
	v_pk_add_f16 v58, v42, 0
	v_pk_min_f16 v42, v34, v8
	v_pk_max_f16 v10, v10, v10
	v_pk_max_f16 v7, v7, v7
	v_pk_add_f16 v64, v41, 0
	v_pk_min_f16 v41, v34, v14
	v_pk_min_f16 v34, v34, v16
	v_pk_max_f16 v13, v13, v13
	v_pk_min_f16 v23, v12, v8
	v_pk_min_f16 v30, v12, v14
	;; [unrolled: 1-line block ×8, first 2 shown]
	v_pk_add_f16 v22, v22, 0
	v_pk_min_f16 v40, v20, v14
	v_pk_min_f16 v20, v20, v16
	;; [unrolled: 1-line block ×5, first 2 shown]
	v_pk_add_f16 v59, v51, 0
	v_pk_add_f16 v65, v42, 0
	v_pk_min_f16 v42, v36, v6
	v_pk_min_f16 v51, v36, v8
	v_pk_add_f16 v67, v34, 0
	v_pk_min_f16 v34, v36, v14
	v_pk_min_f16 v36, v36, v16
	;; [unrolled: 1-line block ×6, first 2 shown]
	v_pk_max_f16 v9, v9, v9
	v_pk_min_f16 v12, v12, v16
	v_pk_min_f16 v16, v13, v7
	v_pk_add_f16 v23, v23, 0
	v_pk_add_f16 v70, v34, 0
	v_pk_max_f16 v15, v15, v15
	v_pk_min_f16 v34, v13, v9
	v_pk_max_f16 v19, v19, v19
	v_pk_add_f16 v55, v16, v22
	v_pk_max_f16 v16, v17, v17
	v_pk_add_f16 v31, v31, 0
	v_pk_add_f16 v32, v32, 0
	;; [unrolled: 1-line block ×6, first 2 shown]
	v_pk_min_f16 v17, v19, v7
	v_pk_min_f16 v22, v19, v9
	;; [unrolled: 1-line block ×4, first 2 shown]
	v_pk_max_f16 v21, v21, v21
	v_pk_add_f16 v38, v38, 0
	v_pk_add_f16 v39, v39, 0
	;; [unrolled: 1-line block ×9, first 2 shown]
	v_pk_min_f16 v17, v21, v7
	v_pk_min_f16 v18, v21, v9
	;; [unrolled: 1-line block ×4, first 2 shown]
	v_pk_max_f16 v22, v27, v27
	v_pk_add_f16 v48, v48, 0
	v_pk_add_f16 v26, v26, 0
	v_pk_add_f16 v62, v17, v38
	v_pk_add_f16 v53, v18, v39
	v_pk_add_f16 v40, v19, v40
	v_pk_add_f16 v32, v21, v20
	v_pk_min_f16 v17, v22, v7
	v_pk_min_f16 v18, v22, v9
	;; [unrolled: 1-line block ×4, first 2 shown]
	v_pk_max_f16 v21, v29, v29
	v_pk_add_f16 v30, v30, 0
	v_pk_add_f16 v28, v28, 0
	;; [unrolled: 1-line block ×3, first 2 shown]
	v_pk_min_f16 v36, v13, v15
	v_pk_add_f16 v61, v17, v49
	v_pk_add_f16 v52, v18, v50
	;; [unrolled: 1-line block ×4, first 2 shown]
	v_pk_min_f16 v17, v21, v7
	v_pk_min_f16 v18, v21, v9
	;; [unrolled: 1-line block ×4, first 2 shown]
	v_pk_max_f16 v21, v35, v35
	v_pk_add_f16 v69, v51, 0
	v_pk_add_f16 v34, v36, v30
	;; [unrolled: 1-line block ×6, first 2 shown]
	v_pk_min_f16 v17, v21, v7
	v_pk_min_f16 v18, v21, v9
	;; [unrolled: 1-line block ×4, first 2 shown]
	v_pk_max_f16 v21, v37, v37
	v_pk_max_f16 v11, v11, v11
	v_pk_add_f16 v6, v6, 0
	v_pk_add_f16 v8, v8, 0
	;; [unrolled: 1-line block ×9, first 2 shown]
	v_pk_min_f16 v17, v21, v7
	v_pk_min_f16 v18, v21, v9
	;; [unrolled: 1-line block ×9, first 2 shown]
	v_pk_add_f16 v58, v17, v68
	v_pk_add_f16 v49, v18, v69
	;; [unrolled: 1-line block ×9, first 2 shown]
	s_cbranch_scc1 .LBB237_31
; %bb.18:
	v_mad_i64_i32 v[3:4], null, v0, s16, 0
	v_mad_i64_i32 v[5:6], null, s17, v2, 0
	v_mad_i64_i32 v[7:8], null, s17, v1, 0
	v_add_nc_u32_e32 v64, 0x800, v56
	v_add_nc_u32_e32 v65, 0x800, v45
	v_lshlrev_b64 v[2:3], 1, v[3:4]
	v_add_nc_u32_e32 v66, 0xa00, v56
	v_lshlrev_b64 v[0:1], 1, v[5:6]
	v_add_nc_u32_e32 v67, 0x400, v56
	v_lshl_add_u32 v70, v43, 3, 0xa00
	v_lshl_add_u32 v71, v44, 3, 0x400
	v_add_co_u32 v68, vcc_lo, s12, v2
	v_add_co_ci_u32_e32 v69, vcc_lo, s13, v3, vcc_lo
	v_lshlrev_b64 v[2:3], 1, v[7:8]
	v_add_co_u32 v72, vcc_lo, s10, v0
	v_add_co_ci_u32_e32 v73, vcc_lo, s11, v1, vcc_lo
	s_add_i32 s4, s4, -8
	s_delay_alu instid0(VALU_DEP_3) | instskip(NEXT) | instid1(VALU_DEP_4)
	v_add_co_u32 v74, vcc_lo, s10, v2
	v_add_co_ci_u32_e32 v75, vcc_lo, s11, v3, vcc_lo
	s_mov_b32 s5, 0
	s_branch .LBB237_21
.LBB237_19:                             ;   in Loop: Header=BB237_21 Depth=1
	v_add_co_u32 v0, vcc_lo, v74, v47
	v_add_co_ci_u32_e32 v1, vcc_lo, 0, v75, vcc_lo
	v_add_co_u32 v119, vcc_lo, v72, v47
	v_add_co_ci_u32_e32 v120, vcc_lo, 0, v73, vcc_lo
	flat_load_u16 v0, v[0:1] offset:24
	flat_load_u16 v1, v[119:120] offset:24
	s_waitcnt vmcnt(1) lgkmcnt(1)
	v_mul_f16_e32 v0, v24, v0
	s_waitcnt vmcnt(0) lgkmcnt(0)
	v_mul_f16_e32 v1, v24, v1
.LBB237_20:                             ;   in Loop: Header=BB237_21 Depth=1
	v_pk_add_f16 v16, v16, v34
	v_pk_add_f16 v22, v22, v33
	;; [unrolled: 1-line block ×30, first 2 shown]
	ds_load_2addr_b64 v[26:29], v65 offset0:48 offset1:56
	ds_load_2addr_b64 v[30:33], v46 offset1:32
	ds_load_2addr_b64 v[34:37], v46 offset0:64 offset1:96
	v_pk_add_f16 v80, v116, v40
	v_pk_add_f16 v81, v118, v39
	;; [unrolled: 1-line block ×4, first 2 shown]
	ds_load_2addr_b64 v[38:41], v65 offset1:8
	v_pk_add_f16 v8, v8, v62
	v_pk_add_f16 v49, v91, v49
	;; [unrolled: 1-line block ×12, first 2 shown]
	s_waitcnt lgkmcnt(3)
	v_pk_max_f16 v28, v28, v28
	s_waitcnt lgkmcnt(2)
	v_pk_max_f16 v30, v30, v30
	v_pk_max_f16 v32, v32, v32
	s_waitcnt lgkmcnt(1)
	v_pk_max_f16 v34, v34, v34
	v_pk_add_f16 v15, v15, v49
	v_pk_add_f16 v49, v7, v60
	;; [unrolled: 1-line block ×3, first 2 shown]
	v_pk_min_f16 v6, v28, v30
	v_pk_min_f16 v7, v28, v32
	;; [unrolled: 1-line block ×3, first 2 shown]
	ds_load_2addr_b64 v[2:5], v65 offset0:16 offset1:24
	s_waitcnt lgkmcnt(1)
	v_pk_max_f16 v9, v38, v38
	v_pk_max_f16 v36, v36, v36
	v_pk_add_f16 v14, v108, v14
	v_pk_add_f16 v18, v109, v18
	;; [unrolled: 1-line block ×7, first 2 shown]
	v_pk_min_f16 v6, v9, v30
	v_pk_min_f16 v7, v9, v32
	;; [unrolled: 1-line block ×4, first 2 shown]
	v_pk_add_f16 v57, v94, v57
	v_pk_add_f16 v14, v6, v14
	;; [unrolled: 1-line block ×5, first 2 shown]
	ds_load_2addr_b64 v[6:9], v65 offset0:32 offset1:40
	v_pk_max_f16 v40, v40, v40
	v_pk_add_f16 v17, v17, v55
	v_pk_add_f16 v19, v19, v58
	;; [unrolled: 1-line block ×3, first 2 shown]
	s_waitcnt lgkmcnt(1)
	v_pk_max_f16 v2, v2, v2
	v_pk_min_f16 v55, v40, v30
	v_pk_min_f16 v57, v40, v32
	;; [unrolled: 1-line block ×4, first 2 shown]
	v_pk_max_f16 v4, v4, v4
	v_pk_add_f16 v48, v95, v48
	v_pk_add_f16 v42, v99, v42
	;; [unrolled: 1-line block ×4, first 2 shown]
	v_pk_min_f16 v40, v2, v30
	v_pk_add_f16 v10, v117, v10
	v_pk_add_f16 v52, v102, v52
	;; [unrolled: 1-line block ×5, first 2 shown]
	v_pk_min_f16 v40, v4, v32
	s_waitcnt lgkmcnt(0)
	v_pk_max_f16 v6, v6, v6
	v_pk_add_f16 v59, v55, v63
	v_pk_min_f16 v55, v2, v32
	v_pk_min_f16 v61, v2, v34
	;; [unrolled: 1-line block ×3, first 2 shown]
	v_pk_add_f16 v79, v40, v42
	v_pk_min_f16 v40, v6, v30
	v_pk_add_f16 v51, v101, v51
	v_pk_add_f16 v58, v58, v78
	;; [unrolled: 1-line block ×5, first 2 shown]
	v_pk_min_f16 v11, v4, v30
	v_pk_min_f16 v55, v4, v34
	;; [unrolled: 1-line block ×4, first 2 shown]
	v_pk_max_f16 v8, v8, v8
	v_pk_add_f16 v81, v40, v52
	v_pk_min_f16 v40, v6, v34
	v_pk_max_f16 v26, v26, v26
	v_pk_add_f16 v11, v11, v82
	v_pk_add_f16 v80, v55, v83
	;; [unrolled: 1-line block ×4, first 2 shown]
	v_pk_min_f16 v42, v8, v30
	v_pk_min_f16 v51, v8, v32
	v_pk_add_f16 v83, v40, v50
	v_pk_min_f16 v40, v8, v34
	v_pk_min_f16 v8, v8, v36
	;; [unrolled: 1-line block ×5, first 2 shown]
	v_pk_max_f16 v29, v29, v29
	v_pk_max_f16 v84, v33, v33
	v_pk_add_f16 v8, v8, v19
	v_pk_add_f16 v19, v30, v21
	;; [unrolled: 1-line block ×4, first 2 shown]
	v_pk_max_f16 v48, v31, v31
	v_pk_min_f16 v28, v28, v36
	v_pk_max_f16 v35, v35, v35
	v_pk_min_f16 v31, v29, v84
	v_pk_add_f16 v13, v42, v13
	v_pk_min_f16 v30, v29, v48
	v_pk_add_f16 v85, v28, v54
	v_pk_min_f16 v28, v29, v35
	v_pk_max_f16 v32, v39, v39
	v_pk_add_f16 v42, v31, v12
	v_pk_max_f16 v12, v37, v37
	v_pk_add_f16 v55, v30, v38
	v_pk_add_f16 v34, v28, v16
	v_pk_min_f16 v16, v32, v48
	v_pk_min_f16 v28, v32, v84
	;; [unrolled: 1-line block ×4, first 2 shown]
	v_pk_max_f16 v32, v41, v41
	v_pk_min_f16 v6, v6, v36
	v_pk_add_f16 v63, v16, v14
	v_pk_add_f16 v54, v28, v18
	v_pk_max_f16 v3, v3, v3
	v_pk_min_f16 v14, v32, v48
	v_pk_min_f16 v16, v32, v84
	;; [unrolled: 1-line block ×3, first 2 shown]
	v_pk_add_f16 v6, v6, v53
	v_pk_add_f16 v17, v40, v17
	;; [unrolled: 1-line block ×5, first 2 shown]
	v_pk_min_f16 v14, v3, v48
	v_pk_min_f16 v16, v3, v84
	;; [unrolled: 1-line block ×4, first 2 shown]
	v_pk_max_f16 v5, v5, v5
	v_pk_add_f16 v41, v30, v20
	v_pk_add_f16 v33, v31, v22
	v_pk_min_f16 v20, v32, v12
	v_pk_add_f16 v52, v16, v10
	v_pk_add_f16 v31, v3, v2
	v_pk_min_f16 v2, v5, v48
	v_pk_min_f16 v3, v5, v84
	;; [unrolled: 1-line block ×4, first 2 shown]
	v_pk_max_f16 v7, v7, v7
	v_pk_add_f16 v15, v51, v15
	v_pk_add_f16 v32, v20, v60
	;; [unrolled: 1-line block ×5, first 2 shown]
	v_pk_min_f16 v2, v7, v48
	v_pk_min_f16 v3, v7, v84
	;; [unrolled: 1-line block ×4, first 2 shown]
	v_pk_max_f16 v7, v9, v9
	v_pk_min_f16 v26, v26, v36
	v_pk_add_f16 v59, v2, v81
	v_pk_add_f16 v50, v3, v82
	;; [unrolled: 1-line block ×4, first 2 shown]
	v_pk_min_f16 v2, v7, v48
	v_pk_min_f16 v3, v7, v84
	;; [unrolled: 1-line block ×4, first 2 shown]
	v_pk_max_f16 v6, v27, v27
	v_add_co_u32 v72, vcc_lo, v72, 16
	v_add_co_ci_u32_e32 v73, vcc_lo, 0, v73, vcc_lo
	v_pk_add_f16 v26, v26, v49
	v_pk_add_f16 v58, v2, v13
	;; [unrolled: 1-line block ×5, first 2 shown]
	v_pk_min_f16 v2, v6, v48
	v_pk_min_f16 v3, v6, v84
	v_pk_min_f16 v4, v6, v35
	v_pk_min_f16 v5, v6, v12
	v_pk_min_f16 v6, v29, v12
	v_add_co_u32 v74, vcc_lo, v74, 16
	v_add_co_ci_u32_e32 v75, vcc_lo, 0, v75, vcc_lo
	v_add_co_u32 v68, vcc_lo, v68, 16
	v_pk_add_f16 v61, v14, v77
	v_pk_add_f16 v39, v18, v78
	;; [unrolled: 1-line block ×8, first 2 shown]
	v_add_co_ci_u32_e32 v69, vcc_lo, 0, v69, vcc_lo
	s_add_i32 s5, s5, 8
	ds_store_b16 v66, v76
	ds_store_b16 v67, v0
	ds_store_b16 v67, v1 offset:512
	s_cmp_ge_i32 s5, s4
	s_waitcnt lgkmcnt(0)
	s_barrier
	buffer_gl0_inv
	s_cbranch_scc1 .LBB237_31
.LBB237_21:                             ; =>This Inner Loop Header: Depth=1
	v_mov_b32_e32 v76, 0
	s_and_b32 vcc_lo, exec_lo, s3
	s_cbranch_vccnz .LBB237_23
; %bb.22:                               ;   in Loop: Header=BB237_21 Depth=1
	v_add_co_u32 v0, vcc_lo, v68, v47
	v_add_co_ci_u32_e32 v1, vcc_lo, 0, v69, vcc_lo
	flat_load_u16 v0, v[0:1] offset:16
	s_waitcnt vmcnt(0) lgkmcnt(0)
	v_mul_f16_e32 v76, v24, v0
.LBB237_23:                             ;   in Loop: Header=BB237_21 Depth=1
	s_and_b32 vcc_lo, exec_lo, s3
	s_cbranch_vccnz .LBB237_25
; %bb.24:                               ;   in Loop: Header=BB237_21 Depth=1
	v_add_co_u32 v0, vcc_lo, v74, v47
	v_add_co_ci_u32_e32 v1, vcc_lo, 0, v75, vcc_lo
	v_add_co_u32 v2, vcc_lo, v72, v47
	v_add_co_ci_u32_e32 v3, vcc_lo, 0, v73, vcc_lo
	flat_load_u16 v0, v[0:1] offset:16
	flat_load_u16 v1, v[2:3] offset:16
	s_waitcnt vmcnt(1) lgkmcnt(1)
	v_mul_f16_e32 v77, v24, v0
	s_waitcnt vmcnt(0) lgkmcnt(0)
	v_mul_f16_e32 v78, v24, v1
	s_branch .LBB237_26
.LBB237_25:                             ;   in Loop: Header=BB237_21 Depth=1
	v_dual_mov_b32 v77, 0 :: v_dual_mov_b32 v78, 0
.LBB237_26:                             ;   in Loop: Header=BB237_21 Depth=1
	ds_load_2addr_b64 v[0:3], v70 offset0:48 offset1:56
	ds_load_2addr_b64 v[12:15], v71 offset0:64 offset1:96
	ds_load_2addr_b64 v[20:23], v71 offset1:32
	ds_load_2addr_b64 v[16:19], v70 offset1:8
	ds_load_2addr_b64 v[8:11], v70 offset0:16 offset1:24
	ds_load_2addr_b64 v[4:7], v70 offset0:32 offset1:40
	s_and_b32 vcc_lo, exec_lo, s3
	ds_store_b16 v64, v76
	ds_store_b16 v56, v77
	ds_store_b16 v56, v78 offset:512
	s_waitcnt lgkmcnt(0)
	s_barrier
	buffer_gl0_inv
	s_cbranch_vccnz .LBB237_28
; %bb.27:                               ;   in Loop: Header=BB237_21 Depth=1
	v_add_co_u32 v76, vcc_lo, v68, v47
	v_add_co_ci_u32_e32 v77, vcc_lo, 0, v69, vcc_lo
	flat_load_u16 v76, v[76:77] offset:24
	s_waitcnt vmcnt(0) lgkmcnt(0)
	v_mul_f16_e32 v76, v24, v76
	s_branch .LBB237_29
.LBB237_28:                             ;   in Loop: Header=BB237_21 Depth=1
	v_mov_b32_e32 v76, 0
.LBB237_29:                             ;   in Loop: Header=BB237_21 Depth=1
	v_pk_max_f16 v89, v2, v2
	v_pk_max_f16 v94, v20, v20
	;; [unrolled: 1-line block ×12, first 2 shown]
	v_pk_min_f16 v2, v89, v94
	v_pk_min_f16 v12, v89, v95
	v_pk_min_f16 v16, v89, v96
	v_pk_min_f16 v14, v22, v94
	v_pk_min_f16 v18, v22, v95
	v_pk_min_f16 v20, v22, v96
	v_pk_min_f16 v8, v79, v94
	v_pk_min_f16 v77, v79, v95
	v_pk_min_f16 v78, v79, v96
	v_pk_min_f16 v80, v82, v94
	v_pk_min_f16 v10, v82, v95
	v_pk_min_f16 v81, v82, v96
	v_pk_min_f16 v4, v85, v94
	v_pk_min_f16 v83, v85, v95
	v_pk_min_f16 v84, v85, v96
	v_pk_min_f16 v86, v88, v94
	v_pk_min_f16 v6, v88, v95
	v_pk_min_f16 v87, v88, v96
	v_pk_min_f16 v90, v93, v94
	v_pk_min_f16 v91, v93, v95
	v_pk_min_f16 v92, v93, v96
	v_pk_min_f16 v94, v0, v94
	v_pk_min_f16 v95, v0, v95
	v_pk_min_f16 v96, v0, v96
	v_pk_min_f16 v97, v0, v98
	v_pk_max_f16 v0, v3, v3
	v_pk_max_f16 v21, v21, v21
	;; [unrolled: 1-line block ×9, first 2 shown]
	v_pk_min_f16 v108, v3, v21
	v_pk_min_f16 v109, v3, v23
	;; [unrolled: 1-line block ×4, first 2 shown]
	v_pk_max_f16 v3, v9, v9
	v_pk_max_f16 v9, v11, v11
	v_pk_max_f16 v1, v1, v1
	v_pk_min_f16 v22, v22, v98
	v_pk_min_f16 v79, v79, v98
	;; [unrolled: 1-line block ×35, first 2 shown]
	s_and_b32 vcc_lo, exec_lo, s3
	s_cbranch_vccz .LBB237_19
; %bb.30:                               ;   in Loop: Header=BB237_21 Depth=1
	v_dual_mov_b32 v0, 0 :: v_dual_mov_b32 v1, 0
	s_branch .LBB237_20
.LBB237_31:
	s_load_b32 s5, s[0:1], 0x58
	v_add_nc_u32_e32 v44, s15, v44
	ds_load_b64 v[0:1], v46 offset:1024
	ds_load_b64 v[2:3], v45 offset:2560
	v_add_nc_u32_e32 v22, s14, v43
	v_cmp_neq_f16_e64 s3, 0, v25
	v_mov_b32_e32 v56, 0
	v_mov_b32_e32 v20, 0
	s_delay_alu instid0(VALU_DEP_4) | instskip(NEXT) | instid1(VALU_DEP_4)
	v_ashrrev_i32_e32 v23, 31, v22
	s_and_b32 vcc_lo, exec_lo, s3
	s_delay_alu instid0(VALU_DEP_1) | instskip(SKIP_2) | instid1(VALU_DEP_1)
	v_lshlrev_b64 v[16:17], 1, v[22:23]
	s_waitcnt lgkmcnt(0)
	v_mad_i64_i32 v[4:5], null, v44, s5, 0
	v_lshlrev_b64 v[4:5], 1, v[4:5]
	s_delay_alu instid0(VALU_DEP_1) | instskip(NEXT) | instid1(VALU_DEP_1)
	v_add_co_u32 v67, s4, s8, v4
	v_add_co_ci_u32_e64 v68, s4, s9, v5, s4
	s_cbranch_vccz .LBB237_33
; %bb.32:
	s_delay_alu instid0(VALU_DEP_2) | instskip(NEXT) | instid1(VALU_DEP_2)
	v_add_co_u32 v4, vcc_lo, v67, v16
	v_add_co_ci_u32_e32 v5, vcc_lo, v68, v17, vcc_lo
	flat_load_u16 v4, v[4:5]
	s_waitcnt vmcnt(0) lgkmcnt(0)
	v_mul_f16_e32 v20, v25, v4
.LBB237_33:
	s_clause 0x1
	s_load_b32 s4, s[0:1], 0x70
	s_load_b64 s[0:1], s[0:1], 0x78
	v_pk_max_f16 v70, v0, v0
	v_pk_max_f16 v43, v2, v2
	;; [unrolled: 1-line block ×4, first 2 shown]
	v_add_nc_u32_e32 v5, 0x800, v45
	ds_load_b64 v[23:24], v45 offset:3008
	ds_load_b64 v[18:19], v46 offset:1792
	v_pk_min_f16 v4, v43, v70
	ds_load_2addr_b64 v[0:3], v46 offset0:160 offset1:192
	v_pk_min_f16 v6, v47, v69
	ds_load_2addr_b64 v[12:15], v5 offset0:72 offset1:80
	v_add_nc_u32_e32 v45, 8, v22
	v_pk_add_f16 v4, v4, v63
	v_cndmask_b32_e64 v21, 0, 1, s3
	s_delay_alu instid0(VALU_DEP_3) | instskip(NEXT) | instid1(VALU_DEP_3)
	v_ashrrev_i32_e32 v46, 31, v45
	v_pk_add_f16 v65, v6, v4
	ds_load_2addr_b64 v[8:11], v5 offset0:88 offset1:96
	ds_load_2addr_b64 v[4:7], v5 offset0:104 offset1:112
	s_waitcnt lgkmcnt(0)
	v_mad_i64_i32 v[63:64], null, v44, s4, 0
	s_lshl_b64 s[10:11], s[0:1], 1
	v_lshrrev_b32_e32 v66, 16, v65
	s_add_u32 s1, s6, s10
	s_addc_u32 s6, s7, s11
	v_cmp_ne_u32_e64 s0, 1, v21
	s_delay_alu instid0(VALU_DEP_2) | instskip(NEXT) | instid1(VALU_DEP_4)
	v_add_f16_e32 v21, v65, v66
	v_lshlrev_b64 v[63:64], 1, v[63:64]
	s_delay_alu instid0(VALU_DEP_2) | instskip(SKIP_1) | instid1(VALU_DEP_3)
	v_add_f16_e32 v65, v21, v20
	v_lshlrev_b64 v[20:21], 1, v[45:46]
	v_add_co_u32 v71, vcc_lo, s1, v63
	s_delay_alu instid0(VALU_DEP_4) | instskip(NEXT) | instid1(VALU_DEP_2)
	v_add_co_ci_u32_e32 v72, vcc_lo, s6, v64, vcc_lo
	v_add_co_u32 v63, vcc_lo, v71, v16
	s_delay_alu instid0(VALU_DEP_2)
	v_add_co_ci_u32_e32 v64, vcc_lo, v72, v17, vcc_lo
	s_and_not1_b32 vcc_lo, exec_lo, s3
	global_store_b16 v[63:64], v65, off
	s_cbranch_vccnz .LBB237_35
; %bb.34:
	v_add_co_u32 v45, vcc_lo, v67, v20
	v_add_co_ci_u32_e32 v46, vcc_lo, v68, v21, vcc_lo
	flat_load_u16 v45, v[45:46]
	s_waitcnt vmcnt(0) lgkmcnt(0)
	v_mul_f16_e32 v56, v25, v45
.LBB237_35:
	v_pk_max_f16 v45, v12, v12
	v_pk_max_f16 v46, v13, v13
	v_add_co_u32 v65, vcc_lo, v71, v20
	v_add_co_ci_u32_e32 v66, vcc_lo, v72, v21, vcc_lo
	s_delay_alu instid0(VALU_DEP_4) | instskip(NEXT) | instid1(VALU_DEP_4)
	v_pk_min_f16 v12, v45, v70
	v_pk_min_f16 v13, v46, v69
	v_mov_b32_e32 v64, 0
	s_and_b32 vcc_lo, exec_lo, s0
	s_delay_alu instid0(VALU_DEP_3) | instskip(NEXT) | instid1(VALU_DEP_1)
	v_pk_add_f16 v12, v12, v62
	v_pk_add_f16 v62, v13, v12
	v_add_nc_u32_e32 v12, 16, v22
	s_delay_alu instid0(VALU_DEP_2) | instskip(NEXT) | instid1(VALU_DEP_1)
	v_lshrrev_b32_e32 v63, 16, v62
	v_add_f16_e32 v62, v62, v63
	v_mov_b32_e32 v63, 0
	s_delay_alu instid0(VALU_DEP_4) | instskip(NEXT) | instid1(VALU_DEP_3)
	v_ashrrev_i32_e32 v13, 31, v12
	v_add_f16_e32 v56, v62, v56
	s_delay_alu instid0(VALU_DEP_2)
	v_lshlrev_b64 v[12:13], 1, v[12:13]
	global_store_b16 v[65:66], v56, off
	s_cbranch_vccnz .LBB237_37
; %bb.36:
	v_add_co_u32 v62, vcc_lo, v67, v12
	v_add_co_ci_u32_e32 v63, vcc_lo, v68, v13, vcc_lo
	flat_load_u16 v56, v[62:63]
	s_waitcnt vmcnt(0) lgkmcnt(0)
	v_mul_f16_e32 v63, v25, v56
.LBB237_37:
	v_pk_max_f16 v56, v14, v14
	v_pk_max_f16 v62, v15, v15
	s_delay_alu instid0(VALU_DEP_2) | instskip(NEXT) | instid1(VALU_DEP_2)
	v_pk_min_f16 v14, v56, v70
	v_pk_min_f16 v15, v62, v69
	s_delay_alu instid0(VALU_DEP_2) | instskip(NEXT) | instid1(VALU_DEP_1)
	v_pk_add_f16 v14, v14, v61
	v_pk_add_f16 v61, v15, v14
	v_add_nc_u32_e32 v14, 24, v22
	s_delay_alu instid0(VALU_DEP_2) | instskip(NEXT) | instid1(VALU_DEP_2)
	v_lshrrev_b32_e32 v65, 16, v61
	v_ashrrev_i32_e32 v15, 31, v14
	s_delay_alu instid0(VALU_DEP_2) | instskip(SKIP_1) | instid1(VALU_DEP_3)
	v_add_f16_e32 v61, v61, v65
	v_add_co_u32 v65, vcc_lo, v71, v12
	v_lshlrev_b64 v[14:15], 1, v[14:15]
	v_add_co_ci_u32_e32 v66, vcc_lo, v72, v13, vcc_lo
	s_delay_alu instid0(VALU_DEP_4)
	v_add_f16_e32 v61, v61, v63
	s_and_b32 vcc_lo, exec_lo, s0
	global_store_b16 v[65:66], v61, off
	s_cbranch_vccnz .LBB237_39
; %bb.38:
	v_add_co_u32 v63, vcc_lo, v67, v14
	v_add_co_ci_u32_e32 v64, vcc_lo, v68, v15, vcc_lo
	flat_load_u16 v61, v[63:64]
	s_waitcnt vmcnt(0) lgkmcnt(0)
	v_mul_f16_e32 v64, v25, v61
.LBB237_39:
	v_pk_max_f16 v61, v8, v8
	v_pk_max_f16 v63, v9, v9
	v_add_co_u32 v73, vcc_lo, v71, v14
	v_add_co_ci_u32_e32 v74, vcc_lo, v72, v15, vcc_lo
	s_delay_alu instid0(VALU_DEP_4) | instskip(NEXT) | instid1(VALU_DEP_4)
	v_pk_min_f16 v8, v61, v70
	v_pk_min_f16 v9, v63, v69
	v_mov_b32_e32 v66, 0
	s_and_b32 vcc_lo, exec_lo, s0
	s_delay_alu instid0(VALU_DEP_3) | instskip(NEXT) | instid1(VALU_DEP_1)
	v_pk_add_f16 v8, v8, v60
	v_pk_add_f16 v60, v9, v8
	v_add_nc_u32_e32 v8, 32, v22
	s_delay_alu instid0(VALU_DEP_2) | instskip(NEXT) | instid1(VALU_DEP_1)
	v_lshrrev_b32_e32 v65, 16, v60
	v_add_f16_e32 v60, v60, v65
	v_mov_b32_e32 v65, 0
	s_delay_alu instid0(VALU_DEP_4) | instskip(NEXT) | instid1(VALU_DEP_3)
	v_ashrrev_i32_e32 v9, 31, v8
	v_add_f16_e32 v60, v60, v64
	s_delay_alu instid0(VALU_DEP_2)
	v_lshlrev_b64 v[8:9], 1, v[8:9]
	global_store_b16 v[73:74], v60, off
	s_cbranch_vccnz .LBB237_41
; %bb.40:
	v_add_co_u32 v64, vcc_lo, v67, v8
	v_add_co_ci_u32_e32 v65, vcc_lo, v68, v9, vcc_lo
	flat_load_u16 v60, v[64:65]
	s_waitcnt vmcnt(0) lgkmcnt(0)
	v_mul_f16_e32 v65, v25, v60
.LBB237_41:
	v_pk_max_f16 v60, v10, v10
	v_pk_max_f16 v64, v11, v11
	s_delay_alu instid0(VALU_DEP_2) | instskip(NEXT) | instid1(VALU_DEP_2)
	v_pk_min_f16 v10, v60, v70
	v_pk_min_f16 v11, v64, v69
	s_delay_alu instid0(VALU_DEP_2) | instskip(NEXT) | instid1(VALU_DEP_1)
	v_pk_add_f16 v10, v10, v59
	v_pk_add_f16 v59, v11, v10
	v_add_nc_u32_e32 v10, 40, v22
	s_delay_alu instid0(VALU_DEP_2) | instskip(NEXT) | instid1(VALU_DEP_2)
	v_lshrrev_b32_e32 v73, 16, v59
	v_ashrrev_i32_e32 v11, 31, v10
	s_delay_alu instid0(VALU_DEP_2) | instskip(SKIP_1) | instid1(VALU_DEP_3)
	v_add_f16_e32 v59, v59, v73
	v_add_co_u32 v73, vcc_lo, v71, v8
	v_lshlrev_b64 v[10:11], 1, v[10:11]
	v_add_co_ci_u32_e32 v74, vcc_lo, v72, v9, vcc_lo
	s_delay_alu instid0(VALU_DEP_4)
	v_add_f16_e32 v59, v59, v65
	s_and_b32 vcc_lo, exec_lo, s0
	global_store_b16 v[73:74], v59, off
	s_cbranch_vccnz .LBB237_43
; %bb.42:
	v_add_co_u32 v65, vcc_lo, v67, v10
	v_add_co_ci_u32_e32 v66, vcc_lo, v68, v11, vcc_lo
	flat_load_u16 v59, v[65:66]
	s_waitcnt vmcnt(0) lgkmcnt(0)
	v_mul_f16_e32 v66, v25, v59
.LBB237_43:
	v_pk_max_f16 v59, v4, v4
	v_pk_max_f16 v65, v5, v5
	v_add_co_u32 v75, vcc_lo, v71, v10
	v_add_co_ci_u32_e32 v76, vcc_lo, v72, v11, vcc_lo
	s_delay_alu instid0(VALU_DEP_4) | instskip(NEXT) | instid1(VALU_DEP_4)
	v_pk_min_f16 v4, v59, v70
	v_pk_min_f16 v5, v65, v69
	v_mov_b32_e32 v74, 0
	s_and_b32 vcc_lo, exec_lo, s0
	s_delay_alu instid0(VALU_DEP_3) | instskip(NEXT) | instid1(VALU_DEP_1)
	v_pk_add_f16 v4, v4, v58
	v_pk_add_f16 v58, v5, v4
	v_add_nc_u32_e32 v4, 48, v22
	s_delay_alu instid0(VALU_DEP_2) | instskip(NEXT) | instid1(VALU_DEP_1)
	v_lshrrev_b32_e32 v73, 16, v58
	v_add_f16_e32 v58, v58, v73
	v_mov_b32_e32 v73, 0
	s_delay_alu instid0(VALU_DEP_4) | instskip(NEXT) | instid1(VALU_DEP_3)
	v_ashrrev_i32_e32 v5, 31, v4
	v_add_f16_e32 v58, v58, v66
	s_delay_alu instid0(VALU_DEP_2)
	v_lshlrev_b64 v[4:5], 1, v[4:5]
	global_store_b16 v[75:76], v58, off
	s_cbranch_vccnz .LBB237_45
; %bb.44:
	v_add_co_u32 v74, vcc_lo, v67, v4
	v_add_co_ci_u32_e32 v75, vcc_lo, v68, v5, vcc_lo
	flat_load_u16 v58, v[74:75]
	s_waitcnt vmcnt(0) lgkmcnt(0)
	v_mul_f16_e32 v74, v25, v58
.LBB237_45:
	v_pk_max_f16 v58, v6, v6
	v_pk_max_f16 v66, v7, v7
	v_add_co_u32 v75, vcc_lo, v71, v4
	v_add_co_ci_u32_e32 v76, vcc_lo, v72, v5, vcc_lo
	s_delay_alu instid0(VALU_DEP_4) | instskip(NEXT) | instid1(VALU_DEP_4)
	v_pk_min_f16 v6, v58, v70
	v_pk_min_f16 v7, v66, v69
	s_and_b32 vcc_lo, exec_lo, s0
	s_delay_alu instid0(VALU_DEP_2) | instskip(NEXT) | instid1(VALU_DEP_1)
	v_pk_add_f16 v6, v6, v57
	v_pk_add_f16 v57, v7, v6
	v_add_nc_u32_e32 v6, 56, v22
	s_delay_alu instid0(VALU_DEP_2) | instskip(NEXT) | instid1(VALU_DEP_2)
	v_lshrrev_b32_e32 v22, 16, v57
	v_ashrrev_i32_e32 v7, 31, v6
	s_delay_alu instid0(VALU_DEP_2) | instskip(NEXT) | instid1(VALU_DEP_2)
	v_add_f16_e32 v22, v57, v22
	v_lshlrev_b64 v[6:7], 1, v[6:7]
	s_delay_alu instid0(VALU_DEP_2)
	v_add_f16_e32 v22, v22, v74
	global_store_b16 v[75:76], v22, off
	s_cbranch_vccnz .LBB237_47
; %bb.46:
	v_add_co_u32 v67, vcc_lo, v67, v6
	v_add_co_ci_u32_e32 v68, vcc_lo, v68, v7, vcc_lo
	flat_load_u16 v22, v[67:68]
	s_waitcnt vmcnt(0) lgkmcnt(0)
	v_mul_f16_e32 v73, v25, v22
.LBB237_47:
	v_pk_max_f16 v22, v23, v23
	v_pk_max_f16 v23, v24, v24
	v_dual_mov_b32 v67, 0 :: v_dual_add_nc_u32 v68, 32, v44
	v_add_co_u32 v71, vcc_lo, v71, v6
	s_delay_alu instid0(VALU_DEP_4) | instskip(NEXT) | instid1(VALU_DEP_4)
	v_pk_min_f16 v24, v22, v70
	v_pk_min_f16 v57, v23, v69
	s_delay_alu instid0(VALU_DEP_4) | instskip(SKIP_1) | instid1(VALU_DEP_4)
	v_mad_i64_i32 v[69:70], null, v68, s5, 0
	v_add_co_ci_u32_e32 v72, vcc_lo, v72, v7, vcc_lo
	v_pk_add_f16 v24, v24, v55
	s_delay_alu instid0(VALU_DEP_3) | instskip(NEXT) | instid1(VALU_DEP_2)
	v_lshlrev_b64 v[69:70], 1, v[69:70]
	v_pk_add_f16 v24, v57, v24
	s_delay_alu instid0(VALU_DEP_1) | instskip(NEXT) | instid1(VALU_DEP_1)
	v_lshrrev_b32_e32 v55, 16, v24
	v_add_f16_e32 v57, v24, v55
	s_delay_alu instid0(VALU_DEP_4) | instskip(SKIP_1) | instid1(VALU_DEP_3)
	v_add_co_u32 v24, vcc_lo, s8, v69
	v_add_co_ci_u32_e32 v55, vcc_lo, s9, v70, vcc_lo
	v_add_f16_e32 v57, v57, v73
	v_mov_b32_e32 v69, 0
	s_and_b32 vcc_lo, exec_lo, s0
	global_store_b16 v[71:72], v57, off
	s_cbranch_vccnz .LBB237_49
; %bb.48:
	v_add_co_u32 v69, vcc_lo, v24, v16
	v_add_co_ci_u32_e32 v70, vcc_lo, v55, v17, vcc_lo
	flat_load_u16 v57, v[69:70]
	s_waitcnt vmcnt(0) lgkmcnt(0)
	v_mul_f16_e32 v69, v25, v57
.LBB237_49:
	v_pk_max_f16 v57, v0, v0
	v_pk_max_f16 v0, v1, v1
	v_mad_i64_i32 v[70:71], null, v68, s4, 0
	s_delay_alu instid0(VALU_DEP_3) | instskip(NEXT) | instid1(VALU_DEP_3)
	v_pk_min_f16 v1, v43, v57
	v_pk_min_f16 v72, v47, v0
	s_delay_alu instid0(VALU_DEP_3) | instskip(NEXT) | instid1(VALU_DEP_3)
	v_lshlrev_b64 v[70:71], 1, v[70:71]
	v_pk_add_f16 v1, v1, v54
	s_delay_alu instid0(VALU_DEP_1) | instskip(NEXT) | instid1(VALU_DEP_1)
	v_pk_add_f16 v1, v72, v1
	v_lshrrev_b32_e32 v54, 16, v1
	s_delay_alu instid0(VALU_DEP_1) | instskip(SKIP_2) | instid1(VALU_DEP_3)
	v_add_f16_e32 v68, v1, v54
	v_add_co_u32 v1, vcc_lo, s1, v70
	v_add_co_ci_u32_e32 v54, vcc_lo, s6, v71, vcc_lo
	v_add_f16_e32 v70, v68, v69
	s_delay_alu instid0(VALU_DEP_3) | instskip(NEXT) | instid1(VALU_DEP_3)
	v_add_co_u32 v68, vcc_lo, v1, v16
	v_add_co_ci_u32_e32 v69, vcc_lo, v54, v17, vcc_lo
	s_and_b32 vcc_lo, exec_lo, s0
	global_store_b16 v[68:69], v70, off
	s_cbranch_vccnz .LBB237_51
; %bb.50:
	v_add_co_u32 v67, vcc_lo, v24, v20
	v_add_co_ci_u32_e32 v68, vcc_lo, v55, v21, vcc_lo
	flat_load_u16 v67, v[67:68]
	s_waitcnt vmcnt(0) lgkmcnt(0)
	v_mul_f16_e32 v67, v25, v67
.LBB237_51:
	v_pk_min_f16 v68, v45, v57
	v_pk_min_f16 v69, v46, v0
	s_delay_alu instid0(VALU_DEP_2) | instskip(NEXT) | instid1(VALU_DEP_1)
	v_pk_add_f16 v53, v68, v53
	v_pk_add_f16 v53, v69, v53
	s_delay_alu instid0(VALU_DEP_1) | instskip(NEXT) | instid1(VALU_DEP_1)
	v_lshrrev_b32_e32 v68, 16, v53
	v_add_f16_e32 v53, v53, v68
	v_add_co_u32 v68, vcc_lo, v1, v20
	v_add_co_ci_u32_e32 v69, vcc_lo, v54, v21, vcc_lo
	s_delay_alu instid0(VALU_DEP_3)
	v_add_f16_e32 v70, v53, v67
	v_mov_b32_e32 v53, 0
	v_mov_b32_e32 v67, 0
	s_and_b32 vcc_lo, exec_lo, s0
	global_store_b16 v[68:69], v70, off
	s_cbranch_vccnz .LBB237_53
; %bb.52:
	v_add_co_u32 v67, vcc_lo, v24, v12
	v_add_co_ci_u32_e32 v68, vcc_lo, v55, v13, vcc_lo
	flat_load_u16 v67, v[67:68]
	s_waitcnt vmcnt(0) lgkmcnt(0)
	v_mul_f16_e32 v67, v25, v67
.LBB237_53:
	v_pk_min_f16 v68, v56, v57
	v_pk_min_f16 v69, v62, v0
	s_delay_alu instid0(VALU_DEP_2) | instskip(NEXT) | instid1(VALU_DEP_1)
	v_pk_add_f16 v52, v68, v52
	v_pk_add_f16 v52, v69, v52
	s_delay_alu instid0(VALU_DEP_1) | instskip(NEXT) | instid1(VALU_DEP_1)
	v_lshrrev_b32_e32 v68, 16, v52
	v_add_f16_e32 v52, v52, v68
	s_delay_alu instid0(VALU_DEP_1)
	v_add_f16_e32 v52, v52, v67
	v_add_co_u32 v67, vcc_lo, v1, v12
	v_add_co_ci_u32_e32 v68, vcc_lo, v54, v13, vcc_lo
	s_and_b32 vcc_lo, exec_lo, s0
	global_store_b16 v[67:68], v52, off
	s_cbranch_vccnz .LBB237_55
; %bb.54:
	v_add_co_u32 v52, vcc_lo, v24, v14
	v_add_co_ci_u32_e32 v53, vcc_lo, v55, v15, vcc_lo
	flat_load_u16 v52, v[52:53]
	s_waitcnt vmcnt(0) lgkmcnt(0)
	v_mul_f16_e32 v53, v25, v52
.LBB237_55:
	v_pk_min_f16 v52, v61, v57
	v_pk_min_f16 v67, v63, v0
	s_delay_alu instid0(VALU_DEP_2) | instskip(NEXT) | instid1(VALU_DEP_1)
	v_pk_add_f16 v51, v52, v51
	v_pk_add_f16 v51, v67, v51
	v_add_co_u32 v67, vcc_lo, v1, v14
	v_add_co_ci_u32_e32 v68, vcc_lo, v54, v15, vcc_lo
	s_delay_alu instid0(VALU_DEP_3) | instskip(SKIP_1) | instid1(VALU_DEP_1)
	v_lshrrev_b32_e32 v52, 16, v51
	s_and_b32 vcc_lo, exec_lo, s0
	v_add_f16_e32 v51, v51, v52
	v_mov_b32_e32 v52, 0
	s_delay_alu instid0(VALU_DEP_2)
	v_add_f16_e32 v53, v51, v53
	v_mov_b32_e32 v51, 0
	global_store_b16 v[67:68], v53, off
	s_cbranch_vccnz .LBB237_57
; %bb.56:
	v_add_co_u32 v52, vcc_lo, v24, v8
	v_add_co_ci_u32_e32 v53, vcc_lo, v55, v9, vcc_lo
	flat_load_u16 v52, v[52:53]
	s_waitcnt vmcnt(0) lgkmcnt(0)
	v_mul_f16_e32 v52, v25, v52
.LBB237_57:
	v_pk_min_f16 v53, v60, v57
	v_pk_min_f16 v67, v64, v0
	s_delay_alu instid0(VALU_DEP_2) | instskip(NEXT) | instid1(VALU_DEP_1)
	v_pk_add_f16 v50, v53, v50
	v_pk_add_f16 v50, v67, v50
	s_delay_alu instid0(VALU_DEP_1) | instskip(NEXT) | instid1(VALU_DEP_1)
	v_lshrrev_b32_e32 v53, 16, v50
	v_add_f16_e32 v50, v50, v53
	s_delay_alu instid0(VALU_DEP_1)
	v_add_f16_e32 v50, v50, v52
	v_add_co_u32 v52, vcc_lo, v1, v8
	v_add_co_ci_u32_e32 v53, vcc_lo, v54, v9, vcc_lo
	s_and_b32 vcc_lo, exec_lo, s0
	global_store_b16 v[52:53], v50, off
	s_cbranch_vccnz .LBB237_59
; %bb.58:
	v_add_co_u32 v50, vcc_lo, v24, v10
	v_add_co_ci_u32_e32 v51, vcc_lo, v55, v11, vcc_lo
	flat_load_u16 v50, v[50:51]
	s_waitcnt vmcnt(0) lgkmcnt(0)
	v_mul_f16_e32 v51, v25, v50
.LBB237_59:
	v_pk_min_f16 v50, v59, v57
	v_pk_min_f16 v52, v65, v0
	s_delay_alu instid0(VALU_DEP_2) | instskip(NEXT) | instid1(VALU_DEP_1)
	v_pk_add_f16 v49, v50, v49
	v_pk_add_f16 v49, v52, v49
	v_add_co_u32 v52, vcc_lo, v1, v10
	v_add_co_ci_u32_e32 v53, vcc_lo, v54, v11, vcc_lo
	s_delay_alu instid0(VALU_DEP_3) | instskip(SKIP_1) | instid1(VALU_DEP_1)
	v_lshrrev_b32_e32 v50, 16, v49
	s_and_b32 vcc_lo, exec_lo, s0
	v_add_f16_e32 v49, v49, v50
	v_mov_b32_e32 v50, 0
	s_delay_alu instid0(VALU_DEP_2)
	v_add_f16_e32 v51, v49, v51
	v_mov_b32_e32 v49, 0
	global_store_b16 v[52:53], v51, off
	s_cbranch_vccnz .LBB237_61
; %bb.60:
	v_add_co_u32 v50, vcc_lo, v24, v4
	v_add_co_ci_u32_e32 v51, vcc_lo, v55, v5, vcc_lo
	flat_load_u16 v50, v[50:51]
	s_waitcnt vmcnt(0) lgkmcnt(0)
	v_mul_f16_e32 v50, v25, v50
.LBB237_61:
	v_pk_min_f16 v51, v58, v57
	v_pk_min_f16 v52, v66, v0
	s_delay_alu instid0(VALU_DEP_2) | instskip(NEXT) | instid1(VALU_DEP_1)
	v_pk_add_f16 v48, v51, v48
	v_pk_add_f16 v48, v52, v48
	s_delay_alu instid0(VALU_DEP_1) | instskip(NEXT) | instid1(VALU_DEP_1)
	v_lshrrev_b32_e32 v51, 16, v48
	v_add_f16_e32 v48, v48, v51
	s_delay_alu instid0(VALU_DEP_1)
	v_add_f16_e32 v48, v48, v50
	v_add_co_u32 v50, vcc_lo, v1, v4
	v_add_co_ci_u32_e32 v51, vcc_lo, v54, v5, vcc_lo
	s_and_b32 vcc_lo, exec_lo, s0
	global_store_b16 v[50:51], v48, off
	s_cbranch_vccnz .LBB237_63
; %bb.62:
	v_add_co_u32 v48, vcc_lo, v24, v6
	v_add_co_ci_u32_e32 v49, vcc_lo, v55, v7, vcc_lo
	flat_load_u16 v24, v[48:49]
	s_waitcnt vmcnt(0) lgkmcnt(0)
	v_mul_f16_e32 v49, v25, v24
.LBB237_63:
	v_pk_min_f16 v24, v22, v57
	v_pk_min_f16 v0, v23, v0
	v_add_nc_u32_e32 v50, 64, v44
	v_add_co_u32 v53, vcc_lo, v1, v6
	s_delay_alu instid0(VALU_DEP_4) | instskip(SKIP_2) | instid1(VALU_DEP_3)
	v_pk_add_f16 v24, v24, v42
	v_add_co_ci_u32_e32 v54, vcc_lo, v54, v7, vcc_lo
	v_mov_b32_e32 v48, 0
	v_pk_add_f16 v0, v0, v24
	s_delay_alu instid0(VALU_DEP_1) | instskip(NEXT) | instid1(VALU_DEP_1)
	v_lshrrev_b32_e32 v24, 16, v0
	v_add_f16_e32 v0, v0, v24
	s_delay_alu instid0(VALU_DEP_1) | instskip(SKIP_4) | instid1(VALU_DEP_1)
	v_add_f16_e32 v0, v0, v49
	v_mov_b32_e32 v49, 0
	v_mad_i64_i32 v[51:52], null, v50, s5, 0
	global_store_b16 v[53:54], v0, off
	v_lshlrev_b64 v[51:52], 1, v[51:52]
	v_add_co_u32 v1, vcc_lo, s8, v51
	s_delay_alu instid0(VALU_DEP_2)
	v_add_co_ci_u32_e32 v24, vcc_lo, s9, v52, vcc_lo
	s_and_b32 vcc_lo, exec_lo, s0
	s_cbranch_vccnz .LBB237_65
; %bb.64:
	s_delay_alu instid0(VALU_DEP_2) | instskip(NEXT) | instid1(VALU_DEP_2)
	v_add_co_u32 v51, vcc_lo, v1, v16
	v_add_co_ci_u32_e32 v52, vcc_lo, v24, v17, vcc_lo
	flat_load_u16 v0, v[51:52]
	s_waitcnt vmcnt(0) lgkmcnt(0)
	v_mul_f16_e32 v49, v25, v0
.LBB237_65:
	v_pk_max_f16 v42, v2, v2
	v_pk_max_f16 v0, v3, v3
	s_delay_alu instid0(VALU_DEP_2) | instskip(NEXT) | instid1(VALU_DEP_2)
	v_pk_min_f16 v2, v43, v42
	v_pk_min_f16 v51, v47, v0
	s_delay_alu instid0(VALU_DEP_2) | instskip(SKIP_1) | instid1(VALU_DEP_2)
	v_pk_add_f16 v41, v2, v41
	v_mad_i64_i32 v[2:3], null, v50, s4, 0
	v_pk_add_f16 v41, v51, v41
	s_delay_alu instid0(VALU_DEP_2) | instskip(NEXT) | instid1(VALU_DEP_2)
	v_lshlrev_b64 v[2:3], 1, v[2:3]
	v_lshrrev_b32_e32 v50, 16, v41
	s_delay_alu instid0(VALU_DEP_2) | instskip(NEXT) | instid1(VALU_DEP_2)
	v_add_co_u32 v2, vcc_lo, s1, v2
	v_add_f16_e32 v41, v41, v50
	s_delay_alu instid0(VALU_DEP_4) | instskip(NEXT) | instid1(VALU_DEP_2)
	v_add_co_ci_u32_e32 v3, vcc_lo, s6, v3, vcc_lo
	v_add_f16_e32 v41, v41, v49
	s_delay_alu instid0(VALU_DEP_4) | instskip(NEXT) | instid1(VALU_DEP_3)
	v_add_co_u32 v49, vcc_lo, v2, v16
	v_add_co_ci_u32_e32 v50, vcc_lo, v3, v17, vcc_lo
	s_and_b32 vcc_lo, exec_lo, s0
	global_store_b16 v[49:50], v41, off
	s_cbranch_vccnz .LBB237_67
; %bb.66:
	v_add_co_u32 v48, vcc_lo, v1, v20
	v_add_co_ci_u32_e32 v49, vcc_lo, v24, v21, vcc_lo
	flat_load_u16 v41, v[48:49]
	s_waitcnt vmcnt(0) lgkmcnt(0)
	v_mul_f16_e32 v48, v25, v41
.LBB237_67:
	v_pk_min_f16 v41, v45, v42
	v_pk_min_f16 v49, v46, v0
	s_delay_alu instid0(VALU_DEP_2) | instskip(NEXT) | instid1(VALU_DEP_1)
	v_pk_add_f16 v40, v41, v40
	v_pk_add_f16 v40, v49, v40
	v_add_co_u32 v49, vcc_lo, v2, v20
	v_add_co_ci_u32_e32 v50, vcc_lo, v3, v21, vcc_lo
	s_delay_alu instid0(VALU_DEP_3) | instskip(SKIP_1) | instid1(VALU_DEP_1)
	v_lshrrev_b32_e32 v41, 16, v40
	s_and_b32 vcc_lo, exec_lo, s0
	v_add_f16_e32 v40, v40, v41
	v_mov_b32_e32 v41, 0
	s_delay_alu instid0(VALU_DEP_2)
	v_add_f16_e32 v48, v40, v48
	v_mov_b32_e32 v40, 0
	global_store_b16 v[49:50], v48, off
	s_cbranch_vccnz .LBB237_69
; %bb.68:
	v_add_co_u32 v48, vcc_lo, v1, v12
	v_add_co_ci_u32_e32 v49, vcc_lo, v24, v13, vcc_lo
	flat_load_u16 v41, v[48:49]
	s_waitcnt vmcnt(0) lgkmcnt(0)
	v_mul_f16_e32 v41, v25, v41
.LBB237_69:
	v_pk_min_f16 v48, v56, v42
	v_pk_min_f16 v49, v62, v0
	s_delay_alu instid0(VALU_DEP_2) | instskip(NEXT) | instid1(VALU_DEP_1)
	v_pk_add_f16 v39, v48, v39
	v_pk_add_f16 v39, v49, v39
	s_delay_alu instid0(VALU_DEP_1) | instskip(NEXT) | instid1(VALU_DEP_1)
	v_lshrrev_b32_e32 v48, 16, v39
	v_add_f16_e32 v39, v39, v48
	v_add_co_u32 v48, vcc_lo, v2, v12
	v_add_co_ci_u32_e32 v49, vcc_lo, v3, v13, vcc_lo
	s_delay_alu instid0(VALU_DEP_3)
	v_add_f16_e32 v39, v39, v41
	s_and_b32 vcc_lo, exec_lo, s0
	global_store_b16 v[48:49], v39, off
	s_cbranch_vccnz .LBB237_71
; %bb.70:
	v_add_co_u32 v39, vcc_lo, v1, v14
	v_add_co_ci_u32_e32 v40, vcc_lo, v24, v15, vcc_lo
	flat_load_u16 v39, v[39:40]
	s_waitcnt vmcnt(0) lgkmcnt(0)
	v_mul_f16_e32 v40, v25, v39
.LBB237_71:
	v_pk_min_f16 v39, v61, v42
	v_pk_min_f16 v41, v63, v0
	v_add_co_u32 v48, vcc_lo, v2, v14
	v_add_co_ci_u32_e32 v49, vcc_lo, v3, v15, vcc_lo
	s_delay_alu instid0(VALU_DEP_4) | instskip(SKIP_1) | instid1(VALU_DEP_1)
	v_pk_add_f16 v38, v39, v38
	s_and_b32 vcc_lo, exec_lo, s0
	v_pk_add_f16 v38, v41, v38
	s_delay_alu instid0(VALU_DEP_1) | instskip(NEXT) | instid1(VALU_DEP_1)
	v_lshrrev_b32_e32 v39, 16, v38
	v_add_f16_e32 v38, v38, v39
	v_mov_b32_e32 v39, 0
	s_delay_alu instid0(VALU_DEP_2)
	v_add_f16_e32 v40, v38, v40
	v_mov_b32_e32 v38, 0
	global_store_b16 v[48:49], v40, off
	s_cbranch_vccnz .LBB237_73
; %bb.72:
	v_add_co_u32 v39, vcc_lo, v1, v8
	v_add_co_ci_u32_e32 v40, vcc_lo, v24, v9, vcc_lo
	flat_load_u16 v39, v[39:40]
	s_waitcnt vmcnt(0) lgkmcnt(0)
	v_mul_f16_e32 v39, v25, v39
.LBB237_73:
	v_pk_min_f16 v40, v60, v42
	v_pk_min_f16 v41, v64, v0
	s_delay_alu instid0(VALU_DEP_2) | instskip(NEXT) | instid1(VALU_DEP_1)
	v_pk_add_f16 v37, v40, v37
	v_pk_add_f16 v37, v41, v37
	s_delay_alu instid0(VALU_DEP_1) | instskip(NEXT) | instid1(VALU_DEP_1)
	v_lshrrev_b32_e32 v40, 16, v37
	v_add_f16_e32 v37, v37, v40
	s_delay_alu instid0(VALU_DEP_1)
	v_add_f16_e32 v37, v37, v39
	v_add_co_u32 v39, vcc_lo, v2, v8
	v_add_co_ci_u32_e32 v40, vcc_lo, v3, v9, vcc_lo
	s_and_b32 vcc_lo, exec_lo, s0
	global_store_b16 v[39:40], v37, off
	s_cbranch_vccnz .LBB237_75
; %bb.74:
	v_add_co_u32 v37, vcc_lo, v1, v10
	v_add_co_ci_u32_e32 v38, vcc_lo, v24, v11, vcc_lo
	flat_load_u16 v37, v[37:38]
	s_waitcnt vmcnt(0) lgkmcnt(0)
	v_mul_f16_e32 v38, v25, v37
.LBB237_75:
	v_pk_min_f16 v37, v59, v42
	v_pk_min_f16 v39, v65, v0
	s_delay_alu instid0(VALU_DEP_2) | instskip(NEXT) | instid1(VALU_DEP_1)
	v_pk_add_f16 v36, v37, v36
	v_pk_add_f16 v36, v39, v36
	v_add_co_u32 v39, vcc_lo, v2, v10
	v_add_co_ci_u32_e32 v40, vcc_lo, v3, v11, vcc_lo
	s_delay_alu instid0(VALU_DEP_3) | instskip(SKIP_1) | instid1(VALU_DEP_1)
	v_lshrrev_b32_e32 v37, 16, v36
	s_and_b32 vcc_lo, exec_lo, s0
	v_add_f16_e32 v36, v36, v37
	v_mov_b32_e32 v37, 0
	s_delay_alu instid0(VALU_DEP_2)
	v_add_f16_e32 v38, v36, v38
	v_mov_b32_e32 v36, 0
	global_store_b16 v[39:40], v38, off
	s_cbranch_vccnz .LBB237_77
; %bb.76:
	v_add_co_u32 v37, vcc_lo, v1, v4
	v_add_co_ci_u32_e32 v38, vcc_lo, v24, v5, vcc_lo
	flat_load_u16 v37, v[37:38]
	s_waitcnt vmcnt(0) lgkmcnt(0)
	v_mul_f16_e32 v37, v25, v37
.LBB237_77:
	v_pk_min_f16 v38, v58, v42
	v_pk_min_f16 v39, v66, v0
	s_delay_alu instid0(VALU_DEP_2) | instskip(NEXT) | instid1(VALU_DEP_1)
	v_pk_add_f16 v35, v38, v35
	v_pk_add_f16 v35, v39, v35
	s_delay_alu instid0(VALU_DEP_1) | instskip(NEXT) | instid1(VALU_DEP_1)
	v_lshrrev_b32_e32 v38, 16, v35
	v_add_f16_e32 v35, v35, v38
	s_delay_alu instid0(VALU_DEP_1)
	v_add_f16_e32 v35, v35, v37
	v_add_co_u32 v37, vcc_lo, v2, v4
	v_add_co_ci_u32_e32 v38, vcc_lo, v3, v5, vcc_lo
	s_and_b32 vcc_lo, exec_lo, s0
	global_store_b16 v[37:38], v35, off
	s_cbranch_vccnz .LBB237_79
; %bb.78:
	v_add_co_u32 v35, vcc_lo, v1, v6
	v_add_co_ci_u32_e32 v36, vcc_lo, v24, v7, vcc_lo
	flat_load_u16 v1, v[35:36]
	s_waitcnt vmcnt(0) lgkmcnt(0)
	v_mul_f16_e32 v36, v25, v1
.LBB237_79:
	v_pk_min_f16 v1, v22, v42
	v_pk_min_f16 v24, v23, v0
	v_add_nc_u32_e32 v35, 0x60, v44
	v_add_co_u32 v2, vcc_lo, v2, v6
	s_delay_alu instid0(VALU_DEP_4) | instskip(SKIP_1) | instid1(VALU_DEP_2)
	v_pk_add_f16 v34, v1, v34
	v_add_co_ci_u32_e32 v3, vcc_lo, v3, v7, vcc_lo
	v_pk_add_f16 v24, v24, v34
	s_delay_alu instid0(VALU_DEP_1) | instskip(NEXT) | instid1(VALU_DEP_1)
	v_lshrrev_b32_e32 v34, 16, v24
	v_add_f16_e32 v24, v24, v34
	v_mov_b32_e32 v34, 0
	s_delay_alu instid0(VALU_DEP_2) | instskip(SKIP_4) | instid1(VALU_DEP_1)
	v_add_f16_e32 v36, v24, v36
	v_mov_b32_e32 v24, 0
	v_mad_i64_i32 v[0:1], null, v35, s5, 0
	global_store_b16 v[2:3], v36, off
	v_lshlrev_b64 v[0:1], 1, v[0:1]
	v_add_co_u32 v0, vcc_lo, s8, v0
	s_delay_alu instid0(VALU_DEP_2)
	v_add_co_ci_u32_e32 v1, vcc_lo, s9, v1, vcc_lo
	s_and_b32 vcc_lo, exec_lo, s0
	s_cbranch_vccnz .LBB237_81
; %bb.80:
	s_delay_alu instid0(VALU_DEP_2) | instskip(NEXT) | instid1(VALU_DEP_2)
	v_add_co_u32 v2, vcc_lo, v0, v16
	v_add_co_ci_u32_e32 v3, vcc_lo, v1, v17, vcc_lo
	flat_load_u16 v2, v[2:3]
	s_waitcnt vmcnt(0) lgkmcnt(0)
	v_mul_f16_e32 v34, v25, v2
.LBB237_81:
	v_pk_max_f16 v2, v18, v18
	v_pk_max_f16 v3, v19, v19
	s_delay_alu instid0(VALU_DEP_2) | instskip(NEXT) | instid1(VALU_DEP_2)
	v_pk_min_f16 v18, v43, v2
	v_pk_min_f16 v36, v47, v3
	s_delay_alu instid0(VALU_DEP_2) | instskip(SKIP_1) | instid1(VALU_DEP_2)
	v_pk_add_f16 v33, v18, v33
	v_mad_i64_i32 v[18:19], null, v35, s4, 0
	v_pk_add_f16 v33, v36, v33
	s_delay_alu instid0(VALU_DEP_2) | instskip(NEXT) | instid1(VALU_DEP_2)
	v_lshlrev_b64 v[18:19], 1, v[18:19]
	v_lshrrev_b32_e32 v35, 16, v33
	s_delay_alu instid0(VALU_DEP_2) | instskip(NEXT) | instid1(VALU_DEP_2)
	v_add_co_u32 v18, vcc_lo, s1, v18
	v_add_f16_e32 v33, v33, v35
	s_delay_alu instid0(VALU_DEP_4) | instskip(NEXT) | instid1(VALU_DEP_3)
	v_add_co_ci_u32_e32 v19, vcc_lo, s6, v19, vcc_lo
	v_add_co_u32 v16, vcc_lo, v18, v16
	s_delay_alu instid0(VALU_DEP_3) | instskip(NEXT) | instid1(VALU_DEP_3)
	v_add_f16_e32 v33, v33, v34
	v_add_co_ci_u32_e32 v17, vcc_lo, v19, v17, vcc_lo
	s_and_b32 vcc_lo, exec_lo, s0
	global_store_b16 v[16:17], v33, off
	s_cbranch_vccnz .LBB237_83
; %bb.82:
	v_add_co_u32 v16, vcc_lo, v0, v20
	v_add_co_ci_u32_e32 v17, vcc_lo, v1, v21, vcc_lo
	flat_load_u16 v16, v[16:17]
	s_waitcnt vmcnt(0) lgkmcnt(0)
	v_mul_f16_e32 v24, v25, v16
.LBB237_83:
	v_pk_min_f16 v16, v45, v2
	v_pk_min_f16 v17, v46, v3
	v_add_co_u32 v20, vcc_lo, v18, v20
	v_add_co_ci_u32_e32 v21, vcc_lo, v19, v21, vcc_lo
	s_delay_alu instid0(VALU_DEP_4) | instskip(SKIP_1) | instid1(VALU_DEP_1)
	v_pk_add_f16 v16, v16, v32
	s_and_b32 vcc_lo, exec_lo, s0
	v_pk_add_f16 v16, v17, v16
	s_delay_alu instid0(VALU_DEP_1) | instskip(NEXT) | instid1(VALU_DEP_1)
	v_lshrrev_b32_e32 v17, 16, v16
	v_add_f16_e32 v16, v16, v17
	v_mov_b32_e32 v17, 0
	s_delay_alu instid0(VALU_DEP_2)
	v_add_f16_e32 v24, v16, v24
	v_mov_b32_e32 v16, 0
	global_store_b16 v[20:21], v24, off
	s_cbranch_vccnz .LBB237_85
; %bb.84:
	v_add_co_u32 v20, vcc_lo, v0, v12
	v_add_co_ci_u32_e32 v21, vcc_lo, v1, v13, vcc_lo
	flat_load_u16 v17, v[20:21]
	s_waitcnt vmcnt(0) lgkmcnt(0)
	v_mul_f16_e32 v17, v25, v17
.LBB237_85:
	v_pk_min_f16 v20, v56, v2
	v_pk_min_f16 v21, v62, v3
	v_add_co_u32 v12, vcc_lo, v18, v12
	v_add_co_ci_u32_e32 v13, vcc_lo, v19, v13, vcc_lo
	s_delay_alu instid0(VALU_DEP_4) | instskip(SKIP_1) | instid1(VALU_DEP_1)
	v_pk_add_f16 v20, v20, v31
	s_and_b32 vcc_lo, exec_lo, s0
	v_pk_add_f16 v20, v21, v20
	s_delay_alu instid0(VALU_DEP_1) | instskip(NEXT) | instid1(VALU_DEP_1)
	v_lshrrev_b32_e32 v21, 16, v20
	v_add_f16_e32 v20, v20, v21
	s_delay_alu instid0(VALU_DEP_1)
	v_add_f16_e32 v17, v20, v17
	global_store_b16 v[12:13], v17, off
	s_cbranch_vccnz .LBB237_87
; %bb.86:
	v_add_co_u32 v12, vcc_lo, v0, v14
	v_add_co_ci_u32_e32 v13, vcc_lo, v1, v15, vcc_lo
	flat_load_u16 v12, v[12:13]
	s_waitcnt vmcnt(0) lgkmcnt(0)
	v_mul_f16_e32 v16, v25, v12
.LBB237_87:
	v_pk_min_f16 v12, v61, v2
	v_pk_min_f16 v13, v63, v3
	v_add_co_u32 v14, vcc_lo, v18, v14
	v_add_co_ci_u32_e32 v15, vcc_lo, v19, v15, vcc_lo
	s_delay_alu instid0(VALU_DEP_4) | instskip(SKIP_1) | instid1(VALU_DEP_1)
	v_pk_add_f16 v12, v12, v30
	s_and_b32 vcc_lo, exec_lo, s0
	v_pk_add_f16 v12, v13, v12
	s_delay_alu instid0(VALU_DEP_1) | instskip(NEXT) | instid1(VALU_DEP_1)
	v_lshrrev_b32_e32 v13, 16, v12
	v_add_f16_e32 v12, v12, v13
	v_mov_b32_e32 v13, 0
	s_delay_alu instid0(VALU_DEP_2)
	v_add_f16_e32 v16, v12, v16
	v_mov_b32_e32 v12, 0
	global_store_b16 v[14:15], v16, off
	s_cbranch_vccnz .LBB237_89
; %bb.88:
	v_add_co_u32 v13, vcc_lo, v0, v8
	v_add_co_ci_u32_e32 v14, vcc_lo, v1, v9, vcc_lo
	flat_load_u16 v13, v[13:14]
	s_waitcnt vmcnt(0) lgkmcnt(0)
	v_mul_f16_e32 v13, v25, v13
.LBB237_89:
	v_pk_min_f16 v14, v60, v2
	v_pk_min_f16 v15, v64, v3
	v_add_co_u32 v8, vcc_lo, v18, v8
	v_add_co_ci_u32_e32 v9, vcc_lo, v19, v9, vcc_lo
	s_delay_alu instid0(VALU_DEP_4) | instskip(SKIP_1) | instid1(VALU_DEP_1)
	v_pk_add_f16 v14, v14, v28
	s_and_b32 vcc_lo, exec_lo, s0
	v_pk_add_f16 v14, v15, v14
	s_delay_alu instid0(VALU_DEP_1) | instskip(NEXT) | instid1(VALU_DEP_1)
	v_lshrrev_b32_e32 v15, 16, v14
	v_add_f16_e32 v14, v14, v15
	s_delay_alu instid0(VALU_DEP_1)
	v_add_f16_e32 v13, v14, v13
	global_store_b16 v[8:9], v13, off
	s_cbranch_vccnz .LBB237_91
; %bb.90:
	v_add_co_u32 v8, vcc_lo, v0, v10
	v_add_co_ci_u32_e32 v9, vcc_lo, v1, v11, vcc_lo
	flat_load_u16 v8, v[8:9]
	s_waitcnt vmcnt(0) lgkmcnt(0)
	v_mul_f16_e32 v12, v25, v8
.LBB237_91:
	v_pk_min_f16 v8, v59, v2
	v_pk_min_f16 v9, v65, v3
	;; [unrolled: 1-line block ×3, first 2 shown]
	s_delay_alu instid0(VALU_DEP_3) | instskip(NEXT) | instid1(VALU_DEP_2)
	v_pk_add_f16 v8, v8, v27
	v_pk_add_f16 v13, v13, v29
	s_delay_alu instid0(VALU_DEP_2) | instskip(SKIP_1) | instid1(VALU_DEP_2)
	v_pk_add_f16 v8, v9, v8
	v_pk_min_f16 v9, v66, v3
	v_lshrrev_b32_e32 v14, 16, v8
	s_delay_alu instid0(VALU_DEP_2) | instskip(SKIP_2) | instid1(VALU_DEP_4)
	v_pk_add_f16 v13, v9, v13
	v_add_co_u32 v9, vcc_lo, v18, v10
	v_add_co_ci_u32_e32 v10, vcc_lo, v19, v11, vcc_lo
	v_add_f16_e32 v8, v8, v14
	s_delay_alu instid0(VALU_DEP_4) | instskip(SKIP_1) | instid1(VALU_DEP_2)
	v_lshrrev_b32_e32 v11, 16, v13
	s_mov_b32 vcc_lo, s2
	v_add_f16_e32 v12, v8, v12
	s_delay_alu instid0(VALU_DEP_2)
	v_add_f16_e32 v8, v13, v11
	global_store_b16 v[9:10], v12, off
	s_cbranch_vccz .LBB237_94
; %bb.92:
	v_add_co_u32 v9, vcc_lo, v18, v4
	v_add_f16_e32 v11, 0, v8
	v_add_co_ci_u32_e32 v10, vcc_lo, v19, v5, vcc_lo
	s_mov_b32 s0, 0
	global_store_b16 v[9:10], v11, off
	s_cbranch_execz .LBB237_95
; %bb.93:
	v_mov_b32_e32 v0, s0
	s_branch .LBB237_96
.LBB237_94:
	s_mov_b32 s0, -1
.LBB237_95:
	v_add_co_u32 v9, vcc_lo, v0, v4
	v_add_co_ci_u32_e32 v10, vcc_lo, v1, v5, vcc_lo
	v_add_co_u32 v4, vcc_lo, v18, v4
	v_add_co_ci_u32_e32 v5, vcc_lo, v19, v5, vcc_lo
	flat_load_u16 v9, v[9:10]
	v_add_co_u32 v0, vcc_lo, v0, v6
	v_add_co_ci_u32_e32 v1, vcc_lo, v1, v7, vcc_lo
	s_waitcnt vmcnt(0) lgkmcnt(0)
	v_fmac_f16_e32 v8, v25, v9
	global_store_b16 v[4:5], v8, off
	flat_load_u16 v0, v[0:1]
	s_waitcnt vmcnt(0) lgkmcnt(0)
	v_mul_f16_e32 v0, v25, v0
.LBB237_96:
	v_pk_min_f16 v1, v22, v2
	v_pk_min_f16 v2, v23, v3
	s_delay_alu instid0(VALU_DEP_2) | instskip(NEXT) | instid1(VALU_DEP_1)
	v_pk_add_f16 v1, v1, v26
	v_pk_add_f16 v1, v2, v1
	s_delay_alu instid0(VALU_DEP_1) | instskip(NEXT) | instid1(VALU_DEP_1)
	v_lshrrev_b32_e32 v2, 16, v1
	v_add_f16_e32 v1, v1, v2
	s_delay_alu instid0(VALU_DEP_1)
	v_add_f16_e32 v2, v1, v0
	v_add_co_u32 v0, vcc_lo, v18, v6
	v_add_co_ci_u32_e32 v1, vcc_lo, v19, v7, vcc_lo
	global_store_b16 v[0:1], v2, off
	s_nop 0
	s_sendmsg sendmsg(MSG_DEALLOC_VGPRS)
	s_endpgm
	.section	.rodata,"a",@progbits
	.p2align	6, 0x0
	.amdhsa_kernel _ZN12_GLOBAL__N_120geam_min_plus_kernelIDF16_Dv2_DF16_S1_Li8ELi32ELi64ELi128ELi4ELi4ELi64ELi4ELi64ELc84ELc78ELb0ELb0ELb0EPKDF16_KS3_KPDF16_EEviiiT16_PT17_ilS9_ilS7_S9_ilPT18_ili26rocblas_geam_ex_operation_
		.amdhsa_group_segment_fixed_size 3072
		.amdhsa_private_segment_fixed_size 0
		.amdhsa_kernarg_size 136
		.amdhsa_user_sgpr_count 14
		.amdhsa_user_sgpr_dispatch_ptr 0
		.amdhsa_user_sgpr_queue_ptr 0
		.amdhsa_user_sgpr_kernarg_segment_ptr 1
		.amdhsa_user_sgpr_dispatch_id 0
		.amdhsa_user_sgpr_private_segment_size 0
		.amdhsa_wavefront_size32 1
		.amdhsa_uses_dynamic_stack 0
		.amdhsa_enable_private_segment 0
		.amdhsa_system_sgpr_workgroup_id_x 1
		.amdhsa_system_sgpr_workgroup_id_y 0
		.amdhsa_system_sgpr_workgroup_id_z 1
		.amdhsa_system_sgpr_workgroup_info 0
		.amdhsa_system_vgpr_workitem_id 1
		.amdhsa_next_free_vgpr 121
		.amdhsa_next_free_sgpr 24
		.amdhsa_reserve_vcc 1
		.amdhsa_float_round_mode_32 0
		.amdhsa_float_round_mode_16_64 0
		.amdhsa_float_denorm_mode_32 3
		.amdhsa_float_denorm_mode_16_64 3
		.amdhsa_dx10_clamp 1
		.amdhsa_ieee_mode 1
		.amdhsa_fp16_overflow 0
		.amdhsa_workgroup_processor_mode 1
		.amdhsa_memory_ordered 1
		.amdhsa_forward_progress 0
		.amdhsa_shared_vgpr_count 0
		.amdhsa_exception_fp_ieee_invalid_op 0
		.amdhsa_exception_fp_denorm_src 0
		.amdhsa_exception_fp_ieee_div_zero 0
		.amdhsa_exception_fp_ieee_overflow 0
		.amdhsa_exception_fp_ieee_underflow 0
		.amdhsa_exception_fp_ieee_inexact 0
		.amdhsa_exception_int_div_zero 0
	.end_amdhsa_kernel
	.section	.text._ZN12_GLOBAL__N_120geam_min_plus_kernelIDF16_Dv2_DF16_S1_Li8ELi32ELi64ELi128ELi4ELi4ELi64ELi4ELi64ELc84ELc78ELb0ELb0ELb0EPKDF16_KS3_KPDF16_EEviiiT16_PT17_ilS9_ilS7_S9_ilPT18_ili26rocblas_geam_ex_operation_,"axG",@progbits,_ZN12_GLOBAL__N_120geam_min_plus_kernelIDF16_Dv2_DF16_S1_Li8ELi32ELi64ELi128ELi4ELi4ELi64ELi4ELi64ELc84ELc78ELb0ELb0ELb0EPKDF16_KS3_KPDF16_EEviiiT16_PT17_ilS9_ilS7_S9_ilPT18_ili26rocblas_geam_ex_operation_,comdat
.Lfunc_end237:
	.size	_ZN12_GLOBAL__N_120geam_min_plus_kernelIDF16_Dv2_DF16_S1_Li8ELi32ELi64ELi128ELi4ELi4ELi64ELi4ELi64ELc84ELc78ELb0ELb0ELb0EPKDF16_KS3_KPDF16_EEviiiT16_PT17_ilS9_ilS7_S9_ilPT18_ili26rocblas_geam_ex_operation_, .Lfunc_end237-_ZN12_GLOBAL__N_120geam_min_plus_kernelIDF16_Dv2_DF16_S1_Li8ELi32ELi64ELi128ELi4ELi4ELi64ELi4ELi64ELc84ELc78ELb0ELb0ELb0EPKDF16_KS3_KPDF16_EEviiiT16_PT17_ilS9_ilS7_S9_ilPT18_ili26rocblas_geam_ex_operation_
                                        ; -- End function
	.section	.AMDGPU.csdata,"",@progbits
; Kernel info:
; codeLenInByte = 10100
; NumSgprs: 26
; NumVgprs: 121
; ScratchSize: 0
; MemoryBound: 0
; FloatMode: 240
; IeeeMode: 1
; LDSByteSize: 3072 bytes/workgroup (compile time only)
; SGPRBlocks: 3
; VGPRBlocks: 15
; NumSGPRsForWavesPerEU: 26
; NumVGPRsForWavesPerEU: 121
; Occupancy: 10
; WaveLimiterHint : 1
; COMPUTE_PGM_RSRC2:SCRATCH_EN: 0
; COMPUTE_PGM_RSRC2:USER_SGPR: 14
; COMPUTE_PGM_RSRC2:TRAP_HANDLER: 0
; COMPUTE_PGM_RSRC2:TGID_X_EN: 1
; COMPUTE_PGM_RSRC2:TGID_Y_EN: 0
; COMPUTE_PGM_RSRC2:TGID_Z_EN: 1
; COMPUTE_PGM_RSRC2:TIDIG_COMP_CNT: 1
	.section	.text._ZN12_GLOBAL__N_120geam_min_plus_kernelIDF16_Dv2_DF16_S1_Li8ELi32ELi64ELi128ELi4ELi4ELi64ELi4ELi64ELc84ELc78ELb1ELb0ELb0EDF16_KPKDF16_KPDF16_EEviiiT16_PT17_ilS9_ilS7_S9_ilPT18_ili26rocblas_geam_ex_operation_,"axG",@progbits,_ZN12_GLOBAL__N_120geam_min_plus_kernelIDF16_Dv2_DF16_S1_Li8ELi32ELi64ELi128ELi4ELi4ELi64ELi4ELi64ELc84ELc78ELb1ELb0ELb0EDF16_KPKDF16_KPDF16_EEviiiT16_PT17_ilS9_ilS7_S9_ilPT18_ili26rocblas_geam_ex_operation_,comdat
	.globl	_ZN12_GLOBAL__N_120geam_min_plus_kernelIDF16_Dv2_DF16_S1_Li8ELi32ELi64ELi128ELi4ELi4ELi64ELi4ELi64ELc84ELc78ELb1ELb0ELb0EDF16_KPKDF16_KPDF16_EEviiiT16_PT17_ilS9_ilS7_S9_ilPT18_ili26rocblas_geam_ex_operation_ ; -- Begin function _ZN12_GLOBAL__N_120geam_min_plus_kernelIDF16_Dv2_DF16_S1_Li8ELi32ELi64ELi128ELi4ELi4ELi64ELi4ELi64ELc84ELc78ELb1ELb0ELb0EDF16_KPKDF16_KPDF16_EEviiiT16_PT17_ilS9_ilS7_S9_ilPT18_ili26rocblas_geam_ex_operation_
	.p2align	8
	.type	_ZN12_GLOBAL__N_120geam_min_plus_kernelIDF16_Dv2_DF16_S1_Li8ELi32ELi64ELi128ELi4ELi4ELi64ELi4ELi64ELc84ELc78ELb1ELb0ELb0EDF16_KPKDF16_KPDF16_EEviiiT16_PT17_ilS9_ilS7_S9_ilPT18_ili26rocblas_geam_ex_operation_,@function
_ZN12_GLOBAL__N_120geam_min_plus_kernelIDF16_Dv2_DF16_S1_Li8ELi32ELi64ELi128ELi4ELi4ELi64ELi4ELi64ELc84ELc78ELb1ELb0ELb0EDF16_KPKDF16_KPDF16_EEviiiT16_PT17_ilS9_ilS7_S9_ilPT18_ili26rocblas_geam_ex_operation_: ; @_ZN12_GLOBAL__N_120geam_min_plus_kernelIDF16_Dv2_DF16_S1_Li8ELi32ELi64ELi128ELi4ELi4ELi64ELi4ELi64ELc84ELc78ELb1ELb0ELb0EDF16_KPKDF16_KPDF16_EEviiiT16_PT17_ilS9_ilS7_S9_ilPT18_ili26rocblas_geam_ex_operation_
; %bb.0:
	s_clause 0x1
	s_load_b64 s[8:9], s[0:1], 0x8
	s_load_b128 s[4:7], s[0:1], 0x20
	s_mov_b32 s16, s15
	s_mov_b32 s17, 0
	s_waitcnt lgkmcnt(0)
	v_cmp_eq_f16_e64 s2, s9, 0
	s_delay_alu instid0(VALU_DEP_1)
	s_and_b32 vcc_lo, exec_lo, s2
	s_cbranch_vccnz .LBB238_3
; %bb.1:
	s_load_b64 s[10:11], s[0:1], 0x10
	s_lshl_b64 s[12:13], s[16:17], 3
	s_waitcnt lgkmcnt(0)
	s_add_u32 s10, s10, s12
	s_addc_u32 s11, s11, s13
	s_lshl_b64 s[4:5], s[4:5], 1
	s_load_b64 s[10:11], s[10:11], 0x0
	s_waitcnt lgkmcnt(0)
	s_add_u32 s12, s10, s4
	s_addc_u32 s13, s11, s5
	s_and_not1_b32 vcc_lo, exec_lo, s2
	s_cbranch_vccnz .LBB238_4
.LBB238_2:
	s_mov_b64 s[10:11], 0
	s_and_not1_b32 vcc_lo, exec_lo, s17
	s_cbranch_vccz .LBB238_5
	s_branch .LBB238_6
.LBB238_3:
	s_mov_b64 s[12:13], 0
	s_and_not1_b32 vcc_lo, exec_lo, s2
	s_cbranch_vccz .LBB238_2
.LBB238_4:
	s_mov_b32 s17, -1
                                        ; implicit-def: $sgpr10_sgpr11
.LBB238_5:
	s_mov_b32 s17, 0
	s_load_b64 s[4:5], s[0:1], 0x38
	s_lshl_b64 s[2:3], s[16:17], 3
	s_delay_alu instid0(SALU_CYCLE_1) | instskip(SKIP_4) | instid1(SALU_CYCLE_1)
	s_add_u32 s2, s6, s2
	s_addc_u32 s3, s7, s3
	s_load_b64 s[2:3], s[2:3], 0x0
	s_waitcnt lgkmcnt(0)
	s_lshl_b64 s[4:5], s[4:5], 1
	s_add_u32 s10, s2, s4
	s_addc_u32 s11, s3, s5
.LBB238_6:
	s_clause 0x1
	s_load_b32 s9, s[0:1], 0x40
	s_load_b128 s[4:7], s[0:1], 0x58
	s_waitcnt lgkmcnt(0)
	v_cmp_eq_f16_e64 s2, s9, 0
	s_delay_alu instid0(VALU_DEP_1) | instskip(NEXT) | instid1(SALU_CYCLE_1)
	s_and_b32 s2, exec_lo, s2
	s_mov_b32 vcc_lo, s2
	s_cbranch_vccnz .LBB238_8
; %bb.7:
	s_load_b64 s[18:19], s[0:1], 0x48
	s_lshl_b64 s[20:21], s[16:17], 3
	s_waitcnt lgkmcnt(0)
	s_add_u32 s18, s18, s20
	s_addc_u32 s19, s19, s21
	s_lshl_b64 s[4:5], s[4:5], 1
	s_load_b64 s[18:19], s[18:19], 0x0
	s_waitcnt lgkmcnt(0)
	s_add_u32 s4, s18, s4
	s_addc_u32 s5, s19, s5
	s_branch .LBB238_9
.LBB238_8:
	s_mov_b64 s[4:5], 0
.LBB238_9:
	s_load_b32 s3, s[0:1], 0x0
	s_lshl_b64 s[16:17], s[16:17], 3
	v_bfe_u32 v49, v0, 10, 10
	s_add_u32 s6, s6, s16
	s_addc_u32 s7, s7, s17
	v_and_b32_e32 v48, 0x3ff, v0
	s_clause 0x1
	s_load_b32 s15, s[0:1], 0x18
	s_load_b32 s18, s[0:1], 0x30
	v_lshlrev_b32_e32 v47, 3, v49
	v_and_b32_e32 v3, 3, v48
	v_lshlrev_b32_e32 v51, 3, v48
	s_delay_alu instid0(VALU_DEP_3) | instskip(NEXT) | instid1(VALU_DEP_3)
	v_add_nc_u32_e32 v0, v47, v48
	v_lshlrev_b32_e32 v57, 1, v3
	s_delay_alu instid0(VALU_DEP_3) | instskip(NEXT) | instid1(VALU_DEP_3)
	v_add_nc_u32_e32 v24, 0x800, v51
	v_lshrrev_b32_e32 v10, 2, v0
	s_waitcnt lgkmcnt(0)
	s_add_i32 s3, s3, -1
	s_delay_alu instid0(SALU_CYCLE_1) | instskip(NEXT) | instid1(VALU_DEP_1)
	s_ashr_i32 s16, s3, 31
	v_lshl_or_b32 v62, v10, 3, v57
	s_lshr_b32 s16, s16, 26
	s_delay_alu instid0(SALU_CYCLE_1) | instskip(NEXT) | instid1(SALU_CYCLE_1)
	s_add_i32 s3, s3, s16
	s_ashr_i32 s3, s3, 6
	s_delay_alu instid0(SALU_CYCLE_1) | instskip(SKIP_2) | instid1(VALU_DEP_1)
	s_add_i32 s16, s3, 1
	s_not_b32 s3, s3
	v_cvt_f32_u32_e32 v1, s16
	v_rcp_iflag_f32_e32 v1, v1
	s_waitcnt_depctr 0xfff
	v_mul_f32_e32 v1, 0x4f7ffffe, v1
	s_delay_alu instid0(VALU_DEP_1) | instskip(NEXT) | instid1(VALU_DEP_1)
	v_cvt_u32_f32_e32 v1, v1
	v_readfirstlane_b32 s17, v1
	s_delay_alu instid0(VALU_DEP_1) | instskip(NEXT) | instid1(SALU_CYCLE_1)
	s_mul_i32 s3, s3, s17
	s_mul_hi_u32 s3, s17, s3
	s_delay_alu instid0(SALU_CYCLE_1) | instskip(NEXT) | instid1(SALU_CYCLE_1)
	s_add_i32 s17, s17, s3
	s_mul_hi_u32 s3, s14, s17
	s_delay_alu instid0(SALU_CYCLE_1) | instskip(SKIP_2) | instid1(SALU_CYCLE_1)
	s_mul_i32 s17, s3, s16
	s_add_i32 s19, s3, 1
	s_sub_i32 s17, s14, s17
	s_sub_i32 s20, s17, s16
	s_cmp_ge_u32 s17, s16
	s_cselect_b32 s3, s19, s3
	s_cselect_b32 s17, s20, s17
	s_add_i32 s19, s3, 1
	s_cmp_ge_u32 s17, s16
	s_cselect_b32 s17, s19, s3
	s_delay_alu instid0(SALU_CYCLE_1) | instskip(NEXT) | instid1(SALU_CYCLE_1)
	s_mul_i32 s3, s17, s16
	s_sub_i32 s3, s14, s3
	s_lshl_b32 s14, s17, 7
	s_lshl_b32 s3, s3, 6
	v_add_nc_u32_e32 v4, s14, v10
	v_add_nc_u32_e32 v2, s3, v10
	s_cmp_lt_i32 s8, 9
	s_delay_alu instid0(VALU_DEP_2) | instskip(NEXT) | instid1(VALU_DEP_2)
	v_add_nc_u32_e32 v6, 64, v4
	v_mad_i64_i32 v[0:1], null, v2, s15, 0
	v_mad_i64_i32 v[2:3], null, v4, s18, 0
	s_delay_alu instid0(VALU_DEP_3) | instskip(SKIP_1) | instid1(VALU_DEP_4)
	v_mad_i64_i32 v[4:5], null, v6, s18, 0
	v_add_co_u32 v8, s15, s10, v57
	v_lshlrev_b64 v[6:7], 1, v[0:1]
	v_add_co_ci_u32_e64 v9, null, s11, 0, s15
	v_lshlrev_b64 v[0:1], 1, v[2:3]
	v_lshlrev_b64 v[2:3], 1, v[4:5]
	s_delay_alu instid0(VALU_DEP_4) | instskip(SKIP_1) | instid1(VALU_DEP_4)
	v_add_co_u32 v59, vcc_lo, s12, v6
	v_add_co_ci_u32_e32 v60, vcc_lo, s13, v7, vcc_lo
	v_add_co_u32 v4, vcc_lo, v8, v0
	v_add_co_ci_u32_e32 v5, vcc_lo, v9, v1, vcc_lo
	s_delay_alu instid0(VALU_DEP_4) | instskip(NEXT) | instid1(VALU_DEP_4)
	v_add_co_u32 v6, vcc_lo, v59, v57
	v_add_co_ci_u32_e32 v7, vcc_lo, 0, v60, vcc_lo
	v_add_co_u32 v8, vcc_lo, v8, v2
	v_add_co_ci_u32_e32 v9, vcc_lo, v9, v3, vcc_lo
	flat_load_u16 v11, v[4:5]
	flat_load_u16 v12, v[6:7]
	s_clause 0x2
	flat_load_u16 v13, v[8:9]
	flat_load_u16 v28, v[8:9] offset:8
	flat_load_u16 v29, v[4:5] offset:8
	;; [unrolled: 1-line block ×3, first 2 shown]
	s_load_b64 s[6:7], s[6:7], 0x0
	s_waitcnt vmcnt(5) lgkmcnt(0)
	ds_store_b16 v62, v11
	s_waitcnt vmcnt(4)
	ds_store_b16 v62, v12 offset:2048
	s_waitcnt vmcnt(3)
	ds_store_b16 v62, v13 offset:512
	s_waitcnt vmcnt(0) lgkmcnt(0)
	s_barrier
	buffer_gl0_inv
	ds_load_2addr_b64 v[4:7], v47 offset1:32
	ds_load_2addr_b64 v[8:11], v24 offset0:48 offset1:56
	ds_load_2addr_b64 v[12:15], v47 offset0:64 offset1:96
	ds_load_2addr_b64 v[16:19], v24 offset1:8
	ds_load_2addr_b64 v[20:23], v24 offset0:16 offset1:24
	ds_load_2addr_b64 v[24:27], v24 offset0:32 offset1:40
	ds_store_b16 v62, v29 offset:1024
	ds_store_b16 v62, v70 offset:2560
	;; [unrolled: 1-line block ×3, first 2 shown]
	s_waitcnt lgkmcnt(0)
	s_barrier
	buffer_gl0_inv
	v_pk_max_f16 v4, v4, v4
	v_pk_max_f16 v10, v10, v10
	;; [unrolled: 1-line block ×24, first 2 shown]
	v_pk_min_f16 v29, v10, v4
	v_pk_min_f16 v30, v10, v6
	;; [unrolled: 1-line block ×64, first 2 shown]
	v_pk_add_f16 v15, v29, 0
	v_pk_add_f16 v29, v30, 0
	;; [unrolled: 1-line block ×64, first 2 shown]
	s_cbranch_scc1 .LBB238_12
; %bb.10:
	v_add_co_u32 v76, vcc_lo, s10, v2
	v_add_co_ci_u32_e32 v77, vcc_lo, s11, v3, vcc_lo
	v_add_co_u32 v78, vcc_lo, s10, v0
	v_add_nc_u32_e32 v70, 0x800, v62
	v_add_nc_u32_e32 v71, 0x800, v51
	;; [unrolled: 1-line block ×4, first 2 shown]
	v_lshl_add_u32 v74, v48, 3, 0xa00
	v_lshl_add_u32 v75, v49, 3, 0x400
	v_add_co_ci_u32_e32 v79, vcc_lo, s11, v1, vcc_lo
	s_add_i32 s8, s8, -8
	s_mov_b32 s10, 0
.LBB238_11:                             ; =>This Inner Loop Header: Depth=1
	v_add_co_u32 v24, vcc_lo, v59, v57
	v_add_co_ci_u32_e32 v25, vcc_lo, 0, v60, vcc_lo
	v_add_co_u32 v26, vcc_lo, v78, v57
	v_add_co_ci_u32_e32 v27, vcc_lo, 0, v79, vcc_lo
	;; [unrolled: 2-line block ×3, first 2 shown]
	flat_load_u16 v80, v[24:25] offset:16
	flat_load_u16 v81, v[26:27] offset:16
	flat_load_u16 v82, v[28:29] offset:16
	ds_load_2addr_b64 v[0:3], v74 offset0:48 offset1:56
	ds_load_2addr_b64 v[12:15], v75 offset1:32
	ds_load_2addr_b64 v[8:11], v75 offset0:64 offset1:96
	ds_load_2addr_b64 v[4:7], v74 offset1:8
	ds_load_2addr_b64 v[16:19], v74 offset0:16 offset1:24
	ds_load_2addr_b64 v[20:23], v74 offset0:32 offset1:40
	v_add_co_u32 v76, vcc_lo, v76, 16
	v_add_co_ci_u32_e32 v77, vcc_lo, 0, v77, vcc_lo
	v_add_co_u32 v78, vcc_lo, v78, 16
	v_add_co_ci_u32_e32 v79, vcc_lo, 0, v79, vcc_lo
	;; [unrolled: 2-line block ×3, first 2 shown]
	s_add_i32 s10, s10, 8
	s_waitcnt vmcnt(2) lgkmcnt(8)
	ds_store_b16 v70, v80
	s_waitcnt vmcnt(1) lgkmcnt(8)
	ds_store_b16 v62, v81
	s_waitcnt vmcnt(0) lgkmcnt(8)
	ds_store_b16 v62, v82 offset:512
	s_waitcnt lgkmcnt(0)
	s_barrier
	buffer_gl0_inv
	flat_load_u16 v24, v[24:25] offset:24
	flat_load_u16 v25, v[26:27] offset:24
	;; [unrolled: 1-line block ×3, first 2 shown]
	v_pk_max_f16 v2, v2, v2
	v_pk_max_f16 v12, v12, v12
	v_pk_max_f16 v14, v14, v14
	v_pk_max_f16 v8, v8, v8
	v_pk_max_f16 v4, v4, v4
	v_pk_max_f16 v10, v10, v10
	v_pk_max_f16 v6, v6, v6
	v_pk_max_f16 v16, v16, v16
	v_pk_max_f16 v18, v18, v18
	v_pk_max_f16 v20, v20, v20
	v_pk_max_f16 v22, v22, v22
	v_pk_max_f16 v0, v0, v0
	v_pk_max_f16 v13, v13, v13
	v_pk_max_f16 v15, v15, v15
	v_pk_max_f16 v9, v9, v9
	v_pk_max_f16 v11, v11, v11
	v_pk_max_f16 v5, v5, v5
	v_pk_max_f16 v7, v7, v7
	v_pk_max_f16 v17, v17, v17
	v_pk_max_f16 v19, v19, v19
	v_pk_max_f16 v21, v21, v21
	v_pk_max_f16 v23, v23, v23
	v_pk_max_f16 v3, v3, v3
	v_pk_max_f16 v1, v1, v1
	v_pk_min_f16 v27, v4, v12
	v_pk_min_f16 v28, v4, v14
	;; [unrolled: 1-line block ×64, first 2 shown]
	v_pk_add_f16 v11, v95, v61
	v_pk_add_f16 v46, v96, v46
	;; [unrolled: 1-line block ×39, first 2 shown]
	ds_load_2addr_b64 v[0:3], v47 offset1:32
	ds_load_2addr_b64 v[4:7], v71 offset0:48 offset1:56
	ds_load_2addr_b64 v[8:11], v47 offset0:64 offset1:96
	ds_load_2addr_b64 v[12:15], v71 offset1:8
	ds_load_2addr_b64 v[16:19], v71 offset0:16 offset1:24
	ds_load_2addr_b64 v[20:23], v71 offset0:32 offset1:40
	v_pk_add_f16 v37, v80, v68
	v_pk_add_f16 v44, v82, v44
	v_pk_add_f16 v36, v83, v67
	v_pk_add_f16 v43, v85, v43
	v_pk_add_f16 v54, v87, v54
	v_pk_add_f16 v42, v88, v42
	v_pk_add_f16 v53, v90, v53
	v_pk_add_f16 v41, v91, v41
	v_pk_add_f16 v52, v93, v52
	v_pk_add_f16 v40, v94, v40
	v_pk_add_f16 v28, v98, v28
	v_pk_add_f16 v29, v99, v29
	v_pk_add_f16 v37, v100, v37
	v_pk_add_f16 v44, v102, v44
	s_waitcnt lgkmcnt(5)
	v_pk_max_f16 v0, v0, v0
	s_waitcnt lgkmcnt(4)
	v_pk_max_f16 v6, v6, v6
	v_pk_max_f16 v2, v2, v2
	s_waitcnt lgkmcnt(3)
	v_pk_max_f16 v8, v8, v8
	s_waitcnt lgkmcnt(2)
	v_pk_max_f16 v12, v12, v12
	v_pk_max_f16 v10, v10, v10
	;; [unrolled: 1-line block ×3, first 2 shown]
	s_waitcnt lgkmcnt(1)
	v_pk_max_f16 v16, v16, v16
	v_pk_max_f16 v18, v18, v18
	s_waitcnt lgkmcnt(0)
	v_pk_max_f16 v20, v20, v20
	v_pk_max_f16 v22, v22, v22
	;; [unrolled: 1-line block ×3, first 2 shown]
	v_pk_add_f16 v36, v103, v36
	v_pk_add_f16 v43, v105, v43
	;; [unrolled: 1-line block ×11, first 2 shown]
	v_pk_max_f16 v1, v1, v1
	v_pk_max_f16 v3, v3, v3
	;; [unrolled: 1-line block ×12, first 2 shown]
	v_pk_min_f16 v67, v12, v0
	v_pk_min_f16 v68, v12, v2
	;; [unrolled: 1-line block ×64, first 2 shown]
	v_pk_add_f16 v11, v95, v30
	v_pk_add_f16 v30, v96, v31
	;; [unrolled: 1-line block ×64, first 2 shown]
	s_cmp_ge_i32 s10, s8
	s_waitcnt vmcnt(2)
	ds_store_b16 v72, v24
	s_waitcnt vmcnt(1)
	ds_store_b16 v73, v25
	s_waitcnt vmcnt(0)
	ds_store_b16 v73, v26 offset:512
	s_waitcnt lgkmcnt(0)
	s_barrier
	buffer_gl0_inv
	s_cbranch_scc0 .LBB238_11
.LBB238_12:
	s_load_b32 s8, s[0:1], 0x50
	v_add_nc_u32_e32 v25, s14, v49
	v_add_nc_u32_e32 v22, s3, v48
	v_mov_b32_e32 v48, 0
	ds_load_b64 v[0:1], v47 offset:1024
	ds_load_b64 v[2:3], v51 offset:2560
	v_cmp_neq_f16_e64 s10, s9, 0
	v_ashrrev_i32_e32 v23, 31, v22
	v_mov_b32_e32 v20, 0
	s_delay_alu instid0(VALU_DEP_3) | instskip(NEXT) | instid1(VALU_DEP_2)
	s_and_b32 vcc_lo, exec_lo, s10
	v_lshlrev_b64 v[16:17], 1, v[22:23]
	s_waitcnt lgkmcnt(0)
	v_mad_i64_i32 v[4:5], null, v25, s8, 0
	s_delay_alu instid0(VALU_DEP_1) | instskip(NEXT) | instid1(VALU_DEP_1)
	v_lshlrev_b64 v[4:5], 1, v[4:5]
	v_add_co_u32 v70, s3, s4, v4
	s_delay_alu instid0(VALU_DEP_1)
	v_add_co_ci_u32_e64 v71, s3, s5, v5, s3
	s_cbranch_vccz .LBB238_14
; %bb.13:
	s_delay_alu instid0(VALU_DEP_2) | instskip(NEXT) | instid1(VALU_DEP_2)
	v_add_co_u32 v4, vcc_lo, v70, v16
	v_add_co_ci_u32_e32 v5, vcc_lo, v71, v17, vcc_lo
	flat_load_u16 v4, v[4:5]
	s_waitcnt vmcnt(0) lgkmcnt(0)
	v_mul_f16_e32 v20, s9, v4
.LBB238_14:
	s_clause 0x1
	s_load_b32 s3, s[0:1], 0x68
	s_load_b64 s[0:1], s[0:1], 0x70
	v_pk_max_f16 v73, v0, v0
	v_pk_max_f16 v26, v2, v2
	;; [unrolled: 1-line block ×4, first 2 shown]
	v_add_nc_u32_e32 v5, 0x800, v51
	ds_load_b64 v[23:24], v51 offset:3008
	ds_load_b64 v[18:19], v47 offset:1792
	v_pk_min_f16 v4, v26, v73
	ds_load_2addr_b64 v[0:3], v47 offset0:160 offset1:192
	v_pk_min_f16 v6, v27, v72
	ds_load_2addr_b64 v[12:15], v5 offset0:72 offset1:80
	v_add_nc_u32_e32 v28, 8, v22
	v_pk_add_f16 v4, v4, v69
	v_cndmask_b32_e64 v21, 0, 1, s10
	s_delay_alu instid0(VALU_DEP_3) | instskip(NEXT) | instid1(VALU_DEP_3)
	v_ashrrev_i32_e32 v29, 31, v28
	v_pk_add_f16 v47, v6, v4
	ds_load_2addr_b64 v[8:11], v5 offset0:88 offset1:96
	ds_load_2addr_b64 v[4:7], v5 offset0:104 offset1:112
	s_waitcnt lgkmcnt(0)
	v_mad_i64_i32 v[59:60], null, v25, s3, 0
	s_lshl_b64 s[12:13], s[0:1], 1
	v_lshrrev_b32_e32 v49, 16, v47
	s_add_u32 s1, s6, s12
	s_addc_u32 s6, s7, s13
	v_cmp_ne_u32_e64 s0, 1, v21
	s_delay_alu instid0(VALU_DEP_2) | instskip(NEXT) | instid1(VALU_DEP_4)
	v_add_f16_e32 v21, v47, v49
	v_lshlrev_b64 v[59:60], 1, v[59:60]
	s_delay_alu instid0(VALU_DEP_2) | instskip(SKIP_1) | instid1(VALU_DEP_3)
	v_add_f16_e32 v47, v21, v20
	v_lshlrev_b64 v[20:21], 1, v[28:29]
	v_add_co_u32 v69, vcc_lo, s1, v59
	s_delay_alu instid0(VALU_DEP_4) | instskip(NEXT) | instid1(VALU_DEP_2)
	v_add_co_ci_u32_e32 v74, vcc_lo, s6, v60, vcc_lo
	v_add_co_u32 v59, vcc_lo, v69, v16
	s_delay_alu instid0(VALU_DEP_2)
	v_add_co_ci_u32_e32 v60, vcc_lo, v74, v17, vcc_lo
	s_and_not1_b32 vcc_lo, exec_lo, s10
	global_store_b16 v[59:60], v47, off
	s_cbranch_vccnz .LBB238_16
; %bb.15:
	v_add_co_u32 v28, vcc_lo, v70, v20
	v_add_co_ci_u32_e32 v29, vcc_lo, v71, v21, vcc_lo
	flat_load_u16 v28, v[28:29]
	s_waitcnt vmcnt(0) lgkmcnt(0)
	v_mul_f16_e32 v48, s9, v28
.LBB238_16:
	v_pk_max_f16 v28, v12, v12
	v_pk_max_f16 v29, v13, v13
	v_add_co_u32 v59, vcc_lo, v69, v20
	v_add_co_ci_u32_e32 v60, vcc_lo, v74, v21, vcc_lo
	s_delay_alu instid0(VALU_DEP_4) | instskip(NEXT) | instid1(VALU_DEP_4)
	v_pk_min_f16 v12, v28, v73
	v_pk_min_f16 v13, v29, v72
	s_and_b32 vcc_lo, exec_lo, s0
	v_mov_b32_e32 v57, 0
	s_delay_alu instid0(VALU_DEP_3) | instskip(NEXT) | instid1(VALU_DEP_1)
	v_pk_add_f16 v12, v12, v68
	v_pk_add_f16 v47, v13, v12
	v_add_nc_u32_e32 v12, 16, v22
	s_delay_alu instid0(VALU_DEP_2) | instskip(NEXT) | instid1(VALU_DEP_2)
	v_lshrrev_b32_e32 v49, 16, v47
	v_ashrrev_i32_e32 v13, 31, v12
	s_delay_alu instid0(VALU_DEP_2) | instskip(NEXT) | instid1(VALU_DEP_2)
	v_add_f16_e32 v47, v47, v49
	v_lshlrev_b64 v[12:13], 1, v[12:13]
	v_mov_b32_e32 v49, 0
	s_delay_alu instid0(VALU_DEP_3)
	v_add_f16_e32 v47, v47, v48
	global_store_b16 v[59:60], v47, off
	s_cbranch_vccnz .LBB238_18
; %bb.17:
	v_add_co_u32 v47, vcc_lo, v70, v12
	v_add_co_ci_u32_e32 v48, vcc_lo, v71, v13, vcc_lo
	flat_load_u16 v47, v[47:48]
	s_waitcnt vmcnt(0) lgkmcnt(0)
	v_mul_f16_e32 v49, s9, v47
.LBB238_18:
	v_pk_max_f16 v47, v14, v14
	v_pk_max_f16 v48, v15, v15
	s_delay_alu instid0(VALU_DEP_2) | instskip(NEXT) | instid1(VALU_DEP_2)
	v_pk_min_f16 v14, v47, v73
	v_pk_min_f16 v15, v48, v72
	s_delay_alu instid0(VALU_DEP_2) | instskip(NEXT) | instid1(VALU_DEP_1)
	v_pk_add_f16 v14, v14, v67
	v_pk_add_f16 v51, v15, v14
	v_add_nc_u32_e32 v14, 24, v22
	s_delay_alu instid0(VALU_DEP_2) | instskip(NEXT) | instid1(VALU_DEP_2)
	v_lshrrev_b32_e32 v59, 16, v51
	v_ashrrev_i32_e32 v15, 31, v14
	s_delay_alu instid0(VALU_DEP_2) | instskip(SKIP_1) | instid1(VALU_DEP_3)
	v_add_f16_e32 v51, v51, v59
	v_add_co_u32 v59, vcc_lo, v69, v12
	v_lshlrev_b64 v[14:15], 1, v[14:15]
	v_add_co_ci_u32_e32 v60, vcc_lo, v74, v13, vcc_lo
	s_delay_alu instid0(VALU_DEP_4)
	v_add_f16_e32 v49, v51, v49
	s_and_b32 vcc_lo, exec_lo, s0
	global_store_b16 v[59:60], v49, off
	s_cbranch_vccnz .LBB238_20
; %bb.19:
	v_add_co_u32 v59, vcc_lo, v70, v14
	v_add_co_ci_u32_e32 v60, vcc_lo, v71, v15, vcc_lo
	flat_load_u16 v49, v[59:60]
	s_waitcnt vmcnt(0) lgkmcnt(0)
	v_mul_f16_e32 v57, s9, v49
.LBB238_20:
	v_pk_max_f16 v49, v8, v8
	v_pk_max_f16 v51, v9, v9
	v_add_co_u32 v75, vcc_lo, v69, v14
	v_add_co_ci_u32_e32 v76, vcc_lo, v74, v15, vcc_lo
	s_delay_alu instid0(VALU_DEP_4) | instskip(NEXT) | instid1(VALU_DEP_4)
	v_pk_min_f16 v8, v49, v73
	v_pk_min_f16 v9, v51, v72
	s_and_b32 vcc_lo, exec_lo, s0
	v_mov_b32_e32 v67, 0
	s_delay_alu instid0(VALU_DEP_3) | instskip(NEXT) | instid1(VALU_DEP_1)
	v_pk_add_f16 v8, v8, v66
	v_pk_add_f16 v59, v9, v8
	v_add_nc_u32_e32 v8, 32, v22
	s_delay_alu instid0(VALU_DEP_2) | instskip(NEXT) | instid1(VALU_DEP_2)
	v_lshrrev_b32_e32 v60, 16, v59
	v_ashrrev_i32_e32 v9, 31, v8
	s_delay_alu instid0(VALU_DEP_2) | instskip(NEXT) | instid1(VALU_DEP_2)
	v_add_f16_e32 v59, v59, v60
	v_lshlrev_b64 v[8:9], 1, v[8:9]
	v_mov_b32_e32 v60, 0
	s_delay_alu instid0(VALU_DEP_3)
	v_add_f16_e32 v57, v59, v57
	global_store_b16 v[75:76], v57, off
	s_cbranch_vccnz .LBB238_22
; %bb.21:
	v_add_co_u32 v59, vcc_lo, v70, v8
	v_add_co_ci_u32_e32 v60, vcc_lo, v71, v9, vcc_lo
	flat_load_u16 v57, v[59:60]
	s_waitcnt vmcnt(0) lgkmcnt(0)
	v_mul_f16_e32 v60, s9, v57
.LBB238_22:
	v_pk_max_f16 v57, v10, v10
	v_pk_max_f16 v59, v11, v11
	s_delay_alu instid0(VALU_DEP_2) | instskip(NEXT) | instid1(VALU_DEP_2)
	v_pk_min_f16 v10, v57, v73
	v_pk_min_f16 v11, v59, v72
	s_delay_alu instid0(VALU_DEP_2) | instskip(NEXT) | instid1(VALU_DEP_1)
	v_pk_add_f16 v10, v10, v65
	v_pk_add_f16 v62, v11, v10
	v_add_nc_u32_e32 v10, 40, v22
	s_delay_alu instid0(VALU_DEP_2) | instskip(NEXT) | instid1(VALU_DEP_2)
	v_lshrrev_b32_e32 v65, 16, v62
	v_ashrrev_i32_e32 v11, 31, v10
	s_delay_alu instid0(VALU_DEP_2) | instskip(SKIP_1) | instid1(VALU_DEP_3)
	v_add_f16_e32 v62, v62, v65
	v_add_co_u32 v65, vcc_lo, v69, v8
	v_lshlrev_b64 v[10:11], 1, v[10:11]
	v_add_co_ci_u32_e32 v66, vcc_lo, v74, v9, vcc_lo
	s_delay_alu instid0(VALU_DEP_4)
	v_add_f16_e32 v60, v62, v60
	s_and_b32 vcc_lo, exec_lo, s0
	global_store_b16 v[65:66], v60, off
	s_cbranch_vccnz .LBB238_24
; %bb.23:
	v_add_co_u32 v65, vcc_lo, v70, v10
	v_add_co_ci_u32_e32 v66, vcc_lo, v71, v11, vcc_lo
	flat_load_u16 v60, v[65:66]
	s_waitcnt vmcnt(0) lgkmcnt(0)
	v_mul_f16_e32 v67, s9, v60
.LBB238_24:
	v_pk_max_f16 v60, v4, v4
	v_pk_max_f16 v62, v5, v5
	v_mov_b32_e32 v66, 0
	s_delay_alu instid0(VALU_DEP_3) | instskip(NEXT) | instid1(VALU_DEP_3)
	v_pk_min_f16 v4, v60, v73
	v_pk_min_f16 v5, v62, v72
	s_delay_alu instid0(VALU_DEP_2) | instskip(NEXT) | instid1(VALU_DEP_1)
	v_pk_add_f16 v4, v4, v64
	v_pk_add_f16 v64, v5, v4
	v_add_nc_u32_e32 v4, 48, v22
	s_delay_alu instid0(VALU_DEP_2) | instskip(NEXT) | instid1(VALU_DEP_1)
	v_lshrrev_b32_e32 v65, 16, v64
	v_add_f16_e32 v68, v64, v65
	v_add_co_u32 v64, vcc_lo, v69, v10
	v_add_co_ci_u32_e32 v65, vcc_lo, v74, v11, vcc_lo
	s_delay_alu instid0(VALU_DEP_3)
	v_add_f16_e32 v68, v68, v67
	v_mov_b32_e32 v67, 0
	v_ashrrev_i32_e32 v5, 31, v4
	s_and_b32 vcc_lo, exec_lo, s0
	global_store_b16 v[64:65], v68, off
	v_lshlrev_b64 v[4:5], 1, v[4:5]
	s_cbranch_vccnz .LBB238_26
; %bb.25:
	s_delay_alu instid0(VALU_DEP_1) | instskip(NEXT) | instid1(VALU_DEP_2)
	v_add_co_u32 v64, vcc_lo, v70, v4
	v_add_co_ci_u32_e32 v65, vcc_lo, v71, v5, vcc_lo
	flat_load_u16 v64, v[64:65]
	s_waitcnt vmcnt(0) lgkmcnt(0)
	v_mul_f16_e32 v67, s9, v64
.LBB238_26:
	v_pk_max_f16 v64, v6, v6
	v_pk_max_f16 v65, v7, v7
	s_delay_alu instid0(VALU_DEP_3) | instskip(NEXT) | instid1(VALU_DEP_4)
	v_add_co_u32 v75, vcc_lo, v69, v4
	v_add_co_ci_u32_e32 v76, vcc_lo, v74, v5, vcc_lo
	s_delay_alu instid0(VALU_DEP_4) | instskip(NEXT) | instid1(VALU_DEP_4)
	v_pk_min_f16 v6, v64, v73
	v_pk_min_f16 v7, v65, v72
	s_and_b32 vcc_lo, exec_lo, s0
	s_delay_alu instid0(VALU_DEP_2) | instskip(NEXT) | instid1(VALU_DEP_1)
	v_pk_add_f16 v6, v6, v63
	v_pk_add_f16 v63, v7, v6
	v_add_nc_u32_e32 v6, 56, v22
	s_delay_alu instid0(VALU_DEP_2) | instskip(NEXT) | instid1(VALU_DEP_2)
	v_lshrrev_b32_e32 v22, 16, v63
	v_ashrrev_i32_e32 v7, 31, v6
	s_delay_alu instid0(VALU_DEP_2) | instskip(NEXT) | instid1(VALU_DEP_2)
	v_add_f16_e32 v22, v63, v22
	v_lshlrev_b64 v[6:7], 1, v[6:7]
	s_delay_alu instid0(VALU_DEP_2)
	v_add_f16_e32 v22, v22, v67
	global_store_b16 v[75:76], v22, off
	s_cbranch_vccnz .LBB238_28
; %bb.27:
	v_add_co_u32 v66, vcc_lo, v70, v6
	v_add_co_ci_u32_e32 v67, vcc_lo, v71, v7, vcc_lo
	flat_load_u16 v22, v[66:67]
	s_waitcnt vmcnt(0) lgkmcnt(0)
	v_mul_f16_e32 v66, s9, v22
.LBB238_28:
	v_pk_max_f16 v22, v23, v23
	v_pk_max_f16 v23, v24, v24
	v_dual_mov_b32 v68, 0 :: v_dual_add_nc_u32 v67, 32, v25
	s_delay_alu instid0(VALU_DEP_3) | instskip(NEXT) | instid1(VALU_DEP_3)
	v_pk_min_f16 v24, v22, v73
	v_pk_min_f16 v63, v23, v72
	v_add_co_u32 v72, vcc_lo, v69, v6
	v_add_co_ci_u32_e32 v73, vcc_lo, v74, v7, vcc_lo
	s_delay_alu instid0(VALU_DEP_4) | instskip(NEXT) | instid1(VALU_DEP_1)
	v_pk_add_f16 v24, v24, v61
	v_pk_add_f16 v24, v63, v24
	s_delay_alu instid0(VALU_DEP_1) | instskip(NEXT) | instid1(VALU_DEP_1)
	v_lshrrev_b32_e32 v61, 16, v24
	v_add_f16_e32 v63, v24, v61
	s_delay_alu instid0(VALU_DEP_1) | instskip(SKIP_4) | instid1(VALU_DEP_1)
	v_add_f16_e32 v63, v63, v66
	v_mov_b32_e32 v66, 0
	v_mad_i64_i32 v[70:71], null, v67, s8, 0
	global_store_b16 v[72:73], v63, off
	v_lshlrev_b64 v[70:71], 1, v[70:71]
	v_add_co_u32 v24, vcc_lo, s4, v70
	s_delay_alu instid0(VALU_DEP_2)
	v_add_co_ci_u32_e32 v61, vcc_lo, s5, v71, vcc_lo
	s_and_b32 vcc_lo, exec_lo, s0
	s_cbranch_vccnz .LBB238_30
; %bb.29:
	s_delay_alu instid0(VALU_DEP_2) | instskip(NEXT) | instid1(VALU_DEP_2)
	v_add_co_u32 v68, vcc_lo, v24, v16
	v_add_co_ci_u32_e32 v69, vcc_lo, v61, v17, vcc_lo
	flat_load_u16 v63, v[68:69]
	s_waitcnt vmcnt(0) lgkmcnt(0)
	v_mul_f16_e32 v68, s9, v63
.LBB238_30:
	v_pk_max_f16 v63, v0, v0
	v_pk_max_f16 v0, v1, v1
	v_mad_i64_i32 v[69:70], null, v67, s3, 0
	s_delay_alu instid0(VALU_DEP_3) | instskip(NEXT) | instid1(VALU_DEP_3)
	v_pk_min_f16 v1, v26, v63
	v_pk_min_f16 v71, v27, v0
	s_delay_alu instid0(VALU_DEP_3) | instskip(NEXT) | instid1(VALU_DEP_3)
	v_lshlrev_b64 v[69:70], 1, v[69:70]
	v_pk_add_f16 v1, v1, v58
	s_delay_alu instid0(VALU_DEP_1) | instskip(NEXT) | instid1(VALU_DEP_1)
	v_pk_add_f16 v1, v71, v1
	v_lshrrev_b32_e32 v58, 16, v1
	s_delay_alu instid0(VALU_DEP_1) | instskip(SKIP_2) | instid1(VALU_DEP_3)
	v_add_f16_e32 v67, v1, v58
	v_add_co_u32 v1, vcc_lo, s1, v69
	v_add_co_ci_u32_e32 v58, vcc_lo, s6, v70, vcc_lo
	v_add_f16_e32 v69, v67, v68
	s_delay_alu instid0(VALU_DEP_3) | instskip(NEXT) | instid1(VALU_DEP_3)
	v_add_co_u32 v67, vcc_lo, v1, v16
	v_add_co_ci_u32_e32 v68, vcc_lo, v58, v17, vcc_lo
	s_and_b32 vcc_lo, exec_lo, s0
	global_store_b16 v[67:68], v69, off
	s_cbranch_vccnz .LBB238_32
; %bb.31:
	v_add_co_u32 v66, vcc_lo, v24, v20
	v_add_co_ci_u32_e32 v67, vcc_lo, v61, v21, vcc_lo
	flat_load_u16 v66, v[66:67]
	s_waitcnt vmcnt(0) lgkmcnt(0)
	v_mul_f16_e32 v66, s9, v66
.LBB238_32:
	v_pk_min_f16 v67, v28, v63
	v_pk_min_f16 v68, v29, v0
	s_delay_alu instid0(VALU_DEP_2) | instskip(NEXT) | instid1(VALU_DEP_1)
	v_pk_add_f16 v56, v67, v56
	v_pk_add_f16 v56, v68, v56
	s_delay_alu instid0(VALU_DEP_1) | instskip(NEXT) | instid1(VALU_DEP_1)
	v_lshrrev_b32_e32 v67, 16, v56
	v_add_f16_e32 v56, v56, v67
	v_add_co_u32 v67, vcc_lo, v1, v20
	v_add_co_ci_u32_e32 v68, vcc_lo, v58, v21, vcc_lo
	s_delay_alu instid0(VALU_DEP_3)
	v_add_f16_e32 v69, v56, v66
	v_mov_b32_e32 v56, 0
	v_mov_b32_e32 v66, 0
	s_and_b32 vcc_lo, exec_lo, s0
	global_store_b16 v[67:68], v69, off
	s_cbranch_vccnz .LBB238_34
; %bb.33:
	v_add_co_u32 v66, vcc_lo, v24, v12
	v_add_co_ci_u32_e32 v67, vcc_lo, v61, v13, vcc_lo
	flat_load_u16 v66, v[66:67]
	s_waitcnt vmcnt(0) lgkmcnt(0)
	v_mul_f16_e32 v66, s9, v66
.LBB238_34:
	v_pk_min_f16 v67, v47, v63
	v_pk_min_f16 v68, v48, v0
	s_delay_alu instid0(VALU_DEP_2) | instskip(NEXT) | instid1(VALU_DEP_1)
	v_pk_add_f16 v55, v67, v55
	v_pk_add_f16 v55, v68, v55
	s_delay_alu instid0(VALU_DEP_1) | instskip(NEXT) | instid1(VALU_DEP_1)
	v_lshrrev_b32_e32 v67, 16, v55
	v_add_f16_e32 v55, v55, v67
	s_delay_alu instid0(VALU_DEP_1)
	v_add_f16_e32 v55, v55, v66
	v_add_co_u32 v66, vcc_lo, v1, v12
	v_add_co_ci_u32_e32 v67, vcc_lo, v58, v13, vcc_lo
	s_and_b32 vcc_lo, exec_lo, s0
	global_store_b16 v[66:67], v55, off
	s_cbranch_vccnz .LBB238_36
; %bb.35:
	v_add_co_u32 v55, vcc_lo, v24, v14
	v_add_co_ci_u32_e32 v56, vcc_lo, v61, v15, vcc_lo
	flat_load_u16 v55, v[55:56]
	s_waitcnt vmcnt(0) lgkmcnt(0)
	v_mul_f16_e32 v56, s9, v55
.LBB238_36:
	v_pk_min_f16 v55, v49, v63
	v_pk_min_f16 v66, v51, v0
	s_delay_alu instid0(VALU_DEP_2) | instskip(NEXT) | instid1(VALU_DEP_1)
	v_pk_add_f16 v54, v55, v54
	v_pk_add_f16 v54, v66, v54
	v_add_co_u32 v66, vcc_lo, v1, v14
	v_add_co_ci_u32_e32 v67, vcc_lo, v58, v15, vcc_lo
	s_delay_alu instid0(VALU_DEP_3) | instskip(SKIP_1) | instid1(VALU_DEP_1)
	v_lshrrev_b32_e32 v55, 16, v54
	s_and_b32 vcc_lo, exec_lo, s0
	v_add_f16_e32 v54, v54, v55
	v_mov_b32_e32 v55, 0
	s_delay_alu instid0(VALU_DEP_2)
	v_add_f16_e32 v56, v54, v56
	v_mov_b32_e32 v54, 0
	global_store_b16 v[66:67], v56, off
	s_cbranch_vccnz .LBB238_38
; %bb.37:
	v_add_co_u32 v55, vcc_lo, v24, v8
	v_add_co_ci_u32_e32 v56, vcc_lo, v61, v9, vcc_lo
	flat_load_u16 v55, v[55:56]
	s_waitcnt vmcnt(0) lgkmcnt(0)
	v_mul_f16_e32 v55, s9, v55
.LBB238_38:
	v_pk_min_f16 v56, v57, v63
	v_pk_min_f16 v66, v59, v0
	s_delay_alu instid0(VALU_DEP_2) | instskip(NEXT) | instid1(VALU_DEP_1)
	v_pk_add_f16 v53, v56, v53
	v_pk_add_f16 v53, v66, v53
	s_delay_alu instid0(VALU_DEP_1) | instskip(NEXT) | instid1(VALU_DEP_1)
	v_lshrrev_b32_e32 v56, 16, v53
	v_add_f16_e32 v53, v53, v56
	s_delay_alu instid0(VALU_DEP_1)
	v_add_f16_e32 v53, v53, v55
	v_add_co_u32 v55, vcc_lo, v1, v8
	v_add_co_ci_u32_e32 v56, vcc_lo, v58, v9, vcc_lo
	s_and_b32 vcc_lo, exec_lo, s0
	global_store_b16 v[55:56], v53, off
	s_cbranch_vccnz .LBB238_40
; %bb.39:
	v_add_co_u32 v53, vcc_lo, v24, v10
	v_add_co_ci_u32_e32 v54, vcc_lo, v61, v11, vcc_lo
	flat_load_u16 v53, v[53:54]
	s_waitcnt vmcnt(0) lgkmcnt(0)
	v_mul_f16_e32 v54, s9, v53
.LBB238_40:
	v_pk_min_f16 v53, v60, v63
	v_pk_min_f16 v55, v62, v0
	s_delay_alu instid0(VALU_DEP_2) | instskip(NEXT) | instid1(VALU_DEP_1)
	v_pk_add_f16 v52, v53, v52
	v_pk_add_f16 v52, v55, v52
	v_add_co_u32 v55, vcc_lo, v1, v10
	v_add_co_ci_u32_e32 v56, vcc_lo, v58, v11, vcc_lo
	s_delay_alu instid0(VALU_DEP_3) | instskip(SKIP_1) | instid1(VALU_DEP_1)
	v_lshrrev_b32_e32 v53, 16, v52
	s_and_b32 vcc_lo, exec_lo, s0
	v_add_f16_e32 v52, v52, v53
	v_mov_b32_e32 v53, 0
	s_delay_alu instid0(VALU_DEP_2)
	v_add_f16_e32 v54, v52, v54
	v_mov_b32_e32 v52, 0
	global_store_b16 v[55:56], v54, off
	s_cbranch_vccnz .LBB238_42
; %bb.41:
	v_add_co_u32 v53, vcc_lo, v24, v4
	v_add_co_ci_u32_e32 v54, vcc_lo, v61, v5, vcc_lo
	flat_load_u16 v53, v[53:54]
	s_waitcnt vmcnt(0) lgkmcnt(0)
	v_mul_f16_e32 v53, s9, v53
.LBB238_42:
	v_pk_min_f16 v54, v64, v63
	v_pk_min_f16 v55, v65, v0
	s_delay_alu instid0(VALU_DEP_2) | instskip(NEXT) | instid1(VALU_DEP_1)
	v_pk_add_f16 v50, v54, v50
	v_pk_add_f16 v50, v55, v50
	s_delay_alu instid0(VALU_DEP_1) | instskip(NEXT) | instid1(VALU_DEP_1)
	v_lshrrev_b32_e32 v54, 16, v50
	v_add_f16_e32 v50, v50, v54
	s_delay_alu instid0(VALU_DEP_1)
	v_add_f16_e32 v50, v50, v53
	v_add_co_u32 v53, vcc_lo, v1, v4
	v_add_co_ci_u32_e32 v54, vcc_lo, v58, v5, vcc_lo
	s_and_b32 vcc_lo, exec_lo, s0
	global_store_b16 v[53:54], v50, off
	s_cbranch_vccnz .LBB238_44
; %bb.43:
	v_add_co_u32 v52, vcc_lo, v24, v6
	v_add_co_ci_u32_e32 v53, vcc_lo, v61, v7, vcc_lo
	flat_load_u16 v24, v[52:53]
	s_waitcnt vmcnt(0) lgkmcnt(0)
	v_mul_f16_e32 v52, s9, v24
.LBB238_44:
	v_pk_min_f16 v24, v22, v63
	v_dual_mov_b32 v50, 0 :: v_dual_add_nc_u32 v53, 64, v25
	v_pk_min_f16 v0, v23, v0
	v_add_co_u32 v66, vcc_lo, v1, v6
	s_delay_alu instid0(VALU_DEP_4) | instskip(NEXT) | instid1(VALU_DEP_4)
	v_pk_add_f16 v24, v24, v46
	v_mad_i64_i32 v[54:55], null, v53, s8, 0
	v_add_co_ci_u32_e32 v67, vcc_lo, v58, v7, vcc_lo
	s_delay_alu instid0(VALU_DEP_3) | instskip(NEXT) | instid1(VALU_DEP_3)
	v_pk_add_f16 v0, v0, v24
	v_lshlrev_b64 v[54:55], 1, v[54:55]
	s_delay_alu instid0(VALU_DEP_2) | instskip(NEXT) | instid1(VALU_DEP_2)
	v_lshrrev_b32_e32 v24, 16, v0
	v_add_co_u32 v1, vcc_lo, s4, v54
	s_delay_alu instid0(VALU_DEP_2) | instskip(NEXT) | instid1(VALU_DEP_4)
	v_add_f16_e32 v0, v0, v24
	v_add_co_ci_u32_e32 v24, vcc_lo, s5, v55, vcc_lo
	s_and_b32 vcc_lo, exec_lo, s0
	s_delay_alu instid0(VALU_DEP_2)
	v_add_f16_e32 v0, v0, v52
	v_mov_b32_e32 v52, 0
	global_store_b16 v[66:67], v0, off
	s_cbranch_vccnz .LBB238_46
; %bb.45:
	v_add_co_u32 v54, vcc_lo, v1, v16
	v_add_co_ci_u32_e32 v55, vcc_lo, v24, v17, vcc_lo
	flat_load_u16 v0, v[54:55]
	s_waitcnt vmcnt(0) lgkmcnt(0)
	v_mul_f16_e32 v52, s9, v0
.LBB238_46:
	v_pk_max_f16 v46, v2, v2
	v_pk_max_f16 v0, v3, v3
	s_delay_alu instid0(VALU_DEP_2) | instskip(NEXT) | instid1(VALU_DEP_2)
	v_pk_min_f16 v2, v26, v46
	v_pk_min_f16 v54, v27, v0
	s_delay_alu instid0(VALU_DEP_2) | instskip(SKIP_1) | instid1(VALU_DEP_2)
	v_pk_add_f16 v45, v2, v45
	v_mad_i64_i32 v[2:3], null, v53, s3, 0
	v_pk_add_f16 v45, v54, v45
	s_delay_alu instid0(VALU_DEP_2) | instskip(NEXT) | instid1(VALU_DEP_2)
	v_lshlrev_b64 v[2:3], 1, v[2:3]
	v_lshrrev_b32_e32 v53, 16, v45
	s_delay_alu instid0(VALU_DEP_2) | instskip(NEXT) | instid1(VALU_DEP_2)
	v_add_co_u32 v2, vcc_lo, s1, v2
	v_add_f16_e32 v45, v45, v53
	s_delay_alu instid0(VALU_DEP_4) | instskip(NEXT) | instid1(VALU_DEP_2)
	v_add_co_ci_u32_e32 v3, vcc_lo, s6, v3, vcc_lo
	v_add_f16_e32 v45, v45, v52
	s_delay_alu instid0(VALU_DEP_4) | instskip(NEXT) | instid1(VALU_DEP_3)
	v_add_co_u32 v52, vcc_lo, v2, v16
	v_add_co_ci_u32_e32 v53, vcc_lo, v3, v17, vcc_lo
	s_and_b32 vcc_lo, exec_lo, s0
	global_store_b16 v[52:53], v45, off
	s_cbranch_vccnz .LBB238_48
; %bb.47:
	v_add_co_u32 v52, vcc_lo, v1, v20
	v_add_co_ci_u32_e32 v53, vcc_lo, v24, v21, vcc_lo
	flat_load_u16 v45, v[52:53]
	s_waitcnt vmcnt(0) lgkmcnt(0)
	v_mul_f16_e32 v50, s9, v45
.LBB238_48:
	v_pk_min_f16 v45, v28, v46
	v_pk_min_f16 v52, v29, v0
	s_delay_alu instid0(VALU_DEP_2) | instskip(NEXT) | instid1(VALU_DEP_1)
	v_pk_add_f16 v44, v45, v44
	v_pk_add_f16 v44, v52, v44
	v_add_co_u32 v52, vcc_lo, v2, v20
	v_add_co_ci_u32_e32 v53, vcc_lo, v3, v21, vcc_lo
	s_delay_alu instid0(VALU_DEP_3) | instskip(SKIP_1) | instid1(VALU_DEP_1)
	v_lshrrev_b32_e32 v45, 16, v44
	s_and_b32 vcc_lo, exec_lo, s0
	v_add_f16_e32 v44, v44, v45
	v_mov_b32_e32 v45, 0
	s_delay_alu instid0(VALU_DEP_2)
	v_add_f16_e32 v50, v44, v50
	v_mov_b32_e32 v44, 0
	global_store_b16 v[52:53], v50, off
	s_cbranch_vccnz .LBB238_50
; %bb.49:
	v_add_co_u32 v52, vcc_lo, v1, v12
	v_add_co_ci_u32_e32 v53, vcc_lo, v24, v13, vcc_lo
	flat_load_u16 v45, v[52:53]
	s_waitcnt vmcnt(0) lgkmcnt(0)
	v_mul_f16_e32 v45, s9, v45
.LBB238_50:
	v_pk_min_f16 v50, v47, v46
	v_pk_min_f16 v52, v48, v0
	s_delay_alu instid0(VALU_DEP_2) | instskip(NEXT) | instid1(VALU_DEP_1)
	v_pk_add_f16 v43, v50, v43
	v_pk_add_f16 v43, v52, v43
	v_add_co_u32 v52, vcc_lo, v2, v12
	v_add_co_ci_u32_e32 v53, vcc_lo, v3, v13, vcc_lo
	s_delay_alu instid0(VALU_DEP_3) | instskip(SKIP_1) | instid1(VALU_DEP_1)
	v_lshrrev_b32_e32 v50, 16, v43
	s_and_b32 vcc_lo, exec_lo, s0
	v_add_f16_e32 v43, v43, v50
	s_delay_alu instid0(VALU_DEP_1)
	v_add_f16_e32 v43, v43, v45
	global_store_b16 v[52:53], v43, off
	s_cbranch_vccnz .LBB238_52
; %bb.51:
	v_add_co_u32 v43, vcc_lo, v1, v14
	v_add_co_ci_u32_e32 v44, vcc_lo, v24, v15, vcc_lo
	flat_load_u16 v43, v[43:44]
	s_waitcnt vmcnt(0) lgkmcnt(0)
	v_mul_f16_e32 v44, s9, v43
.LBB238_52:
	v_pk_min_f16 v43, v49, v46
	v_pk_min_f16 v45, v51, v0
	v_add_co_u32 v52, vcc_lo, v2, v14
	v_add_co_ci_u32_e32 v53, vcc_lo, v3, v15, vcc_lo
	s_delay_alu instid0(VALU_DEP_4) | instskip(SKIP_1) | instid1(VALU_DEP_1)
	v_pk_add_f16 v42, v43, v42
	s_and_b32 vcc_lo, exec_lo, s0
	v_pk_add_f16 v42, v45, v42
	s_delay_alu instid0(VALU_DEP_1) | instskip(NEXT) | instid1(VALU_DEP_1)
	v_lshrrev_b32_e32 v43, 16, v42
	v_add_f16_e32 v42, v42, v43
	v_mov_b32_e32 v43, 0
	s_delay_alu instid0(VALU_DEP_2)
	v_add_f16_e32 v44, v42, v44
	v_mov_b32_e32 v42, 0
	global_store_b16 v[52:53], v44, off
	s_cbranch_vccnz .LBB238_54
; %bb.53:
	v_add_co_u32 v43, vcc_lo, v1, v8
	v_add_co_ci_u32_e32 v44, vcc_lo, v24, v9, vcc_lo
	flat_load_u16 v43, v[43:44]
	s_waitcnt vmcnt(0) lgkmcnt(0)
	v_mul_f16_e32 v43, s9, v43
.LBB238_54:
	v_pk_min_f16 v44, v57, v46
	v_pk_min_f16 v45, v59, v0
	s_delay_alu instid0(VALU_DEP_2) | instskip(NEXT) | instid1(VALU_DEP_1)
	v_pk_add_f16 v41, v44, v41
	v_pk_add_f16 v41, v45, v41
	s_delay_alu instid0(VALU_DEP_1) | instskip(NEXT) | instid1(VALU_DEP_1)
	v_lshrrev_b32_e32 v44, 16, v41
	v_add_f16_e32 v41, v41, v44
	s_delay_alu instid0(VALU_DEP_1)
	v_add_f16_e32 v41, v41, v43
	v_add_co_u32 v43, vcc_lo, v2, v8
	v_add_co_ci_u32_e32 v44, vcc_lo, v3, v9, vcc_lo
	s_and_b32 vcc_lo, exec_lo, s0
	global_store_b16 v[43:44], v41, off
	s_cbranch_vccnz .LBB238_56
; %bb.55:
	v_add_co_u32 v41, vcc_lo, v1, v10
	v_add_co_ci_u32_e32 v42, vcc_lo, v24, v11, vcc_lo
	flat_load_u16 v41, v[41:42]
	s_waitcnt vmcnt(0) lgkmcnt(0)
	v_mul_f16_e32 v42, s9, v41
.LBB238_56:
	v_pk_min_f16 v41, v60, v46
	v_pk_min_f16 v43, v62, v0
	s_delay_alu instid0(VALU_DEP_2) | instskip(NEXT) | instid1(VALU_DEP_1)
	v_pk_add_f16 v40, v41, v40
	v_pk_add_f16 v40, v43, v40
	v_add_co_u32 v43, vcc_lo, v2, v10
	v_add_co_ci_u32_e32 v44, vcc_lo, v3, v11, vcc_lo
	s_delay_alu instid0(VALU_DEP_3) | instskip(SKIP_1) | instid1(VALU_DEP_1)
	v_lshrrev_b32_e32 v41, 16, v40
	s_and_b32 vcc_lo, exec_lo, s0
	v_add_f16_e32 v40, v40, v41
	v_mov_b32_e32 v41, 0
	s_delay_alu instid0(VALU_DEP_2)
	v_add_f16_e32 v42, v40, v42
	v_mov_b32_e32 v40, 0
	global_store_b16 v[43:44], v42, off
	s_cbranch_vccnz .LBB238_58
; %bb.57:
	v_add_co_u32 v41, vcc_lo, v1, v4
	v_add_co_ci_u32_e32 v42, vcc_lo, v24, v5, vcc_lo
	flat_load_u16 v41, v[41:42]
	s_waitcnt vmcnt(0) lgkmcnt(0)
	v_mul_f16_e32 v41, s9, v41
.LBB238_58:
	v_pk_min_f16 v42, v64, v46
	v_pk_min_f16 v43, v65, v0
	s_delay_alu instid0(VALU_DEP_2) | instskip(NEXT) | instid1(VALU_DEP_1)
	v_pk_add_f16 v39, v42, v39
	v_pk_add_f16 v39, v43, v39
	s_delay_alu instid0(VALU_DEP_1) | instskip(NEXT) | instid1(VALU_DEP_1)
	v_lshrrev_b32_e32 v42, 16, v39
	v_add_f16_e32 v39, v39, v42
	s_delay_alu instid0(VALU_DEP_1)
	v_add_f16_e32 v39, v39, v41
	v_add_co_u32 v41, vcc_lo, v2, v4
	v_add_co_ci_u32_e32 v42, vcc_lo, v3, v5, vcc_lo
	s_and_b32 vcc_lo, exec_lo, s0
	global_store_b16 v[41:42], v39, off
	s_cbranch_vccnz .LBB238_60
; %bb.59:
	v_add_co_u32 v39, vcc_lo, v1, v6
	v_add_co_ci_u32_e32 v40, vcc_lo, v24, v7, vcc_lo
	flat_load_u16 v1, v[39:40]
	s_waitcnt vmcnt(0) lgkmcnt(0)
	v_mul_f16_e32 v40, s9, v1
.LBB238_60:
	v_pk_min_f16 v1, v22, v46
	v_pk_min_f16 v24, v23, v0
	v_add_nc_u32_e32 v25, 0x60, v25
	v_add_co_u32 v2, vcc_lo, v2, v6
	s_delay_alu instid0(VALU_DEP_4) | instskip(SKIP_1) | instid1(VALU_DEP_2)
	v_pk_add_f16 v38, v1, v38
	v_add_co_ci_u32_e32 v3, vcc_lo, v3, v7, vcc_lo
	v_pk_add_f16 v24, v24, v38
	s_delay_alu instid0(VALU_DEP_1) | instskip(NEXT) | instid1(VALU_DEP_1)
	v_lshrrev_b32_e32 v38, 16, v24
	v_add_f16_e32 v24, v24, v38
	v_mov_b32_e32 v38, 0
	s_delay_alu instid0(VALU_DEP_2) | instskip(SKIP_4) | instid1(VALU_DEP_1)
	v_add_f16_e32 v39, v24, v40
	v_mov_b32_e32 v24, 0
	v_mad_i64_i32 v[0:1], null, v25, s8, 0
	global_store_b16 v[2:3], v39, off
	v_lshlrev_b64 v[0:1], 1, v[0:1]
	v_add_co_u32 v0, vcc_lo, s4, v0
	s_delay_alu instid0(VALU_DEP_2)
	v_add_co_ci_u32_e32 v1, vcc_lo, s5, v1, vcc_lo
	s_and_b32 vcc_lo, exec_lo, s0
	s_cbranch_vccnz .LBB238_62
; %bb.61:
	s_delay_alu instid0(VALU_DEP_2) | instskip(NEXT) | instid1(VALU_DEP_2)
	v_add_co_u32 v2, vcc_lo, v0, v16
	v_add_co_ci_u32_e32 v3, vcc_lo, v1, v17, vcc_lo
	flat_load_u16 v2, v[2:3]
	s_waitcnt vmcnt(0) lgkmcnt(0)
	v_mul_f16_e32 v38, s9, v2
.LBB238_62:
	v_pk_max_f16 v2, v18, v18
	v_pk_max_f16 v3, v19, v19
	s_delay_alu instid0(VALU_DEP_2) | instskip(NEXT) | instid1(VALU_DEP_2)
	v_pk_min_f16 v18, v26, v2
	v_pk_min_f16 v26, v27, v3
	s_delay_alu instid0(VALU_DEP_2) | instskip(SKIP_1) | instid1(VALU_DEP_2)
	v_pk_add_f16 v27, v18, v37
	v_mad_i64_i32 v[18:19], null, v25, s3, 0
	v_pk_add_f16 v25, v26, v27
	s_delay_alu instid0(VALU_DEP_2) | instskip(NEXT) | instid1(VALU_DEP_2)
	v_lshlrev_b64 v[18:19], 1, v[18:19]
	v_lshrrev_b32_e32 v26, 16, v25
	s_delay_alu instid0(VALU_DEP_2) | instskip(NEXT) | instid1(VALU_DEP_2)
	v_add_co_u32 v18, vcc_lo, s1, v18
	v_add_f16_e32 v25, v25, v26
	s_delay_alu instid0(VALU_DEP_4) | instskip(NEXT) | instid1(VALU_DEP_3)
	v_add_co_ci_u32_e32 v19, vcc_lo, s6, v19, vcc_lo
	v_add_co_u32 v16, vcc_lo, v18, v16
	s_delay_alu instid0(VALU_DEP_3) | instskip(NEXT) | instid1(VALU_DEP_3)
	v_add_f16_e32 v25, v25, v38
	v_add_co_ci_u32_e32 v17, vcc_lo, v19, v17, vcc_lo
	s_and_b32 vcc_lo, exec_lo, s0
	global_store_b16 v[16:17], v25, off
	s_cbranch_vccnz .LBB238_64
; %bb.63:
	v_add_co_u32 v16, vcc_lo, v0, v20
	v_add_co_ci_u32_e32 v17, vcc_lo, v1, v21, vcc_lo
	flat_load_u16 v16, v[16:17]
	s_waitcnt vmcnt(0) lgkmcnt(0)
	v_mul_f16_e32 v24, s9, v16
.LBB238_64:
	v_pk_min_f16 v16, v28, v2
	v_pk_min_f16 v17, v29, v3
	v_add_co_u32 v20, vcc_lo, v18, v20
	v_add_co_ci_u32_e32 v21, vcc_lo, v19, v21, vcc_lo
	s_delay_alu instid0(VALU_DEP_4) | instskip(SKIP_1) | instid1(VALU_DEP_1)
	v_pk_add_f16 v16, v16, v36
	s_and_b32 vcc_lo, exec_lo, s0
	v_pk_add_f16 v16, v17, v16
	s_delay_alu instid0(VALU_DEP_1) | instskip(NEXT) | instid1(VALU_DEP_1)
	v_lshrrev_b32_e32 v17, 16, v16
	v_add_f16_e32 v16, v16, v17
	v_mov_b32_e32 v17, 0
	s_delay_alu instid0(VALU_DEP_2)
	v_add_f16_e32 v24, v16, v24
	v_mov_b32_e32 v16, 0
	global_store_b16 v[20:21], v24, off
	s_cbranch_vccnz .LBB238_66
; %bb.65:
	v_add_co_u32 v20, vcc_lo, v0, v12
	v_add_co_ci_u32_e32 v21, vcc_lo, v1, v13, vcc_lo
	flat_load_u16 v17, v[20:21]
	s_waitcnt vmcnt(0) lgkmcnt(0)
	v_mul_f16_e32 v17, s9, v17
.LBB238_66:
	v_pk_min_f16 v20, v47, v2
	v_pk_min_f16 v21, v48, v3
	v_add_co_u32 v12, vcc_lo, v18, v12
	v_add_co_ci_u32_e32 v13, vcc_lo, v19, v13, vcc_lo
	s_delay_alu instid0(VALU_DEP_4) | instskip(SKIP_1) | instid1(VALU_DEP_1)
	v_pk_add_f16 v20, v20, v35
	s_and_b32 vcc_lo, exec_lo, s0
	v_pk_add_f16 v20, v21, v20
	s_delay_alu instid0(VALU_DEP_1) | instskip(NEXT) | instid1(VALU_DEP_1)
	v_lshrrev_b32_e32 v21, 16, v20
	v_add_f16_e32 v20, v20, v21
	s_delay_alu instid0(VALU_DEP_1)
	v_add_f16_e32 v17, v20, v17
	global_store_b16 v[12:13], v17, off
	s_cbranch_vccnz .LBB238_68
; %bb.67:
	v_add_co_u32 v12, vcc_lo, v0, v14
	v_add_co_ci_u32_e32 v13, vcc_lo, v1, v15, vcc_lo
	flat_load_u16 v12, v[12:13]
	s_waitcnt vmcnt(0) lgkmcnt(0)
	v_mul_f16_e32 v16, s9, v12
.LBB238_68:
	v_pk_min_f16 v12, v49, v2
	v_pk_min_f16 v13, v51, v3
	v_add_co_u32 v14, vcc_lo, v18, v14
	v_add_co_ci_u32_e32 v15, vcc_lo, v19, v15, vcc_lo
	s_delay_alu instid0(VALU_DEP_4) | instskip(SKIP_1) | instid1(VALU_DEP_1)
	v_pk_add_f16 v12, v12, v34
	s_and_b32 vcc_lo, exec_lo, s0
	v_pk_add_f16 v12, v13, v12
	s_delay_alu instid0(VALU_DEP_1) | instskip(NEXT) | instid1(VALU_DEP_1)
	v_lshrrev_b32_e32 v13, 16, v12
	v_add_f16_e32 v12, v12, v13
	v_mov_b32_e32 v13, 0
	s_delay_alu instid0(VALU_DEP_2)
	v_add_f16_e32 v16, v12, v16
	v_mov_b32_e32 v12, 0
	global_store_b16 v[14:15], v16, off
	s_cbranch_vccnz .LBB238_70
; %bb.69:
	v_add_co_u32 v13, vcc_lo, v0, v8
	v_add_co_ci_u32_e32 v14, vcc_lo, v1, v9, vcc_lo
	flat_load_u16 v13, v[13:14]
	s_waitcnt vmcnt(0) lgkmcnt(0)
	v_mul_f16_e32 v13, s9, v13
.LBB238_70:
	v_pk_min_f16 v14, v57, v2
	v_pk_min_f16 v15, v59, v3
	v_add_co_u32 v8, vcc_lo, v18, v8
	v_add_co_ci_u32_e32 v9, vcc_lo, v19, v9, vcc_lo
	s_delay_alu instid0(VALU_DEP_4) | instskip(SKIP_1) | instid1(VALU_DEP_1)
	v_pk_add_f16 v14, v14, v33
	s_and_b32 vcc_lo, exec_lo, s0
	v_pk_add_f16 v14, v15, v14
	s_delay_alu instid0(VALU_DEP_1) | instskip(NEXT) | instid1(VALU_DEP_1)
	v_lshrrev_b32_e32 v15, 16, v14
	v_add_f16_e32 v14, v14, v15
	s_delay_alu instid0(VALU_DEP_1)
	v_add_f16_e32 v13, v14, v13
	global_store_b16 v[8:9], v13, off
	s_cbranch_vccnz .LBB238_72
; %bb.71:
	v_add_co_u32 v8, vcc_lo, v0, v10
	v_add_co_ci_u32_e32 v9, vcc_lo, v1, v11, vcc_lo
	flat_load_u16 v8, v[8:9]
	s_waitcnt vmcnt(0) lgkmcnt(0)
	v_mul_f16_e32 v12, s9, v8
.LBB238_72:
	v_pk_min_f16 v8, v60, v2
	v_pk_min_f16 v9, v62, v3
	;; [unrolled: 1-line block ×3, first 2 shown]
	s_delay_alu instid0(VALU_DEP_3) | instskip(NEXT) | instid1(VALU_DEP_2)
	v_pk_add_f16 v8, v8, v32
	v_pk_add_f16 v13, v13, v31
	s_delay_alu instid0(VALU_DEP_2) | instskip(SKIP_1) | instid1(VALU_DEP_2)
	v_pk_add_f16 v8, v9, v8
	v_pk_min_f16 v9, v65, v3
	v_lshrrev_b32_e32 v14, 16, v8
	s_delay_alu instid0(VALU_DEP_2) | instskip(SKIP_2) | instid1(VALU_DEP_4)
	v_pk_add_f16 v13, v9, v13
	v_add_co_u32 v9, vcc_lo, v18, v10
	v_add_co_ci_u32_e32 v10, vcc_lo, v19, v11, vcc_lo
	v_add_f16_e32 v8, v8, v14
	s_delay_alu instid0(VALU_DEP_4) | instskip(SKIP_1) | instid1(VALU_DEP_2)
	v_lshrrev_b32_e32 v11, 16, v13
	s_mov_b32 vcc_lo, s2
	v_add_f16_e32 v12, v8, v12
	s_delay_alu instid0(VALU_DEP_2)
	v_add_f16_e32 v8, v13, v11
	global_store_b16 v[9:10], v12, off
	s_cbranch_vccz .LBB238_75
; %bb.73:
	v_add_co_u32 v9, vcc_lo, v18, v4
	v_add_f16_e32 v11, 0, v8
	v_add_co_ci_u32_e32 v10, vcc_lo, v19, v5, vcc_lo
	s_mov_b32 s0, 0
	global_store_b16 v[9:10], v11, off
	s_cbranch_execz .LBB238_76
; %bb.74:
	v_mov_b32_e32 v0, s0
	s_branch .LBB238_77
.LBB238_75:
	s_mov_b32 s0, -1
.LBB238_76:
	v_add_co_u32 v9, vcc_lo, v0, v4
	v_add_co_ci_u32_e32 v10, vcc_lo, v1, v5, vcc_lo
	v_add_co_u32 v4, vcc_lo, v18, v4
	v_add_co_ci_u32_e32 v5, vcc_lo, v19, v5, vcc_lo
	flat_load_u16 v9, v[9:10]
	v_add_co_u32 v0, vcc_lo, v0, v6
	v_add_co_ci_u32_e32 v1, vcc_lo, v1, v7, vcc_lo
	s_waitcnt vmcnt(0) lgkmcnt(0)
	v_fmac_f16_e32 v8, s9, v9
	global_store_b16 v[4:5], v8, off
	flat_load_u16 v0, v[0:1]
	s_waitcnt vmcnt(0) lgkmcnt(0)
	v_mul_f16_e32 v0, s9, v0
.LBB238_77:
	v_pk_min_f16 v1, v22, v2
	v_pk_min_f16 v2, v23, v3
	s_delay_alu instid0(VALU_DEP_2) | instskip(NEXT) | instid1(VALU_DEP_1)
	v_pk_add_f16 v1, v1, v30
	v_pk_add_f16 v1, v2, v1
	s_delay_alu instid0(VALU_DEP_1) | instskip(NEXT) | instid1(VALU_DEP_1)
	v_lshrrev_b32_e32 v2, 16, v1
	v_add_f16_e32 v1, v1, v2
	s_delay_alu instid0(VALU_DEP_1)
	v_add_f16_e32 v2, v1, v0
	v_add_co_u32 v0, vcc_lo, v18, v6
	v_add_co_ci_u32_e32 v1, vcc_lo, v19, v7, vcc_lo
	global_store_b16 v[0:1], v2, off
	s_nop 0
	s_sendmsg sendmsg(MSG_DEALLOC_VGPRS)
	s_endpgm
	.section	.rodata,"a",@progbits
	.p2align	6, 0x0
	.amdhsa_kernel _ZN12_GLOBAL__N_120geam_min_plus_kernelIDF16_Dv2_DF16_S1_Li8ELi32ELi64ELi128ELi4ELi4ELi64ELi4ELi64ELc84ELc78ELb1ELb0ELb0EDF16_KPKDF16_KPDF16_EEviiiT16_PT17_ilS9_ilS7_S9_ilPT18_ili26rocblas_geam_ex_operation_
		.amdhsa_group_segment_fixed_size 3072
		.amdhsa_private_segment_fixed_size 0
		.amdhsa_kernarg_size 128
		.amdhsa_user_sgpr_count 14
		.amdhsa_user_sgpr_dispatch_ptr 0
		.amdhsa_user_sgpr_queue_ptr 0
		.amdhsa_user_sgpr_kernarg_segment_ptr 1
		.amdhsa_user_sgpr_dispatch_id 0
		.amdhsa_user_sgpr_private_segment_size 0
		.amdhsa_wavefront_size32 1
		.amdhsa_uses_dynamic_stack 0
		.amdhsa_enable_private_segment 0
		.amdhsa_system_sgpr_workgroup_id_x 1
		.amdhsa_system_sgpr_workgroup_id_y 0
		.amdhsa_system_sgpr_workgroup_id_z 1
		.amdhsa_system_sgpr_workgroup_info 0
		.amdhsa_system_vgpr_workitem_id 1
		.amdhsa_next_free_vgpr 118
		.amdhsa_next_free_sgpr 22
		.amdhsa_reserve_vcc 1
		.amdhsa_float_round_mode_32 0
		.amdhsa_float_round_mode_16_64 0
		.amdhsa_float_denorm_mode_32 3
		.amdhsa_float_denorm_mode_16_64 3
		.amdhsa_dx10_clamp 1
		.amdhsa_ieee_mode 1
		.amdhsa_fp16_overflow 0
		.amdhsa_workgroup_processor_mode 1
		.amdhsa_memory_ordered 1
		.amdhsa_forward_progress 0
		.amdhsa_shared_vgpr_count 0
		.amdhsa_exception_fp_ieee_invalid_op 0
		.amdhsa_exception_fp_denorm_src 0
		.amdhsa_exception_fp_ieee_div_zero 0
		.amdhsa_exception_fp_ieee_overflow 0
		.amdhsa_exception_fp_ieee_underflow 0
		.amdhsa_exception_fp_ieee_inexact 0
		.amdhsa_exception_int_div_zero 0
	.end_amdhsa_kernel
	.section	.text._ZN12_GLOBAL__N_120geam_min_plus_kernelIDF16_Dv2_DF16_S1_Li8ELi32ELi64ELi128ELi4ELi4ELi64ELi4ELi64ELc84ELc78ELb1ELb0ELb0EDF16_KPKDF16_KPDF16_EEviiiT16_PT17_ilS9_ilS7_S9_ilPT18_ili26rocblas_geam_ex_operation_,"axG",@progbits,_ZN12_GLOBAL__N_120geam_min_plus_kernelIDF16_Dv2_DF16_S1_Li8ELi32ELi64ELi128ELi4ELi4ELi64ELi4ELi64ELc84ELc78ELb1ELb0ELb0EDF16_KPKDF16_KPDF16_EEviiiT16_PT17_ilS9_ilS7_S9_ilPT18_ili26rocblas_geam_ex_operation_,comdat
.Lfunc_end238:
	.size	_ZN12_GLOBAL__N_120geam_min_plus_kernelIDF16_Dv2_DF16_S1_Li8ELi32ELi64ELi128ELi4ELi4ELi64ELi4ELi64ELc84ELc78ELb1ELb0ELb0EDF16_KPKDF16_KPDF16_EEviiiT16_PT17_ilS9_ilS7_S9_ilPT18_ili26rocblas_geam_ex_operation_, .Lfunc_end238-_ZN12_GLOBAL__N_120geam_min_plus_kernelIDF16_Dv2_DF16_S1_Li8ELi32ELi64ELi128ELi4ELi4ELi64ELi4ELi64ELc84ELc78ELb1ELb0ELb0EDF16_KPKDF16_KPDF16_EEviiiT16_PT17_ilS9_ilS7_S9_ilPT18_ili26rocblas_geam_ex_operation_
                                        ; -- End function
	.section	.AMDGPU.csdata,"",@progbits
; Kernel info:
; codeLenInByte = 9596
; NumSgprs: 24
; NumVgprs: 118
; ScratchSize: 0
; MemoryBound: 0
; FloatMode: 240
; IeeeMode: 1
; LDSByteSize: 3072 bytes/workgroup (compile time only)
; SGPRBlocks: 2
; VGPRBlocks: 14
; NumSGPRsForWavesPerEU: 24
; NumVGPRsForWavesPerEU: 118
; Occupancy: 12
; WaveLimiterHint : 1
; COMPUTE_PGM_RSRC2:SCRATCH_EN: 0
; COMPUTE_PGM_RSRC2:USER_SGPR: 14
; COMPUTE_PGM_RSRC2:TRAP_HANDLER: 0
; COMPUTE_PGM_RSRC2:TGID_X_EN: 1
; COMPUTE_PGM_RSRC2:TGID_Y_EN: 0
; COMPUTE_PGM_RSRC2:TGID_Z_EN: 1
; COMPUTE_PGM_RSRC2:TIDIG_COMP_CNT: 1
	.section	.text._ZN12_GLOBAL__N_120geam_min_plus_kernelIDF16_Dv2_DF16_S1_Li8ELi32ELi64ELi128ELi4ELi4ELi64ELi4ELi64ELc84ELc78ELb0ELb0ELb0EDF16_KPKDF16_KPDF16_EEviiiT16_PT17_ilS9_ilS7_S9_ilPT18_ili26rocblas_geam_ex_operation_,"axG",@progbits,_ZN12_GLOBAL__N_120geam_min_plus_kernelIDF16_Dv2_DF16_S1_Li8ELi32ELi64ELi128ELi4ELi4ELi64ELi4ELi64ELc84ELc78ELb0ELb0ELb0EDF16_KPKDF16_KPDF16_EEviiiT16_PT17_ilS9_ilS7_S9_ilPT18_ili26rocblas_geam_ex_operation_,comdat
	.globl	_ZN12_GLOBAL__N_120geam_min_plus_kernelIDF16_Dv2_DF16_S1_Li8ELi32ELi64ELi128ELi4ELi4ELi64ELi4ELi64ELc84ELc78ELb0ELb0ELb0EDF16_KPKDF16_KPDF16_EEviiiT16_PT17_ilS9_ilS7_S9_ilPT18_ili26rocblas_geam_ex_operation_ ; -- Begin function _ZN12_GLOBAL__N_120geam_min_plus_kernelIDF16_Dv2_DF16_S1_Li8ELi32ELi64ELi128ELi4ELi4ELi64ELi4ELi64ELc84ELc78ELb0ELb0ELb0EDF16_KPKDF16_KPDF16_EEviiiT16_PT17_ilS9_ilS7_S9_ilPT18_ili26rocblas_geam_ex_operation_
	.p2align	8
	.type	_ZN12_GLOBAL__N_120geam_min_plus_kernelIDF16_Dv2_DF16_S1_Li8ELi32ELi64ELi128ELi4ELi4ELi64ELi4ELi64ELc84ELc78ELb0ELb0ELb0EDF16_KPKDF16_KPDF16_EEviiiT16_PT17_ilS9_ilS7_S9_ilPT18_ili26rocblas_geam_ex_operation_,@function
_ZN12_GLOBAL__N_120geam_min_plus_kernelIDF16_Dv2_DF16_S1_Li8ELi32ELi64ELi128ELi4ELi4ELi64ELi4ELi64ELc84ELc78ELb0ELb0ELb0EDF16_KPKDF16_KPDF16_EEviiiT16_PT17_ilS9_ilS7_S9_ilPT18_ili26rocblas_geam_ex_operation_: ; @_ZN12_GLOBAL__N_120geam_min_plus_kernelIDF16_Dv2_DF16_S1_Li8ELi32ELi64ELi128ELi4ELi4ELi64ELi4ELi64ELc84ELc78ELb0ELb0ELb0EDF16_KPKDF16_KPDF16_EEviiiT16_PT17_ilS9_ilS7_S9_ilPT18_ili26rocblas_geam_ex_operation_
; %bb.0:
	s_clause 0x1
	s_load_b64 s[8:9], s[0:1], 0x8
	s_load_b128 s[4:7], s[0:1], 0x20
	s_mov_b32 s16, s15
	s_mov_b32 s17, 0
	s_waitcnt lgkmcnt(0)
	v_cmp_eq_f16_e64 s2, s9, 0
	s_delay_alu instid0(VALU_DEP_1)
	s_and_b32 vcc_lo, exec_lo, s2
	s_cbranch_vccnz .LBB239_3
; %bb.1:
	s_load_b64 s[10:11], s[0:1], 0x10
	s_lshl_b64 s[12:13], s[16:17], 3
	s_waitcnt lgkmcnt(0)
	s_add_u32 s10, s10, s12
	s_addc_u32 s11, s11, s13
	s_lshl_b64 s[4:5], s[4:5], 1
	s_load_b64 s[10:11], s[10:11], 0x0
	s_waitcnt lgkmcnt(0)
	s_add_u32 s10, s10, s4
	s_addc_u32 s11, s11, s5
	s_and_not1_b32 vcc_lo, exec_lo, s2
	s_cbranch_vccnz .LBB239_4
.LBB239_2:
	s_mov_b64 s[12:13], 0
	s_and_not1_b32 vcc_lo, exec_lo, s17
	s_cbranch_vccz .LBB239_5
	s_branch .LBB239_6
.LBB239_3:
	s_mov_b64 s[10:11], 0
	s_and_not1_b32 vcc_lo, exec_lo, s2
	s_cbranch_vccz .LBB239_2
.LBB239_4:
	s_mov_b32 s17, -1
                                        ; implicit-def: $sgpr12_sgpr13
.LBB239_5:
	s_mov_b32 s17, 0
	s_load_b64 s[4:5], s[0:1], 0x38
	s_lshl_b64 s[2:3], s[16:17], 3
	s_delay_alu instid0(SALU_CYCLE_1) | instskip(SKIP_4) | instid1(SALU_CYCLE_1)
	s_add_u32 s2, s6, s2
	s_addc_u32 s3, s7, s3
	s_load_b64 s[2:3], s[2:3], 0x0
	s_waitcnt lgkmcnt(0)
	s_lshl_b64 s[4:5], s[4:5], 1
	s_add_u32 s12, s2, s4
	s_addc_u32 s13, s3, s5
.LBB239_6:
	s_clause 0x1
	s_load_b32 s15, s[0:1], 0x40
	s_load_b128 s[4:7], s[0:1], 0x58
	v_cmp_neq_f16_e64 s18, s9, 0
	s_waitcnt lgkmcnt(0)
	v_cmp_eq_f16_e64 s2, s15, 0
	s_delay_alu instid0(VALU_DEP_1) | instskip(NEXT) | instid1(SALU_CYCLE_1)
	s_and_b32 s2, exec_lo, s2
	s_mov_b32 vcc_lo, s2
	s_cbranch_vccnz .LBB239_8
; %bb.7:
	s_load_b64 s[20:21], s[0:1], 0x48
	s_lshl_b64 s[22:23], s[16:17], 3
	s_waitcnt lgkmcnt(0)
	s_add_u32 s20, s20, s22
	s_addc_u32 s21, s21, s23
	s_lshl_b64 s[4:5], s[4:5], 1
	s_load_b64 s[20:21], s[20:21], 0x0
	s_waitcnt lgkmcnt(0)
	s_add_u32 s4, s20, s4
	s_addc_u32 s5, s21, s5
	s_branch .LBB239_9
.LBB239_8:
	s_mov_b64 s[4:5], 0
.LBB239_9:
	s_load_b32 s3, s[0:1], 0x0
	s_lshl_b64 s[20:21], s[16:17], 3
	s_load_b32 s17, s[0:1], 0x18
	s_add_u32 s6, s6, s20
	s_addc_u32 s7, s7, s21
	v_and_b32_e32 v24, 0x3ff, v0
	v_bfe_u32 v42, v0, 10, 10
	s_delay_alu instid0(VALU_DEP_2) | instskip(NEXT) | instid1(VALU_DEP_2)
	v_and_b32_e32 v2, 3, v24
	v_lshl_add_u32 v0, v42, 3, v24
	s_delay_alu instid0(VALU_DEP_2) | instskip(NEXT) | instid1(VALU_DEP_2)
	v_lshlrev_b32_e32 v45, 1, v2
	v_lshrrev_b32_e32 v6, 2, v0
	s_waitcnt lgkmcnt(0)
	s_add_i32 s3, s3, -1
	s_delay_alu instid0(SALU_CYCLE_1) | instskip(NEXT) | instid1(SALU_CYCLE_1)
	s_ashr_i32 s16, s3, 31
	s_lshr_b32 s16, s16, 26
	s_delay_alu instid0(SALU_CYCLE_1) | instskip(NEXT) | instid1(SALU_CYCLE_1)
	s_add_i32 s3, s3, s16
	s_ashr_i32 s3, s3, 6
	s_delay_alu instid0(SALU_CYCLE_1) | instskip(SKIP_2) | instid1(VALU_DEP_1)
	s_add_i32 s19, s3, 1
	s_not_b32 s3, s3
	v_cvt_f32_u32_e32 v1, s19
	v_rcp_iflag_f32_e32 v1, v1
	s_waitcnt_depctr 0xfff
	v_mul_f32_e32 v1, 0x4f7ffffe, v1
	s_delay_alu instid0(VALU_DEP_1) | instskip(NEXT) | instid1(VALU_DEP_1)
	v_cvt_u32_f32_e32 v1, v1
	v_readfirstlane_b32 s16, v1
	v_cndmask_b32_e64 v1, 0, 1, s18
	s_delay_alu instid0(VALU_DEP_2) | instskip(NEXT) | instid1(SALU_CYCLE_1)
	s_mul_i32 s3, s3, s16
	s_mul_hi_u32 s3, s16, s3
	s_delay_alu instid0(SALU_CYCLE_1) | instskip(NEXT) | instid1(SALU_CYCLE_1)
	s_add_i32 s16, s16, s3
	s_mul_hi_u32 s3, s14, s16
	s_delay_alu instid0(SALU_CYCLE_1) | instskip(SKIP_2) | instid1(SALU_CYCLE_1)
	s_mul_i32 s16, s3, s19
	s_add_i32 s20, s3, 1
	s_sub_i32 s16, s14, s16
	s_sub_i32 s21, s16, s19
	s_cmp_ge_u32 s16, s19
	s_cselect_b32 s3, s20, s3
	s_cselect_b32 s16, s21, s16
	s_add_i32 s20, s3, 1
	s_cmp_ge_u32 s16, s19
	s_cselect_b32 s16, s20, s3
	s_and_not1_b32 vcc_lo, exec_lo, s18
	s_mul_i32 s3, s16, s19
	s_delay_alu instid0(SALU_CYCLE_1) | instskip(SKIP_2) | instid1(SALU_CYCLE_1)
	s_sub_i32 s14, s14, s3
	v_cmp_ne_u32_e64 s3, 1, v1
	s_lshl_b32 s14, s14, 6
	v_add_nc_u32_e32 v0, s14, v6
	s_cbranch_vccnz .LBB239_11
; %bb.10:
	s_delay_alu instid0(VALU_DEP_1) | instskip(NEXT) | instid1(VALU_DEP_1)
	v_mad_i64_i32 v[1:2], null, v0, s17, 0
	v_lshlrev_b64 v[1:2], 1, v[1:2]
	s_delay_alu instid0(VALU_DEP_1) | instskip(NEXT) | instid1(VALU_DEP_2)
	v_add_co_u32 v1, vcc_lo, s10, v1
	v_add_co_ci_u32_e32 v2, vcc_lo, s11, v2, vcc_lo
	s_delay_alu instid0(VALU_DEP_2) | instskip(NEXT) | instid1(VALU_DEP_2)
	v_add_co_u32 v1, vcc_lo, v1, v45
	v_add_co_ci_u32_e32 v2, vcc_lo, 0, v2, vcc_lo
	flat_load_u16 v1, v[1:2]
	s_waitcnt vmcnt(0) lgkmcnt(0)
	v_mul_f16_e32 v7, s9, v1
	s_branch .LBB239_12
.LBB239_11:
	v_mov_b32_e32 v7, 0
.LBB239_12:
	s_load_b32 s18, s[0:1], 0x30
	s_lshl_b32 s16, s16, 7
	s_and_b32 vcc_lo, exec_lo, s3
	v_add_nc_u32_e32 v1, s16, v6
	s_delay_alu instid0(VALU_DEP_1)
	v_add_nc_u32_e32 v2, 64, v1
	s_cbranch_vccnz .LBB239_16
; %bb.13:
	s_waitcnt lgkmcnt(0)
	v_mad_i64_i32 v[3:4], null, v1, s18, 0
	s_delay_alu instid0(VALU_DEP_2) | instskip(SKIP_1) | instid1(VALU_DEP_1)
	v_mad_i64_i32 v[8:9], null, v2, s18, 0
	v_add_co_u32 v5, s19, s12, v45
	v_add_co_ci_u32_e64 v10, null, s13, 0, s19
	s_delay_alu instid0(VALU_DEP_4) | instskip(NEXT) | instid1(VALU_DEP_4)
	v_lshlrev_b64 v[3:4], 1, v[3:4]
	v_lshlrev_b64 v[8:9], 1, v[8:9]
	s_delay_alu instid0(VALU_DEP_2) | instskip(NEXT) | instid1(VALU_DEP_3)
	v_add_co_u32 v3, vcc_lo, v5, v3
	v_add_co_ci_u32_e32 v4, vcc_lo, v10, v4, vcc_lo
	s_delay_alu instid0(VALU_DEP_3) | instskip(NEXT) | instid1(VALU_DEP_4)
	v_add_co_u32 v8, vcc_lo, v5, v8
	v_add_co_ci_u32_e32 v9, vcc_lo, v10, v9, vcc_lo
	s_clause 0x1
	flat_load_u16 v3, v[3:4]
	flat_load_u16 v4, v[8:9]
	s_waitcnt vmcnt(1) lgkmcnt(1)
	v_mul_f16_e32 v8, s9, v3
	s_waitcnt vmcnt(0) lgkmcnt(0)
	v_mul_f16_e32 v9, s9, v4
	s_and_b32 vcc_lo, exec_lo, s3
	s_cbranch_vccnz .LBB239_17
.LBB239_14:
	v_mad_i64_i32 v[3:4], null, v0, s17, 0
	s_delay_alu instid0(VALU_DEP_1) | instskip(NEXT) | instid1(VALU_DEP_1)
	v_lshlrev_b64 v[3:4], 1, v[3:4]
	v_add_co_u32 v3, vcc_lo, s10, v3
	s_delay_alu instid0(VALU_DEP_2) | instskip(NEXT) | instid1(VALU_DEP_2)
	v_add_co_ci_u32_e32 v4, vcc_lo, s11, v4, vcc_lo
	v_add_co_u32 v3, vcc_lo, v3, v45
	s_delay_alu instid0(VALU_DEP_2)
	v_add_co_ci_u32_e32 v4, vcc_lo, 0, v4, vcc_lo
	flat_load_u16 v3, v[3:4] offset:8
	s_waitcnt vmcnt(0) lgkmcnt(0)
	v_mul_f16_e32 v3, s9, v3
	s_and_b32 vcc_lo, exec_lo, s3
	s_cbranch_vccnz .LBB239_18
.LBB239_15:
	s_waitcnt lgkmcnt(0)
	v_mad_i64_i32 v[4:5], null, v1, s18, 0
	v_mad_i64_i32 v[10:11], null, v2, s18, 0
	v_add_co_u32 v12, s19, s12, v45
	s_delay_alu instid0(VALU_DEP_1) | instskip(NEXT) | instid1(VALU_DEP_4)
	v_add_co_ci_u32_e64 v13, null, s13, 0, s19
	v_lshlrev_b64 v[4:5], 1, v[4:5]
	s_delay_alu instid0(VALU_DEP_4) | instskip(NEXT) | instid1(VALU_DEP_2)
	v_lshlrev_b64 v[10:11], 1, v[10:11]
	v_add_co_u32 v4, vcc_lo, v12, v4
	s_delay_alu instid0(VALU_DEP_3) | instskip(NEXT) | instid1(VALU_DEP_3)
	v_add_co_ci_u32_e32 v5, vcc_lo, v13, v5, vcc_lo
	v_add_co_u32 v10, vcc_lo, v12, v10
	s_delay_alu instid0(VALU_DEP_4)
	v_add_co_ci_u32_e32 v11, vcc_lo, v13, v11, vcc_lo
	s_clause 0x1
	flat_load_u16 v4, v[4:5] offset:8
	flat_load_u16 v5, v[10:11] offset:8
	s_waitcnt vmcnt(1) lgkmcnt(1)
	v_mul_f16_e32 v4, s9, v4
	s_waitcnt vmcnt(0) lgkmcnt(0)
	v_mul_f16_e32 v5, s9, v5
	s_branch .LBB239_19
.LBB239_16:
	v_dual_mov_b32 v8, 0 :: v_dual_mov_b32 v9, 0
	s_and_b32 vcc_lo, exec_lo, s3
	s_cbranch_vccz .LBB239_14
.LBB239_17:
	v_mov_b32_e32 v3, 0
	s_and_b32 vcc_lo, exec_lo, s3
	s_cbranch_vccz .LBB239_15
.LBB239_18:
	v_dual_mov_b32 v4, 0 :: v_dual_mov_b32 v5, 0
.LBB239_19:
	v_lshlrev_b32_e32 v43, 3, v24
	v_lshl_or_b32 v54, v6, 3, v45
	v_lshlrev_b32_e32 v44, 3, v42
	s_load_b64 s[6:7], s[6:7], 0x0
	s_cmp_lt_i32 s8, 9
	v_add_nc_u32_e32 v22, 0x800, v43
	ds_store_b16 v54, v8
	ds_store_b16 v54, v7 offset:2048
	ds_store_b16 v54, v9 offset:512
	s_waitcnt lgkmcnt(0)
	s_barrier
	buffer_gl0_inv
	ds_load_2addr_b64 v[6:9], v44 offset1:32
	ds_load_2addr_b64 v[10:13], v22 offset0:48 offset1:56
	ds_load_2addr_b64 v[14:17], v44 offset0:64 offset1:96
	ds_load_2addr_b64 v[18:21], v22 offset1:8
	ds_load_2addr_b64 v[25:28], v22 offset0:16 offset1:24
	ds_load_2addr_b64 v[33:36], v22 offset0:32 offset1:40
	ds_store_b16 v54, v4 offset:1024
	ds_store_b16 v54, v3 offset:2560
	;; [unrolled: 1-line block ×3, first 2 shown]
	s_waitcnt lgkmcnt(0)
	s_barrier
	buffer_gl0_inv
	v_pk_max_f16 v6, v6, v6
	v_pk_max_f16 v8, v8, v8
	;; [unrolled: 1-line block ×9, first 2 shown]
	v_pk_min_f16 v40, v25, v6
	v_pk_min_f16 v41, v25, v8
	v_pk_max_f16 v20, v20, v20
	v_pk_min_f16 v22, v12, v6
	v_pk_min_f16 v49, v27, v14
	v_pk_add_f16 v47, v40, 0
	v_pk_min_f16 v40, v27, v6
	v_pk_add_f16 v48, v41, 0
	v_pk_min_f16 v41, v27, v8
	v_pk_max_f16 v35, v35, v35
	v_pk_max_f16 v10, v10, v10
	v_pk_add_f16 v55, v40, 0
	v_pk_min_f16 v40, v33, v6
	v_pk_add_f16 v56, v41, 0
	v_pk_min_f16 v41, v33, v8
	v_pk_max_f16 v7, v7, v7
	v_pk_max_f16 v13, v13, v13
	v_pk_add_f16 v62, v40, 0
	v_pk_min_f16 v40, v33, v14
	v_pk_min_f16 v33, v33, v16
	;; [unrolled: 1-line block ×11, first 2 shown]
	v_pk_add_f16 v22, v22, 0
	v_pk_min_f16 v20, v20, v16
	v_pk_min_f16 v46, v25, v14
	;; [unrolled: 1-line block ×4, first 2 shown]
	v_pk_add_f16 v57, v49, 0
	v_pk_add_f16 v63, v41, 0
	v_pk_min_f16 v41, v35, v6
	v_pk_min_f16 v49, v35, v8
	v_pk_add_f16 v65, v33, 0
	v_pk_min_f16 v33, v35, v14
	v_pk_min_f16 v35, v35, v16
	;; [unrolled: 1-line block ×6, first 2 shown]
	v_pk_max_f16 v9, v9, v9
	v_pk_min_f16 v12, v12, v16
	v_pk_min_f16 v16, v13, v7
	v_pk_add_f16 v23, v23, 0
	v_pk_add_f16 v68, v33, 0
	v_pk_max_f16 v15, v15, v15
	v_pk_min_f16 v33, v13, v9
	v_pk_max_f16 v19, v19, v19
	v_pk_add_f16 v53, v16, v22
	v_pk_max_f16 v16, v17, v17
	v_pk_add_f16 v30, v30, 0
	v_pk_add_f16 v31, v31, 0
	;; [unrolled: 1-line block ×6, first 2 shown]
	v_pk_min_f16 v17, v19, v7
	v_pk_min_f16 v22, v19, v9
	v_pk_min_f16 v23, v19, v15
	v_pk_min_f16 v19, v19, v16
	v_pk_max_f16 v21, v21, v21
	v_pk_add_f16 v37, v37, 0
	v_pk_add_f16 v38, v38, 0
	v_pk_add_f16 v39, v39, 0
	v_pk_add_f16 v20, v20, 0
	v_pk_add_f16 v64, v40, 0
	v_pk_add_f16 v61, v17, v30
	v_pk_add_f16 v52, v22, v31
	v_pk_add_f16 v40, v23, v32
	v_pk_add_f16 v32, v19, v18
	v_pk_min_f16 v17, v21, v7
	v_pk_min_f16 v18, v21, v9
	;; [unrolled: 1-line block ×4, first 2 shown]
	v_pk_max_f16 v22, v26, v26
	v_pk_add_f16 v46, v46, 0
	v_pk_add_f16 v25, v25, 0
	;; [unrolled: 1-line block ×6, first 2 shown]
	v_pk_min_f16 v17, v22, v7
	v_pk_min_f16 v18, v22, v9
	;; [unrolled: 1-line block ×4, first 2 shown]
	v_pk_max_f16 v21, v28, v28
	v_pk_add_f16 v29, v29, 0
	v_pk_add_f16 v27, v27, 0
	;; [unrolled: 1-line block ×3, first 2 shown]
	v_pk_min_f16 v35, v13, v15
	v_pk_add_f16 v59, v17, v47
	v_pk_add_f16 v50, v18, v48
	;; [unrolled: 1-line block ×4, first 2 shown]
	v_pk_min_f16 v17, v21, v7
	v_pk_min_f16 v18, v21, v9
	;; [unrolled: 1-line block ×4, first 2 shown]
	v_pk_max_f16 v21, v34, v34
	v_pk_add_f16 v67, v49, 0
	v_pk_add_f16 v33, v35, v29
	;; [unrolled: 1-line block ×6, first 2 shown]
	v_pk_min_f16 v17, v21, v7
	v_pk_min_f16 v18, v21, v9
	;; [unrolled: 1-line block ×4, first 2 shown]
	v_pk_max_f16 v21, v36, v36
	v_pk_max_f16 v11, v11, v11
	v_pk_add_f16 v6, v6, 0
	v_pk_add_f16 v8, v8, 0
	;; [unrolled: 1-line block ×9, first 2 shown]
	v_pk_min_f16 v17, v21, v7
	v_pk_min_f16 v18, v21, v9
	;; [unrolled: 1-line block ×9, first 2 shown]
	v_pk_add_f16 v56, v17, v66
	v_pk_add_f16 v47, v18, v67
	;; [unrolled: 1-line block ×9, first 2 shown]
	s_cbranch_scc1 .LBB239_33
; %bb.20:
	v_mad_i64_i32 v[3:4], null, v0, s17, 0
	v_mad_i64_i32 v[5:6], null, s18, v2, 0
	;; [unrolled: 1-line block ×3, first 2 shown]
	v_add_nc_u32_e32 v62, 0x800, v54
	v_add_nc_u32_e32 v63, 0x800, v43
	v_lshlrev_b64 v[2:3], 1, v[3:4]
	v_add_nc_u32_e32 v64, 0xa00, v54
	v_lshlrev_b64 v[0:1], 1, v[5:6]
	v_add_nc_u32_e32 v65, 0x400, v54
	v_lshl_add_u32 v68, v24, 3, 0xa00
	v_lshl_add_u32 v69, v42, 3, 0x400
	v_add_co_u32 v66, vcc_lo, s10, v2
	v_add_co_ci_u32_e32 v67, vcc_lo, s11, v3, vcc_lo
	v_lshlrev_b64 v[2:3], 1, v[7:8]
	v_add_co_u32 v70, vcc_lo, s12, v0
	v_add_co_ci_u32_e32 v71, vcc_lo, s13, v1, vcc_lo
	s_add_i32 s8, s8, -8
	s_delay_alu instid0(VALU_DEP_3) | instskip(NEXT) | instid1(VALU_DEP_4)
	v_add_co_u32 v72, vcc_lo, s12, v2
	v_add_co_ci_u32_e32 v73, vcc_lo, s13, v3, vcc_lo
	s_mov_b32 s10, 0
	s_branch .LBB239_23
.LBB239_21:                             ;   in Loop: Header=BB239_23 Depth=1
	v_add_co_u32 v0, vcc_lo, v72, v45
	v_add_co_ci_u32_e32 v1, vcc_lo, 0, v73, vcc_lo
	v_add_co_u32 v117, vcc_lo, v70, v45
	v_add_co_ci_u32_e32 v118, vcc_lo, 0, v71, vcc_lo
	flat_load_u16 v0, v[0:1] offset:24
	flat_load_u16 v1, v[117:118] offset:24
	s_waitcnt vmcnt(1) lgkmcnt(1)
	v_mul_f16_e32 v0, s9, v0
	s_waitcnt vmcnt(0) lgkmcnt(0)
	v_mul_f16_e32 v1, s9, v1
.LBB239_22:                             ;   in Loop: Header=BB239_23 Depth=1
	v_pk_add_f16 v16, v16, v33
	v_pk_add_f16 v22, v22, v32
	;; [unrolled: 1-line block ×30, first 2 shown]
	ds_load_2addr_b64 v[25:28], v63 offset0:48 offset1:56
	ds_load_2addr_b64 v[29:32], v44 offset1:32
	ds_load_2addr_b64 v[33:36], v44 offset0:64 offset1:96
	v_pk_add_f16 v78, v114, v39
	v_pk_add_f16 v79, v116, v38
	;; [unrolled: 1-line block ×4, first 2 shown]
	ds_load_2addr_b64 v[37:40], v63 offset1:8
	v_pk_add_f16 v8, v8, v60
	v_pk_add_f16 v47, v89, v47
	;; [unrolled: 1-line block ×12, first 2 shown]
	s_waitcnt lgkmcnt(3)
	v_pk_max_f16 v27, v27, v27
	s_waitcnt lgkmcnt(2)
	v_pk_max_f16 v29, v29, v29
	v_pk_max_f16 v31, v31, v31
	s_waitcnt lgkmcnt(1)
	v_pk_max_f16 v33, v33, v33
	v_pk_add_f16 v15, v15, v47
	v_pk_add_f16 v47, v7, v58
	v_pk_add_f16 v52, v9, v59
	v_pk_min_f16 v6, v27, v29
	v_pk_min_f16 v7, v27, v31
	;; [unrolled: 1-line block ×3, first 2 shown]
	ds_load_2addr_b64 v[2:5], v63 offset0:16 offset1:24
	s_waitcnt lgkmcnt(1)
	v_pk_max_f16 v9, v37, v37
	v_pk_max_f16 v35, v35, v35
	v_pk_add_f16 v14, v106, v14
	v_pk_add_f16 v18, v107, v18
	;; [unrolled: 1-line block ×7, first 2 shown]
	v_pk_min_f16 v6, v9, v29
	v_pk_min_f16 v7, v9, v31
	v_pk_min_f16 v8, v9, v33
	v_pk_min_f16 v9, v9, v35
	v_pk_add_f16 v55, v92, v55
	v_pk_add_f16 v14, v6, v14
	;; [unrolled: 1-line block ×5, first 2 shown]
	ds_load_2addr_b64 v[6:9], v63 offset0:32 offset1:40
	v_pk_max_f16 v39, v39, v39
	v_pk_add_f16 v17, v17, v53
	v_pk_add_f16 v19, v19, v56
	;; [unrolled: 1-line block ×3, first 2 shown]
	s_waitcnt lgkmcnt(1)
	v_pk_max_f16 v2, v2, v2
	v_pk_min_f16 v53, v39, v29
	v_pk_min_f16 v55, v39, v31
	v_pk_min_f16 v56, v39, v33
	v_pk_min_f16 v39, v39, v35
	v_pk_max_f16 v4, v4, v4
	v_pk_add_f16 v46, v93, v46
	v_pk_add_f16 v41, v97, v41
	;; [unrolled: 1-line block ×4, first 2 shown]
	v_pk_min_f16 v39, v2, v29
	v_pk_add_f16 v10, v115, v10
	v_pk_add_f16 v50, v100, v50
	;; [unrolled: 1-line block ×5, first 2 shown]
	v_pk_min_f16 v39, v4, v31
	s_waitcnt lgkmcnt(0)
	v_pk_max_f16 v6, v6, v6
	v_pk_add_f16 v57, v53, v61
	v_pk_min_f16 v53, v2, v31
	v_pk_min_f16 v59, v2, v33
	;; [unrolled: 1-line block ×3, first 2 shown]
	v_pk_add_f16 v77, v39, v41
	v_pk_min_f16 v39, v6, v29
	v_pk_add_f16 v49, v99, v49
	v_pk_add_f16 v56, v56, v76
	;; [unrolled: 1-line block ×5, first 2 shown]
	v_pk_min_f16 v11, v4, v29
	v_pk_min_f16 v53, v4, v33
	;; [unrolled: 1-line block ×4, first 2 shown]
	v_pk_max_f16 v8, v8, v8
	v_pk_add_f16 v79, v39, v50
	v_pk_min_f16 v39, v6, v33
	v_pk_max_f16 v25, v25, v25
	v_pk_add_f16 v11, v11, v80
	v_pk_add_f16 v78, v53, v81
	;; [unrolled: 1-line block ×4, first 2 shown]
	v_pk_min_f16 v41, v8, v29
	v_pk_min_f16 v49, v8, v31
	v_pk_add_f16 v81, v39, v48
	v_pk_min_f16 v39, v8, v33
	v_pk_min_f16 v8, v8, v35
	;; [unrolled: 1-line block ×5, first 2 shown]
	v_pk_max_f16 v28, v28, v28
	v_pk_max_f16 v82, v32, v32
	v_pk_add_f16 v8, v8, v19
	v_pk_add_f16 v19, v29, v21
	;; [unrolled: 1-line block ×4, first 2 shown]
	v_pk_max_f16 v46, v30, v30
	v_pk_min_f16 v27, v27, v35
	v_pk_max_f16 v34, v34, v34
	v_pk_min_f16 v30, v28, v82
	v_pk_add_f16 v13, v41, v13
	v_pk_min_f16 v29, v28, v46
	v_pk_add_f16 v83, v27, v52
	v_pk_min_f16 v27, v28, v34
	v_pk_max_f16 v31, v38, v38
	v_pk_add_f16 v41, v30, v12
	v_pk_max_f16 v12, v36, v36
	v_pk_add_f16 v53, v29, v37
	v_pk_add_f16 v33, v27, v16
	v_pk_min_f16 v16, v31, v46
	v_pk_min_f16 v27, v31, v82
	v_pk_min_f16 v29, v31, v34
	v_pk_min_f16 v30, v31, v12
	v_pk_max_f16 v31, v40, v40
	v_pk_min_f16 v6, v6, v35
	v_pk_add_f16 v61, v16, v14
	v_pk_add_f16 v52, v27, v18
	v_pk_max_f16 v3, v3, v3
	v_pk_min_f16 v14, v31, v46
	v_pk_min_f16 v16, v31, v82
	;; [unrolled: 1-line block ×3, first 2 shown]
	v_pk_add_f16 v6, v6, v51
	v_pk_add_f16 v17, v39, v17
	;; [unrolled: 1-line block ×5, first 2 shown]
	v_pk_min_f16 v14, v3, v46
	v_pk_min_f16 v16, v3, v82
	;; [unrolled: 1-line block ×4, first 2 shown]
	v_pk_max_f16 v5, v5, v5
	v_pk_add_f16 v40, v29, v20
	v_pk_add_f16 v32, v30, v22
	v_pk_min_f16 v20, v31, v12
	v_pk_add_f16 v50, v16, v10
	v_pk_add_f16 v30, v3, v2
	v_pk_min_f16 v2, v5, v46
	v_pk_min_f16 v3, v5, v82
	v_pk_min_f16 v10, v5, v34
	v_pk_min_f16 v5, v5, v12
	v_pk_max_f16 v7, v7, v7
	v_pk_add_f16 v15, v49, v15
	v_pk_add_f16 v31, v20, v58
	;; [unrolled: 1-line block ×5, first 2 shown]
	v_pk_min_f16 v2, v7, v46
	v_pk_min_f16 v3, v7, v82
	;; [unrolled: 1-line block ×4, first 2 shown]
	v_pk_max_f16 v7, v9, v9
	v_pk_min_f16 v25, v25, v35
	v_pk_add_f16 v57, v2, v79
	v_pk_add_f16 v48, v3, v80
	;; [unrolled: 1-line block ×4, first 2 shown]
	v_pk_min_f16 v2, v7, v46
	v_pk_min_f16 v3, v7, v82
	;; [unrolled: 1-line block ×4, first 2 shown]
	v_pk_max_f16 v6, v26, v26
	v_add_co_u32 v70, vcc_lo, v70, 16
	v_add_co_ci_u32_e32 v71, vcc_lo, 0, v71, vcc_lo
	v_pk_add_f16 v25, v25, v47
	v_pk_add_f16 v56, v2, v13
	;; [unrolled: 1-line block ×5, first 2 shown]
	v_pk_min_f16 v2, v6, v46
	v_pk_min_f16 v3, v6, v82
	v_pk_min_f16 v4, v6, v34
	v_pk_min_f16 v5, v6, v12
	v_pk_min_f16 v6, v28, v12
	v_add_co_u32 v72, vcc_lo, v72, 16
	v_add_co_ci_u32_e32 v73, vcc_lo, 0, v73, vcc_lo
	v_add_co_u32 v66, vcc_lo, v66, 16
	v_pk_add_f16 v59, v14, v75
	v_pk_add_f16 v38, v18, v76
	;; [unrolled: 1-line block ×8, first 2 shown]
	v_add_co_ci_u32_e32 v67, vcc_lo, 0, v67, vcc_lo
	s_add_i32 s10, s10, 8
	ds_store_b16 v64, v74
	ds_store_b16 v65, v0
	ds_store_b16 v65, v1 offset:512
	s_cmp_ge_i32 s10, s8
	s_waitcnt lgkmcnt(0)
	s_barrier
	buffer_gl0_inv
	s_cbranch_scc1 .LBB239_33
.LBB239_23:                             ; =>This Inner Loop Header: Depth=1
	v_mov_b32_e32 v74, 0
	s_and_b32 vcc_lo, exec_lo, s3
	s_cbranch_vccnz .LBB239_25
; %bb.24:                               ;   in Loop: Header=BB239_23 Depth=1
	v_add_co_u32 v0, vcc_lo, v66, v45
	v_add_co_ci_u32_e32 v1, vcc_lo, 0, v67, vcc_lo
	flat_load_u16 v0, v[0:1] offset:16
	s_waitcnt vmcnt(0) lgkmcnt(0)
	v_mul_f16_e32 v74, s9, v0
.LBB239_25:                             ;   in Loop: Header=BB239_23 Depth=1
	s_and_b32 vcc_lo, exec_lo, s3
	s_cbranch_vccnz .LBB239_27
; %bb.26:                               ;   in Loop: Header=BB239_23 Depth=1
	v_add_co_u32 v0, vcc_lo, v72, v45
	v_add_co_ci_u32_e32 v1, vcc_lo, 0, v73, vcc_lo
	v_add_co_u32 v2, vcc_lo, v70, v45
	v_add_co_ci_u32_e32 v3, vcc_lo, 0, v71, vcc_lo
	flat_load_u16 v0, v[0:1] offset:16
	flat_load_u16 v1, v[2:3] offset:16
	s_waitcnt vmcnt(1) lgkmcnt(1)
	v_mul_f16_e32 v75, s9, v0
	s_waitcnt vmcnt(0) lgkmcnt(0)
	v_mul_f16_e32 v76, s9, v1
	s_branch .LBB239_28
.LBB239_27:                             ;   in Loop: Header=BB239_23 Depth=1
	v_dual_mov_b32 v75, 0 :: v_dual_mov_b32 v76, 0
.LBB239_28:                             ;   in Loop: Header=BB239_23 Depth=1
	ds_load_2addr_b64 v[0:3], v68 offset0:48 offset1:56
	ds_load_2addr_b64 v[12:15], v69 offset0:64 offset1:96
	ds_load_2addr_b64 v[20:23], v69 offset1:32
	ds_load_2addr_b64 v[16:19], v68 offset1:8
	ds_load_2addr_b64 v[8:11], v68 offset0:16 offset1:24
	ds_load_2addr_b64 v[4:7], v68 offset0:32 offset1:40
	s_and_b32 vcc_lo, exec_lo, s3
	ds_store_b16 v62, v74
	ds_store_b16 v54, v75
	ds_store_b16 v54, v76 offset:512
	s_waitcnt lgkmcnt(0)
	s_barrier
	buffer_gl0_inv
	s_cbranch_vccnz .LBB239_30
; %bb.29:                               ;   in Loop: Header=BB239_23 Depth=1
	v_add_co_u32 v74, vcc_lo, v66, v45
	v_add_co_ci_u32_e32 v75, vcc_lo, 0, v67, vcc_lo
	flat_load_u16 v74, v[74:75] offset:24
	s_waitcnt vmcnt(0) lgkmcnt(0)
	v_mul_f16_e32 v74, s9, v74
	s_branch .LBB239_31
.LBB239_30:                             ;   in Loop: Header=BB239_23 Depth=1
	v_mov_b32_e32 v74, 0
.LBB239_31:                             ;   in Loop: Header=BB239_23 Depth=1
	v_pk_max_f16 v87, v2, v2
	v_pk_max_f16 v92, v20, v20
	;; [unrolled: 1-line block ×12, first 2 shown]
	v_pk_min_f16 v2, v87, v92
	v_pk_min_f16 v12, v87, v93
	;; [unrolled: 1-line block ×25, first 2 shown]
	v_pk_max_f16 v0, v3, v3
	v_pk_max_f16 v21, v21, v21
	;; [unrolled: 1-line block ×9, first 2 shown]
	v_pk_min_f16 v106, v3, v21
	v_pk_min_f16 v107, v3, v23
	;; [unrolled: 1-line block ×4, first 2 shown]
	v_pk_max_f16 v3, v9, v9
	v_pk_max_f16 v9, v11, v11
	;; [unrolled: 1-line block ×3, first 2 shown]
	v_pk_min_f16 v22, v22, v96
	v_pk_min_f16 v77, v77, v96
	;; [unrolled: 1-line block ×35, first 2 shown]
	s_and_b32 vcc_lo, exec_lo, s3
	s_cbranch_vccz .LBB239_21
; %bb.32:                               ;   in Loop: Header=BB239_23 Depth=1
	v_dual_mov_b32 v0, 0 :: v_dual_mov_b32 v1, 0
	s_branch .LBB239_22
.LBB239_33:
	s_load_b32 s8, s[0:1], 0x50
	v_add_nc_u32_e32 v42, s16, v42
	ds_load_b64 v[0:1], v44 offset:1024
	ds_load_b64 v[2:3], v43 offset:2560
	v_add_nc_u32_e32 v22, s14, v24
	v_cmp_neq_f16_e64 s9, s15, 0
	v_mov_b32_e32 v62, 0
	v_mov_b32_e32 v20, 0
	s_delay_alu instid0(VALU_DEP_4) | instskip(NEXT) | instid1(VALU_DEP_4)
	v_ashrrev_i32_e32 v23, 31, v22
	s_and_b32 vcc_lo, exec_lo, s9
	s_delay_alu instid0(VALU_DEP_1) | instskip(SKIP_2) | instid1(VALU_DEP_1)
	v_lshlrev_b64 v[16:17], 1, v[22:23]
	s_waitcnt lgkmcnt(0)
	v_mad_i64_i32 v[4:5], null, v42, s8, 0
	v_lshlrev_b64 v[4:5], 1, v[4:5]
	s_delay_alu instid0(VALU_DEP_1) | instskip(NEXT) | instid1(VALU_DEP_1)
	v_add_co_u32 v66, s3, s4, v4
	v_add_co_ci_u32_e64 v67, s3, s5, v5, s3
	s_cbranch_vccz .LBB239_35
; %bb.34:
	s_delay_alu instid0(VALU_DEP_2) | instskip(NEXT) | instid1(VALU_DEP_2)
	v_add_co_u32 v4, vcc_lo, v66, v16
	v_add_co_ci_u32_e32 v5, vcc_lo, v67, v17, vcc_lo
	flat_load_u16 v4, v[4:5]
	s_waitcnt vmcnt(0) lgkmcnt(0)
	v_mul_f16_e32 v20, s15, v4
.LBB239_35:
	s_clause 0x1
	s_load_b32 s3, s[0:1], 0x68
	s_load_b64 s[0:1], s[0:1], 0x70
	v_pk_max_f16 v69, v0, v0
	v_pk_max_f16 v45, v2, v2
	;; [unrolled: 1-line block ×4, first 2 shown]
	v_add_nc_u32_e32 v5, 0x800, v43
	ds_load_b64 v[23:24], v43 offset:3008
	ds_load_b64 v[18:19], v44 offset:1792
	v_pk_min_f16 v4, v45, v69
	ds_load_2addr_b64 v[0:3], v44 offset0:160 offset1:192
	v_pk_min_f16 v6, v54, v68
	ds_load_2addr_b64 v[12:15], v5 offset0:72 offset1:80
	v_add_nc_u32_e32 v43, 8, v22
	v_pk_add_f16 v4, v4, v61
	v_cndmask_b32_e64 v21, 0, 1, s9
	s_delay_alu instid0(VALU_DEP_3) | instskip(NEXT) | instid1(VALU_DEP_3)
	v_ashrrev_i32_e32 v44, 31, v43
	v_pk_add_f16 v61, v6, v4
	ds_load_2addr_b64 v[8:11], v5 offset0:88 offset1:96
	ds_load_2addr_b64 v[4:7], v5 offset0:104 offset1:112
	s_waitcnt lgkmcnt(0)
	v_mad_i64_i32 v[63:64], null, v42, s3, 0
	s_lshl_b64 s[10:11], s[0:1], 1
	v_lshrrev_b32_e32 v65, 16, v61
	s_add_u32 s1, s6, s10
	s_addc_u32 s6, s7, s11
	v_cmp_ne_u32_e64 s0, 1, v21
	s_delay_alu instid0(VALU_DEP_2) | instskip(NEXT) | instid1(VALU_DEP_4)
	v_add_f16_e32 v21, v61, v65
	v_lshlrev_b64 v[63:64], 1, v[63:64]
	s_delay_alu instid0(VALU_DEP_2) | instskip(SKIP_1) | instid1(VALU_DEP_3)
	v_add_f16_e32 v61, v21, v20
	v_lshlrev_b64 v[20:21], 1, v[43:44]
	v_add_co_u32 v70, vcc_lo, s1, v63
	s_delay_alu instid0(VALU_DEP_4) | instskip(NEXT) | instid1(VALU_DEP_2)
	v_add_co_ci_u32_e32 v71, vcc_lo, s6, v64, vcc_lo
	v_add_co_u32 v63, vcc_lo, v70, v16
	s_delay_alu instid0(VALU_DEP_2)
	v_add_co_ci_u32_e32 v64, vcc_lo, v71, v17, vcc_lo
	s_and_not1_b32 vcc_lo, exec_lo, s9
	global_store_b16 v[63:64], v61, off
	s_cbranch_vccnz .LBB239_37
; %bb.36:
	v_add_co_u32 v43, vcc_lo, v66, v20
	v_add_co_ci_u32_e32 v44, vcc_lo, v67, v21, vcc_lo
	flat_load_u16 v43, v[43:44]
	s_waitcnt vmcnt(0) lgkmcnt(0)
	v_mul_f16_e32 v62, s15, v43
.LBB239_37:
	v_pk_max_f16 v43, v12, v12
	v_pk_max_f16 v44, v13, v13
	v_mov_b32_e32 v63, 0
	s_delay_alu instid0(VALU_DEP_3) | instskip(NEXT) | instid1(VALU_DEP_3)
	v_pk_min_f16 v12, v43, v69
	v_pk_min_f16 v13, v44, v68
	s_delay_alu instid0(VALU_DEP_2) | instskip(NEXT) | instid1(VALU_DEP_1)
	v_pk_add_f16 v12, v12, v60
	v_pk_add_f16 v60, v13, v12
	v_add_nc_u32_e32 v12, 16, v22
	s_delay_alu instid0(VALU_DEP_2) | instskip(NEXT) | instid1(VALU_DEP_2)
	v_lshrrev_b32_e32 v61, 16, v60
	v_ashrrev_i32_e32 v13, 31, v12
	s_delay_alu instid0(VALU_DEP_2) | instskip(SKIP_1) | instid1(VALU_DEP_3)
	v_add_f16_e32 v64, v60, v61
	v_add_co_u32 v60, vcc_lo, v70, v20
	v_lshlrev_b64 v[12:13], 1, v[12:13]
	v_add_co_ci_u32_e32 v61, vcc_lo, v71, v21, vcc_lo
	s_delay_alu instid0(VALU_DEP_4)
	v_add_f16_e32 v64, v64, v62
	v_mov_b32_e32 v62, 0
	s_and_b32 vcc_lo, exec_lo, s0
	global_store_b16 v[60:61], v64, off
	s_cbranch_vccnz .LBB239_39
; %bb.38:
	v_add_co_u32 v60, vcc_lo, v66, v12
	v_add_co_ci_u32_e32 v61, vcc_lo, v67, v13, vcc_lo
	flat_load_u16 v60, v[60:61]
	s_waitcnt vmcnt(0) lgkmcnt(0)
	v_mul_f16_e32 v62, s15, v60
.LBB239_39:
	v_pk_max_f16 v60, v14, v14
	v_pk_max_f16 v61, v15, v15
	s_delay_alu instid0(VALU_DEP_2) | instskip(NEXT) | instid1(VALU_DEP_2)
	v_pk_min_f16 v14, v60, v69
	v_pk_min_f16 v15, v61, v68
	s_delay_alu instid0(VALU_DEP_2) | instskip(NEXT) | instid1(VALU_DEP_1)
	v_pk_add_f16 v14, v14, v59
	v_pk_add_f16 v59, v15, v14
	v_add_nc_u32_e32 v14, 24, v22
	s_delay_alu instid0(VALU_DEP_2) | instskip(NEXT) | instid1(VALU_DEP_2)
	v_lshrrev_b32_e32 v64, 16, v59
	v_ashrrev_i32_e32 v15, 31, v14
	s_delay_alu instid0(VALU_DEP_2) | instskip(SKIP_1) | instid1(VALU_DEP_3)
	v_add_f16_e32 v59, v59, v64
	v_add_co_u32 v64, vcc_lo, v70, v12
	v_lshlrev_b64 v[14:15], 1, v[14:15]
	v_add_co_ci_u32_e32 v65, vcc_lo, v71, v13, vcc_lo
	s_delay_alu instid0(VALU_DEP_4)
	v_add_f16_e32 v59, v59, v62
	s_and_b32 vcc_lo, exec_lo, s0
	global_store_b16 v[64:65], v59, off
	s_cbranch_vccnz .LBB239_41
; %bb.40:
	v_add_co_u32 v62, vcc_lo, v66, v14
	v_add_co_ci_u32_e32 v63, vcc_lo, v67, v15, vcc_lo
	flat_load_u16 v59, v[62:63]
	s_waitcnt vmcnt(0) lgkmcnt(0)
	v_mul_f16_e32 v63, s15, v59
.LBB239_41:
	v_pk_max_f16 v59, v8, v8
	v_pk_max_f16 v62, v9, v9
	v_add_co_u32 v72, vcc_lo, v70, v14
	v_add_co_ci_u32_e32 v73, vcc_lo, v71, v15, vcc_lo
	s_delay_alu instid0(VALU_DEP_4) | instskip(NEXT) | instid1(VALU_DEP_4)
	v_pk_min_f16 v8, v59, v69
	v_pk_min_f16 v9, v62, v68
	s_and_b32 vcc_lo, exec_lo, s0
	v_mov_b32_e32 v65, 0
	s_delay_alu instid0(VALU_DEP_3) | instskip(NEXT) | instid1(VALU_DEP_1)
	v_pk_add_f16 v8, v8, v58
	v_pk_add_f16 v58, v9, v8
	v_add_nc_u32_e32 v8, 32, v22
	s_delay_alu instid0(VALU_DEP_2) | instskip(NEXT) | instid1(VALU_DEP_2)
	v_lshrrev_b32_e32 v64, 16, v58
	v_ashrrev_i32_e32 v9, 31, v8
	s_delay_alu instid0(VALU_DEP_2) | instskip(NEXT) | instid1(VALU_DEP_2)
	v_add_f16_e32 v58, v58, v64
	v_lshlrev_b64 v[8:9], 1, v[8:9]
	v_mov_b32_e32 v64, 0
	s_delay_alu instid0(VALU_DEP_3)
	v_add_f16_e32 v58, v58, v63
	global_store_b16 v[72:73], v58, off
	s_cbranch_vccnz .LBB239_43
; %bb.42:
	v_add_co_u32 v63, vcc_lo, v66, v8
	v_add_co_ci_u32_e32 v64, vcc_lo, v67, v9, vcc_lo
	flat_load_u16 v58, v[63:64]
	s_waitcnt vmcnt(0) lgkmcnt(0)
	v_mul_f16_e32 v64, s15, v58
.LBB239_43:
	v_pk_max_f16 v58, v10, v10
	v_pk_max_f16 v63, v11, v11
	s_delay_alu instid0(VALU_DEP_2) | instskip(NEXT) | instid1(VALU_DEP_2)
	v_pk_min_f16 v10, v58, v69
	v_pk_min_f16 v11, v63, v68
	s_delay_alu instid0(VALU_DEP_2) | instskip(NEXT) | instid1(VALU_DEP_1)
	v_pk_add_f16 v10, v10, v57
	v_pk_add_f16 v57, v11, v10
	v_add_nc_u32_e32 v10, 40, v22
	s_delay_alu instid0(VALU_DEP_2) | instskip(NEXT) | instid1(VALU_DEP_2)
	v_lshrrev_b32_e32 v72, 16, v57
	v_ashrrev_i32_e32 v11, 31, v10
	s_delay_alu instid0(VALU_DEP_2) | instskip(SKIP_1) | instid1(VALU_DEP_3)
	v_add_f16_e32 v57, v57, v72
	v_add_co_u32 v72, vcc_lo, v70, v8
	v_lshlrev_b64 v[10:11], 1, v[10:11]
	v_add_co_ci_u32_e32 v73, vcc_lo, v71, v9, vcc_lo
	s_delay_alu instid0(VALU_DEP_4)
	v_add_f16_e32 v57, v57, v64
	s_and_b32 vcc_lo, exec_lo, s0
	global_store_b16 v[72:73], v57, off
	s_cbranch_vccnz .LBB239_45
; %bb.44:
	v_add_co_u32 v64, vcc_lo, v66, v10
	v_add_co_ci_u32_e32 v65, vcc_lo, v67, v11, vcc_lo
	flat_load_u16 v57, v[64:65]
	s_waitcnt vmcnt(0) lgkmcnt(0)
	v_mul_f16_e32 v65, s15, v57
.LBB239_45:
	v_pk_max_f16 v57, v4, v4
	v_pk_max_f16 v64, v5, v5
	v_add_co_u32 v74, vcc_lo, v70, v10
	v_add_co_ci_u32_e32 v75, vcc_lo, v71, v11, vcc_lo
	s_delay_alu instid0(VALU_DEP_4) | instskip(NEXT) | instid1(VALU_DEP_4)
	v_pk_min_f16 v4, v57, v69
	v_pk_min_f16 v5, v64, v68
	s_and_b32 vcc_lo, exec_lo, s0
	v_mov_b32_e32 v73, 0
	s_delay_alu instid0(VALU_DEP_3) | instskip(NEXT) | instid1(VALU_DEP_1)
	v_pk_add_f16 v4, v4, v56
	v_pk_add_f16 v56, v5, v4
	v_add_nc_u32_e32 v4, 48, v22
	s_delay_alu instid0(VALU_DEP_2) | instskip(NEXT) | instid1(VALU_DEP_2)
	v_lshrrev_b32_e32 v72, 16, v56
	v_ashrrev_i32_e32 v5, 31, v4
	s_delay_alu instid0(VALU_DEP_2) | instskip(NEXT) | instid1(VALU_DEP_2)
	v_add_f16_e32 v56, v56, v72
	v_lshlrev_b64 v[4:5], 1, v[4:5]
	v_mov_b32_e32 v72, 0
	s_delay_alu instid0(VALU_DEP_3)
	v_add_f16_e32 v56, v56, v65
	global_store_b16 v[74:75], v56, off
	s_cbranch_vccnz .LBB239_47
; %bb.46:
	v_add_co_u32 v73, vcc_lo, v66, v4
	v_add_co_ci_u32_e32 v74, vcc_lo, v67, v5, vcc_lo
	flat_load_u16 v56, v[73:74]
	s_waitcnt vmcnt(0) lgkmcnt(0)
	v_mul_f16_e32 v73, s15, v56
.LBB239_47:
	v_pk_max_f16 v56, v6, v6
	v_pk_max_f16 v65, v7, v7
	v_add_co_u32 v74, vcc_lo, v70, v4
	v_add_co_ci_u32_e32 v75, vcc_lo, v71, v5, vcc_lo
	s_delay_alu instid0(VALU_DEP_4) | instskip(NEXT) | instid1(VALU_DEP_4)
	v_pk_min_f16 v6, v56, v69
	v_pk_min_f16 v7, v65, v68
	s_and_b32 vcc_lo, exec_lo, s0
	s_delay_alu instid0(VALU_DEP_2) | instskip(NEXT) | instid1(VALU_DEP_1)
	v_pk_add_f16 v6, v6, v55
	v_pk_add_f16 v55, v7, v6
	v_add_nc_u32_e32 v6, 56, v22
	s_delay_alu instid0(VALU_DEP_2) | instskip(NEXT) | instid1(VALU_DEP_2)
	v_lshrrev_b32_e32 v22, 16, v55
	v_ashrrev_i32_e32 v7, 31, v6
	s_delay_alu instid0(VALU_DEP_2) | instskip(NEXT) | instid1(VALU_DEP_2)
	v_add_f16_e32 v22, v55, v22
	v_lshlrev_b64 v[6:7], 1, v[6:7]
	s_delay_alu instid0(VALU_DEP_2)
	v_add_f16_e32 v22, v22, v73
	global_store_b16 v[74:75], v22, off
	s_cbranch_vccnz .LBB239_49
; %bb.48:
	v_add_co_u32 v66, vcc_lo, v66, v6
	v_add_co_ci_u32_e32 v67, vcc_lo, v67, v7, vcc_lo
	flat_load_u16 v22, v[66:67]
	s_waitcnt vmcnt(0) lgkmcnt(0)
	v_mul_f16_e32 v72, s15, v22
.LBB239_49:
	v_pk_max_f16 v22, v23, v23
	v_pk_max_f16 v23, v24, v24
	v_dual_mov_b32 v66, 0 :: v_dual_add_nc_u32 v67, 32, v42
	v_add_co_u32 v70, vcc_lo, v70, v6
	s_delay_alu instid0(VALU_DEP_4) | instskip(NEXT) | instid1(VALU_DEP_4)
	v_pk_min_f16 v24, v22, v69
	v_pk_min_f16 v55, v23, v68
	s_delay_alu instid0(VALU_DEP_4) | instskip(SKIP_1) | instid1(VALU_DEP_4)
	v_mad_i64_i32 v[68:69], null, v67, s8, 0
	v_add_co_ci_u32_e32 v71, vcc_lo, v71, v7, vcc_lo
	v_pk_add_f16 v24, v24, v53
	s_delay_alu instid0(VALU_DEP_3) | instskip(NEXT) | instid1(VALU_DEP_2)
	v_lshlrev_b64 v[68:69], 1, v[68:69]
	v_pk_add_f16 v24, v55, v24
	s_delay_alu instid0(VALU_DEP_1) | instskip(NEXT) | instid1(VALU_DEP_1)
	v_lshrrev_b32_e32 v53, 16, v24
	v_add_f16_e32 v55, v24, v53
	s_delay_alu instid0(VALU_DEP_4) | instskip(SKIP_1) | instid1(VALU_DEP_3)
	v_add_co_u32 v24, vcc_lo, s4, v68
	v_add_co_ci_u32_e32 v53, vcc_lo, s5, v69, vcc_lo
	v_add_f16_e32 v55, v55, v72
	v_mov_b32_e32 v68, 0
	s_and_b32 vcc_lo, exec_lo, s0
	global_store_b16 v[70:71], v55, off
	s_cbranch_vccnz .LBB239_51
; %bb.50:
	v_add_co_u32 v68, vcc_lo, v24, v16
	v_add_co_ci_u32_e32 v69, vcc_lo, v53, v17, vcc_lo
	flat_load_u16 v55, v[68:69]
	s_waitcnt vmcnt(0) lgkmcnt(0)
	v_mul_f16_e32 v68, s15, v55
.LBB239_51:
	v_pk_max_f16 v55, v0, v0
	v_pk_max_f16 v0, v1, v1
	v_mad_i64_i32 v[69:70], null, v67, s3, 0
	s_delay_alu instid0(VALU_DEP_3) | instskip(NEXT) | instid1(VALU_DEP_3)
	v_pk_min_f16 v1, v45, v55
	v_pk_min_f16 v71, v54, v0
	s_delay_alu instid0(VALU_DEP_3) | instskip(NEXT) | instid1(VALU_DEP_3)
	v_lshlrev_b64 v[69:70], 1, v[69:70]
	v_pk_add_f16 v1, v1, v52
	s_delay_alu instid0(VALU_DEP_1) | instskip(NEXT) | instid1(VALU_DEP_1)
	v_pk_add_f16 v1, v71, v1
	v_lshrrev_b32_e32 v52, 16, v1
	s_delay_alu instid0(VALU_DEP_1) | instskip(SKIP_2) | instid1(VALU_DEP_3)
	v_add_f16_e32 v67, v1, v52
	v_add_co_u32 v1, vcc_lo, s1, v69
	v_add_co_ci_u32_e32 v52, vcc_lo, s6, v70, vcc_lo
	v_add_f16_e32 v69, v67, v68
	s_delay_alu instid0(VALU_DEP_3) | instskip(NEXT) | instid1(VALU_DEP_3)
	v_add_co_u32 v67, vcc_lo, v1, v16
	v_add_co_ci_u32_e32 v68, vcc_lo, v52, v17, vcc_lo
	s_and_b32 vcc_lo, exec_lo, s0
	global_store_b16 v[67:68], v69, off
	s_cbranch_vccnz .LBB239_53
; %bb.52:
	v_add_co_u32 v66, vcc_lo, v24, v20
	v_add_co_ci_u32_e32 v67, vcc_lo, v53, v21, vcc_lo
	flat_load_u16 v66, v[66:67]
	s_waitcnt vmcnt(0) lgkmcnt(0)
	v_mul_f16_e32 v66, s15, v66
.LBB239_53:
	v_pk_min_f16 v67, v43, v55
	v_pk_min_f16 v68, v44, v0
	s_delay_alu instid0(VALU_DEP_2) | instskip(NEXT) | instid1(VALU_DEP_1)
	v_pk_add_f16 v51, v67, v51
	v_pk_add_f16 v51, v68, v51
	s_delay_alu instid0(VALU_DEP_1) | instskip(NEXT) | instid1(VALU_DEP_1)
	v_lshrrev_b32_e32 v67, 16, v51
	v_add_f16_e32 v51, v51, v67
	v_add_co_u32 v67, vcc_lo, v1, v20
	v_add_co_ci_u32_e32 v68, vcc_lo, v52, v21, vcc_lo
	s_delay_alu instid0(VALU_DEP_3)
	v_add_f16_e32 v69, v51, v66
	v_dual_mov_b32 v51, 0 :: v_dual_mov_b32 v66, 0
	s_and_b32 vcc_lo, exec_lo, s0
	global_store_b16 v[67:68], v69, off
	s_cbranch_vccnz .LBB239_55
; %bb.54:
	v_add_co_u32 v66, vcc_lo, v24, v12
	v_add_co_ci_u32_e32 v67, vcc_lo, v53, v13, vcc_lo
	flat_load_u16 v66, v[66:67]
	s_waitcnt vmcnt(0) lgkmcnt(0)
	v_mul_f16_e32 v66, s15, v66
.LBB239_55:
	v_pk_min_f16 v67, v60, v55
	v_pk_min_f16 v68, v61, v0
	s_delay_alu instid0(VALU_DEP_2) | instskip(NEXT) | instid1(VALU_DEP_1)
	v_pk_add_f16 v50, v67, v50
	v_pk_add_f16 v50, v68, v50
	s_delay_alu instid0(VALU_DEP_1) | instskip(NEXT) | instid1(VALU_DEP_1)
	v_lshrrev_b32_e32 v67, 16, v50
	v_add_f16_e32 v50, v50, v67
	s_delay_alu instid0(VALU_DEP_1)
	v_add_f16_e32 v50, v50, v66
	v_add_co_u32 v66, vcc_lo, v1, v12
	v_add_co_ci_u32_e32 v67, vcc_lo, v52, v13, vcc_lo
	s_and_b32 vcc_lo, exec_lo, s0
	global_store_b16 v[66:67], v50, off
	s_cbranch_vccnz .LBB239_57
; %bb.56:
	v_add_co_u32 v50, vcc_lo, v24, v14
	v_add_co_ci_u32_e32 v51, vcc_lo, v53, v15, vcc_lo
	flat_load_u16 v50, v[50:51]
	s_waitcnt vmcnt(0) lgkmcnt(0)
	v_mul_f16_e32 v51, s15, v50
.LBB239_57:
	v_pk_min_f16 v50, v59, v55
	v_pk_min_f16 v66, v62, v0
	s_delay_alu instid0(VALU_DEP_2) | instskip(NEXT) | instid1(VALU_DEP_1)
	v_pk_add_f16 v49, v50, v49
	v_pk_add_f16 v49, v66, v49
	v_add_co_u32 v66, vcc_lo, v1, v14
	v_add_co_ci_u32_e32 v67, vcc_lo, v52, v15, vcc_lo
	s_delay_alu instid0(VALU_DEP_3) | instskip(SKIP_1) | instid1(VALU_DEP_1)
	v_lshrrev_b32_e32 v50, 16, v49
	s_and_b32 vcc_lo, exec_lo, s0
	v_add_f16_e32 v49, v49, v50
	v_mov_b32_e32 v50, 0
	s_delay_alu instid0(VALU_DEP_2)
	v_add_f16_e32 v51, v49, v51
	v_mov_b32_e32 v49, 0
	global_store_b16 v[66:67], v51, off
	s_cbranch_vccnz .LBB239_59
; %bb.58:
	v_add_co_u32 v50, vcc_lo, v24, v8
	v_add_co_ci_u32_e32 v51, vcc_lo, v53, v9, vcc_lo
	flat_load_u16 v50, v[50:51]
	s_waitcnt vmcnt(0) lgkmcnt(0)
	v_mul_f16_e32 v50, s15, v50
.LBB239_59:
	v_pk_min_f16 v51, v58, v55
	v_pk_min_f16 v66, v63, v0
	s_delay_alu instid0(VALU_DEP_2) | instskip(NEXT) | instid1(VALU_DEP_1)
	v_pk_add_f16 v48, v51, v48
	v_pk_add_f16 v48, v66, v48
	s_delay_alu instid0(VALU_DEP_1) | instskip(NEXT) | instid1(VALU_DEP_1)
	v_lshrrev_b32_e32 v51, 16, v48
	v_add_f16_e32 v48, v48, v51
	s_delay_alu instid0(VALU_DEP_1)
	v_add_f16_e32 v48, v48, v50
	v_add_co_u32 v50, vcc_lo, v1, v8
	v_add_co_ci_u32_e32 v51, vcc_lo, v52, v9, vcc_lo
	s_and_b32 vcc_lo, exec_lo, s0
	global_store_b16 v[50:51], v48, off
	s_cbranch_vccnz .LBB239_61
; %bb.60:
	v_add_co_u32 v48, vcc_lo, v24, v10
	v_add_co_ci_u32_e32 v49, vcc_lo, v53, v11, vcc_lo
	flat_load_u16 v48, v[48:49]
	s_waitcnt vmcnt(0) lgkmcnt(0)
	v_mul_f16_e32 v49, s15, v48
.LBB239_61:
	v_pk_min_f16 v48, v57, v55
	v_pk_min_f16 v50, v64, v0
	s_delay_alu instid0(VALU_DEP_2) | instskip(NEXT) | instid1(VALU_DEP_1)
	v_pk_add_f16 v47, v48, v47
	v_pk_add_f16 v47, v50, v47
	v_add_co_u32 v50, vcc_lo, v1, v10
	v_add_co_ci_u32_e32 v51, vcc_lo, v52, v11, vcc_lo
	s_delay_alu instid0(VALU_DEP_3) | instskip(SKIP_1) | instid1(VALU_DEP_1)
	v_lshrrev_b32_e32 v48, 16, v47
	s_and_b32 vcc_lo, exec_lo, s0
	v_add_f16_e32 v47, v47, v48
	v_mov_b32_e32 v48, 0
	s_delay_alu instid0(VALU_DEP_2)
	v_add_f16_e32 v49, v47, v49
	v_mov_b32_e32 v47, 0
	global_store_b16 v[50:51], v49, off
	s_cbranch_vccnz .LBB239_63
; %bb.62:
	v_add_co_u32 v48, vcc_lo, v24, v4
	v_add_co_ci_u32_e32 v49, vcc_lo, v53, v5, vcc_lo
	flat_load_u16 v48, v[48:49]
	s_waitcnt vmcnt(0) lgkmcnt(0)
	v_mul_f16_e32 v48, s15, v48
.LBB239_63:
	v_pk_min_f16 v49, v56, v55
	v_pk_min_f16 v50, v65, v0
	s_delay_alu instid0(VALU_DEP_2) | instskip(NEXT) | instid1(VALU_DEP_1)
	v_pk_add_f16 v46, v49, v46
	v_pk_add_f16 v46, v50, v46
	s_delay_alu instid0(VALU_DEP_1) | instskip(NEXT) | instid1(VALU_DEP_1)
	v_lshrrev_b32_e32 v49, 16, v46
	v_add_f16_e32 v46, v46, v49
	s_delay_alu instid0(VALU_DEP_1)
	v_add_f16_e32 v46, v46, v48
	v_add_co_u32 v48, vcc_lo, v1, v4
	v_add_co_ci_u32_e32 v49, vcc_lo, v52, v5, vcc_lo
	s_and_b32 vcc_lo, exec_lo, s0
	global_store_b16 v[48:49], v46, off
	s_cbranch_vccnz .LBB239_65
; %bb.64:
	v_add_co_u32 v46, vcc_lo, v24, v6
	v_add_co_ci_u32_e32 v47, vcc_lo, v53, v7, vcc_lo
	flat_load_u16 v24, v[46:47]
	s_waitcnt vmcnt(0) lgkmcnt(0)
	v_mul_f16_e32 v47, s15, v24
.LBB239_65:
	v_pk_min_f16 v24, v22, v55
	v_pk_min_f16 v0, v23, v0
	v_add_nc_u32_e32 v48, 64, v42
	v_add_co_u32 v51, vcc_lo, v1, v6
	s_delay_alu instid0(VALU_DEP_4) | instskip(SKIP_2) | instid1(VALU_DEP_3)
	v_pk_add_f16 v24, v24, v41
	v_add_co_ci_u32_e32 v52, vcc_lo, v52, v7, vcc_lo
	v_mov_b32_e32 v46, 0
	v_pk_add_f16 v0, v0, v24
	s_delay_alu instid0(VALU_DEP_1) | instskip(NEXT) | instid1(VALU_DEP_1)
	v_lshrrev_b32_e32 v24, 16, v0
	v_add_f16_e32 v0, v0, v24
	s_delay_alu instid0(VALU_DEP_1) | instskip(SKIP_4) | instid1(VALU_DEP_1)
	v_add_f16_e32 v0, v0, v47
	v_mov_b32_e32 v47, 0
	v_mad_i64_i32 v[49:50], null, v48, s8, 0
	global_store_b16 v[51:52], v0, off
	v_lshlrev_b64 v[49:50], 1, v[49:50]
	v_add_co_u32 v1, vcc_lo, s4, v49
	s_delay_alu instid0(VALU_DEP_2)
	v_add_co_ci_u32_e32 v24, vcc_lo, s5, v50, vcc_lo
	s_and_b32 vcc_lo, exec_lo, s0
	s_cbranch_vccnz .LBB239_67
; %bb.66:
	s_delay_alu instid0(VALU_DEP_2) | instskip(NEXT) | instid1(VALU_DEP_2)
	v_add_co_u32 v49, vcc_lo, v1, v16
	v_add_co_ci_u32_e32 v50, vcc_lo, v24, v17, vcc_lo
	flat_load_u16 v0, v[49:50]
	s_waitcnt vmcnt(0) lgkmcnt(0)
	v_mul_f16_e32 v47, s15, v0
.LBB239_67:
	v_pk_max_f16 v41, v2, v2
	v_pk_max_f16 v0, v3, v3
	s_delay_alu instid0(VALU_DEP_2) | instskip(NEXT) | instid1(VALU_DEP_2)
	v_pk_min_f16 v2, v45, v41
	v_pk_min_f16 v49, v54, v0
	s_delay_alu instid0(VALU_DEP_2) | instskip(SKIP_1) | instid1(VALU_DEP_2)
	v_pk_add_f16 v40, v2, v40
	v_mad_i64_i32 v[2:3], null, v48, s3, 0
	v_pk_add_f16 v40, v49, v40
	s_delay_alu instid0(VALU_DEP_2) | instskip(NEXT) | instid1(VALU_DEP_2)
	v_lshlrev_b64 v[2:3], 1, v[2:3]
	v_lshrrev_b32_e32 v48, 16, v40
	s_delay_alu instid0(VALU_DEP_2) | instskip(NEXT) | instid1(VALU_DEP_2)
	v_add_co_u32 v2, vcc_lo, s1, v2
	v_add_f16_e32 v40, v40, v48
	s_delay_alu instid0(VALU_DEP_4) | instskip(NEXT) | instid1(VALU_DEP_2)
	v_add_co_ci_u32_e32 v3, vcc_lo, s6, v3, vcc_lo
	v_add_f16_e32 v40, v40, v47
	s_delay_alu instid0(VALU_DEP_4) | instskip(NEXT) | instid1(VALU_DEP_3)
	v_add_co_u32 v47, vcc_lo, v2, v16
	v_add_co_ci_u32_e32 v48, vcc_lo, v3, v17, vcc_lo
	s_and_b32 vcc_lo, exec_lo, s0
	global_store_b16 v[47:48], v40, off
	s_cbranch_vccnz .LBB239_69
; %bb.68:
	v_add_co_u32 v46, vcc_lo, v1, v20
	v_add_co_ci_u32_e32 v47, vcc_lo, v24, v21, vcc_lo
	flat_load_u16 v40, v[46:47]
	s_waitcnt vmcnt(0) lgkmcnt(0)
	v_mul_f16_e32 v46, s15, v40
.LBB239_69:
	v_pk_min_f16 v40, v43, v41
	v_pk_min_f16 v47, v44, v0
	s_delay_alu instid0(VALU_DEP_2) | instskip(NEXT) | instid1(VALU_DEP_1)
	v_pk_add_f16 v39, v40, v39
	v_pk_add_f16 v39, v47, v39
	v_add_co_u32 v47, vcc_lo, v2, v20
	v_add_co_ci_u32_e32 v48, vcc_lo, v3, v21, vcc_lo
	s_delay_alu instid0(VALU_DEP_3) | instskip(SKIP_1) | instid1(VALU_DEP_1)
	v_lshrrev_b32_e32 v40, 16, v39
	s_and_b32 vcc_lo, exec_lo, s0
	v_add_f16_e32 v39, v39, v40
	v_mov_b32_e32 v40, 0
	s_delay_alu instid0(VALU_DEP_2)
	v_add_f16_e32 v46, v39, v46
	v_mov_b32_e32 v39, 0
	global_store_b16 v[47:48], v46, off
	s_cbranch_vccnz .LBB239_71
; %bb.70:
	v_add_co_u32 v46, vcc_lo, v1, v12
	v_add_co_ci_u32_e32 v47, vcc_lo, v24, v13, vcc_lo
	flat_load_u16 v40, v[46:47]
	s_waitcnt vmcnt(0) lgkmcnt(0)
	v_mul_f16_e32 v40, s15, v40
.LBB239_71:
	v_pk_min_f16 v46, v60, v41
	v_pk_min_f16 v47, v61, v0
	s_delay_alu instid0(VALU_DEP_2) | instskip(NEXT) | instid1(VALU_DEP_1)
	v_pk_add_f16 v38, v46, v38
	v_pk_add_f16 v38, v47, v38
	s_delay_alu instid0(VALU_DEP_1) | instskip(NEXT) | instid1(VALU_DEP_1)
	v_lshrrev_b32_e32 v46, 16, v38
	v_add_f16_e32 v38, v38, v46
	v_add_co_u32 v46, vcc_lo, v2, v12
	v_add_co_ci_u32_e32 v47, vcc_lo, v3, v13, vcc_lo
	s_delay_alu instid0(VALU_DEP_3)
	v_add_f16_e32 v38, v38, v40
	s_and_b32 vcc_lo, exec_lo, s0
	global_store_b16 v[46:47], v38, off
	s_cbranch_vccnz .LBB239_73
; %bb.72:
	v_add_co_u32 v38, vcc_lo, v1, v14
	v_add_co_ci_u32_e32 v39, vcc_lo, v24, v15, vcc_lo
	flat_load_u16 v38, v[38:39]
	s_waitcnt vmcnt(0) lgkmcnt(0)
	v_mul_f16_e32 v39, s15, v38
.LBB239_73:
	v_pk_min_f16 v38, v59, v41
	v_pk_min_f16 v40, v62, v0
	v_add_co_u32 v46, vcc_lo, v2, v14
	v_add_co_ci_u32_e32 v47, vcc_lo, v3, v15, vcc_lo
	s_delay_alu instid0(VALU_DEP_4) | instskip(SKIP_1) | instid1(VALU_DEP_1)
	v_pk_add_f16 v37, v38, v37
	s_and_b32 vcc_lo, exec_lo, s0
	v_pk_add_f16 v37, v40, v37
	s_delay_alu instid0(VALU_DEP_1) | instskip(NEXT) | instid1(VALU_DEP_1)
	v_lshrrev_b32_e32 v38, 16, v37
	v_add_f16_e32 v37, v37, v38
	v_mov_b32_e32 v38, 0
	s_delay_alu instid0(VALU_DEP_2)
	v_add_f16_e32 v39, v37, v39
	v_mov_b32_e32 v37, 0
	global_store_b16 v[46:47], v39, off
	s_cbranch_vccnz .LBB239_75
; %bb.74:
	v_add_co_u32 v38, vcc_lo, v1, v8
	v_add_co_ci_u32_e32 v39, vcc_lo, v24, v9, vcc_lo
	flat_load_u16 v38, v[38:39]
	s_waitcnt vmcnt(0) lgkmcnt(0)
	v_mul_f16_e32 v38, s15, v38
.LBB239_75:
	v_pk_min_f16 v39, v58, v41
	v_pk_min_f16 v40, v63, v0
	s_delay_alu instid0(VALU_DEP_2) | instskip(NEXT) | instid1(VALU_DEP_1)
	v_pk_add_f16 v36, v39, v36
	v_pk_add_f16 v36, v40, v36
	s_delay_alu instid0(VALU_DEP_1) | instskip(NEXT) | instid1(VALU_DEP_1)
	v_lshrrev_b32_e32 v39, 16, v36
	v_add_f16_e32 v36, v36, v39
	s_delay_alu instid0(VALU_DEP_1)
	v_add_f16_e32 v36, v36, v38
	v_add_co_u32 v38, vcc_lo, v2, v8
	v_add_co_ci_u32_e32 v39, vcc_lo, v3, v9, vcc_lo
	s_and_b32 vcc_lo, exec_lo, s0
	global_store_b16 v[38:39], v36, off
	s_cbranch_vccnz .LBB239_77
; %bb.76:
	v_add_co_u32 v36, vcc_lo, v1, v10
	v_add_co_ci_u32_e32 v37, vcc_lo, v24, v11, vcc_lo
	flat_load_u16 v36, v[36:37]
	s_waitcnt vmcnt(0) lgkmcnt(0)
	v_mul_f16_e32 v37, s15, v36
.LBB239_77:
	v_pk_min_f16 v36, v57, v41
	v_pk_min_f16 v38, v64, v0
	s_delay_alu instid0(VALU_DEP_2) | instskip(NEXT) | instid1(VALU_DEP_1)
	v_pk_add_f16 v35, v36, v35
	v_pk_add_f16 v35, v38, v35
	v_add_co_u32 v38, vcc_lo, v2, v10
	v_add_co_ci_u32_e32 v39, vcc_lo, v3, v11, vcc_lo
	s_delay_alu instid0(VALU_DEP_3) | instskip(SKIP_1) | instid1(VALU_DEP_1)
	v_lshrrev_b32_e32 v36, 16, v35
	s_and_b32 vcc_lo, exec_lo, s0
	v_add_f16_e32 v35, v35, v36
	v_mov_b32_e32 v36, 0
	s_delay_alu instid0(VALU_DEP_2)
	v_add_f16_e32 v37, v35, v37
	v_mov_b32_e32 v35, 0
	global_store_b16 v[38:39], v37, off
	s_cbranch_vccnz .LBB239_79
; %bb.78:
	v_add_co_u32 v36, vcc_lo, v1, v4
	v_add_co_ci_u32_e32 v37, vcc_lo, v24, v5, vcc_lo
	flat_load_u16 v36, v[36:37]
	s_waitcnt vmcnt(0) lgkmcnt(0)
	v_mul_f16_e32 v36, s15, v36
.LBB239_79:
	v_pk_min_f16 v37, v56, v41
	v_pk_min_f16 v38, v65, v0
	s_delay_alu instid0(VALU_DEP_2) | instskip(NEXT) | instid1(VALU_DEP_1)
	v_pk_add_f16 v34, v37, v34
	v_pk_add_f16 v34, v38, v34
	s_delay_alu instid0(VALU_DEP_1) | instskip(NEXT) | instid1(VALU_DEP_1)
	v_lshrrev_b32_e32 v37, 16, v34
	v_add_f16_e32 v34, v34, v37
	s_delay_alu instid0(VALU_DEP_1)
	v_add_f16_e32 v34, v34, v36
	v_add_co_u32 v36, vcc_lo, v2, v4
	v_add_co_ci_u32_e32 v37, vcc_lo, v3, v5, vcc_lo
	s_and_b32 vcc_lo, exec_lo, s0
	global_store_b16 v[36:37], v34, off
	s_cbranch_vccnz .LBB239_81
; %bb.80:
	v_add_co_u32 v34, vcc_lo, v1, v6
	v_add_co_ci_u32_e32 v35, vcc_lo, v24, v7, vcc_lo
	flat_load_u16 v1, v[34:35]
	s_waitcnt vmcnt(0) lgkmcnt(0)
	v_mul_f16_e32 v35, s15, v1
.LBB239_81:
	v_pk_min_f16 v1, v22, v41
	v_pk_min_f16 v24, v23, v0
	v_add_nc_u32_e32 v34, 0x60, v42
	v_add_co_u32 v2, vcc_lo, v2, v6
	s_delay_alu instid0(VALU_DEP_4) | instskip(SKIP_1) | instid1(VALU_DEP_2)
	v_pk_add_f16 v33, v1, v33
	v_add_co_ci_u32_e32 v3, vcc_lo, v3, v7, vcc_lo
	v_pk_add_f16 v24, v24, v33
	s_delay_alu instid0(VALU_DEP_1) | instskip(NEXT) | instid1(VALU_DEP_1)
	v_lshrrev_b32_e32 v33, 16, v24
	v_add_f16_e32 v24, v24, v33
	v_mov_b32_e32 v33, 0
	v_mad_i64_i32 v[0:1], null, v34, s8, 0
	s_delay_alu instid0(VALU_DEP_3) | instskip(SKIP_1) | instid1(VALU_DEP_3)
	v_add_f16_e32 v35, v24, v35
	v_mov_b32_e32 v24, 0
	v_lshlrev_b64 v[0:1], 1, v[0:1]
	global_store_b16 v[2:3], v35, off
	v_add_co_u32 v0, vcc_lo, s4, v0
	v_add_co_ci_u32_e32 v1, vcc_lo, s5, v1, vcc_lo
	s_and_b32 vcc_lo, exec_lo, s0
	s_cbranch_vccnz .LBB239_83
; %bb.82:
	s_delay_alu instid0(VALU_DEP_2) | instskip(NEXT) | instid1(VALU_DEP_2)
	v_add_co_u32 v2, vcc_lo, v0, v16
	v_add_co_ci_u32_e32 v3, vcc_lo, v1, v17, vcc_lo
	flat_load_u16 v2, v[2:3]
	s_waitcnt vmcnt(0) lgkmcnt(0)
	v_mul_f16_e32 v33, s15, v2
.LBB239_83:
	v_pk_max_f16 v2, v18, v18
	v_pk_max_f16 v3, v19, v19
	s_delay_alu instid0(VALU_DEP_2) | instskip(NEXT) | instid1(VALU_DEP_2)
	v_pk_min_f16 v18, v45, v2
	v_pk_min_f16 v35, v54, v3
	s_delay_alu instid0(VALU_DEP_2) | instskip(SKIP_1) | instid1(VALU_DEP_2)
	v_pk_add_f16 v32, v18, v32
	v_mad_i64_i32 v[18:19], null, v34, s3, 0
	v_pk_add_f16 v32, v35, v32
	s_delay_alu instid0(VALU_DEP_2) | instskip(NEXT) | instid1(VALU_DEP_2)
	v_lshlrev_b64 v[18:19], 1, v[18:19]
	v_lshrrev_b32_e32 v34, 16, v32
	s_delay_alu instid0(VALU_DEP_2) | instskip(NEXT) | instid1(VALU_DEP_2)
	v_add_co_u32 v18, vcc_lo, s1, v18
	v_add_f16_e32 v32, v32, v34
	s_delay_alu instid0(VALU_DEP_4) | instskip(NEXT) | instid1(VALU_DEP_3)
	v_add_co_ci_u32_e32 v19, vcc_lo, s6, v19, vcc_lo
	v_add_co_u32 v16, vcc_lo, v18, v16
	s_delay_alu instid0(VALU_DEP_3) | instskip(NEXT) | instid1(VALU_DEP_3)
	v_add_f16_e32 v32, v32, v33
	v_add_co_ci_u32_e32 v17, vcc_lo, v19, v17, vcc_lo
	s_and_b32 vcc_lo, exec_lo, s0
	global_store_b16 v[16:17], v32, off
	s_cbranch_vccnz .LBB239_85
; %bb.84:
	v_add_co_u32 v16, vcc_lo, v0, v20
	v_add_co_ci_u32_e32 v17, vcc_lo, v1, v21, vcc_lo
	flat_load_u16 v16, v[16:17]
	s_waitcnt vmcnt(0) lgkmcnt(0)
	v_mul_f16_e32 v24, s15, v16
.LBB239_85:
	v_pk_min_f16 v16, v43, v2
	v_pk_min_f16 v17, v44, v3
	v_add_co_u32 v20, vcc_lo, v18, v20
	v_add_co_ci_u32_e32 v21, vcc_lo, v19, v21, vcc_lo
	s_delay_alu instid0(VALU_DEP_4) | instskip(SKIP_1) | instid1(VALU_DEP_1)
	v_pk_add_f16 v16, v16, v31
	s_and_b32 vcc_lo, exec_lo, s0
	v_pk_add_f16 v16, v17, v16
	s_delay_alu instid0(VALU_DEP_1) | instskip(NEXT) | instid1(VALU_DEP_1)
	v_lshrrev_b32_e32 v17, 16, v16
	v_add_f16_e32 v16, v16, v17
	v_mov_b32_e32 v17, 0
	s_delay_alu instid0(VALU_DEP_2)
	v_add_f16_e32 v24, v16, v24
	v_mov_b32_e32 v16, 0
	global_store_b16 v[20:21], v24, off
	s_cbranch_vccnz .LBB239_87
; %bb.86:
	v_add_co_u32 v20, vcc_lo, v0, v12
	v_add_co_ci_u32_e32 v21, vcc_lo, v1, v13, vcc_lo
	flat_load_u16 v17, v[20:21]
	s_waitcnt vmcnt(0) lgkmcnt(0)
	v_mul_f16_e32 v17, s15, v17
.LBB239_87:
	v_pk_min_f16 v20, v60, v2
	v_pk_min_f16 v21, v61, v3
	v_add_co_u32 v12, vcc_lo, v18, v12
	v_add_co_ci_u32_e32 v13, vcc_lo, v19, v13, vcc_lo
	s_delay_alu instid0(VALU_DEP_4) | instskip(SKIP_1) | instid1(VALU_DEP_1)
	v_pk_add_f16 v20, v20, v30
	s_and_b32 vcc_lo, exec_lo, s0
	v_pk_add_f16 v20, v21, v20
	s_delay_alu instid0(VALU_DEP_1) | instskip(NEXT) | instid1(VALU_DEP_1)
	v_lshrrev_b32_e32 v21, 16, v20
	v_add_f16_e32 v20, v20, v21
	s_delay_alu instid0(VALU_DEP_1)
	v_add_f16_e32 v17, v20, v17
	global_store_b16 v[12:13], v17, off
	s_cbranch_vccnz .LBB239_89
; %bb.88:
	v_add_co_u32 v12, vcc_lo, v0, v14
	v_add_co_ci_u32_e32 v13, vcc_lo, v1, v15, vcc_lo
	flat_load_u16 v12, v[12:13]
	s_waitcnt vmcnt(0) lgkmcnt(0)
	v_mul_f16_e32 v16, s15, v12
.LBB239_89:
	v_pk_min_f16 v12, v59, v2
	v_pk_min_f16 v13, v62, v3
	v_add_co_u32 v14, vcc_lo, v18, v14
	v_add_co_ci_u32_e32 v15, vcc_lo, v19, v15, vcc_lo
	s_delay_alu instid0(VALU_DEP_4) | instskip(SKIP_1) | instid1(VALU_DEP_1)
	v_pk_add_f16 v12, v12, v29
	s_and_b32 vcc_lo, exec_lo, s0
	v_pk_add_f16 v12, v13, v12
	s_delay_alu instid0(VALU_DEP_1) | instskip(NEXT) | instid1(VALU_DEP_1)
	v_lshrrev_b32_e32 v13, 16, v12
	v_add_f16_e32 v12, v12, v13
	v_mov_b32_e32 v13, 0
	s_delay_alu instid0(VALU_DEP_2)
	v_add_f16_e32 v16, v12, v16
	v_mov_b32_e32 v12, 0
	global_store_b16 v[14:15], v16, off
	s_cbranch_vccnz .LBB239_91
; %bb.90:
	v_add_co_u32 v13, vcc_lo, v0, v8
	v_add_co_ci_u32_e32 v14, vcc_lo, v1, v9, vcc_lo
	flat_load_u16 v13, v[13:14]
	s_waitcnt vmcnt(0) lgkmcnt(0)
	v_mul_f16_e32 v13, s15, v13
.LBB239_91:
	v_pk_min_f16 v14, v58, v2
	v_pk_min_f16 v15, v63, v3
	v_add_co_u32 v8, vcc_lo, v18, v8
	v_add_co_ci_u32_e32 v9, vcc_lo, v19, v9, vcc_lo
	s_delay_alu instid0(VALU_DEP_4) | instskip(SKIP_1) | instid1(VALU_DEP_1)
	v_pk_add_f16 v14, v14, v27
	s_and_b32 vcc_lo, exec_lo, s0
	v_pk_add_f16 v14, v15, v14
	s_delay_alu instid0(VALU_DEP_1) | instskip(NEXT) | instid1(VALU_DEP_1)
	v_lshrrev_b32_e32 v15, 16, v14
	v_add_f16_e32 v14, v14, v15
	s_delay_alu instid0(VALU_DEP_1)
	v_add_f16_e32 v13, v14, v13
	global_store_b16 v[8:9], v13, off
	s_cbranch_vccnz .LBB239_93
; %bb.92:
	v_add_co_u32 v8, vcc_lo, v0, v10
	v_add_co_ci_u32_e32 v9, vcc_lo, v1, v11, vcc_lo
	flat_load_u16 v8, v[8:9]
	s_waitcnt vmcnt(0) lgkmcnt(0)
	v_mul_f16_e32 v12, s15, v8
.LBB239_93:
	v_pk_min_f16 v8, v57, v2
	v_pk_min_f16 v9, v64, v3
	;; [unrolled: 1-line block ×3, first 2 shown]
	s_delay_alu instid0(VALU_DEP_3) | instskip(NEXT) | instid1(VALU_DEP_2)
	v_pk_add_f16 v8, v8, v26
	v_pk_add_f16 v13, v13, v28
	s_delay_alu instid0(VALU_DEP_2) | instskip(SKIP_1) | instid1(VALU_DEP_2)
	v_pk_add_f16 v8, v9, v8
	v_pk_min_f16 v9, v65, v3
	v_lshrrev_b32_e32 v14, 16, v8
	s_delay_alu instid0(VALU_DEP_2) | instskip(SKIP_2) | instid1(VALU_DEP_4)
	v_pk_add_f16 v13, v9, v13
	v_add_co_u32 v9, vcc_lo, v18, v10
	v_add_co_ci_u32_e32 v10, vcc_lo, v19, v11, vcc_lo
	v_add_f16_e32 v8, v8, v14
	s_delay_alu instid0(VALU_DEP_4) | instskip(SKIP_1) | instid1(VALU_DEP_2)
	v_lshrrev_b32_e32 v11, 16, v13
	s_mov_b32 vcc_lo, s2
	v_add_f16_e32 v12, v8, v12
	s_delay_alu instid0(VALU_DEP_2)
	v_add_f16_e32 v8, v13, v11
	global_store_b16 v[9:10], v12, off
	s_cbranch_vccz .LBB239_96
; %bb.94:
	v_add_co_u32 v9, vcc_lo, v18, v4
	v_add_f16_e32 v11, 0, v8
	v_add_co_ci_u32_e32 v10, vcc_lo, v19, v5, vcc_lo
	s_mov_b32 s0, 0
	global_store_b16 v[9:10], v11, off
	s_cbranch_execz .LBB239_97
; %bb.95:
	v_mov_b32_e32 v0, s0
	s_branch .LBB239_98
.LBB239_96:
	s_mov_b32 s0, -1
.LBB239_97:
	v_add_co_u32 v9, vcc_lo, v0, v4
	v_add_co_ci_u32_e32 v10, vcc_lo, v1, v5, vcc_lo
	v_add_co_u32 v4, vcc_lo, v18, v4
	v_add_co_ci_u32_e32 v5, vcc_lo, v19, v5, vcc_lo
	flat_load_u16 v9, v[9:10]
	v_add_co_u32 v0, vcc_lo, v0, v6
	v_add_co_ci_u32_e32 v1, vcc_lo, v1, v7, vcc_lo
	s_waitcnt vmcnt(0) lgkmcnt(0)
	v_fmac_f16_e32 v8, s15, v9
	global_store_b16 v[4:5], v8, off
	flat_load_u16 v0, v[0:1]
	s_waitcnt vmcnt(0) lgkmcnt(0)
	v_mul_f16_e32 v0, s15, v0
.LBB239_98:
	v_pk_min_f16 v1, v22, v2
	v_pk_min_f16 v2, v23, v3
	s_delay_alu instid0(VALU_DEP_2) | instskip(NEXT) | instid1(VALU_DEP_1)
	v_pk_add_f16 v1, v1, v25
	v_pk_add_f16 v1, v2, v1
	s_delay_alu instid0(VALU_DEP_1) | instskip(NEXT) | instid1(VALU_DEP_1)
	v_lshrrev_b32_e32 v2, 16, v1
	v_add_f16_e32 v1, v1, v2
	s_delay_alu instid0(VALU_DEP_1)
	v_add_f16_e32 v2, v1, v0
	v_add_co_u32 v0, vcc_lo, v18, v6
	v_add_co_ci_u32_e32 v1, vcc_lo, v19, v7, vcc_lo
	global_store_b16 v[0:1], v2, off
	s_nop 0
	s_sendmsg sendmsg(MSG_DEALLOC_VGPRS)
	s_endpgm
	.section	.rodata,"a",@progbits
	.p2align	6, 0x0
	.amdhsa_kernel _ZN12_GLOBAL__N_120geam_min_plus_kernelIDF16_Dv2_DF16_S1_Li8ELi32ELi64ELi128ELi4ELi4ELi64ELi4ELi64ELc84ELc78ELb0ELb0ELb0EDF16_KPKDF16_KPDF16_EEviiiT16_PT17_ilS9_ilS7_S9_ilPT18_ili26rocblas_geam_ex_operation_
		.amdhsa_group_segment_fixed_size 3072
		.amdhsa_private_segment_fixed_size 0
		.amdhsa_kernarg_size 128
		.amdhsa_user_sgpr_count 14
		.amdhsa_user_sgpr_dispatch_ptr 0
		.amdhsa_user_sgpr_queue_ptr 0
		.amdhsa_user_sgpr_kernarg_segment_ptr 1
		.amdhsa_user_sgpr_dispatch_id 0
		.amdhsa_user_sgpr_private_segment_size 0
		.amdhsa_wavefront_size32 1
		.amdhsa_uses_dynamic_stack 0
		.amdhsa_enable_private_segment 0
		.amdhsa_system_sgpr_workgroup_id_x 1
		.amdhsa_system_sgpr_workgroup_id_y 0
		.amdhsa_system_sgpr_workgroup_id_z 1
		.amdhsa_system_sgpr_workgroup_info 0
		.amdhsa_system_vgpr_workitem_id 1
		.amdhsa_next_free_vgpr 119
		.amdhsa_next_free_sgpr 24
		.amdhsa_reserve_vcc 1
		.amdhsa_float_round_mode_32 0
		.amdhsa_float_round_mode_16_64 0
		.amdhsa_float_denorm_mode_32 3
		.amdhsa_float_denorm_mode_16_64 3
		.amdhsa_dx10_clamp 1
		.amdhsa_ieee_mode 1
		.amdhsa_fp16_overflow 0
		.amdhsa_workgroup_processor_mode 1
		.amdhsa_memory_ordered 1
		.amdhsa_forward_progress 0
		.amdhsa_shared_vgpr_count 0
		.amdhsa_exception_fp_ieee_invalid_op 0
		.amdhsa_exception_fp_denorm_src 0
		.amdhsa_exception_fp_ieee_div_zero 0
		.amdhsa_exception_fp_ieee_overflow 0
		.amdhsa_exception_fp_ieee_underflow 0
		.amdhsa_exception_fp_ieee_inexact 0
		.amdhsa_exception_int_div_zero 0
	.end_amdhsa_kernel
	.section	.text._ZN12_GLOBAL__N_120geam_min_plus_kernelIDF16_Dv2_DF16_S1_Li8ELi32ELi64ELi128ELi4ELi4ELi64ELi4ELi64ELc84ELc78ELb0ELb0ELb0EDF16_KPKDF16_KPDF16_EEviiiT16_PT17_ilS9_ilS7_S9_ilPT18_ili26rocblas_geam_ex_operation_,"axG",@progbits,_ZN12_GLOBAL__N_120geam_min_plus_kernelIDF16_Dv2_DF16_S1_Li8ELi32ELi64ELi128ELi4ELi4ELi64ELi4ELi64ELc84ELc78ELb0ELb0ELb0EDF16_KPKDF16_KPDF16_EEviiiT16_PT17_ilS9_ilS7_S9_ilPT18_ili26rocblas_geam_ex_operation_,comdat
.Lfunc_end239:
	.size	_ZN12_GLOBAL__N_120geam_min_plus_kernelIDF16_Dv2_DF16_S1_Li8ELi32ELi64ELi128ELi4ELi4ELi64ELi4ELi64ELc84ELc78ELb0ELb0ELb0EDF16_KPKDF16_KPDF16_EEviiiT16_PT17_ilS9_ilS7_S9_ilPT18_ili26rocblas_geam_ex_operation_, .Lfunc_end239-_ZN12_GLOBAL__N_120geam_min_plus_kernelIDF16_Dv2_DF16_S1_Li8ELi32ELi64ELi128ELi4ELi4ELi64ELi4ELi64ELc84ELc78ELb0ELb0ELb0EDF16_KPKDF16_KPDF16_EEviiiT16_PT17_ilS9_ilS7_S9_ilPT18_ili26rocblas_geam_ex_operation_
                                        ; -- End function
	.section	.AMDGPU.csdata,"",@progbits
; Kernel info:
; codeLenInByte = 10088
; NumSgprs: 26
; NumVgprs: 119
; ScratchSize: 0
; MemoryBound: 0
; FloatMode: 240
; IeeeMode: 1
; LDSByteSize: 3072 bytes/workgroup (compile time only)
; SGPRBlocks: 3
; VGPRBlocks: 14
; NumSGPRsForWavesPerEU: 26
; NumVGPRsForWavesPerEU: 119
; Occupancy: 12
; WaveLimiterHint : 1
; COMPUTE_PGM_RSRC2:SCRATCH_EN: 0
; COMPUTE_PGM_RSRC2:USER_SGPR: 14
; COMPUTE_PGM_RSRC2:TRAP_HANDLER: 0
; COMPUTE_PGM_RSRC2:TGID_X_EN: 1
; COMPUTE_PGM_RSRC2:TGID_Y_EN: 0
; COMPUTE_PGM_RSRC2:TGID_Z_EN: 1
; COMPUTE_PGM_RSRC2:TIDIG_COMP_CNT: 1
	.section	.text._ZN12_GLOBAL__N_120geam_min_plus_kernelIDF16_Dv2_DF16_S1_Li8ELi32ELi64ELi128ELi4ELi4ELi64ELi4ELi64ELc84ELc78ELb0ELb1ELb0EPKDF16_KS3_KPDF16_EEviiiT16_PT17_ilS9_ilS7_S9_ilPT18_ili26rocblas_geam_ex_operation_,"axG",@progbits,_ZN12_GLOBAL__N_120geam_min_plus_kernelIDF16_Dv2_DF16_S1_Li8ELi32ELi64ELi128ELi4ELi4ELi64ELi4ELi64ELc84ELc78ELb0ELb1ELb0EPKDF16_KS3_KPDF16_EEviiiT16_PT17_ilS9_ilS7_S9_ilPT18_ili26rocblas_geam_ex_operation_,comdat
	.globl	_ZN12_GLOBAL__N_120geam_min_plus_kernelIDF16_Dv2_DF16_S1_Li8ELi32ELi64ELi128ELi4ELi4ELi64ELi4ELi64ELc84ELc78ELb0ELb1ELb0EPKDF16_KS3_KPDF16_EEviiiT16_PT17_ilS9_ilS7_S9_ilPT18_ili26rocblas_geam_ex_operation_ ; -- Begin function _ZN12_GLOBAL__N_120geam_min_plus_kernelIDF16_Dv2_DF16_S1_Li8ELi32ELi64ELi128ELi4ELi4ELi64ELi4ELi64ELc84ELc78ELb0ELb1ELb0EPKDF16_KS3_KPDF16_EEviiiT16_PT17_ilS9_ilS7_S9_ilPT18_ili26rocblas_geam_ex_operation_
	.p2align	8
	.type	_ZN12_GLOBAL__N_120geam_min_plus_kernelIDF16_Dv2_DF16_S1_Li8ELi32ELi64ELi128ELi4ELi4ELi64ELi4ELi64ELc84ELc78ELb0ELb1ELb0EPKDF16_KS3_KPDF16_EEviiiT16_PT17_ilS9_ilS7_S9_ilPT18_ili26rocblas_geam_ex_operation_,@function
_ZN12_GLOBAL__N_120geam_min_plus_kernelIDF16_Dv2_DF16_S1_Li8ELi32ELi64ELi128ELi4ELi4ELi64ELi4ELi64ELc84ELc78ELb0ELb1ELb0EPKDF16_KS3_KPDF16_EEviiiT16_PT17_ilS9_ilS7_S9_ilPT18_ili26rocblas_geam_ex_operation_: ; @_ZN12_GLOBAL__N_120geam_min_plus_kernelIDF16_Dv2_DF16_S1_Li8ELi32ELi64ELi128ELi4ELi4ELi64ELi4ELi64ELc84ELc78ELb0ELb1ELb0EPKDF16_KS3_KPDF16_EEviiiT16_PT17_ilS9_ilS7_S9_ilPT18_ili26rocblas_geam_ex_operation_
; %bb.0:
	s_clause 0x1
	s_load_b128 s[16:19], s[0:1], 0x10
	s_load_b128 s[4:7], s[0:1], 0x40
	s_mov_b32 s22, s15
	s_mov_b32 s23, 0
	v_mov_b32_e32 v1, 0
	s_lshl_b64 s[2:3], s[22:23], 1
	s_load_b128 s[8:11], s[0:1], 0x28
	s_mov_b64 s[20:21], 0
	s_waitcnt lgkmcnt(0)
	s_add_u32 s12, s16, s2
	s_addc_u32 s13, s17, s3
	s_load_b64 s[16:17], s[0:1], 0x50
	global_load_u16 v31, v1, s[12:13]
	s_add_u32 s2, s6, s2
	s_addc_u32 s3, s7, s3
	global_load_u16 v42, v1, s[2:3]
	s_mov_b64 s[12:13], 0
	s_waitcnt vmcnt(1)
	v_cmp_eq_f16_e32 vcc_lo, 0, v31
	v_cmp_neq_f16_e64 s3, 0, v31
	s_cbranch_vccnz .LBB240_2
; %bb.1:
	s_lshl_b64 s[6:7], s[22:23], 3
	s_delay_alu instid0(SALU_CYCLE_1)
	s_add_u32 s6, s18, s6
	s_addc_u32 s7, s19, s7
	s_lshl_b64 s[8:9], s[8:9], 1
	s_load_b64 s[6:7], s[6:7], 0x0
	s_waitcnt lgkmcnt(0)
	s_add_u32 s20, s6, s8
	s_addc_u32 s21, s7, s9
.LBB240_2:
	s_delay_alu instid0(VALU_DEP_1)
	s_and_not1_b32 vcc_lo, exec_lo, s3
	s_cbranch_vccnz .LBB240_4
; %bb.3:
	s_lshl_b64 s[6:7], s[22:23], 3
	s_delay_alu instid0(SALU_CYCLE_1)
	s_add_u32 s6, s10, s6
	s_addc_u32 s7, s11, s7
	s_lshl_b64 s[4:5], s[4:5], 1
	s_load_b64 s[6:7], s[6:7], 0x0
	s_waitcnt lgkmcnt(0)
	s_add_u32 s12, s6, s4
	s_addc_u32 s13, s7, s5
.LBB240_4:
	s_load_b128 s[4:7], s[0:1], 0x60
	s_waitcnt vmcnt(0)
	v_cmp_eq_f16_e32 vcc_lo, 0, v42
	v_cmp_neq_f16_e64 s2, 0, v42
	s_cbranch_vccnz .LBB240_6
; %bb.5:
	s_lshl_b64 s[8:9], s[22:23], 3
	s_waitcnt lgkmcnt(0)
	s_add_u32 s8, s16, s8
	s_addc_u32 s9, s17, s9
	s_lshl_b64 s[4:5], s[4:5], 1
	s_load_b64 s[8:9], s[8:9], 0x0
	s_waitcnt lgkmcnt(0)
	s_add_u32 s10, s8, s4
	s_addc_u32 s11, s9, s5
	s_branch .LBB240_7
.LBB240_6:
	s_mov_b64 s[10:11], 0
.LBB240_7:
	s_waitcnt lgkmcnt(0)
	s_clause 0x1
	s_load_b128 s[16:19], s[0:1], 0x0
	s_load_b32 s24, s[0:1], 0x20
	s_lshl_b64 s[4:5], s[22:23], 3
	v_dual_mov_b32 v7, 0 :: v_dual_and_b32 v30, 0x3ff, v0
	s_add_u32 s6, s6, s4
	s_addc_u32 s7, s7, s5
	v_bfe_u32 v32, v0, 10, 10
	s_load_b64 s[6:7], s[6:7], 0x0
	v_dual_mov_b32 v8, 0 :: v_dual_and_b32 v33, 3, v30
	s_delay_alu instid0(VALU_DEP_2) | instskip(SKIP_2) | instid1(SALU_CYCLE_1)
	v_lshl_add_u32 v0, v32, 3, v30
	s_waitcnt lgkmcnt(0)
	s_add_i32 s4, s16, -1
	s_ashr_i32 s5, s4, 31
	s_delay_alu instid0(SALU_CYCLE_1) | instskip(NEXT) | instid1(SALU_CYCLE_1)
	s_lshr_b32 s5, s5, 26
	s_add_i32 s4, s4, s5
	s_delay_alu instid0(SALU_CYCLE_1) | instskip(NEXT) | instid1(SALU_CYCLE_1)
	s_ashr_i32 s4, s4, 6
	s_add_i32 s8, s4, 1
	s_not_b32 s4, s4
	v_cvt_f32_u32_e32 v1, s8
	s_delay_alu instid0(VALU_DEP_1) | instskip(SKIP_2) | instid1(VALU_DEP_1)
	v_rcp_iflag_f32_e32 v1, v1
	s_waitcnt_depctr 0xfff
	v_mul_f32_e32 v1, 0x4f7ffffe, v1
	v_cvt_u32_f32_e32 v1, v1
	s_delay_alu instid0(VALU_DEP_1) | instskip(SKIP_2) | instid1(VALU_DEP_3)
	v_readfirstlane_b32 s5, v1
	v_lshrrev_b32_e32 v1, 2, v0
	v_lshlrev_b32_e32 v0, 1, v33
	s_mul_i32 s4, s4, s5
	s_delay_alu instid0(SALU_CYCLE_1) | instskip(NEXT) | instid1(SALU_CYCLE_1)
	s_mul_hi_u32 s4, s5, s4
	s_add_i32 s5, s5, s4
	s_delay_alu instid0(SALU_CYCLE_1) | instskip(NEXT) | instid1(SALU_CYCLE_1)
	s_mul_hi_u32 s4, s14, s5
	s_mul_i32 s5, s4, s8
	s_add_i32 s9, s4, 1
	s_sub_i32 s5, s14, s5
	s_delay_alu instid0(SALU_CYCLE_1)
	s_sub_i32 s15, s5, s8
	s_cmp_ge_u32 s5, s8
	s_cselect_b32 s4, s9, s4
	s_cselect_b32 s5, s15, s5
	s_add_i32 s9, s4, 1
	s_cmp_ge_u32 s5, s8
	s_cselect_b32 s5, s9, s4
	s_delay_alu instid0(SALU_CYCLE_1) | instskip(NEXT) | instid1(SALU_CYCLE_1)
	s_mul_i32 s25, s5, s8
	s_sub_i32 s4, s14, s25
	s_delay_alu instid0(SALU_CYCLE_1) | instskip(SKIP_2) | instid1(VALU_DEP_1)
	s_lshl_b32 s8, s4, 6
	v_cmp_gt_i32_e64 s4, s18, v33
	v_add_nc_u32_e32 v5, s8, v1
	v_cmp_gt_i32_e32 vcc_lo, s16, v5
	s_delay_alu instid0(VALU_DEP_3) | instskip(NEXT) | instid1(SALU_CYCLE_1)
	s_and_b32 s4, s4, vcc_lo
	s_and_b32 s4, s3, s4
	s_delay_alu instid0(SALU_CYCLE_1)
	s_and_saveexec_b32 s9, s4
	s_cbranch_execz .LBB240_9
; %bb.8:
	v_mad_i64_i32 v[2:3], null, v5, s24, 0
	s_delay_alu instid0(VALU_DEP_1) | instskip(NEXT) | instid1(VALU_DEP_1)
	v_lshlrev_b64 v[2:3], 1, v[2:3]
	v_add_co_u32 v2, s4, s20, v2
	s_delay_alu instid0(VALU_DEP_1) | instskip(NEXT) | instid1(VALU_DEP_2)
	v_add_co_ci_u32_e64 v3, s4, s21, v3, s4
	v_add_co_u32 v2, s4, v2, v0
	s_delay_alu instid0(VALU_DEP_1)
	v_add_co_ci_u32_e64 v3, s4, 0, v3, s4
	flat_load_u16 v2, v[2:3]
	s_waitcnt vmcnt(0) lgkmcnt(0)
	v_mul_f16_e32 v8, v31, v2
.LBB240_9:
	s_or_b32 exec_lo, exec_lo, s9
	s_add_i32 s15, s18, -1
	s_load_b32 s26, s[0:1], 0x38
	v_min_i32_e32 v3, s15, v33
	s_lshl_b32 s9, s5, 7
	s_xor_b32 s22, s3, -1
	v_add_nc_u32_e32 v2, s9, v1
	v_cmp_le_i32_e64 s4, s18, v33
	v_ashrrev_i32_e32 v4, 31, v3
	s_delay_alu instid0(VALU_DEP_3) | instskip(NEXT) | instid1(VALU_DEP_2)
	v_cmp_le_i32_e64 s5, s17, v2
	v_lshlrev_b64 v[3:4], 1, v[3:4]
	s_delay_alu instid0(VALU_DEP_2) | instskip(NEXT) | instid1(VALU_DEP_1)
	s_or_b32 s19, s5, s22
	v_add_co_u32 v6, s5, s12, v3
	s_delay_alu instid0(VALU_DEP_1) | instskip(SKIP_1) | instid1(SALU_CYCLE_1)
	v_add_co_ci_u32_e64 v10, s5, s13, v4, s5
	s_or_b32 s5, s4, s19
	s_xor_b32 s5, s5, -1
	s_delay_alu instid0(SALU_CYCLE_1)
	s_and_saveexec_b32 s23, s5
	s_cbranch_execz .LBB240_11
; %bb.10:
	s_waitcnt lgkmcnt(0)
	v_mad_i64_i32 v[3:4], null, v2, s26, 0
	s_delay_alu instid0(VALU_DEP_1) | instskip(NEXT) | instid1(VALU_DEP_1)
	v_lshlrev_b64 v[3:4], 1, v[3:4]
	v_add_co_u32 v3, s5, v6, v3
	s_delay_alu instid0(VALU_DEP_1)
	v_add_co_ci_u32_e64 v4, s5, v10, v4, s5
	flat_load_u16 v3, v[3:4]
	s_waitcnt vmcnt(0) lgkmcnt(0)
	v_mul_f16_e32 v7, v31, v3
.LBB240_11:
	s_or_b32 exec_lo, exec_lo, s23
	v_dual_mov_b32 v4, 0 :: v_dual_add_nc_u32 v3, 64, v2
	v_mov_b32_e32 v9, 0
	s_delay_alu instid0(VALU_DEP_2) | instskip(NEXT) | instid1(VALU_DEP_1)
	v_cmp_le_i32_e64 s5, s17, v3
	s_or_b32 s22, s5, s22
	s_delay_alu instid0(SALU_CYCLE_1) | instskip(NEXT) | instid1(SALU_CYCLE_1)
	s_or_b32 s4, s4, s22
	s_xor_b32 s4, s4, -1
	s_delay_alu instid0(SALU_CYCLE_1)
	s_and_saveexec_b32 s5, s4
	s_cbranch_execz .LBB240_13
; %bb.12:
	s_waitcnt lgkmcnt(0)
	v_mad_i64_i32 v[11:12], null, v3, s26, 0
	s_delay_alu instid0(VALU_DEP_1) | instskip(NEXT) | instid1(VALU_DEP_1)
	v_lshlrev_b64 v[11:12], 1, v[11:12]
	v_add_co_u32 v9, s4, v6, v11
	s_delay_alu instid0(VALU_DEP_1)
	v_add_co_ci_u32_e64 v10, s4, v10, v12, s4
	flat_load_u16 v6, v[9:10]
	s_waitcnt vmcnt(0) lgkmcnt(0)
	v_mul_f16_e32 v9, v31, v6
.LBB240_13:
	s_or_b32 exec_lo, exec_lo, s5
	v_or_b32_e32 v6, 4, v33
	s_delay_alu instid0(VALU_DEP_1) | instskip(NEXT) | instid1(VALU_DEP_1)
	v_cmp_gt_i32_e64 s4, s18, v6
	s_and_b32 s4, s4, vcc_lo
	s_delay_alu instid0(SALU_CYCLE_1) | instskip(NEXT) | instid1(SALU_CYCLE_1)
	s_and_b32 s4, s3, s4
	s_and_saveexec_b32 s5, s4
	s_cbranch_execz .LBB240_15
; %bb.14:
	v_mad_i64_i32 v[10:11], null, v5, s24, 0
	s_delay_alu instid0(VALU_DEP_1) | instskip(NEXT) | instid1(VALU_DEP_1)
	v_lshlrev_b64 v[4:5], 1, v[10:11]
	v_add_co_u32 v4, s4, s20, v4
	s_delay_alu instid0(VALU_DEP_1) | instskip(NEXT) | instid1(VALU_DEP_2)
	v_add_co_ci_u32_e64 v5, s4, s21, v5, s4
	v_add_co_u32 v4, s4, v4, v0
	s_delay_alu instid0(VALU_DEP_1)
	v_add_co_ci_u32_e64 v5, s4, 0, v5, s4
	flat_load_u16 v4, v[4:5] offset:8
	s_waitcnt vmcnt(0) lgkmcnt(0)
	v_mul_f16_e32 v4, v31, v4
.LBB240_15:
	s_or_b32 exec_lo, exec_lo, s5
	v_min_i32_e32 v10, s15, v6
	v_cmp_le_i32_e64 s4, s18, v6
	v_dual_mov_b32 v5, 0 :: v_dual_mov_b32 v6, 0
	s_delay_alu instid0(VALU_DEP_3) | instskip(NEXT) | instid1(VALU_DEP_1)
	v_ashrrev_i32_e32 v11, 31, v10
	v_lshlrev_b64 v[10:11], 1, v[10:11]
	s_delay_alu instid0(VALU_DEP_1) | instskip(NEXT) | instid1(VALU_DEP_1)
	v_add_co_u32 v10, s5, s12, v10
	v_add_co_ci_u32_e64 v11, s5, s13, v11, s5
	s_or_b32 s5, s4, s19
	s_delay_alu instid0(SALU_CYCLE_1) | instskip(NEXT) | instid1(SALU_CYCLE_1)
	s_xor_b32 s5, s5, -1
	s_and_saveexec_b32 s23, s5
	s_cbranch_execz .LBB240_17
; %bb.16:
	s_waitcnt lgkmcnt(0)
	v_mad_i64_i32 v[12:13], null, v2, s26, 0
	s_delay_alu instid0(VALU_DEP_1) | instskip(NEXT) | instid1(VALU_DEP_1)
	v_lshlrev_b64 v[12:13], 1, v[12:13]
	v_add_co_u32 v12, s5, v10, v12
	s_delay_alu instid0(VALU_DEP_1)
	v_add_co_ci_u32_e64 v13, s5, v11, v13, s5
	flat_load_u16 v6, v[12:13]
	s_waitcnt vmcnt(0) lgkmcnt(0)
	v_mul_f16_e32 v6, v31, v6
.LBB240_17:
	s_or_b32 exec_lo, exec_lo, s23
	s_or_b32 s4, s4, s22
	s_delay_alu instid0(SALU_CYCLE_1) | instskip(NEXT) | instid1(SALU_CYCLE_1)
	s_xor_b32 s4, s4, -1
	s_and_saveexec_b32 s5, s4
	s_cbranch_execz .LBB240_19
; %bb.18:
	s_waitcnt lgkmcnt(0)
	v_mad_i64_i32 v[12:13], null, v3, s26, 0
	s_delay_alu instid0(VALU_DEP_1) | instskip(NEXT) | instid1(VALU_DEP_1)
	v_lshlrev_b64 v[12:13], 1, v[12:13]
	v_add_co_u32 v10, s4, v10, v12
	s_delay_alu instid0(VALU_DEP_1)
	v_add_co_ci_u32_e64 v11, s4, v11, v13, s4
	flat_load_u16 v5, v[10:11]
	s_waitcnt vmcnt(0) lgkmcnt(0)
	v_mul_f16_e32 v5, v31, v5
.LBB240_19:
	s_or_b32 exec_lo, exec_lo, s5
	v_lshlrev_b32_e32 v35, 3, v30
	v_lshl_or_b32 v36, v1, 3, v0
	v_lshlrev_b32_e32 v34, 3, v32
	s_mov_b32 s23, 0
	s_cmp_lt_i32 s18, 9
	v_add_nc_u32_e32 v27, 0x800, v35
	ds_store_b16 v36, v7
	ds_store_b16 v36, v8 offset:2048
	ds_store_b16 v36, v9 offset:512
	s_waitcnt lgkmcnt(0)
	s_barrier
	buffer_gl0_inv
	ds_load_2addr_b64 v[7:10], v34 offset1:32
	ds_load_2addr_b64 v[11:14], v27 offset0:48 offset1:56
	ds_load_2addr_b64 v[15:18], v34 offset0:64 offset1:96
	ds_load_2addr_b64 v[19:22], v27 offset1:8
	ds_load_2addr_b64 v[23:26], v27 offset0:16 offset1:24
	ds_load_2addr_b64 v[37:40], v27 offset0:32 offset1:40
	ds_store_b16 v36, v6 offset:1024
	ds_store_b16 v36, v4 offset:2560
	ds_store_b16 v36, v5 offset:1536
	s_waitcnt lgkmcnt(0)
	s_barrier
	buffer_gl0_inv
	v_pk_max_f16 v9, v9, v9
	v_pk_max_f16 v7, v7, v7
	;; [unrolled: 1-line block ×8, first 2 shown]
	v_pk_min_f16 v49, v23, v9
	v_pk_min_f16 v50, v23, v15
	v_pk_max_f16 v19, v19, v19
	v_pk_max_f16 v21, v21, v21
	v_pk_min_f16 v27, v13, v7
	v_pk_add_f16 v52, v49, 0
	v_pk_min_f16 v49, v25, v7
	v_pk_add_f16 v53, v50, 0
	v_pk_min_f16 v50, v25, v9
	v_pk_min_f16 v51, v25, v15
	v_pk_max_f16 v39, v39, v39
	v_pk_add_f16 v54, v49, 0
	v_pk_min_f16 v49, v37, v7
	v_pk_add_f16 v55, v50, 0
	v_pk_min_f16 v50, v37, v9
	v_pk_max_f16 v11, v11, v11
	v_pk_max_f16 v8, v8, v8
	v_pk_add_f16 v61, v49, 0
	v_pk_min_f16 v49, v37, v15
	v_pk_min_f16 v37, v37, v17
	v_pk_max_f16 v14, v14, v14
	v_pk_min_f16 v28, v13, v9
	v_pk_min_f16 v29, v13, v15
	;; [unrolled: 1-line block ×9, first 2 shown]
	v_pk_add_f16 v27, v27, 0
	v_pk_min_f16 v21, v21, v17
	v_pk_min_f16 v48, v23, v7
	;; [unrolled: 1-line block ×4, first 2 shown]
	v_pk_add_f16 v60, v51, 0
	v_pk_add_f16 v62, v50, 0
	v_pk_min_f16 v50, v39, v7
	v_pk_min_f16 v51, v39, v9
	v_pk_add_f16 v72, v37, 0
	v_pk_min_f16 v37, v39, v15
	v_pk_min_f16 v39, v39, v17
	;; [unrolled: 1-line block ×6, first 2 shown]
	v_pk_max_f16 v10, v10, v10
	v_pk_min_f16 v13, v13, v17
	v_pk_min_f16 v17, v14, v8
	v_pk_add_f16 v28, v28, 0
	v_pk_add_f16 v75, v37, 0
	v_pk_max_f16 v16, v16, v16
	v_pk_min_f16 v37, v14, v10
	v_pk_max_f16 v20, v20, v20
	v_pk_add_f16 v69, v27, v17
	v_pk_max_f16 v17, v18, v18
	v_pk_add_f16 v41, v41, 0
	v_pk_add_f16 v19, v19, 0
	;; [unrolled: 1-line block ×3, first 2 shown]
	v_pk_min_f16 v18, v20, v8
	v_pk_min_f16 v27, v20, v10
	;; [unrolled: 1-line block ×4, first 2 shown]
	v_pk_max_f16 v22, v22, v22
	v_pk_add_f16 v45, v45, 0
	v_pk_add_f16 v46, v46, 0
	;; [unrolled: 1-line block ×7, first 2 shown]
	v_pk_min_f16 v18, v22, v8
	v_pk_min_f16 v19, v22, v10
	;; [unrolled: 1-line block ×4, first 2 shown]
	v_pk_max_f16 v24, v24, v24
	v_pk_add_f16 v48, v48, 0
	v_pk_add_f16 v23, v23, 0
	;; [unrolled: 1-line block ×7, first 2 shown]
	v_pk_min_f16 v18, v24, v8
	v_pk_min_f16 v19, v24, v10
	;; [unrolled: 1-line block ×4, first 2 shown]
	v_pk_max_f16 v22, v26, v26
	v_pk_add_f16 v29, v29, 0
	v_pk_add_f16 v25, v25, 0
	;; [unrolled: 1-line block ×3, first 2 shown]
	v_pk_min_f16 v39, v14, v16
	v_pk_add_f16 v41, v48, v18
	v_pk_add_f16 v65, v52, v19
	;; [unrolled: 1-line block ×4, first 2 shown]
	v_pk_min_f16 v18, v22, v8
	v_pk_min_f16 v19, v22, v10
	;; [unrolled: 1-line block ×4, first 2 shown]
	v_pk_max_f16 v22, v38, v38
	v_pk_add_f16 v74, v51, 0
	v_pk_add_f16 v51, v29, v39
	;; [unrolled: 1-line block ×6, first 2 shown]
	v_pk_min_f16 v18, v22, v8
	v_pk_min_f16 v19, v22, v10
	v_pk_min_f16 v20, v22, v16
	v_pk_min_f16 v21, v22, v17
	v_pk_max_f16 v22, v40, v40
	v_pk_max_f16 v12, v12, v12
	v_pk_add_f16 v43, v43, 0
	v_pk_add_f16 v44, v44, 0
	v_pk_add_f16 v7, v7, 0
	v_pk_add_f16 v9, v9, 0
	v_pk_add_f16 v15, v15, 0
	v_pk_add_f16 v11, v11, 0
	v_pk_add_f16 v13, v13, 0
	v_pk_add_f16 v37, v61, v18
	v_pk_add_f16 v63, v62, v19
	v_pk_add_f16 v54, v67, v20
	v_pk_add_f16 v46, v72, v21
	v_pk_min_f16 v18, v22, v8
	v_pk_min_f16 v19, v22, v10
	;; [unrolled: 1-line block ×9, first 2 shown]
	v_pk_add_f16 v68, v43, v27
	v_pk_add_f16 v58, v44, v28
	;; [unrolled: 1-line block ×11, first 2 shown]
	s_cbranch_scc1 .LBB240_34
; %bb.20:
	v_lshl_add_u32 v1, s14, 6, v1
	s_lshl_b32 s4, s25, 6
	v_mad_i64_i32 v[6:7], null, v2, s26, 0
	v_add_nc_u32_e32 v60, 0x800, v36
	s_delay_alu instid0(VALU_DEP_3)
	v_subrev_nc_u32_e32 v1, s4, v1
	v_add_nc_u32_e32 v67, 0x800, v35
	v_add_nc_u32_e32 v72, 0xa00, v36
	;; [unrolled: 1-line block ×3, first 2 shown]
	v_lshl_add_u32 v74, v30, 3, 0xa00
	v_mad_i64_i32 v[4:5], null, s24, v1, 0
	v_lshlrev_b64 v[24:25], 1, v[6:7]
	v_lshl_add_u32 v75, v32, 3, 0x400
	s_add_i32 s14, s18, -8
	s_delay_alu instid0(VALU_DEP_3) | instskip(SKIP_1) | instid1(VALU_DEP_2)
	v_lshlrev_b64 v[1:2], 1, v[4:5]
	v_mad_i64_i32 v[4:5], null, v3, s26, 0
	v_add_co_u32 v0, s4, v1, v0
	s_delay_alu instid0(VALU_DEP_1) | instskip(NEXT) | instid1(VALU_DEP_3)
	v_add_co_ci_u32_e64 v1, s4, 0, v2, s4
	v_lshlrev_b64 v[26:27], 1, v[4:5]
	s_delay_alu instid0(VALU_DEP_3) | instskip(NEXT) | instid1(VALU_DEP_1)
	v_add_co_u32 v0, s4, v0, s20
	v_add_co_ci_u32_e64 v1, s4, s21, v1, s4
	s_delay_alu instid0(VALU_DEP_2) | instskip(NEXT) | instid1(VALU_DEP_1)
	v_add_co_u32 v28, s4, v0, 24
	v_add_co_ci_u32_e64 v29, s4, 0, v1, s4
	s_branch .LBB240_22
.LBB240_21:                             ;   in Loop: Header=BB240_22 Depth=1
	s_or_b32 exec_lo, exec_lo, s5
	v_pk_add_f16 v22, v50, v22
	v_pk_add_f16 v50, v66, v80
	;; [unrolled: 1-line block ×25, first 2 shown]
	ds_load_2addr_b64 v[37:40], v67 offset0:48 offset1:56
	ds_load_2addr_b64 v[43:46], v34 offset1:32
	v_pk_add_f16 v9, v48, v9
	ds_load_2addr_b64 v[47:50], v34 offset0:64 offset1:96
	v_pk_add_f16 v8, v70, v8
	v_pk_add_f16 v6, v63, v6
	;; [unrolled: 1-line block ×6, first 2 shown]
	ds_load_2addr_b64 v[51:54], v67 offset1:8
	v_pk_add_f16 v62, v62, v93
	v_pk_add_f16 v61, v61, v97
	;; [unrolled: 1-line block ×9, first 2 shown]
	s_waitcnt lgkmcnt(3)
	v_pk_max_f16 v39, v39, v39
	s_waitcnt lgkmcnt(2)
	v_pk_max_f16 v43, v43, v43
	v_pk_max_f16 v45, v45, v45
	s_waitcnt lgkmcnt(1)
	v_pk_max_f16 v47, v47, v47
	v_pk_add_f16 v63, v63, v3
	v_pk_add_f16 v64, v64, v5
	;; [unrolled: 1-line block ×6, first 2 shown]
	v_pk_min_f16 v5, v39, v43
	v_pk_min_f16 v6, v39, v45
	;; [unrolled: 1-line block ×3, first 2 shown]
	ds_load_2addr_b64 v[1:4], v67 offset0:16 offset1:24
	s_waitcnt lgkmcnt(1)
	v_pk_max_f16 v8, v51, v51
	v_pk_max_f16 v49, v49, v49
	v_pk_add_f16 v14, v14, v110
	v_pk_add_f16 v18, v18, v111
	;; [unrolled: 1-line block ×7, first 2 shown]
	v_pk_min_f16 v5, v8, v43
	v_pk_min_f16 v6, v8, v45
	;; [unrolled: 1-line block ×4, first 2 shown]
	v_pk_max_f16 v53, v53, v53
	v_pk_add_f16 v14, v14, v5
	v_pk_add_f16 v18, v18, v6
	;; [unrolled: 1-line block ×4, first 2 shown]
	ds_load_2addr_b64 v[5:8], v67 offset0:32 offset1:40
	v_pk_add_f16 v17, v68, v17
	v_pk_min_f16 v68, v53, v47
	s_waitcnt lgkmcnt(1)
	v_pk_max_f16 v1, v1, v1
	v_pk_add_f16 v41, v41, v118
	v_pk_max_f16 v3, v3, v3
	v_pk_add_f16 v10, v10, v119
	v_pk_add_f16 v78, v82, v68
	v_pk_min_f16 v68, v1, v43
	v_pk_add_f16 v57, v57, v101
	v_pk_add_f16 v19, v69, v19
	;; [unrolled: 1-line block ×3, first 2 shown]
	v_pk_min_f16 v69, v1, v45
	v_pk_min_f16 v70, v1, v47
	;; [unrolled: 1-line block ×3, first 2 shown]
	v_pk_add_f16 v41, v41, v68
	v_pk_min_f16 v68, v3, v45
	v_pk_add_f16 v58, v58, v103
	v_pk_add_f16 v59, v59, v104
	;; [unrolled: 1-line block ×3, first 2 shown]
	s_waitcnt lgkmcnt(0)
	v_pk_max_f16 v5, v5, v5
	v_pk_min_f16 v65, v53, v43
	v_pk_add_f16 v10, v10, v69
	v_pk_add_f16 v1, v9, v1
	v_pk_min_f16 v9, v3, v43
	v_pk_min_f16 v69, v3, v47
	v_pk_min_f16 v3, v3, v49
	v_pk_add_f16 v79, v57, v68
	v_pk_min_f16 v57, v5, v43
	v_pk_add_f16 v15, v66, v15
	v_pk_min_f16 v66, v53, v45
	v_pk_add_f16 v65, v80, v65
	v_pk_add_f16 v3, v58, v3
	v_pk_min_f16 v58, v5, v45
	v_pk_max_f16 v7, v7, v7
	v_pk_add_f16 v80, v59, v57
	v_pk_min_f16 v57, v5, v47
	v_pk_max_f16 v37, v37, v37
	v_pk_add_f16 v66, v81, v66
	v_pk_add_f16 v81, v85, v58
	v_pk_min_f16 v58, v7, v43
	v_pk_min_f16 v59, v7, v45
	v_pk_add_f16 v82, v63, v57
	v_pk_min_f16 v57, v7, v47
	v_pk_min_f16 v7, v7, v49
	;; [unrolled: 1-line block ×6, first 2 shown]
	v_pk_add_f16 v7, v17, v7
	v_pk_add_f16 v17, v19, v43
	v_pk_max_f16 v40, v40, v40
	v_pk_max_f16 v43, v44, v44
	;; [unrolled: 1-line block ×3, first 2 shown]
	v_pk_add_f16 v55, v55, v87
	v_pk_add_f16 v53, v83, v53
	;; [unrolled: 1-line block ×4, first 2 shown]
	v_pk_min_f16 v23, v37, v49
	v_pk_min_f16 v37, v39, v49
	v_pk_max_f16 v83, v48, v48
	v_pk_min_f16 v45, v40, v44
	v_pk_add_f16 v55, v55, v102
	v_pk_add_f16 v9, v84, v9
	;; [unrolled: 1-line block ×3, first 2 shown]
	v_pk_min_f16 v39, v40, v43
	v_pk_add_f16 v84, v62, v37
	v_pk_min_f16 v37, v40, v83
	v_pk_max_f16 v46, v52, v52
	v_pk_add_f16 v59, v12, v45
	v_pk_max_f16 v12, v50, v50
	v_pk_add_f16 v55, v55, v69
	v_pk_add_f16 v69, v51, v39
	;; [unrolled: 1-line block ×3, first 2 shown]
	v_pk_min_f16 v16, v46, v43
	v_pk_min_f16 v37, v46, v44
	;; [unrolled: 1-line block ×4, first 2 shown]
	v_pk_max_f16 v46, v54, v54
	v_pk_add_f16 v56, v56, v120
	v_pk_add_f16 v71, v14, v16
	;; [unrolled: 1-line block ×3, first 2 shown]
	v_pk_max_f16 v2, v2, v2
	v_pk_min_f16 v14, v46, v43
	v_pk_min_f16 v16, v46, v44
	;; [unrolled: 1-line block ×3, first 2 shown]
	v_pk_add_f16 v56, v56, v70
	v_pk_add_f16 v15, v15, v57
	;; [unrolled: 1-line block ×5, first 2 shown]
	v_pk_min_f16 v14, v2, v43
	v_pk_min_f16 v16, v2, v44
	;; [unrolled: 1-line block ×4, first 2 shown]
	v_pk_max_f16 v4, v4, v4
	v_pk_min_f16 v5, v5, v49
	v_pk_add_f16 v65, v10, v16
	v_pk_max_f16 v6, v6, v6
	v_pk_add_f16 v48, v1, v2
	v_pk_min_f16 v1, v4, v43
	v_pk_min_f16 v2, v4, v44
	;; [unrolled: 1-line block ×4, first 2 shown]
	v_pk_add_f16 v5, v64, v5
	v_pk_add_f16 v11, v11, v58
	;; [unrolled: 1-line block ×6, first 2 shown]
	v_pk_min_f16 v1, v6, v43
	v_pk_min_f16 v2, v6, v44
	;; [unrolled: 1-line block ×4, first 2 shown]
	v_pk_max_f16 v6, v8, v8
	v_pk_min_f16 v20, v46, v12
	v_pk_add_f16 v37, v80, v1
	v_pk_add_f16 v63, v81, v2
	;; [unrolled: 1-line block ×4, first 2 shown]
	v_pk_min_f16 v1, v6, v43
	v_pk_min_f16 v2, v6, v44
	;; [unrolled: 1-line block ×4, first 2 shown]
	v_pk_max_f16 v5, v38, v38
	v_pk_add_f16 v23, v61, v23
	v_pk_add_f16 v50, v22, v45
	;; [unrolled: 1-line block ×7, first 2 shown]
	v_pk_min_f16 v1, v5, v43
	v_pk_min_f16 v2, v5, v44
	;; [unrolled: 1-line block ×5, first 2 shown]
	v_add_co_u32 v28, s4, v28, 16
	v_pk_add_f16 v41, v41, v14
	v_pk_add_f16 v56, v56, v18
	;; [unrolled: 1-line block ×8, first 2 shown]
	v_add_co_ci_u32_e64 v29, s4, 0, v29, s4
	s_add_i32 s23, s23, 8
	ds_store_b16 v72, v76
	ds_store_b16 v73, v77
	ds_store_b16 v73, v0 offset:512
	s_cmp_ge_i32 s23, s14
	s_waitcnt lgkmcnt(0)
	s_barrier
	buffer_gl0_inv
	s_cbranch_scc1 .LBB240_34
.LBB240_22:                             ; =>This Inner Loop Header: Depth=1
	v_dual_mov_b32 v77, 0 :: v_dual_add_nc_u32 v76, s23, v33
	s_delay_alu instid0(VALU_DEP_1) | instskip(NEXT) | instid1(VALU_DEP_1)
	v_add_nc_u32_e32 v0, 8, v76
	v_cmp_gt_i32_e64 s4, s18, v0
	s_delay_alu instid0(VALU_DEP_1) | instskip(NEXT) | instid1(SALU_CYCLE_1)
	s_and_b32 s4, s4, vcc_lo
	s_and_b32 s4, s3, s4
	s_delay_alu instid0(SALU_CYCLE_1)
	s_and_saveexec_b32 s5, s4
	s_cbranch_execz .LBB240_24
; %bb.23:                               ;   in Loop: Header=BB240_22 Depth=1
	v_add_co_u32 v1, s4, -8, v28
	s_delay_alu instid0(VALU_DEP_1)
	v_add_co_ci_u32_e64 v2, s4, -1, v29, s4
	flat_load_u16 v1, v[1:2]
	s_waitcnt vmcnt(0) lgkmcnt(0)
	v_mul_f16_e32 v77, v31, v1
.LBB240_24:                             ;   in Loop: Header=BB240_22 Depth=1
	s_or_b32 exec_lo, exec_lo, s5
	v_min_i32_e32 v1, s15, v0
	v_cmp_le_i32_e64 s4, s18, v0
	v_dual_mov_b32 v78, 0 :: v_dual_mov_b32 v79, 0
	s_delay_alu instid0(VALU_DEP_3) | instskip(NEXT) | instid1(VALU_DEP_1)
	v_ashrrev_i32_e32 v2, 31, v1
	v_lshlrev_b64 v[1:2], 1, v[1:2]
	s_delay_alu instid0(VALU_DEP_1) | instskip(NEXT) | instid1(VALU_DEP_1)
	v_add_co_u32 v0, s5, s12, v1
	v_add_co_ci_u32_e64 v1, s5, s13, v2, s5
	s_or_b32 s5, s19, s4
	s_delay_alu instid0(SALU_CYCLE_1) | instskip(NEXT) | instid1(SALU_CYCLE_1)
	s_xor_b32 s5, s5, -1
	s_and_saveexec_b32 s20, s5
	s_cbranch_execz .LBB240_26
; %bb.25:                               ;   in Loop: Header=BB240_22 Depth=1
	v_add_co_u32 v2, s5, v0, v24
	s_delay_alu instid0(VALU_DEP_1)
	v_add_co_ci_u32_e64 v3, s5, v1, v25, s5
	flat_load_u16 v2, v[2:3]
	s_waitcnt vmcnt(0) lgkmcnt(0)
	v_mul_f16_e32 v79, v31, v2
.LBB240_26:                             ;   in Loop: Header=BB240_22 Depth=1
	s_or_b32 exec_lo, exec_lo, s20
	s_or_b32 s4, s22, s4
	s_delay_alu instid0(SALU_CYCLE_1) | instskip(NEXT) | instid1(SALU_CYCLE_1)
	s_xor_b32 s4, s4, -1
	s_and_saveexec_b32 s5, s4
	s_cbranch_execz .LBB240_28
; %bb.27:                               ;   in Loop: Header=BB240_22 Depth=1
	v_add_co_u32 v0, s4, v0, v26
	s_delay_alu instid0(VALU_DEP_1)
	v_add_co_ci_u32_e64 v1, s4, v1, v27, s4
	flat_load_u16 v0, v[0:1]
	s_waitcnt vmcnt(0) lgkmcnt(0)
	v_mul_f16_e32 v78, v31, v0
.LBB240_28:                             ;   in Loop: Header=BB240_22 Depth=1
	s_or_b32 exec_lo, exec_lo, s5
	ds_load_2addr_b64 v[0:3], v74 offset0:48 offset1:56
	ds_load_2addr_b64 v[12:15], v75 offset0:64 offset1:96
	ds_load_2addr_b64 v[20:23], v75 offset1:32
	ds_load_2addr_b64 v[16:19], v74 offset1:8
	ds_load_2addr_b64 v[8:11], v74 offset0:16 offset1:24
	ds_load_2addr_b64 v[4:7], v74 offset0:32 offset1:40
	v_add_nc_u32_e32 v80, 12, v76
	ds_store_b16 v60, v77
	ds_store_b16 v36, v79
	ds_store_b16 v36, v78 offset:512
	v_dual_mov_b32 v77, 0 :: v_dual_mov_b32 v76, 0
	s_waitcnt lgkmcnt(0)
	v_cmp_gt_i32_e64 s4, s18, v80
	s_barrier
	buffer_gl0_inv
	s_and_b32 s4, s4, vcc_lo
	s_delay_alu instid0(SALU_CYCLE_1) | instskip(NEXT) | instid1(SALU_CYCLE_1)
	s_and_b32 s5, s3, s4
	s_and_saveexec_b32 s4, s5
	s_cbranch_execz .LBB240_30
; %bb.29:                               ;   in Loop: Header=BB240_22 Depth=1
	flat_load_u16 v76, v[28:29]
	s_waitcnt vmcnt(0) lgkmcnt(0)
	v_mul_f16_e32 v76, v31, v76
.LBB240_30:                             ;   in Loop: Header=BB240_22 Depth=1
	s_or_b32 exec_lo, exec_lo, s4
	v_min_i32_e32 v78, s15, v80
	v_cmp_le_i32_e64 s4, s18, v80
	s_delay_alu instid0(VALU_DEP_2) | instskip(NEXT) | instid1(VALU_DEP_1)
	v_ashrrev_i32_e32 v79, 31, v78
	v_lshlrev_b64 v[78:79], 1, v[78:79]
	s_delay_alu instid0(VALU_DEP_1) | instskip(NEXT) | instid1(VALU_DEP_1)
	v_add_co_u32 v78, s5, s12, v78
	v_add_co_ci_u32_e64 v79, s5, s13, v79, s5
	s_or_b32 s5, s19, s4
	s_delay_alu instid0(SALU_CYCLE_1) | instskip(NEXT) | instid1(SALU_CYCLE_1)
	s_xor_b32 s5, s5, -1
	s_and_saveexec_b32 s20, s5
	s_cbranch_execz .LBB240_32
; %bb.31:                               ;   in Loop: Header=BB240_22 Depth=1
	v_add_co_u32 v80, s5, v78, v24
	s_delay_alu instid0(VALU_DEP_1)
	v_add_co_ci_u32_e64 v81, s5, v79, v25, s5
	flat_load_u16 v77, v[80:81]
	s_waitcnt vmcnt(0) lgkmcnt(0)
	v_mul_f16_e32 v77, v31, v77
.LBB240_32:                             ;   in Loop: Header=BB240_22 Depth=1
	s_or_b32 exec_lo, exec_lo, s20
	v_pk_max_f16 v100, v2, v2
	v_pk_max_f16 v96, v20, v20
	;; [unrolled: 1-line block ×12, first 2 shown]
	v_pk_min_f16 v2, v100, v96
	v_pk_min_f16 v12, v100, v97
	;; [unrolled: 1-line block ×25, first 2 shown]
	v_pk_max_f16 v0, v3, v3
	v_pk_max_f16 v21, v21, v21
	;; [unrolled: 1-line block ×9, first 2 shown]
	v_pk_min_f16 v110, v3, v21
	v_pk_min_f16 v111, v3, v23
	;; [unrolled: 1-line block ×4, first 2 shown]
	v_pk_max_f16 v3, v9, v9
	v_pk_max_f16 v7, v7, v7
	v_pk_max_f16 v1, v1, v1
	v_pk_min_f16 v22, v22, v101
	v_pk_min_f16 v82, v82, v101
	v_pk_min_f16 v85, v85, v101
	v_pk_min_f16 v88, v88, v101
	v_pk_min_f16 v91, v91, v101
	v_pk_min_f16 v95, v95, v101
	v_pk_min_f16 v105, v100, v101
	v_pk_min_f16 v107, v0, v21
	v_pk_min_f16 v108, v0, v23
	v_pk_min_f16 v109, v0, v121
	v_pk_min_f16 v114, v13, v21
	v_pk_min_f16 v115, v13, v23
	v_pk_min_f16 v116, v13, v121
	v_pk_min_f16 v117, v13, v122
	v_pk_min_f16 v118, v3, v21
	v_pk_min_f16 v119, v3, v23
	v_pk_min_f16 v120, v3, v121
	v_pk_min_f16 v9, v3, v122
	v_pk_min_f16 v100, v11, v21
	v_pk_min_f16 v101, v11, v23
	v_pk_min_f16 v102, v11, v121
	v_pk_min_f16 v103, v11, v122
	v_pk_min_f16 v104, v5, v21
	v_pk_min_f16 v106, v5, v23
	v_pk_min_f16 v3, v5, v121
	v_pk_min_f16 v5, v5, v122
	v_pk_min_f16 v11, v7, v21
	v_pk_min_f16 v13, v7, v23
	v_pk_min_f16 v15, v7, v121
	v_pk_min_f16 v17, v7, v122
	v_pk_min_f16 v19, v1, v21
	v_pk_min_f16 v21, v1, v23
	v_pk_min_f16 v23, v1, v121
	v_pk_min_f16 v1, v1, v122
	v_pk_min_f16 v7, v0, v122
	v_mov_b32_e32 v0, 0
	s_or_b32 s4, s22, s4
	s_delay_alu instid0(SALU_CYCLE_1) | instskip(NEXT) | instid1(SALU_CYCLE_1)
	s_xor_b32 s4, s4, -1
	s_and_saveexec_b32 s5, s4
	s_cbranch_execz .LBB240_21
; %bb.33:                               ;   in Loop: Header=BB240_22 Depth=1
	v_add_co_u32 v78, s4, v78, v26
	s_delay_alu instid0(VALU_DEP_1)
	v_add_co_ci_u32_e64 v79, s4, v79, v27, s4
	flat_load_u16 v0, v[78:79]
	s_waitcnt vmcnt(0) lgkmcnt(0)
	v_mul_f16_e32 v0, v31, v0
	s_branch .LBB240_21
.LBB240_34:
	s_clause 0x2
	s_load_b32 s13, s[0:1], 0x58
	s_load_b32 s12, s[0:1], 0x70
	s_load_b64 s[4:5], s[0:1], 0x78
	v_add_nc_u32_e32 v67, s9, v32
	v_add_nc_u32_e32 v8, 0x800, v35
	ds_load_2addr_b64 v[0:3], v34 offset0:192 offset1:224
	ds_load_2addr_b64 v[20:23], v34 offset0:128 offset1:160
	v_add_nc_u32_e32 v24, s8, v30
	ds_load_2addr_b64 v[4:7], v8 offset0:112 offset1:120
	ds_load_2addr_b64 v[16:19], v8 offset0:64 offset1:72
	;; [unrolled: 1-line block ×4, first 2 shown]
	v_cmp_gt_i32_e64 s8, s17, v67
	v_cmp_gt_i32_e64 s0, s16, v24
	v_cndmask_b32_e64 v60, 0, 1, s2
	s_waitcnt lgkmcnt(0)
	v_mad_i64_i32 v[25:26], null, v67, s13, 0
	v_mad_i64_i32 v[27:28], null, v67, s12, 0
	s_lshl_b64 s[4:5], s[4:5], 1
	s_delay_alu instid0(SALU_CYCLE_1) | instskip(SKIP_1) | instid1(VALU_DEP_2)
	s_add_u32 s9, s6, s4
	s_addc_u32 s14, s7, s5
	v_lshlrev_b64 v[29:30], 1, v[25:26]
	v_ashrrev_i32_e32 v25, 31, v24
	s_delay_alu instid0(VALU_DEP_3) | instskip(SKIP_1) | instid1(VALU_DEP_3)
	v_lshlrev_b64 v[26:27], 1, v[27:28]
	s_and_b32 s3, s0, s8
	v_add_co_u32 v74, vcc_lo, s10, v29
	s_delay_alu instid0(VALU_DEP_4) | instskip(NEXT) | instid1(VALU_DEP_3)
	v_add_co_ci_u32_e32 v75, vcc_lo, s11, v30, vcc_lo
	v_add_co_u32 v72, vcc_lo, s9, v26
	s_delay_alu instid0(VALU_DEP_4)
	v_add_co_ci_u32_e32 v73, vcc_lo, s14, v27, vcc_lo
	s_and_saveexec_b32 s1, s3
	s_cbranch_execz .LBB240_39
; %bb.35:
	v_lshlrev_b64 v[26:27], 1, v[24:25]
	s_and_not1_b32 vcc_lo, exec_lo, s2
	s_cbranch_vccnz .LBB240_37
; %bb.36:
	s_delay_alu instid0(VALU_DEP_1) | instskip(NEXT) | instid1(VALU_DEP_2)
	v_add_co_u32 v28, vcc_lo, v74, v26
	v_add_co_ci_u32_e32 v29, vcc_lo, v75, v27, vcc_lo
	flat_load_u16 v28, v[28:29]
	s_waitcnt vmcnt(0) lgkmcnt(0)
	v_mul_f16_e32 v28, v42, v28
	s_branch .LBB240_38
.LBB240_37:
	v_mov_b32_e32 v28, 0
.LBB240_38:
	v_pk_max_f16 v29, v20, v20
	v_pk_max_f16 v30, v16, v16
	;; [unrolled: 1-line block ×4, first 2 shown]
	v_add_co_u32 v26, vcc_lo, v72, v26
	s_delay_alu instid0(VALU_DEP_4) | instskip(SKIP_1) | instid1(VALU_DEP_4)
	v_pk_min_f16 v29, v30, v29
	v_add_co_ci_u32_e32 v27, vcc_lo, v73, v27, vcc_lo
	v_pk_min_f16 v30, v32, v31
	s_delay_alu instid0(VALU_DEP_3) | instskip(NEXT) | instid1(VALU_DEP_1)
	v_pk_add_f16 v29, v71, v29
	v_pk_add_f16 v29, v29, v30
	s_delay_alu instid0(VALU_DEP_1) | instskip(NEXT) | instid1(VALU_DEP_1)
	v_lshrrev_b32_e32 v30, 16, v29
	v_add_f16_e32 v29, v29, v30
	s_delay_alu instid0(VALU_DEP_1)
	v_add_f16_e32 v28, v29, v28
	global_store_b16 v[26:27], v28, off
.LBB240_39:
	s_or_b32 exec_lo, exec_lo, s1
	v_add_nc_u32_e32 v26, 8, v24
	s_delay_alu instid0(VALU_DEP_1) | instskip(SKIP_1) | instid1(VALU_DEP_2)
	v_cmp_gt_i32_e64 s1, s16, v26
	v_ashrrev_i32_e32 v27, 31, v26
	s_and_b32 s3, s1, s8
	s_delay_alu instid0(SALU_CYCLE_1)
	s_and_saveexec_b32 s2, s3
	s_cbranch_execz .LBB240_44
; %bb.40:
	v_cmp_ne_u32_e32 vcc_lo, 1, v60
	v_lshlrev_b64 v[28:29], 1, v[26:27]
	s_cbranch_vccnz .LBB240_42
; %bb.41:
	s_delay_alu instid0(VALU_DEP_1) | instskip(NEXT) | instid1(VALU_DEP_2)
	v_add_co_u32 v30, vcc_lo, v74, v28
	v_add_co_ci_u32_e32 v31, vcc_lo, v75, v29, vcc_lo
	flat_load_u16 v30, v[30:31]
	s_waitcnt vmcnt(0) lgkmcnt(0)
	v_mul_f16_e32 v30, v42, v30
	s_branch .LBB240_43
.LBB240_42:
	v_mov_b32_e32 v30, 0
.LBB240_43:
	v_pk_max_f16 v31, v20, v20
	v_pk_max_f16 v32, v18, v18
	v_pk_max_f16 v33, v21, v21
	v_pk_max_f16 v34, v19, v19
	v_add_co_u32 v28, vcc_lo, v72, v28
	s_delay_alu instid0(VALU_DEP_4) | instskip(SKIP_1) | instid1(VALU_DEP_4)
	v_pk_min_f16 v31, v32, v31
	v_add_co_ci_u32_e32 v29, vcc_lo, v73, v29, vcc_lo
	v_pk_min_f16 v32, v34, v33
	s_delay_alu instid0(VALU_DEP_3) | instskip(NEXT) | instid1(VALU_DEP_1)
	v_pk_add_f16 v31, v70, v31
	v_pk_add_f16 v31, v31, v32
	s_delay_alu instid0(VALU_DEP_1) | instskip(NEXT) | instid1(VALU_DEP_1)
	v_lshrrev_b32_e32 v32, 16, v31
	v_add_f16_e32 v31, v31, v32
	s_delay_alu instid0(VALU_DEP_1)
	v_add_f16_e32 v30, v31, v30
	global_store_b16 v[28:29], v30, off
.LBB240_44:
	s_or_b32 exec_lo, exec_lo, s2
	v_add_nc_u32_e32 v28, 16, v24
	s_delay_alu instid0(VALU_DEP_1) | instskip(SKIP_1) | instid1(VALU_DEP_2)
	v_cmp_gt_i32_e64 s2, s16, v28
	v_ashrrev_i32_e32 v29, 31, v28
	s_and_b32 s4, s2, s8
	s_delay_alu instid0(SALU_CYCLE_1)
	s_and_saveexec_b32 s3, s4
	s_cbranch_execz .LBB240_49
; %bb.45:
	v_cmp_ne_u32_e32 vcc_lo, 1, v60
	v_lshlrev_b64 v[30:31], 1, v[28:29]
	s_cbranch_vccnz .LBB240_47
; %bb.46:
	s_delay_alu instid0(VALU_DEP_1) | instskip(NEXT) | instid1(VALU_DEP_2)
	v_add_co_u32 v32, vcc_lo, v74, v30
	v_add_co_ci_u32_e32 v33, vcc_lo, v75, v31, vcc_lo
	flat_load_u16 v32, v[32:33]
	s_waitcnt vmcnt(0) lgkmcnt(0)
	v_mul_f16_e32 v32, v42, v32
	s_branch .LBB240_48
.LBB240_47:
	v_mov_b32_e32 v32, 0
.LBB240_48:
	v_pk_max_f16 v33, v20, v20
	v_pk_max_f16 v34, v12, v12
	v_pk_max_f16 v35, v21, v21
	v_pk_max_f16 v36, v13, v13
	v_add_co_u32 v30, vcc_lo, v72, v30
	s_delay_alu instid0(VALU_DEP_4) | instskip(SKIP_1) | instid1(VALU_DEP_4)
	v_pk_min_f16 v33, v34, v33
	v_add_co_ci_u32_e32 v31, vcc_lo, v73, v31, vcc_lo
	v_pk_min_f16 v34, v36, v35
	s_delay_alu instid0(VALU_DEP_3) | instskip(NEXT) | instid1(VALU_DEP_1)
	v_pk_add_f16 v33, v41, v33
	v_pk_add_f16 v33, v33, v34
	s_delay_alu instid0(VALU_DEP_1) | instskip(NEXT) | instid1(VALU_DEP_1)
	v_lshrrev_b32_e32 v34, 16, v33
	v_add_f16_e32 v33, v33, v34
	s_delay_alu instid0(VALU_DEP_1)
	v_add_f16_e32 v32, v33, v32
	global_store_b16 v[30:31], v32, off
.LBB240_49:
	;; [unrolled: 43-line block ×6, first 2 shown]
	s_or_b32 exec_lo, exec_lo, s7
	v_add_nc_u32_e32 v38, 56, v24
	s_delay_alu instid0(VALU_DEP_1) | instskip(SKIP_1) | instid1(VALU_DEP_2)
	v_cmp_gt_i32_e64 s7, s16, v38
	v_ashrrev_i32_e32 v39, 31, v38
	s_and_b32 s15, s7, s8
	s_delay_alu instid0(SALU_CYCLE_1)
	s_and_saveexec_b32 s8, s15
	s_cbranch_execz .LBB240_74
; %bb.70:
	v_cmp_ne_u32_e32 vcc_lo, 1, v60
	v_lshlrev_b64 v[40:41], 1, v[38:39]
	s_cbranch_vccnz .LBB240_72
; %bb.71:
	s_delay_alu instid0(VALU_DEP_1) | instskip(NEXT) | instid1(VALU_DEP_2)
	v_add_co_u32 v70, vcc_lo, v74, v40
	v_add_co_ci_u32_e32 v71, vcc_lo, v75, v41, vcc_lo
	flat_load_u16 v70, v[70:71]
	s_waitcnt vmcnt(0) lgkmcnt(0)
	v_mul_f16_e32 v70, v42, v70
	s_branch .LBB240_73
.LBB240_72:
	v_mov_b32_e32 v70, 0
.LBB240_73:
	v_pk_max_f16 v20, v20, v20
	v_pk_max_f16 v71, v6, v6
	;; [unrolled: 1-line block ×4, first 2 shown]
	s_delay_alu instid0(VALU_DEP_3) | instskip(NEXT) | instid1(VALU_DEP_2)
	v_pk_min_f16 v20, v71, v20
	v_pk_min_f16 v21, v74, v21
	s_delay_alu instid0(VALU_DEP_2) | instskip(NEXT) | instid1(VALU_DEP_1)
	v_pk_add_f16 v20, v69, v20
	v_pk_add_f16 v20, v20, v21
	s_delay_alu instid0(VALU_DEP_1) | instskip(NEXT) | instid1(VALU_DEP_1)
	v_lshrrev_b32_e32 v21, 16, v20
	v_add_f16_e32 v20, v20, v21
	s_delay_alu instid0(VALU_DEP_1)
	v_add_f16_e32 v69, v20, v70
	v_add_co_u32 v20, vcc_lo, v72, v40
	v_add_co_ci_u32_e32 v21, vcc_lo, v73, v41, vcc_lo
	global_store_b16 v[20:21], v69, off
.LBB240_74:
	s_or_b32 exec_lo, exec_lo, s8
	v_add_nc_u32_e32 v69, 32, v67
	s_delay_alu instid0(VALU_DEP_1) | instskip(SKIP_2) | instid1(VALU_DEP_3)
	v_mad_i64_i32 v[20:21], null, v69, s13, 0
	v_mad_i64_i32 v[40:41], null, v69, s12, 0
	v_cmp_gt_i32_e64 s8, s17, v69
	v_lshlrev_b64 v[20:21], 1, v[20:21]
	s_delay_alu instid0(VALU_DEP_2) | instskip(NEXT) | instid1(VALU_DEP_3)
	s_and_b32 s16, s0, s8
	v_lshlrev_b64 v[40:41], 1, v[40:41]
	s_delay_alu instid0(VALU_DEP_2) | instskip(NEXT) | instid1(VALU_DEP_3)
	v_add_co_u32 v69, vcc_lo, s10, v20
	v_add_co_ci_u32_e32 v70, vcc_lo, s11, v21, vcc_lo
	s_delay_alu instid0(VALU_DEP_3) | instskip(NEXT) | instid1(VALU_DEP_4)
	v_add_co_u32 v40, vcc_lo, s9, v40
	v_add_co_ci_u32_e32 v41, vcc_lo, s14, v41, vcc_lo
	s_and_saveexec_b32 s15, s16
	s_cbranch_execnz .LBB240_82
; %bb.75:
	s_or_b32 exec_lo, exec_lo, s15
	s_and_b32 s16, s1, s8
	s_delay_alu instid0(SALU_CYCLE_1)
	s_and_saveexec_b32 s15, s16
	s_cbranch_execnz .LBB240_86
.LBB240_76:
	s_or_b32 exec_lo, exec_lo, s15
	s_and_b32 s16, s2, s8
	s_delay_alu instid0(SALU_CYCLE_1)
	s_and_saveexec_b32 s15, s16
	s_cbranch_execnz .LBB240_90
.LBB240_77:
	s_or_b32 exec_lo, exec_lo, s15
	s_and_b32 s16, s3, s8
	s_delay_alu instid0(SALU_CYCLE_1)
	s_and_saveexec_b32 s15, s16
	s_cbranch_execnz .LBB240_94
.LBB240_78:
	s_or_b32 exec_lo, exec_lo, s15
	s_and_b32 s16, s4, s8
	s_delay_alu instid0(SALU_CYCLE_1)
	s_and_saveexec_b32 s15, s16
	s_cbranch_execnz .LBB240_98
.LBB240_79:
	s_or_b32 exec_lo, exec_lo, s15
	s_and_b32 s16, s5, s8
	s_delay_alu instid0(SALU_CYCLE_1)
	s_and_saveexec_b32 s15, s16
	s_cbranch_execnz .LBB240_102
.LBB240_80:
	s_or_b32 exec_lo, exec_lo, s15
	s_and_b32 s16, s6, s8
	s_delay_alu instid0(SALU_CYCLE_1)
	s_and_saveexec_b32 s15, s16
	s_cbranch_execnz .LBB240_106
.LBB240_81:
	s_or_b32 exec_lo, exec_lo, s15
	s_and_b32 s15, s7, s8
	s_delay_alu instid0(SALU_CYCLE_1)
	s_and_saveexec_b32 s8, s15
	s_cbranch_execnz .LBB240_110
	s_branch .LBB240_114
.LBB240_82:
	v_cmp_ne_u32_e32 vcc_lo, 1, v60
	v_lshlrev_b64 v[20:21], 1, v[24:25]
	s_cbranch_vccnz .LBB240_84
; %bb.83:
	s_delay_alu instid0(VALU_DEP_1) | instskip(NEXT) | instid1(VALU_DEP_2)
	v_add_co_u32 v71, vcc_lo, v69, v20
	v_add_co_ci_u32_e32 v72, vcc_lo, v70, v21, vcc_lo
	flat_load_u16 v71, v[71:72]
	s_waitcnt vmcnt(0) lgkmcnt(0)
	v_mul_f16_e32 v71, v42, v71
	s_branch .LBB240_85
.LBB240_84:
	v_mov_b32_e32 v71, 0
.LBB240_85:
	v_pk_max_f16 v72, v22, v22
	v_pk_max_f16 v73, v16, v16
	;; [unrolled: 1-line block ×4, first 2 shown]
	v_add_co_u32 v20, vcc_lo, v40, v20
	s_delay_alu instid0(VALU_DEP_4) | instskip(SKIP_1) | instid1(VALU_DEP_4)
	v_pk_min_f16 v72, v73, v72
	v_add_co_ci_u32_e32 v21, vcc_lo, v41, v21, vcc_lo
	v_pk_min_f16 v73, v75, v74
	s_delay_alu instid0(VALU_DEP_3) | instskip(NEXT) | instid1(VALU_DEP_1)
	v_pk_add_f16 v68, v68, v72
	v_pk_add_f16 v68, v68, v73
	s_delay_alu instid0(VALU_DEP_1) | instskip(NEXT) | instid1(VALU_DEP_1)
	v_lshrrev_b32_e32 v72, 16, v68
	v_add_f16_e32 v68, v68, v72
	s_delay_alu instid0(VALU_DEP_1) | instskip(SKIP_3) | instid1(SALU_CYCLE_1)
	v_add_f16_e32 v68, v68, v71
	global_store_b16 v[20:21], v68, off
	s_or_b32 exec_lo, exec_lo, s15
	s_and_b32 s16, s1, s8
	s_and_saveexec_b32 s15, s16
	s_cbranch_execz .LBB240_76
.LBB240_86:
	v_cmp_ne_u32_e32 vcc_lo, 1, v60
	v_lshlrev_b64 v[20:21], 1, v[26:27]
	s_cbranch_vccnz .LBB240_88
; %bb.87:
	s_delay_alu instid0(VALU_DEP_1) | instskip(NEXT) | instid1(VALU_DEP_2)
	v_add_co_u32 v71, vcc_lo, v69, v20
	v_add_co_ci_u32_e32 v72, vcc_lo, v70, v21, vcc_lo
	flat_load_u16 v68, v[71:72]
	s_waitcnt vmcnt(0) lgkmcnt(0)
	v_mul_f16_e32 v68, v42, v68
	s_branch .LBB240_89
.LBB240_88:
	v_mov_b32_e32 v68, 0
.LBB240_89:
	v_pk_max_f16 v71, v22, v22
	v_pk_max_f16 v72, v18, v18
	;; [unrolled: 1-line block ×4, first 2 shown]
	v_add_co_u32 v20, vcc_lo, v40, v20
	s_delay_alu instid0(VALU_DEP_4) | instskip(SKIP_1) | instid1(VALU_DEP_4)
	v_pk_min_f16 v71, v72, v71
	v_add_co_ci_u32_e32 v21, vcc_lo, v41, v21, vcc_lo
	v_pk_min_f16 v72, v74, v73
	s_delay_alu instid0(VALU_DEP_3) | instskip(NEXT) | instid1(VALU_DEP_1)
	v_pk_add_f16 v66, v66, v71
	v_pk_add_f16 v66, v66, v72
	s_delay_alu instid0(VALU_DEP_1) | instskip(NEXT) | instid1(VALU_DEP_1)
	v_lshrrev_b32_e32 v71, 16, v66
	v_add_f16_e32 v66, v66, v71
	s_delay_alu instid0(VALU_DEP_1) | instskip(SKIP_3) | instid1(SALU_CYCLE_1)
	v_add_f16_e32 v66, v66, v68
	global_store_b16 v[20:21], v66, off
	s_or_b32 exec_lo, exec_lo, s15
	s_and_b32 s16, s2, s8
	s_and_saveexec_b32 s15, s16
	s_cbranch_execz .LBB240_77
.LBB240_90:
	v_cmp_ne_u32_e32 vcc_lo, 1, v60
	v_lshlrev_b64 v[20:21], 1, v[28:29]
	s_cbranch_vccnz .LBB240_92
; %bb.91:
	s_delay_alu instid0(VALU_DEP_1) | instskip(NEXT) | instid1(VALU_DEP_2)
	v_add_co_u32 v71, vcc_lo, v69, v20
	v_add_co_ci_u32_e32 v72, vcc_lo, v70, v21, vcc_lo
	flat_load_u16 v66, v[71:72]
	s_waitcnt vmcnt(0) lgkmcnt(0)
	v_mul_f16_e32 v66, v42, v66
	s_branch .LBB240_93
.LBB240_92:
	v_mov_b32_e32 v66, 0
.LBB240_93:
	v_pk_max_f16 v68, v22, v22
	v_pk_max_f16 v71, v12, v12
	;; [unrolled: 1-line block ×4, first 2 shown]
	v_add_co_u32 v20, vcc_lo, v40, v20
	s_delay_alu instid0(VALU_DEP_4) | instskip(SKIP_1) | instid1(VALU_DEP_4)
	v_pk_min_f16 v68, v71, v68
	v_add_co_ci_u32_e32 v21, vcc_lo, v41, v21, vcc_lo
	v_pk_min_f16 v71, v73, v72
	s_delay_alu instid0(VALU_DEP_3) | instskip(NEXT) | instid1(VALU_DEP_1)
	v_pk_add_f16 v65, v65, v68
	v_pk_add_f16 v65, v65, v71
	s_delay_alu instid0(VALU_DEP_1) | instskip(NEXT) | instid1(VALU_DEP_1)
	v_lshrrev_b32_e32 v68, 16, v65
	v_add_f16_e32 v65, v65, v68
	s_delay_alu instid0(VALU_DEP_1) | instskip(SKIP_3) | instid1(SALU_CYCLE_1)
	v_add_f16_e32 v65, v65, v66
	global_store_b16 v[20:21], v65, off
	s_or_b32 exec_lo, exec_lo, s15
	s_and_b32 s16, s3, s8
	s_and_saveexec_b32 s15, s16
	s_cbranch_execz .LBB240_78
.LBB240_94:
	v_cmp_ne_u32_e32 vcc_lo, 1, v60
	v_lshlrev_b64 v[20:21], 1, v[30:31]
	s_cbranch_vccnz .LBB240_96
; %bb.95:
	s_delay_alu instid0(VALU_DEP_1) | instskip(NEXT) | instid1(VALU_DEP_2)
	v_add_co_u32 v65, vcc_lo, v69, v20
	v_add_co_ci_u32_e32 v66, vcc_lo, v70, v21, vcc_lo
	flat_load_u16 v65, v[65:66]
	s_waitcnt vmcnt(0) lgkmcnt(0)
	v_mul_f16_e32 v65, v42, v65
	s_branch .LBB240_97
.LBB240_96:
	v_mov_b32_e32 v65, 0
.LBB240_97:
	v_pk_max_f16 v66, v22, v22
	v_pk_max_f16 v68, v14, v14
	;; [unrolled: 1-line block ×4, first 2 shown]
	v_add_co_u32 v20, vcc_lo, v40, v20
	s_delay_alu instid0(VALU_DEP_4) | instskip(SKIP_1) | instid1(VALU_DEP_4)
	v_pk_min_f16 v66, v68, v66
	v_add_co_ci_u32_e32 v21, vcc_lo, v41, v21, vcc_lo
	v_pk_min_f16 v68, v72, v71
	s_delay_alu instid0(VALU_DEP_3) | instskip(NEXT) | instid1(VALU_DEP_1)
	v_pk_add_f16 v64, v64, v66
	v_pk_add_f16 v64, v64, v68
	s_delay_alu instid0(VALU_DEP_1) | instskip(NEXT) | instid1(VALU_DEP_1)
	v_lshrrev_b32_e32 v66, 16, v64
	v_add_f16_e32 v64, v64, v66
	s_delay_alu instid0(VALU_DEP_1) | instskip(SKIP_3) | instid1(SALU_CYCLE_1)
	v_add_f16_e32 v64, v64, v65
	global_store_b16 v[20:21], v64, off
	s_or_b32 exec_lo, exec_lo, s15
	s_and_b32 s16, s4, s8
	s_and_saveexec_b32 s15, s16
	s_cbranch_execz .LBB240_79
.LBB240_98:
	v_cmp_ne_u32_e32 vcc_lo, 1, v60
	v_lshlrev_b64 v[20:21], 1, v[32:33]
	s_cbranch_vccnz .LBB240_100
; %bb.99:
	s_delay_alu instid0(VALU_DEP_1) | instskip(NEXT) | instid1(VALU_DEP_2)
	v_add_co_u32 v64, vcc_lo, v69, v20
	v_add_co_ci_u32_e32 v65, vcc_lo, v70, v21, vcc_lo
	flat_load_u16 v64, v[64:65]
	s_waitcnt vmcnt(0) lgkmcnt(0)
	v_mul_f16_e32 v64, v42, v64
	s_branch .LBB240_101
.LBB240_100:
	v_mov_b32_e32 v64, 0
.LBB240_101:
	v_pk_max_f16 v65, v22, v22
	v_pk_max_f16 v66, v8, v8
	;; [unrolled: 1-line block ×4, first 2 shown]
	v_add_co_u32 v20, vcc_lo, v40, v20
	s_delay_alu instid0(VALU_DEP_4) | instskip(SKIP_1) | instid1(VALU_DEP_4)
	v_pk_min_f16 v65, v66, v65
	v_add_co_ci_u32_e32 v21, vcc_lo, v41, v21, vcc_lo
	v_pk_min_f16 v66, v71, v68
	s_delay_alu instid0(VALU_DEP_3) | instskip(NEXT) | instid1(VALU_DEP_1)
	v_pk_add_f16 v63, v63, v65
	v_pk_add_f16 v63, v63, v66
	s_delay_alu instid0(VALU_DEP_1) | instskip(NEXT) | instid1(VALU_DEP_1)
	v_lshrrev_b32_e32 v65, 16, v63
	v_add_f16_e32 v63, v63, v65
	s_delay_alu instid0(VALU_DEP_1) | instskip(SKIP_3) | instid1(SALU_CYCLE_1)
	v_add_f16_e32 v63, v63, v64
	global_store_b16 v[20:21], v63, off
	s_or_b32 exec_lo, exec_lo, s15
	s_and_b32 s16, s5, s8
	s_and_saveexec_b32 s15, s16
	s_cbranch_execz .LBB240_80
.LBB240_102:
	v_cmp_ne_u32_e32 vcc_lo, 1, v60
	v_lshlrev_b64 v[20:21], 1, v[34:35]
	s_cbranch_vccnz .LBB240_104
; %bb.103:
	s_delay_alu instid0(VALU_DEP_1) | instskip(NEXT) | instid1(VALU_DEP_2)
	v_add_co_u32 v63, vcc_lo, v69, v20
	v_add_co_ci_u32_e32 v64, vcc_lo, v70, v21, vcc_lo
	flat_load_u16 v63, v[63:64]
	s_waitcnt vmcnt(0) lgkmcnt(0)
	v_mul_f16_e32 v63, v42, v63
	s_branch .LBB240_105
.LBB240_104:
	v_mov_b32_e32 v63, 0
.LBB240_105:
	v_pk_max_f16 v64, v22, v22
	v_pk_max_f16 v65, v10, v10
	;; [unrolled: 1-line block ×4, first 2 shown]
	v_add_co_u32 v20, vcc_lo, v40, v20
	s_delay_alu instid0(VALU_DEP_4) | instskip(SKIP_1) | instid1(VALU_DEP_4)
	v_pk_min_f16 v64, v65, v64
	v_add_co_ci_u32_e32 v21, vcc_lo, v41, v21, vcc_lo
	v_pk_min_f16 v65, v68, v66
	s_delay_alu instid0(VALU_DEP_3) | instskip(NEXT) | instid1(VALU_DEP_1)
	v_pk_add_f16 v62, v62, v64
	v_pk_add_f16 v62, v62, v65
	s_delay_alu instid0(VALU_DEP_1) | instskip(NEXT) | instid1(VALU_DEP_1)
	v_lshrrev_b32_e32 v64, 16, v62
	v_add_f16_e32 v62, v62, v64
	s_delay_alu instid0(VALU_DEP_1) | instskip(SKIP_3) | instid1(SALU_CYCLE_1)
	v_add_f16_e32 v62, v62, v63
	global_store_b16 v[20:21], v62, off
	s_or_b32 exec_lo, exec_lo, s15
	s_and_b32 s16, s6, s8
	s_and_saveexec_b32 s15, s16
	s_cbranch_execz .LBB240_81
.LBB240_106:
	v_cmp_ne_u32_e32 vcc_lo, 1, v60
	v_lshlrev_b64 v[20:21], 1, v[36:37]
	s_cbranch_vccnz .LBB240_108
; %bb.107:
	s_delay_alu instid0(VALU_DEP_1) | instskip(NEXT) | instid1(VALU_DEP_2)
	v_add_co_u32 v62, vcc_lo, v69, v20
	v_add_co_ci_u32_e32 v63, vcc_lo, v70, v21, vcc_lo
	flat_load_u16 v62, v[62:63]
	s_waitcnt vmcnt(0) lgkmcnt(0)
	v_mul_f16_e32 v62, v42, v62
	s_branch .LBB240_109
.LBB240_108:
	v_mov_b32_e32 v62, 0
.LBB240_109:
	v_pk_max_f16 v63, v22, v22
	v_pk_max_f16 v64, v4, v4
	;; [unrolled: 1-line block ×4, first 2 shown]
	v_add_co_u32 v20, vcc_lo, v40, v20
	s_delay_alu instid0(VALU_DEP_4) | instskip(SKIP_1) | instid1(VALU_DEP_4)
	v_pk_min_f16 v63, v64, v63
	v_add_co_ci_u32_e32 v21, vcc_lo, v41, v21, vcc_lo
	v_pk_min_f16 v64, v66, v65
	s_delay_alu instid0(VALU_DEP_3) | instskip(NEXT) | instid1(VALU_DEP_1)
	v_pk_add_f16 v61, v61, v63
	v_pk_add_f16 v61, v61, v64
	s_delay_alu instid0(VALU_DEP_1) | instskip(NEXT) | instid1(VALU_DEP_1)
	v_lshrrev_b32_e32 v63, 16, v61
	v_add_f16_e32 v61, v61, v63
	s_delay_alu instid0(VALU_DEP_1) | instskip(SKIP_3) | instid1(SALU_CYCLE_1)
	v_add_f16_e32 v61, v61, v62
	global_store_b16 v[20:21], v61, off
	s_or_b32 exec_lo, exec_lo, s15
	s_and_b32 s15, s7, s8
	s_and_saveexec_b32 s8, s15
	s_cbranch_execz .LBB240_114
.LBB240_110:
	v_cmp_ne_u32_e32 vcc_lo, 1, v60
	v_lshlrev_b64 v[20:21], 1, v[38:39]
	s_cbranch_vccnz .LBB240_112
; %bb.111:
	s_delay_alu instid0(VALU_DEP_1) | instskip(NEXT) | instid1(VALU_DEP_2)
	v_add_co_u32 v61, vcc_lo, v69, v20
	v_add_co_ci_u32_e32 v62, vcc_lo, v70, v21, vcc_lo
	flat_load_u16 v61, v[61:62]
	s_waitcnt vmcnt(0) lgkmcnt(0)
	v_mul_f16_e32 v61, v42, v61
	s_branch .LBB240_113
.LBB240_112:
	v_mov_b32_e32 v61, 0
.LBB240_113:
	v_pk_max_f16 v22, v22, v22
	v_pk_max_f16 v62, v6, v6
	;; [unrolled: 1-line block ×4, first 2 shown]
	v_add_co_u32 v20, vcc_lo, v40, v20
	s_delay_alu instid0(VALU_DEP_4) | instskip(SKIP_1) | instid1(VALU_DEP_4)
	v_pk_min_f16 v22, v62, v22
	v_add_co_ci_u32_e32 v21, vcc_lo, v41, v21, vcc_lo
	v_pk_min_f16 v23, v63, v23
	s_delay_alu instid0(VALU_DEP_3) | instskip(NEXT) | instid1(VALU_DEP_1)
	v_pk_add_f16 v22, v59, v22
	v_pk_add_f16 v22, v22, v23
	s_delay_alu instid0(VALU_DEP_1) | instskip(NEXT) | instid1(VALU_DEP_1)
	v_lshrrev_b32_e32 v23, 16, v22
	v_add_f16_e32 v22, v22, v23
	s_delay_alu instid0(VALU_DEP_1)
	v_add_f16_e32 v22, v22, v61
	global_store_b16 v[20:21], v22, off
.LBB240_114:
	s_or_b32 exec_lo, exec_lo, s8
	v_add_nc_u32_e32 v40, 64, v67
	s_delay_alu instid0(VALU_DEP_1) | instskip(SKIP_2) | instid1(VALU_DEP_3)
	v_mad_i64_i32 v[20:21], null, v40, s13, 0
	v_mad_i64_i32 v[22:23], null, v40, s12, 0
	v_cmp_gt_i32_e64 s8, s17, v40
	v_lshlrev_b64 v[20:21], 1, v[20:21]
	s_delay_alu instid0(VALU_DEP_2) | instskip(NEXT) | instid1(VALU_DEP_3)
	s_and_b32 s16, s0, s8
	v_lshlrev_b64 v[22:23], 1, v[22:23]
	s_delay_alu instid0(VALU_DEP_2) | instskip(NEXT) | instid1(VALU_DEP_3)
	v_add_co_u32 v40, vcc_lo, s10, v20
	v_add_co_ci_u32_e32 v41, vcc_lo, s11, v21, vcc_lo
	s_delay_alu instid0(VALU_DEP_3) | instskip(NEXT) | instid1(VALU_DEP_4)
	v_add_co_u32 v22, vcc_lo, s9, v22
	v_add_co_ci_u32_e32 v23, vcc_lo, s14, v23, vcc_lo
	s_and_saveexec_b32 s15, s16
	s_cbranch_execnz .LBB240_122
; %bb.115:
	s_or_b32 exec_lo, exec_lo, s15
	s_and_b32 s16, s1, s8
	s_delay_alu instid0(SALU_CYCLE_1)
	s_and_saveexec_b32 s15, s16
	s_cbranch_execnz .LBB240_126
.LBB240_116:
	s_or_b32 exec_lo, exec_lo, s15
	s_and_b32 s16, s2, s8
	s_delay_alu instid0(SALU_CYCLE_1)
	s_and_saveexec_b32 s15, s16
	s_cbranch_execnz .LBB240_130
.LBB240_117:
	s_or_b32 exec_lo, exec_lo, s15
	s_and_b32 s16, s3, s8
	s_delay_alu instid0(SALU_CYCLE_1)
	s_and_saveexec_b32 s15, s16
	s_cbranch_execnz .LBB240_134
.LBB240_118:
	s_or_b32 exec_lo, exec_lo, s15
	s_and_b32 s16, s4, s8
	s_delay_alu instid0(SALU_CYCLE_1)
	s_and_saveexec_b32 s15, s16
	s_cbranch_execnz .LBB240_138
.LBB240_119:
	s_or_b32 exec_lo, exec_lo, s15
	s_and_b32 s16, s5, s8
	s_delay_alu instid0(SALU_CYCLE_1)
	s_and_saveexec_b32 s15, s16
	s_cbranch_execnz .LBB240_142
.LBB240_120:
	s_or_b32 exec_lo, exec_lo, s15
	s_and_b32 s16, s6, s8
	s_delay_alu instid0(SALU_CYCLE_1)
	s_and_saveexec_b32 s15, s16
	s_cbranch_execnz .LBB240_146
.LBB240_121:
	s_or_b32 exec_lo, exec_lo, s15
	s_and_b32 s15, s7, s8
	s_delay_alu instid0(SALU_CYCLE_1)
	s_and_saveexec_b32 s8, s15
	s_cbranch_execnz .LBB240_150
	s_branch .LBB240_154
.LBB240_122:
	v_cmp_ne_u32_e32 vcc_lo, 1, v60
	v_lshlrev_b64 v[20:21], 1, v[24:25]
	s_cbranch_vccnz .LBB240_124
; %bb.123:
	s_delay_alu instid0(VALU_DEP_1) | instskip(NEXT) | instid1(VALU_DEP_2)
	v_add_co_u32 v61, vcc_lo, v40, v20
	v_add_co_ci_u32_e32 v62, vcc_lo, v41, v21, vcc_lo
	flat_load_u16 v59, v[61:62]
	s_waitcnt vmcnt(0) lgkmcnt(0)
	v_mul_f16_e32 v59, v42, v59
	s_branch .LBB240_125
.LBB240_124:
	v_mov_b32_e32 v59, 0
.LBB240_125:
	v_pk_max_f16 v61, v0, v0
	v_pk_max_f16 v62, v16, v16
	;; [unrolled: 1-line block ×4, first 2 shown]
	v_add_co_u32 v20, vcc_lo, v22, v20
	s_delay_alu instid0(VALU_DEP_4) | instskip(SKIP_1) | instid1(VALU_DEP_4)
	v_pk_min_f16 v61, v62, v61
	v_add_co_ci_u32_e32 v21, vcc_lo, v23, v21, vcc_lo
	v_pk_min_f16 v62, v64, v63
	s_delay_alu instid0(VALU_DEP_3) | instskip(NEXT) | instid1(VALU_DEP_1)
	v_pk_add_f16 v58, v58, v61
	v_pk_add_f16 v58, v58, v62
	s_delay_alu instid0(VALU_DEP_1) | instskip(NEXT) | instid1(VALU_DEP_1)
	v_lshrrev_b32_e32 v61, 16, v58
	v_add_f16_e32 v58, v58, v61
	s_delay_alu instid0(VALU_DEP_1) | instskip(SKIP_3) | instid1(SALU_CYCLE_1)
	v_add_f16_e32 v58, v58, v59
	global_store_b16 v[20:21], v58, off
	s_or_b32 exec_lo, exec_lo, s15
	s_and_b32 s16, s1, s8
	s_and_saveexec_b32 s15, s16
	s_cbranch_execz .LBB240_116
.LBB240_126:
	v_cmp_ne_u32_e32 vcc_lo, 1, v60
	v_lshlrev_b64 v[20:21], 1, v[26:27]
	s_cbranch_vccnz .LBB240_128
; %bb.127:
	s_delay_alu instid0(VALU_DEP_1) | instskip(NEXT) | instid1(VALU_DEP_2)
	v_add_co_u32 v58, vcc_lo, v40, v20
	v_add_co_ci_u32_e32 v59, vcc_lo, v41, v21, vcc_lo
	flat_load_u16 v58, v[58:59]
	s_waitcnt vmcnt(0) lgkmcnt(0)
	v_mul_f16_e32 v58, v42, v58
	s_branch .LBB240_129
.LBB240_128:
	v_mov_b32_e32 v58, 0
.LBB240_129:
	v_pk_max_f16 v59, v0, v0
	v_pk_max_f16 v61, v18, v18
	;; [unrolled: 1-line block ×4, first 2 shown]
	v_add_co_u32 v20, vcc_lo, v22, v20
	s_delay_alu instid0(VALU_DEP_4) | instskip(SKIP_1) | instid1(VALU_DEP_4)
	v_pk_min_f16 v59, v61, v59
	v_add_co_ci_u32_e32 v21, vcc_lo, v23, v21, vcc_lo
	v_pk_min_f16 v61, v63, v62
	s_delay_alu instid0(VALU_DEP_3) | instskip(NEXT) | instid1(VALU_DEP_1)
	v_pk_add_f16 v57, v57, v59
	v_pk_add_f16 v57, v57, v61
	s_delay_alu instid0(VALU_DEP_1) | instskip(NEXT) | instid1(VALU_DEP_1)
	v_lshrrev_b32_e32 v59, 16, v57
	v_add_f16_e32 v57, v57, v59
	s_delay_alu instid0(VALU_DEP_1) | instskip(SKIP_3) | instid1(SALU_CYCLE_1)
	v_add_f16_e32 v57, v57, v58
	global_store_b16 v[20:21], v57, off
	s_or_b32 exec_lo, exec_lo, s15
	s_and_b32 s16, s2, s8
	s_and_saveexec_b32 s15, s16
	s_cbranch_execz .LBB240_117
.LBB240_130:
	v_cmp_ne_u32_e32 vcc_lo, 1, v60
	v_lshlrev_b64 v[20:21], 1, v[28:29]
	s_cbranch_vccnz .LBB240_132
; %bb.131:
	s_delay_alu instid0(VALU_DEP_1) | instskip(NEXT) | instid1(VALU_DEP_2)
	v_add_co_u32 v57, vcc_lo, v40, v20
	v_add_co_ci_u32_e32 v58, vcc_lo, v41, v21, vcc_lo
	flat_load_u16 v57, v[57:58]
	s_waitcnt vmcnt(0) lgkmcnt(0)
	v_mul_f16_e32 v57, v42, v57
	s_branch .LBB240_133
.LBB240_132:
	v_mov_b32_e32 v57, 0
.LBB240_133:
	v_pk_max_f16 v58, v0, v0
	v_pk_max_f16 v59, v12, v12
	;; [unrolled: 1-line block ×4, first 2 shown]
	v_add_co_u32 v20, vcc_lo, v22, v20
	s_delay_alu instid0(VALU_DEP_4) | instskip(SKIP_1) | instid1(VALU_DEP_4)
	v_pk_min_f16 v58, v59, v58
	v_add_co_ci_u32_e32 v21, vcc_lo, v23, v21, vcc_lo
	v_pk_min_f16 v59, v62, v61
	s_delay_alu instid0(VALU_DEP_3) | instskip(NEXT) | instid1(VALU_DEP_1)
	v_pk_add_f16 v56, v56, v58
	v_pk_add_f16 v56, v56, v59
	s_delay_alu instid0(VALU_DEP_1) | instskip(NEXT) | instid1(VALU_DEP_1)
	v_lshrrev_b32_e32 v58, 16, v56
	v_add_f16_e32 v56, v56, v58
	s_delay_alu instid0(VALU_DEP_1) | instskip(SKIP_3) | instid1(SALU_CYCLE_1)
	v_add_f16_e32 v56, v56, v57
	global_store_b16 v[20:21], v56, off
	s_or_b32 exec_lo, exec_lo, s15
	s_and_b32 s16, s3, s8
	s_and_saveexec_b32 s15, s16
	s_cbranch_execz .LBB240_118
.LBB240_134:
	v_cmp_ne_u32_e32 vcc_lo, 1, v60
	v_lshlrev_b64 v[20:21], 1, v[30:31]
	s_cbranch_vccnz .LBB240_136
; %bb.135:
	s_delay_alu instid0(VALU_DEP_1) | instskip(NEXT) | instid1(VALU_DEP_2)
	v_add_co_u32 v56, vcc_lo, v40, v20
	v_add_co_ci_u32_e32 v57, vcc_lo, v41, v21, vcc_lo
	flat_load_u16 v56, v[56:57]
	s_waitcnt vmcnt(0) lgkmcnt(0)
	v_mul_f16_e32 v56, v42, v56
	s_branch .LBB240_137
.LBB240_136:
	v_mov_b32_e32 v56, 0
.LBB240_137:
	v_pk_max_f16 v57, v0, v0
	v_pk_max_f16 v58, v14, v14
	v_pk_max_f16 v59, v1, v1
	v_pk_max_f16 v61, v15, v15
	v_add_co_u32 v20, vcc_lo, v22, v20
	s_delay_alu instid0(VALU_DEP_4) | instskip(SKIP_1) | instid1(VALU_DEP_4)
	v_pk_min_f16 v57, v58, v57
	v_add_co_ci_u32_e32 v21, vcc_lo, v23, v21, vcc_lo
	v_pk_min_f16 v58, v61, v59
	s_delay_alu instid0(VALU_DEP_3) | instskip(NEXT) | instid1(VALU_DEP_1)
	v_pk_add_f16 v55, v55, v57
	v_pk_add_f16 v55, v55, v58
	s_delay_alu instid0(VALU_DEP_1) | instskip(NEXT) | instid1(VALU_DEP_1)
	v_lshrrev_b32_e32 v57, 16, v55
	v_add_f16_e32 v55, v55, v57
	s_delay_alu instid0(VALU_DEP_1) | instskip(SKIP_3) | instid1(SALU_CYCLE_1)
	v_add_f16_e32 v55, v55, v56
	global_store_b16 v[20:21], v55, off
	s_or_b32 exec_lo, exec_lo, s15
	s_and_b32 s16, s4, s8
	s_and_saveexec_b32 s15, s16
	s_cbranch_execz .LBB240_119
.LBB240_138:
	v_cmp_ne_u32_e32 vcc_lo, 1, v60
	v_lshlrev_b64 v[20:21], 1, v[32:33]
	s_cbranch_vccnz .LBB240_140
; %bb.139:
	s_delay_alu instid0(VALU_DEP_1) | instskip(NEXT) | instid1(VALU_DEP_2)
	v_add_co_u32 v55, vcc_lo, v40, v20
	v_add_co_ci_u32_e32 v56, vcc_lo, v41, v21, vcc_lo
	flat_load_u16 v55, v[55:56]
	s_waitcnt vmcnt(0) lgkmcnt(0)
	v_mul_f16_e32 v55, v42, v55
	s_branch .LBB240_141
.LBB240_140:
	v_mov_b32_e32 v55, 0
.LBB240_141:
	v_pk_max_f16 v56, v0, v0
	v_pk_max_f16 v57, v8, v8
	;; [unrolled: 1-line block ×4, first 2 shown]
	v_add_co_u32 v20, vcc_lo, v22, v20
	s_delay_alu instid0(VALU_DEP_4) | instskip(SKIP_1) | instid1(VALU_DEP_4)
	v_pk_min_f16 v56, v57, v56
	v_add_co_ci_u32_e32 v21, vcc_lo, v23, v21, vcc_lo
	v_pk_min_f16 v57, v59, v58
	s_delay_alu instid0(VALU_DEP_3) | instskip(NEXT) | instid1(VALU_DEP_1)
	v_pk_add_f16 v54, v54, v56
	v_pk_add_f16 v54, v54, v57
	s_delay_alu instid0(VALU_DEP_1) | instskip(NEXT) | instid1(VALU_DEP_1)
	v_lshrrev_b32_e32 v56, 16, v54
	v_add_f16_e32 v54, v54, v56
	s_delay_alu instid0(VALU_DEP_1) | instskip(SKIP_3) | instid1(SALU_CYCLE_1)
	v_add_f16_e32 v54, v54, v55
	global_store_b16 v[20:21], v54, off
	s_or_b32 exec_lo, exec_lo, s15
	s_and_b32 s16, s5, s8
	s_and_saveexec_b32 s15, s16
	s_cbranch_execz .LBB240_120
.LBB240_142:
	v_cmp_ne_u32_e32 vcc_lo, 1, v60
	v_lshlrev_b64 v[20:21], 1, v[34:35]
	s_cbranch_vccnz .LBB240_144
; %bb.143:
	s_delay_alu instid0(VALU_DEP_1) | instskip(NEXT) | instid1(VALU_DEP_2)
	v_add_co_u32 v54, vcc_lo, v40, v20
	v_add_co_ci_u32_e32 v55, vcc_lo, v41, v21, vcc_lo
	flat_load_u16 v54, v[54:55]
	s_waitcnt vmcnt(0) lgkmcnt(0)
	v_mul_f16_e32 v54, v42, v54
	s_branch .LBB240_145
.LBB240_144:
	v_mov_b32_e32 v54, 0
.LBB240_145:
	v_pk_max_f16 v55, v0, v0
	v_pk_max_f16 v56, v10, v10
	;; [unrolled: 1-line block ×4, first 2 shown]
	v_add_co_u32 v20, vcc_lo, v22, v20
	s_delay_alu instid0(VALU_DEP_4) | instskip(SKIP_1) | instid1(VALU_DEP_4)
	v_pk_min_f16 v55, v56, v55
	v_add_co_ci_u32_e32 v21, vcc_lo, v23, v21, vcc_lo
	v_pk_min_f16 v56, v58, v57
	s_delay_alu instid0(VALU_DEP_3) | instskip(NEXT) | instid1(VALU_DEP_1)
	v_pk_add_f16 v53, v53, v55
	v_pk_add_f16 v53, v53, v56
	s_delay_alu instid0(VALU_DEP_1) | instskip(NEXT) | instid1(VALU_DEP_1)
	v_lshrrev_b32_e32 v55, 16, v53
	v_add_f16_e32 v53, v53, v55
	s_delay_alu instid0(VALU_DEP_1) | instskip(SKIP_3) | instid1(SALU_CYCLE_1)
	v_add_f16_e32 v53, v53, v54
	global_store_b16 v[20:21], v53, off
	s_or_b32 exec_lo, exec_lo, s15
	s_and_b32 s16, s6, s8
	s_and_saveexec_b32 s15, s16
	s_cbranch_execz .LBB240_121
.LBB240_146:
	v_cmp_ne_u32_e32 vcc_lo, 1, v60
	v_lshlrev_b64 v[20:21], 1, v[36:37]
	s_cbranch_vccnz .LBB240_148
; %bb.147:
	s_delay_alu instid0(VALU_DEP_1) | instskip(NEXT) | instid1(VALU_DEP_2)
	v_add_co_u32 v53, vcc_lo, v40, v20
	v_add_co_ci_u32_e32 v54, vcc_lo, v41, v21, vcc_lo
	flat_load_u16 v53, v[53:54]
	s_waitcnt vmcnt(0) lgkmcnt(0)
	v_mul_f16_e32 v53, v42, v53
	s_branch .LBB240_149
.LBB240_148:
	v_mov_b32_e32 v53, 0
.LBB240_149:
	v_pk_max_f16 v54, v0, v0
	v_pk_max_f16 v55, v4, v4
	;; [unrolled: 1-line block ×4, first 2 shown]
	v_add_co_u32 v20, vcc_lo, v22, v20
	s_delay_alu instid0(VALU_DEP_4) | instskip(SKIP_1) | instid1(VALU_DEP_4)
	v_pk_min_f16 v54, v55, v54
	v_add_co_ci_u32_e32 v21, vcc_lo, v23, v21, vcc_lo
	v_pk_min_f16 v55, v57, v56
	s_delay_alu instid0(VALU_DEP_3) | instskip(NEXT) | instid1(VALU_DEP_1)
	v_pk_add_f16 v52, v52, v54
	v_pk_add_f16 v52, v52, v55
	s_delay_alu instid0(VALU_DEP_1) | instskip(NEXT) | instid1(VALU_DEP_1)
	v_lshrrev_b32_e32 v54, 16, v52
	v_add_f16_e32 v52, v52, v54
	s_delay_alu instid0(VALU_DEP_1) | instskip(SKIP_3) | instid1(SALU_CYCLE_1)
	v_add_f16_e32 v52, v52, v53
	global_store_b16 v[20:21], v52, off
	s_or_b32 exec_lo, exec_lo, s15
	s_and_b32 s15, s7, s8
	s_and_saveexec_b32 s8, s15
	s_cbranch_execz .LBB240_154
.LBB240_150:
	v_cmp_ne_u32_e32 vcc_lo, 1, v60
	v_lshlrev_b64 v[20:21], 1, v[38:39]
	s_cbranch_vccnz .LBB240_152
; %bb.151:
	s_delay_alu instid0(VALU_DEP_1) | instskip(NEXT) | instid1(VALU_DEP_2)
	v_add_co_u32 v40, vcc_lo, v40, v20
	v_add_co_ci_u32_e32 v41, vcc_lo, v41, v21, vcc_lo
	flat_load_u16 v40, v[40:41]
	s_waitcnt vmcnt(0) lgkmcnt(0)
	v_mul_f16_e32 v40, v42, v40
	s_branch .LBB240_153
.LBB240_152:
	v_mov_b32_e32 v40, 0
.LBB240_153:
	v_pk_max_f16 v0, v0, v0
	v_pk_max_f16 v41, v6, v6
	;; [unrolled: 1-line block ×4, first 2 shown]
	s_delay_alu instid0(VALU_DEP_3) | instskip(NEXT) | instid1(VALU_DEP_2)
	v_pk_min_f16 v0, v41, v0
	v_pk_min_f16 v1, v52, v1
	s_delay_alu instid0(VALU_DEP_2) | instskip(NEXT) | instid1(VALU_DEP_1)
	v_pk_add_f16 v0, v51, v0
	v_pk_add_f16 v0, v0, v1
	s_delay_alu instid0(VALU_DEP_1) | instskip(NEXT) | instid1(VALU_DEP_1)
	v_lshrrev_b32_e32 v1, 16, v0
	v_add_f16_e32 v0, v0, v1
	s_delay_alu instid0(VALU_DEP_1)
	v_add_f16_e32 v40, v0, v40
	v_add_co_u32 v0, vcc_lo, v22, v20
	v_add_co_ci_u32_e32 v1, vcc_lo, v23, v21, vcc_lo
	global_store_b16 v[0:1], v40, off
.LBB240_154:
	s_or_b32 exec_lo, exec_lo, s8
	v_add_nc_u32_e32 v22, 0x60, v67
	s_delay_alu instid0(VALU_DEP_1) | instskip(SKIP_2) | instid1(VALU_DEP_3)
	v_mad_i64_i32 v[0:1], null, v22, s13, 0
	v_mad_i64_i32 v[20:21], null, v22, s12, 0
	v_cmp_gt_i32_e64 s8, s17, v22
	v_lshlrev_b64 v[0:1], 1, v[0:1]
	s_delay_alu instid0(VALU_DEP_3) | instskip(NEXT) | instid1(VALU_DEP_2)
	v_lshlrev_b64 v[20:21], 1, v[20:21]
	v_add_co_u32 v22, vcc_lo, s10, v0
	s_delay_alu instid0(VALU_DEP_3) | instskip(NEXT) | instid1(VALU_DEP_3)
	v_add_co_ci_u32_e32 v23, vcc_lo, s11, v1, vcc_lo
	v_add_co_u32 v20, vcc_lo, s9, v20
	s_delay_alu instid0(VALU_DEP_4) | instskip(SKIP_1) | instid1(SALU_CYCLE_1)
	v_add_co_ci_u32_e32 v21, vcc_lo, s14, v21, vcc_lo
	s_and_b32 s9, s0, s8
	s_and_saveexec_b32 s0, s9
	s_cbranch_execnz .LBB240_163
; %bb.155:
	s_or_b32 exec_lo, exec_lo, s0
	s_and_b32 s1, s1, s8
	s_delay_alu instid0(SALU_CYCLE_1)
	s_and_saveexec_b32 s0, s1
	s_cbranch_execnz .LBB240_167
.LBB240_156:
	s_or_b32 exec_lo, exec_lo, s0
	s_and_b32 s1, s2, s8
	s_delay_alu instid0(SALU_CYCLE_1)
	s_and_saveexec_b32 s0, s1
	s_cbranch_execnz .LBB240_171
.LBB240_157:
	s_or_b32 exec_lo, exec_lo, s0
	s_and_b32 s1, s3, s8
	s_delay_alu instid0(SALU_CYCLE_1)
	s_and_saveexec_b32 s0, s1
	s_cbranch_execnz .LBB240_175
.LBB240_158:
	s_or_b32 exec_lo, exec_lo, s0
	s_and_b32 s1, s4, s8
	s_delay_alu instid0(SALU_CYCLE_1)
	s_and_saveexec_b32 s0, s1
	s_cbranch_execnz .LBB240_179
.LBB240_159:
	s_or_b32 exec_lo, exec_lo, s0
	s_and_b32 s1, s5, s8
	s_delay_alu instid0(SALU_CYCLE_1)
	s_and_saveexec_b32 s0, s1
	s_cbranch_execnz .LBB240_183
.LBB240_160:
	s_or_b32 exec_lo, exec_lo, s0
	s_and_b32 s1, s6, s8
	s_delay_alu instid0(SALU_CYCLE_1)
	s_and_saveexec_b32 s0, s1
	s_cbranch_execnz .LBB240_187
.LBB240_161:
	s_or_b32 exec_lo, exec_lo, s0
	s_and_b32 s0, s7, s8
	s_delay_alu instid0(SALU_CYCLE_1)
	s_and_saveexec_b32 s1, s0
	s_cbranch_execnz .LBB240_191
.LBB240_162:
	s_nop 0
	s_sendmsg sendmsg(MSG_DEALLOC_VGPRS)
	s_endpgm
.LBB240_163:
	v_cmp_ne_u32_e32 vcc_lo, 1, v60
	v_lshlrev_b64 v[0:1], 1, v[24:25]
	s_cbranch_vccnz .LBB240_165
; %bb.164:
	s_delay_alu instid0(VALU_DEP_1) | instskip(NEXT) | instid1(VALU_DEP_2)
	v_add_co_u32 v24, vcc_lo, v22, v0
	v_add_co_ci_u32_e32 v25, vcc_lo, v23, v1, vcc_lo
	flat_load_u16 v24, v[24:25]
	s_waitcnt vmcnt(0) lgkmcnt(0)
	v_mul_f16_e32 v24, v42, v24
	s_branch .LBB240_166
.LBB240_165:
	v_mov_b32_e32 v24, 0
.LBB240_166:
	v_pk_max_f16 v25, v2, v2
	v_pk_max_f16 v16, v16, v16
	;; [unrolled: 1-line block ×4, first 2 shown]
	v_add_co_u32 v0, vcc_lo, v20, v0
	s_delay_alu instid0(VALU_DEP_4) | instskip(SKIP_1) | instid1(VALU_DEP_4)
	v_pk_min_f16 v16, v16, v25
	v_add_co_ci_u32_e32 v1, vcc_lo, v21, v1, vcc_lo
	v_pk_min_f16 v17, v17, v40
	s_delay_alu instid0(VALU_DEP_3) | instskip(NEXT) | instid1(VALU_DEP_1)
	v_pk_add_f16 v16, v50, v16
	v_pk_add_f16 v16, v16, v17
	s_delay_alu instid0(VALU_DEP_1) | instskip(NEXT) | instid1(VALU_DEP_1)
	v_lshrrev_b32_e32 v17, 16, v16
	v_add_f16_e32 v16, v16, v17
	s_delay_alu instid0(VALU_DEP_1) | instskip(SKIP_3) | instid1(SALU_CYCLE_1)
	v_add_f16_e32 v16, v16, v24
	global_store_b16 v[0:1], v16, off
	s_or_b32 exec_lo, exec_lo, s0
	s_and_b32 s1, s1, s8
	s_and_saveexec_b32 s0, s1
	s_cbranch_execz .LBB240_156
.LBB240_167:
	v_cmp_ne_u32_e32 vcc_lo, 1, v60
	v_lshlrev_b64 v[0:1], 1, v[26:27]
	s_cbranch_vccnz .LBB240_169
; %bb.168:
	s_delay_alu instid0(VALU_DEP_1) | instskip(NEXT) | instid1(VALU_DEP_2)
	v_add_co_u32 v16, vcc_lo, v22, v0
	v_add_co_ci_u32_e32 v17, vcc_lo, v23, v1, vcc_lo
	flat_load_u16 v16, v[16:17]
	s_waitcnt vmcnt(0) lgkmcnt(0)
	v_mul_f16_e32 v16, v42, v16
	s_branch .LBB240_170
.LBB240_169:
	v_mov_b32_e32 v16, 0
.LBB240_170:
	v_pk_max_f16 v17, v2, v2
	v_pk_max_f16 v18, v18, v18
	;; [unrolled: 1-line block ×4, first 2 shown]
	v_add_co_u32 v0, vcc_lo, v20, v0
	s_delay_alu instid0(VALU_DEP_4) | instskip(SKIP_1) | instid1(VALU_DEP_4)
	v_pk_min_f16 v17, v18, v17
	v_add_co_ci_u32_e32 v1, vcc_lo, v21, v1, vcc_lo
	v_pk_min_f16 v18, v19, v24
	s_delay_alu instid0(VALU_DEP_3) | instskip(NEXT) | instid1(VALU_DEP_1)
	v_pk_add_f16 v17, v49, v17
	v_pk_add_f16 v17, v17, v18
	s_delay_alu instid0(VALU_DEP_1) | instskip(NEXT) | instid1(VALU_DEP_1)
	v_lshrrev_b32_e32 v18, 16, v17
	v_add_f16_e32 v17, v17, v18
	s_delay_alu instid0(VALU_DEP_1) | instskip(SKIP_3) | instid1(SALU_CYCLE_1)
	v_add_f16_e32 v16, v17, v16
	global_store_b16 v[0:1], v16, off
	s_or_b32 exec_lo, exec_lo, s0
	s_and_b32 s1, s2, s8
	s_and_saveexec_b32 s0, s1
	s_cbranch_execz .LBB240_157
.LBB240_171:
	v_cmp_ne_u32_e32 vcc_lo, 1, v60
	v_lshlrev_b64 v[0:1], 1, v[28:29]
	s_cbranch_vccnz .LBB240_173
; %bb.172:
	s_delay_alu instid0(VALU_DEP_1) | instskip(NEXT) | instid1(VALU_DEP_2)
	v_add_co_u32 v16, vcc_lo, v22, v0
	v_add_co_ci_u32_e32 v17, vcc_lo, v23, v1, vcc_lo
	flat_load_u16 v16, v[16:17]
	s_waitcnt vmcnt(0) lgkmcnt(0)
	v_mul_f16_e32 v16, v42, v16
	s_branch .LBB240_174
.LBB240_173:
	v_mov_b32_e32 v16, 0
.LBB240_174:
	v_pk_max_f16 v17, v2, v2
	v_pk_max_f16 v12, v12, v12
	;; [unrolled: 1-line block ×4, first 2 shown]
	v_add_co_u32 v0, vcc_lo, v20, v0
	s_delay_alu instid0(VALU_DEP_4) | instskip(SKIP_1) | instid1(VALU_DEP_4)
	v_pk_min_f16 v12, v12, v17
	v_add_co_ci_u32_e32 v1, vcc_lo, v21, v1, vcc_lo
	v_pk_min_f16 v13, v13, v18
	s_delay_alu instid0(VALU_DEP_3) | instskip(NEXT) | instid1(VALU_DEP_1)
	v_pk_add_f16 v12, v48, v12
	v_pk_add_f16 v12, v12, v13
	s_delay_alu instid0(VALU_DEP_1) | instskip(NEXT) | instid1(VALU_DEP_1)
	v_lshrrev_b32_e32 v13, 16, v12
	v_add_f16_e32 v12, v12, v13
	s_delay_alu instid0(VALU_DEP_1) | instskip(SKIP_3) | instid1(SALU_CYCLE_1)
	v_add_f16_e32 v12, v12, v16
	global_store_b16 v[0:1], v12, off
	s_or_b32 exec_lo, exec_lo, s0
	s_and_b32 s1, s3, s8
	s_and_saveexec_b32 s0, s1
	s_cbranch_execz .LBB240_158
.LBB240_175:
	v_cmp_ne_u32_e32 vcc_lo, 1, v60
	v_lshlrev_b64 v[0:1], 1, v[30:31]
	s_cbranch_vccnz .LBB240_177
; %bb.176:
	s_delay_alu instid0(VALU_DEP_1) | instskip(NEXT) | instid1(VALU_DEP_2)
	v_add_co_u32 v12, vcc_lo, v22, v0
	v_add_co_ci_u32_e32 v13, vcc_lo, v23, v1, vcc_lo
	flat_load_u16 v12, v[12:13]
	s_waitcnt vmcnt(0) lgkmcnt(0)
	v_mul_f16_e32 v12, v42, v12
	s_branch .LBB240_178
.LBB240_177:
	v_mov_b32_e32 v12, 0
.LBB240_178:
	v_pk_max_f16 v13, v2, v2
	v_pk_max_f16 v14, v14, v14
	;; [unrolled: 1-line block ×4, first 2 shown]
	v_add_co_u32 v0, vcc_lo, v20, v0
	s_delay_alu instid0(VALU_DEP_4) | instskip(SKIP_1) | instid1(VALU_DEP_4)
	v_pk_min_f16 v13, v14, v13
	v_add_co_ci_u32_e32 v1, vcc_lo, v21, v1, vcc_lo
	v_pk_min_f16 v14, v15, v16
	s_delay_alu instid0(VALU_DEP_3) | instskip(NEXT) | instid1(VALU_DEP_1)
	v_pk_add_f16 v13, v47, v13
	v_pk_add_f16 v13, v13, v14
	s_delay_alu instid0(VALU_DEP_1) | instskip(NEXT) | instid1(VALU_DEP_1)
	v_lshrrev_b32_e32 v14, 16, v13
	v_add_f16_e32 v13, v13, v14
	s_delay_alu instid0(VALU_DEP_1) | instskip(SKIP_3) | instid1(SALU_CYCLE_1)
	v_add_f16_e32 v12, v13, v12
	global_store_b16 v[0:1], v12, off
	s_or_b32 exec_lo, exec_lo, s0
	s_and_b32 s1, s4, s8
	s_and_saveexec_b32 s0, s1
	s_cbranch_execz .LBB240_159
.LBB240_179:
	v_cmp_ne_u32_e32 vcc_lo, 1, v60
	v_lshlrev_b64 v[0:1], 1, v[32:33]
	s_cbranch_vccnz .LBB240_181
; %bb.180:
	s_delay_alu instid0(VALU_DEP_1) | instskip(NEXT) | instid1(VALU_DEP_2)
	v_add_co_u32 v12, vcc_lo, v22, v0
	v_add_co_ci_u32_e32 v13, vcc_lo, v23, v1, vcc_lo
	flat_load_u16 v12, v[12:13]
	s_waitcnt vmcnt(0) lgkmcnt(0)
	v_mul_f16_e32 v12, v42, v12
	s_branch .LBB240_182
.LBB240_181:
	v_mov_b32_e32 v12, 0
.LBB240_182:
	v_pk_max_f16 v13, v2, v2
	v_pk_max_f16 v8, v8, v8
	;; [unrolled: 1-line block ×4, first 2 shown]
	v_add_co_u32 v0, vcc_lo, v20, v0
	s_delay_alu instid0(VALU_DEP_4) | instskip(SKIP_1) | instid1(VALU_DEP_4)
	v_pk_min_f16 v8, v8, v13
	v_add_co_ci_u32_e32 v1, vcc_lo, v21, v1, vcc_lo
	v_pk_min_f16 v9, v9, v14
	s_delay_alu instid0(VALU_DEP_3) | instskip(NEXT) | instid1(VALU_DEP_1)
	v_pk_add_f16 v8, v46, v8
	v_pk_add_f16 v8, v8, v9
	s_delay_alu instid0(VALU_DEP_1) | instskip(NEXT) | instid1(VALU_DEP_1)
	v_lshrrev_b32_e32 v9, 16, v8
	v_add_f16_e32 v8, v8, v9
	s_delay_alu instid0(VALU_DEP_1) | instskip(SKIP_3) | instid1(SALU_CYCLE_1)
	v_add_f16_e32 v8, v8, v12
	global_store_b16 v[0:1], v8, off
	s_or_b32 exec_lo, exec_lo, s0
	s_and_b32 s1, s5, s8
	s_and_saveexec_b32 s0, s1
	s_cbranch_execz .LBB240_160
.LBB240_183:
	v_cmp_ne_u32_e32 vcc_lo, 1, v60
	v_lshlrev_b64 v[0:1], 1, v[34:35]
	s_cbranch_vccnz .LBB240_185
; %bb.184:
	s_delay_alu instid0(VALU_DEP_1) | instskip(NEXT) | instid1(VALU_DEP_2)
	v_add_co_u32 v8, vcc_lo, v22, v0
	v_add_co_ci_u32_e32 v9, vcc_lo, v23, v1, vcc_lo
	flat_load_u16 v8, v[8:9]
	s_waitcnt vmcnt(0) lgkmcnt(0)
	v_mul_f16_e32 v8, v42, v8
	s_branch .LBB240_186
.LBB240_185:
	v_mov_b32_e32 v8, 0
.LBB240_186:
	v_pk_max_f16 v9, v2, v2
	v_pk_max_f16 v10, v10, v10
	;; [unrolled: 1-line block ×4, first 2 shown]
	v_add_co_u32 v0, vcc_lo, v20, v0
	s_delay_alu instid0(VALU_DEP_4) | instskip(SKIP_1) | instid1(VALU_DEP_4)
	v_pk_min_f16 v9, v10, v9
	v_add_co_ci_u32_e32 v1, vcc_lo, v21, v1, vcc_lo
	v_pk_min_f16 v10, v11, v12
	s_delay_alu instid0(VALU_DEP_3) | instskip(NEXT) | instid1(VALU_DEP_1)
	v_pk_add_f16 v9, v45, v9
	v_pk_add_f16 v9, v9, v10
	s_delay_alu instid0(VALU_DEP_1) | instskip(NEXT) | instid1(VALU_DEP_1)
	v_lshrrev_b32_e32 v10, 16, v9
	v_add_f16_e32 v9, v9, v10
	s_delay_alu instid0(VALU_DEP_1) | instskip(SKIP_3) | instid1(SALU_CYCLE_1)
	v_add_f16_e32 v8, v9, v8
	global_store_b16 v[0:1], v8, off
	s_or_b32 exec_lo, exec_lo, s0
	s_and_b32 s1, s6, s8
	s_and_saveexec_b32 s0, s1
	s_cbranch_execz .LBB240_161
.LBB240_187:
	v_cmp_ne_u32_e32 vcc_lo, 1, v60
	v_lshlrev_b64 v[0:1], 1, v[36:37]
	s_cbranch_vccnz .LBB240_189
; %bb.188:
	s_delay_alu instid0(VALU_DEP_1) | instskip(NEXT) | instid1(VALU_DEP_2)
	v_add_co_u32 v8, vcc_lo, v22, v0
	v_add_co_ci_u32_e32 v9, vcc_lo, v23, v1, vcc_lo
	flat_load_u16 v8, v[8:9]
	s_waitcnt vmcnt(0) lgkmcnt(0)
	v_mul_f16_e32 v8, v42, v8
	s_branch .LBB240_190
.LBB240_189:
	v_mov_b32_e32 v8, 0
.LBB240_190:
	v_pk_max_f16 v9, v2, v2
	v_pk_max_f16 v4, v4, v4
	v_pk_max_f16 v10, v3, v3
	v_pk_max_f16 v5, v5, v5
	v_add_co_u32 v0, vcc_lo, v20, v0
	s_delay_alu instid0(VALU_DEP_4) | instskip(SKIP_1) | instid1(VALU_DEP_4)
	v_pk_min_f16 v4, v4, v9
	v_add_co_ci_u32_e32 v1, vcc_lo, v21, v1, vcc_lo
	v_pk_min_f16 v5, v5, v10
	s_delay_alu instid0(VALU_DEP_3) | instskip(NEXT) | instid1(VALU_DEP_1)
	v_pk_add_f16 v4, v44, v4
	v_pk_add_f16 v4, v4, v5
	s_delay_alu instid0(VALU_DEP_1) | instskip(NEXT) | instid1(VALU_DEP_1)
	v_lshrrev_b32_e32 v5, 16, v4
	v_add_f16_e32 v4, v4, v5
	s_delay_alu instid0(VALU_DEP_1) | instskip(SKIP_3) | instid1(SALU_CYCLE_1)
	v_add_f16_e32 v4, v4, v8
	global_store_b16 v[0:1], v4, off
	s_or_b32 exec_lo, exec_lo, s0
	s_and_b32 s0, s7, s8
	s_and_saveexec_b32 s1, s0
	s_cbranch_execz .LBB240_162
.LBB240_191:
	v_cmp_ne_u32_e32 vcc_lo, 1, v60
	v_lshlrev_b64 v[0:1], 1, v[38:39]
	s_cbranch_vccnz .LBB240_193
; %bb.192:
	s_delay_alu instid0(VALU_DEP_1) | instskip(NEXT) | instid1(VALU_DEP_2)
	v_add_co_u32 v4, vcc_lo, v22, v0
	v_add_co_ci_u32_e32 v5, vcc_lo, v23, v1, vcc_lo
	flat_load_u16 v4, v[4:5]
	s_waitcnt vmcnt(0) lgkmcnt(0)
	v_mul_f16_e32 v4, v42, v4
	s_branch .LBB240_194
.LBB240_193:
	v_mov_b32_e32 v4, 0
.LBB240_194:
	v_pk_max_f16 v2, v2, v2
	v_pk_max_f16 v5, v6, v6
	;; [unrolled: 1-line block ×4, first 2 shown]
	v_add_co_u32 v0, vcc_lo, v20, v0
	s_delay_alu instid0(VALU_DEP_4) | instskip(SKIP_1) | instid1(VALU_DEP_4)
	v_pk_min_f16 v2, v5, v2
	v_add_co_ci_u32_e32 v1, vcc_lo, v21, v1, vcc_lo
	v_pk_min_f16 v3, v6, v3
	s_delay_alu instid0(VALU_DEP_3) | instskip(NEXT) | instid1(VALU_DEP_1)
	v_pk_add_f16 v2, v43, v2
	v_pk_add_f16 v2, v2, v3
	s_delay_alu instid0(VALU_DEP_1) | instskip(NEXT) | instid1(VALU_DEP_1)
	v_lshrrev_b32_e32 v3, 16, v2
	v_add_f16_e32 v2, v2, v3
	s_delay_alu instid0(VALU_DEP_1)
	v_add_f16_e32 v2, v2, v4
	global_store_b16 v[0:1], v2, off
	s_nop 0
	s_sendmsg sendmsg(MSG_DEALLOC_VGPRS)
	s_endpgm
	.section	.rodata,"a",@progbits
	.p2align	6, 0x0
	.amdhsa_kernel _ZN12_GLOBAL__N_120geam_min_plus_kernelIDF16_Dv2_DF16_S1_Li8ELi32ELi64ELi128ELi4ELi4ELi64ELi4ELi64ELc84ELc78ELb0ELb1ELb0EPKDF16_KS3_KPDF16_EEviiiT16_PT17_ilS9_ilS7_S9_ilPT18_ili26rocblas_geam_ex_operation_
		.amdhsa_group_segment_fixed_size 3072
		.amdhsa_private_segment_fixed_size 0
		.amdhsa_kernarg_size 136
		.amdhsa_user_sgpr_count 14
		.amdhsa_user_sgpr_dispatch_ptr 0
		.amdhsa_user_sgpr_queue_ptr 0
		.amdhsa_user_sgpr_kernarg_segment_ptr 1
		.amdhsa_user_sgpr_dispatch_id 0
		.amdhsa_user_sgpr_private_segment_size 0
		.amdhsa_wavefront_size32 1
		.amdhsa_uses_dynamic_stack 0
		.amdhsa_enable_private_segment 0
		.amdhsa_system_sgpr_workgroup_id_x 1
		.amdhsa_system_sgpr_workgroup_id_y 0
		.amdhsa_system_sgpr_workgroup_id_z 1
		.amdhsa_system_sgpr_workgroup_info 0
		.amdhsa_system_vgpr_workitem_id 1
		.amdhsa_next_free_vgpr 123
		.amdhsa_next_free_sgpr 27
		.amdhsa_reserve_vcc 1
		.amdhsa_float_round_mode_32 0
		.amdhsa_float_round_mode_16_64 0
		.amdhsa_float_denorm_mode_32 3
		.amdhsa_float_denorm_mode_16_64 3
		.amdhsa_dx10_clamp 1
		.amdhsa_ieee_mode 1
		.amdhsa_fp16_overflow 0
		.amdhsa_workgroup_processor_mode 1
		.amdhsa_memory_ordered 1
		.amdhsa_forward_progress 0
		.amdhsa_shared_vgpr_count 0
		.amdhsa_exception_fp_ieee_invalid_op 0
		.amdhsa_exception_fp_denorm_src 0
		.amdhsa_exception_fp_ieee_div_zero 0
		.amdhsa_exception_fp_ieee_overflow 0
		.amdhsa_exception_fp_ieee_underflow 0
		.amdhsa_exception_fp_ieee_inexact 0
		.amdhsa_exception_int_div_zero 0
	.end_amdhsa_kernel
	.section	.text._ZN12_GLOBAL__N_120geam_min_plus_kernelIDF16_Dv2_DF16_S1_Li8ELi32ELi64ELi128ELi4ELi4ELi64ELi4ELi64ELc84ELc78ELb0ELb1ELb0EPKDF16_KS3_KPDF16_EEviiiT16_PT17_ilS9_ilS7_S9_ilPT18_ili26rocblas_geam_ex_operation_,"axG",@progbits,_ZN12_GLOBAL__N_120geam_min_plus_kernelIDF16_Dv2_DF16_S1_Li8ELi32ELi64ELi128ELi4ELi4ELi64ELi4ELi64ELc84ELc78ELb0ELb1ELb0EPKDF16_KS3_KPDF16_EEviiiT16_PT17_ilS9_ilS7_S9_ilPT18_ili26rocblas_geam_ex_operation_,comdat
.Lfunc_end240:
	.size	_ZN12_GLOBAL__N_120geam_min_plus_kernelIDF16_Dv2_DF16_S1_Li8ELi32ELi64ELi128ELi4ELi4ELi64ELi4ELi64ELc84ELc78ELb0ELb1ELb0EPKDF16_KS3_KPDF16_EEviiiT16_PT17_ilS9_ilS7_S9_ilPT18_ili26rocblas_geam_ex_operation_, .Lfunc_end240-_ZN12_GLOBAL__N_120geam_min_plus_kernelIDF16_Dv2_DF16_S1_Li8ELi32ELi64ELi128ELi4ELi4ELi64ELi4ELi64ELc84ELc78ELb0ELb1ELb0EPKDF16_KS3_KPDF16_EEviiiT16_PT17_ilS9_ilS7_S9_ilPT18_ili26rocblas_geam_ex_operation_
                                        ; -- End function
	.section	.AMDGPU.csdata,"",@progbits
; Kernel info:
; codeLenInByte = 12992
; NumSgprs: 29
; NumVgprs: 123
; ScratchSize: 0
; MemoryBound: 0
; FloatMode: 240
; IeeeMode: 1
; LDSByteSize: 3072 bytes/workgroup (compile time only)
; SGPRBlocks: 3
; VGPRBlocks: 15
; NumSGPRsForWavesPerEU: 29
; NumVGPRsForWavesPerEU: 123
; Occupancy: 10
; WaveLimiterHint : 1
; COMPUTE_PGM_RSRC2:SCRATCH_EN: 0
; COMPUTE_PGM_RSRC2:USER_SGPR: 14
; COMPUTE_PGM_RSRC2:TRAP_HANDLER: 0
; COMPUTE_PGM_RSRC2:TGID_X_EN: 1
; COMPUTE_PGM_RSRC2:TGID_Y_EN: 0
; COMPUTE_PGM_RSRC2:TGID_Z_EN: 1
; COMPUTE_PGM_RSRC2:TIDIG_COMP_CNT: 1
	.section	.text._ZN12_GLOBAL__N_120geam_min_plus_kernelIDF16_Dv2_DF16_S1_Li8ELi32ELi64ELi128ELi4ELi4ELi64ELi4ELi64ELc84ELc78ELb1ELb1ELb0EDF16_KPKDF16_KPDF16_EEviiiT16_PT17_ilS9_ilS7_S9_ilPT18_ili26rocblas_geam_ex_operation_,"axG",@progbits,_ZN12_GLOBAL__N_120geam_min_plus_kernelIDF16_Dv2_DF16_S1_Li8ELi32ELi64ELi128ELi4ELi4ELi64ELi4ELi64ELc84ELc78ELb1ELb1ELb0EDF16_KPKDF16_KPDF16_EEviiiT16_PT17_ilS9_ilS7_S9_ilPT18_ili26rocblas_geam_ex_operation_,comdat
	.globl	_ZN12_GLOBAL__N_120geam_min_plus_kernelIDF16_Dv2_DF16_S1_Li8ELi32ELi64ELi128ELi4ELi4ELi64ELi4ELi64ELc84ELc78ELb1ELb1ELb0EDF16_KPKDF16_KPDF16_EEviiiT16_PT17_ilS9_ilS7_S9_ilPT18_ili26rocblas_geam_ex_operation_ ; -- Begin function _ZN12_GLOBAL__N_120geam_min_plus_kernelIDF16_Dv2_DF16_S1_Li8ELi32ELi64ELi128ELi4ELi4ELi64ELi4ELi64ELc84ELc78ELb1ELb1ELb0EDF16_KPKDF16_KPDF16_EEviiiT16_PT17_ilS9_ilS7_S9_ilPT18_ili26rocblas_geam_ex_operation_
	.p2align	8
	.type	_ZN12_GLOBAL__N_120geam_min_plus_kernelIDF16_Dv2_DF16_S1_Li8ELi32ELi64ELi128ELi4ELi4ELi64ELi4ELi64ELc84ELc78ELb1ELb1ELb0EDF16_KPKDF16_KPDF16_EEviiiT16_PT17_ilS9_ilS7_S9_ilPT18_ili26rocblas_geam_ex_operation_,@function
_ZN12_GLOBAL__N_120geam_min_plus_kernelIDF16_Dv2_DF16_S1_Li8ELi32ELi64ELi128ELi4ELi4ELi64ELi4ELi64ELc84ELc78ELb1ELb1ELb0EDF16_KPKDF16_KPDF16_EEviiiT16_PT17_ilS9_ilS7_S9_ilPT18_ili26rocblas_geam_ex_operation_: ; @_ZN12_GLOBAL__N_120geam_min_plus_kernelIDF16_Dv2_DF16_S1_Li8ELi32ELi64ELi128ELi4ELi4ELi64ELi4ELi64ELc84ELc78ELb1ELb1ELb0EDF16_KPKDF16_KPDF16_EEviiiT16_PT17_ilS9_ilS7_S9_ilPT18_ili26rocblas_geam_ex_operation_
; %bb.0:
	s_clause 0x1
	s_load_b128 s[16:19], s[0:1], 0x0
	s_load_b128 s[4:7], s[0:1], 0x20
	s_mov_b32 s2, s15
	s_mov_b32 s3, 0
	s_waitcnt lgkmcnt(0)
	v_cmp_eq_f16_e64 s10, s19, 0
	s_delay_alu instid0(VALU_DEP_1)
	s_and_b32 vcc_lo, exec_lo, s10
	s_cbranch_vccnz .LBB241_3
; %bb.1:
	s_load_b64 s[8:9], s[0:1], 0x10
	s_lshl_b64 s[12:13], s[2:3], 3
	s_waitcnt lgkmcnt(0)
	s_add_u32 s8, s8, s12
	s_addc_u32 s9, s9, s13
	s_lshl_b64 s[4:5], s[4:5], 1
	s_load_b64 s[8:9], s[8:9], 0x0
	s_waitcnt lgkmcnt(0)
	s_add_u32 s8, s8, s4
	s_addc_u32 s9, s9, s5
	s_and_not1_b32 vcc_lo, exec_lo, s10
	s_cbranch_vccnz .LBB241_4
.LBB241_2:
	s_mov_b64 s[12:13], 0
	s_and_not1_b32 vcc_lo, exec_lo, s3
	s_cbranch_vccz .LBB241_5
	s_branch .LBB241_6
.LBB241_3:
	s_mov_b64 s[8:9], 0
	s_and_not1_b32 vcc_lo, exec_lo, s10
	s_cbranch_vccz .LBB241_2
.LBB241_4:
	s_mov_b32 s3, -1
                                        ; implicit-def: $sgpr12_sgpr13
.LBB241_5:
	s_mov_b32 s3, 0
	s_load_b64 s[10:11], s[0:1], 0x38
	s_lshl_b64 s[4:5], s[2:3], 3
	s_delay_alu instid0(SALU_CYCLE_1) | instskip(SKIP_4) | instid1(SALU_CYCLE_1)
	s_add_u32 s4, s6, s4
	s_addc_u32 s5, s7, s5
	s_load_b64 s[4:5], s[4:5], 0x0
	s_waitcnt lgkmcnt(0)
	s_lshl_b64 s[6:7], s[10:11], 1
	s_add_u32 s12, s4, s6
	s_addc_u32 s13, s5, s7
.LBB241_6:
	s_clause 0x1
	s_load_b32 s15, s[0:1], 0x40
	s_load_b128 s[4:7], s[0:1], 0x58
	s_waitcnt lgkmcnt(0)
	v_cmp_eq_f16_e64 s10, s15, 0
	v_cmp_neq_f16_e64 s19, s15, 0
	s_delay_alu instid0(VALU_DEP_2)
	s_and_b32 vcc_lo, exec_lo, s10
	s_cbranch_vccnz .LBB241_8
; %bb.7:
	s_load_b64 s[10:11], s[0:1], 0x48
	s_lshl_b64 s[20:21], s[2:3], 3
	s_waitcnt lgkmcnt(0)
	s_add_u32 s10, s10, s20
	s_addc_u32 s11, s11, s21
	s_lshl_b64 s[4:5], s[4:5], 1
	s_load_b64 s[10:11], s[10:11], 0x0
	s_waitcnt lgkmcnt(0)
	s_add_u32 s10, s10, s4
	s_addc_u32 s11, s11, s5
	s_branch .LBB241_9
.LBB241_8:
	s_mov_b64 s[10:11], 0
.LBB241_9:
	s_lshl_b64 s[2:3], s[2:3], 3
	v_and_b32_e32 v26, 0x3ff, v0
	s_add_u32 s4, s6, s2
	s_addc_u32 s5, s7, s3
	s_add_i32 s2, s16, -1
	v_bfe_u32 v27, v0, 10, 10
	s_ashr_i32 s3, s2, 31
	s_load_b32 s23, s[0:1], 0x18
	s_lshr_b32 s3, s3, 26
	v_and_b32_e32 v24, 3, v26
	s_add_i32 s2, s2, s3
	v_lshl_add_u32 v0, v27, 3, v26
	s_ashr_i32 s2, s2, 6
	s_delay_alu instid0(SALU_CYCLE_1) | instskip(SKIP_4) | instid1(VALU_DEP_3)
	s_add_i32 s20, s2, 1
	s_not_b32 s2, s2
	v_cvt_f32_u32_e32 v1, s20
	v_lshrrev_b32_e32 v2, 2, v0
	v_lshlrev_b32_e32 v28, 1, v24
	v_rcp_iflag_f32_e32 v1, v1
	s_waitcnt_depctr 0xfff
	v_mul_f32_e32 v1, 0x4f7ffffe, v1
	s_delay_alu instid0(VALU_DEP_1) | instskip(NEXT) | instid1(VALU_DEP_1)
	v_cvt_u32_f32_e32 v1, v1
	v_readfirstlane_b32 s3, v1
                                        ; implicit-def: $vgpr0_vgpr1
	s_delay_alu instid0(VALU_DEP_1) | instskip(NEXT) | instid1(SALU_CYCLE_1)
	s_mul_i32 s2, s2, s3
	s_mul_hi_u32 s2, s3, s2
	s_delay_alu instid0(SALU_CYCLE_1) | instskip(NEXT) | instid1(SALU_CYCLE_1)
	s_add_i32 s3, s3, s2
	s_mul_hi_u32 s2, s14, s3
	s_delay_alu instid0(SALU_CYCLE_1) | instskip(SKIP_2) | instid1(SALU_CYCLE_1)
	s_mul_i32 s3, s2, s20
	s_add_i32 s6, s2, 1
	s_sub_i32 s3, s14, s3
	s_sub_i32 s7, s3, s20
	s_cmp_ge_u32 s3, s20
	s_cselect_b32 s2, s6, s2
	s_cselect_b32 s3, s7, s3
	s_add_i32 s6, s2, 1
	s_cmp_ge_u32 s3, s20
	s_cselect_b32 s3, s6, s2
	s_load_b64 s[6:7], s[4:5], 0x0
	s_mul_i32 s24, s3, s20
	v_cmp_le_i32_e64 s4, s18, v24
	s_sub_i32 s2, s14, s24
	s_delay_alu instid0(SALU_CYCLE_1) | instskip(NEXT) | instid1(SALU_CYCLE_1)
	s_lshl_b32 s20, s2, 6
	v_add_nc_u32_e32 v8, s20, v2
	s_delay_alu instid0(VALU_DEP_1) | instskip(SKIP_1) | instid1(SALU_CYCLE_1)
	v_cmp_le_i32_e32 vcc_lo, s16, v8
	s_or_b32 s2, s4, vcc_lo
	s_xor_b32 s2, s2, -1
	s_delay_alu instid0(SALU_CYCLE_1) | instskip(NEXT) | instid1(SALU_CYCLE_1)
	s_and_saveexec_b32 s5, s2
	s_xor_b32 s5, exec_lo, s5
	s_cbranch_execz .LBB241_11
; %bb.10:
	s_waitcnt lgkmcnt(0)
	v_mad_i64_i32 v[0:1], null, v8, s23, 0
	v_mov_b32_e32 v25, 0
	s_delay_alu instid0(VALU_DEP_2) | instskip(NEXT) | instid1(VALU_DEP_1)
	v_lshlrev_b64 v[0:1], 1, v[0:1]
	v_add_co_u32 v0, s2, s8, v0
	s_delay_alu instid0(VALU_DEP_1) | instskip(NEXT) | instid1(VALU_DEP_2)
	v_add_co_ci_u32_e64 v1, s2, s9, v1, s2
	v_add_co_u32 v3, s2, v0, v28
	s_delay_alu instid0(VALU_DEP_1)
	v_add_co_ci_u32_e64 v4, s2, 0, v1, s2
	v_dual_mov_b32 v0, v24 :: v_dual_mov_b32 v1, v25
	flat_load_u16 v25, v[3:4]
.LBB241_11:
	s_and_not1_saveexec_b32 s2, s5
	s_cbranch_execz .LBB241_13
; %bb.12:
	s_waitcnt vmcnt(0) lgkmcnt(0)
	v_mov_b32_e32 v25, 0
	s_delay_alu instid0(VALU_DEP_1)
	v_dual_mov_b32 v0, v24 :: v_dual_mov_b32 v1, v25
.LBB241_13:
	s_or_b32 exec_lo, exec_lo, s2
	s_load_b32 s25, s[0:1], 0x30
	s_lshl_b32 s21, s3, 7
	s_delay_alu instid0(VALU_DEP_1) | instskip(SKIP_2) | instid1(VALU_DEP_3)
	v_lshlrev_b64 v[0:1], 1, v[0:1]
	v_dual_mov_b32 v6, 0 :: v_dual_add_nc_u32 v3, s21, v2
	v_mov_b32_e32 v7, 0
	v_add_co_u32 v0, s3, s12, v0
	s_delay_alu instid0(VALU_DEP_3) | instskip(SKIP_1) | instid1(VALU_DEP_2)
	v_cmp_le_i32_e64 s2, s17, v3
	v_add_co_ci_u32_e64 v1, s3, s13, v1, s3
	s_or_b32 s3, s4, s2
	s_delay_alu instid0(SALU_CYCLE_1) | instskip(NEXT) | instid1(SALU_CYCLE_1)
	s_xor_b32 s3, s3, -1
	s_and_saveexec_b32 s5, s3
	s_cbranch_execz .LBB241_15
; %bb.14:
	s_waitcnt lgkmcnt(0)
	v_mad_i64_i32 v[4:5], null, v3, s25, 0
	s_delay_alu instid0(VALU_DEP_1) | instskip(NEXT) | instid1(VALU_DEP_1)
	v_lshlrev_b64 v[4:5], 1, v[4:5]
	v_add_co_u32 v4, s3, v0, v4
	s_delay_alu instid0(VALU_DEP_1)
	v_add_co_ci_u32_e64 v5, s3, v1, v5, s3
	flat_load_u16 v7, v[4:5]
.LBB241_15:
	s_or_b32 exec_lo, exec_lo, s5
	v_add_nc_u32_e32 v4, 64, v3
	s_delay_alu instid0(VALU_DEP_1) | instskip(NEXT) | instid1(VALU_DEP_1)
	v_cmp_le_i32_e64 s3, s17, v4
	s_or_b32 s4, s4, s3
	s_delay_alu instid0(SALU_CYCLE_1) | instskip(NEXT) | instid1(SALU_CYCLE_1)
	s_xor_b32 s4, s4, -1
	s_and_saveexec_b32 s5, s4
	s_cbranch_execz .LBB241_17
; %bb.16:
	s_waitcnt lgkmcnt(0)
	v_mad_i64_i32 v[5:6], null, v4, s25, 0
	s_delay_alu instid0(VALU_DEP_1) | instskip(NEXT) | instid1(VALU_DEP_1)
	v_lshlrev_b64 v[5:6], 1, v[5:6]
	v_add_co_u32 v0, s4, v0, v5
	s_delay_alu instid0(VALU_DEP_1)
	v_add_co_ci_u32_e64 v1, s4, v1, v6, s4
	flat_load_u16 v6, v[0:1]
.LBB241_17:
	s_or_b32 exec_lo, exec_lo, s5
	v_or_b32_e32 v0, 4, v24
                                        ; implicit-def: $vgpr5
	s_delay_alu instid0(VALU_DEP_1) | instskip(NEXT) | instid1(VALU_DEP_1)
	v_cmp_le_i32_e64 s4, s18, v0
	s_or_b32 s5, s4, vcc_lo
	s_delay_alu instid0(SALU_CYCLE_1) | instskip(NEXT) | instid1(SALU_CYCLE_1)
	s_xor_b32 s5, s5, -1
	s_and_saveexec_b32 s22, s5
	s_delay_alu instid0(SALU_CYCLE_1)
	s_xor_b32 s22, exec_lo, s22
	s_cbranch_execz .LBB241_19
; %bb.18:
	s_waitcnt lgkmcnt(0)
	v_mad_i64_i32 v[9:10], null, v8, s23, 0
	s_delay_alu instid0(VALU_DEP_1) | instskip(NEXT) | instid1(VALU_DEP_1)
	v_lshlrev_b64 v[8:9], 1, v[9:10]
	v_add_co_u32 v1, s5, s8, v8
	s_delay_alu instid0(VALU_DEP_1) | instskip(NEXT) | instid1(VALU_DEP_2)
	v_add_co_ci_u32_e64 v5, s5, s9, v9, s5
	v_add_co_u32 v8, s5, v1, v28
	s_delay_alu instid0(VALU_DEP_1)
	v_add_co_ci_u32_e64 v9, s5, 0, v5, s5
	v_mov_b32_e32 v1, 0
	flat_load_u16 v5, v[8:9] offset:8
.LBB241_19:
	s_and_not1_saveexec_b32 s5, s22
	s_cbranch_execz .LBB241_21
; %bb.20:
	v_mov_b32_e32 v1, 0
	s_waitcnt vmcnt(0) lgkmcnt(0)
	s_delay_alu instid0(VALU_DEP_1)
	v_mov_b32_e32 v5, v1
.LBB241_21:
	s_or_b32 exec_lo, exec_lo, s5
	v_lshlrev_b64 v[8:9], 1, v[0:1]
	v_dual_mov_b32 v0, 0 :: v_dual_mov_b32 v1, 0
	s_delay_alu instid0(VALU_DEP_2) | instskip(NEXT) | instid1(VALU_DEP_1)
	v_add_co_u32 v8, s5, s12, v8
	v_add_co_ci_u32_e64 v9, s5, s13, v9, s5
	s_or_b32 s5, s4, s2
	s_delay_alu instid0(SALU_CYCLE_1) | instskip(NEXT) | instid1(SALU_CYCLE_1)
	s_xor_b32 s5, s5, -1
	s_and_saveexec_b32 s22, s5
	s_cbranch_execz .LBB241_23
; %bb.22:
	s_waitcnt lgkmcnt(0)
	v_mad_i64_i32 v[10:11], null, v3, s25, 0
	s_delay_alu instid0(VALU_DEP_1) | instskip(NEXT) | instid1(VALU_DEP_1)
	v_lshlrev_b64 v[10:11], 1, v[10:11]
	v_add_co_u32 v10, s5, v8, v10
	s_delay_alu instid0(VALU_DEP_1)
	v_add_co_ci_u32_e64 v11, s5, v9, v11, s5
	flat_load_u16 v1, v[10:11]
.LBB241_23:
	s_or_b32 exec_lo, exec_lo, s22
	s_or_b32 s4, s4, s3
	s_delay_alu instid0(SALU_CYCLE_1) | instskip(NEXT) | instid1(SALU_CYCLE_1)
	s_xor_b32 s4, s4, -1
	s_and_saveexec_b32 s5, s4
	s_cbranch_execz .LBB241_25
; %bb.24:
	s_waitcnt lgkmcnt(0)
	v_mad_i64_i32 v[10:11], null, v4, s25, 0
	s_delay_alu instid0(VALU_DEP_1) | instskip(NEXT) | instid1(VALU_DEP_1)
	v_lshlrev_b64 v[10:11], 1, v[10:11]
	v_add_co_u32 v8, s4, v8, v10
	s_delay_alu instid0(VALU_DEP_1)
	v_add_co_ci_u32_e64 v9, s4, v9, v11, s4
	flat_load_u16 v0, v[8:9]
.LBB241_25:
	s_or_b32 exec_lo, exec_lo, s5
	v_lshlrev_b32_e32 v30, 3, v26
	v_lshl_or_b32 v31, v2, 3, v28
	v_lshlrev_b32_e32 v29, 3, v27
	s_mov_b32 s22, 0
	s_cmp_lt_i32 s18, 9
	v_add_nc_u32_e32 v22, 0x800, v30
	s_waitcnt vmcnt(0) lgkmcnt(0)
	ds_store_b16 v31, v7
	ds_store_b16 v31, v25 offset:2048
	ds_store_b16 v31, v6 offset:512
	s_waitcnt lgkmcnt(0)
	s_barrier
	buffer_gl0_inv
	ds_load_2addr_b64 v[6:9], v29 offset1:32
	ds_load_2addr_b64 v[10:13], v22 offset0:48 offset1:56
	ds_load_2addr_b64 v[14:17], v29 offset0:64 offset1:96
	ds_load_2addr_b64 v[18:21], v22 offset1:8
	ds_load_2addr_b64 v[33:36], v22 offset0:16 offset1:24
	ds_load_2addr_b64 v[37:40], v22 offset0:32 offset1:40
	ds_store_b16 v31, v1 offset:1024
	ds_store_b16 v31, v5 offset:2560
	;; [unrolled: 1-line block ×3, first 2 shown]
	s_waitcnt lgkmcnt(0)
	s_barrier
	buffer_gl0_inv
	v_pk_max_f16 v6, v6, v6
	v_pk_max_f16 v8, v8, v8
	;; [unrolled: 1-line block ×9, first 2 shown]
	v_pk_min_f16 v46, v33, v6
	v_pk_min_f16 v47, v33, v8
	v_pk_min_f16 v48, v33, v14
	v_pk_min_f16 v33, v33, v16
	v_pk_min_f16 v49, v35, v14
	v_pk_max_f16 v18, v18, v18
	v_pk_max_f16 v20, v20, v20
	v_pk_add_f16 v51, v48, 0
	v_pk_add_f16 v52, v33, 0
	v_pk_min_f16 v33, v35, v6
	v_pk_min_f16 v48, v35, v8
	;; [unrolled: 1-line block ×4, first 2 shown]
	v_pk_max_f16 v10, v10, v10
	v_pk_add_f16 v53, v33, 0
	v_pk_min_f16 v33, v37, v6
	v_pk_add_f16 v60, v35, 0
	v_pk_min_f16 v35, v37, v8
	v_pk_max_f16 v7, v7, v7
	v_pk_max_f16 v13, v13, v13
	v_pk_add_f16 v61, v33, 0
	v_pk_min_f16 v33, v37, v14
	v_pk_add_f16 v62, v35, 0
	v_pk_min_f16 v35, v39, v6
	v_pk_min_f16 v23, v12, v8
	;; [unrolled: 1-line block ×10, first 2 shown]
	v_pk_add_f16 v22, v22, 0
	v_pk_min_f16 v20, v20, v16
	v_pk_add_f16 v54, v48, 0
	v_pk_min_f16 v37, v37, v16
	v_pk_min_f16 v48, v39, v8
	v_pk_add_f16 v66, v33, 0
	v_pk_add_f16 v69, v35, 0
	v_pk_min_f16 v33, v39, v14
	v_pk_min_f16 v35, v39, v16
	;; [unrolled: 1-line block ×6, first 2 shown]
	v_pk_max_f16 v9, v9, v9
	v_pk_min_f16 v12, v12, v16
	v_pk_min_f16 v16, v13, v7
	v_pk_add_f16 v23, v23, 0
	v_pk_add_f16 v39, v33, 0
	v_pk_max_f16 v15, v15, v15
	v_pk_min_f16 v33, v13, v9
	v_pk_max_f16 v19, v19, v19
	v_pk_add_f16 v68, v22, v16
	v_pk_max_f16 v16, v17, v17
	v_pk_add_f16 v25, v25, 0
	v_pk_add_f16 v32, v32, 0
	;; [unrolled: 1-line block ×5, first 2 shown]
	v_pk_min_f16 v35, v13, v15
	v_pk_add_f16 v58, v23, v33
	v_pk_min_f16 v17, v19, v7
	v_pk_min_f16 v22, v19, v9
	;; [unrolled: 1-line block ×4, first 2 shown]
	v_pk_max_f16 v21, v21, v21
	v_pk_add_f16 v43, v43, 0
	v_pk_add_f16 v44, v44, 0
	;; [unrolled: 1-line block ×9, first 2 shown]
	v_pk_min_f16 v17, v21, v7
	v_pk_min_f16 v18, v21, v9
	;; [unrolled: 1-line block ×4, first 2 shown]
	v_pk_max_f16 v22, v34, v34
	v_pk_add_f16 v46, v46, 0
	v_pk_add_f16 v47, v47, 0
	;; [unrolled: 1-line block ×7, first 2 shown]
	v_pk_min_f16 v17, v22, v7
	v_pk_min_f16 v18, v22, v9
	;; [unrolled: 1-line block ×4, first 2 shown]
	v_pk_max_f16 v21, v36, v36
	v_pk_add_f16 v32, v46, v17
	v_pk_add_f16 v64, v47, v18
	;; [unrolled: 1-line block ×4, first 2 shown]
	v_pk_min_f16 v17, v21, v7
	v_pk_min_f16 v18, v21, v9
	;; [unrolled: 1-line block ×4, first 2 shown]
	v_pk_max_f16 v21, v38, v38
	v_pk_add_f16 v37, v37, 0
	v_pk_add_f16 v34, v53, v17
	;; [unrolled: 1-line block ×5, first 2 shown]
	v_pk_min_f16 v17, v21, v7
	v_pk_min_f16 v18, v21, v9
	;; [unrolled: 1-line block ×4, first 2 shown]
	v_pk_max_f16 v21, v40, v40
	v_pk_max_f16 v11, v11, v11
	v_pk_add_f16 v42, v42, 0
	v_pk_add_f16 v6, v6, 0
	;; [unrolled: 1-line block ×10, first 2 shown]
	v_pk_min_f16 v17, v21, v7
	v_pk_min_f16 v18, v21, v9
	;; [unrolled: 1-line block ×9, first 2 shown]
	v_pk_add_f16 v57, v42, v23
	v_pk_add_f16 v38, v69, v17
	;; [unrolled: 1-line block ×10, first 2 shown]
	s_cbranch_scc1 .LBB241_40
; %bb.26:
	v_lshl_add_u32 v0, s14, 6, v2
	s_lshl_b32 s4, s24, 6
	v_mad_i64_i32 v[5:6], null, s25, v3, 0
	v_add_nc_u32_e32 v25, 0x800, v31
	s_delay_alu instid0(VALU_DEP_3)
	v_subrev_nc_u32_e32 v2, s4, v0
	v_add_nc_u32_e32 v37, 0x800, v30
	v_add_nc_u32_e32 v39, 0xa00, v31
	;; [unrolled: 1-line block ×3, first 2 shown]
	v_lshl_add_u32 v59, v26, 3, 0xa00
	v_mad_i64_i32 v[0:1], null, s23, v2, 0
	v_mad_i64_i32 v[2:3], null, s25, v4, 0
	v_lshlrev_b64 v[4:5], 1, v[5:6]
	v_lshl_add_u32 v66, v27, 3, 0x400
	s_delay_alu instid0(VALU_DEP_4) | instskip(NEXT) | instid1(VALU_DEP_4)
	v_lshlrev_b64 v[0:1], 1, v[0:1]
	v_lshlrev_b64 v[2:3], 1, v[2:3]
	s_delay_alu instid0(VALU_DEP_2) | instskip(NEXT) | instid1(VALU_DEP_1)
	v_add_co_u32 v69, s4, s8, v0
	v_add_co_ci_u32_e64 v70, s4, s9, v1, s4
	v_add_co_u32 v71, s4, s12, v4
	s_delay_alu instid0(VALU_DEP_1) | instskip(SKIP_1) | instid1(VALU_DEP_1)
	v_add_co_ci_u32_e64 v72, s4, s13, v5, s4
	v_add_co_u32 v73, s4, s12, v2
	v_add_co_ci_u32_e64 v74, s4, s13, v3, s4
	s_add_i32 s8, s18, -8
	s_branch .LBB241_28
.LBB241_27:                             ;   in Loop: Header=BB241_28 Depth=1
	s_or_b32 exec_lo, exec_lo, s5
	v_pk_add_f16 v14, v35, v14
	v_pk_add_f16 v22, v49, v22
	;; [unrolled: 1-line block ×25, first 2 shown]
	ds_load_2addr_b64 v[42:45], v37 offset0:48 offset1:56
	ds_load_2addr_b64 v[32:35], v29 offset1:32
	v_pk_add_f16 v9, v47, v9
	ds_load_2addr_b64 v[46:49], v29 offset0:64 offset1:96
	v_pk_add_f16 v12, v58, v12
	v_pk_add_f16 v56, v53, v87
	v_pk_add_f16 v58, v61, v90
	v_pk_add_f16 v61, v52, v91
	v_pk_add_f16 v63, v51, v95
	v_pk_add_f16 v83, v50, v98
	ds_load_2addr_b64 v[50:53], v37 offset1:8
	v_pk_add_f16 v38, v38, v89
	v_pk_add_f16 v40, v40, v93
	;; [unrolled: 1-line block ×9, first 2 shown]
	s_waitcnt lgkmcnt(3)
	v_pk_max_f16 v38, v44, v44
	s_waitcnt lgkmcnt(2)
	v_pk_max_f16 v32, v32, v32
	v_pk_max_f16 v34, v34, v34
	s_waitcnt lgkmcnt(1)
	v_pk_max_f16 v40, v46, v46
	v_pk_add_f16 v16, v16, v106
	v_pk_add_f16 v68, v8, v111
	v_pk_add_f16 v82, v4, v97
	v_pk_add_f16 v84, v6, v103
	v_pk_add_f16 v56, v56, v3
	v_pk_add_f16 v57, v57, v5
	v_pk_add_f16 v44, v64, v1
	v_pk_add_f16 v46, v65, v7
	v_pk_min_f16 v5, v38, v32
	v_pk_min_f16 v6, v38, v34
	;; [unrolled: 1-line block ×3, first 2 shown]
	ds_load_2addr_b64 v[1:4], v37 offset0:16 offset1:24
	s_waitcnt lgkmcnt(1)
	v_pk_max_f16 v8, v50, v50
	v_pk_max_f16 v48, v48, v48
	v_pk_add_f16 v14, v14, v107
	v_pk_add_f16 v18, v18, v108
	v_pk_add_f16 v20, v20, v109
	v_pk_add_f16 v22, v22, v110
	v_pk_add_f16 v50, v67, v5
	v_pk_add_f16 v12, v12, v6
	v_pk_add_f16 v16, v16, v7
	v_pk_min_f16 v5, v8, v32
	v_pk_min_f16 v6, v8, v34
	;; [unrolled: 1-line block ×4, first 2 shown]
	v_pk_max_f16 v52, v52, v52
	v_pk_add_f16 v14, v14, v5
	v_pk_add_f16 v18, v18, v6
	;; [unrolled: 1-line block ×4, first 2 shown]
	ds_load_2addr_b64 v[5:8], v37 offset0:32 offset1:40
	v_pk_add_f16 v60, v60, v94
	v_pk_add_f16 v13, v58, v13
	v_pk_min_f16 v58, v52, v32
	s_waitcnt lgkmcnt(1)
	v_pk_max_f16 v1, v1, v1
	v_pk_add_f16 v10, v10, v116
	v_pk_add_f16 v17, v62, v17
	;; [unrolled: 1-line block ×4, first 2 shown]
	v_pk_min_f16 v60, v52, v34
	v_pk_add_f16 v62, v68, v58
	v_pk_min_f16 v58, v1, v32
	v_pk_min_f16 v63, v1, v34
	;; [unrolled: 1-line block ×4, first 2 shown]
	v_pk_max_f16 v3, v3, v3
	v_pk_add_f16 v55, v55, v100
	v_pk_add_f16 v60, v77, v60
	;; [unrolled: 1-line block ×6, first 2 shown]
	v_pk_min_f16 v9, v3, v32
	v_pk_min_f16 v58, v3, v34
	s_waitcnt lgkmcnt(0)
	v_pk_max_f16 v5, v5, v5
	v_pk_min_f16 v64, v3, v40
	v_pk_min_f16 v3, v3, v48
	v_pk_add_f16 v36, v36, v86
	v_pk_add_f16 v15, v61, v15
	v_pk_min_f16 v61, v52, v40
	v_pk_min_f16 v52, v52, v48
	v_pk_add_f16 v3, v55, v3
	v_pk_min_f16 v55, v5, v34
	v_pk_max_f16 v7, v7, v7
	v_pk_add_f16 v54, v54, v99
	v_pk_add_f16 v36, v36, v101
	;; [unrolled: 1-line block ×5, first 2 shown]
	v_pk_min_f16 v58, v5, v32
	v_pk_add_f16 v79, v84, v55
	v_pk_min_f16 v55, v7, v32
	v_pk_max_f16 v42, v42, v42
	v_pk_add_f16 v54, v54, v64
	v_pk_add_f16 v36, v36, v58
	v_pk_min_f16 v58, v5, v40
	v_pk_min_f16 v64, v7, v34
	v_pk_add_f16 v11, v11, v55
	v_pk_min_f16 v55, v7, v40
	v_pk_min_f16 v7, v7, v48
	;; [unrolled: 1-line block ×5, first 2 shown]
	v_pk_add_f16 v9, v82, v9
	v_pk_add_f16 v7, v17, v7
	v_pk_add_f16 v17, v19, v32
	v_pk_add_f16 v19, v21, v34
	v_pk_add_f16 v21, v23, v40
	v_pk_min_f16 v23, v42, v48
	v_pk_max_f16 v40, v45, v45
	v_pk_max_f16 v42, v33, v33
	v_pk_max_f16 v81, v35, v35
	v_pk_min_f16 v32, v38, v48
	v_pk_max_f16 v82, v47, v47
	v_pk_max_f16 v35, v51, v51
	v_pk_min_f16 v33, v40, v42
	v_pk_min_f16 v34, v40, v81
	v_pk_add_f16 v83, v46, v32
	v_pk_min_f16 v32, v40, v82
	v_pk_add_f16 v80, v56, v58
	v_pk_add_f16 v68, v50, v33
	;; [unrolled: 1-line block ×3, first 2 shown]
	v_pk_max_f16 v12, v49, v49
	v_pk_add_f16 v50, v16, v32
	v_pk_min_f16 v16, v35, v42
	v_pk_min_f16 v32, v35, v81
	v_pk_max_f16 v38, v53, v53
	v_pk_min_f16 v5, v5, v48
	v_pk_min_f16 v33, v35, v82
	;; [unrolled: 1-line block ×3, first 2 shown]
	v_pk_add_f16 v35, v14, v16
	v_pk_add_f16 v67, v18, v32
	v_pk_min_f16 v14, v38, v42
	v_pk_min_f16 v16, v38, v81
	;; [unrolled: 1-line block ×3, first 2 shown]
	v_pk_max_f16 v2, v2, v2
	v_pk_add_f16 v5, v57, v5
	v_pk_add_f16 v57, v20, v33
	;; [unrolled: 1-line block ×5, first 2 shown]
	v_pk_min_f16 v14, v2, v42
	v_pk_min_f16 v16, v2, v81
	;; [unrolled: 1-line block ×4, first 2 shown]
	v_pk_max_f16 v4, v4, v4
	v_pk_add_f16 v13, v13, v64
	v_pk_add_f16 v64, v10, v16
	v_pk_max_f16 v6, v6, v6
	v_pk_add_f16 v47, v1, v2
	v_pk_min_f16 v1, v4, v42
	v_pk_min_f16 v2, v4, v81
	;; [unrolled: 1-line block ×4, first 2 shown]
	v_pk_add_f16 v15, v15, v55
	v_pk_add_f16 v49, v22, v34
	;; [unrolled: 1-line block ×6, first 2 shown]
	v_pk_min_f16 v1, v6, v42
	v_pk_min_f16 v2, v6, v81
	;; [unrolled: 1-line block ×4, first 2 shown]
	v_pk_max_f16 v6, v8, v8
	v_pk_min_f16 v20, v38, v12
	v_pk_add_f16 v36, v36, v1
	v_pk_add_f16 v62, v79, v2
	;; [unrolled: 1-line block ×4, first 2 shown]
	v_pk_min_f16 v1, v6, v42
	v_pk_min_f16 v2, v6, v81
	;; [unrolled: 1-line block ×4, first 2 shown]
	v_pk_max_f16 v5, v43, v43
	v_add_co_u32 v69, s4, v69, 16
	s_delay_alu instid0(VALU_DEP_1)
	v_add_co_ci_u32_e64 v70, s4, 0, v70, s4
	v_pk_add_f16 v23, v44, v23
	v_pk_add_f16 v48, v52, v20
	;; [unrolled: 1-line block ×6, first 2 shown]
	v_pk_min_f16 v1, v5, v42
	v_pk_min_f16 v2, v5, v81
	v_pk_min_f16 v3, v5, v82
	v_pk_min_f16 v4, v5, v12
	v_pk_min_f16 v5, v40, v12
	v_add_co_u32 v71, s4, v71, 16
	s_delay_alu instid0(VALU_DEP_1)
	v_add_co_ci_u32_e64 v72, s4, 0, v72, s4
	v_add_co_u32 v73, s4, v73, 16
	v_pk_add_f16 v32, v77, v14
	v_pk_add_f16 v54, v54, v10
	v_pk_add_f16 v40, v17, v1
	v_pk_add_f16 v60, v19, v2
	v_pk_add_f16 v51, v21, v3
	v_pk_add_f16 v43, v23, v4
	v_pk_add_f16 v42, v83, v5
	v_add_co_ci_u32_e64 v74, s4, 0, v74, s4
	s_add_i32 s22, s22, 8
	s_waitcnt vmcnt(0)
	ds_store_b16 v39, v76
	ds_store_b16 v41, v75
	ds_store_b16 v41, v0 offset:512
	s_cmp_ge_i32 s22, s8
	s_waitcnt lgkmcnt(0)
	s_barrier
	buffer_gl0_inv
	s_cbranch_scc1 .LBB241_40
.LBB241_28:                             ; =>This Inner Loop Header: Depth=1
	v_dual_mov_b32 v76, 0 :: v_dual_add_nc_u32 v75, s22, v24
	s_delay_alu instid0(VALU_DEP_1) | instskip(NEXT) | instid1(VALU_DEP_1)
	v_add_nc_u32_e32 v0, 8, v75
	v_cmp_le_i32_e64 s4, s18, v0
	s_delay_alu instid0(VALU_DEP_1) | instskip(NEXT) | instid1(SALU_CYCLE_1)
	s_or_b32 s5, s4, vcc_lo
	s_xor_b32 s5, s5, -1
	s_delay_alu instid0(SALU_CYCLE_1)
	s_and_saveexec_b32 s9, s5
	s_cbranch_execz .LBB241_30
; %bb.29:                               ;   in Loop: Header=BB241_28 Depth=1
	v_add_co_u32 v0, s5, v69, v28
	s_delay_alu instid0(VALU_DEP_1)
	v_add_co_ci_u32_e64 v1, s5, 0, v70, s5
	flat_load_u16 v76, v[0:1] offset:16
.LBB241_30:                             ;   in Loop: Header=BB241_28 Depth=1
	s_or_b32 exec_lo, exec_lo, s9
	v_dual_mov_b32 v77, 0 :: v_dual_mov_b32 v78, 0
	s_or_b32 s5, s2, s4
	s_delay_alu instid0(SALU_CYCLE_1) | instskip(NEXT) | instid1(SALU_CYCLE_1)
	s_xor_b32 s5, s5, -1
	s_and_saveexec_b32 s9, s5
	s_cbranch_execz .LBB241_32
; %bb.31:                               ;   in Loop: Header=BB241_28 Depth=1
	v_add_co_u32 v0, s5, v71, v28
	s_delay_alu instid0(VALU_DEP_1)
	v_add_co_ci_u32_e64 v1, s5, 0, v72, s5
	flat_load_u16 v78, v[0:1] offset:16
.LBB241_32:                             ;   in Loop: Header=BB241_28 Depth=1
	s_or_b32 exec_lo, exec_lo, s9
	s_or_b32 s4, s3, s4
	s_delay_alu instid0(SALU_CYCLE_1) | instskip(NEXT) | instid1(SALU_CYCLE_1)
	s_xor_b32 s4, s4, -1
	s_and_saveexec_b32 s5, s4
	s_cbranch_execz .LBB241_34
; %bb.33:                               ;   in Loop: Header=BB241_28 Depth=1
	v_add_co_u32 v0, s4, v73, v28
	s_delay_alu instid0(VALU_DEP_1)
	v_add_co_ci_u32_e64 v1, s4, 0, v74, s4
	flat_load_u16 v77, v[0:1] offset:16
.LBB241_34:                             ;   in Loop: Header=BB241_28 Depth=1
	s_or_b32 exec_lo, exec_lo, s5
	ds_load_2addr_b64 v[0:3], v59 offset0:48 offset1:56
	ds_load_2addr_b64 v[12:15], v66 offset0:64 offset1:96
	ds_load_2addr_b64 v[20:23], v66 offset1:32
	ds_load_2addr_b64 v[16:19], v59 offset1:8
	ds_load_2addr_b64 v[8:11], v59 offset0:16 offset1:24
	ds_load_2addr_b64 v[4:7], v59 offset0:32 offset1:40
	v_add_nc_u32_e32 v75, 12, v75
	s_waitcnt vmcnt(0) lgkmcnt(6)
	ds_store_b16 v25, v76
	ds_store_b16 v31, v78
	ds_store_b16 v31, v77 offset:512
	v_mov_b32_e32 v76, 0
	s_waitcnt lgkmcnt(0)
	s_barrier
	v_cmp_le_i32_e64 s4, s18, v75
	v_mov_b32_e32 v75, 0
	buffer_gl0_inv
	s_or_b32 s5, s4, vcc_lo
	s_delay_alu instid0(SALU_CYCLE_1) | instskip(NEXT) | instid1(SALU_CYCLE_1)
	s_xor_b32 s5, s5, -1
	s_and_saveexec_b32 s9, s5
	s_cbranch_execz .LBB241_36
; %bb.35:                               ;   in Loop: Header=BB241_28 Depth=1
	v_add_co_u32 v76, s5, v69, v28
	s_delay_alu instid0(VALU_DEP_1)
	v_add_co_ci_u32_e64 v77, s5, 0, v70, s5
	flat_load_u16 v76, v[76:77] offset:24
.LBB241_36:                             ;   in Loop: Header=BB241_28 Depth=1
	s_or_b32 exec_lo, exec_lo, s9
	s_or_b32 s5, s2, s4
	s_delay_alu instid0(SALU_CYCLE_1) | instskip(NEXT) | instid1(SALU_CYCLE_1)
	s_xor_b32 s5, s5, -1
	s_and_saveexec_b32 s9, s5
	s_cbranch_execz .LBB241_38
; %bb.37:                               ;   in Loop: Header=BB241_28 Depth=1
	v_add_co_u32 v77, s5, v71, v28
	s_delay_alu instid0(VALU_DEP_1)
	v_add_co_ci_u32_e64 v78, s5, 0, v72, s5
	flat_load_u16 v75, v[77:78] offset:24
.LBB241_38:                             ;   in Loop: Header=BB241_28 Depth=1
	s_or_b32 exec_lo, exec_lo, s9
	v_pk_max_f16 v97, v2, v2
	v_pk_max_f16 v93, v20, v20
	;; [unrolled: 1-line block ×12, first 2 shown]
	v_pk_min_f16 v2, v97, v93
	v_pk_min_f16 v12, v97, v94
	;; [unrolled: 1-line block ×25, first 2 shown]
	v_pk_max_f16 v0, v3, v3
	v_pk_max_f16 v21, v21, v21
	v_pk_max_f16 v23, v23, v23
	v_pk_max_f16 v118, v13, v13
	v_pk_max_f16 v3, v17, v17
	v_pk_max_f16 v119, v15, v15
	v_pk_max_f16 v13, v19, v19
	v_pk_max_f16 v11, v11, v11
	v_pk_max_f16 v5, v5, v5
	v_pk_min_f16 v107, v3, v21
	v_pk_min_f16 v108, v3, v23
	;; [unrolled: 1-line block ×4, first 2 shown]
	v_pk_max_f16 v3, v9, v9
	v_pk_max_f16 v7, v7, v7
	;; [unrolled: 1-line block ×3, first 2 shown]
	v_pk_min_f16 v22, v22, v98
	v_pk_min_f16 v79, v79, v98
	;; [unrolled: 1-line block ×35, first 2 shown]
	v_mov_b32_e32 v0, 0
	s_or_b32 s4, s3, s4
	s_delay_alu instid0(SALU_CYCLE_1) | instskip(NEXT) | instid1(SALU_CYCLE_1)
	s_xor_b32 s4, s4, -1
	s_and_saveexec_b32 s5, s4
	s_cbranch_execz .LBB241_27
; %bb.39:                               ;   in Loop: Header=BB241_28 Depth=1
	v_add_co_u32 v118, s4, v73, v28
	s_delay_alu instid0(VALU_DEP_1)
	v_add_co_ci_u32_e64 v119, s4, 0, v74, s4
	flat_load_u16 v0, v[118:119] offset:24
	s_branch .LBB241_27
.LBB241_40:
	s_clause 0x2
	s_load_b32 s12, s[0:1], 0x50
	s_load_b32 s9, s[0:1], 0x68
	s_load_b64 s[2:3], s[0:1], 0x70
	v_add_nc_u32_e32 v66, s21, v27
	v_add_nc_u32_e32 v8, 0x800, v30
	;; [unrolled: 1-line block ×3, first 2 shown]
	ds_load_2addr_b64 v[0:3], v29 offset0:192 offset1:224
	ds_load_2addr_b64 v[20:23], v29 offset0:128 offset1:160
	;; [unrolled: 1-line block ×6, first 2 shown]
	v_cmp_gt_i32_e64 s8, s17, v66
	v_cmp_gt_i32_e64 s0, s16, v24
	v_cndmask_b32_e64 v59, 0, 1, s19
	s_waitcnt lgkmcnt(0)
	v_mad_i64_i32 v[25:26], null, v66, s12, 0
	v_mad_i64_i32 v[27:28], null, v66, s9, 0
	s_lshl_b64 s[2:3], s[2:3], 1
	s_delay_alu instid0(SALU_CYCLE_1) | instskip(SKIP_1) | instid1(VALU_DEP_2)
	s_add_u32 s13, s6, s2
	s_addc_u32 s14, s7, s3
	v_lshlrev_b64 v[29:30], 1, v[25:26]
	v_ashrrev_i32_e32 v25, 31, v24
	s_delay_alu instid0(VALU_DEP_3) | instskip(SKIP_1) | instid1(VALU_DEP_3)
	v_lshlrev_b64 v[26:27], 1, v[27:28]
	s_and_b32 s2, s0, s8
	v_add_co_u32 v71, vcc_lo, s10, v29
	s_delay_alu instid0(VALU_DEP_4) | instskip(NEXT) | instid1(VALU_DEP_3)
	v_add_co_ci_u32_e32 v72, vcc_lo, s11, v30, vcc_lo
	v_add_co_u32 v69, vcc_lo, s13, v26
	s_delay_alu instid0(VALU_DEP_4)
	v_add_co_ci_u32_e32 v70, vcc_lo, s14, v27, vcc_lo
	s_and_saveexec_b32 s1, s2
	s_cbranch_execz .LBB241_45
; %bb.41:
	v_lshlrev_b64 v[26:27], 1, v[24:25]
	s_and_not1_b32 vcc_lo, exec_lo, s19
	s_cbranch_vccnz .LBB241_43
; %bb.42:
	s_delay_alu instid0(VALU_DEP_1) | instskip(NEXT) | instid1(VALU_DEP_2)
	v_add_co_u32 v28, vcc_lo, v71, v26
	v_add_co_ci_u32_e32 v29, vcc_lo, v72, v27, vcc_lo
	flat_load_u16 v28, v[28:29]
	s_waitcnt vmcnt(0) lgkmcnt(0)
	v_mul_f16_e32 v28, s15, v28
	s_branch .LBB241_44
.LBB241_43:
	v_mov_b32_e32 v28, 0
.LBB241_44:
	v_pk_max_f16 v29, v20, v20
	v_pk_max_f16 v30, v16, v16
	;; [unrolled: 1-line block ×4, first 2 shown]
	v_add_co_u32 v26, vcc_lo, v69, v26
	s_delay_alu instid0(VALU_DEP_4) | instskip(SKIP_1) | instid1(VALU_DEP_4)
	v_pk_min_f16 v29, v30, v29
	v_add_co_ci_u32_e32 v27, vcc_lo, v70, v27, vcc_lo
	v_pk_min_f16 v30, v37, v31
	s_delay_alu instid0(VALU_DEP_3) | instskip(NEXT) | instid1(VALU_DEP_1)
	v_pk_add_f16 v29, v35, v29
	v_pk_add_f16 v29, v29, v30
	s_delay_alu instid0(VALU_DEP_1) | instskip(NEXT) | instid1(VALU_DEP_1)
	v_lshrrev_b32_e32 v30, 16, v29
	v_add_f16_e32 v29, v29, v30
	s_delay_alu instid0(VALU_DEP_1)
	v_add_f16_e32 v28, v29, v28
	global_store_b16 v[26:27], v28, off
.LBB241_45:
	s_or_b32 exec_lo, exec_lo, s1
	v_add_nc_u32_e32 v26, 8, v24
	s_delay_alu instid0(VALU_DEP_1) | instskip(SKIP_1) | instid1(VALU_DEP_2)
	v_cmp_gt_i32_e64 s1, s16, v26
	v_ashrrev_i32_e32 v27, 31, v26
	s_and_b32 s3, s1, s8
	s_delay_alu instid0(SALU_CYCLE_1)
	s_and_saveexec_b32 s2, s3
	s_cbranch_execz .LBB241_50
; %bb.46:
	v_cmp_ne_u32_e32 vcc_lo, 1, v59
	v_lshlrev_b64 v[28:29], 1, v[26:27]
	s_cbranch_vccnz .LBB241_48
; %bb.47:
	s_delay_alu instid0(VALU_DEP_1) | instskip(NEXT) | instid1(VALU_DEP_2)
	v_add_co_u32 v30, vcc_lo, v71, v28
	v_add_co_ci_u32_e32 v31, vcc_lo, v72, v29, vcc_lo
	flat_load_u16 v30, v[30:31]
	s_waitcnt vmcnt(0) lgkmcnt(0)
	v_mul_f16_e32 v30, s15, v30
	s_branch .LBB241_49
.LBB241_48:
	v_mov_b32_e32 v30, 0
.LBB241_49:
	v_pk_max_f16 v31, v20, v20
	v_pk_max_f16 v35, v18, v18
	v_pk_max_f16 v37, v21, v21
	v_pk_max_f16 v39, v19, v19
	v_add_co_u32 v28, vcc_lo, v69, v28
	s_delay_alu instid0(VALU_DEP_4) | instskip(SKIP_1) | instid1(VALU_DEP_4)
	v_pk_min_f16 v31, v35, v31
	v_add_co_ci_u32_e32 v29, vcc_lo, v70, v29, vcc_lo
	v_pk_min_f16 v35, v39, v37
	s_delay_alu instid0(VALU_DEP_3) | instskip(NEXT) | instid1(VALU_DEP_1)
	v_pk_add_f16 v31, v33, v31
	v_pk_add_f16 v31, v31, v35
	s_delay_alu instid0(VALU_DEP_1) | instskip(NEXT) | instid1(VALU_DEP_1)
	v_lshrrev_b32_e32 v33, 16, v31
	v_add_f16_e32 v31, v31, v33
	s_delay_alu instid0(VALU_DEP_1)
	v_add_f16_e32 v30, v31, v30
	global_store_b16 v[28:29], v30, off
.LBB241_50:
	s_or_b32 exec_lo, exec_lo, s2
	v_add_nc_u32_e32 v28, 16, v24
	s_delay_alu instid0(VALU_DEP_1) | instskip(SKIP_1) | instid1(VALU_DEP_2)
	v_cmp_gt_i32_e64 s2, s16, v28
	v_ashrrev_i32_e32 v29, 31, v28
	s_and_b32 s4, s2, s8
	s_delay_alu instid0(SALU_CYCLE_1)
	s_and_saveexec_b32 s3, s4
	s_cbranch_execz .LBB241_55
; %bb.51:
	v_cmp_ne_u32_e32 vcc_lo, 1, v59
	v_lshlrev_b64 v[30:31], 1, v[28:29]
	s_cbranch_vccnz .LBB241_53
; %bb.52:
	s_delay_alu instid0(VALU_DEP_1) | instskip(NEXT) | instid1(VALU_DEP_2)
	v_add_co_u32 v73, vcc_lo, v71, v30
	v_add_co_ci_u32_e32 v74, vcc_lo, v72, v31, vcc_lo
	flat_load_u16 v33, v[73:74]
	s_waitcnt vmcnt(0) lgkmcnt(0)
	v_mul_f16_e32 v33, s15, v33
	s_branch .LBB241_54
.LBB241_53:
	v_mov_b32_e32 v33, 0
.LBB241_54:
	v_pk_max_f16 v35, v20, v20
	v_pk_max_f16 v37, v12, v12
	v_pk_max_f16 v39, v21, v21
	v_pk_max_f16 v41, v13, v13
	v_add_co_u32 v30, vcc_lo, v69, v30
	s_delay_alu instid0(VALU_DEP_4) | instskip(SKIP_1) | instid1(VALU_DEP_4)
	v_pk_min_f16 v35, v37, v35
	v_add_co_ci_u32_e32 v31, vcc_lo, v70, v31, vcc_lo
	v_pk_min_f16 v37, v41, v39
	s_delay_alu instid0(VALU_DEP_3) | instskip(NEXT) | instid1(VALU_DEP_1)
	v_pk_add_f16 v32, v32, v35
	v_pk_add_f16 v32, v32, v37
	s_delay_alu instid0(VALU_DEP_1) | instskip(NEXT) | instid1(VALU_DEP_1)
	v_lshrrev_b32_e32 v35, 16, v32
	v_add_f16_e32 v32, v32, v35
	s_delay_alu instid0(VALU_DEP_1)
	v_add_f16_e32 v32, v32, v33
	global_store_b16 v[30:31], v32, off
.LBB241_55:
	;; [unrolled: 43-line block ×6, first 2 shown]
	s_or_b32 exec_lo, exec_lo, s7
	v_add_nc_u32_e32 v38, 56, v24
	s_delay_alu instid0(VALU_DEP_1) | instskip(SKIP_1) | instid1(VALU_DEP_2)
	v_cmp_gt_i32_e64 s7, s16, v38
	v_ashrrev_i32_e32 v39, 31, v38
	s_and_b32 s16, s7, s8
	s_delay_alu instid0(SALU_CYCLE_1)
	s_and_saveexec_b32 s8, s16
	s_cbranch_execz .LBB241_80
; %bb.76:
	v_cmp_ne_u32_e32 vcc_lo, 1, v59
	v_lshlrev_b64 v[40:41], 1, v[38:39]
	s_cbranch_vccnz .LBB241_78
; %bb.77:
	s_delay_alu instid0(VALU_DEP_1) | instskip(NEXT) | instid1(VALU_DEP_2)
	v_add_co_u32 v71, vcc_lo, v71, v40
	v_add_co_ci_u32_e32 v72, vcc_lo, v72, v41, vcc_lo
	flat_load_u16 v71, v[71:72]
	s_waitcnt vmcnt(0) lgkmcnt(0)
	v_mul_f16_e32 v71, s15, v71
	s_branch .LBB241_79
.LBB241_78:
	v_mov_b32_e32 v71, 0
.LBB241_79:
	v_pk_max_f16 v20, v20, v20
	v_pk_max_f16 v72, v6, v6
	;; [unrolled: 1-line block ×4, first 2 shown]
	s_delay_alu instid0(VALU_DEP_3) | instskip(NEXT) | instid1(VALU_DEP_2)
	v_pk_min_f16 v20, v72, v20
	v_pk_min_f16 v21, v73, v21
	s_delay_alu instid0(VALU_DEP_2) | instskip(NEXT) | instid1(VALU_DEP_1)
	v_pk_add_f16 v20, v68, v20
	v_pk_add_f16 v20, v20, v21
	s_delay_alu instid0(VALU_DEP_1) | instskip(NEXT) | instid1(VALU_DEP_1)
	v_lshrrev_b32_e32 v21, 16, v20
	v_add_f16_e32 v20, v20, v21
	s_delay_alu instid0(VALU_DEP_1)
	v_add_f16_e32 v68, v20, v71
	v_add_co_u32 v20, vcc_lo, v69, v40
	v_add_co_ci_u32_e32 v21, vcc_lo, v70, v41, vcc_lo
	global_store_b16 v[20:21], v68, off
.LBB241_80:
	s_or_b32 exec_lo, exec_lo, s8
	v_add_nc_u32_e32 v68, 32, v66
	s_delay_alu instid0(VALU_DEP_1) | instskip(SKIP_2) | instid1(VALU_DEP_3)
	v_mad_i64_i32 v[20:21], null, v68, s12, 0
	v_mad_i64_i32 v[40:41], null, v68, s9, 0
	v_cmp_gt_i32_e64 s8, s17, v68
	v_lshlrev_b64 v[20:21], 1, v[20:21]
	s_delay_alu instid0(VALU_DEP_2) | instskip(NEXT) | instid1(VALU_DEP_3)
	s_and_b32 s18, s0, s8
	v_lshlrev_b64 v[40:41], 1, v[40:41]
	s_delay_alu instid0(VALU_DEP_2) | instskip(NEXT) | instid1(VALU_DEP_3)
	v_add_co_u32 v68, vcc_lo, s10, v20
	v_add_co_ci_u32_e32 v69, vcc_lo, s11, v21, vcc_lo
	s_delay_alu instid0(VALU_DEP_3) | instskip(NEXT) | instid1(VALU_DEP_4)
	v_add_co_u32 v40, vcc_lo, s13, v40
	v_add_co_ci_u32_e32 v41, vcc_lo, s14, v41, vcc_lo
	s_and_saveexec_b32 s16, s18
	s_cbranch_execnz .LBB241_88
; %bb.81:
	s_or_b32 exec_lo, exec_lo, s16
	s_and_b32 s18, s1, s8
	s_delay_alu instid0(SALU_CYCLE_1)
	s_and_saveexec_b32 s16, s18
	s_cbranch_execnz .LBB241_92
.LBB241_82:
	s_or_b32 exec_lo, exec_lo, s16
	s_and_b32 s18, s2, s8
	s_delay_alu instid0(SALU_CYCLE_1)
	s_and_saveexec_b32 s16, s18
	s_cbranch_execnz .LBB241_96
.LBB241_83:
	s_or_b32 exec_lo, exec_lo, s16
	s_and_b32 s18, s3, s8
	s_delay_alu instid0(SALU_CYCLE_1)
	s_and_saveexec_b32 s16, s18
	s_cbranch_execnz .LBB241_100
.LBB241_84:
	s_or_b32 exec_lo, exec_lo, s16
	s_and_b32 s18, s4, s8
	s_delay_alu instid0(SALU_CYCLE_1)
	s_and_saveexec_b32 s16, s18
	s_cbranch_execnz .LBB241_104
.LBB241_85:
	s_or_b32 exec_lo, exec_lo, s16
	s_and_b32 s18, s5, s8
	s_delay_alu instid0(SALU_CYCLE_1)
	s_and_saveexec_b32 s16, s18
	s_cbranch_execnz .LBB241_108
.LBB241_86:
	s_or_b32 exec_lo, exec_lo, s16
	s_and_b32 s18, s6, s8
	s_delay_alu instid0(SALU_CYCLE_1)
	s_and_saveexec_b32 s16, s18
	s_cbranch_execnz .LBB241_112
.LBB241_87:
	s_or_b32 exec_lo, exec_lo, s16
	s_and_b32 s16, s7, s8
	s_delay_alu instid0(SALU_CYCLE_1)
	s_and_saveexec_b32 s8, s16
	s_cbranch_execnz .LBB241_116
	s_branch .LBB241_120
.LBB241_88:
	v_cmp_ne_u32_e32 vcc_lo, 1, v59
	v_lshlrev_b64 v[20:21], 1, v[24:25]
	s_cbranch_vccnz .LBB241_90
; %bb.89:
	s_delay_alu instid0(VALU_DEP_1) | instskip(NEXT) | instid1(VALU_DEP_2)
	v_add_co_u32 v70, vcc_lo, v68, v20
	v_add_co_ci_u32_e32 v71, vcc_lo, v69, v21, vcc_lo
	flat_load_u16 v70, v[70:71]
	s_waitcnt vmcnt(0) lgkmcnt(0)
	v_mul_f16_e32 v70, s15, v70
	s_branch .LBB241_91
.LBB241_90:
	v_mov_b32_e32 v70, 0
.LBB241_91:
	v_pk_max_f16 v71, v22, v22
	v_pk_max_f16 v72, v16, v16
	;; [unrolled: 1-line block ×4, first 2 shown]
	v_add_co_u32 v20, vcc_lo, v40, v20
	s_delay_alu instid0(VALU_DEP_4) | instskip(SKIP_1) | instid1(VALU_DEP_4)
	v_pk_min_f16 v71, v72, v71
	v_add_co_ci_u32_e32 v21, vcc_lo, v41, v21, vcc_lo
	v_pk_min_f16 v72, v74, v73
	s_delay_alu instid0(VALU_DEP_3) | instskip(NEXT) | instid1(VALU_DEP_1)
	v_pk_add_f16 v67, v67, v71
	v_pk_add_f16 v67, v67, v72
	s_delay_alu instid0(VALU_DEP_1) | instskip(NEXT) | instid1(VALU_DEP_1)
	v_lshrrev_b32_e32 v71, 16, v67
	v_add_f16_e32 v67, v67, v71
	s_delay_alu instid0(VALU_DEP_1) | instskip(SKIP_3) | instid1(SALU_CYCLE_1)
	v_add_f16_e32 v67, v67, v70
	global_store_b16 v[20:21], v67, off
	s_or_b32 exec_lo, exec_lo, s16
	s_and_b32 s18, s1, s8
	s_and_saveexec_b32 s16, s18
	s_cbranch_execz .LBB241_82
.LBB241_92:
	v_cmp_ne_u32_e32 vcc_lo, 1, v59
	v_lshlrev_b64 v[20:21], 1, v[26:27]
	s_cbranch_vccnz .LBB241_94
; %bb.93:
	s_delay_alu instid0(VALU_DEP_1) | instskip(NEXT) | instid1(VALU_DEP_2)
	v_add_co_u32 v70, vcc_lo, v68, v20
	v_add_co_ci_u32_e32 v71, vcc_lo, v69, v21, vcc_lo
	flat_load_u16 v67, v[70:71]
	s_waitcnt vmcnt(0) lgkmcnt(0)
	v_mul_f16_e32 v67, s15, v67
	s_branch .LBB241_95
.LBB241_94:
	v_mov_b32_e32 v67, 0
.LBB241_95:
	v_pk_max_f16 v70, v22, v22
	v_pk_max_f16 v71, v18, v18
	;; [unrolled: 1-line block ×4, first 2 shown]
	v_add_co_u32 v20, vcc_lo, v40, v20
	s_delay_alu instid0(VALU_DEP_4) | instskip(SKIP_1) | instid1(VALU_DEP_4)
	v_pk_min_f16 v70, v71, v70
	v_add_co_ci_u32_e32 v21, vcc_lo, v41, v21, vcc_lo
	v_pk_min_f16 v71, v73, v72
	s_delay_alu instid0(VALU_DEP_3) | instskip(NEXT) | instid1(VALU_DEP_1)
	v_pk_add_f16 v65, v65, v70
	v_pk_add_f16 v65, v65, v71
	s_delay_alu instid0(VALU_DEP_1) | instskip(NEXT) | instid1(VALU_DEP_1)
	v_lshrrev_b32_e32 v70, 16, v65
	v_add_f16_e32 v65, v65, v70
	s_delay_alu instid0(VALU_DEP_1) | instskip(SKIP_3) | instid1(SALU_CYCLE_1)
	v_add_f16_e32 v65, v65, v67
	global_store_b16 v[20:21], v65, off
	s_or_b32 exec_lo, exec_lo, s16
	s_and_b32 s18, s2, s8
	s_and_saveexec_b32 s16, s18
	s_cbranch_execz .LBB241_83
.LBB241_96:
	v_cmp_ne_u32_e32 vcc_lo, 1, v59
	v_lshlrev_b64 v[20:21], 1, v[28:29]
	s_cbranch_vccnz .LBB241_98
; %bb.97:
	s_delay_alu instid0(VALU_DEP_1) | instskip(NEXT) | instid1(VALU_DEP_2)
	v_add_co_u32 v70, vcc_lo, v68, v20
	v_add_co_ci_u32_e32 v71, vcc_lo, v69, v21, vcc_lo
	flat_load_u16 v65, v[70:71]
	s_waitcnt vmcnt(0) lgkmcnt(0)
	v_mul_f16_e32 v65, s15, v65
	s_branch .LBB241_99
.LBB241_98:
	v_mov_b32_e32 v65, 0
.LBB241_99:
	v_pk_max_f16 v67, v22, v22
	v_pk_max_f16 v70, v12, v12
	;; [unrolled: 1-line block ×4, first 2 shown]
	v_add_co_u32 v20, vcc_lo, v40, v20
	s_delay_alu instid0(VALU_DEP_4) | instskip(SKIP_1) | instid1(VALU_DEP_4)
	v_pk_min_f16 v67, v70, v67
	v_add_co_ci_u32_e32 v21, vcc_lo, v41, v21, vcc_lo
	v_pk_min_f16 v70, v72, v71
	s_delay_alu instid0(VALU_DEP_3) | instskip(NEXT) | instid1(VALU_DEP_1)
	v_pk_add_f16 v64, v64, v67
	v_pk_add_f16 v64, v64, v70
	s_delay_alu instid0(VALU_DEP_1) | instskip(NEXT) | instid1(VALU_DEP_1)
	v_lshrrev_b32_e32 v67, 16, v64
	v_add_f16_e32 v64, v64, v67
	s_delay_alu instid0(VALU_DEP_1) | instskip(SKIP_3) | instid1(SALU_CYCLE_1)
	v_add_f16_e32 v64, v64, v65
	global_store_b16 v[20:21], v64, off
	s_or_b32 exec_lo, exec_lo, s16
	s_and_b32 s18, s3, s8
	s_and_saveexec_b32 s16, s18
	s_cbranch_execz .LBB241_84
.LBB241_100:
	v_cmp_ne_u32_e32 vcc_lo, 1, v59
	v_lshlrev_b64 v[20:21], 1, v[30:31]
	s_cbranch_vccnz .LBB241_102
; %bb.101:
	s_delay_alu instid0(VALU_DEP_1) | instskip(NEXT) | instid1(VALU_DEP_2)
	v_add_co_u32 v64, vcc_lo, v68, v20
	v_add_co_ci_u32_e32 v65, vcc_lo, v69, v21, vcc_lo
	flat_load_u16 v64, v[64:65]
	s_waitcnt vmcnt(0) lgkmcnt(0)
	v_mul_f16_e32 v64, s15, v64
	s_branch .LBB241_103
.LBB241_102:
	v_mov_b32_e32 v64, 0
.LBB241_103:
	v_pk_max_f16 v65, v22, v22
	v_pk_max_f16 v67, v14, v14
	;; [unrolled: 1-line block ×4, first 2 shown]
	v_add_co_u32 v20, vcc_lo, v40, v20
	s_delay_alu instid0(VALU_DEP_4) | instskip(SKIP_1) | instid1(VALU_DEP_4)
	v_pk_min_f16 v65, v67, v65
	v_add_co_ci_u32_e32 v21, vcc_lo, v41, v21, vcc_lo
	v_pk_min_f16 v67, v71, v70
	s_delay_alu instid0(VALU_DEP_3) | instskip(NEXT) | instid1(VALU_DEP_1)
	v_pk_add_f16 v63, v63, v65
	v_pk_add_f16 v63, v63, v67
	s_delay_alu instid0(VALU_DEP_1) | instskip(NEXT) | instid1(VALU_DEP_1)
	v_lshrrev_b32_e32 v65, 16, v63
	v_add_f16_e32 v63, v63, v65
	s_delay_alu instid0(VALU_DEP_1) | instskip(SKIP_3) | instid1(SALU_CYCLE_1)
	v_add_f16_e32 v63, v63, v64
	global_store_b16 v[20:21], v63, off
	s_or_b32 exec_lo, exec_lo, s16
	s_and_b32 s18, s4, s8
	s_and_saveexec_b32 s16, s18
	s_cbranch_execz .LBB241_85
.LBB241_104:
	v_cmp_ne_u32_e32 vcc_lo, 1, v59
	v_lshlrev_b64 v[20:21], 1, v[32:33]
	s_cbranch_vccnz .LBB241_106
; %bb.105:
	s_delay_alu instid0(VALU_DEP_1) | instskip(NEXT) | instid1(VALU_DEP_2)
	v_add_co_u32 v63, vcc_lo, v68, v20
	v_add_co_ci_u32_e32 v64, vcc_lo, v69, v21, vcc_lo
	flat_load_u16 v63, v[63:64]
	s_waitcnt vmcnt(0) lgkmcnt(0)
	v_mul_f16_e32 v63, s15, v63
	s_branch .LBB241_107
.LBB241_106:
	v_mov_b32_e32 v63, 0
.LBB241_107:
	v_pk_max_f16 v64, v22, v22
	v_pk_max_f16 v65, v8, v8
	;; [unrolled: 1-line block ×4, first 2 shown]
	v_add_co_u32 v20, vcc_lo, v40, v20
	s_delay_alu instid0(VALU_DEP_4) | instskip(SKIP_1) | instid1(VALU_DEP_4)
	v_pk_min_f16 v64, v65, v64
	v_add_co_ci_u32_e32 v21, vcc_lo, v41, v21, vcc_lo
	v_pk_min_f16 v65, v70, v67
	s_delay_alu instid0(VALU_DEP_3) | instskip(NEXT) | instid1(VALU_DEP_1)
	v_pk_add_f16 v62, v62, v64
	v_pk_add_f16 v62, v62, v65
	s_delay_alu instid0(VALU_DEP_1) | instskip(NEXT) | instid1(VALU_DEP_1)
	v_lshrrev_b32_e32 v64, 16, v62
	v_add_f16_e32 v62, v62, v64
	s_delay_alu instid0(VALU_DEP_1) | instskip(SKIP_3) | instid1(SALU_CYCLE_1)
	v_add_f16_e32 v62, v62, v63
	global_store_b16 v[20:21], v62, off
	s_or_b32 exec_lo, exec_lo, s16
	s_and_b32 s18, s5, s8
	s_and_saveexec_b32 s16, s18
	s_cbranch_execz .LBB241_86
.LBB241_108:
	v_cmp_ne_u32_e32 vcc_lo, 1, v59
	v_lshlrev_b64 v[20:21], 1, v[34:35]
	s_cbranch_vccnz .LBB241_110
; %bb.109:
	s_delay_alu instid0(VALU_DEP_1) | instskip(NEXT) | instid1(VALU_DEP_2)
	v_add_co_u32 v62, vcc_lo, v68, v20
	v_add_co_ci_u32_e32 v63, vcc_lo, v69, v21, vcc_lo
	flat_load_u16 v62, v[62:63]
	s_waitcnt vmcnt(0) lgkmcnt(0)
	v_mul_f16_e32 v62, s15, v62
	s_branch .LBB241_111
.LBB241_110:
	v_mov_b32_e32 v62, 0
.LBB241_111:
	v_pk_max_f16 v63, v22, v22
	v_pk_max_f16 v64, v10, v10
	;; [unrolled: 1-line block ×4, first 2 shown]
	v_add_co_u32 v20, vcc_lo, v40, v20
	s_delay_alu instid0(VALU_DEP_4) | instskip(SKIP_1) | instid1(VALU_DEP_4)
	v_pk_min_f16 v63, v64, v63
	v_add_co_ci_u32_e32 v21, vcc_lo, v41, v21, vcc_lo
	v_pk_min_f16 v64, v67, v65
	s_delay_alu instid0(VALU_DEP_3) | instskip(NEXT) | instid1(VALU_DEP_1)
	v_pk_add_f16 v61, v61, v63
	v_pk_add_f16 v61, v61, v64
	s_delay_alu instid0(VALU_DEP_1) | instskip(NEXT) | instid1(VALU_DEP_1)
	v_lshrrev_b32_e32 v63, 16, v61
	v_add_f16_e32 v61, v61, v63
	s_delay_alu instid0(VALU_DEP_1) | instskip(SKIP_3) | instid1(SALU_CYCLE_1)
	v_add_f16_e32 v61, v61, v62
	global_store_b16 v[20:21], v61, off
	s_or_b32 exec_lo, exec_lo, s16
	s_and_b32 s18, s6, s8
	s_and_saveexec_b32 s16, s18
	s_cbranch_execz .LBB241_87
.LBB241_112:
	v_cmp_ne_u32_e32 vcc_lo, 1, v59
	v_lshlrev_b64 v[20:21], 1, v[36:37]
	s_cbranch_vccnz .LBB241_114
; %bb.113:
	s_delay_alu instid0(VALU_DEP_1) | instskip(NEXT) | instid1(VALU_DEP_2)
	v_add_co_u32 v61, vcc_lo, v68, v20
	v_add_co_ci_u32_e32 v62, vcc_lo, v69, v21, vcc_lo
	flat_load_u16 v61, v[61:62]
	s_waitcnt vmcnt(0) lgkmcnt(0)
	v_mul_f16_e32 v61, s15, v61
	s_branch .LBB241_115
.LBB241_114:
	v_mov_b32_e32 v61, 0
.LBB241_115:
	v_pk_max_f16 v62, v22, v22
	v_pk_max_f16 v63, v4, v4
	;; [unrolled: 1-line block ×4, first 2 shown]
	v_add_co_u32 v20, vcc_lo, v40, v20
	s_delay_alu instid0(VALU_DEP_4) | instskip(SKIP_1) | instid1(VALU_DEP_4)
	v_pk_min_f16 v62, v63, v62
	v_add_co_ci_u32_e32 v21, vcc_lo, v41, v21, vcc_lo
	v_pk_min_f16 v63, v65, v64
	s_delay_alu instid0(VALU_DEP_3) | instskip(NEXT) | instid1(VALU_DEP_1)
	v_pk_add_f16 v60, v60, v62
	v_pk_add_f16 v60, v60, v63
	s_delay_alu instid0(VALU_DEP_1) | instskip(NEXT) | instid1(VALU_DEP_1)
	v_lshrrev_b32_e32 v62, 16, v60
	v_add_f16_e32 v60, v60, v62
	s_delay_alu instid0(VALU_DEP_1) | instskip(SKIP_3) | instid1(SALU_CYCLE_1)
	v_add_f16_e32 v60, v60, v61
	global_store_b16 v[20:21], v60, off
	s_or_b32 exec_lo, exec_lo, s16
	s_and_b32 s16, s7, s8
	s_and_saveexec_b32 s8, s16
	s_cbranch_execz .LBB241_120
.LBB241_116:
	v_cmp_ne_u32_e32 vcc_lo, 1, v59
	v_lshlrev_b64 v[20:21], 1, v[38:39]
	s_cbranch_vccnz .LBB241_118
; %bb.117:
	s_delay_alu instid0(VALU_DEP_1) | instskip(NEXT) | instid1(VALU_DEP_2)
	v_add_co_u32 v60, vcc_lo, v68, v20
	v_add_co_ci_u32_e32 v61, vcc_lo, v69, v21, vcc_lo
	flat_load_u16 v60, v[60:61]
	s_waitcnt vmcnt(0) lgkmcnt(0)
	v_mul_f16_e32 v60, s15, v60
	s_branch .LBB241_119
.LBB241_118:
	v_mov_b32_e32 v60, 0
.LBB241_119:
	v_pk_max_f16 v22, v22, v22
	v_pk_max_f16 v61, v6, v6
	;; [unrolled: 1-line block ×4, first 2 shown]
	v_add_co_u32 v20, vcc_lo, v40, v20
	s_delay_alu instid0(VALU_DEP_4) | instskip(SKIP_1) | instid1(VALU_DEP_4)
	v_pk_min_f16 v22, v61, v22
	v_add_co_ci_u32_e32 v21, vcc_lo, v41, v21, vcc_lo
	v_pk_min_f16 v23, v62, v23
	s_delay_alu instid0(VALU_DEP_3) | instskip(NEXT) | instid1(VALU_DEP_1)
	v_pk_add_f16 v22, v58, v22
	v_pk_add_f16 v22, v22, v23
	s_delay_alu instid0(VALU_DEP_1) | instskip(NEXT) | instid1(VALU_DEP_1)
	v_lshrrev_b32_e32 v23, 16, v22
	v_add_f16_e32 v22, v22, v23
	s_delay_alu instid0(VALU_DEP_1)
	v_add_f16_e32 v22, v22, v60
	global_store_b16 v[20:21], v22, off
.LBB241_120:
	s_or_b32 exec_lo, exec_lo, s8
	v_add_nc_u32_e32 v40, 64, v66
	s_delay_alu instid0(VALU_DEP_1) | instskip(SKIP_2) | instid1(VALU_DEP_3)
	v_mad_i64_i32 v[20:21], null, v40, s12, 0
	v_mad_i64_i32 v[22:23], null, v40, s9, 0
	v_cmp_gt_i32_e64 s8, s17, v40
	v_lshlrev_b64 v[20:21], 1, v[20:21]
	s_delay_alu instid0(VALU_DEP_2) | instskip(NEXT) | instid1(VALU_DEP_3)
	s_and_b32 s18, s0, s8
	v_lshlrev_b64 v[22:23], 1, v[22:23]
	s_delay_alu instid0(VALU_DEP_2) | instskip(NEXT) | instid1(VALU_DEP_3)
	v_add_co_u32 v40, vcc_lo, s10, v20
	v_add_co_ci_u32_e32 v41, vcc_lo, s11, v21, vcc_lo
	s_delay_alu instid0(VALU_DEP_3) | instskip(NEXT) | instid1(VALU_DEP_4)
	v_add_co_u32 v22, vcc_lo, s13, v22
	v_add_co_ci_u32_e32 v23, vcc_lo, s14, v23, vcc_lo
	s_and_saveexec_b32 s16, s18
	s_cbranch_execnz .LBB241_128
; %bb.121:
	s_or_b32 exec_lo, exec_lo, s16
	s_and_b32 s18, s1, s8
	s_delay_alu instid0(SALU_CYCLE_1)
	s_and_saveexec_b32 s16, s18
	s_cbranch_execnz .LBB241_132
.LBB241_122:
	s_or_b32 exec_lo, exec_lo, s16
	s_and_b32 s18, s2, s8
	s_delay_alu instid0(SALU_CYCLE_1)
	s_and_saveexec_b32 s16, s18
	s_cbranch_execnz .LBB241_136
.LBB241_123:
	s_or_b32 exec_lo, exec_lo, s16
	s_and_b32 s18, s3, s8
	s_delay_alu instid0(SALU_CYCLE_1)
	s_and_saveexec_b32 s16, s18
	s_cbranch_execnz .LBB241_140
.LBB241_124:
	s_or_b32 exec_lo, exec_lo, s16
	s_and_b32 s18, s4, s8
	s_delay_alu instid0(SALU_CYCLE_1)
	s_and_saveexec_b32 s16, s18
	s_cbranch_execnz .LBB241_144
.LBB241_125:
	s_or_b32 exec_lo, exec_lo, s16
	s_and_b32 s18, s5, s8
	s_delay_alu instid0(SALU_CYCLE_1)
	s_and_saveexec_b32 s16, s18
	s_cbranch_execnz .LBB241_148
.LBB241_126:
	s_or_b32 exec_lo, exec_lo, s16
	s_and_b32 s18, s6, s8
	s_delay_alu instid0(SALU_CYCLE_1)
	s_and_saveexec_b32 s16, s18
	s_cbranch_execnz .LBB241_152
.LBB241_127:
	s_or_b32 exec_lo, exec_lo, s16
	s_and_b32 s16, s7, s8
	s_delay_alu instid0(SALU_CYCLE_1)
	s_and_saveexec_b32 s8, s16
	s_cbranch_execnz .LBB241_156
	s_branch .LBB241_160
.LBB241_128:
	v_cmp_ne_u32_e32 vcc_lo, 1, v59
	v_lshlrev_b64 v[20:21], 1, v[24:25]
	s_cbranch_vccnz .LBB241_130
; %bb.129:
	s_delay_alu instid0(VALU_DEP_1) | instskip(NEXT) | instid1(VALU_DEP_2)
	v_add_co_u32 v60, vcc_lo, v40, v20
	v_add_co_ci_u32_e32 v61, vcc_lo, v41, v21, vcc_lo
	flat_load_u16 v58, v[60:61]
	s_waitcnt vmcnt(0) lgkmcnt(0)
	v_mul_f16_e32 v58, s15, v58
	s_branch .LBB241_131
.LBB241_130:
	v_mov_b32_e32 v58, 0
.LBB241_131:
	v_pk_max_f16 v60, v0, v0
	v_pk_max_f16 v61, v16, v16
	;; [unrolled: 1-line block ×4, first 2 shown]
	v_add_co_u32 v20, vcc_lo, v22, v20
	s_delay_alu instid0(VALU_DEP_4) | instskip(SKIP_1) | instid1(VALU_DEP_4)
	v_pk_min_f16 v60, v61, v60
	v_add_co_ci_u32_e32 v21, vcc_lo, v23, v21, vcc_lo
	v_pk_min_f16 v61, v63, v62
	s_delay_alu instid0(VALU_DEP_3) | instskip(NEXT) | instid1(VALU_DEP_1)
	v_pk_add_f16 v57, v57, v60
	v_pk_add_f16 v57, v57, v61
	s_delay_alu instid0(VALU_DEP_1) | instskip(NEXT) | instid1(VALU_DEP_1)
	v_lshrrev_b32_e32 v60, 16, v57
	v_add_f16_e32 v57, v57, v60
	s_delay_alu instid0(VALU_DEP_1) | instskip(SKIP_3) | instid1(SALU_CYCLE_1)
	v_add_f16_e32 v57, v57, v58
	global_store_b16 v[20:21], v57, off
	s_or_b32 exec_lo, exec_lo, s16
	s_and_b32 s18, s1, s8
	s_and_saveexec_b32 s16, s18
	s_cbranch_execz .LBB241_122
.LBB241_132:
	v_cmp_ne_u32_e32 vcc_lo, 1, v59
	v_lshlrev_b64 v[20:21], 1, v[26:27]
	s_cbranch_vccnz .LBB241_134
; %bb.133:
	s_delay_alu instid0(VALU_DEP_1) | instskip(NEXT) | instid1(VALU_DEP_2)
	v_add_co_u32 v57, vcc_lo, v40, v20
	v_add_co_ci_u32_e32 v58, vcc_lo, v41, v21, vcc_lo
	flat_load_u16 v57, v[57:58]
	s_waitcnt vmcnt(0) lgkmcnt(0)
	v_mul_f16_e32 v57, s15, v57
	s_branch .LBB241_135
.LBB241_134:
	v_mov_b32_e32 v57, 0
.LBB241_135:
	v_pk_max_f16 v58, v0, v0
	v_pk_max_f16 v60, v18, v18
	;; [unrolled: 1-line block ×4, first 2 shown]
	v_add_co_u32 v20, vcc_lo, v22, v20
	s_delay_alu instid0(VALU_DEP_4) | instskip(SKIP_1) | instid1(VALU_DEP_4)
	v_pk_min_f16 v58, v60, v58
	v_add_co_ci_u32_e32 v21, vcc_lo, v23, v21, vcc_lo
	v_pk_min_f16 v60, v62, v61
	s_delay_alu instid0(VALU_DEP_3) | instskip(NEXT) | instid1(VALU_DEP_1)
	v_pk_add_f16 v56, v56, v58
	v_pk_add_f16 v56, v56, v60
	s_delay_alu instid0(VALU_DEP_1) | instskip(NEXT) | instid1(VALU_DEP_1)
	v_lshrrev_b32_e32 v58, 16, v56
	v_add_f16_e32 v56, v56, v58
	s_delay_alu instid0(VALU_DEP_1) | instskip(SKIP_3) | instid1(SALU_CYCLE_1)
	v_add_f16_e32 v56, v56, v57
	global_store_b16 v[20:21], v56, off
	s_or_b32 exec_lo, exec_lo, s16
	s_and_b32 s18, s2, s8
	s_and_saveexec_b32 s16, s18
	s_cbranch_execz .LBB241_123
.LBB241_136:
	v_cmp_ne_u32_e32 vcc_lo, 1, v59
	v_lshlrev_b64 v[20:21], 1, v[28:29]
	s_cbranch_vccnz .LBB241_138
; %bb.137:
	s_delay_alu instid0(VALU_DEP_1) | instskip(NEXT) | instid1(VALU_DEP_2)
	v_add_co_u32 v56, vcc_lo, v40, v20
	v_add_co_ci_u32_e32 v57, vcc_lo, v41, v21, vcc_lo
	flat_load_u16 v56, v[56:57]
	s_waitcnt vmcnt(0) lgkmcnt(0)
	v_mul_f16_e32 v56, s15, v56
	s_branch .LBB241_139
.LBB241_138:
	v_mov_b32_e32 v56, 0
.LBB241_139:
	v_pk_max_f16 v57, v0, v0
	v_pk_max_f16 v58, v12, v12
	;; [unrolled: 1-line block ×4, first 2 shown]
	v_add_co_u32 v20, vcc_lo, v22, v20
	s_delay_alu instid0(VALU_DEP_4) | instskip(SKIP_1) | instid1(VALU_DEP_4)
	v_pk_min_f16 v57, v58, v57
	v_add_co_ci_u32_e32 v21, vcc_lo, v23, v21, vcc_lo
	v_pk_min_f16 v58, v61, v60
	s_delay_alu instid0(VALU_DEP_3) | instskip(NEXT) | instid1(VALU_DEP_1)
	v_pk_add_f16 v55, v55, v57
	v_pk_add_f16 v55, v55, v58
	s_delay_alu instid0(VALU_DEP_1) | instskip(NEXT) | instid1(VALU_DEP_1)
	v_lshrrev_b32_e32 v57, 16, v55
	v_add_f16_e32 v55, v55, v57
	s_delay_alu instid0(VALU_DEP_1) | instskip(SKIP_3) | instid1(SALU_CYCLE_1)
	v_add_f16_e32 v55, v55, v56
	global_store_b16 v[20:21], v55, off
	s_or_b32 exec_lo, exec_lo, s16
	s_and_b32 s18, s3, s8
	s_and_saveexec_b32 s16, s18
	s_cbranch_execz .LBB241_124
.LBB241_140:
	v_cmp_ne_u32_e32 vcc_lo, 1, v59
	v_lshlrev_b64 v[20:21], 1, v[30:31]
	s_cbranch_vccnz .LBB241_142
; %bb.141:
	s_delay_alu instid0(VALU_DEP_1) | instskip(NEXT) | instid1(VALU_DEP_2)
	v_add_co_u32 v55, vcc_lo, v40, v20
	v_add_co_ci_u32_e32 v56, vcc_lo, v41, v21, vcc_lo
	flat_load_u16 v55, v[55:56]
	s_waitcnt vmcnt(0) lgkmcnt(0)
	v_mul_f16_e32 v55, s15, v55
	s_branch .LBB241_143
.LBB241_142:
	v_mov_b32_e32 v55, 0
.LBB241_143:
	v_pk_max_f16 v56, v0, v0
	v_pk_max_f16 v57, v14, v14
	;; [unrolled: 1-line block ×4, first 2 shown]
	v_add_co_u32 v20, vcc_lo, v22, v20
	s_delay_alu instid0(VALU_DEP_4) | instskip(SKIP_1) | instid1(VALU_DEP_4)
	v_pk_min_f16 v56, v57, v56
	v_add_co_ci_u32_e32 v21, vcc_lo, v23, v21, vcc_lo
	v_pk_min_f16 v57, v60, v58
	s_delay_alu instid0(VALU_DEP_3) | instskip(NEXT) | instid1(VALU_DEP_1)
	v_pk_add_f16 v54, v54, v56
	v_pk_add_f16 v54, v54, v57
	s_delay_alu instid0(VALU_DEP_1) | instskip(NEXT) | instid1(VALU_DEP_1)
	v_lshrrev_b32_e32 v56, 16, v54
	v_add_f16_e32 v54, v54, v56
	s_delay_alu instid0(VALU_DEP_1) | instskip(SKIP_3) | instid1(SALU_CYCLE_1)
	v_add_f16_e32 v54, v54, v55
	global_store_b16 v[20:21], v54, off
	s_or_b32 exec_lo, exec_lo, s16
	s_and_b32 s18, s4, s8
	s_and_saveexec_b32 s16, s18
	s_cbranch_execz .LBB241_125
.LBB241_144:
	v_cmp_ne_u32_e32 vcc_lo, 1, v59
	v_lshlrev_b64 v[20:21], 1, v[32:33]
	s_cbranch_vccnz .LBB241_146
; %bb.145:
	s_delay_alu instid0(VALU_DEP_1) | instskip(NEXT) | instid1(VALU_DEP_2)
	v_add_co_u32 v54, vcc_lo, v40, v20
	v_add_co_ci_u32_e32 v55, vcc_lo, v41, v21, vcc_lo
	flat_load_u16 v54, v[54:55]
	s_waitcnt vmcnt(0) lgkmcnt(0)
	v_mul_f16_e32 v54, s15, v54
	s_branch .LBB241_147
.LBB241_146:
	v_mov_b32_e32 v54, 0
.LBB241_147:
	v_pk_max_f16 v55, v0, v0
	v_pk_max_f16 v56, v8, v8
	v_pk_max_f16 v57, v1, v1
	v_pk_max_f16 v58, v9, v9
	v_add_co_u32 v20, vcc_lo, v22, v20
	s_delay_alu instid0(VALU_DEP_4) | instskip(SKIP_1) | instid1(VALU_DEP_4)
	v_pk_min_f16 v55, v56, v55
	v_add_co_ci_u32_e32 v21, vcc_lo, v23, v21, vcc_lo
	v_pk_min_f16 v56, v58, v57
	s_delay_alu instid0(VALU_DEP_3) | instskip(NEXT) | instid1(VALU_DEP_1)
	v_pk_add_f16 v53, v53, v55
	v_pk_add_f16 v53, v53, v56
	s_delay_alu instid0(VALU_DEP_1) | instskip(NEXT) | instid1(VALU_DEP_1)
	v_lshrrev_b32_e32 v55, 16, v53
	v_add_f16_e32 v53, v53, v55
	s_delay_alu instid0(VALU_DEP_1) | instskip(SKIP_3) | instid1(SALU_CYCLE_1)
	v_add_f16_e32 v53, v53, v54
	global_store_b16 v[20:21], v53, off
	s_or_b32 exec_lo, exec_lo, s16
	s_and_b32 s18, s5, s8
	s_and_saveexec_b32 s16, s18
	s_cbranch_execz .LBB241_126
.LBB241_148:
	v_cmp_ne_u32_e32 vcc_lo, 1, v59
	v_lshlrev_b64 v[20:21], 1, v[34:35]
	s_cbranch_vccnz .LBB241_150
; %bb.149:
	s_delay_alu instid0(VALU_DEP_1) | instskip(NEXT) | instid1(VALU_DEP_2)
	v_add_co_u32 v53, vcc_lo, v40, v20
	v_add_co_ci_u32_e32 v54, vcc_lo, v41, v21, vcc_lo
	flat_load_u16 v53, v[53:54]
	s_waitcnt vmcnt(0) lgkmcnt(0)
	v_mul_f16_e32 v53, s15, v53
	s_branch .LBB241_151
.LBB241_150:
	v_mov_b32_e32 v53, 0
.LBB241_151:
	v_pk_max_f16 v54, v0, v0
	v_pk_max_f16 v55, v10, v10
	;; [unrolled: 1-line block ×4, first 2 shown]
	v_add_co_u32 v20, vcc_lo, v22, v20
	s_delay_alu instid0(VALU_DEP_4) | instskip(SKIP_1) | instid1(VALU_DEP_4)
	v_pk_min_f16 v54, v55, v54
	v_add_co_ci_u32_e32 v21, vcc_lo, v23, v21, vcc_lo
	v_pk_min_f16 v55, v57, v56
	s_delay_alu instid0(VALU_DEP_3) | instskip(NEXT) | instid1(VALU_DEP_1)
	v_pk_add_f16 v52, v52, v54
	v_pk_add_f16 v52, v52, v55
	s_delay_alu instid0(VALU_DEP_1) | instskip(NEXT) | instid1(VALU_DEP_1)
	v_lshrrev_b32_e32 v54, 16, v52
	v_add_f16_e32 v52, v52, v54
	s_delay_alu instid0(VALU_DEP_1) | instskip(SKIP_3) | instid1(SALU_CYCLE_1)
	v_add_f16_e32 v52, v52, v53
	global_store_b16 v[20:21], v52, off
	s_or_b32 exec_lo, exec_lo, s16
	s_and_b32 s18, s6, s8
	s_and_saveexec_b32 s16, s18
	s_cbranch_execz .LBB241_127
.LBB241_152:
	v_cmp_ne_u32_e32 vcc_lo, 1, v59
	v_lshlrev_b64 v[20:21], 1, v[36:37]
	s_cbranch_vccnz .LBB241_154
; %bb.153:
	s_delay_alu instid0(VALU_DEP_1) | instskip(NEXT) | instid1(VALU_DEP_2)
	v_add_co_u32 v52, vcc_lo, v40, v20
	v_add_co_ci_u32_e32 v53, vcc_lo, v41, v21, vcc_lo
	flat_load_u16 v52, v[52:53]
	s_waitcnt vmcnt(0) lgkmcnt(0)
	v_mul_f16_e32 v52, s15, v52
	s_branch .LBB241_155
.LBB241_154:
	v_mov_b32_e32 v52, 0
.LBB241_155:
	v_pk_max_f16 v53, v0, v0
	v_pk_max_f16 v54, v4, v4
	;; [unrolled: 1-line block ×4, first 2 shown]
	v_add_co_u32 v20, vcc_lo, v22, v20
	s_delay_alu instid0(VALU_DEP_4) | instskip(SKIP_1) | instid1(VALU_DEP_4)
	v_pk_min_f16 v53, v54, v53
	v_add_co_ci_u32_e32 v21, vcc_lo, v23, v21, vcc_lo
	v_pk_min_f16 v54, v56, v55
	s_delay_alu instid0(VALU_DEP_3) | instskip(NEXT) | instid1(VALU_DEP_1)
	v_pk_add_f16 v51, v51, v53
	v_pk_add_f16 v51, v51, v54
	s_delay_alu instid0(VALU_DEP_1) | instskip(NEXT) | instid1(VALU_DEP_1)
	v_lshrrev_b32_e32 v53, 16, v51
	v_add_f16_e32 v51, v51, v53
	s_delay_alu instid0(VALU_DEP_1) | instskip(SKIP_3) | instid1(SALU_CYCLE_1)
	v_add_f16_e32 v51, v51, v52
	global_store_b16 v[20:21], v51, off
	s_or_b32 exec_lo, exec_lo, s16
	s_and_b32 s16, s7, s8
	s_and_saveexec_b32 s8, s16
	s_cbranch_execz .LBB241_160
.LBB241_156:
	v_cmp_ne_u32_e32 vcc_lo, 1, v59
	v_lshlrev_b64 v[20:21], 1, v[38:39]
	s_cbranch_vccnz .LBB241_158
; %bb.157:
	s_delay_alu instid0(VALU_DEP_1) | instskip(NEXT) | instid1(VALU_DEP_2)
	v_add_co_u32 v40, vcc_lo, v40, v20
	v_add_co_ci_u32_e32 v41, vcc_lo, v41, v21, vcc_lo
	flat_load_u16 v40, v[40:41]
	s_waitcnt vmcnt(0) lgkmcnt(0)
	v_mul_f16_e32 v40, s15, v40
	s_branch .LBB241_159
.LBB241_158:
	v_mov_b32_e32 v40, 0
.LBB241_159:
	v_pk_max_f16 v0, v0, v0
	v_pk_max_f16 v41, v6, v6
	;; [unrolled: 1-line block ×4, first 2 shown]
	s_delay_alu instid0(VALU_DEP_3) | instskip(NEXT) | instid1(VALU_DEP_2)
	v_pk_min_f16 v0, v41, v0
	v_pk_min_f16 v1, v51, v1
	s_delay_alu instid0(VALU_DEP_2) | instskip(NEXT) | instid1(VALU_DEP_1)
	v_pk_add_f16 v0, v50, v0
	v_pk_add_f16 v0, v0, v1
	s_delay_alu instid0(VALU_DEP_1) | instskip(NEXT) | instid1(VALU_DEP_1)
	v_lshrrev_b32_e32 v1, 16, v0
	v_add_f16_e32 v0, v0, v1
	s_delay_alu instid0(VALU_DEP_1)
	v_add_f16_e32 v40, v0, v40
	v_add_co_u32 v0, vcc_lo, v22, v20
	v_add_co_ci_u32_e32 v1, vcc_lo, v23, v21, vcc_lo
	global_store_b16 v[0:1], v40, off
.LBB241_160:
	s_or_b32 exec_lo, exec_lo, s8
	v_add_nc_u32_e32 v22, 0x60, v66
	s_delay_alu instid0(VALU_DEP_1) | instskip(SKIP_2) | instid1(VALU_DEP_3)
	v_mad_i64_i32 v[0:1], null, v22, s12, 0
	v_mad_i64_i32 v[20:21], null, v22, s9, 0
	v_cmp_gt_i32_e64 s8, s17, v22
	v_lshlrev_b64 v[0:1], 1, v[0:1]
	s_delay_alu instid0(VALU_DEP_2) | instskip(NEXT) | instid1(VALU_DEP_3)
	s_and_b32 s9, s0, s8
	v_lshlrev_b64 v[20:21], 1, v[20:21]
	s_delay_alu instid0(VALU_DEP_2) | instskip(NEXT) | instid1(VALU_DEP_3)
	v_add_co_u32 v22, vcc_lo, s10, v0
	v_add_co_ci_u32_e32 v23, vcc_lo, s11, v1, vcc_lo
	s_delay_alu instid0(VALU_DEP_3) | instskip(NEXT) | instid1(VALU_DEP_4)
	v_add_co_u32 v20, vcc_lo, s13, v20
	v_add_co_ci_u32_e32 v21, vcc_lo, s14, v21, vcc_lo
	s_and_saveexec_b32 s0, s9
	s_cbranch_execnz .LBB241_169
; %bb.161:
	s_or_b32 exec_lo, exec_lo, s0
	s_and_b32 s1, s1, s8
	s_delay_alu instid0(SALU_CYCLE_1)
	s_and_saveexec_b32 s0, s1
	s_cbranch_execnz .LBB241_173
.LBB241_162:
	s_or_b32 exec_lo, exec_lo, s0
	s_and_b32 s1, s2, s8
	s_delay_alu instid0(SALU_CYCLE_1)
	s_and_saveexec_b32 s0, s1
	s_cbranch_execnz .LBB241_177
.LBB241_163:
	s_or_b32 exec_lo, exec_lo, s0
	s_and_b32 s1, s3, s8
	s_delay_alu instid0(SALU_CYCLE_1)
	s_and_saveexec_b32 s0, s1
	s_cbranch_execnz .LBB241_181
.LBB241_164:
	s_or_b32 exec_lo, exec_lo, s0
	s_and_b32 s1, s4, s8
	s_delay_alu instid0(SALU_CYCLE_1)
	s_and_saveexec_b32 s0, s1
	s_cbranch_execnz .LBB241_185
.LBB241_165:
	s_or_b32 exec_lo, exec_lo, s0
	s_and_b32 s1, s5, s8
	s_delay_alu instid0(SALU_CYCLE_1)
	s_and_saveexec_b32 s0, s1
	s_cbranch_execnz .LBB241_189
.LBB241_166:
	s_or_b32 exec_lo, exec_lo, s0
	s_and_b32 s1, s6, s8
	s_delay_alu instid0(SALU_CYCLE_1)
	s_and_saveexec_b32 s0, s1
	s_cbranch_execnz .LBB241_193
.LBB241_167:
	s_or_b32 exec_lo, exec_lo, s0
	s_and_b32 s0, s7, s8
	s_delay_alu instid0(SALU_CYCLE_1)
	s_and_saveexec_b32 s1, s0
	s_cbranch_execnz .LBB241_197
.LBB241_168:
	s_nop 0
	s_sendmsg sendmsg(MSG_DEALLOC_VGPRS)
	s_endpgm
.LBB241_169:
	v_cmp_ne_u32_e32 vcc_lo, 1, v59
	v_lshlrev_b64 v[0:1], 1, v[24:25]
	s_cbranch_vccnz .LBB241_171
; %bb.170:
	s_delay_alu instid0(VALU_DEP_1) | instskip(NEXT) | instid1(VALU_DEP_2)
	v_add_co_u32 v24, vcc_lo, v22, v0
	v_add_co_ci_u32_e32 v25, vcc_lo, v23, v1, vcc_lo
	flat_load_u16 v24, v[24:25]
	s_waitcnt vmcnt(0) lgkmcnt(0)
	v_mul_f16_e32 v24, s15, v24
	s_branch .LBB241_172
.LBB241_171:
	v_mov_b32_e32 v24, 0
.LBB241_172:
	v_pk_max_f16 v25, v2, v2
	v_pk_max_f16 v16, v16, v16
	;; [unrolled: 1-line block ×4, first 2 shown]
	v_add_co_u32 v0, vcc_lo, v20, v0
	s_delay_alu instid0(VALU_DEP_4) | instskip(SKIP_1) | instid1(VALU_DEP_4)
	v_pk_min_f16 v16, v16, v25
	v_add_co_ci_u32_e32 v1, vcc_lo, v21, v1, vcc_lo
	v_pk_min_f16 v17, v17, v40
	s_delay_alu instid0(VALU_DEP_3) | instskip(NEXT) | instid1(VALU_DEP_1)
	v_pk_add_f16 v16, v49, v16
	v_pk_add_f16 v16, v16, v17
	s_delay_alu instid0(VALU_DEP_1) | instskip(NEXT) | instid1(VALU_DEP_1)
	v_lshrrev_b32_e32 v17, 16, v16
	v_add_f16_e32 v16, v16, v17
	s_delay_alu instid0(VALU_DEP_1) | instskip(SKIP_3) | instid1(SALU_CYCLE_1)
	v_add_f16_e32 v16, v16, v24
	global_store_b16 v[0:1], v16, off
	s_or_b32 exec_lo, exec_lo, s0
	s_and_b32 s1, s1, s8
	s_and_saveexec_b32 s0, s1
	s_cbranch_execz .LBB241_162
.LBB241_173:
	v_cmp_ne_u32_e32 vcc_lo, 1, v59
	v_lshlrev_b64 v[0:1], 1, v[26:27]
	s_cbranch_vccnz .LBB241_175
; %bb.174:
	s_delay_alu instid0(VALU_DEP_1) | instskip(NEXT) | instid1(VALU_DEP_2)
	v_add_co_u32 v16, vcc_lo, v22, v0
	v_add_co_ci_u32_e32 v17, vcc_lo, v23, v1, vcc_lo
	flat_load_u16 v16, v[16:17]
	s_waitcnt vmcnt(0) lgkmcnt(0)
	v_mul_f16_e32 v16, s15, v16
	s_branch .LBB241_176
.LBB241_175:
	v_mov_b32_e32 v16, 0
.LBB241_176:
	v_pk_max_f16 v17, v2, v2
	v_pk_max_f16 v18, v18, v18
	;; [unrolled: 1-line block ×4, first 2 shown]
	v_add_co_u32 v0, vcc_lo, v20, v0
	s_delay_alu instid0(VALU_DEP_4) | instskip(SKIP_1) | instid1(VALU_DEP_4)
	v_pk_min_f16 v17, v18, v17
	v_add_co_ci_u32_e32 v1, vcc_lo, v21, v1, vcc_lo
	v_pk_min_f16 v18, v19, v24
	s_delay_alu instid0(VALU_DEP_3) | instskip(NEXT) | instid1(VALU_DEP_1)
	v_pk_add_f16 v17, v48, v17
	v_pk_add_f16 v17, v17, v18
	s_delay_alu instid0(VALU_DEP_1) | instskip(NEXT) | instid1(VALU_DEP_1)
	v_lshrrev_b32_e32 v18, 16, v17
	v_add_f16_e32 v17, v17, v18
	s_delay_alu instid0(VALU_DEP_1) | instskip(SKIP_3) | instid1(SALU_CYCLE_1)
	v_add_f16_e32 v16, v17, v16
	global_store_b16 v[0:1], v16, off
	s_or_b32 exec_lo, exec_lo, s0
	s_and_b32 s1, s2, s8
	s_and_saveexec_b32 s0, s1
	s_cbranch_execz .LBB241_163
.LBB241_177:
	v_cmp_ne_u32_e32 vcc_lo, 1, v59
	v_lshlrev_b64 v[0:1], 1, v[28:29]
	s_cbranch_vccnz .LBB241_179
; %bb.178:
	s_delay_alu instid0(VALU_DEP_1) | instskip(NEXT) | instid1(VALU_DEP_2)
	v_add_co_u32 v16, vcc_lo, v22, v0
	v_add_co_ci_u32_e32 v17, vcc_lo, v23, v1, vcc_lo
	flat_load_u16 v16, v[16:17]
	s_waitcnt vmcnt(0) lgkmcnt(0)
	v_mul_f16_e32 v16, s15, v16
	s_branch .LBB241_180
.LBB241_179:
	v_mov_b32_e32 v16, 0
.LBB241_180:
	v_pk_max_f16 v17, v2, v2
	v_pk_max_f16 v12, v12, v12
	;; [unrolled: 1-line block ×4, first 2 shown]
	v_add_co_u32 v0, vcc_lo, v20, v0
	s_delay_alu instid0(VALU_DEP_4) | instskip(SKIP_1) | instid1(VALU_DEP_4)
	v_pk_min_f16 v12, v12, v17
	v_add_co_ci_u32_e32 v1, vcc_lo, v21, v1, vcc_lo
	v_pk_min_f16 v13, v13, v18
	s_delay_alu instid0(VALU_DEP_3) | instskip(NEXT) | instid1(VALU_DEP_1)
	v_pk_add_f16 v12, v47, v12
	v_pk_add_f16 v12, v12, v13
	s_delay_alu instid0(VALU_DEP_1) | instskip(NEXT) | instid1(VALU_DEP_1)
	v_lshrrev_b32_e32 v13, 16, v12
	v_add_f16_e32 v12, v12, v13
	s_delay_alu instid0(VALU_DEP_1) | instskip(SKIP_3) | instid1(SALU_CYCLE_1)
	v_add_f16_e32 v12, v12, v16
	global_store_b16 v[0:1], v12, off
	s_or_b32 exec_lo, exec_lo, s0
	s_and_b32 s1, s3, s8
	s_and_saveexec_b32 s0, s1
	s_cbranch_execz .LBB241_164
.LBB241_181:
	v_cmp_ne_u32_e32 vcc_lo, 1, v59
	v_lshlrev_b64 v[0:1], 1, v[30:31]
	s_cbranch_vccnz .LBB241_183
; %bb.182:
	s_delay_alu instid0(VALU_DEP_1) | instskip(NEXT) | instid1(VALU_DEP_2)
	v_add_co_u32 v12, vcc_lo, v22, v0
	v_add_co_ci_u32_e32 v13, vcc_lo, v23, v1, vcc_lo
	flat_load_u16 v12, v[12:13]
	s_waitcnt vmcnt(0) lgkmcnt(0)
	v_mul_f16_e32 v12, s15, v12
	s_branch .LBB241_184
.LBB241_183:
	v_mov_b32_e32 v12, 0
.LBB241_184:
	v_pk_max_f16 v13, v2, v2
	v_pk_max_f16 v14, v14, v14
	;; [unrolled: 1-line block ×4, first 2 shown]
	v_add_co_u32 v0, vcc_lo, v20, v0
	s_delay_alu instid0(VALU_DEP_4) | instskip(SKIP_1) | instid1(VALU_DEP_4)
	v_pk_min_f16 v13, v14, v13
	v_add_co_ci_u32_e32 v1, vcc_lo, v21, v1, vcc_lo
	v_pk_min_f16 v14, v15, v16
	s_delay_alu instid0(VALU_DEP_3) | instskip(NEXT) | instid1(VALU_DEP_1)
	v_pk_add_f16 v13, v46, v13
	v_pk_add_f16 v13, v13, v14
	s_delay_alu instid0(VALU_DEP_1) | instskip(NEXT) | instid1(VALU_DEP_1)
	v_lshrrev_b32_e32 v14, 16, v13
	v_add_f16_e32 v13, v13, v14
	s_delay_alu instid0(VALU_DEP_1) | instskip(SKIP_3) | instid1(SALU_CYCLE_1)
	v_add_f16_e32 v12, v13, v12
	global_store_b16 v[0:1], v12, off
	s_or_b32 exec_lo, exec_lo, s0
	s_and_b32 s1, s4, s8
	s_and_saveexec_b32 s0, s1
	s_cbranch_execz .LBB241_165
.LBB241_185:
	v_cmp_ne_u32_e32 vcc_lo, 1, v59
	v_lshlrev_b64 v[0:1], 1, v[32:33]
	s_cbranch_vccnz .LBB241_187
; %bb.186:
	s_delay_alu instid0(VALU_DEP_1) | instskip(NEXT) | instid1(VALU_DEP_2)
	v_add_co_u32 v12, vcc_lo, v22, v0
	v_add_co_ci_u32_e32 v13, vcc_lo, v23, v1, vcc_lo
	flat_load_u16 v12, v[12:13]
	s_waitcnt vmcnt(0) lgkmcnt(0)
	v_mul_f16_e32 v12, s15, v12
	s_branch .LBB241_188
.LBB241_187:
	v_mov_b32_e32 v12, 0
.LBB241_188:
	v_pk_max_f16 v13, v2, v2
	v_pk_max_f16 v8, v8, v8
	;; [unrolled: 1-line block ×4, first 2 shown]
	v_add_co_u32 v0, vcc_lo, v20, v0
	s_delay_alu instid0(VALU_DEP_4) | instskip(SKIP_1) | instid1(VALU_DEP_4)
	v_pk_min_f16 v8, v8, v13
	v_add_co_ci_u32_e32 v1, vcc_lo, v21, v1, vcc_lo
	v_pk_min_f16 v9, v9, v14
	s_delay_alu instid0(VALU_DEP_3) | instskip(NEXT) | instid1(VALU_DEP_1)
	v_pk_add_f16 v8, v45, v8
	v_pk_add_f16 v8, v8, v9
	s_delay_alu instid0(VALU_DEP_1) | instskip(NEXT) | instid1(VALU_DEP_1)
	v_lshrrev_b32_e32 v9, 16, v8
	v_add_f16_e32 v8, v8, v9
	s_delay_alu instid0(VALU_DEP_1) | instskip(SKIP_3) | instid1(SALU_CYCLE_1)
	v_add_f16_e32 v8, v8, v12
	global_store_b16 v[0:1], v8, off
	s_or_b32 exec_lo, exec_lo, s0
	s_and_b32 s1, s5, s8
	s_and_saveexec_b32 s0, s1
	s_cbranch_execz .LBB241_166
.LBB241_189:
	v_cmp_ne_u32_e32 vcc_lo, 1, v59
	v_lshlrev_b64 v[0:1], 1, v[34:35]
	s_cbranch_vccnz .LBB241_191
; %bb.190:
	s_delay_alu instid0(VALU_DEP_1) | instskip(NEXT) | instid1(VALU_DEP_2)
	v_add_co_u32 v8, vcc_lo, v22, v0
	v_add_co_ci_u32_e32 v9, vcc_lo, v23, v1, vcc_lo
	flat_load_u16 v8, v[8:9]
	s_waitcnt vmcnt(0) lgkmcnt(0)
	v_mul_f16_e32 v8, s15, v8
	s_branch .LBB241_192
.LBB241_191:
	v_mov_b32_e32 v8, 0
.LBB241_192:
	v_pk_max_f16 v9, v2, v2
	v_pk_max_f16 v10, v10, v10
	;; [unrolled: 1-line block ×4, first 2 shown]
	v_add_co_u32 v0, vcc_lo, v20, v0
	s_delay_alu instid0(VALU_DEP_4) | instskip(SKIP_1) | instid1(VALU_DEP_4)
	v_pk_min_f16 v9, v10, v9
	v_add_co_ci_u32_e32 v1, vcc_lo, v21, v1, vcc_lo
	v_pk_min_f16 v10, v11, v12
	s_delay_alu instid0(VALU_DEP_3) | instskip(NEXT) | instid1(VALU_DEP_1)
	v_pk_add_f16 v9, v44, v9
	v_pk_add_f16 v9, v9, v10
	s_delay_alu instid0(VALU_DEP_1) | instskip(NEXT) | instid1(VALU_DEP_1)
	v_lshrrev_b32_e32 v10, 16, v9
	v_add_f16_e32 v9, v9, v10
	s_delay_alu instid0(VALU_DEP_1) | instskip(SKIP_3) | instid1(SALU_CYCLE_1)
	v_add_f16_e32 v8, v9, v8
	global_store_b16 v[0:1], v8, off
	s_or_b32 exec_lo, exec_lo, s0
	s_and_b32 s1, s6, s8
	s_and_saveexec_b32 s0, s1
	s_cbranch_execz .LBB241_167
.LBB241_193:
	v_cmp_ne_u32_e32 vcc_lo, 1, v59
	v_lshlrev_b64 v[0:1], 1, v[36:37]
	s_cbranch_vccnz .LBB241_195
; %bb.194:
	s_delay_alu instid0(VALU_DEP_1) | instskip(NEXT) | instid1(VALU_DEP_2)
	v_add_co_u32 v8, vcc_lo, v22, v0
	v_add_co_ci_u32_e32 v9, vcc_lo, v23, v1, vcc_lo
	flat_load_u16 v8, v[8:9]
	s_waitcnt vmcnt(0) lgkmcnt(0)
	v_mul_f16_e32 v8, s15, v8
	s_branch .LBB241_196
.LBB241_195:
	v_mov_b32_e32 v8, 0
.LBB241_196:
	v_pk_max_f16 v9, v2, v2
	v_pk_max_f16 v4, v4, v4
	;; [unrolled: 1-line block ×4, first 2 shown]
	v_add_co_u32 v0, vcc_lo, v20, v0
	s_delay_alu instid0(VALU_DEP_4) | instskip(SKIP_1) | instid1(VALU_DEP_4)
	v_pk_min_f16 v4, v4, v9
	v_add_co_ci_u32_e32 v1, vcc_lo, v21, v1, vcc_lo
	v_pk_min_f16 v5, v5, v10
	s_delay_alu instid0(VALU_DEP_3) | instskip(NEXT) | instid1(VALU_DEP_1)
	v_pk_add_f16 v4, v43, v4
	v_pk_add_f16 v4, v4, v5
	s_delay_alu instid0(VALU_DEP_1) | instskip(NEXT) | instid1(VALU_DEP_1)
	v_lshrrev_b32_e32 v5, 16, v4
	v_add_f16_e32 v4, v4, v5
	s_delay_alu instid0(VALU_DEP_1) | instskip(SKIP_3) | instid1(SALU_CYCLE_1)
	v_add_f16_e32 v4, v4, v8
	global_store_b16 v[0:1], v4, off
	s_or_b32 exec_lo, exec_lo, s0
	s_and_b32 s0, s7, s8
	s_and_saveexec_b32 s1, s0
	s_cbranch_execz .LBB241_168
.LBB241_197:
	v_cmp_ne_u32_e32 vcc_lo, 1, v59
	v_lshlrev_b64 v[0:1], 1, v[38:39]
	s_cbranch_vccnz .LBB241_199
; %bb.198:
	s_delay_alu instid0(VALU_DEP_1) | instskip(NEXT) | instid1(VALU_DEP_2)
	v_add_co_u32 v4, vcc_lo, v22, v0
	v_add_co_ci_u32_e32 v5, vcc_lo, v23, v1, vcc_lo
	flat_load_u16 v4, v[4:5]
	s_waitcnt vmcnt(0) lgkmcnt(0)
	v_mul_f16_e32 v4, s15, v4
	s_branch .LBB241_200
.LBB241_199:
	v_mov_b32_e32 v4, 0
.LBB241_200:
	v_pk_max_f16 v2, v2, v2
	v_pk_max_f16 v5, v6, v6
	;; [unrolled: 1-line block ×4, first 2 shown]
	v_add_co_u32 v0, vcc_lo, v20, v0
	s_delay_alu instid0(VALU_DEP_4) | instskip(SKIP_1) | instid1(VALU_DEP_4)
	v_pk_min_f16 v2, v5, v2
	v_add_co_ci_u32_e32 v1, vcc_lo, v21, v1, vcc_lo
	v_pk_min_f16 v3, v6, v3
	s_delay_alu instid0(VALU_DEP_3) | instskip(NEXT) | instid1(VALU_DEP_1)
	v_pk_add_f16 v2, v42, v2
	v_pk_add_f16 v2, v2, v3
	s_delay_alu instid0(VALU_DEP_1) | instskip(NEXT) | instid1(VALU_DEP_1)
	v_lshrrev_b32_e32 v3, 16, v2
	v_add_f16_e32 v2, v2, v3
	s_delay_alu instid0(VALU_DEP_1)
	v_add_f16_e32 v2, v2, v4
	global_store_b16 v[0:1], v2, off
	s_nop 0
	s_sendmsg sendmsg(MSG_DEALLOC_VGPRS)
	s_endpgm
	.section	.rodata,"a",@progbits
	.p2align	6, 0x0
	.amdhsa_kernel _ZN12_GLOBAL__N_120geam_min_plus_kernelIDF16_Dv2_DF16_S1_Li8ELi32ELi64ELi128ELi4ELi4ELi64ELi4ELi64ELc84ELc78ELb1ELb1ELb0EDF16_KPKDF16_KPDF16_EEviiiT16_PT17_ilS9_ilS7_S9_ilPT18_ili26rocblas_geam_ex_operation_
		.amdhsa_group_segment_fixed_size 3072
		.amdhsa_private_segment_fixed_size 0
		.amdhsa_kernarg_size 128
		.amdhsa_user_sgpr_count 14
		.amdhsa_user_sgpr_dispatch_ptr 0
		.amdhsa_user_sgpr_queue_ptr 0
		.amdhsa_user_sgpr_kernarg_segment_ptr 1
		.amdhsa_user_sgpr_dispatch_id 0
		.amdhsa_user_sgpr_private_segment_size 0
		.amdhsa_wavefront_size32 1
		.amdhsa_uses_dynamic_stack 0
		.amdhsa_enable_private_segment 0
		.amdhsa_system_sgpr_workgroup_id_x 1
		.amdhsa_system_sgpr_workgroup_id_y 0
		.amdhsa_system_sgpr_workgroup_id_z 1
		.amdhsa_system_sgpr_workgroup_info 0
		.amdhsa_system_vgpr_workitem_id 1
		.amdhsa_next_free_vgpr 120
		.amdhsa_next_free_sgpr 26
		.amdhsa_reserve_vcc 1
		.amdhsa_float_round_mode_32 0
		.amdhsa_float_round_mode_16_64 0
		.amdhsa_float_denorm_mode_32 3
		.amdhsa_float_denorm_mode_16_64 3
		.amdhsa_dx10_clamp 1
		.amdhsa_ieee_mode 1
		.amdhsa_fp16_overflow 0
		.amdhsa_workgroup_processor_mode 1
		.amdhsa_memory_ordered 1
		.amdhsa_forward_progress 0
		.amdhsa_shared_vgpr_count 0
		.amdhsa_exception_fp_ieee_invalid_op 0
		.amdhsa_exception_fp_denorm_src 0
		.amdhsa_exception_fp_ieee_div_zero 0
		.amdhsa_exception_fp_ieee_overflow 0
		.amdhsa_exception_fp_ieee_underflow 0
		.amdhsa_exception_fp_ieee_inexact 0
		.amdhsa_exception_int_div_zero 0
	.end_amdhsa_kernel
	.section	.text._ZN12_GLOBAL__N_120geam_min_plus_kernelIDF16_Dv2_DF16_S1_Li8ELi32ELi64ELi128ELi4ELi4ELi64ELi4ELi64ELc84ELc78ELb1ELb1ELb0EDF16_KPKDF16_KPDF16_EEviiiT16_PT17_ilS9_ilS7_S9_ilPT18_ili26rocblas_geam_ex_operation_,"axG",@progbits,_ZN12_GLOBAL__N_120geam_min_plus_kernelIDF16_Dv2_DF16_S1_Li8ELi32ELi64ELi128ELi4ELi4ELi64ELi4ELi64ELc84ELc78ELb1ELb1ELb0EDF16_KPKDF16_KPDF16_EEviiiT16_PT17_ilS9_ilS7_S9_ilPT18_ili26rocblas_geam_ex_operation_,comdat
.Lfunc_end241:
	.size	_ZN12_GLOBAL__N_120geam_min_plus_kernelIDF16_Dv2_DF16_S1_Li8ELi32ELi64ELi128ELi4ELi4ELi64ELi4ELi64ELc84ELc78ELb1ELb1ELb0EDF16_KPKDF16_KPDF16_EEviiiT16_PT17_ilS9_ilS7_S9_ilPT18_ili26rocblas_geam_ex_operation_, .Lfunc_end241-_ZN12_GLOBAL__N_120geam_min_plus_kernelIDF16_Dv2_DF16_S1_Li8ELi32ELi64ELi128ELi4ELi4ELi64ELi4ELi64ELc84ELc78ELb1ELb1ELb0EDF16_KPKDF16_KPDF16_EEviiiT16_PT17_ilS9_ilS7_S9_ilPT18_ili26rocblas_geam_ex_operation_
                                        ; -- End function
	.section	.AMDGPU.csdata,"",@progbits
; Kernel info:
; codeLenInByte = 12868
; NumSgprs: 28
; NumVgprs: 120
; ScratchSize: 0
; MemoryBound: 0
; FloatMode: 240
; IeeeMode: 1
; LDSByteSize: 3072 bytes/workgroup (compile time only)
; SGPRBlocks: 3
; VGPRBlocks: 14
; NumSGPRsForWavesPerEU: 28
; NumVGPRsForWavesPerEU: 120
; Occupancy: 12
; WaveLimiterHint : 1
; COMPUTE_PGM_RSRC2:SCRATCH_EN: 0
; COMPUTE_PGM_RSRC2:USER_SGPR: 14
; COMPUTE_PGM_RSRC2:TRAP_HANDLER: 0
; COMPUTE_PGM_RSRC2:TGID_X_EN: 1
; COMPUTE_PGM_RSRC2:TGID_Y_EN: 0
; COMPUTE_PGM_RSRC2:TGID_Z_EN: 1
; COMPUTE_PGM_RSRC2:TIDIG_COMP_CNT: 1
	.section	.text._ZN12_GLOBAL__N_120geam_min_plus_kernelIDF16_Dv2_DF16_S1_Li8ELi32ELi64ELi128ELi4ELi4ELi64ELi4ELi64ELc84ELc78ELb0ELb1ELb0EDF16_KPKDF16_KPDF16_EEviiiT16_PT17_ilS9_ilS7_S9_ilPT18_ili26rocblas_geam_ex_operation_,"axG",@progbits,_ZN12_GLOBAL__N_120geam_min_plus_kernelIDF16_Dv2_DF16_S1_Li8ELi32ELi64ELi128ELi4ELi4ELi64ELi4ELi64ELc84ELc78ELb0ELb1ELb0EDF16_KPKDF16_KPDF16_EEviiiT16_PT17_ilS9_ilS7_S9_ilPT18_ili26rocblas_geam_ex_operation_,comdat
	.globl	_ZN12_GLOBAL__N_120geam_min_plus_kernelIDF16_Dv2_DF16_S1_Li8ELi32ELi64ELi128ELi4ELi4ELi64ELi4ELi64ELc84ELc78ELb0ELb1ELb0EDF16_KPKDF16_KPDF16_EEviiiT16_PT17_ilS9_ilS7_S9_ilPT18_ili26rocblas_geam_ex_operation_ ; -- Begin function _ZN12_GLOBAL__N_120geam_min_plus_kernelIDF16_Dv2_DF16_S1_Li8ELi32ELi64ELi128ELi4ELi4ELi64ELi4ELi64ELc84ELc78ELb0ELb1ELb0EDF16_KPKDF16_KPDF16_EEviiiT16_PT17_ilS9_ilS7_S9_ilPT18_ili26rocblas_geam_ex_operation_
	.p2align	8
	.type	_ZN12_GLOBAL__N_120geam_min_plus_kernelIDF16_Dv2_DF16_S1_Li8ELi32ELi64ELi128ELi4ELi4ELi64ELi4ELi64ELc84ELc78ELb0ELb1ELb0EDF16_KPKDF16_KPDF16_EEviiiT16_PT17_ilS9_ilS7_S9_ilPT18_ili26rocblas_geam_ex_operation_,@function
_ZN12_GLOBAL__N_120geam_min_plus_kernelIDF16_Dv2_DF16_S1_Li8ELi32ELi64ELi128ELi4ELi4ELi64ELi4ELi64ELc84ELc78ELb0ELb1ELb0EDF16_KPKDF16_KPDF16_EEviiiT16_PT17_ilS9_ilS7_S9_ilPT18_ili26rocblas_geam_ex_operation_: ; @_ZN12_GLOBAL__N_120geam_min_plus_kernelIDF16_Dv2_DF16_S1_Li8ELi32ELi64ELi128ELi4ELi4ELi64ELi4ELi64ELc84ELc78ELb0ELb1ELb0EDF16_KPKDF16_KPDF16_EEviiiT16_PT17_ilS9_ilS7_S9_ilPT18_ili26rocblas_geam_ex_operation_
; %bb.0:
	s_clause 0x1
	s_load_b128 s[16:19], s[0:1], 0x0
	s_load_b128 s[4:7], s[0:1], 0x20
	s_mov_b32 s2, s15
	s_mov_b32 s3, 0
	s_waitcnt lgkmcnt(0)
	v_cmp_eq_f16_e64 s8, s19, 0
	v_cmp_neq_f16_e64 s21, s19, 0
	s_delay_alu instid0(VALU_DEP_2)
	s_and_b32 vcc_lo, exec_lo, s8
	s_cbranch_vccnz .LBB242_3
; %bb.1:
	s_load_b64 s[10:11], s[0:1], 0x10
	s_lshl_b64 s[12:13], s[2:3], 3
	s_waitcnt lgkmcnt(0)
	s_add_u32 s10, s10, s12
	s_addc_u32 s11, s11, s13
	s_lshl_b64 s[4:5], s[4:5], 1
	s_load_b64 s[10:11], s[10:11], 0x0
	s_waitcnt lgkmcnt(0)
	s_add_u32 s12, s10, s4
	s_addc_u32 s13, s11, s5
	s_and_not1_b32 vcc_lo, exec_lo, s8
	s_cbranch_vccnz .LBB242_4
.LBB242_2:
	s_mov_b64 s[8:9], 0
	s_and_not1_b32 vcc_lo, exec_lo, s3
	s_cbranch_vccz .LBB242_5
	s_branch .LBB242_6
.LBB242_3:
	s_mov_b64 s[12:13], 0
	s_and_not1_b32 vcc_lo, exec_lo, s8
	s_cbranch_vccz .LBB242_2
.LBB242_4:
	s_mov_b32 s3, -1
                                        ; implicit-def: $sgpr8_sgpr9
.LBB242_5:
	s_mov_b32 s3, 0
	s_load_b64 s[8:9], s[0:1], 0x38
	s_lshl_b64 s[4:5], s[2:3], 3
	s_delay_alu instid0(SALU_CYCLE_1) | instskip(SKIP_4) | instid1(SALU_CYCLE_1)
	s_add_u32 s4, s6, s4
	s_addc_u32 s5, s7, s5
	s_load_b64 s[4:5], s[4:5], 0x0
	s_waitcnt lgkmcnt(0)
	s_lshl_b64 s[6:7], s[8:9], 1
	s_add_u32 s8, s4, s6
	s_addc_u32 s9, s5, s7
.LBB242_6:
	s_clause 0x1
	s_load_b32 s15, s[0:1], 0x40
	s_load_b128 s[4:7], s[0:1], 0x58
	s_waitcnt lgkmcnt(0)
	v_cmp_eq_f16_e64 s10, s15, 0
	v_cmp_neq_f16_e64 s20, s15, 0
	s_delay_alu instid0(VALU_DEP_2)
	s_and_b32 vcc_lo, exec_lo, s10
	s_cbranch_vccnz .LBB242_8
; %bb.7:
	s_load_b64 s[10:11], s[0:1], 0x48
	s_lshl_b64 s[22:23], s[2:3], 3
	s_waitcnt lgkmcnt(0)
	s_add_u32 s10, s10, s22
	s_addc_u32 s11, s11, s23
	s_lshl_b64 s[4:5], s[4:5], 1
	s_load_b64 s[10:11], s[10:11], 0x0
	s_waitcnt lgkmcnt(0)
	s_add_u32 s10, s10, s4
	s_addc_u32 s11, s11, s5
	s_branch .LBB242_9
.LBB242_8:
	s_mov_b64 s[10:11], 0
.LBB242_9:
	s_lshl_b64 s[2:3], s[2:3], 3
	v_dual_mov_b32 v7, 0 :: v_dual_and_b32 v30, 0x3ff, v0
	s_add_u32 s4, s6, s2
	s_addc_u32 s5, s7, s3
	s_add_i32 s2, s16, -1
	v_bfe_u32 v31, v0, 10, 10
	s_ashr_i32 s3, s2, 31
	s_load_b32 s26, s[0:1], 0x18
	s_lshr_b32 s3, s3, 26
	s_load_b64 s[4:5], s[4:5], 0x0
	s_add_i32 s2, s2, s3
	v_lshl_add_u32 v0, v31, 3, v30
	s_ashr_i32 s2, s2, 6
	v_and_b32_e32 v32, 3, v30
	s_add_i32 s6, s2, 1
	s_not_b32 s2, s2
	v_cvt_f32_u32_e32 v1, s6
	v_mov_b32_e32 v8, 0
	s_delay_alu instid0(VALU_DEP_2) | instskip(SKIP_2) | instid1(VALU_DEP_1)
	v_rcp_iflag_f32_e32 v1, v1
	s_waitcnt_depctr 0xfff
	v_mul_f32_e32 v1, 0x4f7ffffe, v1
	v_cvt_u32_f32_e32 v1, v1
	s_delay_alu instid0(VALU_DEP_1) | instskip(SKIP_2) | instid1(VALU_DEP_3)
	v_readfirstlane_b32 s3, v1
	v_lshrrev_b32_e32 v1, 2, v0
	v_lshlrev_b32_e32 v0, 1, v32
	s_mul_i32 s2, s2, s3
	s_delay_alu instid0(SALU_CYCLE_1) | instskip(NEXT) | instid1(SALU_CYCLE_1)
	s_mul_hi_u32 s2, s3, s2
	s_add_i32 s3, s3, s2
	s_delay_alu instid0(SALU_CYCLE_1) | instskip(NEXT) | instid1(SALU_CYCLE_1)
	s_mul_hi_u32 s2, s14, s3
	s_mul_i32 s3, s2, s6
	s_add_i32 s7, s2, 1
	s_sub_i32 s3, s14, s3
	s_delay_alu instid0(SALU_CYCLE_1)
	s_sub_i32 s22, s3, s6
	s_cmp_ge_u32 s3, s6
	s_cselect_b32 s2, s7, s2
	s_cselect_b32 s3, s22, s3
	s_add_i32 s7, s2, 1
	s_cmp_ge_u32 s3, s6
	s_cselect_b32 s3, s7, s2
	s_delay_alu instid0(SALU_CYCLE_1) | instskip(NEXT) | instid1(SALU_CYCLE_1)
	s_mul_i32 s27, s3, s6
	s_sub_i32 s2, s14, s27
	s_delay_alu instid0(SALU_CYCLE_1) | instskip(SKIP_2) | instid1(VALU_DEP_1)
	s_lshl_b32 s6, s2, 6
	v_cmp_gt_i32_e64 s2, s18, v32
	v_add_nc_u32_e32 v5, s6, v1
	v_cmp_gt_i32_e32 vcc_lo, s16, v5
	s_delay_alu instid0(VALU_DEP_3) | instskip(NEXT) | instid1(SALU_CYCLE_1)
	s_and_b32 s2, s2, vcc_lo
	s_and_b32 s2, s21, s2
	s_delay_alu instid0(SALU_CYCLE_1)
	s_and_saveexec_b32 s7, s2
	s_cbranch_execz .LBB242_11
; %bb.10:
	s_waitcnt lgkmcnt(0)
	v_mad_i64_i32 v[2:3], null, v5, s26, 0
	s_delay_alu instid0(VALU_DEP_1) | instskip(NEXT) | instid1(VALU_DEP_1)
	v_lshlrev_b64 v[2:3], 1, v[2:3]
	v_add_co_u32 v2, s2, s12, v2
	s_delay_alu instid0(VALU_DEP_1) | instskip(NEXT) | instid1(VALU_DEP_2)
	v_add_co_ci_u32_e64 v3, s2, s13, v3, s2
	v_add_co_u32 v2, s2, v2, v0
	s_delay_alu instid0(VALU_DEP_1)
	v_add_co_ci_u32_e64 v3, s2, 0, v3, s2
	flat_load_u16 v2, v[2:3]
	s_waitcnt vmcnt(0) lgkmcnt(0)
	v_mul_f16_e32 v8, s19, v2
.LBB242_11:
	s_or_b32 exec_lo, exec_lo, s7
	s_add_i32 s22, s18, -1
	s_load_b32 s28, s[0:1], 0x30
	v_min_i32_e32 v3, s22, v32
	s_lshl_b32 s7, s3, 7
	s_xor_b32 s24, s21, -1
	v_add_nc_u32_e32 v2, s7, v1
	v_cmp_le_i32_e64 s2, s18, v32
	v_ashrrev_i32_e32 v4, 31, v3
	s_delay_alu instid0(VALU_DEP_3) | instskip(NEXT) | instid1(VALU_DEP_2)
	v_cmp_le_i32_e64 s3, s17, v2
	v_lshlrev_b64 v[3:4], 1, v[3:4]
	s_delay_alu instid0(VALU_DEP_2) | instskip(NEXT) | instid1(VALU_DEP_1)
	s_or_b32 s23, s3, s24
	v_add_co_u32 v6, s3, s8, v3
	s_delay_alu instid0(VALU_DEP_1) | instskip(SKIP_1) | instid1(SALU_CYCLE_1)
	v_add_co_ci_u32_e64 v10, s3, s9, v4, s3
	s_or_b32 s3, s2, s23
	s_xor_b32 s3, s3, -1
	s_delay_alu instid0(SALU_CYCLE_1)
	s_and_saveexec_b32 s25, s3
	s_cbranch_execz .LBB242_13
; %bb.12:
	s_waitcnt lgkmcnt(0)
	v_mad_i64_i32 v[3:4], null, v2, s28, 0
	s_delay_alu instid0(VALU_DEP_1) | instskip(NEXT) | instid1(VALU_DEP_1)
	v_lshlrev_b64 v[3:4], 1, v[3:4]
	v_add_co_u32 v3, s3, v6, v3
	s_delay_alu instid0(VALU_DEP_1)
	v_add_co_ci_u32_e64 v4, s3, v10, v4, s3
	flat_load_u16 v3, v[3:4]
	s_waitcnt vmcnt(0) lgkmcnt(0)
	v_mul_f16_e32 v7, s19, v3
.LBB242_13:
	s_or_b32 exec_lo, exec_lo, s25
	v_dual_mov_b32 v4, 0 :: v_dual_add_nc_u32 v3, 64, v2
	v_mov_b32_e32 v9, 0
	s_delay_alu instid0(VALU_DEP_2) | instskip(NEXT) | instid1(VALU_DEP_1)
	v_cmp_le_i32_e64 s3, s17, v3
	s_or_b32 s24, s3, s24
	s_delay_alu instid0(SALU_CYCLE_1) | instskip(NEXT) | instid1(SALU_CYCLE_1)
	s_or_b32 s2, s2, s24
	s_xor_b32 s2, s2, -1
	s_delay_alu instid0(SALU_CYCLE_1)
	s_and_saveexec_b32 s3, s2
	s_cbranch_execz .LBB242_15
; %bb.14:
	s_waitcnt lgkmcnt(0)
	v_mad_i64_i32 v[11:12], null, v3, s28, 0
	s_delay_alu instid0(VALU_DEP_1) | instskip(NEXT) | instid1(VALU_DEP_1)
	v_lshlrev_b64 v[11:12], 1, v[11:12]
	v_add_co_u32 v9, s2, v6, v11
	s_delay_alu instid0(VALU_DEP_1)
	v_add_co_ci_u32_e64 v10, s2, v10, v12, s2
	flat_load_u16 v6, v[9:10]
	s_waitcnt vmcnt(0) lgkmcnt(0)
	v_mul_f16_e32 v9, s19, v6
.LBB242_15:
	s_or_b32 exec_lo, exec_lo, s3
	v_or_b32_e32 v6, 4, v32
	s_delay_alu instid0(VALU_DEP_1) | instskip(NEXT) | instid1(VALU_DEP_1)
	v_cmp_gt_i32_e64 s2, s18, v6
	s_and_b32 s2, s2, vcc_lo
	s_delay_alu instid0(SALU_CYCLE_1) | instskip(NEXT) | instid1(SALU_CYCLE_1)
	s_and_b32 s2, s21, s2
	s_and_saveexec_b32 s3, s2
	s_cbranch_execz .LBB242_17
; %bb.16:
	s_waitcnt lgkmcnt(0)
	v_mad_i64_i32 v[10:11], null, v5, s26, 0
	s_delay_alu instid0(VALU_DEP_1) | instskip(NEXT) | instid1(VALU_DEP_1)
	v_lshlrev_b64 v[4:5], 1, v[10:11]
	v_add_co_u32 v4, s2, s12, v4
	s_delay_alu instid0(VALU_DEP_1) | instskip(NEXT) | instid1(VALU_DEP_2)
	v_add_co_ci_u32_e64 v5, s2, s13, v5, s2
	v_add_co_u32 v4, s2, v4, v0
	s_delay_alu instid0(VALU_DEP_1)
	v_add_co_ci_u32_e64 v5, s2, 0, v5, s2
	flat_load_u16 v4, v[4:5] offset:8
	s_waitcnt vmcnt(0) lgkmcnt(0)
	v_mul_f16_e32 v4, s19, v4
.LBB242_17:
	s_or_b32 exec_lo, exec_lo, s3
	v_min_i32_e32 v10, s22, v6
	v_cmp_le_i32_e64 s2, s18, v6
	v_dual_mov_b32 v5, 0 :: v_dual_mov_b32 v6, 0
	s_delay_alu instid0(VALU_DEP_3) | instskip(NEXT) | instid1(VALU_DEP_1)
	v_ashrrev_i32_e32 v11, 31, v10
	v_lshlrev_b64 v[10:11], 1, v[10:11]
	s_delay_alu instid0(VALU_DEP_1) | instskip(NEXT) | instid1(VALU_DEP_1)
	v_add_co_u32 v10, s3, s8, v10
	v_add_co_ci_u32_e64 v11, s3, s9, v11, s3
	s_or_b32 s3, s2, s23
	s_delay_alu instid0(SALU_CYCLE_1) | instskip(NEXT) | instid1(SALU_CYCLE_1)
	s_xor_b32 s3, s3, -1
	s_and_saveexec_b32 s25, s3
	s_cbranch_execz .LBB242_19
; %bb.18:
	s_waitcnt lgkmcnt(0)
	v_mad_i64_i32 v[12:13], null, v2, s28, 0
	s_delay_alu instid0(VALU_DEP_1) | instskip(NEXT) | instid1(VALU_DEP_1)
	v_lshlrev_b64 v[12:13], 1, v[12:13]
	v_add_co_u32 v12, s3, v10, v12
	s_delay_alu instid0(VALU_DEP_1)
	v_add_co_ci_u32_e64 v13, s3, v11, v13, s3
	flat_load_u16 v6, v[12:13]
	s_waitcnt vmcnt(0) lgkmcnt(0)
	v_mul_f16_e32 v6, s19, v6
.LBB242_19:
	s_or_b32 exec_lo, exec_lo, s25
	s_or_b32 s2, s2, s24
	s_delay_alu instid0(SALU_CYCLE_1) | instskip(NEXT) | instid1(SALU_CYCLE_1)
	s_xor_b32 s2, s2, -1
	s_and_saveexec_b32 s3, s2
	s_cbranch_execz .LBB242_21
; %bb.20:
	s_waitcnt lgkmcnt(0)
	v_mad_i64_i32 v[12:13], null, v3, s28, 0
	s_delay_alu instid0(VALU_DEP_1) | instskip(NEXT) | instid1(VALU_DEP_1)
	v_lshlrev_b64 v[12:13], 1, v[12:13]
	v_add_co_u32 v10, s2, v10, v12
	s_delay_alu instid0(VALU_DEP_1)
	v_add_co_ci_u32_e64 v11, s2, v11, v13, s2
	flat_load_u16 v5, v[10:11]
	s_waitcnt vmcnt(0) lgkmcnt(0)
	v_mul_f16_e32 v5, s19, v5
.LBB242_21:
	s_or_b32 exec_lo, exec_lo, s3
	v_lshlrev_b32_e32 v34, 3, v30
	v_lshl_or_b32 v35, v1, 3, v0
	v_lshlrev_b32_e32 v33, 3, v31
	s_mov_b32 s25, 0
	s_cmp_lt_i32 s18, 9
	v_add_nc_u32_e32 v27, 0x800, v34
	ds_store_b16 v35, v7
	ds_store_b16 v35, v8 offset:2048
	ds_store_b16 v35, v9 offset:512
	s_waitcnt lgkmcnt(0)
	s_barrier
	buffer_gl0_inv
	ds_load_2addr_b64 v[7:10], v33 offset1:32
	ds_load_2addr_b64 v[11:14], v27 offset0:48 offset1:56
	ds_load_2addr_b64 v[15:18], v33 offset0:64 offset1:96
	ds_load_2addr_b64 v[19:22], v27 offset1:8
	ds_load_2addr_b64 v[23:26], v27 offset0:16 offset1:24
	ds_load_2addr_b64 v[37:40], v27 offset0:32 offset1:40
	ds_store_b16 v35, v6 offset:1024
	ds_store_b16 v35, v4 offset:2560
	;; [unrolled: 1-line block ×3, first 2 shown]
	s_waitcnt lgkmcnt(0)
	s_barrier
	buffer_gl0_inv
	v_pk_max_f16 v7, v7, v7
	v_pk_max_f16 v9, v9, v9
	;; [unrolled: 1-line block ×8, first 2 shown]
	v_pk_min_f16 v48, v23, v15
	v_pk_min_f16 v49, v25, v9
	v_pk_max_f16 v19, v19, v19
	v_pk_max_f16 v21, v21, v21
	v_pk_min_f16 v27, v13, v7
	v_pk_add_f16 v51, v48, 0
	v_pk_min_f16 v48, v25, v7
	v_pk_min_f16 v50, v25, v15
	v_pk_add_f16 v53, v49, 0
	v_pk_min_f16 v49, v37, v9
	v_pk_max_f16 v39, v39, v39
	v_pk_add_f16 v52, v48, 0
	v_pk_min_f16 v48, v37, v7
	v_pk_max_f16 v11, v11, v11
	v_pk_max_f16 v8, v8, v8
	;; [unrolled: 1-line block ×3, first 2 shown]
	v_pk_min_f16 v28, v13, v9
	v_pk_add_f16 v59, v48, 0
	v_pk_min_f16 v48, v37, v15
	v_pk_min_f16 v37, v37, v17
	;; [unrolled: 1-line block ×10, first 2 shown]
	v_pk_add_f16 v27, v27, 0
	v_pk_min_f16 v21, v21, v17
	v_pk_min_f16 v46, v23, v7
	;; [unrolled: 1-line block ×5, first 2 shown]
	v_pk_add_f16 v54, v50, 0
	v_pk_add_f16 v60, v49, 0
	v_pk_min_f16 v49, v39, v7
	v_pk_min_f16 v50, v39, v9
	v_pk_add_f16 v66, v37, 0
	v_pk_min_f16 v37, v39, v15
	v_pk_min_f16 v39, v39, v17
	;; [unrolled: 1-line block ×6, first 2 shown]
	v_pk_max_f16 v10, v10, v10
	v_pk_min_f16 v13, v13, v17
	v_pk_min_f16 v17, v14, v8
	v_pk_add_f16 v28, v28, 0
	v_pk_add_f16 v72, v37, 0
	v_pk_max_f16 v16, v16, v16
	v_pk_min_f16 v37, v14, v10
	v_pk_max_f16 v20, v20, v20
	v_pk_add_f16 v68, v27, v17
	v_pk_max_f16 v17, v18, v18
	v_pk_add_f16 v36, v36, 0
	v_pk_add_f16 v19, v19, 0
	;; [unrolled: 1-line block ×3, first 2 shown]
	v_pk_min_f16 v18, v20, v8
	v_pk_min_f16 v27, v20, v10
	v_pk_min_f16 v28, v20, v16
	v_pk_min_f16 v20, v20, v17
	v_pk_max_f16 v22, v22, v22
	v_pk_add_f16 v41, v41, 0
	v_pk_add_f16 v43, v43, 0
	;; [unrolled: 1-line block ×8, first 2 shown]
	v_pk_min_f16 v18, v22, v8
	v_pk_min_f16 v19, v22, v10
	;; [unrolled: 1-line block ×4, first 2 shown]
	v_pk_max_f16 v24, v24, v24
	v_pk_add_f16 v29, v29, 0
	v_pk_add_f16 v46, v46, 0
	v_pk_add_f16 v47, v47, 0
	v_pk_add_f16 v23, v23, 0
	v_pk_add_f16 v61, v48, 0
	v_pk_add_f16 v73, v39, 0
	v_pk_min_f16 v39, v14, v16
	v_pk_add_f16 v67, v41, v27
	v_pk_add_f16 v41, v43, v18
	;; [unrolled: 1-line block ×5, first 2 shown]
	v_pk_min_f16 v18, v24, v8
	v_pk_min_f16 v19, v24, v10
	;; [unrolled: 1-line block ×4, first 2 shown]
	v_pk_max_f16 v22, v26, v26
	v_pk_add_f16 v25, v25, 0
	v_pk_add_f16 v71, v50, 0
	v_pk_add_f16 v50, v29, v39
	v_pk_add_f16 v39, v46, v18
	v_pk_add_f16 v64, v47, v19
	v_pk_add_f16 v55, v51, v20
	v_pk_add_f16 v47, v23, v21
	v_pk_min_f16 v18, v22, v8
	v_pk_min_f16 v19, v22, v10
	;; [unrolled: 1-line block ×4, first 2 shown]
	v_pk_max_f16 v22, v38, v38
	v_pk_add_f16 v37, v52, v18
	v_pk_add_f16 v63, v53, v19
	;; [unrolled: 1-line block ×4, first 2 shown]
	v_pk_min_f16 v18, v22, v8
	v_pk_min_f16 v19, v22, v10
	;; [unrolled: 1-line block ×4, first 2 shown]
	v_pk_max_f16 v22, v40, v40
	v_pk_max_f16 v12, v12, v12
	v_pk_add_f16 v42, v42, 0
	v_pk_add_f16 v7, v7, 0
	;; [unrolled: 1-line block ×10, first 2 shown]
	v_pk_min_f16 v18, v22, v8
	v_pk_min_f16 v19, v22, v10
	;; [unrolled: 1-line block ×9, first 2 shown]
	v_pk_add_f16 v57, v42, v28
	v_pk_add_f16 v38, v70, v18
	;; [unrolled: 1-line block ×10, first 2 shown]
	s_cbranch_scc1 .LBB242_36
; %bb.22:
	v_lshl_add_u32 v1, s14, 6, v1
	s_lshl_b32 s2, s27, 6
	v_mad_i64_i32 v[6:7], null, v2, s28, 0
	v_add_nc_u32_e32 v59, 0x800, v35
	s_delay_alu instid0(VALU_DEP_3)
	v_subrev_nc_u32_e32 v1, s2, v1
	v_add_nc_u32_e32 v66, 0x800, v34
	v_add_nc_u32_e32 v70, 0xa00, v35
	v_add_nc_u32_e32 v71, 0x400, v35
	v_lshl_add_u32 v72, v30, 3, 0xa00
	v_mad_i64_i32 v[4:5], null, s26, v1, 0
	v_lshlrev_b64 v[24:25], 1, v[6:7]
	v_lshl_add_u32 v73, v31, 3, 0x400
	s_delay_alu instid0(VALU_DEP_3) | instskip(SKIP_1) | instid1(VALU_DEP_2)
	v_lshlrev_b64 v[1:2], 1, v[4:5]
	v_mad_i64_i32 v[4:5], null, v3, s28, 0
	v_add_co_u32 v0, s2, v1, v0
	s_delay_alu instid0(VALU_DEP_1) | instskip(NEXT) | instid1(VALU_DEP_3)
	v_add_co_ci_u32_e64 v1, s2, 0, v2, s2
	v_lshlrev_b64 v[26:27], 1, v[4:5]
	s_delay_alu instid0(VALU_DEP_3) | instskip(NEXT) | instid1(VALU_DEP_1)
	v_add_co_u32 v0, s2, v0, s12
	v_add_co_ci_u32_e64 v1, s2, s13, v1, s2
	s_add_i32 s12, s18, -8
	s_delay_alu instid0(VALU_DEP_2) | instskip(NEXT) | instid1(VALU_DEP_1)
	v_add_co_u32 v28, s2, v0, 24
	v_add_co_ci_u32_e64 v29, s2, 0, v1, s2
	s_branch .LBB242_24
.LBB242_23:                             ;   in Loop: Header=BB242_24 Depth=1
	s_or_b32 exec_lo, exec_lo, s3
	v_pk_add_f16 v8, v41, v8
	v_pk_add_f16 v41, v65, v78
	;; [unrolled: 1-line block ×26, first 2 shown]
	ds_load_2addr_b64 v[37:40], v66 offset0:48 offset1:56
	ds_load_2addr_b64 v[41:44], v33 offset1:32
	v_pk_add_f16 v9, v47, v9
	ds_load_2addr_b64 v[45:48], v33 offset0:64 offset1:96
	v_pk_add_f16 v6, v62, v6
	v_pk_add_f16 v62, v52, v92
	;; [unrolled: 1-line block ×5, first 2 shown]
	ds_load_2addr_b64 v[49:52], v66 offset1:8
	v_pk_add_f16 v53, v53, v88
	v_pk_add_f16 v60, v60, v95
	;; [unrolled: 1-line block ×10, first 2 shown]
	s_waitcnt lgkmcnt(3)
	v_pk_max_f16 v39, v39, v39
	s_waitcnt lgkmcnt(2)
	v_pk_max_f16 v41, v41, v41
	v_pk_max_f16 v43, v43, v43
	s_waitcnt lgkmcnt(1)
	v_pk_max_f16 v45, v45, v45
	v_pk_add_f16 v57, v57, v5
	v_pk_add_f16 v11, v58, v11
	;; [unrolled: 1-line block ×5, first 2 shown]
	v_pk_min_f16 v5, v39, v41
	v_pk_min_f16 v6, v39, v43
	;; [unrolled: 1-line block ×3, first 2 shown]
	ds_load_2addr_b64 v[1:4], v66 offset0:16 offset1:24
	s_waitcnt lgkmcnt(1)
	v_pk_max_f16 v8, v49, v49
	v_pk_max_f16 v47, v47, v47
	v_pk_add_f16 v14, v14, v108
	v_pk_add_f16 v18, v18, v109
	;; [unrolled: 1-line block ×7, first 2 shown]
	v_pk_min_f16 v5, v8, v41
	v_pk_min_f16 v6, v8, v43
	;; [unrolled: 1-line block ×4, first 2 shown]
	v_pk_add_f16 v61, v61, v91
	v_pk_add_f16 v14, v14, v5
	v_pk_add_f16 v18, v18, v6
	v_pk_add_f16 v20, v20, v7
	v_pk_add_f16 v22, v22, v8
	ds_load_2addr_b64 v[5:8], v66 offset0:32 offset1:40
	s_waitcnt lgkmcnt(1)
	v_pk_max_f16 v1, v1, v1
	v_pk_add_f16 v10, v10, v117
	v_pk_add_f16 v23, v65, v23
	v_pk_max_f16 v51, v51, v51
	v_pk_max_f16 v3, v3, v3
	v_pk_min_f16 v65, v1, v43
	v_pk_add_f16 v36, v36, v87
	v_pk_add_f16 v55, v55, v99
	;; [unrolled: 1-line block ×5, first 2 shown]
	v_pk_min_f16 v61, v51, v41
	v_pk_min_f16 v62, v51, v43
	;; [unrolled: 1-line block ×5, first 2 shown]
	v_pk_add_f16 v10, v10, v65
	v_pk_min_f16 v65, v3, v43
	v_pk_add_f16 v56, v56, v101
	s_waitcnt lgkmcnt(0)
	v_pk_max_f16 v5, v5, v5
	v_pk_add_f16 v36, v36, v102
	v_pk_add_f16 v61, v76, v61
	;; [unrolled: 1-line block ×5, first 2 shown]
	v_pk_min_f16 v9, v3, v41
	v_pk_min_f16 v67, v3, v45
	v_pk_min_f16 v3, v3, v47
	v_pk_add_f16 v77, v55, v65
	v_pk_min_f16 v55, v5, v41
	v_pk_add_f16 v17, v63, v17
	v_pk_min_f16 v63, v51, v45
	;; [unrolled: 2-line block ×3, first 2 shown]
	v_pk_max_f16 v7, v7, v7
	v_pk_add_f16 v36, v36, v55
	v_pk_min_f16 v55, v5, v45
	v_pk_max_f16 v37, v37, v37
	v_pk_add_f16 v63, v78, v63
	v_pk_add_f16 v78, v83, v56
	v_pk_min_f16 v56, v7, v41
	v_pk_min_f16 v65, v7, v43
	v_pk_add_f16 v53, v53, v55
	v_pk_min_f16 v55, v7, v45
	v_pk_min_f16 v7, v7, v47
	v_pk_min_f16 v41, v37, v41
	v_pk_min_f16 v43, v37, v43
	v_pk_min_f16 v51, v51, v47
	v_pk_min_f16 v45, v37, v45
	v_pk_add_f16 v7, v17, v7
	v_pk_add_f16 v17, v19, v41
	;; [unrolled: 1-line block ×3, first 2 shown]
	v_pk_max_f16 v40, v40, v40
	v_pk_max_f16 v43, v44, v44
	v_pk_add_f16 v51, v79, v51
	v_pk_add_f16 v21, v23, v45
	v_pk_min_f16 v23, v37, v47
	v_pk_max_f16 v42, v42, v42
	v_pk_min_f16 v37, v39, v47
	v_pk_max_f16 v79, v46, v46
	v_pk_min_f16 v41, v40, v43
	v_pk_add_f16 v54, v54, v85
	v_pk_add_f16 v64, v80, v64
	;; [unrolled: 1-line block ×3, first 2 shown]
	v_pk_min_f16 v39, v40, v42
	v_pk_add_f16 v80, v60, v37
	v_pk_min_f16 v37, v40, v79
	v_pk_max_f16 v44, v50, v50
	v_pk_add_f16 v58, v12, v41
	v_pk_max_f16 v12, v48, v48
	v_pk_add_f16 v54, v54, v100
	v_pk_add_f16 v68, v49, v39
	;; [unrolled: 1-line block ×3, first 2 shown]
	v_pk_min_f16 v16, v44, v42
	v_pk_min_f16 v37, v44, v43
	;; [unrolled: 1-line block ×4, first 2 shown]
	v_pk_max_f16 v44, v52, v52
	v_pk_add_f16 v54, v54, v67
	v_pk_add_f16 v69, v14, v16
	;; [unrolled: 1-line block ×3, first 2 shown]
	v_pk_max_f16 v2, v2, v2
	v_pk_min_f16 v14, v44, v42
	v_pk_min_f16 v16, v44, v43
	v_pk_min_f16 v18, v44, v79
	v_pk_min_f16 v5, v5, v47
	v_pk_add_f16 v11, v11, v56
	v_pk_add_f16 v13, v13, v65
	;; [unrolled: 1-line block ×6, first 2 shown]
	v_pk_min_f16 v14, v2, v42
	v_pk_min_f16 v16, v2, v43
	;; [unrolled: 1-line block ×4, first 2 shown]
	v_pk_max_f16 v4, v4, v4
	v_pk_add_f16 v9, v82, v9
	v_pk_add_f16 v5, v57, v5
	;; [unrolled: 1-line block ×6, first 2 shown]
	v_pk_min_f16 v1, v4, v42
	v_pk_min_f16 v2, v4, v43
	;; [unrolled: 1-line block ×4, first 2 shown]
	v_pk_max_f16 v6, v6, v6
	v_pk_add_f16 v37, v9, v1
	v_pk_add_f16 v63, v77, v2
	;; [unrolled: 1-line block ×4, first 2 shown]
	v_pk_min_f16 v1, v6, v42
	v_pk_min_f16 v2, v6, v43
	;; [unrolled: 1-line block ×4, first 2 shown]
	v_pk_max_f16 v6, v8, v8
	v_pk_add_f16 v36, v36, v1
	v_pk_add_f16 v62, v78, v2
	;; [unrolled: 1-line block ×4, first 2 shown]
	v_pk_min_f16 v1, v6, v42
	v_pk_min_f16 v2, v6, v43
	;; [unrolled: 1-line block ×4, first 2 shown]
	v_pk_max_f16 v5, v38, v38
	v_pk_min_f16 v20, v44, v12
	v_pk_add_f16 v38, v11, v1
	v_pk_add_f16 v61, v13, v2
	;; [unrolled: 1-line block ×4, first 2 shown]
	v_pk_min_f16 v1, v5, v42
	v_pk_min_f16 v2, v5, v43
	;; [unrolled: 1-line block ×5, first 2 shown]
	v_add_co_u32 v28, s2, v28, 16
	v_pk_add_f16 v48, v51, v20
	v_pk_add_f16 v55, v76, v18
	;; [unrolled: 1-line block ×8, first 2 shown]
	v_add_co_ci_u32_e64 v29, s2, 0, v29, s2
	s_add_i32 s25, s25, 8
	ds_store_b16 v70, v74
	ds_store_b16 v71, v75
	ds_store_b16 v71, v0 offset:512
	s_cmp_ge_i32 s25, s12
	s_waitcnt lgkmcnt(0)
	s_barrier
	buffer_gl0_inv
	s_cbranch_scc1 .LBB242_36
.LBB242_24:                             ; =>This Inner Loop Header: Depth=1
	v_dual_mov_b32 v75, 0 :: v_dual_add_nc_u32 v74, s25, v32
	s_delay_alu instid0(VALU_DEP_1) | instskip(NEXT) | instid1(VALU_DEP_1)
	v_add_nc_u32_e32 v0, 8, v74
	v_cmp_gt_i32_e64 s2, s18, v0
	s_delay_alu instid0(VALU_DEP_1) | instskip(NEXT) | instid1(SALU_CYCLE_1)
	s_and_b32 s2, s2, vcc_lo
	s_and_b32 s2, s21, s2
	s_delay_alu instid0(SALU_CYCLE_1)
	s_and_saveexec_b32 s3, s2
	s_cbranch_execz .LBB242_26
; %bb.25:                               ;   in Loop: Header=BB242_24 Depth=1
	v_add_co_u32 v1, s2, -8, v28
	s_delay_alu instid0(VALU_DEP_1)
	v_add_co_ci_u32_e64 v2, s2, -1, v29, s2
	flat_load_u16 v1, v[1:2]
	s_waitcnt vmcnt(0) lgkmcnt(0)
	v_mul_f16_e32 v75, s19, v1
.LBB242_26:                             ;   in Loop: Header=BB242_24 Depth=1
	s_or_b32 exec_lo, exec_lo, s3
	v_min_i32_e32 v1, s22, v0
	v_cmp_le_i32_e64 s2, s18, v0
	v_dual_mov_b32 v76, 0 :: v_dual_mov_b32 v77, 0
	s_delay_alu instid0(VALU_DEP_3) | instskip(NEXT) | instid1(VALU_DEP_1)
	v_ashrrev_i32_e32 v2, 31, v1
	v_lshlrev_b64 v[1:2], 1, v[1:2]
	s_delay_alu instid0(VALU_DEP_1) | instskip(NEXT) | instid1(VALU_DEP_1)
	v_add_co_u32 v0, s3, s8, v1
	v_add_co_ci_u32_e64 v1, s3, s9, v2, s3
	s_or_b32 s3, s23, s2
	s_delay_alu instid0(SALU_CYCLE_1) | instskip(NEXT) | instid1(SALU_CYCLE_1)
	s_xor_b32 s3, s3, -1
	s_and_saveexec_b32 s13, s3
	s_cbranch_execz .LBB242_28
; %bb.27:                               ;   in Loop: Header=BB242_24 Depth=1
	v_add_co_u32 v2, s3, v0, v24
	s_delay_alu instid0(VALU_DEP_1)
	v_add_co_ci_u32_e64 v3, s3, v1, v25, s3
	flat_load_u16 v2, v[2:3]
	s_waitcnt vmcnt(0) lgkmcnt(0)
	v_mul_f16_e32 v77, s19, v2
.LBB242_28:                             ;   in Loop: Header=BB242_24 Depth=1
	s_or_b32 exec_lo, exec_lo, s13
	s_or_b32 s2, s24, s2
	s_delay_alu instid0(SALU_CYCLE_1) | instskip(NEXT) | instid1(SALU_CYCLE_1)
	s_xor_b32 s2, s2, -1
	s_and_saveexec_b32 s3, s2
	s_cbranch_execz .LBB242_30
; %bb.29:                               ;   in Loop: Header=BB242_24 Depth=1
	v_add_co_u32 v0, s2, v0, v26
	s_delay_alu instid0(VALU_DEP_1)
	v_add_co_ci_u32_e64 v1, s2, v1, v27, s2
	flat_load_u16 v0, v[0:1]
	s_waitcnt vmcnt(0) lgkmcnt(0)
	v_mul_f16_e32 v76, s19, v0
.LBB242_30:                             ;   in Loop: Header=BB242_24 Depth=1
	s_or_b32 exec_lo, exec_lo, s3
	ds_load_2addr_b64 v[0:3], v72 offset0:48 offset1:56
	ds_load_2addr_b64 v[12:15], v73 offset0:64 offset1:96
	ds_load_2addr_b64 v[20:23], v73 offset1:32
	ds_load_2addr_b64 v[16:19], v72 offset1:8
	ds_load_2addr_b64 v[8:11], v72 offset0:16 offset1:24
	ds_load_2addr_b64 v[4:7], v72 offset0:32 offset1:40
	v_add_nc_u32_e32 v78, 12, v74
	ds_store_b16 v59, v75
	ds_store_b16 v35, v77
	ds_store_b16 v35, v76 offset:512
	v_dual_mov_b32 v75, 0 :: v_dual_mov_b32 v74, 0
	s_waitcnt lgkmcnt(0)
	v_cmp_gt_i32_e64 s2, s18, v78
	s_barrier
	buffer_gl0_inv
	s_and_b32 s2, s2, vcc_lo
	s_delay_alu instid0(SALU_CYCLE_1) | instskip(NEXT) | instid1(SALU_CYCLE_1)
	s_and_b32 s3, s21, s2
	s_and_saveexec_b32 s2, s3
	s_cbranch_execz .LBB242_32
; %bb.31:                               ;   in Loop: Header=BB242_24 Depth=1
	flat_load_u16 v74, v[28:29]
	s_waitcnt vmcnt(0) lgkmcnt(0)
	v_mul_f16_e32 v74, s19, v74
.LBB242_32:                             ;   in Loop: Header=BB242_24 Depth=1
	s_or_b32 exec_lo, exec_lo, s2
	v_min_i32_e32 v76, s22, v78
	v_cmp_le_i32_e64 s2, s18, v78
	s_delay_alu instid0(VALU_DEP_2) | instskip(NEXT) | instid1(VALU_DEP_1)
	v_ashrrev_i32_e32 v77, 31, v76
	v_lshlrev_b64 v[76:77], 1, v[76:77]
	s_delay_alu instid0(VALU_DEP_1) | instskip(NEXT) | instid1(VALU_DEP_1)
	v_add_co_u32 v76, s3, s8, v76
	v_add_co_ci_u32_e64 v77, s3, s9, v77, s3
	s_or_b32 s3, s23, s2
	s_delay_alu instid0(SALU_CYCLE_1) | instskip(NEXT) | instid1(SALU_CYCLE_1)
	s_xor_b32 s3, s3, -1
	s_and_saveexec_b32 s13, s3
	s_cbranch_execz .LBB242_34
; %bb.33:                               ;   in Loop: Header=BB242_24 Depth=1
	v_add_co_u32 v78, s3, v76, v24
	s_delay_alu instid0(VALU_DEP_1)
	v_add_co_ci_u32_e64 v79, s3, v77, v25, s3
	flat_load_u16 v75, v[78:79]
	s_waitcnt vmcnt(0) lgkmcnt(0)
	v_mul_f16_e32 v75, s19, v75
.LBB242_34:                             ;   in Loop: Header=BB242_24 Depth=1
	s_or_b32 exec_lo, exec_lo, s13
	v_pk_max_f16 v98, v2, v2
	v_pk_max_f16 v94, v20, v20
	;; [unrolled: 1-line block ×12, first 2 shown]
	v_pk_min_f16 v2, v98, v94
	v_pk_min_f16 v12, v98, v95
	;; [unrolled: 1-line block ×25, first 2 shown]
	v_pk_max_f16 v0, v3, v3
	v_pk_max_f16 v21, v21, v21
	;; [unrolled: 1-line block ×9, first 2 shown]
	v_pk_min_f16 v108, v3, v21
	v_pk_min_f16 v109, v3, v23
	;; [unrolled: 1-line block ×4, first 2 shown]
	v_pk_max_f16 v3, v9, v9
	v_pk_max_f16 v7, v7, v7
	v_pk_max_f16 v1, v1, v1
	v_pk_min_f16 v22, v22, v99
	v_pk_min_f16 v80, v80, v99
	;; [unrolled: 1-line block ×35, first 2 shown]
	v_mov_b32_e32 v0, 0
	s_or_b32 s2, s24, s2
	s_delay_alu instid0(SALU_CYCLE_1) | instskip(NEXT) | instid1(SALU_CYCLE_1)
	s_xor_b32 s2, s2, -1
	s_and_saveexec_b32 s3, s2
	s_cbranch_execz .LBB242_23
; %bb.35:                               ;   in Loop: Header=BB242_24 Depth=1
	v_add_co_u32 v76, s2, v76, v26
	s_delay_alu instid0(VALU_DEP_1)
	v_add_co_ci_u32_e64 v77, s2, v77, v27, s2
	flat_load_u16 v0, v[76:77]
	s_waitcnt vmcnt(0) lgkmcnt(0)
	v_mul_f16_e32 v0, s19, v0
	s_branch .LBB242_23
.LBB242_36:
	s_clause 0x2
	s_load_b32 s12, s[0:1], 0x50
	s_load_b32 s9, s[0:1], 0x68
	s_load_b64 s[2:3], s[0:1], 0x70
	v_add_nc_u32_e32 v66, s7, v31
	v_add_nc_u32_e32 v8, 0x800, v34
	ds_load_2addr_b64 v[0:3], v33 offset0:192 offset1:224
	ds_load_2addr_b64 v[20:23], v33 offset0:128 offset1:160
	v_add_nc_u32_e32 v24, s6, v30
	ds_load_2addr_b64 v[4:7], v8 offset0:112 offset1:120
	ds_load_2addr_b64 v[16:19], v8 offset0:64 offset1:72
	;; [unrolled: 1-line block ×4, first 2 shown]
	v_cmp_gt_i32_e64 s8, s17, v66
	v_cmp_gt_i32_e64 s0, s16, v24
	v_cndmask_b32_e64 v59, 0, 1, s20
	s_waitcnt lgkmcnt(0)
	v_mad_i64_i32 v[25:26], null, v66, s12, 0
	v_mad_i64_i32 v[27:28], null, v66, s9, 0
	s_lshl_b64 s[2:3], s[2:3], 1
	s_delay_alu instid0(SALU_CYCLE_1) | instskip(SKIP_1) | instid1(VALU_DEP_2)
	s_add_u32 s13, s4, s2
	s_addc_u32 s14, s5, s3
	v_lshlrev_b64 v[29:30], 1, v[25:26]
	v_ashrrev_i32_e32 v25, 31, v24
	s_delay_alu instid0(VALU_DEP_3) | instskip(SKIP_1) | instid1(VALU_DEP_3)
	v_lshlrev_b64 v[26:27], 1, v[27:28]
	s_and_b32 s2, s0, s8
	v_add_co_u32 v72, vcc_lo, s10, v29
	s_delay_alu instid0(VALU_DEP_4) | instskip(NEXT) | instid1(VALU_DEP_3)
	v_add_co_ci_u32_e32 v73, vcc_lo, s11, v30, vcc_lo
	v_add_co_u32 v70, vcc_lo, s13, v26
	s_delay_alu instid0(VALU_DEP_4)
	v_add_co_ci_u32_e32 v71, vcc_lo, s14, v27, vcc_lo
	s_and_saveexec_b32 s1, s2
	s_cbranch_execz .LBB242_41
; %bb.37:
	v_lshlrev_b64 v[26:27], 1, v[24:25]
	s_and_not1_b32 vcc_lo, exec_lo, s20
	s_cbranch_vccnz .LBB242_39
; %bb.38:
	s_delay_alu instid0(VALU_DEP_1) | instskip(NEXT) | instid1(VALU_DEP_2)
	v_add_co_u32 v28, vcc_lo, v72, v26
	v_add_co_ci_u32_e32 v29, vcc_lo, v73, v27, vcc_lo
	flat_load_u16 v28, v[28:29]
	s_waitcnt vmcnt(0) lgkmcnt(0)
	v_mul_f16_e32 v28, s15, v28
	s_branch .LBB242_40
.LBB242_39:
	v_mov_b32_e32 v28, 0
.LBB242_40:
	v_pk_max_f16 v29, v20, v20
	v_pk_max_f16 v30, v16, v16
	;; [unrolled: 1-line block ×4, first 2 shown]
	v_add_co_u32 v26, vcc_lo, v70, v26
	s_delay_alu instid0(VALU_DEP_4) | instskip(SKIP_1) | instid1(VALU_DEP_4)
	v_pk_min_f16 v29, v30, v29
	v_add_co_ci_u32_e32 v27, vcc_lo, v71, v27, vcc_lo
	v_pk_min_f16 v30, v32, v31
	s_delay_alu instid0(VALU_DEP_3) | instskip(NEXT) | instid1(VALU_DEP_1)
	v_pk_add_f16 v29, v69, v29
	v_pk_add_f16 v29, v29, v30
	s_delay_alu instid0(VALU_DEP_1) | instskip(NEXT) | instid1(VALU_DEP_1)
	v_lshrrev_b32_e32 v30, 16, v29
	v_add_f16_e32 v29, v29, v30
	s_delay_alu instid0(VALU_DEP_1)
	v_add_f16_e32 v28, v29, v28
	global_store_b16 v[26:27], v28, off
.LBB242_41:
	s_or_b32 exec_lo, exec_lo, s1
	v_add_nc_u32_e32 v26, 8, v24
	s_delay_alu instid0(VALU_DEP_1) | instskip(SKIP_1) | instid1(VALU_DEP_2)
	v_cmp_gt_i32_e64 s1, s16, v26
	v_ashrrev_i32_e32 v27, 31, v26
	s_and_b32 s3, s1, s8
	s_delay_alu instid0(SALU_CYCLE_1)
	s_and_saveexec_b32 s2, s3
	s_cbranch_execz .LBB242_46
; %bb.42:
	v_cmp_ne_u32_e32 vcc_lo, 1, v59
	v_lshlrev_b64 v[28:29], 1, v[26:27]
	s_cbranch_vccnz .LBB242_44
; %bb.43:
	s_delay_alu instid0(VALU_DEP_1) | instskip(NEXT) | instid1(VALU_DEP_2)
	v_add_co_u32 v30, vcc_lo, v72, v28
	v_add_co_ci_u32_e32 v31, vcc_lo, v73, v29, vcc_lo
	flat_load_u16 v30, v[30:31]
	s_waitcnt vmcnt(0) lgkmcnt(0)
	v_mul_f16_e32 v30, s15, v30
	s_branch .LBB242_45
.LBB242_44:
	v_mov_b32_e32 v30, 0
.LBB242_45:
	v_pk_max_f16 v31, v20, v20
	v_pk_max_f16 v32, v18, v18
	v_pk_max_f16 v33, v21, v21
	v_pk_max_f16 v34, v19, v19
	v_add_co_u32 v28, vcc_lo, v70, v28
	s_delay_alu instid0(VALU_DEP_4) | instskip(SKIP_1) | instid1(VALU_DEP_4)
	v_pk_min_f16 v31, v32, v31
	v_add_co_ci_u32_e32 v29, vcc_lo, v71, v29, vcc_lo
	v_pk_min_f16 v32, v34, v33
	s_delay_alu instid0(VALU_DEP_3) | instskip(NEXT) | instid1(VALU_DEP_1)
	v_pk_add_f16 v31, v41, v31
	v_pk_add_f16 v31, v31, v32
	s_delay_alu instid0(VALU_DEP_1) | instskip(NEXT) | instid1(VALU_DEP_1)
	v_lshrrev_b32_e32 v32, 16, v31
	v_add_f16_e32 v31, v31, v32
	s_delay_alu instid0(VALU_DEP_1)
	v_add_f16_e32 v30, v31, v30
	global_store_b16 v[28:29], v30, off
.LBB242_46:
	s_or_b32 exec_lo, exec_lo, s2
	v_add_nc_u32_e32 v28, 16, v24
	s_delay_alu instid0(VALU_DEP_1) | instskip(SKIP_1) | instid1(VALU_DEP_2)
	v_cmp_gt_i32_e64 s2, s16, v28
	v_ashrrev_i32_e32 v29, 31, v28
	s_and_b32 s4, s2, s8
	s_delay_alu instid0(SALU_CYCLE_1)
	s_and_saveexec_b32 s3, s4
	s_cbranch_execz .LBB242_51
; %bb.47:
	v_cmp_ne_u32_e32 vcc_lo, 1, v59
	v_lshlrev_b64 v[30:31], 1, v[28:29]
	s_cbranch_vccnz .LBB242_49
; %bb.48:
	s_delay_alu instid0(VALU_DEP_1) | instskip(NEXT) | instid1(VALU_DEP_2)
	v_add_co_u32 v32, vcc_lo, v72, v30
	v_add_co_ci_u32_e32 v33, vcc_lo, v73, v31, vcc_lo
	flat_load_u16 v32, v[32:33]
	s_waitcnt vmcnt(0) lgkmcnt(0)
	v_mul_f16_e32 v32, s15, v32
	s_branch .LBB242_50
.LBB242_49:
	v_mov_b32_e32 v32, 0
.LBB242_50:
	v_pk_max_f16 v33, v20, v20
	v_pk_max_f16 v34, v12, v12
	v_pk_max_f16 v35, v21, v21
	v_pk_max_f16 v41, v13, v13
	v_add_co_u32 v30, vcc_lo, v70, v30
	s_delay_alu instid0(VALU_DEP_4) | instskip(SKIP_1) | instid1(VALU_DEP_4)
	v_pk_min_f16 v33, v34, v33
	v_add_co_ci_u32_e32 v31, vcc_lo, v71, v31, vcc_lo
	v_pk_min_f16 v34, v41, v35
	s_delay_alu instid0(VALU_DEP_3) | instskip(NEXT) | instid1(VALU_DEP_1)
	v_pk_add_f16 v33, v39, v33
	v_pk_add_f16 v33, v33, v34
	s_delay_alu instid0(VALU_DEP_1) | instskip(NEXT) | instid1(VALU_DEP_1)
	v_lshrrev_b32_e32 v34, 16, v33
	v_add_f16_e32 v33, v33, v34
	s_delay_alu instid0(VALU_DEP_1)
	v_add_f16_e32 v32, v33, v32
	global_store_b16 v[30:31], v32, off
.LBB242_51:
	s_or_b32 exec_lo, exec_lo, s3
	v_add_nc_u32_e32 v30, 24, v24
	s_delay_alu instid0(VALU_DEP_1) | instskip(SKIP_1) | instid1(VALU_DEP_2)
	v_cmp_gt_i32_e64 s3, s16, v30
	v_ashrrev_i32_e32 v31, 31, v30
	s_and_b32 s5, s3, s8
	s_delay_alu instid0(SALU_CYCLE_1)
	s_and_saveexec_b32 s4, s5
	s_cbranch_execz .LBB242_56
; %bb.52:
	v_cmp_ne_u32_e32 vcc_lo, 1, v59
	v_lshlrev_b64 v[32:33], 1, v[30:31]
	s_cbranch_vccnz .LBB242_54
; %bb.53:
	s_delay_alu instid0(VALU_DEP_1) | instskip(NEXT) | instid1(VALU_DEP_2)
	v_add_co_u32 v34, vcc_lo, v72, v32
	v_add_co_ci_u32_e32 v35, vcc_lo, v73, v33, vcc_lo
	flat_load_u16 v34, v[34:35]
	s_waitcnt vmcnt(0) lgkmcnt(0)
	v_mul_f16_e32 v34, s15, v34
	s_branch .LBB242_55
.LBB242_54:
	v_mov_b32_e32 v34, 0
.LBB242_55:
	v_pk_max_f16 v35, v20, v20
	v_pk_max_f16 v39, v14, v14
	v_pk_max_f16 v41, v21, v21
	v_pk_max_f16 v69, v15, v15
	v_add_co_u32 v32, vcc_lo, v70, v32
	s_delay_alu instid0(VALU_DEP_4) | instskip(SKIP_1) | instid1(VALU_DEP_4)
	v_pk_min_f16 v35, v39, v35
	v_add_co_ci_u32_e32 v33, vcc_lo, v71, v33, vcc_lo
	v_pk_min_f16 v39, v69, v41
	s_delay_alu instid0(VALU_DEP_3) | instskip(NEXT) | instid1(VALU_DEP_1)
	v_pk_add_f16 v35, v37, v35
	v_pk_add_f16 v35, v35, v39
	s_delay_alu instid0(VALU_DEP_1) | instskip(NEXT) | instid1(VALU_DEP_1)
	v_lshrrev_b32_e32 v37, 16, v35
	v_add_f16_e32 v35, v35, v37
	s_delay_alu instid0(VALU_DEP_1)
	v_add_f16_e32 v34, v35, v34
	global_store_b16 v[32:33], v34, off
.LBB242_56:
	s_or_b32 exec_lo, exec_lo, s4
	v_add_nc_u32_e32 v32, 32, v24
	s_delay_alu instid0(VALU_DEP_1) | instskip(SKIP_1) | instid1(VALU_DEP_2)
	v_cmp_gt_i32_e64 s4, s16, v32
	v_ashrrev_i32_e32 v33, 31, v32
	s_and_b32 s6, s4, s8
	s_delay_alu instid0(SALU_CYCLE_1)
	s_and_saveexec_b32 s5, s6
	s_cbranch_execz .LBB242_61
; %bb.57:
	v_cmp_ne_u32_e32 vcc_lo, 1, v59
	v_lshlrev_b64 v[34:35], 1, v[32:33]
	s_cbranch_vccnz .LBB242_59
; %bb.58:
	s_delay_alu instid0(VALU_DEP_1) | instskip(NEXT) | instid1(VALU_DEP_2)
	v_add_co_u32 v74, vcc_lo, v72, v34
	v_add_co_ci_u32_e32 v75, vcc_lo, v73, v35, vcc_lo
	flat_load_u16 v37, v[74:75]
	s_waitcnt vmcnt(0) lgkmcnt(0)
	v_mul_f16_e32 v37, s15, v37
	s_branch .LBB242_60
.LBB242_59:
	v_mov_b32_e32 v37, 0
.LBB242_60:
	v_pk_max_f16 v39, v20, v20
	v_pk_max_f16 v41, v8, v8
	v_pk_max_f16 v69, v21, v21
	v_pk_max_f16 v74, v9, v9
	v_add_co_u32 v34, vcc_lo, v70, v34
	s_delay_alu instid0(VALU_DEP_4) | instskip(SKIP_1) | instid1(VALU_DEP_4)
	v_pk_min_f16 v39, v41, v39
	v_add_co_ci_u32_e32 v35, vcc_lo, v71, v35, vcc_lo
	v_pk_min_f16 v41, v74, v69
	s_delay_alu instid0(VALU_DEP_3) | instskip(NEXT) | instid1(VALU_DEP_1)
	v_pk_add_f16 v36, v36, v39
	v_pk_add_f16 v36, v36, v41
	s_delay_alu instid0(VALU_DEP_1) | instskip(NEXT) | instid1(VALU_DEP_1)
	v_lshrrev_b32_e32 v39, 16, v36
	v_add_f16_e32 v36, v36, v39
	s_delay_alu instid0(VALU_DEP_1)
	v_add_f16_e32 v36, v36, v37
	global_store_b16 v[34:35], v36, off
.LBB242_61:
	s_or_b32 exec_lo, exec_lo, s5
	v_add_nc_u32_e32 v34, 40, v24
	s_delay_alu instid0(VALU_DEP_1) | instskip(SKIP_1) | instid1(VALU_DEP_2)
	v_cmp_gt_i32_e64 s5, s16, v34
	v_ashrrev_i32_e32 v35, 31, v34
	s_and_b32 s7, s5, s8
	s_delay_alu instid0(SALU_CYCLE_1)
	s_and_saveexec_b32 s6, s7
	s_cbranch_execz .LBB242_66
; %bb.62:
	v_cmp_ne_u32_e32 vcc_lo, 1, v59
	v_lshlrev_b64 v[36:37], 1, v[34:35]
	s_cbranch_vccnz .LBB242_64
; %bb.63:
	s_delay_alu instid0(VALU_DEP_1) | instskip(NEXT) | instid1(VALU_DEP_2)
	v_add_co_u32 v74, vcc_lo, v72, v36
	v_add_co_ci_u32_e32 v75, vcc_lo, v73, v37, vcc_lo
	flat_load_u16 v39, v[74:75]
	s_waitcnt vmcnt(0) lgkmcnt(0)
	v_mul_f16_e32 v39, s15, v39
	s_branch .LBB242_65
.LBB242_64:
	v_mov_b32_e32 v39, 0
.LBB242_65:
	v_pk_max_f16 v41, v20, v20
	v_pk_max_f16 v69, v10, v10
	v_pk_max_f16 v74, v21, v21
	v_pk_max_f16 v75, v11, v11
	v_add_co_u32 v36, vcc_lo, v70, v36
	s_delay_alu instid0(VALU_DEP_4) | instskip(SKIP_1) | instid1(VALU_DEP_4)
	v_pk_min_f16 v41, v69, v41
	v_add_co_ci_u32_e32 v37, vcc_lo, v71, v37, vcc_lo
	v_pk_min_f16 v69, v75, v74
	s_delay_alu instid0(VALU_DEP_3) | instskip(NEXT) | instid1(VALU_DEP_1)
	v_pk_add_f16 v38, v38, v41
	v_pk_add_f16 v38, v38, v69
	s_delay_alu instid0(VALU_DEP_1) | instskip(NEXT) | instid1(VALU_DEP_1)
	v_lshrrev_b32_e32 v41, 16, v38
	v_add_f16_e32 v38, v38, v41
	s_delay_alu instid0(VALU_DEP_1)
	v_add_f16_e32 v38, v38, v39
	global_store_b16 v[36:37], v38, off
.LBB242_66:
	s_or_b32 exec_lo, exec_lo, s6
	v_add_nc_u32_e32 v36, 48, v24
	s_delay_alu instid0(VALU_DEP_1) | instskip(SKIP_1) | instid1(VALU_DEP_2)
	v_cmp_gt_i32_e64 s6, s16, v36
	v_ashrrev_i32_e32 v37, 31, v36
	s_and_b32 s18, s6, s8
	s_delay_alu instid0(SALU_CYCLE_1)
	s_and_saveexec_b32 s7, s18
	s_cbranch_execz .LBB242_71
; %bb.67:
	v_cmp_ne_u32_e32 vcc_lo, 1, v59
	v_lshlrev_b64 v[38:39], 1, v[36:37]
	s_cbranch_vccnz .LBB242_69
; %bb.68:
	s_delay_alu instid0(VALU_DEP_1) | instskip(NEXT) | instid1(VALU_DEP_2)
	v_add_co_u32 v74, vcc_lo, v72, v38
	v_add_co_ci_u32_e32 v75, vcc_lo, v73, v39, vcc_lo
	flat_load_u16 v41, v[74:75]
	s_waitcnt vmcnt(0) lgkmcnt(0)
	v_mul_f16_e32 v41, s15, v41
	s_branch .LBB242_70
.LBB242_69:
	v_mov_b32_e32 v41, 0
.LBB242_70:
	v_pk_max_f16 v69, v20, v20
	v_pk_max_f16 v74, v4, v4
	v_pk_max_f16 v75, v21, v21
	v_pk_max_f16 v76, v5, v5
	v_add_co_u32 v38, vcc_lo, v70, v38
	s_delay_alu instid0(VALU_DEP_4) | instskip(SKIP_1) | instid1(VALU_DEP_4)
	v_pk_min_f16 v69, v74, v69
	v_add_co_ci_u32_e32 v39, vcc_lo, v71, v39, vcc_lo
	v_pk_min_f16 v74, v76, v75
	s_delay_alu instid0(VALU_DEP_3) | instskip(NEXT) | instid1(VALU_DEP_1)
	v_pk_add_f16 v40, v40, v69
	v_pk_add_f16 v40, v40, v74
	s_delay_alu instid0(VALU_DEP_1) | instskip(NEXT) | instid1(VALU_DEP_1)
	v_lshrrev_b32_e32 v69, 16, v40
	v_add_f16_e32 v40, v40, v69
	s_delay_alu instid0(VALU_DEP_1)
	v_add_f16_e32 v40, v40, v41
	global_store_b16 v[38:39], v40, off
.LBB242_71:
	s_or_b32 exec_lo, exec_lo, s7
	v_add_nc_u32_e32 v38, 56, v24
	s_delay_alu instid0(VALU_DEP_1) | instskip(SKIP_1) | instid1(VALU_DEP_2)
	v_cmp_gt_i32_e64 s7, s16, v38
	v_ashrrev_i32_e32 v39, 31, v38
	s_and_b32 s16, s7, s8
	s_delay_alu instid0(SALU_CYCLE_1)
	s_and_saveexec_b32 s8, s16
	s_cbranch_execz .LBB242_76
; %bb.72:
	v_cmp_ne_u32_e32 vcc_lo, 1, v59
	v_lshlrev_b64 v[40:41], 1, v[38:39]
	s_cbranch_vccnz .LBB242_74
; %bb.73:
	s_delay_alu instid0(VALU_DEP_1) | instskip(NEXT) | instid1(VALU_DEP_2)
	v_add_co_u32 v72, vcc_lo, v72, v40
	v_add_co_ci_u32_e32 v73, vcc_lo, v73, v41, vcc_lo
	flat_load_u16 v69, v[72:73]
	s_waitcnt vmcnt(0) lgkmcnt(0)
	v_mul_f16_e32 v69, s15, v69
	s_branch .LBB242_75
.LBB242_74:
	v_mov_b32_e32 v69, 0
.LBB242_75:
	v_pk_max_f16 v20, v20, v20
	v_pk_max_f16 v72, v6, v6
	;; [unrolled: 1-line block ×4, first 2 shown]
	s_delay_alu instid0(VALU_DEP_3) | instskip(NEXT) | instid1(VALU_DEP_2)
	v_pk_min_f16 v20, v72, v20
	v_pk_min_f16 v21, v73, v21
	s_delay_alu instid0(VALU_DEP_2) | instskip(NEXT) | instid1(VALU_DEP_1)
	v_pk_add_f16 v20, v68, v20
	v_pk_add_f16 v20, v20, v21
	s_delay_alu instid0(VALU_DEP_1) | instskip(NEXT) | instid1(VALU_DEP_1)
	v_lshrrev_b32_e32 v21, 16, v20
	v_add_f16_e32 v20, v20, v21
	s_delay_alu instid0(VALU_DEP_1)
	v_add_f16_e32 v68, v20, v69
	v_add_co_u32 v20, vcc_lo, v70, v40
	v_add_co_ci_u32_e32 v21, vcc_lo, v71, v41, vcc_lo
	global_store_b16 v[20:21], v68, off
.LBB242_76:
	s_or_b32 exec_lo, exec_lo, s8
	v_add_nc_u32_e32 v68, 32, v66
	s_delay_alu instid0(VALU_DEP_1) | instskip(SKIP_2) | instid1(VALU_DEP_3)
	v_mad_i64_i32 v[20:21], null, v68, s12, 0
	v_mad_i64_i32 v[40:41], null, v68, s9, 0
	v_cmp_gt_i32_e64 s8, s17, v68
	v_lshlrev_b64 v[20:21], 1, v[20:21]
	s_delay_alu instid0(VALU_DEP_2) | instskip(NEXT) | instid1(VALU_DEP_3)
	s_and_b32 s18, s0, s8
	v_lshlrev_b64 v[40:41], 1, v[40:41]
	s_delay_alu instid0(VALU_DEP_2) | instskip(NEXT) | instid1(VALU_DEP_3)
	v_add_co_u32 v68, vcc_lo, s10, v20
	v_add_co_ci_u32_e32 v69, vcc_lo, s11, v21, vcc_lo
	s_delay_alu instid0(VALU_DEP_3) | instskip(NEXT) | instid1(VALU_DEP_4)
	v_add_co_u32 v40, vcc_lo, s13, v40
	v_add_co_ci_u32_e32 v41, vcc_lo, s14, v41, vcc_lo
	s_and_saveexec_b32 s16, s18
	s_cbranch_execnz .LBB242_84
; %bb.77:
	s_or_b32 exec_lo, exec_lo, s16
	s_and_b32 s18, s1, s8
	s_delay_alu instid0(SALU_CYCLE_1)
	s_and_saveexec_b32 s16, s18
	s_cbranch_execnz .LBB242_88
.LBB242_78:
	s_or_b32 exec_lo, exec_lo, s16
	s_and_b32 s18, s2, s8
	s_delay_alu instid0(SALU_CYCLE_1)
	s_and_saveexec_b32 s16, s18
	s_cbranch_execnz .LBB242_92
.LBB242_79:
	s_or_b32 exec_lo, exec_lo, s16
	s_and_b32 s18, s3, s8
	s_delay_alu instid0(SALU_CYCLE_1)
	s_and_saveexec_b32 s16, s18
	s_cbranch_execnz .LBB242_96
.LBB242_80:
	s_or_b32 exec_lo, exec_lo, s16
	s_and_b32 s18, s4, s8
	s_delay_alu instid0(SALU_CYCLE_1)
	s_and_saveexec_b32 s16, s18
	s_cbranch_execnz .LBB242_100
.LBB242_81:
	s_or_b32 exec_lo, exec_lo, s16
	s_and_b32 s18, s5, s8
	s_delay_alu instid0(SALU_CYCLE_1)
	s_and_saveexec_b32 s16, s18
	s_cbranch_execnz .LBB242_104
.LBB242_82:
	s_or_b32 exec_lo, exec_lo, s16
	s_and_b32 s18, s6, s8
	s_delay_alu instid0(SALU_CYCLE_1)
	s_and_saveexec_b32 s16, s18
	s_cbranch_execnz .LBB242_108
.LBB242_83:
	s_or_b32 exec_lo, exec_lo, s16
	s_and_b32 s16, s7, s8
	s_delay_alu instid0(SALU_CYCLE_1)
	s_and_saveexec_b32 s8, s16
	s_cbranch_execnz .LBB242_112
	s_branch .LBB242_116
.LBB242_84:
	v_cmp_ne_u32_e32 vcc_lo, 1, v59
	v_lshlrev_b64 v[20:21], 1, v[24:25]
	s_cbranch_vccnz .LBB242_86
; %bb.85:
	s_delay_alu instid0(VALU_DEP_1) | instskip(NEXT) | instid1(VALU_DEP_2)
	v_add_co_u32 v70, vcc_lo, v68, v20
	v_add_co_ci_u32_e32 v71, vcc_lo, v69, v21, vcc_lo
	flat_load_u16 v70, v[70:71]
	s_waitcnt vmcnt(0) lgkmcnt(0)
	v_mul_f16_e32 v70, s15, v70
	s_branch .LBB242_87
.LBB242_86:
	v_mov_b32_e32 v70, 0
.LBB242_87:
	v_pk_max_f16 v71, v22, v22
	v_pk_max_f16 v72, v16, v16
	;; [unrolled: 1-line block ×4, first 2 shown]
	v_add_co_u32 v20, vcc_lo, v40, v20
	s_delay_alu instid0(VALU_DEP_4) | instskip(SKIP_1) | instid1(VALU_DEP_4)
	v_pk_min_f16 v71, v72, v71
	v_add_co_ci_u32_e32 v21, vcc_lo, v41, v21, vcc_lo
	v_pk_min_f16 v72, v74, v73
	s_delay_alu instid0(VALU_DEP_3) | instskip(NEXT) | instid1(VALU_DEP_1)
	v_pk_add_f16 v67, v67, v71
	v_pk_add_f16 v67, v67, v72
	s_delay_alu instid0(VALU_DEP_1) | instskip(NEXT) | instid1(VALU_DEP_1)
	v_lshrrev_b32_e32 v71, 16, v67
	v_add_f16_e32 v67, v67, v71
	s_delay_alu instid0(VALU_DEP_1) | instskip(SKIP_3) | instid1(SALU_CYCLE_1)
	v_add_f16_e32 v67, v67, v70
	global_store_b16 v[20:21], v67, off
	s_or_b32 exec_lo, exec_lo, s16
	s_and_b32 s18, s1, s8
	s_and_saveexec_b32 s16, s18
	s_cbranch_execz .LBB242_78
.LBB242_88:
	v_cmp_ne_u32_e32 vcc_lo, 1, v59
	v_lshlrev_b64 v[20:21], 1, v[26:27]
	s_cbranch_vccnz .LBB242_90
; %bb.89:
	s_delay_alu instid0(VALU_DEP_1) | instskip(NEXT) | instid1(VALU_DEP_2)
	v_add_co_u32 v70, vcc_lo, v68, v20
	v_add_co_ci_u32_e32 v71, vcc_lo, v69, v21, vcc_lo
	flat_load_u16 v67, v[70:71]
	s_waitcnt vmcnt(0) lgkmcnt(0)
	v_mul_f16_e32 v67, s15, v67
	s_branch .LBB242_91
.LBB242_90:
	v_mov_b32_e32 v67, 0
.LBB242_91:
	v_pk_max_f16 v70, v22, v22
	v_pk_max_f16 v71, v18, v18
	v_pk_max_f16 v72, v23, v23
	v_pk_max_f16 v73, v19, v19
	v_add_co_u32 v20, vcc_lo, v40, v20
	s_delay_alu instid0(VALU_DEP_4) | instskip(SKIP_1) | instid1(VALU_DEP_4)
	v_pk_min_f16 v70, v71, v70
	v_add_co_ci_u32_e32 v21, vcc_lo, v41, v21, vcc_lo
	v_pk_min_f16 v71, v73, v72
	s_delay_alu instid0(VALU_DEP_3) | instskip(NEXT) | instid1(VALU_DEP_1)
	v_pk_add_f16 v65, v65, v70
	v_pk_add_f16 v65, v65, v71
	s_delay_alu instid0(VALU_DEP_1) | instskip(NEXT) | instid1(VALU_DEP_1)
	v_lshrrev_b32_e32 v70, 16, v65
	v_add_f16_e32 v65, v65, v70
	s_delay_alu instid0(VALU_DEP_1) | instskip(SKIP_3) | instid1(SALU_CYCLE_1)
	v_add_f16_e32 v65, v65, v67
	global_store_b16 v[20:21], v65, off
	s_or_b32 exec_lo, exec_lo, s16
	s_and_b32 s18, s2, s8
	s_and_saveexec_b32 s16, s18
	s_cbranch_execz .LBB242_79
.LBB242_92:
	v_cmp_ne_u32_e32 vcc_lo, 1, v59
	v_lshlrev_b64 v[20:21], 1, v[28:29]
	s_cbranch_vccnz .LBB242_94
; %bb.93:
	s_delay_alu instid0(VALU_DEP_1) | instskip(NEXT) | instid1(VALU_DEP_2)
	v_add_co_u32 v70, vcc_lo, v68, v20
	v_add_co_ci_u32_e32 v71, vcc_lo, v69, v21, vcc_lo
	flat_load_u16 v65, v[70:71]
	s_waitcnt vmcnt(0) lgkmcnt(0)
	v_mul_f16_e32 v65, s15, v65
	s_branch .LBB242_95
.LBB242_94:
	v_mov_b32_e32 v65, 0
.LBB242_95:
	v_pk_max_f16 v67, v22, v22
	v_pk_max_f16 v70, v12, v12
	v_pk_max_f16 v71, v23, v23
	v_pk_max_f16 v72, v13, v13
	v_add_co_u32 v20, vcc_lo, v40, v20
	s_delay_alu instid0(VALU_DEP_4) | instskip(SKIP_1) | instid1(VALU_DEP_4)
	v_pk_min_f16 v67, v70, v67
	v_add_co_ci_u32_e32 v21, vcc_lo, v41, v21, vcc_lo
	v_pk_min_f16 v70, v72, v71
	s_delay_alu instid0(VALU_DEP_3) | instskip(NEXT) | instid1(VALU_DEP_1)
	v_pk_add_f16 v64, v64, v67
	v_pk_add_f16 v64, v64, v70
	s_delay_alu instid0(VALU_DEP_1) | instskip(NEXT) | instid1(VALU_DEP_1)
	v_lshrrev_b32_e32 v67, 16, v64
	v_add_f16_e32 v64, v64, v67
	s_delay_alu instid0(VALU_DEP_1) | instskip(SKIP_3) | instid1(SALU_CYCLE_1)
	v_add_f16_e32 v64, v64, v65
	global_store_b16 v[20:21], v64, off
	s_or_b32 exec_lo, exec_lo, s16
	s_and_b32 s18, s3, s8
	s_and_saveexec_b32 s16, s18
	s_cbranch_execz .LBB242_80
.LBB242_96:
	v_cmp_ne_u32_e32 vcc_lo, 1, v59
	v_lshlrev_b64 v[20:21], 1, v[30:31]
	s_cbranch_vccnz .LBB242_98
; %bb.97:
	s_delay_alu instid0(VALU_DEP_1) | instskip(NEXT) | instid1(VALU_DEP_2)
	v_add_co_u32 v64, vcc_lo, v68, v20
	v_add_co_ci_u32_e32 v65, vcc_lo, v69, v21, vcc_lo
	flat_load_u16 v64, v[64:65]
	s_waitcnt vmcnt(0) lgkmcnt(0)
	v_mul_f16_e32 v64, s15, v64
	s_branch .LBB242_99
.LBB242_98:
	v_mov_b32_e32 v64, 0
.LBB242_99:
	v_pk_max_f16 v65, v22, v22
	v_pk_max_f16 v67, v14, v14
	;; [unrolled: 1-line block ×4, first 2 shown]
	v_add_co_u32 v20, vcc_lo, v40, v20
	s_delay_alu instid0(VALU_DEP_4) | instskip(SKIP_1) | instid1(VALU_DEP_4)
	v_pk_min_f16 v65, v67, v65
	v_add_co_ci_u32_e32 v21, vcc_lo, v41, v21, vcc_lo
	v_pk_min_f16 v67, v71, v70
	s_delay_alu instid0(VALU_DEP_3) | instskip(NEXT) | instid1(VALU_DEP_1)
	v_pk_add_f16 v63, v63, v65
	v_pk_add_f16 v63, v63, v67
	s_delay_alu instid0(VALU_DEP_1) | instskip(NEXT) | instid1(VALU_DEP_1)
	v_lshrrev_b32_e32 v65, 16, v63
	v_add_f16_e32 v63, v63, v65
	s_delay_alu instid0(VALU_DEP_1) | instskip(SKIP_3) | instid1(SALU_CYCLE_1)
	v_add_f16_e32 v63, v63, v64
	global_store_b16 v[20:21], v63, off
	s_or_b32 exec_lo, exec_lo, s16
	s_and_b32 s18, s4, s8
	s_and_saveexec_b32 s16, s18
	s_cbranch_execz .LBB242_81
.LBB242_100:
	v_cmp_ne_u32_e32 vcc_lo, 1, v59
	v_lshlrev_b64 v[20:21], 1, v[32:33]
	s_cbranch_vccnz .LBB242_102
; %bb.101:
	s_delay_alu instid0(VALU_DEP_1) | instskip(NEXT) | instid1(VALU_DEP_2)
	v_add_co_u32 v63, vcc_lo, v68, v20
	v_add_co_ci_u32_e32 v64, vcc_lo, v69, v21, vcc_lo
	flat_load_u16 v63, v[63:64]
	s_waitcnt vmcnt(0) lgkmcnt(0)
	v_mul_f16_e32 v63, s15, v63
	s_branch .LBB242_103
.LBB242_102:
	v_mov_b32_e32 v63, 0
.LBB242_103:
	v_pk_max_f16 v64, v22, v22
	v_pk_max_f16 v65, v8, v8
	;; [unrolled: 1-line block ×4, first 2 shown]
	v_add_co_u32 v20, vcc_lo, v40, v20
	s_delay_alu instid0(VALU_DEP_4) | instskip(SKIP_1) | instid1(VALU_DEP_4)
	v_pk_min_f16 v64, v65, v64
	v_add_co_ci_u32_e32 v21, vcc_lo, v41, v21, vcc_lo
	v_pk_min_f16 v65, v70, v67
	s_delay_alu instid0(VALU_DEP_3) | instskip(NEXT) | instid1(VALU_DEP_1)
	v_pk_add_f16 v62, v62, v64
	v_pk_add_f16 v62, v62, v65
	s_delay_alu instid0(VALU_DEP_1) | instskip(NEXT) | instid1(VALU_DEP_1)
	v_lshrrev_b32_e32 v64, 16, v62
	v_add_f16_e32 v62, v62, v64
	s_delay_alu instid0(VALU_DEP_1) | instskip(SKIP_3) | instid1(SALU_CYCLE_1)
	v_add_f16_e32 v62, v62, v63
	global_store_b16 v[20:21], v62, off
	s_or_b32 exec_lo, exec_lo, s16
	s_and_b32 s18, s5, s8
	s_and_saveexec_b32 s16, s18
	s_cbranch_execz .LBB242_82
.LBB242_104:
	v_cmp_ne_u32_e32 vcc_lo, 1, v59
	v_lshlrev_b64 v[20:21], 1, v[34:35]
	s_cbranch_vccnz .LBB242_106
; %bb.105:
	s_delay_alu instid0(VALU_DEP_1) | instskip(NEXT) | instid1(VALU_DEP_2)
	v_add_co_u32 v62, vcc_lo, v68, v20
	v_add_co_ci_u32_e32 v63, vcc_lo, v69, v21, vcc_lo
	flat_load_u16 v62, v[62:63]
	s_waitcnt vmcnt(0) lgkmcnt(0)
	v_mul_f16_e32 v62, s15, v62
	s_branch .LBB242_107
.LBB242_106:
	v_mov_b32_e32 v62, 0
.LBB242_107:
	v_pk_max_f16 v63, v22, v22
	v_pk_max_f16 v64, v10, v10
	;; [unrolled: 1-line block ×4, first 2 shown]
	v_add_co_u32 v20, vcc_lo, v40, v20
	s_delay_alu instid0(VALU_DEP_4) | instskip(SKIP_1) | instid1(VALU_DEP_4)
	v_pk_min_f16 v63, v64, v63
	v_add_co_ci_u32_e32 v21, vcc_lo, v41, v21, vcc_lo
	v_pk_min_f16 v64, v67, v65
	s_delay_alu instid0(VALU_DEP_3) | instskip(NEXT) | instid1(VALU_DEP_1)
	v_pk_add_f16 v61, v61, v63
	v_pk_add_f16 v61, v61, v64
	s_delay_alu instid0(VALU_DEP_1) | instskip(NEXT) | instid1(VALU_DEP_1)
	v_lshrrev_b32_e32 v63, 16, v61
	v_add_f16_e32 v61, v61, v63
	s_delay_alu instid0(VALU_DEP_1) | instskip(SKIP_3) | instid1(SALU_CYCLE_1)
	v_add_f16_e32 v61, v61, v62
	global_store_b16 v[20:21], v61, off
	s_or_b32 exec_lo, exec_lo, s16
	s_and_b32 s18, s6, s8
	s_and_saveexec_b32 s16, s18
	s_cbranch_execz .LBB242_83
.LBB242_108:
	v_cmp_ne_u32_e32 vcc_lo, 1, v59
	v_lshlrev_b64 v[20:21], 1, v[36:37]
	s_cbranch_vccnz .LBB242_110
; %bb.109:
	s_delay_alu instid0(VALU_DEP_1) | instskip(NEXT) | instid1(VALU_DEP_2)
	v_add_co_u32 v61, vcc_lo, v68, v20
	v_add_co_ci_u32_e32 v62, vcc_lo, v69, v21, vcc_lo
	flat_load_u16 v61, v[61:62]
	s_waitcnt vmcnt(0) lgkmcnt(0)
	v_mul_f16_e32 v61, s15, v61
	s_branch .LBB242_111
.LBB242_110:
	v_mov_b32_e32 v61, 0
.LBB242_111:
	v_pk_max_f16 v62, v22, v22
	v_pk_max_f16 v63, v4, v4
	;; [unrolled: 1-line block ×4, first 2 shown]
	v_add_co_u32 v20, vcc_lo, v40, v20
	s_delay_alu instid0(VALU_DEP_4) | instskip(SKIP_1) | instid1(VALU_DEP_4)
	v_pk_min_f16 v62, v63, v62
	v_add_co_ci_u32_e32 v21, vcc_lo, v41, v21, vcc_lo
	v_pk_min_f16 v63, v65, v64
	s_delay_alu instid0(VALU_DEP_3) | instskip(NEXT) | instid1(VALU_DEP_1)
	v_pk_add_f16 v60, v60, v62
	v_pk_add_f16 v60, v60, v63
	s_delay_alu instid0(VALU_DEP_1) | instskip(NEXT) | instid1(VALU_DEP_1)
	v_lshrrev_b32_e32 v62, 16, v60
	v_add_f16_e32 v60, v60, v62
	s_delay_alu instid0(VALU_DEP_1) | instskip(SKIP_3) | instid1(SALU_CYCLE_1)
	v_add_f16_e32 v60, v60, v61
	global_store_b16 v[20:21], v60, off
	s_or_b32 exec_lo, exec_lo, s16
	s_and_b32 s16, s7, s8
	s_and_saveexec_b32 s8, s16
	s_cbranch_execz .LBB242_116
.LBB242_112:
	v_cmp_ne_u32_e32 vcc_lo, 1, v59
	v_lshlrev_b64 v[20:21], 1, v[38:39]
	s_cbranch_vccnz .LBB242_114
; %bb.113:
	s_delay_alu instid0(VALU_DEP_1) | instskip(NEXT) | instid1(VALU_DEP_2)
	v_add_co_u32 v60, vcc_lo, v68, v20
	v_add_co_ci_u32_e32 v61, vcc_lo, v69, v21, vcc_lo
	flat_load_u16 v60, v[60:61]
	s_waitcnt vmcnt(0) lgkmcnt(0)
	v_mul_f16_e32 v60, s15, v60
	s_branch .LBB242_115
.LBB242_114:
	v_mov_b32_e32 v60, 0
.LBB242_115:
	v_pk_max_f16 v22, v22, v22
	v_pk_max_f16 v61, v6, v6
	;; [unrolled: 1-line block ×4, first 2 shown]
	v_add_co_u32 v20, vcc_lo, v40, v20
	s_delay_alu instid0(VALU_DEP_4) | instskip(SKIP_1) | instid1(VALU_DEP_4)
	v_pk_min_f16 v22, v61, v22
	v_add_co_ci_u32_e32 v21, vcc_lo, v41, v21, vcc_lo
	v_pk_min_f16 v23, v62, v23
	s_delay_alu instid0(VALU_DEP_3) | instskip(NEXT) | instid1(VALU_DEP_1)
	v_pk_add_f16 v22, v58, v22
	v_pk_add_f16 v22, v22, v23
	s_delay_alu instid0(VALU_DEP_1) | instskip(NEXT) | instid1(VALU_DEP_1)
	v_lshrrev_b32_e32 v23, 16, v22
	v_add_f16_e32 v22, v22, v23
	s_delay_alu instid0(VALU_DEP_1)
	v_add_f16_e32 v22, v22, v60
	global_store_b16 v[20:21], v22, off
.LBB242_116:
	s_or_b32 exec_lo, exec_lo, s8
	v_add_nc_u32_e32 v40, 64, v66
	s_delay_alu instid0(VALU_DEP_1) | instskip(SKIP_2) | instid1(VALU_DEP_3)
	v_mad_i64_i32 v[20:21], null, v40, s12, 0
	v_mad_i64_i32 v[22:23], null, v40, s9, 0
	v_cmp_gt_i32_e64 s8, s17, v40
	v_lshlrev_b64 v[20:21], 1, v[20:21]
	s_delay_alu instid0(VALU_DEP_2) | instskip(NEXT) | instid1(VALU_DEP_3)
	s_and_b32 s18, s0, s8
	v_lshlrev_b64 v[22:23], 1, v[22:23]
	s_delay_alu instid0(VALU_DEP_2) | instskip(NEXT) | instid1(VALU_DEP_3)
	v_add_co_u32 v40, vcc_lo, s10, v20
	v_add_co_ci_u32_e32 v41, vcc_lo, s11, v21, vcc_lo
	s_delay_alu instid0(VALU_DEP_3) | instskip(NEXT) | instid1(VALU_DEP_4)
	v_add_co_u32 v22, vcc_lo, s13, v22
	v_add_co_ci_u32_e32 v23, vcc_lo, s14, v23, vcc_lo
	s_and_saveexec_b32 s16, s18
	s_cbranch_execnz .LBB242_124
; %bb.117:
	s_or_b32 exec_lo, exec_lo, s16
	s_and_b32 s18, s1, s8
	s_delay_alu instid0(SALU_CYCLE_1)
	s_and_saveexec_b32 s16, s18
	s_cbranch_execnz .LBB242_128
.LBB242_118:
	s_or_b32 exec_lo, exec_lo, s16
	s_and_b32 s18, s2, s8
	s_delay_alu instid0(SALU_CYCLE_1)
	s_and_saveexec_b32 s16, s18
	s_cbranch_execnz .LBB242_132
.LBB242_119:
	s_or_b32 exec_lo, exec_lo, s16
	s_and_b32 s18, s3, s8
	s_delay_alu instid0(SALU_CYCLE_1)
	s_and_saveexec_b32 s16, s18
	s_cbranch_execnz .LBB242_136
.LBB242_120:
	s_or_b32 exec_lo, exec_lo, s16
	s_and_b32 s18, s4, s8
	s_delay_alu instid0(SALU_CYCLE_1)
	s_and_saveexec_b32 s16, s18
	s_cbranch_execnz .LBB242_140
.LBB242_121:
	s_or_b32 exec_lo, exec_lo, s16
	s_and_b32 s18, s5, s8
	s_delay_alu instid0(SALU_CYCLE_1)
	s_and_saveexec_b32 s16, s18
	s_cbranch_execnz .LBB242_144
.LBB242_122:
	s_or_b32 exec_lo, exec_lo, s16
	s_and_b32 s18, s6, s8
	s_delay_alu instid0(SALU_CYCLE_1)
	s_and_saveexec_b32 s16, s18
	s_cbranch_execnz .LBB242_148
.LBB242_123:
	s_or_b32 exec_lo, exec_lo, s16
	s_and_b32 s16, s7, s8
	s_delay_alu instid0(SALU_CYCLE_1)
	s_and_saveexec_b32 s8, s16
	s_cbranch_execnz .LBB242_152
	s_branch .LBB242_156
.LBB242_124:
	v_cmp_ne_u32_e32 vcc_lo, 1, v59
	v_lshlrev_b64 v[20:21], 1, v[24:25]
	s_cbranch_vccnz .LBB242_126
; %bb.125:
	s_delay_alu instid0(VALU_DEP_1) | instskip(NEXT) | instid1(VALU_DEP_2)
	v_add_co_u32 v60, vcc_lo, v40, v20
	v_add_co_ci_u32_e32 v61, vcc_lo, v41, v21, vcc_lo
	flat_load_u16 v58, v[60:61]
	s_waitcnt vmcnt(0) lgkmcnt(0)
	v_mul_f16_e32 v58, s15, v58
	s_branch .LBB242_127
.LBB242_126:
	v_mov_b32_e32 v58, 0
.LBB242_127:
	v_pk_max_f16 v60, v0, v0
	v_pk_max_f16 v61, v16, v16
	v_pk_max_f16 v62, v1, v1
	v_pk_max_f16 v63, v17, v17
	v_add_co_u32 v20, vcc_lo, v22, v20
	s_delay_alu instid0(VALU_DEP_4) | instskip(SKIP_1) | instid1(VALU_DEP_4)
	v_pk_min_f16 v60, v61, v60
	v_add_co_ci_u32_e32 v21, vcc_lo, v23, v21, vcc_lo
	v_pk_min_f16 v61, v63, v62
	s_delay_alu instid0(VALU_DEP_3) | instskip(NEXT) | instid1(VALU_DEP_1)
	v_pk_add_f16 v57, v57, v60
	v_pk_add_f16 v57, v57, v61
	s_delay_alu instid0(VALU_DEP_1) | instskip(NEXT) | instid1(VALU_DEP_1)
	v_lshrrev_b32_e32 v60, 16, v57
	v_add_f16_e32 v57, v57, v60
	s_delay_alu instid0(VALU_DEP_1) | instskip(SKIP_3) | instid1(SALU_CYCLE_1)
	v_add_f16_e32 v57, v57, v58
	global_store_b16 v[20:21], v57, off
	s_or_b32 exec_lo, exec_lo, s16
	s_and_b32 s18, s1, s8
	s_and_saveexec_b32 s16, s18
	s_cbranch_execz .LBB242_118
.LBB242_128:
	v_cmp_ne_u32_e32 vcc_lo, 1, v59
	v_lshlrev_b64 v[20:21], 1, v[26:27]
	s_cbranch_vccnz .LBB242_130
; %bb.129:
	s_delay_alu instid0(VALU_DEP_1) | instskip(NEXT) | instid1(VALU_DEP_2)
	v_add_co_u32 v57, vcc_lo, v40, v20
	v_add_co_ci_u32_e32 v58, vcc_lo, v41, v21, vcc_lo
	flat_load_u16 v57, v[57:58]
	s_waitcnt vmcnt(0) lgkmcnt(0)
	v_mul_f16_e32 v57, s15, v57
	s_branch .LBB242_131
.LBB242_130:
	v_mov_b32_e32 v57, 0
.LBB242_131:
	v_pk_max_f16 v58, v0, v0
	v_pk_max_f16 v60, v18, v18
	v_pk_max_f16 v61, v1, v1
	v_pk_max_f16 v62, v19, v19
	v_add_co_u32 v20, vcc_lo, v22, v20
	s_delay_alu instid0(VALU_DEP_4) | instskip(SKIP_1) | instid1(VALU_DEP_4)
	v_pk_min_f16 v58, v60, v58
	v_add_co_ci_u32_e32 v21, vcc_lo, v23, v21, vcc_lo
	v_pk_min_f16 v60, v62, v61
	s_delay_alu instid0(VALU_DEP_3) | instskip(NEXT) | instid1(VALU_DEP_1)
	v_pk_add_f16 v56, v56, v58
	v_pk_add_f16 v56, v56, v60
	s_delay_alu instid0(VALU_DEP_1) | instskip(NEXT) | instid1(VALU_DEP_1)
	v_lshrrev_b32_e32 v58, 16, v56
	v_add_f16_e32 v56, v56, v58
	s_delay_alu instid0(VALU_DEP_1) | instskip(SKIP_3) | instid1(SALU_CYCLE_1)
	v_add_f16_e32 v56, v56, v57
	global_store_b16 v[20:21], v56, off
	s_or_b32 exec_lo, exec_lo, s16
	s_and_b32 s18, s2, s8
	s_and_saveexec_b32 s16, s18
	s_cbranch_execz .LBB242_119
.LBB242_132:
	v_cmp_ne_u32_e32 vcc_lo, 1, v59
	v_lshlrev_b64 v[20:21], 1, v[28:29]
	s_cbranch_vccnz .LBB242_134
; %bb.133:
	s_delay_alu instid0(VALU_DEP_1) | instskip(NEXT) | instid1(VALU_DEP_2)
	v_add_co_u32 v56, vcc_lo, v40, v20
	v_add_co_ci_u32_e32 v57, vcc_lo, v41, v21, vcc_lo
	flat_load_u16 v56, v[56:57]
	s_waitcnt vmcnt(0) lgkmcnt(0)
	v_mul_f16_e32 v56, s15, v56
	s_branch .LBB242_135
.LBB242_134:
	v_mov_b32_e32 v56, 0
.LBB242_135:
	v_pk_max_f16 v57, v0, v0
	v_pk_max_f16 v58, v12, v12
	;; [unrolled: 1-line block ×4, first 2 shown]
	v_add_co_u32 v20, vcc_lo, v22, v20
	s_delay_alu instid0(VALU_DEP_4) | instskip(SKIP_1) | instid1(VALU_DEP_4)
	v_pk_min_f16 v57, v58, v57
	v_add_co_ci_u32_e32 v21, vcc_lo, v23, v21, vcc_lo
	v_pk_min_f16 v58, v61, v60
	s_delay_alu instid0(VALU_DEP_3) | instskip(NEXT) | instid1(VALU_DEP_1)
	v_pk_add_f16 v55, v55, v57
	v_pk_add_f16 v55, v55, v58
	s_delay_alu instid0(VALU_DEP_1) | instskip(NEXT) | instid1(VALU_DEP_1)
	v_lshrrev_b32_e32 v57, 16, v55
	v_add_f16_e32 v55, v55, v57
	s_delay_alu instid0(VALU_DEP_1) | instskip(SKIP_3) | instid1(SALU_CYCLE_1)
	v_add_f16_e32 v55, v55, v56
	global_store_b16 v[20:21], v55, off
	s_or_b32 exec_lo, exec_lo, s16
	s_and_b32 s18, s3, s8
	s_and_saveexec_b32 s16, s18
	s_cbranch_execz .LBB242_120
.LBB242_136:
	v_cmp_ne_u32_e32 vcc_lo, 1, v59
	v_lshlrev_b64 v[20:21], 1, v[30:31]
	s_cbranch_vccnz .LBB242_138
; %bb.137:
	s_delay_alu instid0(VALU_DEP_1) | instskip(NEXT) | instid1(VALU_DEP_2)
	v_add_co_u32 v55, vcc_lo, v40, v20
	v_add_co_ci_u32_e32 v56, vcc_lo, v41, v21, vcc_lo
	flat_load_u16 v55, v[55:56]
	s_waitcnt vmcnt(0) lgkmcnt(0)
	v_mul_f16_e32 v55, s15, v55
	s_branch .LBB242_139
.LBB242_138:
	v_mov_b32_e32 v55, 0
.LBB242_139:
	v_pk_max_f16 v56, v0, v0
	v_pk_max_f16 v57, v14, v14
	;; [unrolled: 1-line block ×4, first 2 shown]
	v_add_co_u32 v20, vcc_lo, v22, v20
	s_delay_alu instid0(VALU_DEP_4) | instskip(SKIP_1) | instid1(VALU_DEP_4)
	v_pk_min_f16 v56, v57, v56
	v_add_co_ci_u32_e32 v21, vcc_lo, v23, v21, vcc_lo
	v_pk_min_f16 v57, v60, v58
	s_delay_alu instid0(VALU_DEP_3) | instskip(NEXT) | instid1(VALU_DEP_1)
	v_pk_add_f16 v54, v54, v56
	v_pk_add_f16 v54, v54, v57
	s_delay_alu instid0(VALU_DEP_1) | instskip(NEXT) | instid1(VALU_DEP_1)
	v_lshrrev_b32_e32 v56, 16, v54
	v_add_f16_e32 v54, v54, v56
	s_delay_alu instid0(VALU_DEP_1) | instskip(SKIP_3) | instid1(SALU_CYCLE_1)
	v_add_f16_e32 v54, v54, v55
	global_store_b16 v[20:21], v54, off
	s_or_b32 exec_lo, exec_lo, s16
	s_and_b32 s18, s4, s8
	s_and_saveexec_b32 s16, s18
	s_cbranch_execz .LBB242_121
.LBB242_140:
	v_cmp_ne_u32_e32 vcc_lo, 1, v59
	v_lshlrev_b64 v[20:21], 1, v[32:33]
	s_cbranch_vccnz .LBB242_142
; %bb.141:
	s_delay_alu instid0(VALU_DEP_1) | instskip(NEXT) | instid1(VALU_DEP_2)
	v_add_co_u32 v54, vcc_lo, v40, v20
	v_add_co_ci_u32_e32 v55, vcc_lo, v41, v21, vcc_lo
	flat_load_u16 v54, v[54:55]
	s_waitcnt vmcnt(0) lgkmcnt(0)
	v_mul_f16_e32 v54, s15, v54
	s_branch .LBB242_143
.LBB242_142:
	v_mov_b32_e32 v54, 0
.LBB242_143:
	v_pk_max_f16 v55, v0, v0
	v_pk_max_f16 v56, v8, v8
	;; [unrolled: 1-line block ×4, first 2 shown]
	v_add_co_u32 v20, vcc_lo, v22, v20
	s_delay_alu instid0(VALU_DEP_4) | instskip(SKIP_1) | instid1(VALU_DEP_4)
	v_pk_min_f16 v55, v56, v55
	v_add_co_ci_u32_e32 v21, vcc_lo, v23, v21, vcc_lo
	v_pk_min_f16 v56, v58, v57
	s_delay_alu instid0(VALU_DEP_3) | instskip(NEXT) | instid1(VALU_DEP_1)
	v_pk_add_f16 v53, v53, v55
	v_pk_add_f16 v53, v53, v56
	s_delay_alu instid0(VALU_DEP_1) | instskip(NEXT) | instid1(VALU_DEP_1)
	v_lshrrev_b32_e32 v55, 16, v53
	v_add_f16_e32 v53, v53, v55
	s_delay_alu instid0(VALU_DEP_1) | instskip(SKIP_3) | instid1(SALU_CYCLE_1)
	v_add_f16_e32 v53, v53, v54
	global_store_b16 v[20:21], v53, off
	s_or_b32 exec_lo, exec_lo, s16
	s_and_b32 s18, s5, s8
	s_and_saveexec_b32 s16, s18
	s_cbranch_execz .LBB242_122
.LBB242_144:
	v_cmp_ne_u32_e32 vcc_lo, 1, v59
	v_lshlrev_b64 v[20:21], 1, v[34:35]
	s_cbranch_vccnz .LBB242_146
; %bb.145:
	s_delay_alu instid0(VALU_DEP_1) | instskip(NEXT) | instid1(VALU_DEP_2)
	v_add_co_u32 v53, vcc_lo, v40, v20
	v_add_co_ci_u32_e32 v54, vcc_lo, v41, v21, vcc_lo
	flat_load_u16 v53, v[53:54]
	s_waitcnt vmcnt(0) lgkmcnt(0)
	v_mul_f16_e32 v53, s15, v53
	s_branch .LBB242_147
.LBB242_146:
	v_mov_b32_e32 v53, 0
.LBB242_147:
	v_pk_max_f16 v54, v0, v0
	v_pk_max_f16 v55, v10, v10
	;; [unrolled: 1-line block ×4, first 2 shown]
	v_add_co_u32 v20, vcc_lo, v22, v20
	s_delay_alu instid0(VALU_DEP_4) | instskip(SKIP_1) | instid1(VALU_DEP_4)
	v_pk_min_f16 v54, v55, v54
	v_add_co_ci_u32_e32 v21, vcc_lo, v23, v21, vcc_lo
	v_pk_min_f16 v55, v57, v56
	s_delay_alu instid0(VALU_DEP_3) | instskip(NEXT) | instid1(VALU_DEP_1)
	v_pk_add_f16 v52, v52, v54
	v_pk_add_f16 v52, v52, v55
	s_delay_alu instid0(VALU_DEP_1) | instskip(NEXT) | instid1(VALU_DEP_1)
	v_lshrrev_b32_e32 v54, 16, v52
	v_add_f16_e32 v52, v52, v54
	s_delay_alu instid0(VALU_DEP_1) | instskip(SKIP_3) | instid1(SALU_CYCLE_1)
	v_add_f16_e32 v52, v52, v53
	global_store_b16 v[20:21], v52, off
	s_or_b32 exec_lo, exec_lo, s16
	s_and_b32 s18, s6, s8
	s_and_saveexec_b32 s16, s18
	s_cbranch_execz .LBB242_123
.LBB242_148:
	v_cmp_ne_u32_e32 vcc_lo, 1, v59
	v_lshlrev_b64 v[20:21], 1, v[36:37]
	s_cbranch_vccnz .LBB242_150
; %bb.149:
	s_delay_alu instid0(VALU_DEP_1) | instskip(NEXT) | instid1(VALU_DEP_2)
	v_add_co_u32 v52, vcc_lo, v40, v20
	v_add_co_ci_u32_e32 v53, vcc_lo, v41, v21, vcc_lo
	flat_load_u16 v52, v[52:53]
	s_waitcnt vmcnt(0) lgkmcnt(0)
	v_mul_f16_e32 v52, s15, v52
	s_branch .LBB242_151
.LBB242_150:
	v_mov_b32_e32 v52, 0
.LBB242_151:
	v_pk_max_f16 v53, v0, v0
	v_pk_max_f16 v54, v4, v4
	;; [unrolled: 1-line block ×4, first 2 shown]
	v_add_co_u32 v20, vcc_lo, v22, v20
	s_delay_alu instid0(VALU_DEP_4) | instskip(SKIP_1) | instid1(VALU_DEP_4)
	v_pk_min_f16 v53, v54, v53
	v_add_co_ci_u32_e32 v21, vcc_lo, v23, v21, vcc_lo
	v_pk_min_f16 v54, v56, v55
	s_delay_alu instid0(VALU_DEP_3) | instskip(NEXT) | instid1(VALU_DEP_1)
	v_pk_add_f16 v51, v51, v53
	v_pk_add_f16 v51, v51, v54
	s_delay_alu instid0(VALU_DEP_1) | instskip(NEXT) | instid1(VALU_DEP_1)
	v_lshrrev_b32_e32 v53, 16, v51
	v_add_f16_e32 v51, v51, v53
	s_delay_alu instid0(VALU_DEP_1) | instskip(SKIP_3) | instid1(SALU_CYCLE_1)
	v_add_f16_e32 v51, v51, v52
	global_store_b16 v[20:21], v51, off
	s_or_b32 exec_lo, exec_lo, s16
	s_and_b32 s16, s7, s8
	s_and_saveexec_b32 s8, s16
	s_cbranch_execz .LBB242_156
.LBB242_152:
	v_cmp_ne_u32_e32 vcc_lo, 1, v59
	v_lshlrev_b64 v[20:21], 1, v[38:39]
	s_cbranch_vccnz .LBB242_154
; %bb.153:
	s_delay_alu instid0(VALU_DEP_1) | instskip(NEXT) | instid1(VALU_DEP_2)
	v_add_co_u32 v40, vcc_lo, v40, v20
	v_add_co_ci_u32_e32 v41, vcc_lo, v41, v21, vcc_lo
	flat_load_u16 v40, v[40:41]
	s_waitcnt vmcnt(0) lgkmcnt(0)
	v_mul_f16_e32 v40, s15, v40
	s_branch .LBB242_155
.LBB242_154:
	v_mov_b32_e32 v40, 0
.LBB242_155:
	v_pk_max_f16 v0, v0, v0
	v_pk_max_f16 v41, v6, v6
	;; [unrolled: 1-line block ×4, first 2 shown]
	s_delay_alu instid0(VALU_DEP_3) | instskip(NEXT) | instid1(VALU_DEP_2)
	v_pk_min_f16 v0, v41, v0
	v_pk_min_f16 v1, v51, v1
	s_delay_alu instid0(VALU_DEP_2) | instskip(NEXT) | instid1(VALU_DEP_1)
	v_pk_add_f16 v0, v50, v0
	v_pk_add_f16 v0, v0, v1
	s_delay_alu instid0(VALU_DEP_1) | instskip(NEXT) | instid1(VALU_DEP_1)
	v_lshrrev_b32_e32 v1, 16, v0
	v_add_f16_e32 v0, v0, v1
	s_delay_alu instid0(VALU_DEP_1)
	v_add_f16_e32 v40, v0, v40
	v_add_co_u32 v0, vcc_lo, v22, v20
	v_add_co_ci_u32_e32 v1, vcc_lo, v23, v21, vcc_lo
	global_store_b16 v[0:1], v40, off
.LBB242_156:
	s_or_b32 exec_lo, exec_lo, s8
	v_add_nc_u32_e32 v22, 0x60, v66
	s_delay_alu instid0(VALU_DEP_1) | instskip(SKIP_2) | instid1(VALU_DEP_3)
	v_mad_i64_i32 v[0:1], null, v22, s12, 0
	v_mad_i64_i32 v[20:21], null, v22, s9, 0
	v_cmp_gt_i32_e64 s8, s17, v22
	v_lshlrev_b64 v[0:1], 1, v[0:1]
	s_delay_alu instid0(VALU_DEP_2) | instskip(NEXT) | instid1(VALU_DEP_3)
	s_and_b32 s9, s0, s8
	v_lshlrev_b64 v[20:21], 1, v[20:21]
	s_delay_alu instid0(VALU_DEP_2) | instskip(NEXT) | instid1(VALU_DEP_3)
	v_add_co_u32 v22, vcc_lo, s10, v0
	v_add_co_ci_u32_e32 v23, vcc_lo, s11, v1, vcc_lo
	s_delay_alu instid0(VALU_DEP_3) | instskip(NEXT) | instid1(VALU_DEP_4)
	v_add_co_u32 v20, vcc_lo, s13, v20
	v_add_co_ci_u32_e32 v21, vcc_lo, s14, v21, vcc_lo
	s_and_saveexec_b32 s0, s9
	s_cbranch_execnz .LBB242_165
; %bb.157:
	s_or_b32 exec_lo, exec_lo, s0
	s_and_b32 s1, s1, s8
	s_delay_alu instid0(SALU_CYCLE_1)
	s_and_saveexec_b32 s0, s1
	s_cbranch_execnz .LBB242_169
.LBB242_158:
	s_or_b32 exec_lo, exec_lo, s0
	s_and_b32 s1, s2, s8
	s_delay_alu instid0(SALU_CYCLE_1)
	s_and_saveexec_b32 s0, s1
	s_cbranch_execnz .LBB242_173
.LBB242_159:
	s_or_b32 exec_lo, exec_lo, s0
	s_and_b32 s1, s3, s8
	s_delay_alu instid0(SALU_CYCLE_1)
	s_and_saveexec_b32 s0, s1
	s_cbranch_execnz .LBB242_177
.LBB242_160:
	s_or_b32 exec_lo, exec_lo, s0
	s_and_b32 s1, s4, s8
	s_delay_alu instid0(SALU_CYCLE_1)
	s_and_saveexec_b32 s0, s1
	s_cbranch_execnz .LBB242_181
.LBB242_161:
	s_or_b32 exec_lo, exec_lo, s0
	s_and_b32 s1, s5, s8
	s_delay_alu instid0(SALU_CYCLE_1)
	s_and_saveexec_b32 s0, s1
	s_cbranch_execnz .LBB242_185
.LBB242_162:
	s_or_b32 exec_lo, exec_lo, s0
	s_and_b32 s1, s6, s8
	s_delay_alu instid0(SALU_CYCLE_1)
	s_and_saveexec_b32 s0, s1
	s_cbranch_execnz .LBB242_189
.LBB242_163:
	s_or_b32 exec_lo, exec_lo, s0
	s_and_b32 s0, s7, s8
	s_delay_alu instid0(SALU_CYCLE_1)
	s_and_saveexec_b32 s1, s0
	s_cbranch_execnz .LBB242_193
.LBB242_164:
	s_nop 0
	s_sendmsg sendmsg(MSG_DEALLOC_VGPRS)
	s_endpgm
.LBB242_165:
	v_cmp_ne_u32_e32 vcc_lo, 1, v59
	v_lshlrev_b64 v[0:1], 1, v[24:25]
	s_cbranch_vccnz .LBB242_167
; %bb.166:
	s_delay_alu instid0(VALU_DEP_1) | instskip(NEXT) | instid1(VALU_DEP_2)
	v_add_co_u32 v24, vcc_lo, v22, v0
	v_add_co_ci_u32_e32 v25, vcc_lo, v23, v1, vcc_lo
	flat_load_u16 v24, v[24:25]
	s_waitcnt vmcnt(0) lgkmcnt(0)
	v_mul_f16_e32 v24, s15, v24
	s_branch .LBB242_168
.LBB242_167:
	v_mov_b32_e32 v24, 0
.LBB242_168:
	v_pk_max_f16 v25, v2, v2
	v_pk_max_f16 v16, v16, v16
	;; [unrolled: 1-line block ×4, first 2 shown]
	v_add_co_u32 v0, vcc_lo, v20, v0
	s_delay_alu instid0(VALU_DEP_4) | instskip(SKIP_1) | instid1(VALU_DEP_4)
	v_pk_min_f16 v16, v16, v25
	v_add_co_ci_u32_e32 v1, vcc_lo, v21, v1, vcc_lo
	v_pk_min_f16 v17, v17, v40
	s_delay_alu instid0(VALU_DEP_3) | instskip(NEXT) | instid1(VALU_DEP_1)
	v_pk_add_f16 v16, v49, v16
	v_pk_add_f16 v16, v16, v17
	s_delay_alu instid0(VALU_DEP_1) | instskip(NEXT) | instid1(VALU_DEP_1)
	v_lshrrev_b32_e32 v17, 16, v16
	v_add_f16_e32 v16, v16, v17
	s_delay_alu instid0(VALU_DEP_1) | instskip(SKIP_3) | instid1(SALU_CYCLE_1)
	v_add_f16_e32 v16, v16, v24
	global_store_b16 v[0:1], v16, off
	s_or_b32 exec_lo, exec_lo, s0
	s_and_b32 s1, s1, s8
	s_and_saveexec_b32 s0, s1
	s_cbranch_execz .LBB242_158
.LBB242_169:
	v_cmp_ne_u32_e32 vcc_lo, 1, v59
	v_lshlrev_b64 v[0:1], 1, v[26:27]
	s_cbranch_vccnz .LBB242_171
; %bb.170:
	s_delay_alu instid0(VALU_DEP_1) | instskip(NEXT) | instid1(VALU_DEP_2)
	v_add_co_u32 v16, vcc_lo, v22, v0
	v_add_co_ci_u32_e32 v17, vcc_lo, v23, v1, vcc_lo
	flat_load_u16 v16, v[16:17]
	s_waitcnt vmcnt(0) lgkmcnt(0)
	v_mul_f16_e32 v16, s15, v16
	s_branch .LBB242_172
.LBB242_171:
	v_mov_b32_e32 v16, 0
.LBB242_172:
	v_pk_max_f16 v17, v2, v2
	v_pk_max_f16 v18, v18, v18
	;; [unrolled: 1-line block ×4, first 2 shown]
	v_add_co_u32 v0, vcc_lo, v20, v0
	s_delay_alu instid0(VALU_DEP_4) | instskip(SKIP_1) | instid1(VALU_DEP_4)
	v_pk_min_f16 v17, v18, v17
	v_add_co_ci_u32_e32 v1, vcc_lo, v21, v1, vcc_lo
	v_pk_min_f16 v18, v19, v24
	s_delay_alu instid0(VALU_DEP_3) | instskip(NEXT) | instid1(VALU_DEP_1)
	v_pk_add_f16 v17, v48, v17
	v_pk_add_f16 v17, v17, v18
	s_delay_alu instid0(VALU_DEP_1) | instskip(NEXT) | instid1(VALU_DEP_1)
	v_lshrrev_b32_e32 v18, 16, v17
	v_add_f16_e32 v17, v17, v18
	s_delay_alu instid0(VALU_DEP_1) | instskip(SKIP_3) | instid1(SALU_CYCLE_1)
	v_add_f16_e32 v16, v17, v16
	global_store_b16 v[0:1], v16, off
	s_or_b32 exec_lo, exec_lo, s0
	s_and_b32 s1, s2, s8
	s_and_saveexec_b32 s0, s1
	s_cbranch_execz .LBB242_159
.LBB242_173:
	v_cmp_ne_u32_e32 vcc_lo, 1, v59
	v_lshlrev_b64 v[0:1], 1, v[28:29]
	s_cbranch_vccnz .LBB242_175
; %bb.174:
	s_delay_alu instid0(VALU_DEP_1) | instskip(NEXT) | instid1(VALU_DEP_2)
	v_add_co_u32 v16, vcc_lo, v22, v0
	v_add_co_ci_u32_e32 v17, vcc_lo, v23, v1, vcc_lo
	flat_load_u16 v16, v[16:17]
	s_waitcnt vmcnt(0) lgkmcnt(0)
	v_mul_f16_e32 v16, s15, v16
	s_branch .LBB242_176
.LBB242_175:
	v_mov_b32_e32 v16, 0
.LBB242_176:
	v_pk_max_f16 v17, v2, v2
	v_pk_max_f16 v12, v12, v12
	;; [unrolled: 1-line block ×4, first 2 shown]
	v_add_co_u32 v0, vcc_lo, v20, v0
	s_delay_alu instid0(VALU_DEP_4) | instskip(SKIP_1) | instid1(VALU_DEP_4)
	v_pk_min_f16 v12, v12, v17
	v_add_co_ci_u32_e32 v1, vcc_lo, v21, v1, vcc_lo
	v_pk_min_f16 v13, v13, v18
	s_delay_alu instid0(VALU_DEP_3) | instskip(NEXT) | instid1(VALU_DEP_1)
	v_pk_add_f16 v12, v47, v12
	v_pk_add_f16 v12, v12, v13
	s_delay_alu instid0(VALU_DEP_1) | instskip(NEXT) | instid1(VALU_DEP_1)
	v_lshrrev_b32_e32 v13, 16, v12
	v_add_f16_e32 v12, v12, v13
	s_delay_alu instid0(VALU_DEP_1) | instskip(SKIP_3) | instid1(SALU_CYCLE_1)
	v_add_f16_e32 v12, v12, v16
	global_store_b16 v[0:1], v12, off
	s_or_b32 exec_lo, exec_lo, s0
	s_and_b32 s1, s3, s8
	s_and_saveexec_b32 s0, s1
	s_cbranch_execz .LBB242_160
.LBB242_177:
	v_cmp_ne_u32_e32 vcc_lo, 1, v59
	v_lshlrev_b64 v[0:1], 1, v[30:31]
	s_cbranch_vccnz .LBB242_179
; %bb.178:
	s_delay_alu instid0(VALU_DEP_1) | instskip(NEXT) | instid1(VALU_DEP_2)
	v_add_co_u32 v12, vcc_lo, v22, v0
	v_add_co_ci_u32_e32 v13, vcc_lo, v23, v1, vcc_lo
	flat_load_u16 v12, v[12:13]
	s_waitcnt vmcnt(0) lgkmcnt(0)
	v_mul_f16_e32 v12, s15, v12
	s_branch .LBB242_180
.LBB242_179:
	v_mov_b32_e32 v12, 0
.LBB242_180:
	v_pk_max_f16 v13, v2, v2
	v_pk_max_f16 v14, v14, v14
	;; [unrolled: 1-line block ×4, first 2 shown]
	v_add_co_u32 v0, vcc_lo, v20, v0
	s_delay_alu instid0(VALU_DEP_4) | instskip(SKIP_1) | instid1(VALU_DEP_4)
	v_pk_min_f16 v13, v14, v13
	v_add_co_ci_u32_e32 v1, vcc_lo, v21, v1, vcc_lo
	v_pk_min_f16 v14, v15, v16
	s_delay_alu instid0(VALU_DEP_3) | instskip(NEXT) | instid1(VALU_DEP_1)
	v_pk_add_f16 v13, v46, v13
	v_pk_add_f16 v13, v13, v14
	s_delay_alu instid0(VALU_DEP_1) | instskip(NEXT) | instid1(VALU_DEP_1)
	v_lshrrev_b32_e32 v14, 16, v13
	v_add_f16_e32 v13, v13, v14
	s_delay_alu instid0(VALU_DEP_1) | instskip(SKIP_3) | instid1(SALU_CYCLE_1)
	v_add_f16_e32 v12, v13, v12
	global_store_b16 v[0:1], v12, off
	s_or_b32 exec_lo, exec_lo, s0
	s_and_b32 s1, s4, s8
	s_and_saveexec_b32 s0, s1
	s_cbranch_execz .LBB242_161
.LBB242_181:
	v_cmp_ne_u32_e32 vcc_lo, 1, v59
	v_lshlrev_b64 v[0:1], 1, v[32:33]
	s_cbranch_vccnz .LBB242_183
; %bb.182:
	s_delay_alu instid0(VALU_DEP_1) | instskip(NEXT) | instid1(VALU_DEP_2)
	v_add_co_u32 v12, vcc_lo, v22, v0
	v_add_co_ci_u32_e32 v13, vcc_lo, v23, v1, vcc_lo
	flat_load_u16 v12, v[12:13]
	s_waitcnt vmcnt(0) lgkmcnt(0)
	v_mul_f16_e32 v12, s15, v12
	s_branch .LBB242_184
.LBB242_183:
	v_mov_b32_e32 v12, 0
.LBB242_184:
	v_pk_max_f16 v13, v2, v2
	v_pk_max_f16 v8, v8, v8
	;; [unrolled: 1-line block ×4, first 2 shown]
	v_add_co_u32 v0, vcc_lo, v20, v0
	s_delay_alu instid0(VALU_DEP_4) | instskip(SKIP_1) | instid1(VALU_DEP_4)
	v_pk_min_f16 v8, v8, v13
	v_add_co_ci_u32_e32 v1, vcc_lo, v21, v1, vcc_lo
	v_pk_min_f16 v9, v9, v14
	s_delay_alu instid0(VALU_DEP_3) | instskip(NEXT) | instid1(VALU_DEP_1)
	v_pk_add_f16 v8, v45, v8
	v_pk_add_f16 v8, v8, v9
	s_delay_alu instid0(VALU_DEP_1) | instskip(NEXT) | instid1(VALU_DEP_1)
	v_lshrrev_b32_e32 v9, 16, v8
	v_add_f16_e32 v8, v8, v9
	s_delay_alu instid0(VALU_DEP_1) | instskip(SKIP_3) | instid1(SALU_CYCLE_1)
	v_add_f16_e32 v8, v8, v12
	global_store_b16 v[0:1], v8, off
	s_or_b32 exec_lo, exec_lo, s0
	s_and_b32 s1, s5, s8
	s_and_saveexec_b32 s0, s1
	s_cbranch_execz .LBB242_162
.LBB242_185:
	v_cmp_ne_u32_e32 vcc_lo, 1, v59
	v_lshlrev_b64 v[0:1], 1, v[34:35]
	s_cbranch_vccnz .LBB242_187
; %bb.186:
	s_delay_alu instid0(VALU_DEP_1) | instskip(NEXT) | instid1(VALU_DEP_2)
	v_add_co_u32 v8, vcc_lo, v22, v0
	v_add_co_ci_u32_e32 v9, vcc_lo, v23, v1, vcc_lo
	flat_load_u16 v8, v[8:9]
	s_waitcnt vmcnt(0) lgkmcnt(0)
	v_mul_f16_e32 v8, s15, v8
	s_branch .LBB242_188
.LBB242_187:
	v_mov_b32_e32 v8, 0
.LBB242_188:
	v_pk_max_f16 v9, v2, v2
	v_pk_max_f16 v10, v10, v10
	;; [unrolled: 1-line block ×4, first 2 shown]
	v_add_co_u32 v0, vcc_lo, v20, v0
	s_delay_alu instid0(VALU_DEP_4) | instskip(SKIP_1) | instid1(VALU_DEP_4)
	v_pk_min_f16 v9, v10, v9
	v_add_co_ci_u32_e32 v1, vcc_lo, v21, v1, vcc_lo
	v_pk_min_f16 v10, v11, v12
	s_delay_alu instid0(VALU_DEP_3) | instskip(NEXT) | instid1(VALU_DEP_1)
	v_pk_add_f16 v9, v44, v9
	v_pk_add_f16 v9, v9, v10
	s_delay_alu instid0(VALU_DEP_1) | instskip(NEXT) | instid1(VALU_DEP_1)
	v_lshrrev_b32_e32 v10, 16, v9
	v_add_f16_e32 v9, v9, v10
	s_delay_alu instid0(VALU_DEP_1) | instskip(SKIP_3) | instid1(SALU_CYCLE_1)
	v_add_f16_e32 v8, v9, v8
	global_store_b16 v[0:1], v8, off
	s_or_b32 exec_lo, exec_lo, s0
	s_and_b32 s1, s6, s8
	s_and_saveexec_b32 s0, s1
	s_cbranch_execz .LBB242_163
.LBB242_189:
	v_cmp_ne_u32_e32 vcc_lo, 1, v59
	v_lshlrev_b64 v[0:1], 1, v[36:37]
	s_cbranch_vccnz .LBB242_191
; %bb.190:
	s_delay_alu instid0(VALU_DEP_1) | instskip(NEXT) | instid1(VALU_DEP_2)
	v_add_co_u32 v8, vcc_lo, v22, v0
	v_add_co_ci_u32_e32 v9, vcc_lo, v23, v1, vcc_lo
	flat_load_u16 v8, v[8:9]
	s_waitcnt vmcnt(0) lgkmcnt(0)
	v_mul_f16_e32 v8, s15, v8
	s_branch .LBB242_192
.LBB242_191:
	v_mov_b32_e32 v8, 0
.LBB242_192:
	v_pk_max_f16 v9, v2, v2
	v_pk_max_f16 v4, v4, v4
	;; [unrolled: 1-line block ×4, first 2 shown]
	v_add_co_u32 v0, vcc_lo, v20, v0
	s_delay_alu instid0(VALU_DEP_4) | instskip(SKIP_1) | instid1(VALU_DEP_4)
	v_pk_min_f16 v4, v4, v9
	v_add_co_ci_u32_e32 v1, vcc_lo, v21, v1, vcc_lo
	v_pk_min_f16 v5, v5, v10
	s_delay_alu instid0(VALU_DEP_3) | instskip(NEXT) | instid1(VALU_DEP_1)
	v_pk_add_f16 v4, v43, v4
	v_pk_add_f16 v4, v4, v5
	s_delay_alu instid0(VALU_DEP_1) | instskip(NEXT) | instid1(VALU_DEP_1)
	v_lshrrev_b32_e32 v5, 16, v4
	v_add_f16_e32 v4, v4, v5
	s_delay_alu instid0(VALU_DEP_1) | instskip(SKIP_3) | instid1(SALU_CYCLE_1)
	v_add_f16_e32 v4, v4, v8
	global_store_b16 v[0:1], v4, off
	s_or_b32 exec_lo, exec_lo, s0
	s_and_b32 s0, s7, s8
	s_and_saveexec_b32 s1, s0
	s_cbranch_execz .LBB242_164
.LBB242_193:
	v_cmp_ne_u32_e32 vcc_lo, 1, v59
	v_lshlrev_b64 v[0:1], 1, v[38:39]
	s_cbranch_vccnz .LBB242_195
; %bb.194:
	s_delay_alu instid0(VALU_DEP_1) | instskip(NEXT) | instid1(VALU_DEP_2)
	v_add_co_u32 v4, vcc_lo, v22, v0
	v_add_co_ci_u32_e32 v5, vcc_lo, v23, v1, vcc_lo
	flat_load_u16 v4, v[4:5]
	s_waitcnt vmcnt(0) lgkmcnt(0)
	v_mul_f16_e32 v4, s15, v4
	s_branch .LBB242_196
.LBB242_195:
	v_mov_b32_e32 v4, 0
.LBB242_196:
	v_pk_max_f16 v2, v2, v2
	v_pk_max_f16 v5, v6, v6
	;; [unrolled: 1-line block ×4, first 2 shown]
	v_add_co_u32 v0, vcc_lo, v20, v0
	s_delay_alu instid0(VALU_DEP_4) | instskip(SKIP_1) | instid1(VALU_DEP_4)
	v_pk_min_f16 v2, v5, v2
	v_add_co_ci_u32_e32 v1, vcc_lo, v21, v1, vcc_lo
	v_pk_min_f16 v3, v6, v3
	s_delay_alu instid0(VALU_DEP_3) | instskip(NEXT) | instid1(VALU_DEP_1)
	v_pk_add_f16 v2, v42, v2
	v_pk_add_f16 v2, v2, v3
	s_delay_alu instid0(VALU_DEP_1) | instskip(NEXT) | instid1(VALU_DEP_1)
	v_lshrrev_b32_e32 v3, 16, v2
	v_add_f16_e32 v2, v2, v3
	s_delay_alu instid0(VALU_DEP_1)
	v_add_f16_e32 v2, v2, v4
	global_store_b16 v[0:1], v2, off
	s_nop 0
	s_sendmsg sendmsg(MSG_DEALLOC_VGPRS)
	s_endpgm
	.section	.rodata,"a",@progbits
	.p2align	6, 0x0
	.amdhsa_kernel _ZN12_GLOBAL__N_120geam_min_plus_kernelIDF16_Dv2_DF16_S1_Li8ELi32ELi64ELi128ELi4ELi4ELi64ELi4ELi64ELc84ELc78ELb0ELb1ELb0EDF16_KPKDF16_KPDF16_EEviiiT16_PT17_ilS9_ilS7_S9_ilPT18_ili26rocblas_geam_ex_operation_
		.amdhsa_group_segment_fixed_size 3072
		.amdhsa_private_segment_fixed_size 0
		.amdhsa_kernarg_size 128
		.amdhsa_user_sgpr_count 14
		.amdhsa_user_sgpr_dispatch_ptr 0
		.amdhsa_user_sgpr_queue_ptr 0
		.amdhsa_user_sgpr_kernarg_segment_ptr 1
		.amdhsa_user_sgpr_dispatch_id 0
		.amdhsa_user_sgpr_private_segment_size 0
		.amdhsa_wavefront_size32 1
		.amdhsa_uses_dynamic_stack 0
		.amdhsa_enable_private_segment 0
		.amdhsa_system_sgpr_workgroup_id_x 1
		.amdhsa_system_sgpr_workgroup_id_y 0
		.amdhsa_system_sgpr_workgroup_id_z 1
		.amdhsa_system_sgpr_workgroup_info 0
		.amdhsa_system_vgpr_workitem_id 1
		.amdhsa_next_free_vgpr 121
		.amdhsa_next_free_sgpr 29
		.amdhsa_reserve_vcc 1
		.amdhsa_float_round_mode_32 0
		.amdhsa_float_round_mode_16_64 0
		.amdhsa_float_denorm_mode_32 3
		.amdhsa_float_denorm_mode_16_64 3
		.amdhsa_dx10_clamp 1
		.amdhsa_ieee_mode 1
		.amdhsa_fp16_overflow 0
		.amdhsa_workgroup_processor_mode 1
		.amdhsa_memory_ordered 1
		.amdhsa_forward_progress 0
		.amdhsa_shared_vgpr_count 0
		.amdhsa_exception_fp_ieee_invalid_op 0
		.amdhsa_exception_fp_denorm_src 0
		.amdhsa_exception_fp_ieee_div_zero 0
		.amdhsa_exception_fp_ieee_overflow 0
		.amdhsa_exception_fp_ieee_underflow 0
		.amdhsa_exception_fp_ieee_inexact 0
		.amdhsa_exception_int_div_zero 0
	.end_amdhsa_kernel
	.section	.text._ZN12_GLOBAL__N_120geam_min_plus_kernelIDF16_Dv2_DF16_S1_Li8ELi32ELi64ELi128ELi4ELi4ELi64ELi4ELi64ELc84ELc78ELb0ELb1ELb0EDF16_KPKDF16_KPDF16_EEviiiT16_PT17_ilS9_ilS7_S9_ilPT18_ili26rocblas_geam_ex_operation_,"axG",@progbits,_ZN12_GLOBAL__N_120geam_min_plus_kernelIDF16_Dv2_DF16_S1_Li8ELi32ELi64ELi128ELi4ELi4ELi64ELi4ELi64ELc84ELc78ELb0ELb1ELb0EDF16_KPKDF16_KPDF16_EEviiiT16_PT17_ilS9_ilS7_S9_ilPT18_ili26rocblas_geam_ex_operation_,comdat
.Lfunc_end242:
	.size	_ZN12_GLOBAL__N_120geam_min_plus_kernelIDF16_Dv2_DF16_S1_Li8ELi32ELi64ELi128ELi4ELi4ELi64ELi4ELi64ELc84ELc78ELb0ELb1ELb0EDF16_KPKDF16_KPDF16_EEviiiT16_PT17_ilS9_ilS7_S9_ilPT18_ili26rocblas_geam_ex_operation_, .Lfunc_end242-_ZN12_GLOBAL__N_120geam_min_plus_kernelIDF16_Dv2_DF16_S1_Li8ELi32ELi64ELi128ELi4ELi4ELi64ELi4ELi64ELc84ELc78ELb0ELb1ELb0EDF16_KPKDF16_KPDF16_EEviiiT16_PT17_ilS9_ilS7_S9_ilPT18_ili26rocblas_geam_ex_operation_
                                        ; -- End function
	.section	.AMDGPU.csdata,"",@progbits
; Kernel info:
; codeLenInByte = 12992
; NumSgprs: 31
; NumVgprs: 121
; ScratchSize: 0
; MemoryBound: 0
; FloatMode: 240
; IeeeMode: 1
; LDSByteSize: 3072 bytes/workgroup (compile time only)
; SGPRBlocks: 3
; VGPRBlocks: 15
; NumSGPRsForWavesPerEU: 31
; NumVGPRsForWavesPerEU: 121
; Occupancy: 10
; WaveLimiterHint : 1
; COMPUTE_PGM_RSRC2:SCRATCH_EN: 0
; COMPUTE_PGM_RSRC2:USER_SGPR: 14
; COMPUTE_PGM_RSRC2:TRAP_HANDLER: 0
; COMPUTE_PGM_RSRC2:TGID_X_EN: 1
; COMPUTE_PGM_RSRC2:TGID_Y_EN: 0
; COMPUTE_PGM_RSRC2:TGID_Z_EN: 1
; COMPUTE_PGM_RSRC2:TIDIG_COMP_CNT: 1
	.section	.text._ZN12_GLOBAL__N_120geam_min_plus_kernelIDF16_Dv2_DF16_S1_Li8ELi32ELi64ELi128ELi4ELi64ELi4ELi64ELi4ELc78ELc84ELb0ELb0ELb0EPKDF16_KS3_KPDF16_EEviiiT16_PT17_ilS9_ilS7_S9_ilPT18_ili26rocblas_geam_ex_operation_,"axG",@progbits,_ZN12_GLOBAL__N_120geam_min_plus_kernelIDF16_Dv2_DF16_S1_Li8ELi32ELi64ELi128ELi4ELi64ELi4ELi64ELi4ELc78ELc84ELb0ELb0ELb0EPKDF16_KS3_KPDF16_EEviiiT16_PT17_ilS9_ilS7_S9_ilPT18_ili26rocblas_geam_ex_operation_,comdat
	.globl	_ZN12_GLOBAL__N_120geam_min_plus_kernelIDF16_Dv2_DF16_S1_Li8ELi32ELi64ELi128ELi4ELi64ELi4ELi64ELi4ELc78ELc84ELb0ELb0ELb0EPKDF16_KS3_KPDF16_EEviiiT16_PT17_ilS9_ilS7_S9_ilPT18_ili26rocblas_geam_ex_operation_ ; -- Begin function _ZN12_GLOBAL__N_120geam_min_plus_kernelIDF16_Dv2_DF16_S1_Li8ELi32ELi64ELi128ELi4ELi64ELi4ELi64ELi4ELc78ELc84ELb0ELb0ELb0EPKDF16_KS3_KPDF16_EEviiiT16_PT17_ilS9_ilS7_S9_ilPT18_ili26rocblas_geam_ex_operation_
	.p2align	8
	.type	_ZN12_GLOBAL__N_120geam_min_plus_kernelIDF16_Dv2_DF16_S1_Li8ELi32ELi64ELi128ELi4ELi64ELi4ELi64ELi4ELc78ELc84ELb0ELb0ELb0EPKDF16_KS3_KPDF16_EEviiiT16_PT17_ilS9_ilS7_S9_ilPT18_ili26rocblas_geam_ex_operation_,@function
_ZN12_GLOBAL__N_120geam_min_plus_kernelIDF16_Dv2_DF16_S1_Li8ELi32ELi64ELi128ELi4ELi64ELi4ELi64ELi4ELc78ELc84ELb0ELb0ELb0EPKDF16_KS3_KPDF16_EEviiiT16_PT17_ilS9_ilS7_S9_ilPT18_ili26rocblas_geam_ex_operation_: ; @_ZN12_GLOBAL__N_120geam_min_plus_kernelIDF16_Dv2_DF16_S1_Li8ELi32ELi64ELi128ELi4ELi64ELi4ELi64ELi4ELc78ELc84ELb0ELb0ELb0EPKDF16_KS3_KPDF16_EEviiiT16_PT17_ilS9_ilS7_S9_ilPT18_ili26rocblas_geam_ex_operation_
; %bb.0:
	s_clause 0x1
	s_load_b128 s[16:19], s[0:1], 0x10
	s_load_b128 s[4:7], s[0:1], 0x28
	s_mov_b32 s20, s15
	s_mov_b32 s21, 0
	v_mov_b32_e32 v1, 0
	s_lshl_b64 s[2:3], s[20:21], 1
	s_mov_b64 s[12:13], 0
	s_waitcnt lgkmcnt(0)
	s_add_u32 s8, s16, s2
	s_addc_u32 s9, s17, s3
	global_load_u16 v50, v1, s[8:9]
	s_clause 0x1
	s_load_b128 s[8:11], s[0:1], 0x40
	s_load_b64 s[16:17], s[0:1], 0x50
	s_waitcnt lgkmcnt(0)
	s_add_u32 s22, s10, s2
	s_addc_u32 s23, s11, s3
	s_mov_b64 s[10:11], 0
	s_waitcnt vmcnt(0)
	v_cmp_eq_f16_e32 vcc_lo, 0, v50
	v_cmp_neq_f16_e64 s2, 0, v50
	s_cbranch_vccnz .LBB243_2
; %bb.1:
	s_lshl_b64 s[10:11], s[20:21], 3
	s_delay_alu instid0(SALU_CYCLE_1)
	s_add_u32 s10, s18, s10
	s_addc_u32 s11, s19, s11
	s_lshl_b64 s[4:5], s[4:5], 1
	s_load_b64 s[10:11], s[10:11], 0x0
	s_waitcnt lgkmcnt(0)
	s_add_u32 s10, s10, s4
	s_addc_u32 s11, s11, s5
.LBB243_2:
	global_load_u16 v32, v1, s[22:23]
	v_cndmask_b32_e64 v1, 0, 1, s2
	s_and_not1_b32 vcc_lo, exec_lo, s2
	s_delay_alu instid0(VALU_DEP_1)
	v_cmp_ne_u32_e64 s3, 1, v1
	s_cbranch_vccnz .LBB243_4
; %bb.3:
	s_lshl_b64 s[4:5], s[20:21], 3
	s_delay_alu instid0(SALU_CYCLE_1)
	s_add_u32 s4, s6, s4
	s_addc_u32 s5, s7, s5
	s_lshl_b64 s[6:7], s[8:9], 1
	s_load_b64 s[4:5], s[4:5], 0x0
	s_waitcnt lgkmcnt(0)
	s_add_u32 s12, s4, s6
	s_addc_u32 s13, s5, s7
.LBB243_4:
	s_load_b128 s[4:7], s[0:1], 0x60
	s_waitcnt vmcnt(0)
	v_cmp_eq_f16_e32 vcc_lo, 0, v32
	s_and_b32 s2, exec_lo, vcc_lo
	s_delay_alu instid0(SALU_CYCLE_1)
	s_mov_b32 vcc_lo, s2
	s_cbranch_vccnz .LBB243_6
; %bb.5:
	s_lshl_b64 s[8:9], s[20:21], 3
	s_delay_alu instid0(SALU_CYCLE_1)
	s_add_u32 s8, s16, s8
	s_addc_u32 s9, s17, s9
	s_waitcnt lgkmcnt(0)
	s_lshl_b64 s[4:5], s[4:5], 1
	s_load_b64 s[8:9], s[8:9], 0x0
	s_waitcnt lgkmcnt(0)
	s_add_u32 s8, s8, s4
	s_addc_u32 s9, s9, s5
	s_branch .LBB243_7
.LBB243_6:
	s_mov_b64 s[8:9], 0
.LBB243_7:
	s_clause 0x1
	s_load_b32 s16, s[0:1], 0x20
	s_load_b32 s15, s[0:1], 0x0
	s_waitcnt lgkmcnt(0)
	s_lshl_b64 s[4:5], s[20:21], 3
	v_and_b32_e32 v51, 0x3ff, v0
	v_bfe_u32 v52, v0, 10, 10
	s_ashr_i32 s17, s16, 31
	s_add_u32 s6, s6, s4
	s_addc_u32 s7, s7, s5
	s_add_i32 s4, s15, -1
	s_delay_alu instid0(SALU_CYCLE_1) | instskip(NEXT) | instid1(SALU_CYCLE_1)
	s_ashr_i32 s5, s4, 31
	s_lshr_b32 s5, s5, 26
	s_delay_alu instid0(SALU_CYCLE_1) | instskip(NEXT) | instid1(SALU_CYCLE_1)
	s_add_i32 s4, s4, s5
	s_ashr_i32 s4, s4, 6
	s_delay_alu instid0(SALU_CYCLE_1) | instskip(SKIP_2) | instid1(VALU_DEP_1)
	s_add_i32 s15, s4, 1
	s_not_b32 s4, s4
	v_cvt_f32_u32_e32 v1, s15
	v_rcp_iflag_f32_e32 v1, v1
	s_waitcnt_depctr 0xfff
	v_mul_f32_e32 v1, 0x4f7ffffe, v1
	s_delay_alu instid0(VALU_DEP_1) | instskip(NEXT) | instid1(VALU_DEP_1)
	v_cvt_u32_f32_e32 v1, v1
	v_readfirstlane_b32 s5, v1
	v_lshl_add_u32 v1, v52, 3, v51
	s_delay_alu instid0(VALU_DEP_2) | instskip(NEXT) | instid1(VALU_DEP_1)
	s_mul_i32 s4, s4, s5
	v_and_b32_e32 v5, 63, v1
	s_mul_hi_u32 s4, s5, s4
	v_lshrrev_b32_e32 v4, 6, v1
	s_add_i32 s5, s5, s4
	s_delay_alu instid0(SALU_CYCLE_1) | instskip(NEXT) | instid1(SALU_CYCLE_1)
	s_mul_hi_u32 s4, s14, s5
	s_mul_i32 s5, s4, s15
	s_add_i32 s18, s4, 1
	s_sub_i32 s5, s14, s5
	s_delay_alu instid0(SALU_CYCLE_1)
	s_sub_i32 s19, s5, s15
	s_cmp_ge_u32 s5, s15
	s_cselect_b32 s4, s18, s4
	s_cselect_b32 s5, s19, s5
	s_add_i32 s18, s4, 1
	s_cmp_ge_u32 s5, s15
	s_cselect_b32 s5, s18, s4
	s_and_b32 vcc_lo, exec_lo, s3
	s_mul_i32 s20, s5, s15
	s_delay_alu instid0(SALU_CYCLE_1) | instskip(NEXT) | instid1(SALU_CYCLE_1)
	s_sub_i32 s4, s14, s20
	s_lshl_b32 s15, s4, 6
	s_delay_alu instid0(SALU_CYCLE_1) | instskip(NEXT) | instid1(VALU_DEP_1)
	v_or_b32_e32 v0, s15, v5
	v_ashrrev_i32_e32 v1, 31, v0
	s_cbranch_vccnz .LBB243_9
; %bb.8:
	v_mad_i64_i32 v[2:3], null, s16, v4, 0
	s_delay_alu instid0(VALU_DEP_2) | instskip(NEXT) | instid1(VALU_DEP_2)
	v_lshlrev_b64 v[6:7], 1, v[0:1]
	v_lshlrev_b64 v[2:3], 1, v[2:3]
	s_delay_alu instid0(VALU_DEP_1) | instskip(NEXT) | instid1(VALU_DEP_2)
	v_add_co_u32 v2, vcc_lo, s10, v2
	v_add_co_ci_u32_e32 v3, vcc_lo, s11, v3, vcc_lo
	s_delay_alu instid0(VALU_DEP_2) | instskip(NEXT) | instid1(VALU_DEP_2)
	v_add_co_u32 v2, vcc_lo, v2, v6
	v_add_co_ci_u32_e32 v3, vcc_lo, v3, v7, vcc_lo
	flat_load_u16 v2, v[2:3]
	s_waitcnt vmcnt(0) lgkmcnt(0)
	v_mul_f16_e32 v6, v50, v2
	s_branch .LBB243_10
.LBB243_9:
	v_mov_b32_e32 v6, 0
.LBB243_10:
	s_load_b32 s4, s[0:1], 0x38
	s_lshl_b32 s18, s5, 7
	s_and_b32 vcc_lo, exec_lo, s3
	v_or_b32_e32 v2, s18, v5
	s_delay_alu instid0(VALU_DEP_1)
	v_ashrrev_i32_e32 v3, 31, v2
	s_waitcnt lgkmcnt(0)
	s_ashr_i32 s5, s4, 31
	s_cbranch_vccnz .LBB243_14
; %bb.11:
	v_mad_i64_i32 v[7:8], null, s4, v4, 0
	v_lshlrev_b64 v[9:10], 1, v[2:3]
	s_delay_alu instid0(VALU_DEP_2) | instskip(NEXT) | instid1(VALU_DEP_1)
	v_lshlrev_b64 v[7:8], 1, v[7:8]
	v_add_co_u32 v7, vcc_lo, s12, v7
	s_delay_alu instid0(VALU_DEP_2) | instskip(NEXT) | instid1(VALU_DEP_2)
	v_add_co_ci_u32_e32 v8, vcc_lo, s13, v8, vcc_lo
	v_add_co_u32 v7, vcc_lo, v7, v9
	s_delay_alu instid0(VALU_DEP_2)
	v_add_co_ci_u32_e32 v8, vcc_lo, v8, v10, vcc_lo
	s_clause 0x1
	flat_load_u16 v9, v[7:8]
	flat_load_u16 v8, v[7:8] offset:128
	s_waitcnt vmcnt(1) lgkmcnt(1)
	v_mul_f16_e32 v7, v50, v9
	s_waitcnt vmcnt(0) lgkmcnt(0)
	v_mul_f16_e32 v8, v50, v8
	v_add_nc_u32_e32 v9, 4, v4
	s_and_b32 vcc_lo, exec_lo, s3
	s_cbranch_vccnz .LBB243_15
.LBB243_12:
	s_delay_alu instid0(VALU_DEP_1) | instskip(SKIP_1) | instid1(VALU_DEP_2)
	v_mad_i64_i32 v[10:11], null, s16, v9, 0
	v_lshlrev_b64 v[0:1], 1, v[0:1]
	v_lshlrev_b64 v[10:11], 1, v[10:11]
	s_delay_alu instid0(VALU_DEP_1) | instskip(NEXT) | instid1(VALU_DEP_2)
	v_add_co_u32 v10, vcc_lo, s10, v10
	v_add_co_ci_u32_e32 v11, vcc_lo, s11, v11, vcc_lo
	s_delay_alu instid0(VALU_DEP_2) | instskip(NEXT) | instid1(VALU_DEP_2)
	v_add_co_u32 v0, vcc_lo, v10, v0
	v_add_co_ci_u32_e32 v1, vcc_lo, v11, v1, vcc_lo
	flat_load_u16 v0, v[0:1]
	s_waitcnt vmcnt(0) lgkmcnt(0)
	v_mul_f16_e32 v0, v50, v0
	s_and_b32 vcc_lo, exec_lo, s3
	s_cbranch_vccnz .LBB243_16
.LBB243_13:
	v_mad_i64_i32 v[10:11], null, s4, v9, 0
	v_lshlrev_b64 v[1:2], 1, v[2:3]
	s_delay_alu instid0(VALU_DEP_2) | instskip(NEXT) | instid1(VALU_DEP_1)
	v_lshlrev_b64 v[9:10], 1, v[10:11]
	v_add_co_u32 v3, vcc_lo, s12, v9
	s_delay_alu instid0(VALU_DEP_2) | instskip(NEXT) | instid1(VALU_DEP_2)
	v_add_co_ci_u32_e32 v9, vcc_lo, s13, v10, vcc_lo
	v_add_co_u32 v1, vcc_lo, v3, v1
	s_delay_alu instid0(VALU_DEP_2)
	v_add_co_ci_u32_e32 v2, vcc_lo, v9, v2, vcc_lo
	s_clause 0x1
	flat_load_u16 v3, v[1:2]
	flat_load_u16 v2, v[1:2] offset:128
	s_waitcnt vmcnt(1) lgkmcnt(1)
	v_mul_f16_e32 v1, v50, v3
	s_waitcnt vmcnt(0) lgkmcnt(0)
	v_mul_f16_e32 v2, v50, v2
	s_branch .LBB243_17
.LBB243_14:
	v_dual_mov_b32 v7, 0 :: v_dual_mov_b32 v8, 0
	v_add_nc_u32_e32 v9, 4, v4
	s_and_b32 vcc_lo, exec_lo, s3
	s_cbranch_vccz .LBB243_12
.LBB243_15:
	v_mov_b32_e32 v0, 0
	s_and_b32 vcc_lo, exec_lo, s3
	s_cbranch_vccz .LBB243_13
.LBB243_16:
	v_dual_mov_b32 v1, 0 :: v_dual_mov_b32 v2, 0
.LBB243_17:
	v_lshlrev_b32_e32 v3, 1, v4
	v_lshlrev_b32_e32 v53, 3, v51
	v_lshlrev_b32_e32 v54, 3, v52
	s_load_b64 s[6:7], s[6:7], 0x0
	s_load_b32 s19, s[0:1], 0x8
	v_lshl_add_u32 v63, v5, 3, v3
	v_add_nc_u32_e32 v3, 0x800, v53
	ds_store_b16 v63, v7
	ds_store_b16 v63, v6 offset:2048
	ds_store_b16 v63, v8 offset:512
	s_waitcnt lgkmcnt(0)
	s_barrier
	buffer_gl0_inv
	ds_load_2addr_b64 v[6:9], v54 offset1:32
	ds_load_2addr_b64 v[10:13], v3 offset0:48 offset1:56
	ds_load_2addr_b64 v[14:17], v54 offset0:64 offset1:96
	ds_load_2addr_b64 v[18:21], v3 offset1:8
	ds_load_2addr_b64 v[22:25], v3 offset0:16 offset1:24
	ds_load_2addr_b64 v[26:29], v3 offset0:32 offset1:40
	ds_store_b16 v63, v1 offset:1024
	ds_store_b16 v63, v0 offset:2560
	;; [unrolled: 1-line block ×3, first 2 shown]
	s_waitcnt lgkmcnt(0)
	s_barrier
	buffer_gl0_inv
	s_cmp_lt_i32 s19, 9
	v_pk_max_f16 v3, v6, v6
	v_pk_max_f16 v8, v8, v8
	;; [unrolled: 1-line block ×8, first 2 shown]
	v_pk_min_f16 v39, v22, v3
	v_pk_min_f16 v40, v22, v8
	;; [unrolled: 1-line block ×3, first 2 shown]
	v_pk_max_f16 v16, v16, v16
	v_pk_max_f16 v18, v20, v20
	v_pk_add_f16 v42, v39, 0
	v_pk_min_f16 v39, v24, v3
	v_pk_add_f16 v43, v40, 0
	v_pk_min_f16 v40, v24, v8
	v_pk_min_f16 v20, v6, v3
	v_pk_add_f16 v44, v41, 0
	v_pk_add_f16 v45, v39, 0
	v_pk_min_f16 v39, v26, v3
	v_pk_min_f16 v41, v24, v12
	v_pk_add_f16 v55, v40, 0
	v_pk_min_f16 v40, v26, v8
	v_pk_max_f16 v28, v28, v28
	v_pk_add_f16 v57, v39, 0
	v_pk_min_f16 v39, v26, v12
	v_pk_max_f16 v10, v10, v10
	v_pk_max_f16 v7, v7, v7
	;; [unrolled: 1-line block ×3, first 2 shown]
	v_pk_min_f16 v30, v6, v8
	v_pk_min_f16 v31, v6, v12
	;; [unrolled: 1-line block ×7, first 2 shown]
	v_pk_add_f16 v20, v20, 0
	v_pk_min_f16 v37, v18, v8
	v_pk_min_f16 v38, v18, v12
	;; [unrolled: 1-line block ×5, first 2 shown]
	v_pk_add_f16 v56, v41, 0
	v_pk_min_f16 v26, v26, v16
	v_pk_add_f16 v64, v40, 0
	v_pk_min_f16 v40, v28, v3
	v_pk_min_f16 v41, v28, v8
	v_pk_add_f16 v65, v39, 0
	v_pk_min_f16 v39, v28, v12
	v_pk_min_f16 v28, v28, v16
	;; [unrolled: 1-line block ×6, first 2 shown]
	v_pk_max_f16 v9, v9, v9
	v_pk_min_f16 v6, v6, v16
	v_pk_min_f16 v16, v13, v7
	v_pk_add_f16 v30, v30, 0
	v_pk_add_f16 v73, v39, 0
	v_pk_max_f16 v15, v15, v15
	v_pk_min_f16 v39, v13, v9
	v_pk_max_f16 v19, v19, v19
	v_pk_add_f16 v62, v16, v20
	v_pk_max_f16 v16, v17, v17
	v_pk_add_f16 v31, v31, 0
	v_pk_add_f16 v33, v33, 0
	;; [unrolled: 1-line block ×5, first 2 shown]
	v_pk_min_f16 v40, v13, v15
	v_pk_add_f16 v49, v39, v30
	v_pk_min_f16 v17, v19, v7
	v_pk_min_f16 v20, v19, v9
	;; [unrolled: 1-line block ×4, first 2 shown]
	v_pk_max_f16 v21, v21, v21
	v_pk_add_f16 v36, v36, 0
	v_pk_add_f16 v37, v37, 0
	;; [unrolled: 1-line block ×9, first 2 shown]
	v_pk_min_f16 v14, v21, v7
	v_pk_min_f16 v17, v21, v9
	v_pk_min_f16 v19, v21, v15
	v_pk_min_f16 v20, v21, v16
	v_pk_max_f16 v21, v23, v23
	v_pk_add_f16 v22, v22, 0
	v_pk_add_f16 v69, v14, v36
	;; [unrolled: 1-line block ×5, first 2 shown]
	v_pk_min_f16 v14, v21, v7
	v_pk_min_f16 v17, v21, v9
	;; [unrolled: 1-line block ×4, first 2 shown]
	v_pk_max_f16 v20, v25, v25
	v_pk_add_f16 v24, v24, 0
	v_pk_add_f16 v68, v14, v42
	;; [unrolled: 1-line block ×5, first 2 shown]
	v_pk_min_f16 v14, v20, v7
	v_pk_min_f16 v17, v20, v9
	;; [unrolled: 1-line block ×4, first 2 shown]
	v_pk_max_f16 v20, v27, v27
	v_pk_add_f16 v67, v14, v45
	v_pk_add_f16 v58, v17, v55
	;; [unrolled: 1-line block ×4, first 2 shown]
	v_pk_min_f16 v14, v20, v7
	v_pk_min_f16 v17, v20, v9
	;; [unrolled: 1-line block ×4, first 2 shown]
	v_pk_max_f16 v20, v29, v29
	v_pk_add_f16 v35, v35, 0
	v_pk_add_f16 v26, v26, 0
	v_pk_add_f16 v66, v14, v57
	v_pk_max_f16 v11, v11, v11
	v_pk_min_f16 v14, v20, v7
	v_pk_add_f16 v28, v28, 0
	v_pk_add_f16 v3, v3, 0
	;; [unrolled: 1-line block ×10, first 2 shown]
	v_pk_min_f16 v17, v20, v9
	v_pk_min_f16 v18, v20, v15
	;; [unrolled: 1-line block ×3, first 2 shown]
	v_pk_add_f16 v65, v14, v71
	v_pk_min_f16 v7, v11, v7
	v_pk_min_f16 v9, v11, v9
	;; [unrolled: 1-line block ×5, first 2 shown]
	v_pk_add_f16 v56, v17, v72
	v_pk_add_f16 v43, v18, v73
	;; [unrolled: 1-line block ×8, first 2 shown]
	s_cbranch_scc1 .LBB243_31
; %bb.18:
	v_add_nc_u32_e32 v6, 12, v4
	v_add_nc_u32_e32 v2, s18, v5
	v_lshl_or_b32 v5, s14, 6, v5
	s_lshl_b32 s14, s20, 6
	v_add_nc_u32_e32 v10, 8, v4
	v_mad_i64_i32 v[0:1], null, v6, s4, 0
	v_ashrrev_i32_e32 v3, 31, v2
	v_or_b32_e32 v71, 0x800, v63
	s_delay_alu instid0(VALU_DEP_4) | instskip(SKIP_1) | instid1(VALU_DEP_4)
	v_mad_i64_i32 v[8:9], null, v10, s16, 0
	v_add_nc_u32_e32 v72, 0x800, v53
	v_lshlrev_b64 v[2:3], 1, v[2:3]
	v_lshlrev_b64 v[24:25], 1, v[0:1]
	v_subrev_nc_u32_e32 v0, s14, v5
	v_mad_i64_i32 v[4:5], null, v6, s16, 0
	v_mad_i64_i32 v[6:7], null, v10, s4, 0
	s_delay_alu instid0(VALU_DEP_3) | instskip(SKIP_2) | instid1(VALU_DEP_3)
	v_ashrrev_i32_e32 v1, 31, v0
	v_add_co_u32 v77, vcc_lo, s12, v2
	v_add_co_ci_u32_e32 v78, vcc_lo, s13, v3, vcc_lo
	v_lshlrev_b64 v[0:1], 1, v[0:1]
	v_lshlrev_b64 v[26:27], 1, v[4:5]
	;; [unrolled: 1-line block ×4, first 2 shown]
	v_add_nc_u32_e32 v73, 0xa00, v63
	v_or_b32_e32 v74, 0x400, v63
	v_add_co_u32 v79, vcc_lo, s10, v0
	v_lshl_add_u32 v75, v51, 3, 0xa00
	v_lshl_add_u32 v76, v52, 3, 0x400
	v_add_co_ci_u32_e32 v80, vcc_lo, s11, v1, vcc_lo
	s_add_i32 s19, s19, -8
	s_lshl_b64 s[4:5], s[4:5], 4
	s_lshl_b64 s[10:11], s[16:17], 4
	s_mov_b32 s12, 0
	s_branch .LBB243_21
.LBB243_19:                             ;   in Loop: Header=BB243_21 Depth=1
	v_add_co_u32 v0, vcc_lo, v77, v24
	v_add_co_ci_u32_e32 v1, vcc_lo, v78, v25, vcc_lo
	s_clause 0x1
	flat_load_u16 v124, v[0:1]
	flat_load_u16 v1, v[0:1] offset:128
	s_waitcnt vmcnt(1) lgkmcnt(1)
	v_mul_f16_e32 v0, v50, v124
	s_waitcnt vmcnt(0) lgkmcnt(0)
	v_mul_f16_e32 v1, v50, v1
.LBB243_20:                             ;   in Loop: Header=BB243_21 Depth=1
	v_pk_add_f16 v16, v16, v41
	v_pk_add_f16 v22, v22, v40
	;; [unrolled: 1-line block ×30, first 2 shown]
	ds_load_2addr_b64 v[33:36], v72 offset0:48 offset1:56
	ds_load_2addr_b64 v[37:40], v54 offset1:32
	ds_load_2addr_b64 v[41:44], v54 offset0:64 offset1:96
	v_pk_add_f16 v85, v121, v47
	v_pk_add_f16 v86, v123, v46
	;; [unrolled: 1-line block ×4, first 2 shown]
	ds_load_2addr_b64 v[45:48], v72 offset1:8
	v_pk_add_f16 v8, v8, v69
	v_pk_add_f16 v56, v96, v56
	;; [unrolled: 1-line block ×12, first 2 shown]
	s_waitcnt lgkmcnt(3)
	v_pk_max_f16 v35, v35, v35
	s_waitcnt lgkmcnt(2)
	v_pk_max_f16 v37, v37, v37
	v_pk_max_f16 v39, v39, v39
	s_waitcnt lgkmcnt(1)
	v_pk_max_f16 v41, v41, v41
	v_pk_add_f16 v15, v15, v56
	v_pk_add_f16 v56, v7, v67
	;; [unrolled: 1-line block ×3, first 2 shown]
	v_pk_min_f16 v6, v35, v37
	v_pk_min_f16 v7, v35, v39
	;; [unrolled: 1-line block ×3, first 2 shown]
	ds_load_2addr_b64 v[2:5], v72 offset0:16 offset1:24
	s_waitcnt lgkmcnt(1)
	v_pk_max_f16 v9, v45, v45
	v_pk_max_f16 v43, v43, v43
	v_pk_add_f16 v14, v113, v14
	v_pk_add_f16 v18, v114, v18
	;; [unrolled: 1-line block ×7, first 2 shown]
	v_pk_min_f16 v6, v9, v37
	v_pk_min_f16 v7, v9, v39
	v_pk_min_f16 v8, v9, v41
	v_pk_min_f16 v9, v9, v43
	v_pk_add_f16 v64, v99, v64
	v_pk_add_f16 v14, v6, v14
	;; [unrolled: 1-line block ×5, first 2 shown]
	ds_load_2addr_b64 v[6:9], v72 offset0:32 offset1:40
	v_pk_max_f16 v47, v47, v47
	v_pk_add_f16 v17, v17, v62
	v_pk_add_f16 v19, v19, v65
	;; [unrolled: 1-line block ×3, first 2 shown]
	s_waitcnt lgkmcnt(1)
	v_pk_max_f16 v2, v2, v2
	v_pk_min_f16 v62, v47, v37
	v_pk_min_f16 v64, v47, v39
	;; [unrolled: 1-line block ×4, first 2 shown]
	v_pk_max_f16 v4, v4, v4
	v_pk_add_f16 v55, v100, v55
	v_pk_add_f16 v49, v104, v49
	;; [unrolled: 1-line block ×4, first 2 shown]
	v_pk_min_f16 v47, v2, v37
	v_pk_add_f16 v10, v122, v10
	v_pk_add_f16 v59, v107, v59
	v_pk_add_f16 v23, v23, v55
	v_pk_add_f16 v55, v94, v66
	v_pk_add_f16 v82, v47, v85
	v_pk_min_f16 v47, v4, v39
	s_waitcnt lgkmcnt(0)
	v_pk_max_f16 v6, v6, v6
	v_pk_add_f16 v66, v62, v70
	v_pk_min_f16 v62, v2, v39
	v_pk_min_f16 v68, v2, v41
	;; [unrolled: 1-line block ×3, first 2 shown]
	v_pk_add_f16 v84, v47, v49
	v_pk_min_f16 v47, v6, v37
	v_pk_add_f16 v58, v106, v58
	v_pk_add_f16 v65, v65, v83
	;; [unrolled: 1-line block ×5, first 2 shown]
	v_pk_min_f16 v11, v4, v37
	v_pk_min_f16 v62, v4, v41
	;; [unrolled: 1-line block ×4, first 2 shown]
	v_pk_max_f16 v8, v8, v8
	v_pk_add_f16 v86, v47, v59
	v_pk_min_f16 v47, v6, v41
	v_pk_max_f16 v33, v33, v33
	v_pk_add_f16 v11, v11, v87
	v_pk_add_f16 v85, v62, v88
	;; [unrolled: 1-line block ×4, first 2 shown]
	v_pk_min_f16 v49, v8, v37
	v_pk_min_f16 v58, v8, v39
	v_pk_add_f16 v88, v47, v57
	v_pk_min_f16 v47, v8, v41
	v_pk_min_f16 v8, v8, v43
	;; [unrolled: 1-line block ×5, first 2 shown]
	v_pk_max_f16 v36, v36, v36
	v_pk_max_f16 v89, v40, v40
	v_pk_add_f16 v8, v8, v19
	v_pk_add_f16 v19, v37, v21
	;; [unrolled: 1-line block ×4, first 2 shown]
	v_pk_max_f16 v55, v38, v38
	v_pk_min_f16 v35, v35, v43
	v_pk_max_f16 v42, v42, v42
	v_pk_min_f16 v38, v36, v89
	v_pk_add_f16 v13, v49, v13
	v_pk_min_f16 v37, v36, v55
	v_pk_add_f16 v90, v35, v61
	v_pk_min_f16 v35, v36, v42
	v_pk_max_f16 v39, v46, v46
	v_pk_add_f16 v49, v38, v12
	v_pk_max_f16 v12, v44, v44
	v_pk_add_f16 v62, v37, v45
	v_pk_add_f16 v41, v35, v16
	v_pk_min_f16 v16, v39, v55
	v_pk_min_f16 v35, v39, v89
	;; [unrolled: 1-line block ×4, first 2 shown]
	v_pk_max_f16 v39, v48, v48
	v_pk_min_f16 v6, v6, v43
	v_pk_add_f16 v70, v16, v14
	v_pk_add_f16 v61, v35, v18
	v_pk_max_f16 v3, v3, v3
	v_pk_min_f16 v14, v39, v55
	v_pk_min_f16 v16, v39, v89
	;; [unrolled: 1-line block ×3, first 2 shown]
	v_pk_add_f16 v6, v6, v60
	v_pk_add_f16 v17, v47, v17
	;; [unrolled: 1-line block ×5, first 2 shown]
	v_pk_min_f16 v14, v3, v55
	v_pk_min_f16 v16, v3, v89
	;; [unrolled: 1-line block ×4, first 2 shown]
	v_pk_max_f16 v5, v5, v5
	v_pk_add_f16 v48, v37, v20
	v_pk_add_f16 v40, v38, v22
	v_pk_min_f16 v20, v39, v12
	v_pk_add_f16 v59, v16, v10
	v_pk_add_f16 v38, v3, v2
	v_pk_min_f16 v2, v5, v55
	v_pk_min_f16 v3, v5, v89
	v_pk_min_f16 v10, v5, v42
	v_pk_min_f16 v5, v5, v12
	v_pk_max_f16 v7, v7, v7
	v_pk_add_f16 v15, v58, v15
	v_pk_add_f16 v39, v20, v67
	v_pk_add_f16 v67, v2, v11
	v_pk_add_f16 v58, v3, v84
	v_pk_add_f16 v37, v5, v4
	v_pk_min_f16 v2, v7, v55
	v_pk_min_f16 v3, v7, v89
	;; [unrolled: 1-line block ×4, first 2 shown]
	v_pk_max_f16 v7, v9, v9
	v_pk_min_f16 v33, v33, v43
	v_pk_add_f16 v66, v2, v86
	v_pk_add_f16 v57, v3, v87
	;; [unrolled: 1-line block ×4, first 2 shown]
	v_pk_min_f16 v2, v7, v55
	v_pk_min_f16 v3, v7, v89
	;; [unrolled: 1-line block ×4, first 2 shown]
	v_pk_max_f16 v6, v34, v34
	v_pk_add_f16 v33, v33, v56
	v_pk_add_f16 v65, v2, v13
	;; [unrolled: 1-line block ×5, first 2 shown]
	v_pk_min_f16 v2, v6, v55
	v_pk_min_f16 v3, v6, v89
	;; [unrolled: 1-line block ×5, first 2 shown]
	v_add_co_u32 v77, vcc_lo, v77, s4
	v_add_co_ci_u32_e32 v78, vcc_lo, s5, v78, vcc_lo
	v_add_co_u32 v79, vcc_lo, v79, s10
	v_pk_add_f16 v68, v14, v82
	v_pk_add_f16 v46, v18, v83
	;; [unrolled: 1-line block ×8, first 2 shown]
	v_add_co_ci_u32_e32 v80, vcc_lo, s11, v80, vcc_lo
	s_add_i32 s12, s12, 8
	ds_store_b16 v73, v81
	ds_store_b16 v74, v0
	ds_store_b16 v74, v1 offset:512
	s_cmp_ge_i32 s12, s19
	s_waitcnt lgkmcnt(0)
	s_barrier
	buffer_gl0_inv
	s_cbranch_scc1 .LBB243_31
.LBB243_21:                             ; =>This Inner Loop Header: Depth=1
	s_and_b32 vcc_lo, exec_lo, s3
	s_cbranch_vccnz .LBB243_24
; %bb.22:                               ;   in Loop: Header=BB243_21 Depth=1
	v_add_co_u32 v0, vcc_lo, v79, v30
	v_add_co_ci_u32_e32 v1, vcc_lo, v80, v31, vcc_lo
	flat_load_u16 v0, v[0:1]
	s_waitcnt vmcnt(0) lgkmcnt(0)
	v_mul_f16_e32 v81, v50, v0
	s_and_b32 vcc_lo, exec_lo, s3
	s_cbranch_vccnz .LBB243_25
.LBB243_23:                             ;   in Loop: Header=BB243_21 Depth=1
	v_add_co_u32 v0, vcc_lo, v77, v28
	v_add_co_ci_u32_e32 v1, vcc_lo, v78, v29, vcc_lo
	s_clause 0x1
	flat_load_u16 v2, v[0:1]
	flat_load_u16 v0, v[0:1] offset:128
	s_waitcnt vmcnt(1) lgkmcnt(1)
	v_mul_f16_e32 v82, v50, v2
	s_waitcnt vmcnt(0) lgkmcnt(0)
	v_mul_f16_e32 v83, v50, v0
	s_branch .LBB243_26
.LBB243_24:                             ;   in Loop: Header=BB243_21 Depth=1
	v_mov_b32_e32 v81, 0
	s_and_b32 vcc_lo, exec_lo, s3
	s_cbranch_vccz .LBB243_23
.LBB243_25:                             ;   in Loop: Header=BB243_21 Depth=1
	v_dual_mov_b32 v82, 0 :: v_dual_mov_b32 v83, 0
.LBB243_26:                             ;   in Loop: Header=BB243_21 Depth=1
	ds_load_2addr_b64 v[0:3], v75 offset0:48 offset1:56
	ds_load_2addr_b64 v[12:15], v76 offset0:64 offset1:96
	ds_load_2addr_b64 v[20:23], v76 offset1:32
	ds_load_2addr_b64 v[16:19], v75 offset1:8
	ds_load_2addr_b64 v[8:11], v75 offset0:16 offset1:24
	ds_load_2addr_b64 v[4:7], v75 offset0:32 offset1:40
	s_and_b32 vcc_lo, exec_lo, s3
	ds_store_b16 v71, v81
	ds_store_b16 v63, v82
	ds_store_b16 v63, v83 offset:512
	s_waitcnt lgkmcnt(0)
	s_barrier
	buffer_gl0_inv
	s_cbranch_vccnz .LBB243_28
; %bb.27:                               ;   in Loop: Header=BB243_21 Depth=1
	v_add_co_u32 v81, vcc_lo, v79, v26
	v_add_co_ci_u32_e32 v82, vcc_lo, v80, v27, vcc_lo
	flat_load_u16 v81, v[81:82]
	s_waitcnt vmcnt(0) lgkmcnt(0)
	v_mul_f16_e32 v81, v50, v81
	s_branch .LBB243_29
.LBB243_28:                             ;   in Loop: Header=BB243_21 Depth=1
	v_mov_b32_e32 v81, 0
.LBB243_29:                             ;   in Loop: Header=BB243_21 Depth=1
	v_pk_max_f16 v94, v2, v2
	v_pk_max_f16 v99, v20, v20
	;; [unrolled: 1-line block ×12, first 2 shown]
	v_pk_min_f16 v2, v94, v99
	v_pk_min_f16 v12, v94, v100
	;; [unrolled: 1-line block ×25, first 2 shown]
	v_pk_max_f16 v0, v3, v3
	v_pk_max_f16 v21, v21, v21
	;; [unrolled: 1-line block ×9, first 2 shown]
	v_pk_min_f16 v113, v3, v21
	v_pk_min_f16 v114, v3, v23
	;; [unrolled: 1-line block ×4, first 2 shown]
	v_pk_max_f16 v3, v9, v9
	v_pk_max_f16 v9, v11, v11
	;; [unrolled: 1-line block ×3, first 2 shown]
	v_pk_min_f16 v22, v22, v103
	v_pk_min_f16 v84, v84, v103
	;; [unrolled: 1-line block ×35, first 2 shown]
	s_and_b32 vcc_lo, exec_lo, s3
	s_cbranch_vccz .LBB243_19
; %bb.30:                               ;   in Loop: Header=BB243_21 Depth=1
	v_dual_mov_b32 v0, 0 :: v_dual_mov_b32 v1, 0
	s_branch .LBB243_20
.LBB243_31:
	s_load_b32 s5, s[0:1], 0x58
	v_dual_mov_b32 v30, 0 :: v_dual_add_nc_u32 v25, s18, v52
	ds_load_b64 v[0:1], v54 offset:1024
	ds_load_b64 v[2:3], v53 offset:2560
	v_add_nc_u32_e32 v22, s15, v51
	v_cmp_neq_f16_e64 s3, 0, v32
	v_mov_b32_e32 v20, 0
	s_delay_alu instid0(VALU_DEP_3) | instskip(NEXT) | instid1(VALU_DEP_3)
	v_ashrrev_i32_e32 v23, 31, v22
	s_and_b32 vcc_lo, exec_lo, s3
	s_delay_alu instid0(VALU_DEP_1) | instskip(SKIP_2) | instid1(VALU_DEP_1)
	v_lshlrev_b64 v[16:17], 1, v[22:23]
	s_waitcnt lgkmcnt(0)
	v_mad_i64_i32 v[4:5], null, v25, s5, 0
	v_lshlrev_b64 v[4:5], 1, v[4:5]
	s_delay_alu instid0(VALU_DEP_1) | instskip(NEXT) | instid1(VALU_DEP_1)
	v_add_co_u32 v71, s4, s8, v4
	v_add_co_ci_u32_e64 v72, s4, s9, v5, s4
	s_cbranch_vccz .LBB243_33
; %bb.32:
	s_delay_alu instid0(VALU_DEP_2) | instskip(NEXT) | instid1(VALU_DEP_2)
	v_add_co_u32 v4, vcc_lo, v71, v16
	v_add_co_ci_u32_e32 v5, vcc_lo, v72, v17, vcc_lo
	flat_load_u16 v4, v[4:5]
	s_waitcnt vmcnt(0) lgkmcnt(0)
	v_mul_f16_e32 v20, v32, v4
.LBB243_33:
	s_clause 0x1
	s_load_b32 s4, s[0:1], 0x70
	s_load_b64 s[0:1], s[0:1], 0x78
	v_pk_max_f16 v74, v0, v0
	v_pk_max_f16 v26, v2, v2
	;; [unrolled: 1-line block ×4, first 2 shown]
	v_add_nc_u32_e32 v5, 0x800, v53
	ds_load_b64 v[23:24], v53 offset:3008
	ds_load_b64 v[18:19], v54 offset:1792
	v_pk_min_f16 v4, v26, v74
	ds_load_2addr_b64 v[0:3], v54 offset0:160 offset1:192
	v_pk_min_f16 v6, v27, v73
	ds_load_2addr_b64 v[12:15], v5 offset0:72 offset1:80
	v_add_nc_u32_e32 v28, 8, v22
	v_pk_add_f16 v4, v4, v70
	v_cndmask_b32_e64 v21, 0, 1, s3
	s_delay_alu instid0(VALU_DEP_3) | instskip(NEXT) | instid1(VALU_DEP_3)
	v_ashrrev_i32_e32 v29, 31, v28
	v_pk_add_f16 v31, v6, v4
	ds_load_2addr_b64 v[8:11], v5 offset0:88 offset1:96
	ds_load_2addr_b64 v[4:7], v5 offset0:104 offset1:112
	s_waitcnt lgkmcnt(0)
	v_mad_i64_i32 v[50:51], null, v25, s4, 0
	s_lshl_b64 s[10:11], s[0:1], 1
	v_lshrrev_b32_e32 v52, 16, v31
	s_add_u32 s1, s6, s10
	s_addc_u32 s6, s7, s11
	v_cmp_ne_u32_e64 s0, 1, v21
	s_delay_alu instid0(VALU_DEP_2) | instskip(NEXT) | instid1(VALU_DEP_4)
	v_add_f16_e32 v21, v31, v52
	v_lshlrev_b64 v[50:51], 1, v[50:51]
	s_delay_alu instid0(VALU_DEP_2) | instskip(SKIP_1) | instid1(VALU_DEP_3)
	v_add_f16_e32 v31, v21, v20
	v_lshlrev_b64 v[20:21], 1, v[28:29]
	v_add_co_u32 v70, vcc_lo, s1, v50
	s_delay_alu instid0(VALU_DEP_4) | instskip(NEXT) | instid1(VALU_DEP_2)
	v_add_co_ci_u32_e32 v75, vcc_lo, s6, v51, vcc_lo
	v_add_co_u32 v50, vcc_lo, v70, v16
	s_delay_alu instid0(VALU_DEP_2)
	v_add_co_ci_u32_e32 v51, vcc_lo, v75, v17, vcc_lo
	s_and_not1_b32 vcc_lo, exec_lo, s3
	global_store_b16 v[50:51], v31, off
	s_cbranch_vccnz .LBB243_35
; %bb.34:
	v_add_co_u32 v28, vcc_lo, v71, v20
	v_add_co_ci_u32_e32 v29, vcc_lo, v72, v21, vcc_lo
	flat_load_u16 v28, v[28:29]
	s_waitcnt vmcnt(0) lgkmcnt(0)
	v_mul_f16_e32 v30, v32, v28
.LBB243_35:
	v_pk_max_f16 v28, v12, v12
	v_pk_max_f16 v29, v13, v13
	v_add_co_u32 v53, vcc_lo, v70, v20
	v_add_co_ci_u32_e32 v54, vcc_lo, v75, v21, vcc_lo
	s_delay_alu instid0(VALU_DEP_4) | instskip(NEXT) | instid1(VALU_DEP_4)
	v_pk_min_f16 v12, v28, v74
	v_pk_min_f16 v13, v29, v73
	v_mov_b32_e32 v52, 0
	s_and_b32 vcc_lo, exec_lo, s0
	s_delay_alu instid0(VALU_DEP_3) | instskip(NEXT) | instid1(VALU_DEP_1)
	v_pk_add_f16 v12, v12, v69
	v_pk_add_f16 v31, v13, v12
	v_add_nc_u32_e32 v12, 16, v22
	s_delay_alu instid0(VALU_DEP_2) | instskip(NEXT) | instid1(VALU_DEP_2)
	v_lshrrev_b32_e32 v50, 16, v31
	v_ashrrev_i32_e32 v13, 31, v12
	s_delay_alu instid0(VALU_DEP_2) | instskip(NEXT) | instid1(VALU_DEP_2)
	v_add_f16_e32 v31, v31, v50
	v_lshlrev_b64 v[12:13], 1, v[12:13]
	v_mov_b32_e32 v50, 0
	s_delay_alu instid0(VALU_DEP_3)
	v_add_f16_e32 v30, v31, v30
	global_store_b16 v[53:54], v30, off
	s_cbranch_vccnz .LBB243_37
; %bb.36:
	v_add_co_u32 v30, vcc_lo, v71, v12
	v_add_co_ci_u32_e32 v31, vcc_lo, v72, v13, vcc_lo
	flat_load_u16 v30, v[30:31]
	s_waitcnt vmcnt(0) lgkmcnt(0)
	v_mul_f16_e32 v50, v32, v30
.LBB243_37:
	v_pk_max_f16 v30, v14, v14
	v_pk_max_f16 v31, v15, v15
	s_delay_alu instid0(VALU_DEP_2) | instskip(NEXT) | instid1(VALU_DEP_2)
	v_pk_min_f16 v14, v30, v74
	v_pk_min_f16 v15, v31, v73
	s_delay_alu instid0(VALU_DEP_2) | instskip(NEXT) | instid1(VALU_DEP_1)
	v_pk_add_f16 v14, v14, v68
	v_pk_add_f16 v51, v15, v14
	v_add_nc_u32_e32 v14, 24, v22
	s_delay_alu instid0(VALU_DEP_2) | instskip(NEXT) | instid1(VALU_DEP_2)
	v_lshrrev_b32_e32 v53, 16, v51
	v_ashrrev_i32_e32 v15, 31, v14
	s_delay_alu instid0(VALU_DEP_2) | instskip(SKIP_1) | instid1(VALU_DEP_3)
	v_add_f16_e32 v51, v51, v53
	v_add_co_u32 v53, vcc_lo, v70, v12
	v_lshlrev_b64 v[14:15], 1, v[14:15]
	v_add_co_ci_u32_e32 v54, vcc_lo, v75, v13, vcc_lo
	s_delay_alu instid0(VALU_DEP_4)
	v_add_f16_e32 v50, v51, v50
	s_and_b32 vcc_lo, exec_lo, s0
	global_store_b16 v[53:54], v50, off
	s_cbranch_vccnz .LBB243_39
; %bb.38:
	v_add_co_u32 v50, vcc_lo, v71, v14
	v_add_co_ci_u32_e32 v51, vcc_lo, v72, v15, vcc_lo
	flat_load_u16 v50, v[50:51]
	s_waitcnt vmcnt(0) lgkmcnt(0)
	v_mul_f16_e32 v52, v32, v50
.LBB243_39:
	v_pk_max_f16 v50, v8, v8
	v_pk_max_f16 v51, v9, v9
	v_add_co_u32 v76, vcc_lo, v70, v14
	v_add_co_ci_u32_e32 v77, vcc_lo, v75, v15, vcc_lo
	s_delay_alu instid0(VALU_DEP_4) | instskip(NEXT) | instid1(VALU_DEP_4)
	v_pk_min_f16 v8, v50, v74
	v_pk_min_f16 v9, v51, v73
	v_mov_b32_e32 v68, 0
	s_and_b32 vcc_lo, exec_lo, s0
	s_delay_alu instid0(VALU_DEP_3) | instskip(NEXT) | instid1(VALU_DEP_1)
	v_pk_add_f16 v8, v8, v67
	v_pk_add_f16 v53, v9, v8
	v_add_nc_u32_e32 v8, 32, v22
	s_delay_alu instid0(VALU_DEP_2) | instskip(NEXT) | instid1(VALU_DEP_2)
	v_lshrrev_b32_e32 v54, 16, v53
	v_ashrrev_i32_e32 v9, 31, v8
	s_delay_alu instid0(VALU_DEP_2) | instskip(NEXT) | instid1(VALU_DEP_2)
	v_add_f16_e32 v53, v53, v54
	v_lshlrev_b64 v[8:9], 1, v[8:9]
	v_mov_b32_e32 v54, 0
	s_delay_alu instid0(VALU_DEP_3)
	v_add_f16_e32 v52, v53, v52
	global_store_b16 v[76:77], v52, off
	s_cbranch_vccnz .LBB243_41
; %bb.40:
	v_add_co_u32 v52, vcc_lo, v71, v8
	v_add_co_ci_u32_e32 v53, vcc_lo, v72, v9, vcc_lo
	flat_load_u16 v52, v[52:53]
	s_waitcnt vmcnt(0) lgkmcnt(0)
	v_mul_f16_e32 v54, v32, v52
.LBB243_41:
	v_pk_max_f16 v52, v10, v10
	v_pk_max_f16 v53, v11, v11
	s_delay_alu instid0(VALU_DEP_2) | instskip(NEXT) | instid1(VALU_DEP_2)
	v_pk_min_f16 v10, v52, v74
	v_pk_min_f16 v11, v53, v73
	s_delay_alu instid0(VALU_DEP_2) | instskip(NEXT) | instid1(VALU_DEP_1)
	v_pk_add_f16 v10, v10, v66
	v_pk_add_f16 v63, v11, v10
	v_add_nc_u32_e32 v10, 40, v22
	s_delay_alu instid0(VALU_DEP_2) | instskip(NEXT) | instid1(VALU_DEP_2)
	v_lshrrev_b32_e32 v66, 16, v63
	v_ashrrev_i32_e32 v11, 31, v10
	s_delay_alu instid0(VALU_DEP_2) | instskip(SKIP_1) | instid1(VALU_DEP_3)
	v_add_f16_e32 v63, v63, v66
	v_add_co_u32 v66, vcc_lo, v70, v8
	v_lshlrev_b64 v[10:11], 1, v[10:11]
	v_add_co_ci_u32_e32 v67, vcc_lo, v75, v9, vcc_lo
	s_delay_alu instid0(VALU_DEP_4)
	v_add_f16_e32 v54, v63, v54
	s_and_b32 vcc_lo, exec_lo, s0
	global_store_b16 v[66:67], v54, off
	s_cbranch_vccnz .LBB243_43
; %bb.42:
	v_add_co_u32 v66, vcc_lo, v71, v10
	v_add_co_ci_u32_e32 v67, vcc_lo, v72, v11, vcc_lo
	flat_load_u16 v54, v[66:67]
	s_waitcnt vmcnt(0) lgkmcnt(0)
	v_mul_f16_e32 v68, v32, v54
.LBB243_43:
	v_pk_max_f16 v54, v4, v4
	v_pk_max_f16 v63, v5, v5
	v_mov_b32_e32 v67, 0
	s_delay_alu instid0(VALU_DEP_3) | instskip(NEXT) | instid1(VALU_DEP_3)
	v_pk_min_f16 v4, v54, v74
	v_pk_min_f16 v5, v63, v73
	s_delay_alu instid0(VALU_DEP_2) | instskip(NEXT) | instid1(VALU_DEP_1)
	v_pk_add_f16 v4, v4, v65
	v_pk_add_f16 v65, v5, v4
	v_add_nc_u32_e32 v4, 48, v22
	s_delay_alu instid0(VALU_DEP_2) | instskip(NEXT) | instid1(VALU_DEP_2)
	v_lshrrev_b32_e32 v66, 16, v65
	v_ashrrev_i32_e32 v5, 31, v4
	s_delay_alu instid0(VALU_DEP_2) | instskip(SKIP_1) | instid1(VALU_DEP_3)
	v_add_f16_e32 v69, v65, v66
	v_add_co_u32 v65, vcc_lo, v70, v10
	v_lshlrev_b64 v[4:5], 1, v[4:5]
	v_add_co_ci_u32_e32 v66, vcc_lo, v75, v11, vcc_lo
	s_delay_alu instid0(VALU_DEP_4)
	v_add_f16_e32 v69, v69, v68
	v_mov_b32_e32 v68, 0
	s_and_b32 vcc_lo, exec_lo, s0
	global_store_b16 v[65:66], v69, off
	s_cbranch_vccnz .LBB243_45
; %bb.44:
	v_add_co_u32 v65, vcc_lo, v71, v4
	v_add_co_ci_u32_e32 v66, vcc_lo, v72, v5, vcc_lo
	flat_load_u16 v65, v[65:66]
	s_waitcnt vmcnt(0) lgkmcnt(0)
	v_mul_f16_e32 v68, v32, v65
.LBB243_45:
	v_pk_max_f16 v65, v6, v6
	v_pk_max_f16 v66, v7, v7
	v_add_co_u32 v76, vcc_lo, v70, v4
	v_add_co_ci_u32_e32 v77, vcc_lo, v75, v5, vcc_lo
	s_delay_alu instid0(VALU_DEP_4) | instskip(NEXT) | instid1(VALU_DEP_4)
	v_pk_min_f16 v6, v65, v74
	v_pk_min_f16 v7, v66, v73
	s_and_b32 vcc_lo, exec_lo, s0
	s_delay_alu instid0(VALU_DEP_2) | instskip(NEXT) | instid1(VALU_DEP_1)
	v_pk_add_f16 v6, v6, v64
	v_pk_add_f16 v64, v7, v6
	v_add_nc_u32_e32 v6, 56, v22
	s_delay_alu instid0(VALU_DEP_2) | instskip(NEXT) | instid1(VALU_DEP_2)
	v_lshrrev_b32_e32 v22, 16, v64
	v_ashrrev_i32_e32 v7, 31, v6
	s_delay_alu instid0(VALU_DEP_2) | instskip(NEXT) | instid1(VALU_DEP_2)
	v_add_f16_e32 v22, v64, v22
	v_lshlrev_b64 v[6:7], 1, v[6:7]
	s_delay_alu instid0(VALU_DEP_2)
	v_add_f16_e32 v22, v22, v68
	global_store_b16 v[76:77], v22, off
	s_cbranch_vccnz .LBB243_47
; %bb.46:
	v_add_co_u32 v67, vcc_lo, v71, v6
	v_add_co_ci_u32_e32 v68, vcc_lo, v72, v7, vcc_lo
	flat_load_u16 v22, v[67:68]
	s_waitcnt vmcnt(0) lgkmcnt(0)
	v_mul_f16_e32 v67, v32, v22
.LBB243_47:
	v_pk_max_f16 v22, v23, v23
	v_pk_max_f16 v23, v24, v24
	v_dual_mov_b32 v69, 0 :: v_dual_add_nc_u32 v68, 32, v25
	s_delay_alu instid0(VALU_DEP_3) | instskip(NEXT) | instid1(VALU_DEP_3)
	v_pk_min_f16 v24, v22, v74
	v_pk_min_f16 v64, v23, v73
	v_add_co_u32 v73, vcc_lo, v70, v6
	v_add_co_ci_u32_e32 v74, vcc_lo, v75, v7, vcc_lo
	s_delay_alu instid0(VALU_DEP_4) | instskip(NEXT) | instid1(VALU_DEP_1)
	v_pk_add_f16 v24, v24, v62
	v_pk_add_f16 v24, v64, v24
	s_delay_alu instid0(VALU_DEP_1) | instskip(NEXT) | instid1(VALU_DEP_1)
	v_lshrrev_b32_e32 v62, 16, v24
	v_add_f16_e32 v64, v24, v62
	s_delay_alu instid0(VALU_DEP_1) | instskip(SKIP_4) | instid1(VALU_DEP_1)
	v_add_f16_e32 v64, v64, v67
	v_mov_b32_e32 v67, 0
	v_mad_i64_i32 v[71:72], null, v68, s5, 0
	global_store_b16 v[73:74], v64, off
	v_lshlrev_b64 v[71:72], 1, v[71:72]
	v_add_co_u32 v24, vcc_lo, s8, v71
	s_delay_alu instid0(VALU_DEP_2)
	v_add_co_ci_u32_e32 v62, vcc_lo, s9, v72, vcc_lo
	s_and_b32 vcc_lo, exec_lo, s0
	s_cbranch_vccnz .LBB243_49
; %bb.48:
	s_delay_alu instid0(VALU_DEP_2) | instskip(NEXT) | instid1(VALU_DEP_2)
	v_add_co_u32 v69, vcc_lo, v24, v16
	v_add_co_ci_u32_e32 v70, vcc_lo, v62, v17, vcc_lo
	flat_load_u16 v64, v[69:70]
	s_waitcnt vmcnt(0) lgkmcnt(0)
	v_mul_f16_e32 v69, v32, v64
.LBB243_49:
	v_pk_max_f16 v64, v0, v0
	v_pk_max_f16 v0, v1, v1
	v_mad_i64_i32 v[70:71], null, v68, s4, 0
	s_delay_alu instid0(VALU_DEP_3) | instskip(NEXT) | instid1(VALU_DEP_3)
	v_pk_min_f16 v1, v26, v64
	v_pk_min_f16 v72, v27, v0
	s_delay_alu instid0(VALU_DEP_3) | instskip(NEXT) | instid1(VALU_DEP_3)
	v_lshlrev_b64 v[70:71], 1, v[70:71]
	v_pk_add_f16 v1, v1, v61
	s_delay_alu instid0(VALU_DEP_1) | instskip(NEXT) | instid1(VALU_DEP_1)
	v_pk_add_f16 v1, v72, v1
	v_lshrrev_b32_e32 v61, 16, v1
	s_delay_alu instid0(VALU_DEP_1) | instskip(SKIP_2) | instid1(VALU_DEP_3)
	v_add_f16_e32 v68, v1, v61
	v_add_co_u32 v1, vcc_lo, s1, v70
	v_add_co_ci_u32_e32 v61, vcc_lo, s6, v71, vcc_lo
	v_add_f16_e32 v70, v68, v69
	s_delay_alu instid0(VALU_DEP_3) | instskip(NEXT) | instid1(VALU_DEP_3)
	v_add_co_u32 v68, vcc_lo, v1, v16
	v_add_co_ci_u32_e32 v69, vcc_lo, v61, v17, vcc_lo
	s_and_b32 vcc_lo, exec_lo, s0
	global_store_b16 v[68:69], v70, off
	s_cbranch_vccnz .LBB243_51
; %bb.50:
	v_add_co_u32 v67, vcc_lo, v24, v20
	v_add_co_ci_u32_e32 v68, vcc_lo, v62, v21, vcc_lo
	flat_load_u16 v67, v[67:68]
	s_waitcnt vmcnt(0) lgkmcnt(0)
	v_mul_f16_e32 v67, v32, v67
.LBB243_51:
	v_pk_min_f16 v68, v28, v64
	v_pk_min_f16 v69, v29, v0
	s_delay_alu instid0(VALU_DEP_2) | instskip(NEXT) | instid1(VALU_DEP_1)
	v_pk_add_f16 v60, v68, v60
	v_pk_add_f16 v60, v69, v60
	s_delay_alu instid0(VALU_DEP_1) | instskip(NEXT) | instid1(VALU_DEP_1)
	v_lshrrev_b32_e32 v68, 16, v60
	v_add_f16_e32 v60, v60, v68
	v_add_co_u32 v68, vcc_lo, v1, v20
	v_add_co_ci_u32_e32 v69, vcc_lo, v61, v21, vcc_lo
	s_delay_alu instid0(VALU_DEP_3)
	v_add_f16_e32 v70, v60, v67
	v_dual_mov_b32 v60, 0 :: v_dual_mov_b32 v67, 0
	s_and_b32 vcc_lo, exec_lo, s0
	global_store_b16 v[68:69], v70, off
	s_cbranch_vccnz .LBB243_53
; %bb.52:
	v_add_co_u32 v67, vcc_lo, v24, v12
	v_add_co_ci_u32_e32 v68, vcc_lo, v62, v13, vcc_lo
	flat_load_u16 v67, v[67:68]
	s_waitcnt vmcnt(0) lgkmcnt(0)
	v_mul_f16_e32 v67, v32, v67
.LBB243_53:
	v_pk_min_f16 v68, v30, v64
	v_pk_min_f16 v69, v31, v0
	s_delay_alu instid0(VALU_DEP_2) | instskip(NEXT) | instid1(VALU_DEP_1)
	v_pk_add_f16 v59, v68, v59
	v_pk_add_f16 v59, v69, v59
	s_delay_alu instid0(VALU_DEP_1) | instskip(NEXT) | instid1(VALU_DEP_1)
	v_lshrrev_b32_e32 v68, 16, v59
	v_add_f16_e32 v59, v59, v68
	s_delay_alu instid0(VALU_DEP_1)
	v_add_f16_e32 v59, v59, v67
	v_add_co_u32 v67, vcc_lo, v1, v12
	v_add_co_ci_u32_e32 v68, vcc_lo, v61, v13, vcc_lo
	s_and_b32 vcc_lo, exec_lo, s0
	global_store_b16 v[67:68], v59, off
	s_cbranch_vccnz .LBB243_55
; %bb.54:
	v_add_co_u32 v59, vcc_lo, v24, v14
	v_add_co_ci_u32_e32 v60, vcc_lo, v62, v15, vcc_lo
	flat_load_u16 v59, v[59:60]
	s_waitcnt vmcnt(0) lgkmcnt(0)
	v_mul_f16_e32 v60, v32, v59
.LBB243_55:
	v_pk_min_f16 v59, v50, v64
	v_pk_min_f16 v67, v51, v0
	s_delay_alu instid0(VALU_DEP_2) | instskip(NEXT) | instid1(VALU_DEP_1)
	v_pk_add_f16 v58, v59, v58
	v_pk_add_f16 v58, v67, v58
	v_add_co_u32 v67, vcc_lo, v1, v14
	v_add_co_ci_u32_e32 v68, vcc_lo, v61, v15, vcc_lo
	s_delay_alu instid0(VALU_DEP_3) | instskip(SKIP_1) | instid1(VALU_DEP_1)
	v_lshrrev_b32_e32 v59, 16, v58
	s_and_b32 vcc_lo, exec_lo, s0
	v_add_f16_e32 v58, v58, v59
	v_mov_b32_e32 v59, 0
	s_delay_alu instid0(VALU_DEP_2)
	v_add_f16_e32 v60, v58, v60
	v_mov_b32_e32 v58, 0
	global_store_b16 v[67:68], v60, off
	s_cbranch_vccnz .LBB243_57
; %bb.56:
	v_add_co_u32 v59, vcc_lo, v24, v8
	v_add_co_ci_u32_e32 v60, vcc_lo, v62, v9, vcc_lo
	flat_load_u16 v59, v[59:60]
	s_waitcnt vmcnt(0) lgkmcnt(0)
	v_mul_f16_e32 v59, v32, v59
.LBB243_57:
	v_pk_min_f16 v60, v52, v64
	v_pk_min_f16 v67, v53, v0
	s_delay_alu instid0(VALU_DEP_2) | instskip(NEXT) | instid1(VALU_DEP_1)
	v_pk_add_f16 v57, v60, v57
	v_pk_add_f16 v57, v67, v57
	s_delay_alu instid0(VALU_DEP_1) | instskip(NEXT) | instid1(VALU_DEP_1)
	v_lshrrev_b32_e32 v60, 16, v57
	v_add_f16_e32 v57, v57, v60
	s_delay_alu instid0(VALU_DEP_1)
	v_add_f16_e32 v57, v57, v59
	v_add_co_u32 v59, vcc_lo, v1, v8
	v_add_co_ci_u32_e32 v60, vcc_lo, v61, v9, vcc_lo
	s_and_b32 vcc_lo, exec_lo, s0
	global_store_b16 v[59:60], v57, off
	s_cbranch_vccnz .LBB243_59
; %bb.58:
	v_add_co_u32 v57, vcc_lo, v24, v10
	v_add_co_ci_u32_e32 v58, vcc_lo, v62, v11, vcc_lo
	flat_load_u16 v57, v[57:58]
	s_waitcnt vmcnt(0) lgkmcnt(0)
	v_mul_f16_e32 v58, v32, v57
.LBB243_59:
	v_pk_min_f16 v57, v54, v64
	v_pk_min_f16 v59, v63, v0
	s_delay_alu instid0(VALU_DEP_2) | instskip(NEXT) | instid1(VALU_DEP_1)
	v_pk_add_f16 v56, v57, v56
	v_pk_add_f16 v56, v59, v56
	v_add_co_u32 v59, vcc_lo, v1, v10
	v_add_co_ci_u32_e32 v60, vcc_lo, v61, v11, vcc_lo
	s_delay_alu instid0(VALU_DEP_3) | instskip(SKIP_1) | instid1(VALU_DEP_1)
	v_lshrrev_b32_e32 v57, 16, v56
	s_and_b32 vcc_lo, exec_lo, s0
	v_add_f16_e32 v56, v56, v57
	v_mov_b32_e32 v57, 0
	s_delay_alu instid0(VALU_DEP_2)
	v_add_f16_e32 v58, v56, v58
	v_mov_b32_e32 v56, 0
	global_store_b16 v[59:60], v58, off
	s_cbranch_vccnz .LBB243_61
; %bb.60:
	v_add_co_u32 v57, vcc_lo, v24, v4
	v_add_co_ci_u32_e32 v58, vcc_lo, v62, v5, vcc_lo
	flat_load_u16 v57, v[57:58]
	s_waitcnt vmcnt(0) lgkmcnt(0)
	v_mul_f16_e32 v57, v32, v57
.LBB243_61:
	v_pk_min_f16 v58, v65, v64
	v_pk_min_f16 v59, v66, v0
	s_delay_alu instid0(VALU_DEP_2) | instskip(NEXT) | instid1(VALU_DEP_1)
	v_pk_add_f16 v55, v58, v55
	v_pk_add_f16 v55, v59, v55
	s_delay_alu instid0(VALU_DEP_1) | instskip(NEXT) | instid1(VALU_DEP_1)
	v_lshrrev_b32_e32 v58, 16, v55
	v_add_f16_e32 v55, v55, v58
	s_delay_alu instid0(VALU_DEP_1)
	v_add_f16_e32 v55, v55, v57
	v_add_co_u32 v57, vcc_lo, v1, v4
	v_add_co_ci_u32_e32 v58, vcc_lo, v61, v5, vcc_lo
	s_and_b32 vcc_lo, exec_lo, s0
	global_store_b16 v[57:58], v55, off
	s_cbranch_vccnz .LBB243_63
; %bb.62:
	v_add_co_u32 v55, vcc_lo, v24, v6
	v_add_co_ci_u32_e32 v56, vcc_lo, v62, v7, vcc_lo
	flat_load_u16 v24, v[55:56]
	s_waitcnt vmcnt(0) lgkmcnt(0)
	v_mul_f16_e32 v56, v32, v24
.LBB243_63:
	v_pk_min_f16 v24, v22, v64
	v_pk_min_f16 v0, v23, v0
	v_add_nc_u32_e32 v57, 64, v25
	v_add_co_u32 v60, vcc_lo, v1, v6
	s_delay_alu instid0(VALU_DEP_4) | instskip(SKIP_2) | instid1(VALU_DEP_3)
	v_pk_add_f16 v24, v24, v49
	v_add_co_ci_u32_e32 v61, vcc_lo, v61, v7, vcc_lo
	v_mov_b32_e32 v55, 0
	v_pk_add_f16 v0, v0, v24
	s_delay_alu instid0(VALU_DEP_1) | instskip(NEXT) | instid1(VALU_DEP_1)
	v_lshrrev_b32_e32 v24, 16, v0
	v_add_f16_e32 v0, v0, v24
	s_delay_alu instid0(VALU_DEP_1) | instskip(SKIP_4) | instid1(VALU_DEP_1)
	v_add_f16_e32 v0, v0, v56
	v_mov_b32_e32 v56, 0
	v_mad_i64_i32 v[58:59], null, v57, s5, 0
	global_store_b16 v[60:61], v0, off
	v_lshlrev_b64 v[58:59], 1, v[58:59]
	v_add_co_u32 v1, vcc_lo, s8, v58
	s_delay_alu instid0(VALU_DEP_2)
	v_add_co_ci_u32_e32 v24, vcc_lo, s9, v59, vcc_lo
	s_and_b32 vcc_lo, exec_lo, s0
	s_cbranch_vccnz .LBB243_65
; %bb.64:
	s_delay_alu instid0(VALU_DEP_2) | instskip(NEXT) | instid1(VALU_DEP_2)
	v_add_co_u32 v58, vcc_lo, v1, v16
	v_add_co_ci_u32_e32 v59, vcc_lo, v24, v17, vcc_lo
	flat_load_u16 v0, v[58:59]
	s_waitcnt vmcnt(0) lgkmcnt(0)
	v_mul_f16_e32 v56, v32, v0
.LBB243_65:
	v_pk_max_f16 v49, v2, v2
	v_pk_max_f16 v0, v3, v3
	s_delay_alu instid0(VALU_DEP_2) | instskip(NEXT) | instid1(VALU_DEP_2)
	v_pk_min_f16 v2, v26, v49
	v_pk_min_f16 v58, v27, v0
	s_delay_alu instid0(VALU_DEP_2) | instskip(SKIP_1) | instid1(VALU_DEP_2)
	v_pk_add_f16 v48, v2, v48
	v_mad_i64_i32 v[2:3], null, v57, s4, 0
	v_pk_add_f16 v48, v58, v48
	s_delay_alu instid0(VALU_DEP_2) | instskip(NEXT) | instid1(VALU_DEP_2)
	v_lshlrev_b64 v[2:3], 1, v[2:3]
	v_lshrrev_b32_e32 v57, 16, v48
	s_delay_alu instid0(VALU_DEP_2) | instskip(NEXT) | instid1(VALU_DEP_2)
	v_add_co_u32 v2, vcc_lo, s1, v2
	v_add_f16_e32 v48, v48, v57
	s_delay_alu instid0(VALU_DEP_4) | instskip(NEXT) | instid1(VALU_DEP_2)
	v_add_co_ci_u32_e32 v3, vcc_lo, s6, v3, vcc_lo
	v_add_f16_e32 v48, v48, v56
	s_delay_alu instid0(VALU_DEP_4) | instskip(NEXT) | instid1(VALU_DEP_3)
	v_add_co_u32 v56, vcc_lo, v2, v16
	v_add_co_ci_u32_e32 v57, vcc_lo, v3, v17, vcc_lo
	s_and_b32 vcc_lo, exec_lo, s0
	global_store_b16 v[56:57], v48, off
	s_cbranch_vccnz .LBB243_67
; %bb.66:
	v_add_co_u32 v55, vcc_lo, v1, v20
	v_add_co_ci_u32_e32 v56, vcc_lo, v24, v21, vcc_lo
	flat_load_u16 v48, v[55:56]
	s_waitcnt vmcnt(0) lgkmcnt(0)
	v_mul_f16_e32 v55, v32, v48
.LBB243_67:
	v_pk_min_f16 v48, v28, v49
	v_pk_min_f16 v56, v29, v0
	s_delay_alu instid0(VALU_DEP_2) | instskip(NEXT) | instid1(VALU_DEP_1)
	v_pk_add_f16 v47, v48, v47
	v_pk_add_f16 v47, v56, v47
	v_add_co_u32 v56, vcc_lo, v2, v20
	v_add_co_ci_u32_e32 v57, vcc_lo, v3, v21, vcc_lo
	s_delay_alu instid0(VALU_DEP_3) | instskip(SKIP_1) | instid1(VALU_DEP_1)
	v_lshrrev_b32_e32 v48, 16, v47
	s_and_b32 vcc_lo, exec_lo, s0
	v_add_f16_e32 v47, v47, v48
	v_mov_b32_e32 v48, 0
	s_delay_alu instid0(VALU_DEP_2)
	v_add_f16_e32 v55, v47, v55
	v_mov_b32_e32 v47, 0
	global_store_b16 v[56:57], v55, off
	s_cbranch_vccnz .LBB243_69
; %bb.68:
	v_add_co_u32 v55, vcc_lo, v1, v12
	v_add_co_ci_u32_e32 v56, vcc_lo, v24, v13, vcc_lo
	flat_load_u16 v48, v[55:56]
	s_waitcnt vmcnt(0) lgkmcnt(0)
	v_mul_f16_e32 v48, v32, v48
.LBB243_69:
	v_pk_min_f16 v55, v30, v49
	v_pk_min_f16 v56, v31, v0
	s_delay_alu instid0(VALU_DEP_2) | instskip(NEXT) | instid1(VALU_DEP_1)
	v_pk_add_f16 v46, v55, v46
	v_pk_add_f16 v46, v56, v46
	s_delay_alu instid0(VALU_DEP_1) | instskip(NEXT) | instid1(VALU_DEP_1)
	v_lshrrev_b32_e32 v55, 16, v46
	v_add_f16_e32 v46, v46, v55
	v_add_co_u32 v55, vcc_lo, v2, v12
	v_add_co_ci_u32_e32 v56, vcc_lo, v3, v13, vcc_lo
	s_delay_alu instid0(VALU_DEP_3)
	v_add_f16_e32 v46, v46, v48
	s_and_b32 vcc_lo, exec_lo, s0
	global_store_b16 v[55:56], v46, off
	s_cbranch_vccnz .LBB243_71
; %bb.70:
	v_add_co_u32 v46, vcc_lo, v1, v14
	v_add_co_ci_u32_e32 v47, vcc_lo, v24, v15, vcc_lo
	flat_load_u16 v46, v[46:47]
	s_waitcnt vmcnt(0) lgkmcnt(0)
	v_mul_f16_e32 v47, v32, v46
.LBB243_71:
	v_pk_min_f16 v46, v50, v49
	v_pk_min_f16 v48, v51, v0
	v_add_co_u32 v55, vcc_lo, v2, v14
	v_add_co_ci_u32_e32 v56, vcc_lo, v3, v15, vcc_lo
	s_delay_alu instid0(VALU_DEP_4) | instskip(SKIP_1) | instid1(VALU_DEP_1)
	v_pk_add_f16 v45, v46, v45
	s_and_b32 vcc_lo, exec_lo, s0
	v_pk_add_f16 v45, v48, v45
	s_delay_alu instid0(VALU_DEP_1) | instskip(NEXT) | instid1(VALU_DEP_1)
	v_lshrrev_b32_e32 v46, 16, v45
	v_add_f16_e32 v45, v45, v46
	v_mov_b32_e32 v46, 0
	s_delay_alu instid0(VALU_DEP_2)
	v_add_f16_e32 v47, v45, v47
	v_mov_b32_e32 v45, 0
	global_store_b16 v[55:56], v47, off
	s_cbranch_vccnz .LBB243_73
; %bb.72:
	v_add_co_u32 v46, vcc_lo, v1, v8
	v_add_co_ci_u32_e32 v47, vcc_lo, v24, v9, vcc_lo
	flat_load_u16 v46, v[46:47]
	s_waitcnt vmcnt(0) lgkmcnt(0)
	v_mul_f16_e32 v46, v32, v46
.LBB243_73:
	v_pk_min_f16 v47, v52, v49
	v_pk_min_f16 v48, v53, v0
	s_delay_alu instid0(VALU_DEP_2) | instskip(NEXT) | instid1(VALU_DEP_1)
	v_pk_add_f16 v44, v47, v44
	v_pk_add_f16 v44, v48, v44
	s_delay_alu instid0(VALU_DEP_1) | instskip(NEXT) | instid1(VALU_DEP_1)
	v_lshrrev_b32_e32 v47, 16, v44
	v_add_f16_e32 v44, v44, v47
	s_delay_alu instid0(VALU_DEP_1)
	v_add_f16_e32 v44, v44, v46
	v_add_co_u32 v46, vcc_lo, v2, v8
	v_add_co_ci_u32_e32 v47, vcc_lo, v3, v9, vcc_lo
	s_and_b32 vcc_lo, exec_lo, s0
	global_store_b16 v[46:47], v44, off
	s_cbranch_vccnz .LBB243_75
; %bb.74:
	v_add_co_u32 v44, vcc_lo, v1, v10
	v_add_co_ci_u32_e32 v45, vcc_lo, v24, v11, vcc_lo
	flat_load_u16 v44, v[44:45]
	s_waitcnt vmcnt(0) lgkmcnt(0)
	v_mul_f16_e32 v45, v32, v44
.LBB243_75:
	v_pk_min_f16 v44, v54, v49
	v_pk_min_f16 v46, v63, v0
	s_delay_alu instid0(VALU_DEP_2) | instskip(NEXT) | instid1(VALU_DEP_1)
	v_pk_add_f16 v43, v44, v43
	v_pk_add_f16 v43, v46, v43
	v_add_co_u32 v46, vcc_lo, v2, v10
	v_add_co_ci_u32_e32 v47, vcc_lo, v3, v11, vcc_lo
	s_delay_alu instid0(VALU_DEP_3) | instskip(SKIP_1) | instid1(VALU_DEP_1)
	v_lshrrev_b32_e32 v44, 16, v43
	s_and_b32 vcc_lo, exec_lo, s0
	v_add_f16_e32 v43, v43, v44
	v_mov_b32_e32 v44, 0
	s_delay_alu instid0(VALU_DEP_2)
	v_add_f16_e32 v45, v43, v45
	v_mov_b32_e32 v43, 0
	global_store_b16 v[46:47], v45, off
	s_cbranch_vccnz .LBB243_77
; %bb.76:
	v_add_co_u32 v44, vcc_lo, v1, v4
	v_add_co_ci_u32_e32 v45, vcc_lo, v24, v5, vcc_lo
	flat_load_u16 v44, v[44:45]
	s_waitcnt vmcnt(0) lgkmcnt(0)
	v_mul_f16_e32 v44, v32, v44
.LBB243_77:
	v_pk_min_f16 v45, v65, v49
	v_pk_min_f16 v46, v66, v0
	s_delay_alu instid0(VALU_DEP_2) | instskip(NEXT) | instid1(VALU_DEP_1)
	v_pk_add_f16 v42, v45, v42
	v_pk_add_f16 v42, v46, v42
	s_delay_alu instid0(VALU_DEP_1) | instskip(NEXT) | instid1(VALU_DEP_1)
	v_lshrrev_b32_e32 v45, 16, v42
	v_add_f16_e32 v42, v42, v45
	s_delay_alu instid0(VALU_DEP_1)
	v_add_f16_e32 v42, v42, v44
	v_add_co_u32 v44, vcc_lo, v2, v4
	v_add_co_ci_u32_e32 v45, vcc_lo, v3, v5, vcc_lo
	s_and_b32 vcc_lo, exec_lo, s0
	global_store_b16 v[44:45], v42, off
	s_cbranch_vccnz .LBB243_79
; %bb.78:
	v_add_co_u32 v42, vcc_lo, v1, v6
	v_add_co_ci_u32_e32 v43, vcc_lo, v24, v7, vcc_lo
	flat_load_u16 v1, v[42:43]
	s_waitcnt vmcnt(0) lgkmcnt(0)
	v_mul_f16_e32 v43, v32, v1
.LBB243_79:
	v_pk_min_f16 v1, v22, v49
	v_pk_min_f16 v24, v23, v0
	v_add_nc_u32_e32 v25, 0x60, v25
	v_add_co_u32 v2, vcc_lo, v2, v6
	s_delay_alu instid0(VALU_DEP_4) | instskip(SKIP_1) | instid1(VALU_DEP_2)
	v_pk_add_f16 v41, v1, v41
	v_add_co_ci_u32_e32 v3, vcc_lo, v3, v7, vcc_lo
	v_pk_add_f16 v24, v24, v41
	s_delay_alu instid0(VALU_DEP_1) | instskip(NEXT) | instid1(VALU_DEP_1)
	v_lshrrev_b32_e32 v41, 16, v24
	v_add_f16_e32 v24, v24, v41
	v_mov_b32_e32 v41, 0
	s_delay_alu instid0(VALU_DEP_2) | instskip(SKIP_4) | instid1(VALU_DEP_1)
	v_add_f16_e32 v42, v24, v43
	v_mov_b32_e32 v24, 0
	v_mad_i64_i32 v[0:1], null, v25, s5, 0
	global_store_b16 v[2:3], v42, off
	v_lshlrev_b64 v[0:1], 1, v[0:1]
	v_add_co_u32 v0, vcc_lo, s8, v0
	s_delay_alu instid0(VALU_DEP_2)
	v_add_co_ci_u32_e32 v1, vcc_lo, s9, v1, vcc_lo
	s_and_b32 vcc_lo, exec_lo, s0
	s_cbranch_vccnz .LBB243_81
; %bb.80:
	s_delay_alu instid0(VALU_DEP_2) | instskip(NEXT) | instid1(VALU_DEP_2)
	v_add_co_u32 v2, vcc_lo, v0, v16
	v_add_co_ci_u32_e32 v3, vcc_lo, v1, v17, vcc_lo
	flat_load_u16 v2, v[2:3]
	s_waitcnt vmcnt(0) lgkmcnt(0)
	v_mul_f16_e32 v41, v32, v2
.LBB243_81:
	v_pk_max_f16 v2, v18, v18
	v_pk_max_f16 v3, v19, v19
	s_delay_alu instid0(VALU_DEP_2) | instskip(NEXT) | instid1(VALU_DEP_2)
	v_pk_min_f16 v18, v26, v2
	v_pk_min_f16 v26, v27, v3
	s_delay_alu instid0(VALU_DEP_2) | instskip(SKIP_1) | instid1(VALU_DEP_2)
	v_pk_add_f16 v27, v18, v40
	v_mad_i64_i32 v[18:19], null, v25, s4, 0
	v_pk_add_f16 v25, v26, v27
	s_delay_alu instid0(VALU_DEP_2) | instskip(NEXT) | instid1(VALU_DEP_2)
	v_lshlrev_b64 v[18:19], 1, v[18:19]
	v_lshrrev_b32_e32 v26, 16, v25
	s_delay_alu instid0(VALU_DEP_2) | instskip(NEXT) | instid1(VALU_DEP_2)
	v_add_co_u32 v18, vcc_lo, s1, v18
	v_add_f16_e32 v25, v25, v26
	s_delay_alu instid0(VALU_DEP_4) | instskip(NEXT) | instid1(VALU_DEP_3)
	v_add_co_ci_u32_e32 v19, vcc_lo, s6, v19, vcc_lo
	v_add_co_u32 v16, vcc_lo, v18, v16
	s_delay_alu instid0(VALU_DEP_3) | instskip(NEXT) | instid1(VALU_DEP_3)
	v_add_f16_e32 v25, v25, v41
	v_add_co_ci_u32_e32 v17, vcc_lo, v19, v17, vcc_lo
	s_and_b32 vcc_lo, exec_lo, s0
	global_store_b16 v[16:17], v25, off
	s_cbranch_vccnz .LBB243_83
; %bb.82:
	v_add_co_u32 v16, vcc_lo, v0, v20
	v_add_co_ci_u32_e32 v17, vcc_lo, v1, v21, vcc_lo
	flat_load_u16 v16, v[16:17]
	s_waitcnt vmcnt(0) lgkmcnt(0)
	v_mul_f16_e32 v24, v32, v16
.LBB243_83:
	v_pk_min_f16 v16, v28, v2
	v_pk_min_f16 v17, v29, v3
	v_add_co_u32 v20, vcc_lo, v18, v20
	v_add_co_ci_u32_e32 v21, vcc_lo, v19, v21, vcc_lo
	s_delay_alu instid0(VALU_DEP_4) | instskip(SKIP_1) | instid1(VALU_DEP_1)
	v_pk_add_f16 v16, v16, v39
	s_and_b32 vcc_lo, exec_lo, s0
	v_pk_add_f16 v16, v17, v16
	s_delay_alu instid0(VALU_DEP_1) | instskip(NEXT) | instid1(VALU_DEP_1)
	v_lshrrev_b32_e32 v17, 16, v16
	v_add_f16_e32 v16, v16, v17
	v_mov_b32_e32 v17, 0
	s_delay_alu instid0(VALU_DEP_2)
	v_add_f16_e32 v24, v16, v24
	v_mov_b32_e32 v16, 0
	global_store_b16 v[20:21], v24, off
	s_cbranch_vccnz .LBB243_85
; %bb.84:
	v_add_co_u32 v20, vcc_lo, v0, v12
	v_add_co_ci_u32_e32 v21, vcc_lo, v1, v13, vcc_lo
	flat_load_u16 v17, v[20:21]
	s_waitcnt vmcnt(0) lgkmcnt(0)
	v_mul_f16_e32 v17, v32, v17
.LBB243_85:
	v_pk_min_f16 v20, v30, v2
	v_pk_min_f16 v21, v31, v3
	v_add_co_u32 v12, vcc_lo, v18, v12
	v_add_co_ci_u32_e32 v13, vcc_lo, v19, v13, vcc_lo
	s_delay_alu instid0(VALU_DEP_4) | instskip(SKIP_1) | instid1(VALU_DEP_1)
	v_pk_add_f16 v20, v20, v38
	s_and_b32 vcc_lo, exec_lo, s0
	v_pk_add_f16 v20, v21, v20
	s_delay_alu instid0(VALU_DEP_1) | instskip(NEXT) | instid1(VALU_DEP_1)
	v_lshrrev_b32_e32 v21, 16, v20
	v_add_f16_e32 v20, v20, v21
	s_delay_alu instid0(VALU_DEP_1)
	v_add_f16_e32 v17, v20, v17
	global_store_b16 v[12:13], v17, off
	s_cbranch_vccnz .LBB243_87
; %bb.86:
	v_add_co_u32 v12, vcc_lo, v0, v14
	v_add_co_ci_u32_e32 v13, vcc_lo, v1, v15, vcc_lo
	flat_load_u16 v12, v[12:13]
	s_waitcnt vmcnt(0) lgkmcnt(0)
	v_mul_f16_e32 v16, v32, v12
.LBB243_87:
	v_pk_min_f16 v12, v50, v2
	v_pk_min_f16 v13, v51, v3
	v_add_co_u32 v14, vcc_lo, v18, v14
	v_add_co_ci_u32_e32 v15, vcc_lo, v19, v15, vcc_lo
	s_delay_alu instid0(VALU_DEP_4) | instskip(SKIP_1) | instid1(VALU_DEP_1)
	v_pk_add_f16 v12, v12, v37
	s_and_b32 vcc_lo, exec_lo, s0
	v_pk_add_f16 v12, v13, v12
	s_delay_alu instid0(VALU_DEP_1) | instskip(NEXT) | instid1(VALU_DEP_1)
	v_lshrrev_b32_e32 v13, 16, v12
	v_add_f16_e32 v12, v12, v13
	v_mov_b32_e32 v13, 0
	s_delay_alu instid0(VALU_DEP_2)
	v_add_f16_e32 v16, v12, v16
	v_mov_b32_e32 v12, 0
	global_store_b16 v[14:15], v16, off
	s_cbranch_vccnz .LBB243_89
; %bb.88:
	v_add_co_u32 v13, vcc_lo, v0, v8
	v_add_co_ci_u32_e32 v14, vcc_lo, v1, v9, vcc_lo
	flat_load_u16 v13, v[13:14]
	s_waitcnt vmcnt(0) lgkmcnt(0)
	v_mul_f16_e32 v13, v32, v13
.LBB243_89:
	v_pk_min_f16 v14, v52, v2
	v_pk_min_f16 v15, v53, v3
	v_add_co_u32 v8, vcc_lo, v18, v8
	v_add_co_ci_u32_e32 v9, vcc_lo, v19, v9, vcc_lo
	s_delay_alu instid0(VALU_DEP_4) | instskip(SKIP_1) | instid1(VALU_DEP_1)
	v_pk_add_f16 v14, v14, v35
	s_and_b32 vcc_lo, exec_lo, s0
	v_pk_add_f16 v14, v15, v14
	s_delay_alu instid0(VALU_DEP_1) | instskip(NEXT) | instid1(VALU_DEP_1)
	v_lshrrev_b32_e32 v15, 16, v14
	v_add_f16_e32 v14, v14, v15
	s_delay_alu instid0(VALU_DEP_1)
	v_add_f16_e32 v13, v14, v13
	global_store_b16 v[8:9], v13, off
	s_cbranch_vccnz .LBB243_91
; %bb.90:
	v_add_co_u32 v8, vcc_lo, v0, v10
	v_add_co_ci_u32_e32 v9, vcc_lo, v1, v11, vcc_lo
	flat_load_u16 v8, v[8:9]
	s_waitcnt vmcnt(0) lgkmcnt(0)
	v_mul_f16_e32 v12, v32, v8
.LBB243_91:
	v_pk_min_f16 v8, v54, v2
	v_pk_min_f16 v9, v63, v3
	;; [unrolled: 1-line block ×3, first 2 shown]
	s_delay_alu instid0(VALU_DEP_3) | instskip(NEXT) | instid1(VALU_DEP_2)
	v_pk_add_f16 v8, v8, v34
	v_pk_add_f16 v13, v13, v36
	s_delay_alu instid0(VALU_DEP_2) | instskip(SKIP_1) | instid1(VALU_DEP_2)
	v_pk_add_f16 v8, v9, v8
	v_pk_min_f16 v9, v66, v3
	v_lshrrev_b32_e32 v14, 16, v8
	s_delay_alu instid0(VALU_DEP_2) | instskip(SKIP_2) | instid1(VALU_DEP_4)
	v_pk_add_f16 v13, v9, v13
	v_add_co_u32 v9, vcc_lo, v18, v10
	v_add_co_ci_u32_e32 v10, vcc_lo, v19, v11, vcc_lo
	v_add_f16_e32 v8, v8, v14
	s_delay_alu instid0(VALU_DEP_4) | instskip(SKIP_1) | instid1(VALU_DEP_2)
	v_lshrrev_b32_e32 v11, 16, v13
	s_mov_b32 vcc_lo, s2
	v_add_f16_e32 v12, v8, v12
	s_delay_alu instid0(VALU_DEP_2)
	v_add_f16_e32 v8, v13, v11
	global_store_b16 v[9:10], v12, off
	s_cbranch_vccz .LBB243_94
; %bb.92:
	v_add_co_u32 v9, vcc_lo, v18, v4
	v_add_f16_e32 v11, 0, v8
	v_add_co_ci_u32_e32 v10, vcc_lo, v19, v5, vcc_lo
	s_mov_b32 s0, 0
	global_store_b16 v[9:10], v11, off
	s_cbranch_execz .LBB243_95
; %bb.93:
	v_mov_b32_e32 v0, s0
	s_branch .LBB243_96
.LBB243_94:
	s_mov_b32 s0, -1
.LBB243_95:
	v_add_co_u32 v9, vcc_lo, v0, v4
	v_add_co_ci_u32_e32 v10, vcc_lo, v1, v5, vcc_lo
	v_add_co_u32 v4, vcc_lo, v18, v4
	v_add_co_ci_u32_e32 v5, vcc_lo, v19, v5, vcc_lo
	flat_load_u16 v9, v[9:10]
	v_add_co_u32 v0, vcc_lo, v0, v6
	v_add_co_ci_u32_e32 v1, vcc_lo, v1, v7, vcc_lo
	s_waitcnt vmcnt(0) lgkmcnt(0)
	v_fmac_f16_e32 v8, v32, v9
	global_store_b16 v[4:5], v8, off
	flat_load_u16 v0, v[0:1]
	s_waitcnt vmcnt(0) lgkmcnt(0)
	v_mul_f16_e32 v0, v32, v0
.LBB243_96:
	v_pk_min_f16 v1, v22, v2
	v_pk_min_f16 v2, v23, v3
	s_delay_alu instid0(VALU_DEP_2) | instskip(NEXT) | instid1(VALU_DEP_1)
	v_pk_add_f16 v1, v1, v33
	v_pk_add_f16 v1, v2, v1
	s_delay_alu instid0(VALU_DEP_1) | instskip(NEXT) | instid1(VALU_DEP_1)
	v_lshrrev_b32_e32 v2, 16, v1
	v_add_f16_e32 v1, v1, v2
	s_delay_alu instid0(VALU_DEP_1)
	v_add_f16_e32 v2, v1, v0
	v_add_co_u32 v0, vcc_lo, v18, v6
	v_add_co_ci_u32_e32 v1, vcc_lo, v19, v7, vcc_lo
	global_store_b16 v[0:1], v2, off
	s_nop 0
	s_sendmsg sendmsg(MSG_DEALLOC_VGPRS)
	s_endpgm
	.section	.rodata,"a",@progbits
	.p2align	6, 0x0
	.amdhsa_kernel _ZN12_GLOBAL__N_120geam_min_plus_kernelIDF16_Dv2_DF16_S1_Li8ELi32ELi64ELi128ELi4ELi64ELi4ELi64ELi4ELc78ELc84ELb0ELb0ELb0EPKDF16_KS3_KPDF16_EEviiiT16_PT17_ilS9_ilS7_S9_ilPT18_ili26rocblas_geam_ex_operation_
		.amdhsa_group_segment_fixed_size 3072
		.amdhsa_private_segment_fixed_size 0
		.amdhsa_kernarg_size 136
		.amdhsa_user_sgpr_count 14
		.amdhsa_user_sgpr_dispatch_ptr 0
		.amdhsa_user_sgpr_queue_ptr 0
		.amdhsa_user_sgpr_kernarg_segment_ptr 1
		.amdhsa_user_sgpr_dispatch_id 0
		.amdhsa_user_sgpr_private_segment_size 0
		.amdhsa_wavefront_size32 1
		.amdhsa_uses_dynamic_stack 0
		.amdhsa_enable_private_segment 0
		.amdhsa_system_sgpr_workgroup_id_x 1
		.amdhsa_system_sgpr_workgroup_id_y 0
		.amdhsa_system_sgpr_workgroup_id_z 1
		.amdhsa_system_sgpr_workgroup_info 0
		.amdhsa_system_vgpr_workitem_id 1
		.amdhsa_next_free_vgpr 126
		.amdhsa_next_free_sgpr 24
		.amdhsa_reserve_vcc 1
		.amdhsa_float_round_mode_32 0
		.amdhsa_float_round_mode_16_64 0
		.amdhsa_float_denorm_mode_32 3
		.amdhsa_float_denorm_mode_16_64 3
		.amdhsa_dx10_clamp 1
		.amdhsa_ieee_mode 1
		.amdhsa_fp16_overflow 0
		.amdhsa_workgroup_processor_mode 1
		.amdhsa_memory_ordered 1
		.amdhsa_forward_progress 0
		.amdhsa_shared_vgpr_count 0
		.amdhsa_exception_fp_ieee_invalid_op 0
		.amdhsa_exception_fp_denorm_src 0
		.amdhsa_exception_fp_ieee_div_zero 0
		.amdhsa_exception_fp_ieee_overflow 0
		.amdhsa_exception_fp_ieee_underflow 0
		.amdhsa_exception_fp_ieee_inexact 0
		.amdhsa_exception_int_div_zero 0
	.end_amdhsa_kernel
	.section	.text._ZN12_GLOBAL__N_120geam_min_plus_kernelIDF16_Dv2_DF16_S1_Li8ELi32ELi64ELi128ELi4ELi64ELi4ELi64ELi4ELc78ELc84ELb0ELb0ELb0EPKDF16_KS3_KPDF16_EEviiiT16_PT17_ilS9_ilS7_S9_ilPT18_ili26rocblas_geam_ex_operation_,"axG",@progbits,_ZN12_GLOBAL__N_120geam_min_plus_kernelIDF16_Dv2_DF16_S1_Li8ELi32ELi64ELi128ELi4ELi64ELi4ELi64ELi4ELc78ELc84ELb0ELb0ELb0EPKDF16_KS3_KPDF16_EEviiiT16_PT17_ilS9_ilS7_S9_ilPT18_ili26rocblas_geam_ex_operation_,comdat
.Lfunc_end243:
	.size	_ZN12_GLOBAL__N_120geam_min_plus_kernelIDF16_Dv2_DF16_S1_Li8ELi32ELi64ELi128ELi4ELi64ELi4ELi64ELi4ELc78ELc84ELb0ELb0ELb0EPKDF16_KS3_KPDF16_EEviiiT16_PT17_ilS9_ilS7_S9_ilPT18_ili26rocblas_geam_ex_operation_, .Lfunc_end243-_ZN12_GLOBAL__N_120geam_min_plus_kernelIDF16_Dv2_DF16_S1_Li8ELi32ELi64ELi128ELi4ELi64ELi4ELi64ELi4ELc78ELc84ELb0ELb0ELb0EPKDF16_KS3_KPDF16_EEviiiT16_PT17_ilS9_ilS7_S9_ilPT18_ili26rocblas_geam_ex_operation_
                                        ; -- End function
	.section	.AMDGPU.csdata,"",@progbits
; Kernel info:
; codeLenInByte = 10124
; NumSgprs: 26
; NumVgprs: 126
; ScratchSize: 0
; MemoryBound: 0
; FloatMode: 240
; IeeeMode: 1
; LDSByteSize: 3072 bytes/workgroup (compile time only)
; SGPRBlocks: 3
; VGPRBlocks: 15
; NumSGPRsForWavesPerEU: 26
; NumVGPRsForWavesPerEU: 126
; Occupancy: 10
; WaveLimiterHint : 1
; COMPUTE_PGM_RSRC2:SCRATCH_EN: 0
; COMPUTE_PGM_RSRC2:USER_SGPR: 14
; COMPUTE_PGM_RSRC2:TRAP_HANDLER: 0
; COMPUTE_PGM_RSRC2:TGID_X_EN: 1
; COMPUTE_PGM_RSRC2:TGID_Y_EN: 0
; COMPUTE_PGM_RSRC2:TGID_Z_EN: 1
; COMPUTE_PGM_RSRC2:TIDIG_COMP_CNT: 1
	.section	.text._ZN12_GLOBAL__N_120geam_min_plus_kernelIDF16_Dv2_DF16_S1_Li8ELi32ELi64ELi128ELi4ELi64ELi4ELi64ELi4ELc78ELc84ELb1ELb0ELb0EDF16_KPKDF16_KPDF16_EEviiiT16_PT17_ilS9_ilS7_S9_ilPT18_ili26rocblas_geam_ex_operation_,"axG",@progbits,_ZN12_GLOBAL__N_120geam_min_plus_kernelIDF16_Dv2_DF16_S1_Li8ELi32ELi64ELi128ELi4ELi64ELi4ELi64ELi4ELc78ELc84ELb1ELb0ELb0EDF16_KPKDF16_KPDF16_EEviiiT16_PT17_ilS9_ilS7_S9_ilPT18_ili26rocblas_geam_ex_operation_,comdat
	.globl	_ZN12_GLOBAL__N_120geam_min_plus_kernelIDF16_Dv2_DF16_S1_Li8ELi32ELi64ELi128ELi4ELi64ELi4ELi64ELi4ELc78ELc84ELb1ELb0ELb0EDF16_KPKDF16_KPDF16_EEviiiT16_PT17_ilS9_ilS7_S9_ilPT18_ili26rocblas_geam_ex_operation_ ; -- Begin function _ZN12_GLOBAL__N_120geam_min_plus_kernelIDF16_Dv2_DF16_S1_Li8ELi32ELi64ELi128ELi4ELi64ELi4ELi64ELi4ELc78ELc84ELb1ELb0ELb0EDF16_KPKDF16_KPDF16_EEviiiT16_PT17_ilS9_ilS7_S9_ilPT18_ili26rocblas_geam_ex_operation_
	.p2align	8
	.type	_ZN12_GLOBAL__N_120geam_min_plus_kernelIDF16_Dv2_DF16_S1_Li8ELi32ELi64ELi128ELi4ELi64ELi4ELi64ELi4ELc78ELc84ELb1ELb0ELb0EDF16_KPKDF16_KPDF16_EEviiiT16_PT17_ilS9_ilS7_S9_ilPT18_ili26rocblas_geam_ex_operation_,@function
_ZN12_GLOBAL__N_120geam_min_plus_kernelIDF16_Dv2_DF16_S1_Li8ELi32ELi64ELi128ELi4ELi64ELi4ELi64ELi4ELc78ELc84ELb1ELb0ELb0EDF16_KPKDF16_KPDF16_EEviiiT16_PT17_ilS9_ilS7_S9_ilPT18_ili26rocblas_geam_ex_operation_: ; @_ZN12_GLOBAL__N_120geam_min_plus_kernelIDF16_Dv2_DF16_S1_Li8ELi32ELi64ELi128ELi4ELi64ELi4ELi64ELi4ELc78ELc84ELb1ELb0ELb0EDF16_KPKDF16_KPDF16_EEviiiT16_PT17_ilS9_ilS7_S9_ilPT18_ili26rocblas_geam_ex_operation_
; %bb.0:
	s_clause 0x1
	s_load_b64 s[8:9], s[0:1], 0x8
	s_load_b128 s[4:7], s[0:1], 0x20
	s_mov_b32 s16, s15
	s_mov_b32 s17, 0
	s_waitcnt lgkmcnt(0)
	v_cmp_eq_f16_e64 s2, s9, 0
	s_delay_alu instid0(VALU_DEP_1)
	s_and_b32 vcc_lo, exec_lo, s2
	s_cbranch_vccnz .LBB244_3
; %bb.1:
	s_load_b64 s[10:11], s[0:1], 0x10
	s_lshl_b64 s[12:13], s[16:17], 3
	s_waitcnt lgkmcnt(0)
	s_add_u32 s10, s10, s12
	s_addc_u32 s11, s11, s13
	s_lshl_b64 s[4:5], s[4:5], 1
	s_load_b64 s[10:11], s[10:11], 0x0
	s_waitcnt lgkmcnt(0)
	s_add_u32 s10, s10, s4
	s_addc_u32 s11, s11, s5
	s_and_not1_b32 vcc_lo, exec_lo, s2
	s_cbranch_vccnz .LBB244_4
.LBB244_2:
	s_mov_b64 s[12:13], 0
	s_and_not1_b32 vcc_lo, exec_lo, s17
	s_cbranch_vccz .LBB244_5
	s_branch .LBB244_6
.LBB244_3:
	s_mov_b64 s[10:11], 0
	s_and_not1_b32 vcc_lo, exec_lo, s2
	s_cbranch_vccz .LBB244_2
.LBB244_4:
	s_mov_b32 s17, -1
                                        ; implicit-def: $sgpr12_sgpr13
.LBB244_5:
	s_mov_b32 s17, 0
	s_load_b64 s[4:5], s[0:1], 0x38
	s_lshl_b64 s[2:3], s[16:17], 3
	s_delay_alu instid0(SALU_CYCLE_1) | instskip(SKIP_4) | instid1(SALU_CYCLE_1)
	s_add_u32 s2, s6, s2
	s_addc_u32 s3, s7, s3
	s_load_b64 s[2:3], s[2:3], 0x0
	s_waitcnt lgkmcnt(0)
	s_lshl_b64 s[4:5], s[4:5], 1
	s_add_u32 s12, s2, s4
	s_addc_u32 s13, s3, s5
.LBB244_6:
	s_clause 0x1
	s_load_b32 s15, s[0:1], 0x40
	s_load_b128 s[4:7], s[0:1], 0x58
	s_waitcnt lgkmcnt(0)
	v_cmp_eq_f16_e64 s2, s15, 0
	s_delay_alu instid0(VALU_DEP_1) | instskip(NEXT) | instid1(SALU_CYCLE_1)
	s_and_b32 s2, exec_lo, s2
	s_mov_b32 vcc_lo, s2
	s_cbranch_vccnz .LBB244_8
; %bb.7:
	s_load_b64 s[18:19], s[0:1], 0x48
	s_lshl_b64 s[20:21], s[16:17], 3
	s_waitcnt lgkmcnt(0)
	s_add_u32 s18, s18, s20
	s_addc_u32 s19, s19, s21
	s_lshl_b64 s[4:5], s[4:5], 1
	s_load_b64 s[18:19], s[18:19], 0x0
	s_waitcnt lgkmcnt(0)
	s_add_u32 s4, s18, s4
	s_addc_u32 s5, s19, s5
	s_branch .LBB244_9
.LBB244_8:
	s_mov_b64 s[4:5], 0
.LBB244_9:
	s_load_b32 s3, s[0:1], 0x0
	s_lshl_b64 s[20:21], s[16:17], 3
	v_bfe_u32 v51, v0, 10, 10
	s_add_u32 s6, s6, s20
	s_addc_u32 s7, s7, s21
	s_clause 0x1
	s_load_b32 s16, s[0:1], 0x18
	s_load_b32 s18, s[0:1], 0x30
	v_and_b32_e32 v50, 0x3ff, v0
	v_lshlrev_b32_e32 v48, 3, v51
	s_delay_alu instid0(VALU_DEP_2) | instskip(NEXT) | instid1(VALU_DEP_2)
	v_lshlrev_b32_e32 v53, 3, v50
	v_add_nc_u32_e32 v0, v48, v50
	s_delay_alu instid0(VALU_DEP_2) | instskip(NEXT) | instid1(VALU_DEP_2)
	v_add_nc_u32_e32 v25, 0x800, v53
	v_lshrrev_b32_e32 v4, 6, v0
	v_and_b32_e32 v11, 63, v0
	s_waitcnt lgkmcnt(0)
	s_add_i32 s3, s3, -1
	s_delay_alu instid0(SALU_CYCLE_1) | instskip(SKIP_4) | instid1(SALU_CYCLE_1)
	s_ashr_i32 s9, s3, 31
	v_add_nc_u32_e32 v12, 4, v4
	s_lshr_b32 s9, s9, 26
	v_mad_i64_i32 v[2:3], null, s18, v4, 0
	s_add_i32 s3, s3, s9
	s_ashr_i32 s3, s3, 6
	s_delay_alu instid0(SALU_CYCLE_1) | instskip(SKIP_2) | instid1(VALU_DEP_2)
	s_add_i32 s9, s3, 1
	s_not_b32 s3, s3
	v_cvt_f32_u32_e32 v1, s9
	v_lshlrev_b64 v[2:3], 1, v[2:3]
	s_delay_alu instid0(VALU_DEP_2) | instskip(SKIP_2) | instid1(VALU_DEP_1)
	v_rcp_iflag_f32_e32 v1, v1
	s_waitcnt_depctr 0xfff
	v_mul_f32_e32 v1, 0x4f7ffffe, v1
	v_cvt_u32_f32_e32 v1, v1
	s_delay_alu instid0(VALU_DEP_1) | instskip(SKIP_1) | instid1(VALU_DEP_2)
	v_readfirstlane_b32 s17, v1
	v_mad_i64_i32 v[0:1], null, s16, v4, 0
	s_mul_i32 s3, s3, s17
	s_delay_alu instid0(SALU_CYCLE_1) | instskip(NEXT) | instid1(SALU_CYCLE_1)
	s_mul_hi_u32 s3, s17, s3
	s_add_i32 s17, s17, s3
	s_delay_alu instid0(VALU_DEP_1) | instskip(SKIP_1) | instid1(SALU_CYCLE_1)
	v_lshlrev_b64 v[0:1], 1, v[0:1]
	s_mul_hi_u32 s3, s14, s17
	s_mul_i32 s17, s3, s9
	s_add_i32 s19, s3, 1
	s_sub_i32 s17, s14, s17
	s_delay_alu instid0(VALU_DEP_1)
	v_add_co_u32 v9, vcc_lo, s10, v0
	s_sub_i32 s20, s17, s9
	s_cmp_ge_u32 s17, s9
	v_add_co_ci_u32_e32 v10, vcc_lo, s11, v1, vcc_lo
	s_cselect_b32 s3, s19, s3
	s_cselect_b32 s17, s20, s17
	s_add_i32 s19, s3, 1
	s_cmp_ge_u32 s17, s9
	s_cselect_b32 s3, s19, s3
	s_delay_alu instid0(SALU_CYCLE_1)
	s_mul_i32 s9, s3, s9
	s_lshl_b32 s20, s3, 7
	s_sub_i32 s3, s14, s9
	v_or_b32_e32 v5, s20, v11
	s_lshl_b32 s3, s3, 6
	s_cmp_lt_i32 s8, 9
	v_or_b32_e32 v7, s3, v11
	s_delay_alu instid0(VALU_DEP_2) | instskip(NEXT) | instid1(VALU_DEP_2)
	v_ashrrev_i32_e32 v6, 31, v5
	v_ashrrev_i32_e32 v8, 31, v7
	s_delay_alu instid0(VALU_DEP_2) | instskip(SKIP_2) | instid1(VALU_DEP_4)
	v_lshlrev_b64 v[0:1], 1, v[5:6]
	v_add_co_u32 v5, vcc_lo, s12, v2
	v_add_co_ci_u32_e32 v6, vcc_lo, s13, v3, vcc_lo
	v_lshlrev_b64 v[2:3], 1, v[7:8]
	s_delay_alu instid0(VALU_DEP_3) | instskip(NEXT) | instid1(VALU_DEP_3)
	v_add_co_u32 v5, vcc_lo, v5, v0
	v_add_co_ci_u32_e32 v6, vcc_lo, v6, v1, vcc_lo
	s_delay_alu instid0(VALU_DEP_3) | instskip(NEXT) | instid1(VALU_DEP_4)
	v_add_co_u32 v7, vcc_lo, v9, v2
	v_add_co_ci_u32_e32 v8, vcc_lo, v10, v3, vcc_lo
	v_mad_i64_i32 v[9:10], null, s18, v12, 0
	flat_load_u16 v13, v[5:6]
	flat_load_u16 v14, v[7:8]
	flat_load_u16 v15, v[5:6] offset:128
	v_mad_i64_i32 v[7:8], null, s16, v12, 0
	v_lshlrev_b64 v[5:6], 1, v[9:10]
	s_delay_alu instid0(VALU_DEP_2) | instskip(NEXT) | instid1(VALU_DEP_2)
	v_lshlrev_b64 v[7:8], 1, v[7:8]
	v_add_co_u32 v5, vcc_lo, s12, v5
	s_delay_alu instid0(VALU_DEP_3) | instskip(NEXT) | instid1(VALU_DEP_2)
	v_add_co_ci_u32_e32 v6, vcc_lo, s13, v6, vcc_lo
	v_add_co_u32 v5, vcc_lo, v5, v0
	s_delay_alu instid0(VALU_DEP_2)
	v_add_co_ci_u32_e32 v6, vcc_lo, v6, v1, vcc_lo
	v_add_co_u32 v7, vcc_lo, s10, v7
	v_add_co_ci_u32_e32 v8, vcc_lo, s11, v8, vcc_lo
	flat_load_u16 v29, v[5:6]
	v_add_co_u32 v7, vcc_lo, v7, v2
	v_add_co_ci_u32_e32 v8, vcc_lo, v8, v3, vcc_lo
	flat_load_u16 v30, v[7:8]
	flat_load_u16 v31, v[5:6] offset:128
	v_lshlrev_b32_e32 v5, 1, v4
	s_load_b64 s[6:7], s[6:7], 0x0
	s_delay_alu instid0(VALU_DEP_1)
	v_lshl_add_u32 v61, v11, 3, v5
	s_waitcnt vmcnt(5) lgkmcnt(0)
	ds_store_b16 v61, v13
	s_waitcnt vmcnt(4)
	ds_store_b16 v61, v14 offset:2048
	s_waitcnt vmcnt(3)
	ds_store_b16 v61, v15 offset:512
	s_waitcnt vmcnt(0) lgkmcnt(0)
	s_barrier
	buffer_gl0_inv
	ds_load_2addr_b64 v[5:8], v48 offset1:32
	ds_load_2addr_b64 v[9:12], v25 offset0:48 offset1:56
	ds_load_2addr_b64 v[13:16], v48 offset0:64 offset1:96
	ds_load_2addr_b64 v[17:20], v25 offset1:8
	ds_load_2addr_b64 v[21:24], v25 offset0:16 offset1:24
	ds_load_2addr_b64 v[25:28], v25 offset0:32 offset1:40
	s_waitcnt lgkmcnt(5)
	v_pk_max_f16 v5, v5, v5
	s_waitcnt lgkmcnt(4)
	v_pk_max_f16 v11, v11, v11
	v_pk_max_f16 v7, v7, v7
	s_waitcnt lgkmcnt(3)
	v_pk_max_f16 v13, v13, v13
	s_waitcnt lgkmcnt(2)
	v_pk_max_f16 v17, v17, v17
	v_pk_max_f16 v15, v15, v15
	;; [unrolled: 1-line block ×3, first 2 shown]
	s_waitcnt lgkmcnt(1)
	v_pk_max_f16 v21, v21, v21
	v_pk_max_f16 v23, v23, v23
	s_waitcnt lgkmcnt(0)
	v_pk_max_f16 v25, v25, v25
	v_pk_max_f16 v27, v27, v27
	;; [unrolled: 1-line block ×3, first 2 shown]
	ds_store_b16 v61, v29 offset:1024
	v_pk_max_f16 v6, v6, v6
	v_pk_max_f16 v12, v12, v12
	;; [unrolled: 1-line block ×12, first 2 shown]
	v_pk_min_f16 v29, v11, v5
	v_pk_min_f16 v32, v11, v7
	;; [unrolled: 1-line block ×64, first 2 shown]
	v_pk_add_f16 v16, v29, 0
	v_pk_add_f16 v29, v32, 0
	;; [unrolled: 1-line block ×64, first 2 shown]
	ds_store_b16 v61, v30 offset:2560
	ds_store_b16 v61, v31 offset:1536
	s_waitcnt lgkmcnt(0)
	s_barrier
	buffer_gl0_inv
	s_cbranch_scc1 .LBB244_12
; %bb.10:
	v_add_nc_u32_e32 v10, 8, v4
	v_add_nc_u32_e32 v12, 12, v4
	v_add_co_u32 v73, vcc_lo, s10, v2
	v_add_co_ci_u32_e32 v74, vcc_lo, s11, v3, vcc_lo
	s_delay_alu instid0(VALU_DEP_4) | instskip(NEXT) | instid1(VALU_DEP_4)
	v_mad_i64_i32 v[4:5], null, v10, s18, 0
	v_mad_i64_i32 v[6:7], null, v12, s16, 0
	;; [unrolled: 1-line block ×4, first 2 shown]
	v_add_co_u32 v77, vcc_lo, s12, v0
	v_lshlrev_b64 v[24:25], 1, v[4:5]
	v_lshlrev_b64 v[26:27], 1, v[6:7]
	;; [unrolled: 1-line block ×3, first 2 shown]
	v_or_b32_e32 v69, 0x800, v61
	v_lshlrev_b64 v[30:31], 1, v[10:11]
	v_add_nc_u32_e32 v70, 0x800, v53
	v_add_nc_u32_e32 v71, 0xa00, v61
	v_or_b32_e32 v72, 0x400, v61
	v_lshl_add_u32 v75, v50, 3, 0xa00
	v_add_nc_u32_e32 v76, 0x400, v48
	v_add_co_ci_u32_e32 v78, vcc_lo, s13, v1, vcc_lo
	s_ashr_i32 s17, s16, 31
	s_ashr_i32 s19, s18, 31
	s_add_i32 s14, s8, -8
	s_lshl_b64 s[8:9], s[18:19], 4
	s_lshl_b64 s[10:11], s[16:17], 4
	s_mov_b32 s12, 0
.LBB244_11:                             ; =>This Inner Loop Header: Depth=1
	v_add_co_u32 v0, vcc_lo, v73, v28
	v_add_co_ci_u32_e32 v1, vcc_lo, v74, v29, vcc_lo
	v_add_co_u32 v2, vcc_lo, v77, v24
	v_add_co_ci_u32_e32 v3, vcc_lo, v78, v25, vcc_lo
	v_add_co_u32 v82, vcc_lo, v73, v26
	flat_load_u16 v79, v[0:1]
	s_clause 0x1
	flat_load_u16 v80, v[2:3]
	flat_load_u16 v81, v[2:3] offset:128
	v_add_co_ci_u32_e32 v83, vcc_lo, v74, v27, vcc_lo
	v_add_co_u32 v84, vcc_lo, v77, v30
	v_add_co_ci_u32_e32 v85, vcc_lo, v78, v31, vcc_lo
	ds_load_2addr_b64 v[0:3], v75 offset0:48 offset1:56
	ds_load_2addr_b64 v[12:15], v76 offset1:32
	ds_load_2addr_b64 v[4:7], v76 offset0:64 offset1:96
	ds_load_2addr_b64 v[8:11], v75 offset1:8
	ds_load_2addr_b64 v[16:19], v75 offset0:16 offset1:24
	ds_load_2addr_b64 v[20:23], v75 offset0:32 offset1:40
	v_add_co_u32 v77, vcc_lo, v77, s8
	v_add_co_ci_u32_e32 v78, vcc_lo, s9, v78, vcc_lo
	v_add_co_u32 v73, vcc_lo, v73, s10
	v_add_co_ci_u32_e32 v74, vcc_lo, s11, v74, vcc_lo
	s_add_i32 s12, s12, 8
	s_waitcnt vmcnt(2) lgkmcnt(8)
	ds_store_b16 v69, v79
	s_waitcnt vmcnt(1) lgkmcnt(8)
	ds_store_b16 v61, v80
	s_waitcnt vmcnt(0) lgkmcnt(8)
	ds_store_b16 v61, v81 offset:512
	s_waitcnt lgkmcnt(0)
	s_barrier
	buffer_gl0_inv
	flat_load_u16 v79, v[82:83]
	s_clause 0x1
	flat_load_u16 v80, v[84:85]
	flat_load_u16 v81, v[84:85] offset:128
	v_pk_max_f16 v2, v2, v2
	v_pk_max_f16 v12, v12, v12
	;; [unrolled: 1-line block ×24, first 2 shown]
	v_pk_min_f16 v82, v8, v12
	v_pk_min_f16 v83, v8, v14
	;; [unrolled: 1-line block ×64, first 2 shown]
	v_pk_add_f16 v7, v100, v60
	v_pk_add_f16 v49, v101, v49
	;; [unrolled: 1-line block ×39, first 2 shown]
	ds_load_2addr_b64 v[0:3], v48 offset1:32
	ds_load_2addr_b64 v[4:7], v70 offset0:48 offset1:56
	ds_load_2addr_b64 v[8:11], v48 offset0:64 offset1:96
	ds_load_2addr_b64 v[12:15], v70 offset1:8
	ds_load_2addr_b64 v[16:19], v70 offset0:16 offset1:24
	ds_load_2addr_b64 v[20:23], v70 offset0:32 offset1:40
	v_pk_add_f16 v47, v84, v47
	v_pk_add_f16 v46, v87, v46
	;; [unrolled: 1-line block ×14, first 2 shown]
	s_waitcnt lgkmcnt(5)
	v_pk_max_f16 v0, v0, v0
	s_waitcnt lgkmcnt(4)
	v_pk_max_f16 v6, v6, v6
	v_pk_max_f16 v2, v2, v2
	s_waitcnt lgkmcnt(3)
	v_pk_max_f16 v8, v8, v8
	s_waitcnt lgkmcnt(2)
	v_pk_max_f16 v12, v12, v12
	v_pk_max_f16 v10, v10, v10
	;; [unrolled: 1-line block ×3, first 2 shown]
	s_waitcnt lgkmcnt(1)
	v_pk_max_f16 v16, v16, v16
	v_pk_max_f16 v18, v18, v18
	s_waitcnt lgkmcnt(0)
	v_pk_max_f16 v20, v20, v20
	v_pk_max_f16 v22, v22, v22
	;; [unrolled: 1-line block ×3, first 2 shown]
	v_pk_add_f16 v57, v109, v57
	v_pk_add_f16 v45, v110, v45
	v_pk_add_f16 v37, v111, v37
	v_pk_add_f16 v56, v112, v56
	v_pk_add_f16 v44, v113, v44
	v_pk_add_f16 v36, v114, v36
	v_pk_add_f16 v55, v115, v55
	v_pk_add_f16 v43, v116, v43
	v_pk_add_f16 v35, v117, v35
	v_pk_add_f16 v54, v118, v54
	v_pk_add_f16 v42, v119, v42
	v_pk_max_f16 v1, v1, v1
	v_pk_max_f16 v3, v3, v3
	;; [unrolled: 1-line block ×12, first 2 shown]
	v_pk_min_f16 v82, v12, v0
	v_pk_min_f16 v83, v12, v2
	;; [unrolled: 1-line block ×64, first 2 shown]
	v_pk_add_f16 v11, v100, v32
	v_pk_add_f16 v32, v101, v33
	;; [unrolled: 1-line block ×64, first 2 shown]
	s_cmp_ge_i32 s12, s14
	s_waitcnt vmcnt(2)
	ds_store_b16 v71, v79
	s_waitcnt vmcnt(1)
	ds_store_b16 v72, v80
	s_waitcnt vmcnt(0)
	ds_store_b16 v72, v81 offset:512
	s_waitcnt lgkmcnt(0)
	s_barrier
	buffer_gl0_inv
	s_cbranch_scc0 .LBB244_11
.LBB244_12:
	s_load_b32 s8, s[0:1], 0x50
	v_dual_mov_b32 v30, 0 :: v_dual_add_nc_u32 v25, s20, v51
	ds_load_b64 v[0:1], v48 offset:1024
	ds_load_b64 v[2:3], v53 offset:2560
	v_add_nc_u32_e32 v22, s3, v50
	v_cmp_neq_f16_e64 s9, s15, 0
	v_mov_b32_e32 v20, 0
	s_delay_alu instid0(VALU_DEP_3) | instskip(NEXT) | instid1(VALU_DEP_3)
	v_ashrrev_i32_e32 v23, 31, v22
	s_and_b32 vcc_lo, exec_lo, s9
	s_delay_alu instid0(VALU_DEP_1) | instskip(SKIP_2) | instid1(VALU_DEP_1)
	v_lshlrev_b64 v[16:17], 1, v[22:23]
	s_waitcnt lgkmcnt(0)
	v_mad_i64_i32 v[4:5], null, v25, s8, 0
	v_lshlrev_b64 v[4:5], 1, v[4:5]
	s_delay_alu instid0(VALU_DEP_1) | instskip(NEXT) | instid1(VALU_DEP_1)
	v_add_co_u32 v69, s3, s4, v4
	v_add_co_ci_u32_e64 v70, s3, s5, v5, s3
	s_cbranch_vccz .LBB244_14
; %bb.13:
	s_delay_alu instid0(VALU_DEP_2) | instskip(NEXT) | instid1(VALU_DEP_2)
	v_add_co_u32 v4, vcc_lo, v69, v16
	v_add_co_ci_u32_e32 v5, vcc_lo, v70, v17, vcc_lo
	flat_load_u16 v4, v[4:5]
	s_waitcnt vmcnt(0) lgkmcnt(0)
	v_mul_f16_e32 v20, s15, v4
.LBB244_14:
	s_clause 0x1
	s_load_b32 s3, s[0:1], 0x68
	s_load_b64 s[0:1], s[0:1], 0x70
	v_pk_max_f16 v72, v0, v0
	v_pk_max_f16 v26, v2, v2
	;; [unrolled: 1-line block ×4, first 2 shown]
	v_add_nc_u32_e32 v5, 0x800, v53
	ds_load_b64 v[23:24], v53 offset:3008
	ds_load_b64 v[18:19], v48 offset:1792
	v_pk_min_f16 v4, v26, v72
	ds_load_2addr_b64 v[0:3], v48 offset0:160 offset1:192
	v_pk_min_f16 v6, v27, v71
	ds_load_2addr_b64 v[12:15], v5 offset0:72 offset1:80
	v_add_nc_u32_e32 v28, 8, v22
	v_pk_add_f16 v4, v4, v68
	v_cndmask_b32_e64 v21, 0, 1, s9
	s_delay_alu instid0(VALU_DEP_3) | instskip(NEXT) | instid1(VALU_DEP_3)
	v_ashrrev_i32_e32 v29, 31, v28
	v_pk_add_f16 v31, v6, v4
	ds_load_2addr_b64 v[8:11], v5 offset0:88 offset1:96
	ds_load_2addr_b64 v[4:7], v5 offset0:104 offset1:112
	s_waitcnt lgkmcnt(0)
	v_mad_i64_i32 v[50:51], null, v25, s3, 0
	s_lshl_b64 s[10:11], s[0:1], 1
	v_lshrrev_b32_e32 v48, 16, v31
	s_add_u32 s1, s6, s10
	s_addc_u32 s6, s7, s11
	v_cmp_ne_u32_e64 s0, 1, v21
	s_delay_alu instid0(VALU_DEP_2) | instskip(NEXT) | instid1(VALU_DEP_4)
	v_add_f16_e32 v21, v31, v48
	v_lshlrev_b64 v[50:51], 1, v[50:51]
	s_delay_alu instid0(VALU_DEP_2) | instskip(SKIP_1) | instid1(VALU_DEP_3)
	v_add_f16_e32 v31, v21, v20
	v_lshlrev_b64 v[20:21], 1, v[28:29]
	v_add_co_u32 v68, vcc_lo, s1, v50
	s_delay_alu instid0(VALU_DEP_4) | instskip(NEXT) | instid1(VALU_DEP_2)
	v_add_co_ci_u32_e32 v73, vcc_lo, s6, v51, vcc_lo
	v_add_co_u32 v50, vcc_lo, v68, v16
	s_delay_alu instid0(VALU_DEP_2)
	v_add_co_ci_u32_e32 v51, vcc_lo, v73, v17, vcc_lo
	s_and_not1_b32 vcc_lo, exec_lo, s9
	global_store_b16 v[50:51], v31, off
	s_cbranch_vccnz .LBB244_16
; %bb.15:
	v_add_co_u32 v28, vcc_lo, v69, v20
	v_add_co_ci_u32_e32 v29, vcc_lo, v70, v21, vcc_lo
	flat_load_u16 v28, v[28:29]
	s_waitcnt vmcnt(0) lgkmcnt(0)
	v_mul_f16_e32 v30, s15, v28
.LBB244_16:
	v_pk_max_f16 v28, v12, v12
	v_pk_max_f16 v29, v13, v13
	v_add_co_u32 v74, vcc_lo, v68, v20
	v_add_co_ci_u32_e32 v75, vcc_lo, v73, v21, vcc_lo
	s_delay_alu instid0(VALU_DEP_4) | instskip(NEXT) | instid1(VALU_DEP_4)
	v_pk_min_f16 v12, v28, v72
	v_pk_min_f16 v13, v29, v71
	s_and_b32 vcc_lo, exec_lo, s0
	v_mov_b32_e32 v51, 0
	s_delay_alu instid0(VALU_DEP_3) | instskip(NEXT) | instid1(VALU_DEP_1)
	v_pk_add_f16 v12, v12, v67
	v_pk_add_f16 v31, v13, v12
	v_add_nc_u32_e32 v12, 16, v22
	s_delay_alu instid0(VALU_DEP_2) | instskip(NEXT) | instid1(VALU_DEP_2)
	v_lshrrev_b32_e32 v48, 16, v31
	v_ashrrev_i32_e32 v13, 31, v12
	s_delay_alu instid0(VALU_DEP_2) | instskip(NEXT) | instid1(VALU_DEP_2)
	v_add_f16_e32 v31, v31, v48
	v_lshlrev_b64 v[12:13], 1, v[12:13]
	v_mov_b32_e32 v48, 0
	s_delay_alu instid0(VALU_DEP_3)
	v_add_f16_e32 v30, v31, v30
	global_store_b16 v[74:75], v30, off
	s_cbranch_vccnz .LBB244_18
; %bb.17:
	v_add_co_u32 v30, vcc_lo, v69, v12
	v_add_co_ci_u32_e32 v31, vcc_lo, v70, v13, vcc_lo
	flat_load_u16 v30, v[30:31]
	s_waitcnt vmcnt(0) lgkmcnt(0)
	v_mul_f16_e32 v48, s15, v30
.LBB244_18:
	v_pk_max_f16 v30, v14, v14
	v_pk_max_f16 v31, v15, v15
	s_delay_alu instid0(VALU_DEP_2) | instskip(NEXT) | instid1(VALU_DEP_2)
	v_pk_min_f16 v14, v30, v72
	v_pk_min_f16 v15, v31, v71
	s_delay_alu instid0(VALU_DEP_2) | instskip(SKIP_2) | instid1(VALU_DEP_3)
	v_pk_add_f16 v14, v14, v66
	v_add_co_u32 v66, vcc_lo, v68, v12
	v_add_co_ci_u32_e32 v67, vcc_lo, v73, v13, vcc_lo
	v_pk_add_f16 v50, v15, v14
	v_add_nc_u32_e32 v14, 24, v22
	s_and_b32 vcc_lo, exec_lo, s0
	s_delay_alu instid0(VALU_DEP_2) | instskip(NEXT) | instid1(VALU_DEP_2)
	v_lshrrev_b32_e32 v53, 16, v50
	v_ashrrev_i32_e32 v15, 31, v14
	s_delay_alu instid0(VALU_DEP_2) | instskip(NEXT) | instid1(VALU_DEP_2)
	v_add_f16_e32 v50, v50, v53
	v_lshlrev_b64 v[14:15], 1, v[14:15]
	s_delay_alu instid0(VALU_DEP_2)
	v_add_f16_e32 v48, v50, v48
	global_store_b16 v[66:67], v48, off
	s_cbranch_vccnz .LBB244_20
; %bb.19:
	v_add_co_u32 v50, vcc_lo, v69, v14
	v_add_co_ci_u32_e32 v51, vcc_lo, v70, v15, vcc_lo
	flat_load_u16 v48, v[50:51]
	s_waitcnt vmcnt(0) lgkmcnt(0)
	v_mul_f16_e32 v51, s15, v48
.LBB244_20:
	v_pk_max_f16 v48, v8, v8
	v_pk_max_f16 v50, v9, v9
	v_add_co_u32 v66, vcc_lo, v68, v14
	v_add_co_ci_u32_e32 v67, vcc_lo, v73, v15, vcc_lo
	s_delay_alu instid0(VALU_DEP_4) | instskip(NEXT) | instid1(VALU_DEP_4)
	v_pk_min_f16 v8, v48, v72
	v_pk_min_f16 v9, v50, v71
	s_and_b32 vcc_lo, exec_lo, s0
	s_delay_alu instid0(VALU_DEP_2) | instskip(SKIP_1) | instid1(VALU_DEP_2)
	v_pk_add_f16 v8, v8, v65
	v_mov_b32_e32 v65, 0
	v_pk_add_f16 v53, v9, v8
	v_add_nc_u32_e32 v8, 32, v22
	s_delay_alu instid0(VALU_DEP_2) | instskip(NEXT) | instid1(VALU_DEP_2)
	v_lshrrev_b32_e32 v61, 16, v53
	v_ashrrev_i32_e32 v9, 31, v8
	s_delay_alu instid0(VALU_DEP_2) | instskip(NEXT) | instid1(VALU_DEP_2)
	v_add_f16_e32 v53, v53, v61
	v_lshlrev_b64 v[8:9], 1, v[8:9]
	v_mov_b32_e32 v61, 0
	s_delay_alu instid0(VALU_DEP_3)
	v_add_f16_e32 v51, v53, v51
	global_store_b16 v[66:67], v51, off
	s_cbranch_vccnz .LBB244_22
; %bb.21:
	v_add_co_u32 v66, vcc_lo, v69, v8
	v_add_co_ci_u32_e32 v67, vcc_lo, v70, v9, vcc_lo
	flat_load_u16 v51, v[66:67]
	s_waitcnt vmcnt(0) lgkmcnt(0)
	v_mul_f16_e32 v61, s15, v51
.LBB244_22:
	v_pk_max_f16 v51, v10, v10
	v_pk_max_f16 v53, v11, v11
	s_delay_alu instid0(VALU_DEP_2) | instskip(NEXT) | instid1(VALU_DEP_2)
	v_pk_min_f16 v10, v51, v72
	v_pk_min_f16 v11, v53, v71
	s_delay_alu instid0(VALU_DEP_2) | instskip(NEXT) | instid1(VALU_DEP_1)
	v_pk_add_f16 v10, v10, v64
	v_pk_add_f16 v64, v11, v10
	v_add_nc_u32_e32 v10, 40, v22
	s_delay_alu instid0(VALU_DEP_2) | instskip(NEXT) | instid1(VALU_DEP_2)
	v_lshrrev_b32_e32 v66, 16, v64
	v_ashrrev_i32_e32 v11, 31, v10
	s_delay_alu instid0(VALU_DEP_2) | instskip(SKIP_1) | instid1(VALU_DEP_3)
	v_add_f16_e32 v64, v64, v66
	v_add_co_u32 v66, vcc_lo, v68, v8
	v_lshlrev_b64 v[10:11], 1, v[10:11]
	v_add_co_ci_u32_e32 v67, vcc_lo, v73, v9, vcc_lo
	s_delay_alu instid0(VALU_DEP_4)
	v_add_f16_e32 v61, v64, v61
	s_and_b32 vcc_lo, exec_lo, s0
	global_store_b16 v[66:67], v61, off
	s_cbranch_vccnz .LBB244_24
; %bb.23:
	v_add_co_u32 v64, vcc_lo, v69, v10
	v_add_co_ci_u32_e32 v65, vcc_lo, v70, v11, vcc_lo
	flat_load_u16 v61, v[64:65]
	s_waitcnt vmcnt(0) lgkmcnt(0)
	v_mul_f16_e32 v65, s15, v61
.LBB244_24:
	v_pk_max_f16 v61, v4, v4
	v_pk_max_f16 v64, v5, v5
	v_add_co_u32 v74, vcc_lo, v68, v10
	v_add_co_ci_u32_e32 v75, vcc_lo, v73, v11, vcc_lo
	s_delay_alu instid0(VALU_DEP_4) | instskip(NEXT) | instid1(VALU_DEP_4)
	v_pk_min_f16 v4, v61, v72
	v_pk_min_f16 v5, v64, v71
	s_and_b32 vcc_lo, exec_lo, s0
	v_mov_b32_e32 v67, 0
	s_delay_alu instid0(VALU_DEP_3) | instskip(NEXT) | instid1(VALU_DEP_1)
	v_pk_add_f16 v4, v4, v63
	v_pk_add_f16 v63, v5, v4
	v_add_nc_u32_e32 v4, 48, v22
	s_delay_alu instid0(VALU_DEP_2) | instskip(NEXT) | instid1(VALU_DEP_2)
	v_lshrrev_b32_e32 v66, 16, v63
	v_ashrrev_i32_e32 v5, 31, v4
	s_delay_alu instid0(VALU_DEP_2) | instskip(NEXT) | instid1(VALU_DEP_2)
	v_add_f16_e32 v63, v63, v66
	v_lshlrev_b64 v[4:5], 1, v[4:5]
	v_mov_b32_e32 v66, 0
	s_delay_alu instid0(VALU_DEP_3)
	v_add_f16_e32 v63, v63, v65
	global_store_b16 v[74:75], v63, off
	s_cbranch_vccnz .LBB244_26
; %bb.25:
	v_add_co_u32 v74, vcc_lo, v69, v4
	v_add_co_ci_u32_e32 v75, vcc_lo, v70, v5, vcc_lo
	flat_load_u16 v63, v[74:75]
	s_waitcnt vmcnt(0) lgkmcnt(0)
	v_mul_f16_e32 v67, s15, v63
.LBB244_26:
	v_pk_max_f16 v63, v6, v6
	v_pk_max_f16 v65, v7, v7
	v_add_co_u32 v74, vcc_lo, v68, v4
	v_add_co_ci_u32_e32 v75, vcc_lo, v73, v5, vcc_lo
	s_delay_alu instid0(VALU_DEP_4) | instskip(NEXT) | instid1(VALU_DEP_4)
	v_pk_min_f16 v6, v63, v72
	v_pk_min_f16 v7, v65, v71
	s_and_b32 vcc_lo, exec_lo, s0
	s_delay_alu instid0(VALU_DEP_2) | instskip(NEXT) | instid1(VALU_DEP_1)
	v_pk_add_f16 v6, v6, v62
	v_pk_add_f16 v62, v7, v6
	v_add_nc_u32_e32 v6, 56, v22
	s_delay_alu instid0(VALU_DEP_2) | instskip(NEXT) | instid1(VALU_DEP_2)
	v_lshrrev_b32_e32 v22, 16, v62
	v_ashrrev_i32_e32 v7, 31, v6
	s_delay_alu instid0(VALU_DEP_2) | instskip(NEXT) | instid1(VALU_DEP_2)
	v_add_f16_e32 v22, v62, v22
	v_lshlrev_b64 v[6:7], 1, v[6:7]
	s_delay_alu instid0(VALU_DEP_2)
	v_add_f16_e32 v22, v22, v67
	global_store_b16 v[74:75], v22, off
	s_cbranch_vccnz .LBB244_28
; %bb.27:
	v_add_co_u32 v66, vcc_lo, v69, v6
	v_add_co_ci_u32_e32 v67, vcc_lo, v70, v7, vcc_lo
	flat_load_u16 v22, v[66:67]
	s_waitcnt vmcnt(0) lgkmcnt(0)
	v_mul_f16_e32 v66, s15, v22
.LBB244_28:
	v_pk_max_f16 v22, v23, v23
	v_pk_max_f16 v23, v24, v24
	v_add_nc_u32_e32 v67, 32, v25
	s_delay_alu instid0(VALU_DEP_3) | instskip(NEXT) | instid1(VALU_DEP_3)
	v_pk_min_f16 v24, v22, v72
	v_pk_min_f16 v62, v23, v71
	v_add_co_u32 v71, vcc_lo, v68, v6
	v_add_co_ci_u32_e32 v72, vcc_lo, v73, v7, vcc_lo
	s_delay_alu instid0(VALU_DEP_4) | instskip(SKIP_1) | instid1(VALU_DEP_2)
	v_pk_add_f16 v24, v24, v60
	v_mov_b32_e32 v68, 0
	v_pk_add_f16 v24, v62, v24
	s_delay_alu instid0(VALU_DEP_1) | instskip(NEXT) | instid1(VALU_DEP_1)
	v_lshrrev_b32_e32 v60, 16, v24
	v_add_f16_e32 v62, v24, v60
	s_delay_alu instid0(VALU_DEP_1) | instskip(SKIP_4) | instid1(VALU_DEP_1)
	v_add_f16_e32 v62, v62, v66
	v_mov_b32_e32 v66, 0
	v_mad_i64_i32 v[69:70], null, v67, s8, 0
	global_store_b16 v[71:72], v62, off
	v_lshlrev_b64 v[69:70], 1, v[69:70]
	v_add_co_u32 v24, vcc_lo, s4, v69
	s_delay_alu instid0(VALU_DEP_2)
	v_add_co_ci_u32_e32 v60, vcc_lo, s5, v70, vcc_lo
	s_and_b32 vcc_lo, exec_lo, s0
	s_cbranch_vccnz .LBB244_30
; %bb.29:
	s_delay_alu instid0(VALU_DEP_2) | instskip(NEXT) | instid1(VALU_DEP_2)
	v_add_co_u32 v68, vcc_lo, v24, v16
	v_add_co_ci_u32_e32 v69, vcc_lo, v60, v17, vcc_lo
	flat_load_u16 v62, v[68:69]
	s_waitcnt vmcnt(0) lgkmcnt(0)
	v_mul_f16_e32 v68, s15, v62
.LBB244_30:
	v_pk_max_f16 v62, v0, v0
	v_pk_max_f16 v0, v1, v1
	v_mad_i64_i32 v[69:70], null, v67, s3, 0
	s_delay_alu instid0(VALU_DEP_3) | instskip(NEXT) | instid1(VALU_DEP_3)
	v_pk_min_f16 v1, v26, v62
	v_pk_min_f16 v71, v27, v0
	s_delay_alu instid0(VALU_DEP_3) | instskip(NEXT) | instid1(VALU_DEP_3)
	v_lshlrev_b64 v[69:70], 1, v[69:70]
	v_pk_add_f16 v1, v1, v59
	s_delay_alu instid0(VALU_DEP_1) | instskip(NEXT) | instid1(VALU_DEP_1)
	v_pk_add_f16 v1, v71, v1
	v_lshrrev_b32_e32 v59, 16, v1
	s_delay_alu instid0(VALU_DEP_1) | instskip(SKIP_2) | instid1(VALU_DEP_3)
	v_add_f16_e32 v67, v1, v59
	v_add_co_u32 v1, vcc_lo, s1, v69
	v_add_co_ci_u32_e32 v59, vcc_lo, s6, v70, vcc_lo
	v_add_f16_e32 v69, v67, v68
	s_delay_alu instid0(VALU_DEP_3) | instskip(NEXT) | instid1(VALU_DEP_3)
	v_add_co_u32 v67, vcc_lo, v1, v16
	v_add_co_ci_u32_e32 v68, vcc_lo, v59, v17, vcc_lo
	s_and_b32 vcc_lo, exec_lo, s0
	global_store_b16 v[67:68], v69, off
	s_cbranch_vccnz .LBB244_32
; %bb.31:
	v_add_co_u32 v66, vcc_lo, v24, v20
	v_add_co_ci_u32_e32 v67, vcc_lo, v60, v21, vcc_lo
	flat_load_u16 v66, v[66:67]
	s_waitcnt vmcnt(0) lgkmcnt(0)
	v_mul_f16_e32 v66, s15, v66
.LBB244_32:
	v_pk_min_f16 v67, v28, v62
	v_pk_min_f16 v68, v29, v0
	s_delay_alu instid0(VALU_DEP_2) | instskip(NEXT) | instid1(VALU_DEP_1)
	v_pk_add_f16 v58, v67, v58
	v_pk_add_f16 v58, v68, v58
	s_delay_alu instid0(VALU_DEP_1) | instskip(NEXT) | instid1(VALU_DEP_1)
	v_lshrrev_b32_e32 v67, 16, v58
	v_add_f16_e32 v58, v58, v67
	v_add_co_u32 v67, vcc_lo, v1, v20
	v_add_co_ci_u32_e32 v68, vcc_lo, v59, v21, vcc_lo
	s_delay_alu instid0(VALU_DEP_3)
	v_add_f16_e32 v69, v58, v66
	v_mov_b32_e32 v58, 0
	v_mov_b32_e32 v66, 0
	s_and_b32 vcc_lo, exec_lo, s0
	global_store_b16 v[67:68], v69, off
	s_cbranch_vccnz .LBB244_34
; %bb.33:
	v_add_co_u32 v66, vcc_lo, v24, v12
	v_add_co_ci_u32_e32 v67, vcc_lo, v60, v13, vcc_lo
	flat_load_u16 v66, v[66:67]
	s_waitcnt vmcnt(0) lgkmcnt(0)
	v_mul_f16_e32 v66, s15, v66
.LBB244_34:
	v_pk_min_f16 v67, v30, v62
	v_pk_min_f16 v68, v31, v0
	s_delay_alu instid0(VALU_DEP_2) | instskip(NEXT) | instid1(VALU_DEP_1)
	v_pk_add_f16 v57, v67, v57
	v_pk_add_f16 v57, v68, v57
	s_delay_alu instid0(VALU_DEP_1) | instskip(NEXT) | instid1(VALU_DEP_1)
	v_lshrrev_b32_e32 v67, 16, v57
	v_add_f16_e32 v57, v57, v67
	s_delay_alu instid0(VALU_DEP_1)
	v_add_f16_e32 v57, v57, v66
	v_add_co_u32 v66, vcc_lo, v1, v12
	v_add_co_ci_u32_e32 v67, vcc_lo, v59, v13, vcc_lo
	s_and_b32 vcc_lo, exec_lo, s0
	global_store_b16 v[66:67], v57, off
	s_cbranch_vccnz .LBB244_36
; %bb.35:
	v_add_co_u32 v57, vcc_lo, v24, v14
	v_add_co_ci_u32_e32 v58, vcc_lo, v60, v15, vcc_lo
	flat_load_u16 v57, v[57:58]
	s_waitcnt vmcnt(0) lgkmcnt(0)
	v_mul_f16_e32 v58, s15, v57
.LBB244_36:
	v_pk_min_f16 v57, v48, v62
	v_pk_min_f16 v66, v50, v0
	s_delay_alu instid0(VALU_DEP_2) | instskip(NEXT) | instid1(VALU_DEP_1)
	v_pk_add_f16 v56, v57, v56
	v_pk_add_f16 v56, v66, v56
	v_add_co_u32 v66, vcc_lo, v1, v14
	v_add_co_ci_u32_e32 v67, vcc_lo, v59, v15, vcc_lo
	s_delay_alu instid0(VALU_DEP_3) | instskip(SKIP_1) | instid1(VALU_DEP_1)
	v_lshrrev_b32_e32 v57, 16, v56
	s_and_b32 vcc_lo, exec_lo, s0
	v_add_f16_e32 v56, v56, v57
	v_mov_b32_e32 v57, 0
	s_delay_alu instid0(VALU_DEP_2)
	v_add_f16_e32 v58, v56, v58
	v_mov_b32_e32 v56, 0
	global_store_b16 v[66:67], v58, off
	s_cbranch_vccnz .LBB244_38
; %bb.37:
	v_add_co_u32 v57, vcc_lo, v24, v8
	v_add_co_ci_u32_e32 v58, vcc_lo, v60, v9, vcc_lo
	flat_load_u16 v57, v[57:58]
	s_waitcnt vmcnt(0) lgkmcnt(0)
	v_mul_f16_e32 v57, s15, v57
.LBB244_38:
	v_pk_min_f16 v58, v51, v62
	v_pk_min_f16 v66, v53, v0
	s_delay_alu instid0(VALU_DEP_2) | instskip(NEXT) | instid1(VALU_DEP_1)
	v_pk_add_f16 v55, v58, v55
	v_pk_add_f16 v55, v66, v55
	s_delay_alu instid0(VALU_DEP_1) | instskip(NEXT) | instid1(VALU_DEP_1)
	v_lshrrev_b32_e32 v58, 16, v55
	v_add_f16_e32 v55, v55, v58
	s_delay_alu instid0(VALU_DEP_1)
	v_add_f16_e32 v55, v55, v57
	v_add_co_u32 v57, vcc_lo, v1, v8
	v_add_co_ci_u32_e32 v58, vcc_lo, v59, v9, vcc_lo
	s_and_b32 vcc_lo, exec_lo, s0
	global_store_b16 v[57:58], v55, off
	s_cbranch_vccnz .LBB244_40
; %bb.39:
	v_add_co_u32 v55, vcc_lo, v24, v10
	v_add_co_ci_u32_e32 v56, vcc_lo, v60, v11, vcc_lo
	flat_load_u16 v55, v[55:56]
	s_waitcnt vmcnt(0) lgkmcnt(0)
	v_mul_f16_e32 v56, s15, v55
.LBB244_40:
	v_pk_min_f16 v55, v61, v62
	v_pk_min_f16 v57, v64, v0
	s_delay_alu instid0(VALU_DEP_2) | instskip(NEXT) | instid1(VALU_DEP_1)
	v_pk_add_f16 v54, v55, v54
	v_pk_add_f16 v54, v57, v54
	v_add_co_u32 v57, vcc_lo, v1, v10
	v_add_co_ci_u32_e32 v58, vcc_lo, v59, v11, vcc_lo
	s_delay_alu instid0(VALU_DEP_3) | instskip(SKIP_1) | instid1(VALU_DEP_1)
	v_lshrrev_b32_e32 v55, 16, v54
	s_and_b32 vcc_lo, exec_lo, s0
	v_add_f16_e32 v54, v54, v55
	v_mov_b32_e32 v55, 0
	s_delay_alu instid0(VALU_DEP_2)
	v_add_f16_e32 v56, v54, v56
	v_mov_b32_e32 v54, 0
	global_store_b16 v[57:58], v56, off
	s_cbranch_vccnz .LBB244_42
; %bb.41:
	v_add_co_u32 v55, vcc_lo, v24, v4
	v_add_co_ci_u32_e32 v56, vcc_lo, v60, v5, vcc_lo
	flat_load_u16 v55, v[55:56]
	s_waitcnt vmcnt(0) lgkmcnt(0)
	v_mul_f16_e32 v55, s15, v55
.LBB244_42:
	v_pk_min_f16 v56, v63, v62
	v_pk_min_f16 v57, v65, v0
	s_delay_alu instid0(VALU_DEP_2) | instskip(NEXT) | instid1(VALU_DEP_1)
	v_pk_add_f16 v52, v56, v52
	v_pk_add_f16 v52, v57, v52
	s_delay_alu instid0(VALU_DEP_1) | instskip(NEXT) | instid1(VALU_DEP_1)
	v_lshrrev_b32_e32 v56, 16, v52
	v_add_f16_e32 v52, v52, v56
	s_delay_alu instid0(VALU_DEP_1)
	v_add_f16_e32 v52, v52, v55
	v_add_co_u32 v55, vcc_lo, v1, v4
	v_add_co_ci_u32_e32 v56, vcc_lo, v59, v5, vcc_lo
	s_and_b32 vcc_lo, exec_lo, s0
	global_store_b16 v[55:56], v52, off
	s_cbranch_vccnz .LBB244_44
; %bb.43:
	v_add_co_u32 v54, vcc_lo, v24, v6
	v_add_co_ci_u32_e32 v55, vcc_lo, v60, v7, vcc_lo
	flat_load_u16 v24, v[54:55]
	s_waitcnt vmcnt(0) lgkmcnt(0)
	v_mul_f16_e32 v54, s15, v24
.LBB244_44:
	v_pk_min_f16 v24, v22, v62
	v_dual_mov_b32 v52, 0 :: v_dual_add_nc_u32 v55, 64, v25
	v_pk_min_f16 v0, v23, v0
	v_add_co_u32 v58, vcc_lo, v1, v6
	s_delay_alu instid0(VALU_DEP_4) | instskip(NEXT) | instid1(VALU_DEP_4)
	v_pk_add_f16 v24, v24, v49
	v_mad_i64_i32 v[56:57], null, v55, s8, 0
	v_add_co_ci_u32_e32 v59, vcc_lo, v59, v7, vcc_lo
	s_delay_alu instid0(VALU_DEP_3) | instskip(NEXT) | instid1(VALU_DEP_3)
	v_pk_add_f16 v0, v0, v24
	v_lshlrev_b64 v[56:57], 1, v[56:57]
	s_delay_alu instid0(VALU_DEP_2) | instskip(NEXT) | instid1(VALU_DEP_2)
	v_lshrrev_b32_e32 v24, 16, v0
	v_add_co_u32 v1, vcc_lo, s4, v56
	s_delay_alu instid0(VALU_DEP_2) | instskip(NEXT) | instid1(VALU_DEP_4)
	v_add_f16_e32 v0, v0, v24
	v_add_co_ci_u32_e32 v24, vcc_lo, s5, v57, vcc_lo
	s_and_b32 vcc_lo, exec_lo, s0
	s_delay_alu instid0(VALU_DEP_2)
	v_add_f16_e32 v0, v0, v54
	v_mov_b32_e32 v54, 0
	global_store_b16 v[58:59], v0, off
	s_cbranch_vccnz .LBB244_46
; %bb.45:
	v_add_co_u32 v56, vcc_lo, v1, v16
	v_add_co_ci_u32_e32 v57, vcc_lo, v24, v17, vcc_lo
	flat_load_u16 v0, v[56:57]
	s_waitcnt vmcnt(0) lgkmcnt(0)
	v_mul_f16_e32 v54, s15, v0
.LBB244_46:
	v_pk_max_f16 v49, v2, v2
	v_pk_max_f16 v0, v3, v3
	s_delay_alu instid0(VALU_DEP_2) | instskip(NEXT) | instid1(VALU_DEP_2)
	v_pk_min_f16 v2, v26, v49
	v_pk_min_f16 v56, v27, v0
	s_delay_alu instid0(VALU_DEP_2) | instskip(SKIP_1) | instid1(VALU_DEP_2)
	v_pk_add_f16 v47, v2, v47
	v_mad_i64_i32 v[2:3], null, v55, s3, 0
	v_pk_add_f16 v47, v56, v47
	s_delay_alu instid0(VALU_DEP_2) | instskip(NEXT) | instid1(VALU_DEP_2)
	v_lshlrev_b64 v[2:3], 1, v[2:3]
	v_lshrrev_b32_e32 v55, 16, v47
	s_delay_alu instid0(VALU_DEP_2) | instskip(NEXT) | instid1(VALU_DEP_2)
	v_add_co_u32 v2, vcc_lo, s1, v2
	v_add_f16_e32 v47, v47, v55
	s_delay_alu instid0(VALU_DEP_4) | instskip(NEXT) | instid1(VALU_DEP_2)
	v_add_co_ci_u32_e32 v3, vcc_lo, s6, v3, vcc_lo
	v_add_f16_e32 v47, v47, v54
	s_delay_alu instid0(VALU_DEP_4) | instskip(NEXT) | instid1(VALU_DEP_3)
	v_add_co_u32 v54, vcc_lo, v2, v16
	v_add_co_ci_u32_e32 v55, vcc_lo, v3, v17, vcc_lo
	s_and_b32 vcc_lo, exec_lo, s0
	global_store_b16 v[54:55], v47, off
	s_cbranch_vccnz .LBB244_48
; %bb.47:
	v_add_co_u32 v54, vcc_lo, v1, v20
	v_add_co_ci_u32_e32 v55, vcc_lo, v24, v21, vcc_lo
	flat_load_u16 v47, v[54:55]
	s_waitcnt vmcnt(0) lgkmcnt(0)
	v_mul_f16_e32 v52, s15, v47
.LBB244_48:
	v_pk_min_f16 v47, v28, v49
	v_pk_min_f16 v54, v29, v0
	s_delay_alu instid0(VALU_DEP_2) | instskip(NEXT) | instid1(VALU_DEP_1)
	v_pk_add_f16 v46, v47, v46
	v_pk_add_f16 v46, v54, v46
	v_add_co_u32 v54, vcc_lo, v2, v20
	v_add_co_ci_u32_e32 v55, vcc_lo, v3, v21, vcc_lo
	s_delay_alu instid0(VALU_DEP_3) | instskip(SKIP_1) | instid1(VALU_DEP_1)
	v_lshrrev_b32_e32 v47, 16, v46
	s_and_b32 vcc_lo, exec_lo, s0
	v_add_f16_e32 v46, v46, v47
	v_mov_b32_e32 v47, 0
	s_delay_alu instid0(VALU_DEP_2)
	v_add_f16_e32 v52, v46, v52
	v_mov_b32_e32 v46, 0
	global_store_b16 v[54:55], v52, off
	s_cbranch_vccnz .LBB244_50
; %bb.49:
	v_add_co_u32 v54, vcc_lo, v1, v12
	v_add_co_ci_u32_e32 v55, vcc_lo, v24, v13, vcc_lo
	flat_load_u16 v47, v[54:55]
	s_waitcnt vmcnt(0) lgkmcnt(0)
	v_mul_f16_e32 v47, s15, v47
.LBB244_50:
	v_pk_min_f16 v52, v30, v49
	v_pk_min_f16 v54, v31, v0
	s_delay_alu instid0(VALU_DEP_2) | instskip(NEXT) | instid1(VALU_DEP_1)
	v_pk_add_f16 v45, v52, v45
	v_pk_add_f16 v45, v54, v45
	v_add_co_u32 v54, vcc_lo, v2, v12
	v_add_co_ci_u32_e32 v55, vcc_lo, v3, v13, vcc_lo
	s_delay_alu instid0(VALU_DEP_3) | instskip(SKIP_1) | instid1(VALU_DEP_1)
	v_lshrrev_b32_e32 v52, 16, v45
	s_and_b32 vcc_lo, exec_lo, s0
	v_add_f16_e32 v45, v45, v52
	s_delay_alu instid0(VALU_DEP_1)
	v_add_f16_e32 v45, v45, v47
	global_store_b16 v[54:55], v45, off
	s_cbranch_vccnz .LBB244_52
; %bb.51:
	v_add_co_u32 v45, vcc_lo, v1, v14
	v_add_co_ci_u32_e32 v46, vcc_lo, v24, v15, vcc_lo
	flat_load_u16 v45, v[45:46]
	s_waitcnt vmcnt(0) lgkmcnt(0)
	v_mul_f16_e32 v46, s15, v45
.LBB244_52:
	v_pk_min_f16 v45, v48, v49
	v_pk_min_f16 v47, v50, v0
	v_add_co_u32 v54, vcc_lo, v2, v14
	v_add_co_ci_u32_e32 v55, vcc_lo, v3, v15, vcc_lo
	s_delay_alu instid0(VALU_DEP_4) | instskip(SKIP_1) | instid1(VALU_DEP_1)
	v_pk_add_f16 v44, v45, v44
	s_and_b32 vcc_lo, exec_lo, s0
	v_pk_add_f16 v44, v47, v44
	s_delay_alu instid0(VALU_DEP_1) | instskip(NEXT) | instid1(VALU_DEP_1)
	v_lshrrev_b32_e32 v45, 16, v44
	v_add_f16_e32 v44, v44, v45
	v_mov_b32_e32 v45, 0
	s_delay_alu instid0(VALU_DEP_2)
	v_add_f16_e32 v46, v44, v46
	v_mov_b32_e32 v44, 0
	global_store_b16 v[54:55], v46, off
	s_cbranch_vccnz .LBB244_54
; %bb.53:
	v_add_co_u32 v45, vcc_lo, v1, v8
	v_add_co_ci_u32_e32 v46, vcc_lo, v24, v9, vcc_lo
	flat_load_u16 v45, v[45:46]
	s_waitcnt vmcnt(0) lgkmcnt(0)
	v_mul_f16_e32 v45, s15, v45
.LBB244_54:
	v_pk_min_f16 v46, v51, v49
	v_pk_min_f16 v47, v53, v0
	s_delay_alu instid0(VALU_DEP_2) | instskip(NEXT) | instid1(VALU_DEP_1)
	v_pk_add_f16 v43, v46, v43
	v_pk_add_f16 v43, v47, v43
	s_delay_alu instid0(VALU_DEP_1) | instskip(NEXT) | instid1(VALU_DEP_1)
	v_lshrrev_b32_e32 v46, 16, v43
	v_add_f16_e32 v43, v43, v46
	s_delay_alu instid0(VALU_DEP_1)
	v_add_f16_e32 v43, v43, v45
	v_add_co_u32 v45, vcc_lo, v2, v8
	v_add_co_ci_u32_e32 v46, vcc_lo, v3, v9, vcc_lo
	s_and_b32 vcc_lo, exec_lo, s0
	global_store_b16 v[45:46], v43, off
	s_cbranch_vccnz .LBB244_56
; %bb.55:
	v_add_co_u32 v43, vcc_lo, v1, v10
	v_add_co_ci_u32_e32 v44, vcc_lo, v24, v11, vcc_lo
	flat_load_u16 v43, v[43:44]
	s_waitcnt vmcnt(0) lgkmcnt(0)
	v_mul_f16_e32 v44, s15, v43
.LBB244_56:
	v_pk_min_f16 v43, v61, v49
	v_pk_min_f16 v45, v64, v0
	s_delay_alu instid0(VALU_DEP_2) | instskip(NEXT) | instid1(VALU_DEP_1)
	v_pk_add_f16 v42, v43, v42
	v_pk_add_f16 v42, v45, v42
	v_add_co_u32 v45, vcc_lo, v2, v10
	v_add_co_ci_u32_e32 v46, vcc_lo, v3, v11, vcc_lo
	s_delay_alu instid0(VALU_DEP_3) | instskip(SKIP_1) | instid1(VALU_DEP_1)
	v_lshrrev_b32_e32 v43, 16, v42
	s_and_b32 vcc_lo, exec_lo, s0
	v_add_f16_e32 v42, v42, v43
	v_mov_b32_e32 v43, 0
	s_delay_alu instid0(VALU_DEP_2)
	v_add_f16_e32 v44, v42, v44
	v_mov_b32_e32 v42, 0
	global_store_b16 v[45:46], v44, off
	s_cbranch_vccnz .LBB244_58
; %bb.57:
	v_add_co_u32 v43, vcc_lo, v1, v4
	v_add_co_ci_u32_e32 v44, vcc_lo, v24, v5, vcc_lo
	flat_load_u16 v43, v[43:44]
	s_waitcnt vmcnt(0) lgkmcnt(0)
	v_mul_f16_e32 v43, s15, v43
.LBB244_58:
	v_pk_min_f16 v44, v63, v49
	v_pk_min_f16 v45, v65, v0
	s_delay_alu instid0(VALU_DEP_2) | instskip(NEXT) | instid1(VALU_DEP_1)
	v_pk_add_f16 v41, v44, v41
	v_pk_add_f16 v41, v45, v41
	s_delay_alu instid0(VALU_DEP_1) | instskip(NEXT) | instid1(VALU_DEP_1)
	v_lshrrev_b32_e32 v44, 16, v41
	v_add_f16_e32 v41, v41, v44
	s_delay_alu instid0(VALU_DEP_1)
	v_add_f16_e32 v41, v41, v43
	v_add_co_u32 v43, vcc_lo, v2, v4
	v_add_co_ci_u32_e32 v44, vcc_lo, v3, v5, vcc_lo
	s_and_b32 vcc_lo, exec_lo, s0
	global_store_b16 v[43:44], v41, off
	s_cbranch_vccnz .LBB244_60
; %bb.59:
	v_add_co_u32 v41, vcc_lo, v1, v6
	v_add_co_ci_u32_e32 v42, vcc_lo, v24, v7, vcc_lo
	flat_load_u16 v1, v[41:42]
	s_waitcnt vmcnt(0) lgkmcnt(0)
	v_mul_f16_e32 v42, s15, v1
.LBB244_60:
	v_pk_min_f16 v1, v22, v49
	v_pk_min_f16 v24, v23, v0
	v_add_nc_u32_e32 v25, 0x60, v25
	v_add_co_u32 v2, vcc_lo, v2, v6
	s_delay_alu instid0(VALU_DEP_4) | instskip(SKIP_1) | instid1(VALU_DEP_2)
	v_pk_add_f16 v40, v1, v40
	v_add_co_ci_u32_e32 v3, vcc_lo, v3, v7, vcc_lo
	v_pk_add_f16 v24, v24, v40
	s_delay_alu instid0(VALU_DEP_1) | instskip(NEXT) | instid1(VALU_DEP_1)
	v_lshrrev_b32_e32 v40, 16, v24
	v_add_f16_e32 v24, v24, v40
	v_mov_b32_e32 v40, 0
	s_delay_alu instid0(VALU_DEP_2) | instskip(SKIP_4) | instid1(VALU_DEP_1)
	v_add_f16_e32 v41, v24, v42
	v_mov_b32_e32 v24, 0
	v_mad_i64_i32 v[0:1], null, v25, s8, 0
	global_store_b16 v[2:3], v41, off
	v_lshlrev_b64 v[0:1], 1, v[0:1]
	v_add_co_u32 v0, vcc_lo, s4, v0
	s_delay_alu instid0(VALU_DEP_2)
	v_add_co_ci_u32_e32 v1, vcc_lo, s5, v1, vcc_lo
	s_and_b32 vcc_lo, exec_lo, s0
	s_cbranch_vccnz .LBB244_62
; %bb.61:
	s_delay_alu instid0(VALU_DEP_2) | instskip(NEXT) | instid1(VALU_DEP_2)
	v_add_co_u32 v2, vcc_lo, v0, v16
	v_add_co_ci_u32_e32 v3, vcc_lo, v1, v17, vcc_lo
	flat_load_u16 v2, v[2:3]
	s_waitcnt vmcnt(0) lgkmcnt(0)
	v_mul_f16_e32 v40, s15, v2
.LBB244_62:
	v_pk_max_f16 v2, v18, v18
	v_pk_max_f16 v3, v19, v19
	s_delay_alu instid0(VALU_DEP_2) | instskip(NEXT) | instid1(VALU_DEP_2)
	v_pk_min_f16 v18, v26, v2
	v_pk_min_f16 v26, v27, v3
	s_delay_alu instid0(VALU_DEP_2) | instskip(SKIP_1) | instid1(VALU_DEP_2)
	v_pk_add_f16 v27, v18, v39
	v_mad_i64_i32 v[18:19], null, v25, s3, 0
	v_pk_add_f16 v25, v26, v27
	s_delay_alu instid0(VALU_DEP_2) | instskip(NEXT) | instid1(VALU_DEP_2)
	v_lshlrev_b64 v[18:19], 1, v[18:19]
	v_lshrrev_b32_e32 v26, 16, v25
	s_delay_alu instid0(VALU_DEP_2) | instskip(NEXT) | instid1(VALU_DEP_2)
	v_add_co_u32 v18, vcc_lo, s1, v18
	v_add_f16_e32 v25, v25, v26
	s_delay_alu instid0(VALU_DEP_4) | instskip(NEXT) | instid1(VALU_DEP_3)
	v_add_co_ci_u32_e32 v19, vcc_lo, s6, v19, vcc_lo
	v_add_co_u32 v16, vcc_lo, v18, v16
	s_delay_alu instid0(VALU_DEP_3) | instskip(NEXT) | instid1(VALU_DEP_3)
	v_add_f16_e32 v25, v25, v40
	v_add_co_ci_u32_e32 v17, vcc_lo, v19, v17, vcc_lo
	s_and_b32 vcc_lo, exec_lo, s0
	global_store_b16 v[16:17], v25, off
	s_cbranch_vccnz .LBB244_64
; %bb.63:
	v_add_co_u32 v16, vcc_lo, v0, v20
	v_add_co_ci_u32_e32 v17, vcc_lo, v1, v21, vcc_lo
	flat_load_u16 v16, v[16:17]
	s_waitcnt vmcnt(0) lgkmcnt(0)
	v_mul_f16_e32 v24, s15, v16
.LBB244_64:
	v_pk_min_f16 v16, v28, v2
	v_pk_min_f16 v17, v29, v3
	v_add_co_u32 v20, vcc_lo, v18, v20
	v_add_co_ci_u32_e32 v21, vcc_lo, v19, v21, vcc_lo
	s_delay_alu instid0(VALU_DEP_4) | instskip(SKIP_1) | instid1(VALU_DEP_1)
	v_pk_add_f16 v16, v16, v38
	s_and_b32 vcc_lo, exec_lo, s0
	v_pk_add_f16 v16, v17, v16
	s_delay_alu instid0(VALU_DEP_1) | instskip(NEXT) | instid1(VALU_DEP_1)
	v_lshrrev_b32_e32 v17, 16, v16
	v_add_f16_e32 v16, v16, v17
	v_mov_b32_e32 v17, 0
	s_delay_alu instid0(VALU_DEP_2)
	v_add_f16_e32 v24, v16, v24
	v_mov_b32_e32 v16, 0
	global_store_b16 v[20:21], v24, off
	s_cbranch_vccnz .LBB244_66
; %bb.65:
	v_add_co_u32 v20, vcc_lo, v0, v12
	v_add_co_ci_u32_e32 v21, vcc_lo, v1, v13, vcc_lo
	flat_load_u16 v17, v[20:21]
	s_waitcnt vmcnt(0) lgkmcnt(0)
	v_mul_f16_e32 v17, s15, v17
.LBB244_66:
	v_pk_min_f16 v20, v30, v2
	v_pk_min_f16 v21, v31, v3
	v_add_co_u32 v12, vcc_lo, v18, v12
	v_add_co_ci_u32_e32 v13, vcc_lo, v19, v13, vcc_lo
	s_delay_alu instid0(VALU_DEP_4) | instskip(SKIP_1) | instid1(VALU_DEP_1)
	v_pk_add_f16 v20, v20, v37
	s_and_b32 vcc_lo, exec_lo, s0
	v_pk_add_f16 v20, v21, v20
	s_delay_alu instid0(VALU_DEP_1) | instskip(NEXT) | instid1(VALU_DEP_1)
	v_lshrrev_b32_e32 v21, 16, v20
	v_add_f16_e32 v20, v20, v21
	s_delay_alu instid0(VALU_DEP_1)
	v_add_f16_e32 v17, v20, v17
	global_store_b16 v[12:13], v17, off
	s_cbranch_vccnz .LBB244_68
; %bb.67:
	v_add_co_u32 v12, vcc_lo, v0, v14
	v_add_co_ci_u32_e32 v13, vcc_lo, v1, v15, vcc_lo
	flat_load_u16 v12, v[12:13]
	s_waitcnt vmcnt(0) lgkmcnt(0)
	v_mul_f16_e32 v16, s15, v12
.LBB244_68:
	v_pk_min_f16 v12, v48, v2
	v_pk_min_f16 v13, v50, v3
	v_add_co_u32 v14, vcc_lo, v18, v14
	v_add_co_ci_u32_e32 v15, vcc_lo, v19, v15, vcc_lo
	s_delay_alu instid0(VALU_DEP_4) | instskip(SKIP_1) | instid1(VALU_DEP_1)
	v_pk_add_f16 v12, v12, v36
	s_and_b32 vcc_lo, exec_lo, s0
	v_pk_add_f16 v12, v13, v12
	s_delay_alu instid0(VALU_DEP_1) | instskip(NEXT) | instid1(VALU_DEP_1)
	v_lshrrev_b32_e32 v13, 16, v12
	v_add_f16_e32 v12, v12, v13
	v_mov_b32_e32 v13, 0
	s_delay_alu instid0(VALU_DEP_2)
	v_add_f16_e32 v16, v12, v16
	v_mov_b32_e32 v12, 0
	global_store_b16 v[14:15], v16, off
	s_cbranch_vccnz .LBB244_70
; %bb.69:
	v_add_co_u32 v13, vcc_lo, v0, v8
	v_add_co_ci_u32_e32 v14, vcc_lo, v1, v9, vcc_lo
	flat_load_u16 v13, v[13:14]
	s_waitcnt vmcnt(0) lgkmcnt(0)
	v_mul_f16_e32 v13, s15, v13
.LBB244_70:
	v_pk_min_f16 v14, v51, v2
	v_pk_min_f16 v15, v53, v3
	v_add_co_u32 v8, vcc_lo, v18, v8
	v_add_co_ci_u32_e32 v9, vcc_lo, v19, v9, vcc_lo
	s_delay_alu instid0(VALU_DEP_4) | instskip(SKIP_1) | instid1(VALU_DEP_1)
	v_pk_add_f16 v14, v14, v35
	s_and_b32 vcc_lo, exec_lo, s0
	v_pk_add_f16 v14, v15, v14
	s_delay_alu instid0(VALU_DEP_1) | instskip(NEXT) | instid1(VALU_DEP_1)
	v_lshrrev_b32_e32 v15, 16, v14
	v_add_f16_e32 v14, v14, v15
	s_delay_alu instid0(VALU_DEP_1)
	v_add_f16_e32 v13, v14, v13
	global_store_b16 v[8:9], v13, off
	s_cbranch_vccnz .LBB244_72
; %bb.71:
	v_add_co_u32 v8, vcc_lo, v0, v10
	v_add_co_ci_u32_e32 v9, vcc_lo, v1, v11, vcc_lo
	flat_load_u16 v8, v[8:9]
	s_waitcnt vmcnt(0) lgkmcnt(0)
	v_mul_f16_e32 v12, s15, v8
.LBB244_72:
	v_pk_min_f16 v8, v61, v2
	v_pk_min_f16 v9, v64, v3
	;; [unrolled: 1-line block ×3, first 2 shown]
	s_delay_alu instid0(VALU_DEP_3) | instskip(NEXT) | instid1(VALU_DEP_2)
	v_pk_add_f16 v8, v8, v34
	v_pk_add_f16 v13, v13, v33
	s_delay_alu instid0(VALU_DEP_2) | instskip(SKIP_1) | instid1(VALU_DEP_2)
	v_pk_add_f16 v8, v9, v8
	v_pk_min_f16 v9, v65, v3
	v_lshrrev_b32_e32 v14, 16, v8
	s_delay_alu instid0(VALU_DEP_2) | instskip(SKIP_2) | instid1(VALU_DEP_4)
	v_pk_add_f16 v13, v9, v13
	v_add_co_u32 v9, vcc_lo, v18, v10
	v_add_co_ci_u32_e32 v10, vcc_lo, v19, v11, vcc_lo
	v_add_f16_e32 v8, v8, v14
	s_delay_alu instid0(VALU_DEP_4) | instskip(SKIP_1) | instid1(VALU_DEP_2)
	v_lshrrev_b32_e32 v11, 16, v13
	s_mov_b32 vcc_lo, s2
	v_add_f16_e32 v12, v8, v12
	s_delay_alu instid0(VALU_DEP_2)
	v_add_f16_e32 v8, v13, v11
	global_store_b16 v[9:10], v12, off
	s_cbranch_vccz .LBB244_75
; %bb.73:
	v_add_co_u32 v9, vcc_lo, v18, v4
	v_add_f16_e32 v11, 0, v8
	v_add_co_ci_u32_e32 v10, vcc_lo, v19, v5, vcc_lo
	s_mov_b32 s0, 0
	global_store_b16 v[9:10], v11, off
	s_cbranch_execz .LBB244_76
; %bb.74:
	v_mov_b32_e32 v0, s0
	s_branch .LBB244_77
.LBB244_75:
	s_mov_b32 s0, -1
.LBB244_76:
	v_add_co_u32 v9, vcc_lo, v0, v4
	v_add_co_ci_u32_e32 v10, vcc_lo, v1, v5, vcc_lo
	v_add_co_u32 v4, vcc_lo, v18, v4
	v_add_co_ci_u32_e32 v5, vcc_lo, v19, v5, vcc_lo
	flat_load_u16 v9, v[9:10]
	v_add_co_u32 v0, vcc_lo, v0, v6
	v_add_co_ci_u32_e32 v1, vcc_lo, v1, v7, vcc_lo
	s_waitcnt vmcnt(0) lgkmcnt(0)
	v_fmac_f16_e32 v8, s15, v9
	global_store_b16 v[4:5], v8, off
	flat_load_u16 v0, v[0:1]
	s_waitcnt vmcnt(0) lgkmcnt(0)
	v_mul_f16_e32 v0, s15, v0
.LBB244_77:
	v_pk_min_f16 v1, v22, v2
	v_pk_min_f16 v2, v23, v3
	s_delay_alu instid0(VALU_DEP_2) | instskip(NEXT) | instid1(VALU_DEP_1)
	v_pk_add_f16 v1, v1, v32
	v_pk_add_f16 v1, v2, v1
	s_delay_alu instid0(VALU_DEP_1) | instskip(NEXT) | instid1(VALU_DEP_1)
	v_lshrrev_b32_e32 v2, 16, v1
	v_add_f16_e32 v1, v1, v2
	s_delay_alu instid0(VALU_DEP_1)
	v_add_f16_e32 v2, v1, v0
	v_add_co_u32 v0, vcc_lo, v18, v6
	v_add_co_ci_u32_e32 v1, vcc_lo, v19, v7, vcc_lo
	global_store_b16 v[0:1], v2, off
	s_nop 0
	s_sendmsg sendmsg(MSG_DEALLOC_VGPRS)
	s_endpgm
	.section	.rodata,"a",@progbits
	.p2align	6, 0x0
	.amdhsa_kernel _ZN12_GLOBAL__N_120geam_min_plus_kernelIDF16_Dv2_DF16_S1_Li8ELi32ELi64ELi128ELi4ELi64ELi4ELi64ELi4ELc78ELc84ELb1ELb0ELb0EDF16_KPKDF16_KPDF16_EEviiiT16_PT17_ilS9_ilS7_S9_ilPT18_ili26rocblas_geam_ex_operation_
		.amdhsa_group_segment_fixed_size 3072
		.amdhsa_private_segment_fixed_size 0
		.amdhsa_kernarg_size 128
		.amdhsa_user_sgpr_count 14
		.amdhsa_user_sgpr_dispatch_ptr 0
		.amdhsa_user_sgpr_queue_ptr 0
		.amdhsa_user_sgpr_kernarg_segment_ptr 1
		.amdhsa_user_sgpr_dispatch_id 0
		.amdhsa_user_sgpr_private_segment_size 0
		.amdhsa_wavefront_size32 1
		.amdhsa_uses_dynamic_stack 0
		.amdhsa_enable_private_segment 0
		.amdhsa_system_sgpr_workgroup_id_x 1
		.amdhsa_system_sgpr_workgroup_id_y 0
		.amdhsa_system_sgpr_workgroup_id_z 1
		.amdhsa_system_sgpr_workgroup_info 0
		.amdhsa_system_vgpr_workitem_id 1
		.amdhsa_next_free_vgpr 123
		.amdhsa_next_free_sgpr 22
		.amdhsa_reserve_vcc 1
		.amdhsa_float_round_mode_32 0
		.amdhsa_float_round_mode_16_64 0
		.amdhsa_float_denorm_mode_32 3
		.amdhsa_float_denorm_mode_16_64 3
		.amdhsa_dx10_clamp 1
		.amdhsa_ieee_mode 1
		.amdhsa_fp16_overflow 0
		.amdhsa_workgroup_processor_mode 1
		.amdhsa_memory_ordered 1
		.amdhsa_forward_progress 0
		.amdhsa_shared_vgpr_count 0
		.amdhsa_exception_fp_ieee_invalid_op 0
		.amdhsa_exception_fp_denorm_src 0
		.amdhsa_exception_fp_ieee_div_zero 0
		.amdhsa_exception_fp_ieee_overflow 0
		.amdhsa_exception_fp_ieee_underflow 0
		.amdhsa_exception_fp_ieee_inexact 0
		.amdhsa_exception_int_div_zero 0
	.end_amdhsa_kernel
	.section	.text._ZN12_GLOBAL__N_120geam_min_plus_kernelIDF16_Dv2_DF16_S1_Li8ELi32ELi64ELi128ELi4ELi64ELi4ELi64ELi4ELc78ELc84ELb1ELb0ELb0EDF16_KPKDF16_KPDF16_EEviiiT16_PT17_ilS9_ilS7_S9_ilPT18_ili26rocblas_geam_ex_operation_,"axG",@progbits,_ZN12_GLOBAL__N_120geam_min_plus_kernelIDF16_Dv2_DF16_S1_Li8ELi32ELi64ELi128ELi4ELi64ELi4ELi64ELi4ELc78ELc84ELb1ELb0ELb0EDF16_KPKDF16_KPDF16_EEviiiT16_PT17_ilS9_ilS7_S9_ilPT18_ili26rocblas_geam_ex_operation_,comdat
.Lfunc_end244:
	.size	_ZN12_GLOBAL__N_120geam_min_plus_kernelIDF16_Dv2_DF16_S1_Li8ELi32ELi64ELi128ELi4ELi64ELi4ELi64ELi4ELc78ELc84ELb1ELb0ELb0EDF16_KPKDF16_KPDF16_EEviiiT16_PT17_ilS9_ilS7_S9_ilPT18_ili26rocblas_geam_ex_operation_, .Lfunc_end244-_ZN12_GLOBAL__N_120geam_min_plus_kernelIDF16_Dv2_DF16_S1_Li8ELi32ELi64ELi128ELi4ELi64ELi4ELi64ELi4ELc78ELc84ELb1ELb0ELb0EDF16_KPKDF16_KPDF16_EEviiiT16_PT17_ilS9_ilS7_S9_ilPT18_ili26rocblas_geam_ex_operation_
                                        ; -- End function
	.section	.AMDGPU.csdata,"",@progbits
; Kernel info:
; codeLenInByte = 9796
; NumSgprs: 24
; NumVgprs: 123
; ScratchSize: 0
; MemoryBound: 0
; FloatMode: 240
; IeeeMode: 1
; LDSByteSize: 3072 bytes/workgroup (compile time only)
; SGPRBlocks: 2
; VGPRBlocks: 15
; NumSGPRsForWavesPerEU: 24
; NumVGPRsForWavesPerEU: 123
; Occupancy: 10
; WaveLimiterHint : 1
; COMPUTE_PGM_RSRC2:SCRATCH_EN: 0
; COMPUTE_PGM_RSRC2:USER_SGPR: 14
; COMPUTE_PGM_RSRC2:TRAP_HANDLER: 0
; COMPUTE_PGM_RSRC2:TGID_X_EN: 1
; COMPUTE_PGM_RSRC2:TGID_Y_EN: 0
; COMPUTE_PGM_RSRC2:TGID_Z_EN: 1
; COMPUTE_PGM_RSRC2:TIDIG_COMP_CNT: 1
	.section	.text._ZN12_GLOBAL__N_120geam_min_plus_kernelIDF16_Dv2_DF16_S1_Li8ELi32ELi64ELi128ELi4ELi64ELi4ELi64ELi4ELc78ELc84ELb0ELb0ELb0EDF16_KPKDF16_KPDF16_EEviiiT16_PT17_ilS9_ilS7_S9_ilPT18_ili26rocblas_geam_ex_operation_,"axG",@progbits,_ZN12_GLOBAL__N_120geam_min_plus_kernelIDF16_Dv2_DF16_S1_Li8ELi32ELi64ELi128ELi4ELi64ELi4ELi64ELi4ELc78ELc84ELb0ELb0ELb0EDF16_KPKDF16_KPDF16_EEviiiT16_PT17_ilS9_ilS7_S9_ilPT18_ili26rocblas_geam_ex_operation_,comdat
	.globl	_ZN12_GLOBAL__N_120geam_min_plus_kernelIDF16_Dv2_DF16_S1_Li8ELi32ELi64ELi128ELi4ELi64ELi4ELi64ELi4ELc78ELc84ELb0ELb0ELb0EDF16_KPKDF16_KPDF16_EEviiiT16_PT17_ilS9_ilS7_S9_ilPT18_ili26rocblas_geam_ex_operation_ ; -- Begin function _ZN12_GLOBAL__N_120geam_min_plus_kernelIDF16_Dv2_DF16_S1_Li8ELi32ELi64ELi128ELi4ELi64ELi4ELi64ELi4ELc78ELc84ELb0ELb0ELb0EDF16_KPKDF16_KPDF16_EEviiiT16_PT17_ilS9_ilS7_S9_ilPT18_ili26rocblas_geam_ex_operation_
	.p2align	8
	.type	_ZN12_GLOBAL__N_120geam_min_plus_kernelIDF16_Dv2_DF16_S1_Li8ELi32ELi64ELi128ELi4ELi64ELi4ELi64ELi4ELc78ELc84ELb0ELb0ELb0EDF16_KPKDF16_KPDF16_EEviiiT16_PT17_ilS9_ilS7_S9_ilPT18_ili26rocblas_geam_ex_operation_,@function
_ZN12_GLOBAL__N_120geam_min_plus_kernelIDF16_Dv2_DF16_S1_Li8ELi32ELi64ELi128ELi4ELi64ELi4ELi64ELi4ELc78ELc84ELb0ELb0ELb0EDF16_KPKDF16_KPDF16_EEviiiT16_PT17_ilS9_ilS7_S9_ilPT18_ili26rocblas_geam_ex_operation_: ; @_ZN12_GLOBAL__N_120geam_min_plus_kernelIDF16_Dv2_DF16_S1_Li8ELi32ELi64ELi128ELi4ELi64ELi4ELi64ELi4ELc78ELc84ELb0ELb0ELb0EDF16_KPKDF16_KPDF16_EEviiiT16_PT17_ilS9_ilS7_S9_ilPT18_ili26rocblas_geam_ex_operation_
; %bb.0:
	s_clause 0x1
	s_load_b64 s[8:9], s[0:1], 0x8
	s_load_b128 s[4:7], s[0:1], 0x20
	s_mov_b32 s18, s15
	s_mov_b32 s19, 0
	s_waitcnt lgkmcnt(0)
	v_cmp_eq_f16_e64 s2, s9, 0
	s_delay_alu instid0(VALU_DEP_1)
	s_and_b32 vcc_lo, exec_lo, s2
	s_cbranch_vccnz .LBB245_3
; %bb.1:
	s_load_b64 s[10:11], s[0:1], 0x10
	s_lshl_b64 s[12:13], s[18:19], 3
	s_waitcnt lgkmcnt(0)
	s_add_u32 s10, s10, s12
	s_addc_u32 s11, s11, s13
	s_lshl_b64 s[4:5], s[4:5], 1
	s_load_b64 s[10:11], s[10:11], 0x0
	s_waitcnt lgkmcnt(0)
	s_add_u32 s10, s10, s4
	s_addc_u32 s11, s11, s5
	s_and_not1_b32 vcc_lo, exec_lo, s2
	s_cbranch_vccnz .LBB245_4
.LBB245_2:
	s_mov_b64 s[12:13], 0
	s_and_not1_b32 vcc_lo, exec_lo, s19
	s_cbranch_vccz .LBB245_5
	s_branch .LBB245_6
.LBB245_3:
	s_mov_b64 s[10:11], 0
	s_and_not1_b32 vcc_lo, exec_lo, s2
	s_cbranch_vccz .LBB245_2
.LBB245_4:
	s_mov_b32 s19, -1
                                        ; implicit-def: $sgpr12_sgpr13
.LBB245_5:
	s_mov_b32 s19, 0
	s_load_b64 s[4:5], s[0:1], 0x38
	s_lshl_b64 s[2:3], s[18:19], 3
	s_delay_alu instid0(SALU_CYCLE_1) | instskip(SKIP_4) | instid1(SALU_CYCLE_1)
	s_add_u32 s2, s6, s2
	s_addc_u32 s3, s7, s3
	s_load_b64 s[2:3], s[2:3], 0x0
	s_waitcnt lgkmcnt(0)
	s_lshl_b64 s[4:5], s[4:5], 1
	s_add_u32 s12, s2, s4
	s_addc_u32 s13, s3, s5
.LBB245_6:
	s_clause 0x1
	s_load_b32 s15, s[0:1], 0x40
	s_load_b128 s[4:7], s[0:1], 0x58
	v_cmp_neq_f16_e64 s21, s9, 0
	s_waitcnt lgkmcnt(0)
	v_cmp_eq_f16_e64 s2, s15, 0
	s_delay_alu instid0(VALU_DEP_1) | instskip(NEXT) | instid1(SALU_CYCLE_1)
	s_and_b32 s2, exec_lo, s2
	s_mov_b32 vcc_lo, s2
	s_cbranch_vccnz .LBB245_8
; %bb.7:
	s_load_b64 s[16:17], s[0:1], 0x48
	s_lshl_b64 s[22:23], s[18:19], 3
	s_waitcnt lgkmcnt(0)
	s_add_u32 s16, s16, s22
	s_addc_u32 s17, s17, s23
	s_lshl_b64 s[4:5], s[4:5], 1
	s_load_b64 s[16:17], s[16:17], 0x0
	s_waitcnt lgkmcnt(0)
	s_add_u32 s4, s16, s4
	s_addc_u32 s5, s17, s5
	s_branch .LBB245_9
.LBB245_8:
	s_mov_b64 s[4:5], 0
.LBB245_9:
	s_clause 0x1
	s_load_b32 s16, s[0:1], 0x18
	s_load_b32 s3, s[0:1], 0x0
	s_lshl_b64 s[18:19], s[18:19], 3
	v_and_b32_e32 v49, 0x3ff, v0
	v_bfe_u32 v50, v0, 10, 10
	v_cndmask_b32_e64 v2, 0, 1, s21
	s_waitcnt lgkmcnt(0)
	s_ashr_i32 s17, s16, 31
	s_add_u32 s6, s6, s18
	s_addc_u32 s7, s7, s19
	s_add_i32 s3, s3, -1
	s_delay_alu instid0(SALU_CYCLE_1) | instskip(NEXT) | instid1(SALU_CYCLE_1)
	s_ashr_i32 s18, s3, 31
	s_lshr_b32 s18, s18, 26
	s_delay_alu instid0(SALU_CYCLE_1) | instskip(NEXT) | instid1(SALU_CYCLE_1)
	s_add_i32 s3, s3, s18
	s_ashr_i32 s3, s3, 6
	s_delay_alu instid0(SALU_CYCLE_1) | instskip(SKIP_2) | instid1(VALU_DEP_1)
	s_add_i32 s18, s3, 1
	s_not_b32 s3, s3
	v_cvt_f32_u32_e32 v1, s18
	v_rcp_iflag_f32_e32 v1, v1
	s_waitcnt_depctr 0xfff
	v_mul_f32_e32 v1, 0x4f7ffffe, v1
	s_delay_alu instid0(VALU_DEP_1) | instskip(NEXT) | instid1(VALU_DEP_1)
	v_cvt_u32_f32_e32 v1, v1
	v_readfirstlane_b32 s19, v1
	v_lshl_add_u32 v1, v50, 3, v49
	s_delay_alu instid0(VALU_DEP_2) | instskip(NEXT) | instid1(VALU_DEP_1)
	s_mul_i32 s3, s3, s19
	v_and_b32_e32 v5, 63, v1
	s_mul_hi_u32 s3, s19, s3
	v_lshrrev_b32_e32 v4, 6, v1
	s_add_i32 s19, s19, s3
	s_delay_alu instid0(SALU_CYCLE_1) | instskip(NEXT) | instid1(SALU_CYCLE_1)
	s_mul_hi_u32 s3, s14, s19
	s_mul_i32 s19, s3, s18
	s_add_i32 s20, s3, 1
	s_sub_i32 s19, s14, s19
	s_delay_alu instid0(SALU_CYCLE_1)
	s_sub_i32 s22, s19, s18
	s_cmp_ge_u32 s19, s18
	s_cselect_b32 s3, s20, s3
	s_cselect_b32 s19, s22, s19
	s_add_i32 s20, s3, 1
	s_cmp_ge_u32 s19, s18
	s_cselect_b32 s19, s20, s3
	s_and_not1_b32 vcc_lo, exec_lo, s21
	s_mul_i32 s22, s19, s18
	s_delay_alu instid0(SALU_CYCLE_1) | instskip(NEXT) | instid1(SALU_CYCLE_1)
	s_sub_i32 s3, s14, s22
	s_lshl_b32 s20, s3, 6
	v_cmp_ne_u32_e64 s3, 1, v2
	v_or_b32_e32 v0, s20, v5
	s_delay_alu instid0(VALU_DEP_1)
	v_ashrrev_i32_e32 v1, 31, v0
	s_cbranch_vccnz .LBB245_11
; %bb.10:
	v_mad_i64_i32 v[2:3], null, s16, v4, 0
	s_delay_alu instid0(VALU_DEP_2) | instskip(NEXT) | instid1(VALU_DEP_2)
	v_lshlrev_b64 v[6:7], 1, v[0:1]
	v_lshlrev_b64 v[2:3], 1, v[2:3]
	s_delay_alu instid0(VALU_DEP_1) | instskip(NEXT) | instid1(VALU_DEP_2)
	v_add_co_u32 v2, vcc_lo, s10, v2
	v_add_co_ci_u32_e32 v3, vcc_lo, s11, v3, vcc_lo
	s_delay_alu instid0(VALU_DEP_2) | instskip(NEXT) | instid1(VALU_DEP_2)
	v_add_co_u32 v2, vcc_lo, v2, v6
	v_add_co_ci_u32_e32 v3, vcc_lo, v3, v7, vcc_lo
	flat_load_u16 v2, v[2:3]
	s_waitcnt vmcnt(0) lgkmcnt(0)
	v_mul_f16_e32 v6, s9, v2
	s_branch .LBB245_12
.LBB245_11:
	v_mov_b32_e32 v6, 0
.LBB245_12:
	s_load_b32 s18, s[0:1], 0x30
	s_lshl_b32 s21, s19, 7
	s_and_b32 vcc_lo, exec_lo, s3
	v_or_b32_e32 v2, s21, v5
	s_delay_alu instid0(VALU_DEP_1)
	v_ashrrev_i32_e32 v3, 31, v2
	s_waitcnt lgkmcnt(0)
	s_ashr_i32 s19, s18, 31
	s_cbranch_vccnz .LBB245_16
; %bb.13:
	v_mad_i64_i32 v[7:8], null, s18, v4, 0
	v_lshlrev_b64 v[9:10], 1, v[2:3]
	s_delay_alu instid0(VALU_DEP_2) | instskip(NEXT) | instid1(VALU_DEP_1)
	v_lshlrev_b64 v[7:8], 1, v[7:8]
	v_add_co_u32 v7, vcc_lo, s12, v7
	s_delay_alu instid0(VALU_DEP_2) | instskip(NEXT) | instid1(VALU_DEP_2)
	v_add_co_ci_u32_e32 v8, vcc_lo, s13, v8, vcc_lo
	v_add_co_u32 v7, vcc_lo, v7, v9
	s_delay_alu instid0(VALU_DEP_2)
	v_add_co_ci_u32_e32 v8, vcc_lo, v8, v10, vcc_lo
	s_clause 0x1
	flat_load_u16 v9, v[7:8]
	flat_load_u16 v8, v[7:8] offset:128
	s_waitcnt vmcnt(1) lgkmcnt(1)
	v_mul_f16_e32 v7, s9, v9
	s_waitcnt vmcnt(0) lgkmcnt(0)
	v_mul_f16_e32 v8, s9, v8
	v_add_nc_u32_e32 v9, 4, v4
	s_and_b32 vcc_lo, exec_lo, s3
	s_cbranch_vccnz .LBB245_17
.LBB245_14:
	s_delay_alu instid0(VALU_DEP_1) | instskip(SKIP_1) | instid1(VALU_DEP_2)
	v_mad_i64_i32 v[10:11], null, s16, v9, 0
	v_lshlrev_b64 v[0:1], 1, v[0:1]
	v_lshlrev_b64 v[10:11], 1, v[10:11]
	s_delay_alu instid0(VALU_DEP_1) | instskip(NEXT) | instid1(VALU_DEP_2)
	v_add_co_u32 v10, vcc_lo, s10, v10
	v_add_co_ci_u32_e32 v11, vcc_lo, s11, v11, vcc_lo
	s_delay_alu instid0(VALU_DEP_2) | instskip(NEXT) | instid1(VALU_DEP_2)
	v_add_co_u32 v0, vcc_lo, v10, v0
	v_add_co_ci_u32_e32 v1, vcc_lo, v11, v1, vcc_lo
	flat_load_u16 v0, v[0:1]
	s_waitcnt vmcnt(0) lgkmcnt(0)
	v_mul_f16_e32 v0, s9, v0
	s_and_b32 vcc_lo, exec_lo, s3
	s_cbranch_vccnz .LBB245_18
.LBB245_15:
	v_mad_i64_i32 v[10:11], null, s18, v9, 0
	v_lshlrev_b64 v[1:2], 1, v[2:3]
	s_delay_alu instid0(VALU_DEP_2) | instskip(NEXT) | instid1(VALU_DEP_1)
	v_lshlrev_b64 v[9:10], 1, v[10:11]
	v_add_co_u32 v3, vcc_lo, s12, v9
	s_delay_alu instid0(VALU_DEP_2) | instskip(NEXT) | instid1(VALU_DEP_2)
	v_add_co_ci_u32_e32 v9, vcc_lo, s13, v10, vcc_lo
	v_add_co_u32 v1, vcc_lo, v3, v1
	s_delay_alu instid0(VALU_DEP_2)
	v_add_co_ci_u32_e32 v2, vcc_lo, v9, v2, vcc_lo
	s_clause 0x1
	flat_load_u16 v3, v[1:2]
	flat_load_u16 v2, v[1:2] offset:128
	s_waitcnt vmcnt(1) lgkmcnt(1)
	v_mul_f16_e32 v1, s9, v3
	s_waitcnt vmcnt(0) lgkmcnt(0)
	v_mul_f16_e32 v2, s9, v2
	s_branch .LBB245_19
.LBB245_16:
	v_dual_mov_b32 v7, 0 :: v_dual_mov_b32 v8, 0
	v_add_nc_u32_e32 v9, 4, v4
	s_and_b32 vcc_lo, exec_lo, s3
	s_cbranch_vccz .LBB245_14
.LBB245_17:
	v_mov_b32_e32 v0, 0
	s_and_b32 vcc_lo, exec_lo, s3
	s_cbranch_vccz .LBB245_15
.LBB245_18:
	v_dual_mov_b32 v1, 0 :: v_dual_mov_b32 v2, 0
.LBB245_19:
	v_lshlrev_b32_e32 v3, 1, v4
	v_lshlrev_b32_e32 v51, 3, v49
	;; [unrolled: 1-line block ×3, first 2 shown]
	s_load_b64 s[6:7], s[6:7], 0x0
	s_cmp_lt_i32 s8, 9
	v_lshl_add_u32 v61, v5, 3, v3
	v_add_nc_u32_e32 v3, 0x800, v51
	ds_store_b16 v61, v7
	ds_store_b16 v61, v6 offset:2048
	ds_store_b16 v61, v8 offset:512
	s_waitcnt lgkmcnt(0)
	s_barrier
	buffer_gl0_inv
	ds_load_2addr_b64 v[6:9], v52 offset1:32
	ds_load_2addr_b64 v[10:13], v3 offset0:48 offset1:56
	ds_load_2addr_b64 v[14:17], v52 offset0:64 offset1:96
	ds_load_2addr_b64 v[18:21], v3 offset1:8
	ds_load_2addr_b64 v[22:25], v3 offset0:16 offset1:24
	ds_load_2addr_b64 v[26:29], v3 offset0:32 offset1:40
	ds_store_b16 v61, v1 offset:1024
	ds_store_b16 v61, v0 offset:2560
	;; [unrolled: 1-line block ×3, first 2 shown]
	s_waitcnt lgkmcnt(0)
	s_barrier
	buffer_gl0_inv
	v_pk_max_f16 v3, v6, v6
	v_pk_max_f16 v8, v8, v8
	;; [unrolled: 1-line block ×9, first 2 shown]
	v_pk_min_f16 v38, v22, v3
	v_pk_min_f16 v39, v22, v8
	;; [unrolled: 1-line block ×3, first 2 shown]
	v_pk_max_f16 v18, v20, v20
	v_pk_min_f16 v20, v6, v3
	v_pk_add_f16 v41, v38, 0
	v_pk_min_f16 v38, v24, v3
	v_pk_add_f16 v42, v39, 0
	v_pk_min_f16 v39, v24, v8
	v_pk_add_f16 v43, v40, 0
	v_pk_min_f16 v40, v24, v12
	v_pk_add_f16 v44, v38, 0
	v_pk_min_f16 v38, v26, v3
	v_pk_add_f16 v53, v39, 0
	v_pk_min_f16 v39, v26, v8
	v_pk_max_f16 v28, v28, v28
	v_pk_max_f16 v10, v10, v10
	v_pk_add_f16 v55, v38, 0
	v_pk_min_f16 v38, v26, v12
	v_pk_max_f16 v7, v7, v7
	v_pk_max_f16 v13, v13, v13
	v_pk_min_f16 v30, v6, v8
	v_pk_min_f16 v31, v6, v12
	v_pk_min_f16 v32, v14, v3
	v_pk_min_f16 v33, v14, v8
	v_pk_min_f16 v34, v14, v12
	v_pk_min_f16 v14, v14, v16
	v_pk_min_f16 v35, v18, v3
	v_pk_min_f16 v36, v18, v8
	v_pk_add_f16 v20, v20, 0
	v_pk_min_f16 v37, v18, v12
	v_pk_min_f16 v18, v18, v16
	;; [unrolled: 1-line block ×4, first 2 shown]
	v_pk_add_f16 v54, v40, 0
	v_pk_min_f16 v26, v26, v16
	v_pk_add_f16 v62, v39, 0
	v_pk_min_f16 v39, v28, v3
	v_pk_min_f16 v40, v28, v8
	v_pk_add_f16 v63, v38, 0
	v_pk_min_f16 v38, v28, v12
	v_pk_min_f16 v28, v28, v16
	;; [unrolled: 1-line block ×6, first 2 shown]
	v_pk_max_f16 v9, v9, v9
	v_pk_min_f16 v6, v6, v16
	v_pk_min_f16 v16, v13, v7
	v_pk_add_f16 v30, v30, 0
	v_pk_add_f16 v71, v38, 0
	v_pk_max_f16 v15, v15, v15
	v_pk_min_f16 v38, v13, v9
	v_pk_max_f16 v19, v19, v19
	v_pk_add_f16 v60, v16, v20
	v_pk_max_f16 v16, v17, v17
	v_pk_add_f16 v31, v31, 0
	v_pk_add_f16 v32, v32, 0
	v_pk_add_f16 v33, v33, 0
	v_pk_add_f16 v14, v14, 0
	v_pk_add_f16 v69, v39, 0
	v_pk_min_f16 v39, v13, v15
	v_pk_add_f16 v48, v38, v30
	v_pk_min_f16 v17, v19, v7
	v_pk_min_f16 v20, v19, v9
	;; [unrolled: 1-line block ×4, first 2 shown]
	v_pk_max_f16 v21, v21, v21
	v_pk_add_f16 v35, v35, 0
	v_pk_add_f16 v36, v36, 0
	;; [unrolled: 1-line block ×9, first 2 shown]
	v_pk_min_f16 v14, v21, v7
	v_pk_min_f16 v17, v21, v9
	;; [unrolled: 1-line block ×4, first 2 shown]
	v_pk_max_f16 v21, v23, v23
	v_pk_add_f16 v22, v22, 0
	v_pk_add_f16 v67, v14, v35
	;; [unrolled: 1-line block ×5, first 2 shown]
	v_pk_min_f16 v14, v21, v7
	v_pk_min_f16 v17, v21, v9
	;; [unrolled: 1-line block ×4, first 2 shown]
	v_pk_max_f16 v20, v25, v25
	v_pk_add_f16 v24, v24, 0
	v_pk_add_f16 v66, v14, v41
	v_pk_add_f16 v57, v17, v42
	v_pk_add_f16 v45, v18, v43
	v_pk_add_f16 v37, v19, v22
	v_pk_min_f16 v14, v20, v7
	v_pk_min_f16 v17, v20, v9
	;; [unrolled: 1-line block ×4, first 2 shown]
	v_pk_max_f16 v20, v27, v27
	v_pk_add_f16 v65, v14, v44
	v_pk_add_f16 v56, v17, v53
	;; [unrolled: 1-line block ×4, first 2 shown]
	v_pk_min_f16 v14, v20, v7
	v_pk_min_f16 v17, v20, v9
	;; [unrolled: 1-line block ×4, first 2 shown]
	v_pk_max_f16 v20, v29, v29
	v_pk_add_f16 v34, v34, 0
	v_pk_add_f16 v26, v26, 0
	;; [unrolled: 1-line block ×3, first 2 shown]
	v_pk_max_f16 v11, v11, v11
	v_pk_min_f16 v14, v20, v7
	v_pk_add_f16 v28, v28, 0
	v_pk_add_f16 v3, v3, 0
	;; [unrolled: 1-line block ×10, first 2 shown]
	v_pk_min_f16 v17, v20, v9
	v_pk_min_f16 v18, v20, v15
	;; [unrolled: 1-line block ×3, first 2 shown]
	v_pk_add_f16 v63, v14, v69
	v_pk_min_f16 v7, v11, v7
	v_pk_min_f16 v9, v11, v9
	;; [unrolled: 1-line block ×5, first 2 shown]
	v_pk_add_f16 v54, v17, v70
	v_pk_add_f16 v42, v18, v71
	;; [unrolled: 1-line block ×8, first 2 shown]
	s_cbranch_scc1 .LBB245_33
; %bb.20:
	v_add_nc_u32_e32 v6, 12, v4
	v_add_nc_u32_e32 v2, s21, v5
	v_lshl_or_b32 v5, s14, 6, v5
	s_lshl_b32 s14, s22, 6
	v_add_nc_u32_e32 v10, 8, v4
	v_mad_i64_i32 v[0:1], null, v6, s18, 0
	v_ashrrev_i32_e32 v3, 31, v2
	v_or_b32_e32 v69, 0x800, v61
	s_delay_alu instid0(VALU_DEP_4) | instskip(SKIP_1) | instid1(VALU_DEP_4)
	v_mad_i64_i32 v[8:9], null, v10, s16, 0
	v_add_nc_u32_e32 v70, 0x800, v51
	v_lshlrev_b64 v[2:3], 1, v[2:3]
	v_lshlrev_b64 v[24:25], 1, v[0:1]
	v_subrev_nc_u32_e32 v0, s14, v5
	v_mad_i64_i32 v[4:5], null, v6, s16, 0
	v_mad_i64_i32 v[6:7], null, v10, s18, 0
	s_delay_alu instid0(VALU_DEP_3) | instskip(SKIP_2) | instid1(VALU_DEP_3)
	v_ashrrev_i32_e32 v1, 31, v0
	v_add_co_u32 v75, vcc_lo, s12, v2
	v_add_co_ci_u32_e32 v76, vcc_lo, s13, v3, vcc_lo
	v_lshlrev_b64 v[0:1], 1, v[0:1]
	v_lshlrev_b64 v[26:27], 1, v[4:5]
	;; [unrolled: 1-line block ×4, first 2 shown]
	v_add_nc_u32_e32 v71, 0xa00, v61
	v_or_b32_e32 v72, 0x400, v61
	v_add_co_u32 v77, vcc_lo, s10, v0
	v_lshl_add_u32 v73, v49, 3, 0xa00
	v_lshl_add_u32 v74, v50, 3, 0x400
	v_add_co_ci_u32_e32 v78, vcc_lo, s11, v1, vcc_lo
	s_add_i32 s8, s8, -8
	s_lshl_b64 s[10:11], s[18:19], 4
	s_lshl_b64 s[12:13], s[16:17], 4
	s_mov_b32 s14, 0
	s_branch .LBB245_23
.LBB245_21:                             ;   in Loop: Header=BB245_23 Depth=1
	v_add_co_u32 v0, vcc_lo, v75, v24
	v_add_co_ci_u32_e32 v1, vcc_lo, v76, v25, vcc_lo
	s_clause 0x1
	flat_load_u16 v122, v[0:1]
	flat_load_u16 v1, v[0:1] offset:128
	s_waitcnt vmcnt(1) lgkmcnt(1)
	v_mul_f16_e32 v0, s9, v122
	s_waitcnt vmcnt(0) lgkmcnt(0)
	v_mul_f16_e32 v1, s9, v1
.LBB245_22:                             ;   in Loop: Header=BB245_23 Depth=1
	v_pk_add_f16 v16, v16, v40
	v_pk_add_f16 v22, v22, v39
	;; [unrolled: 1-line block ×30, first 2 shown]
	ds_load_2addr_b64 v[32:35], v70 offset0:48 offset1:56
	ds_load_2addr_b64 v[36:39], v52 offset1:32
	ds_load_2addr_b64 v[40:43], v52 offset0:64 offset1:96
	v_pk_add_f16 v83, v119, v46
	v_pk_add_f16 v84, v121, v45
	;; [unrolled: 1-line block ×4, first 2 shown]
	ds_load_2addr_b64 v[44:47], v70 offset1:8
	v_pk_add_f16 v8, v8, v67
	v_pk_add_f16 v54, v94, v54
	;; [unrolled: 1-line block ×12, first 2 shown]
	s_waitcnt lgkmcnt(3)
	v_pk_max_f16 v34, v34, v34
	s_waitcnt lgkmcnt(2)
	v_pk_max_f16 v36, v36, v36
	v_pk_max_f16 v38, v38, v38
	s_waitcnt lgkmcnt(1)
	v_pk_max_f16 v40, v40, v40
	v_pk_add_f16 v15, v15, v54
	v_pk_add_f16 v54, v7, v65
	;; [unrolled: 1-line block ×3, first 2 shown]
	v_pk_min_f16 v6, v34, v36
	v_pk_min_f16 v7, v34, v38
	;; [unrolled: 1-line block ×3, first 2 shown]
	ds_load_2addr_b64 v[2:5], v70 offset0:16 offset1:24
	s_waitcnt lgkmcnt(1)
	v_pk_max_f16 v9, v44, v44
	v_pk_max_f16 v42, v42, v42
	v_pk_add_f16 v14, v111, v14
	v_pk_add_f16 v18, v112, v18
	;; [unrolled: 1-line block ×7, first 2 shown]
	v_pk_min_f16 v6, v9, v36
	v_pk_min_f16 v7, v9, v38
	;; [unrolled: 1-line block ×4, first 2 shown]
	v_pk_add_f16 v62, v97, v62
	v_pk_add_f16 v14, v6, v14
	v_pk_add_f16 v18, v7, v18
	v_pk_add_f16 v20, v8, v20
	v_pk_add_f16 v22, v9, v22
	ds_load_2addr_b64 v[6:9], v70 offset0:32 offset1:40
	v_pk_max_f16 v46, v46, v46
	v_pk_add_f16 v17, v17, v60
	v_pk_add_f16 v19, v19, v63
	;; [unrolled: 1-line block ×3, first 2 shown]
	s_waitcnt lgkmcnt(1)
	v_pk_max_f16 v2, v2, v2
	v_pk_min_f16 v60, v46, v36
	v_pk_min_f16 v62, v46, v38
	v_pk_min_f16 v63, v46, v40
	v_pk_min_f16 v46, v46, v42
	v_pk_max_f16 v4, v4, v4
	v_pk_add_f16 v53, v98, v53
	v_pk_add_f16 v48, v102, v48
	;; [unrolled: 1-line block ×4, first 2 shown]
	v_pk_min_f16 v46, v2, v36
	v_pk_add_f16 v10, v120, v10
	v_pk_add_f16 v57, v105, v57
	;; [unrolled: 1-line block ×5, first 2 shown]
	v_pk_min_f16 v46, v4, v38
	s_waitcnt lgkmcnt(0)
	v_pk_max_f16 v6, v6, v6
	v_pk_add_f16 v64, v60, v68
	v_pk_min_f16 v60, v2, v38
	v_pk_min_f16 v66, v2, v40
	;; [unrolled: 1-line block ×3, first 2 shown]
	v_pk_add_f16 v82, v46, v48
	v_pk_min_f16 v46, v6, v36
	v_pk_add_f16 v56, v104, v56
	v_pk_add_f16 v63, v63, v81
	;; [unrolled: 1-line block ×5, first 2 shown]
	v_pk_min_f16 v11, v4, v36
	v_pk_min_f16 v60, v4, v40
	;; [unrolled: 1-line block ×4, first 2 shown]
	v_pk_max_f16 v8, v8, v8
	v_pk_add_f16 v84, v46, v57
	v_pk_min_f16 v46, v6, v40
	v_pk_max_f16 v32, v32, v32
	v_pk_add_f16 v11, v11, v85
	v_pk_add_f16 v83, v60, v86
	v_pk_add_f16 v4, v4, v56
	v_pk_add_f16 v85, v48, v87
	v_pk_min_f16 v48, v8, v36
	v_pk_min_f16 v56, v8, v38
	v_pk_add_f16 v86, v46, v55
	v_pk_min_f16 v46, v8, v40
	v_pk_min_f16 v8, v8, v42
	;; [unrolled: 1-line block ×5, first 2 shown]
	v_pk_max_f16 v35, v35, v35
	v_pk_max_f16 v87, v39, v39
	v_pk_add_f16 v8, v8, v19
	v_pk_add_f16 v19, v36, v21
	;; [unrolled: 1-line block ×4, first 2 shown]
	v_pk_max_f16 v53, v37, v37
	v_pk_min_f16 v34, v34, v42
	v_pk_max_f16 v41, v41, v41
	v_pk_min_f16 v37, v35, v87
	v_pk_add_f16 v13, v48, v13
	v_pk_min_f16 v36, v35, v53
	v_pk_add_f16 v88, v34, v59
	v_pk_min_f16 v34, v35, v41
	v_pk_max_f16 v38, v45, v45
	v_pk_add_f16 v48, v37, v12
	v_pk_max_f16 v12, v43, v43
	v_pk_add_f16 v60, v36, v44
	v_pk_add_f16 v40, v34, v16
	v_pk_min_f16 v16, v38, v53
	v_pk_min_f16 v34, v38, v87
	;; [unrolled: 1-line block ×4, first 2 shown]
	v_pk_max_f16 v38, v47, v47
	v_pk_min_f16 v6, v6, v42
	v_pk_add_f16 v68, v16, v14
	v_pk_add_f16 v59, v34, v18
	v_pk_max_f16 v3, v3, v3
	v_pk_min_f16 v14, v38, v53
	v_pk_min_f16 v16, v38, v87
	v_pk_min_f16 v18, v38, v41
	v_pk_add_f16 v6, v6, v58
	v_pk_add_f16 v17, v46, v17
	;; [unrolled: 1-line block ×5, first 2 shown]
	v_pk_min_f16 v14, v3, v53
	v_pk_min_f16 v16, v3, v87
	;; [unrolled: 1-line block ×4, first 2 shown]
	v_pk_max_f16 v5, v5, v5
	v_pk_add_f16 v47, v36, v20
	v_pk_add_f16 v39, v37, v22
	v_pk_min_f16 v20, v38, v12
	v_pk_add_f16 v57, v16, v10
	v_pk_add_f16 v37, v3, v2
	v_pk_min_f16 v2, v5, v53
	v_pk_min_f16 v3, v5, v87
	;; [unrolled: 1-line block ×4, first 2 shown]
	v_pk_max_f16 v7, v7, v7
	v_pk_add_f16 v15, v56, v15
	v_pk_add_f16 v38, v20, v65
	;; [unrolled: 1-line block ×5, first 2 shown]
	v_pk_min_f16 v2, v7, v53
	v_pk_min_f16 v3, v7, v87
	;; [unrolled: 1-line block ×4, first 2 shown]
	v_pk_max_f16 v7, v9, v9
	v_pk_min_f16 v32, v32, v42
	v_pk_add_f16 v64, v2, v84
	v_pk_add_f16 v55, v3, v85
	;; [unrolled: 1-line block ×4, first 2 shown]
	v_pk_min_f16 v2, v7, v53
	v_pk_min_f16 v3, v7, v87
	;; [unrolled: 1-line block ×4, first 2 shown]
	v_pk_max_f16 v6, v33, v33
	v_pk_add_f16 v32, v32, v54
	v_pk_add_f16 v63, v2, v13
	;; [unrolled: 1-line block ×5, first 2 shown]
	v_pk_min_f16 v2, v6, v53
	v_pk_min_f16 v3, v6, v87
	;; [unrolled: 1-line block ×5, first 2 shown]
	v_add_co_u32 v75, vcc_lo, v75, s10
	v_add_co_ci_u32_e32 v76, vcc_lo, s11, v76, vcc_lo
	v_add_co_u32 v77, vcc_lo, v77, s12
	v_pk_add_f16 v66, v14, v80
	v_pk_add_f16 v45, v18, v81
	;; [unrolled: 1-line block ×8, first 2 shown]
	v_add_co_ci_u32_e32 v78, vcc_lo, s13, v78, vcc_lo
	s_add_i32 s14, s14, 8
	ds_store_b16 v71, v79
	ds_store_b16 v72, v0
	ds_store_b16 v72, v1 offset:512
	s_cmp_ge_i32 s14, s8
	s_waitcnt lgkmcnt(0)
	s_barrier
	buffer_gl0_inv
	s_cbranch_scc1 .LBB245_33
.LBB245_23:                             ; =>This Inner Loop Header: Depth=1
	s_and_b32 vcc_lo, exec_lo, s3
	s_cbranch_vccnz .LBB245_26
; %bb.24:                               ;   in Loop: Header=BB245_23 Depth=1
	v_add_co_u32 v0, vcc_lo, v77, v30
	v_add_co_ci_u32_e32 v1, vcc_lo, v78, v31, vcc_lo
	flat_load_u16 v0, v[0:1]
	s_waitcnt vmcnt(0) lgkmcnt(0)
	v_mul_f16_e32 v79, s9, v0
	s_and_b32 vcc_lo, exec_lo, s3
	s_cbranch_vccnz .LBB245_27
.LBB245_25:                             ;   in Loop: Header=BB245_23 Depth=1
	v_add_co_u32 v0, vcc_lo, v75, v28
	v_add_co_ci_u32_e32 v1, vcc_lo, v76, v29, vcc_lo
	s_clause 0x1
	flat_load_u16 v2, v[0:1]
	flat_load_u16 v0, v[0:1] offset:128
	s_waitcnt vmcnt(1) lgkmcnt(1)
	v_mul_f16_e32 v80, s9, v2
	s_waitcnt vmcnt(0) lgkmcnt(0)
	v_mul_f16_e32 v81, s9, v0
	s_branch .LBB245_28
.LBB245_26:                             ;   in Loop: Header=BB245_23 Depth=1
	v_mov_b32_e32 v79, 0
	s_and_b32 vcc_lo, exec_lo, s3
	s_cbranch_vccz .LBB245_25
.LBB245_27:                             ;   in Loop: Header=BB245_23 Depth=1
	v_dual_mov_b32 v80, 0 :: v_dual_mov_b32 v81, 0
.LBB245_28:                             ;   in Loop: Header=BB245_23 Depth=1
	ds_load_2addr_b64 v[0:3], v73 offset0:48 offset1:56
	ds_load_2addr_b64 v[12:15], v74 offset0:64 offset1:96
	ds_load_2addr_b64 v[20:23], v74 offset1:32
	ds_load_2addr_b64 v[16:19], v73 offset1:8
	ds_load_2addr_b64 v[8:11], v73 offset0:16 offset1:24
	ds_load_2addr_b64 v[4:7], v73 offset0:32 offset1:40
	s_and_b32 vcc_lo, exec_lo, s3
	ds_store_b16 v69, v79
	ds_store_b16 v61, v80
	ds_store_b16 v61, v81 offset:512
	s_waitcnt lgkmcnt(0)
	s_barrier
	buffer_gl0_inv
	s_cbranch_vccnz .LBB245_30
; %bb.29:                               ;   in Loop: Header=BB245_23 Depth=1
	v_add_co_u32 v79, vcc_lo, v77, v26
	v_add_co_ci_u32_e32 v80, vcc_lo, v78, v27, vcc_lo
	flat_load_u16 v79, v[79:80]
	s_waitcnt vmcnt(0) lgkmcnt(0)
	v_mul_f16_e32 v79, s9, v79
	s_branch .LBB245_31
.LBB245_30:                             ;   in Loop: Header=BB245_23 Depth=1
	v_mov_b32_e32 v79, 0
.LBB245_31:                             ;   in Loop: Header=BB245_23 Depth=1
	v_pk_max_f16 v92, v2, v2
	v_pk_max_f16 v97, v20, v20
	v_pk_max_f16 v98, v22, v22
	v_pk_max_f16 v99, v12, v12
	v_pk_max_f16 v22, v16, v16
	v_pk_max_f16 v101, v14, v14
	v_pk_max_f16 v82, v18, v18
	v_pk_max_f16 v85, v8, v8
	v_pk_max_f16 v88, v10, v10
	v_pk_max_f16 v91, v4, v4
	v_pk_max_f16 v96, v6, v6
	v_pk_max_f16 v0, v0, v0
	v_pk_min_f16 v2, v92, v97
	v_pk_min_f16 v12, v92, v98
	;; [unrolled: 1-line block ×25, first 2 shown]
	v_pk_max_f16 v0, v3, v3
	v_pk_max_f16 v21, v21, v21
	;; [unrolled: 1-line block ×9, first 2 shown]
	v_pk_min_f16 v111, v3, v21
	v_pk_min_f16 v112, v3, v23
	;; [unrolled: 1-line block ×4, first 2 shown]
	v_pk_max_f16 v3, v9, v9
	v_pk_max_f16 v9, v11, v11
	;; [unrolled: 1-line block ×3, first 2 shown]
	v_pk_min_f16 v22, v22, v101
	v_pk_min_f16 v82, v82, v101
	;; [unrolled: 1-line block ×35, first 2 shown]
	s_and_b32 vcc_lo, exec_lo, s3
	s_cbranch_vccz .LBB245_21
; %bb.32:                               ;   in Loop: Header=BB245_23 Depth=1
	v_dual_mov_b32 v0, 0 :: v_dual_mov_b32 v1, 0
	s_branch .LBB245_22
.LBB245_33:
	s_load_b32 s8, s[0:1], 0x50
	v_dual_mov_b32 v30, 0 :: v_dual_add_nc_u32 v25, s21, v50
	ds_load_b64 v[0:1], v52 offset:1024
	ds_load_b64 v[2:3], v51 offset:2560
	v_add_nc_u32_e32 v22, s20, v49
	v_cmp_neq_f16_e64 s9, s15, 0
	v_mov_b32_e32 v20, 0
	s_delay_alu instid0(VALU_DEP_3) | instskip(NEXT) | instid1(VALU_DEP_3)
	v_ashrrev_i32_e32 v23, 31, v22
	s_and_b32 vcc_lo, exec_lo, s9
	s_delay_alu instid0(VALU_DEP_1) | instskip(SKIP_2) | instid1(VALU_DEP_1)
	v_lshlrev_b64 v[16:17], 1, v[22:23]
	s_waitcnt lgkmcnt(0)
	v_mad_i64_i32 v[4:5], null, v25, s8, 0
	v_lshlrev_b64 v[4:5], 1, v[4:5]
	s_delay_alu instid0(VALU_DEP_1) | instskip(NEXT) | instid1(VALU_DEP_1)
	v_add_co_u32 v69, s3, s4, v4
	v_add_co_ci_u32_e64 v70, s3, s5, v5, s3
	s_cbranch_vccz .LBB245_35
; %bb.34:
	s_delay_alu instid0(VALU_DEP_2) | instskip(NEXT) | instid1(VALU_DEP_2)
	v_add_co_u32 v4, vcc_lo, v69, v16
	v_add_co_ci_u32_e32 v5, vcc_lo, v70, v17, vcc_lo
	flat_load_u16 v4, v[4:5]
	s_waitcnt vmcnt(0) lgkmcnt(0)
	v_mul_f16_e32 v20, s15, v4
.LBB245_35:
	s_clause 0x1
	s_load_b32 s3, s[0:1], 0x68
	s_load_b64 s[0:1], s[0:1], 0x70
	v_pk_max_f16 v72, v0, v0
	v_pk_max_f16 v26, v2, v2
	;; [unrolled: 1-line block ×4, first 2 shown]
	v_add_nc_u32_e32 v5, 0x800, v51
	ds_load_b64 v[23:24], v51 offset:3008
	ds_load_b64 v[18:19], v52 offset:1792
	v_pk_min_f16 v4, v26, v72
	ds_load_2addr_b64 v[0:3], v52 offset0:160 offset1:192
	v_pk_min_f16 v6, v27, v71
	ds_load_2addr_b64 v[12:15], v5 offset0:72 offset1:80
	v_add_nc_u32_e32 v28, 8, v22
	v_pk_add_f16 v4, v4, v68
	v_cndmask_b32_e64 v21, 0, 1, s9
	s_delay_alu instid0(VALU_DEP_3) | instskip(NEXT) | instid1(VALU_DEP_3)
	v_ashrrev_i32_e32 v29, 31, v28
	v_pk_add_f16 v31, v6, v4
	ds_load_2addr_b64 v[8:11], v5 offset0:88 offset1:96
	ds_load_2addr_b64 v[4:7], v5 offset0:104 offset1:112
	s_waitcnt lgkmcnt(0)
	v_mad_i64_i32 v[49:50], null, v25, s3, 0
	s_lshl_b64 s[10:11], s[0:1], 1
	v_lshrrev_b32_e32 v51, 16, v31
	s_add_u32 s1, s6, s10
	s_addc_u32 s6, s7, s11
	v_cmp_ne_u32_e64 s0, 1, v21
	s_delay_alu instid0(VALU_DEP_2) | instskip(NEXT) | instid1(VALU_DEP_4)
	v_add_f16_e32 v21, v31, v51
	v_lshlrev_b64 v[49:50], 1, v[49:50]
	s_delay_alu instid0(VALU_DEP_2) | instskip(SKIP_1) | instid1(VALU_DEP_3)
	v_add_f16_e32 v31, v21, v20
	v_lshlrev_b64 v[20:21], 1, v[28:29]
	v_add_co_u32 v68, vcc_lo, s1, v49
	s_delay_alu instid0(VALU_DEP_4) | instskip(NEXT) | instid1(VALU_DEP_2)
	v_add_co_ci_u32_e32 v73, vcc_lo, s6, v50, vcc_lo
	v_add_co_u32 v49, vcc_lo, v68, v16
	s_delay_alu instid0(VALU_DEP_2)
	v_add_co_ci_u32_e32 v50, vcc_lo, v73, v17, vcc_lo
	s_and_not1_b32 vcc_lo, exec_lo, s9
	global_store_b16 v[49:50], v31, off
	s_cbranch_vccnz .LBB245_37
; %bb.36:
	v_add_co_u32 v28, vcc_lo, v69, v20
	v_add_co_ci_u32_e32 v29, vcc_lo, v70, v21, vcc_lo
	flat_load_u16 v28, v[28:29]
	s_waitcnt vmcnt(0) lgkmcnt(0)
	v_mul_f16_e32 v30, s15, v28
.LBB245_37:
	v_pk_max_f16 v28, v12, v12
	v_pk_max_f16 v29, v13, v13
	v_add_co_u32 v74, vcc_lo, v68, v20
	v_add_co_ci_u32_e32 v75, vcc_lo, v73, v21, vcc_lo
	s_delay_alu instid0(VALU_DEP_4) | instskip(NEXT) | instid1(VALU_DEP_4)
	v_pk_min_f16 v12, v28, v72
	v_pk_min_f16 v13, v29, v71
	s_and_b32 vcc_lo, exec_lo, s0
	v_mov_b32_e32 v51, 0
	s_delay_alu instid0(VALU_DEP_3) | instskip(NEXT) | instid1(VALU_DEP_1)
	v_pk_add_f16 v12, v12, v67
	v_pk_add_f16 v31, v13, v12
	v_add_nc_u32_e32 v12, 16, v22
	s_delay_alu instid0(VALU_DEP_2) | instskip(NEXT) | instid1(VALU_DEP_2)
	v_lshrrev_b32_e32 v49, 16, v31
	v_ashrrev_i32_e32 v13, 31, v12
	s_delay_alu instid0(VALU_DEP_2) | instskip(NEXT) | instid1(VALU_DEP_2)
	v_add_f16_e32 v31, v31, v49
	v_lshlrev_b64 v[12:13], 1, v[12:13]
	v_mov_b32_e32 v49, 0
	s_delay_alu instid0(VALU_DEP_3)
	v_add_f16_e32 v30, v31, v30
	global_store_b16 v[74:75], v30, off
	s_cbranch_vccnz .LBB245_39
; %bb.38:
	v_add_co_u32 v30, vcc_lo, v69, v12
	v_add_co_ci_u32_e32 v31, vcc_lo, v70, v13, vcc_lo
	flat_load_u16 v30, v[30:31]
	s_waitcnt vmcnt(0) lgkmcnt(0)
	v_mul_f16_e32 v49, s15, v30
.LBB245_39:
	v_pk_max_f16 v30, v14, v14
	v_pk_max_f16 v31, v15, v15
	s_delay_alu instid0(VALU_DEP_2) | instskip(NEXT) | instid1(VALU_DEP_2)
	v_pk_min_f16 v14, v30, v72
	v_pk_min_f16 v15, v31, v71
	s_delay_alu instid0(VALU_DEP_2) | instskip(SKIP_2) | instid1(VALU_DEP_3)
	v_pk_add_f16 v14, v14, v66
	v_add_co_u32 v66, vcc_lo, v68, v12
	v_add_co_ci_u32_e32 v67, vcc_lo, v73, v13, vcc_lo
	v_pk_add_f16 v50, v15, v14
	v_add_nc_u32_e32 v14, 24, v22
	s_and_b32 vcc_lo, exec_lo, s0
	s_delay_alu instid0(VALU_DEP_2) | instskip(NEXT) | instid1(VALU_DEP_2)
	v_lshrrev_b32_e32 v52, 16, v50
	v_ashrrev_i32_e32 v15, 31, v14
	s_delay_alu instid0(VALU_DEP_2) | instskip(NEXT) | instid1(VALU_DEP_2)
	v_add_f16_e32 v50, v50, v52
	v_lshlrev_b64 v[14:15], 1, v[14:15]
	s_delay_alu instid0(VALU_DEP_2)
	v_add_f16_e32 v49, v50, v49
	global_store_b16 v[66:67], v49, off
	s_cbranch_vccnz .LBB245_41
; %bb.40:
	v_add_co_u32 v49, vcc_lo, v69, v14
	v_add_co_ci_u32_e32 v50, vcc_lo, v70, v15, vcc_lo
	flat_load_u16 v49, v[49:50]
	s_waitcnt vmcnt(0) lgkmcnt(0)
	v_mul_f16_e32 v51, s15, v49
.LBB245_41:
	v_pk_max_f16 v49, v8, v8
	v_pk_max_f16 v50, v9, v9
	v_add_co_u32 v66, vcc_lo, v68, v14
	v_add_co_ci_u32_e32 v67, vcc_lo, v73, v15, vcc_lo
	s_delay_alu instid0(VALU_DEP_4) | instskip(NEXT) | instid1(VALU_DEP_4)
	v_pk_min_f16 v8, v49, v72
	v_pk_min_f16 v9, v50, v71
	s_and_b32 vcc_lo, exec_lo, s0
	s_delay_alu instid0(VALU_DEP_2) | instskip(SKIP_1) | instid1(VALU_DEP_2)
	v_pk_add_f16 v8, v8, v65
	v_mov_b32_e32 v65, 0
	v_pk_add_f16 v52, v9, v8
	v_add_nc_u32_e32 v8, 32, v22
	s_delay_alu instid0(VALU_DEP_2) | instskip(NEXT) | instid1(VALU_DEP_2)
	v_lshrrev_b32_e32 v61, 16, v52
	v_ashrrev_i32_e32 v9, 31, v8
	s_delay_alu instid0(VALU_DEP_2) | instskip(NEXT) | instid1(VALU_DEP_2)
	v_add_f16_e32 v52, v52, v61
	v_lshlrev_b64 v[8:9], 1, v[8:9]
	v_mov_b32_e32 v61, 0
	s_delay_alu instid0(VALU_DEP_3)
	v_add_f16_e32 v51, v52, v51
	global_store_b16 v[66:67], v51, off
	s_cbranch_vccnz .LBB245_43
; %bb.42:
	v_add_co_u32 v51, vcc_lo, v69, v8
	v_add_co_ci_u32_e32 v52, vcc_lo, v70, v9, vcc_lo
	flat_load_u16 v51, v[51:52]
	s_waitcnt vmcnt(0) lgkmcnt(0)
	v_mul_f16_e32 v61, s15, v51
.LBB245_43:
	v_pk_max_f16 v51, v10, v10
	v_pk_max_f16 v52, v11, v11
	s_delay_alu instid0(VALU_DEP_2) | instskip(NEXT) | instid1(VALU_DEP_2)
	v_pk_min_f16 v10, v51, v72
	v_pk_min_f16 v11, v52, v71
	s_delay_alu instid0(VALU_DEP_2) | instskip(NEXT) | instid1(VALU_DEP_1)
	v_pk_add_f16 v10, v10, v64
	v_pk_add_f16 v64, v11, v10
	v_add_nc_u32_e32 v10, 40, v22
	s_delay_alu instid0(VALU_DEP_2) | instskip(NEXT) | instid1(VALU_DEP_2)
	v_lshrrev_b32_e32 v66, 16, v64
	v_ashrrev_i32_e32 v11, 31, v10
	s_delay_alu instid0(VALU_DEP_2) | instskip(SKIP_1) | instid1(VALU_DEP_3)
	v_add_f16_e32 v64, v64, v66
	v_add_co_u32 v66, vcc_lo, v68, v8
	v_lshlrev_b64 v[10:11], 1, v[10:11]
	v_add_co_ci_u32_e32 v67, vcc_lo, v73, v9, vcc_lo
	s_delay_alu instid0(VALU_DEP_4)
	v_add_f16_e32 v61, v64, v61
	s_and_b32 vcc_lo, exec_lo, s0
	global_store_b16 v[66:67], v61, off
	s_cbranch_vccnz .LBB245_45
; %bb.44:
	v_add_co_u32 v64, vcc_lo, v69, v10
	v_add_co_ci_u32_e32 v65, vcc_lo, v70, v11, vcc_lo
	flat_load_u16 v61, v[64:65]
	s_waitcnt vmcnt(0) lgkmcnt(0)
	v_mul_f16_e32 v65, s15, v61
.LBB245_45:
	v_pk_max_f16 v61, v4, v4
	v_pk_max_f16 v64, v5, v5
	v_add_co_u32 v74, vcc_lo, v68, v10
	v_add_co_ci_u32_e32 v75, vcc_lo, v73, v11, vcc_lo
	s_delay_alu instid0(VALU_DEP_4) | instskip(NEXT) | instid1(VALU_DEP_4)
	v_pk_min_f16 v4, v61, v72
	v_pk_min_f16 v5, v64, v71
	s_and_b32 vcc_lo, exec_lo, s0
	v_mov_b32_e32 v67, 0
	s_delay_alu instid0(VALU_DEP_3) | instskip(NEXT) | instid1(VALU_DEP_1)
	v_pk_add_f16 v4, v4, v63
	v_pk_add_f16 v63, v5, v4
	v_add_nc_u32_e32 v4, 48, v22
	s_delay_alu instid0(VALU_DEP_2) | instskip(NEXT) | instid1(VALU_DEP_2)
	v_lshrrev_b32_e32 v66, 16, v63
	v_ashrrev_i32_e32 v5, 31, v4
	s_delay_alu instid0(VALU_DEP_2) | instskip(NEXT) | instid1(VALU_DEP_2)
	v_add_f16_e32 v63, v63, v66
	v_lshlrev_b64 v[4:5], 1, v[4:5]
	v_mov_b32_e32 v66, 0
	s_delay_alu instid0(VALU_DEP_3)
	v_add_f16_e32 v63, v63, v65
	global_store_b16 v[74:75], v63, off
	s_cbranch_vccnz .LBB245_47
; %bb.46:
	v_add_co_u32 v74, vcc_lo, v69, v4
	v_add_co_ci_u32_e32 v75, vcc_lo, v70, v5, vcc_lo
	flat_load_u16 v63, v[74:75]
	s_waitcnt vmcnt(0) lgkmcnt(0)
	v_mul_f16_e32 v67, s15, v63
.LBB245_47:
	v_pk_max_f16 v63, v6, v6
	v_pk_max_f16 v65, v7, v7
	v_add_co_u32 v74, vcc_lo, v68, v4
	v_add_co_ci_u32_e32 v75, vcc_lo, v73, v5, vcc_lo
	s_delay_alu instid0(VALU_DEP_4) | instskip(NEXT) | instid1(VALU_DEP_4)
	v_pk_min_f16 v6, v63, v72
	v_pk_min_f16 v7, v65, v71
	s_and_b32 vcc_lo, exec_lo, s0
	s_delay_alu instid0(VALU_DEP_2) | instskip(NEXT) | instid1(VALU_DEP_1)
	v_pk_add_f16 v6, v6, v62
	v_pk_add_f16 v62, v7, v6
	v_add_nc_u32_e32 v6, 56, v22
	s_delay_alu instid0(VALU_DEP_2) | instskip(NEXT) | instid1(VALU_DEP_2)
	v_lshrrev_b32_e32 v22, 16, v62
	v_ashrrev_i32_e32 v7, 31, v6
	s_delay_alu instid0(VALU_DEP_2) | instskip(NEXT) | instid1(VALU_DEP_2)
	v_add_f16_e32 v22, v62, v22
	v_lshlrev_b64 v[6:7], 1, v[6:7]
	s_delay_alu instid0(VALU_DEP_2)
	v_add_f16_e32 v22, v22, v67
	global_store_b16 v[74:75], v22, off
	s_cbranch_vccnz .LBB245_49
; %bb.48:
	v_add_co_u32 v66, vcc_lo, v69, v6
	v_add_co_ci_u32_e32 v67, vcc_lo, v70, v7, vcc_lo
	flat_load_u16 v22, v[66:67]
	s_waitcnt vmcnt(0) lgkmcnt(0)
	v_mul_f16_e32 v66, s15, v22
.LBB245_49:
	v_pk_max_f16 v22, v23, v23
	v_pk_max_f16 v23, v24, v24
	v_add_nc_u32_e32 v67, 32, v25
	s_delay_alu instid0(VALU_DEP_3) | instskip(NEXT) | instid1(VALU_DEP_3)
	v_pk_min_f16 v24, v22, v72
	v_pk_min_f16 v62, v23, v71
	v_add_co_u32 v71, vcc_lo, v68, v6
	v_add_co_ci_u32_e32 v72, vcc_lo, v73, v7, vcc_lo
	s_delay_alu instid0(VALU_DEP_4) | instskip(SKIP_1) | instid1(VALU_DEP_2)
	v_pk_add_f16 v24, v24, v60
	v_mov_b32_e32 v68, 0
	v_pk_add_f16 v24, v62, v24
	s_delay_alu instid0(VALU_DEP_1) | instskip(NEXT) | instid1(VALU_DEP_1)
	v_lshrrev_b32_e32 v60, 16, v24
	v_add_f16_e32 v62, v24, v60
	s_delay_alu instid0(VALU_DEP_1) | instskip(SKIP_4) | instid1(VALU_DEP_1)
	v_add_f16_e32 v62, v62, v66
	v_mov_b32_e32 v66, 0
	v_mad_i64_i32 v[69:70], null, v67, s8, 0
	global_store_b16 v[71:72], v62, off
	v_lshlrev_b64 v[69:70], 1, v[69:70]
	v_add_co_u32 v24, vcc_lo, s4, v69
	s_delay_alu instid0(VALU_DEP_2)
	v_add_co_ci_u32_e32 v60, vcc_lo, s5, v70, vcc_lo
	s_and_b32 vcc_lo, exec_lo, s0
	s_cbranch_vccnz .LBB245_51
; %bb.50:
	s_delay_alu instid0(VALU_DEP_2) | instskip(NEXT) | instid1(VALU_DEP_2)
	v_add_co_u32 v68, vcc_lo, v24, v16
	v_add_co_ci_u32_e32 v69, vcc_lo, v60, v17, vcc_lo
	flat_load_u16 v62, v[68:69]
	s_waitcnt vmcnt(0) lgkmcnt(0)
	v_mul_f16_e32 v68, s15, v62
.LBB245_51:
	v_pk_max_f16 v62, v0, v0
	v_pk_max_f16 v0, v1, v1
	v_mad_i64_i32 v[69:70], null, v67, s3, 0
	s_delay_alu instid0(VALU_DEP_3) | instskip(NEXT) | instid1(VALU_DEP_3)
	v_pk_min_f16 v1, v26, v62
	v_pk_min_f16 v71, v27, v0
	s_delay_alu instid0(VALU_DEP_3) | instskip(NEXT) | instid1(VALU_DEP_3)
	v_lshlrev_b64 v[69:70], 1, v[69:70]
	v_pk_add_f16 v1, v1, v59
	s_delay_alu instid0(VALU_DEP_1) | instskip(NEXT) | instid1(VALU_DEP_1)
	v_pk_add_f16 v1, v71, v1
	v_lshrrev_b32_e32 v59, 16, v1
	s_delay_alu instid0(VALU_DEP_1) | instskip(SKIP_2) | instid1(VALU_DEP_3)
	v_add_f16_e32 v67, v1, v59
	v_add_co_u32 v1, vcc_lo, s1, v69
	v_add_co_ci_u32_e32 v59, vcc_lo, s6, v70, vcc_lo
	v_add_f16_e32 v69, v67, v68
	s_delay_alu instid0(VALU_DEP_3) | instskip(NEXT) | instid1(VALU_DEP_3)
	v_add_co_u32 v67, vcc_lo, v1, v16
	v_add_co_ci_u32_e32 v68, vcc_lo, v59, v17, vcc_lo
	s_and_b32 vcc_lo, exec_lo, s0
	global_store_b16 v[67:68], v69, off
	s_cbranch_vccnz .LBB245_53
; %bb.52:
	v_add_co_u32 v66, vcc_lo, v24, v20
	v_add_co_ci_u32_e32 v67, vcc_lo, v60, v21, vcc_lo
	flat_load_u16 v66, v[66:67]
	s_waitcnt vmcnt(0) lgkmcnt(0)
	v_mul_f16_e32 v66, s15, v66
.LBB245_53:
	v_pk_min_f16 v67, v28, v62
	v_pk_min_f16 v68, v29, v0
	s_delay_alu instid0(VALU_DEP_2) | instskip(NEXT) | instid1(VALU_DEP_1)
	v_pk_add_f16 v58, v67, v58
	v_pk_add_f16 v58, v68, v58
	s_delay_alu instid0(VALU_DEP_1) | instskip(NEXT) | instid1(VALU_DEP_1)
	v_lshrrev_b32_e32 v67, 16, v58
	v_add_f16_e32 v58, v58, v67
	v_add_co_u32 v67, vcc_lo, v1, v20
	v_add_co_ci_u32_e32 v68, vcc_lo, v59, v21, vcc_lo
	s_delay_alu instid0(VALU_DEP_3)
	v_add_f16_e32 v69, v58, v66
	v_mov_b32_e32 v58, 0
	v_mov_b32_e32 v66, 0
	s_and_b32 vcc_lo, exec_lo, s0
	global_store_b16 v[67:68], v69, off
	s_cbranch_vccnz .LBB245_55
; %bb.54:
	v_add_co_u32 v66, vcc_lo, v24, v12
	v_add_co_ci_u32_e32 v67, vcc_lo, v60, v13, vcc_lo
	flat_load_u16 v66, v[66:67]
	s_waitcnt vmcnt(0) lgkmcnt(0)
	v_mul_f16_e32 v66, s15, v66
.LBB245_55:
	v_pk_min_f16 v67, v30, v62
	v_pk_min_f16 v68, v31, v0
	s_delay_alu instid0(VALU_DEP_2) | instskip(NEXT) | instid1(VALU_DEP_1)
	v_pk_add_f16 v57, v67, v57
	v_pk_add_f16 v57, v68, v57
	s_delay_alu instid0(VALU_DEP_1) | instskip(NEXT) | instid1(VALU_DEP_1)
	v_lshrrev_b32_e32 v67, 16, v57
	v_add_f16_e32 v57, v57, v67
	s_delay_alu instid0(VALU_DEP_1)
	v_add_f16_e32 v57, v57, v66
	v_add_co_u32 v66, vcc_lo, v1, v12
	v_add_co_ci_u32_e32 v67, vcc_lo, v59, v13, vcc_lo
	s_and_b32 vcc_lo, exec_lo, s0
	global_store_b16 v[66:67], v57, off
	s_cbranch_vccnz .LBB245_57
; %bb.56:
	v_add_co_u32 v57, vcc_lo, v24, v14
	v_add_co_ci_u32_e32 v58, vcc_lo, v60, v15, vcc_lo
	flat_load_u16 v57, v[57:58]
	s_waitcnt vmcnt(0) lgkmcnt(0)
	v_mul_f16_e32 v58, s15, v57
.LBB245_57:
	v_pk_min_f16 v57, v49, v62
	v_pk_min_f16 v66, v50, v0
	s_delay_alu instid0(VALU_DEP_2) | instskip(NEXT) | instid1(VALU_DEP_1)
	v_pk_add_f16 v56, v57, v56
	v_pk_add_f16 v56, v66, v56
	v_add_co_u32 v66, vcc_lo, v1, v14
	v_add_co_ci_u32_e32 v67, vcc_lo, v59, v15, vcc_lo
	s_delay_alu instid0(VALU_DEP_3) | instskip(SKIP_1) | instid1(VALU_DEP_1)
	v_lshrrev_b32_e32 v57, 16, v56
	s_and_b32 vcc_lo, exec_lo, s0
	v_add_f16_e32 v56, v56, v57
	v_mov_b32_e32 v57, 0
	s_delay_alu instid0(VALU_DEP_2)
	v_add_f16_e32 v58, v56, v58
	v_mov_b32_e32 v56, 0
	global_store_b16 v[66:67], v58, off
	s_cbranch_vccnz .LBB245_59
; %bb.58:
	v_add_co_u32 v57, vcc_lo, v24, v8
	v_add_co_ci_u32_e32 v58, vcc_lo, v60, v9, vcc_lo
	flat_load_u16 v57, v[57:58]
	s_waitcnt vmcnt(0) lgkmcnt(0)
	v_mul_f16_e32 v57, s15, v57
.LBB245_59:
	v_pk_min_f16 v58, v51, v62
	v_pk_min_f16 v66, v52, v0
	s_delay_alu instid0(VALU_DEP_2) | instskip(NEXT) | instid1(VALU_DEP_1)
	v_pk_add_f16 v55, v58, v55
	v_pk_add_f16 v55, v66, v55
	s_delay_alu instid0(VALU_DEP_1) | instskip(NEXT) | instid1(VALU_DEP_1)
	v_lshrrev_b32_e32 v58, 16, v55
	v_add_f16_e32 v55, v55, v58
	s_delay_alu instid0(VALU_DEP_1)
	v_add_f16_e32 v55, v55, v57
	v_add_co_u32 v57, vcc_lo, v1, v8
	v_add_co_ci_u32_e32 v58, vcc_lo, v59, v9, vcc_lo
	s_and_b32 vcc_lo, exec_lo, s0
	global_store_b16 v[57:58], v55, off
	s_cbranch_vccnz .LBB245_61
; %bb.60:
	v_add_co_u32 v55, vcc_lo, v24, v10
	v_add_co_ci_u32_e32 v56, vcc_lo, v60, v11, vcc_lo
	flat_load_u16 v55, v[55:56]
	s_waitcnt vmcnt(0) lgkmcnt(0)
	v_mul_f16_e32 v56, s15, v55
.LBB245_61:
	v_pk_min_f16 v55, v61, v62
	v_pk_min_f16 v57, v64, v0
	s_delay_alu instid0(VALU_DEP_2) | instskip(NEXT) | instid1(VALU_DEP_1)
	v_pk_add_f16 v54, v55, v54
	v_pk_add_f16 v54, v57, v54
	v_add_co_u32 v57, vcc_lo, v1, v10
	v_add_co_ci_u32_e32 v58, vcc_lo, v59, v11, vcc_lo
	s_delay_alu instid0(VALU_DEP_3) | instskip(SKIP_1) | instid1(VALU_DEP_1)
	v_lshrrev_b32_e32 v55, 16, v54
	s_and_b32 vcc_lo, exec_lo, s0
	v_add_f16_e32 v54, v54, v55
	v_mov_b32_e32 v55, 0
	s_delay_alu instid0(VALU_DEP_2)
	v_add_f16_e32 v56, v54, v56
	v_mov_b32_e32 v54, 0
	global_store_b16 v[57:58], v56, off
	s_cbranch_vccnz .LBB245_63
; %bb.62:
	v_add_co_u32 v55, vcc_lo, v24, v4
	v_add_co_ci_u32_e32 v56, vcc_lo, v60, v5, vcc_lo
	flat_load_u16 v55, v[55:56]
	s_waitcnt vmcnt(0) lgkmcnt(0)
	v_mul_f16_e32 v55, s15, v55
.LBB245_63:
	v_pk_min_f16 v56, v63, v62
	v_pk_min_f16 v57, v65, v0
	s_delay_alu instid0(VALU_DEP_2) | instskip(NEXT) | instid1(VALU_DEP_1)
	v_pk_add_f16 v53, v56, v53
	v_pk_add_f16 v53, v57, v53
	s_delay_alu instid0(VALU_DEP_1) | instskip(NEXT) | instid1(VALU_DEP_1)
	v_lshrrev_b32_e32 v56, 16, v53
	v_add_f16_e32 v53, v53, v56
	s_delay_alu instid0(VALU_DEP_1)
	v_add_f16_e32 v53, v53, v55
	v_add_co_u32 v55, vcc_lo, v1, v4
	v_add_co_ci_u32_e32 v56, vcc_lo, v59, v5, vcc_lo
	s_and_b32 vcc_lo, exec_lo, s0
	global_store_b16 v[55:56], v53, off
	s_cbranch_vccnz .LBB245_65
; %bb.64:
	v_add_co_u32 v53, vcc_lo, v24, v6
	v_add_co_ci_u32_e32 v54, vcc_lo, v60, v7, vcc_lo
	flat_load_u16 v24, v[53:54]
	s_waitcnt vmcnt(0) lgkmcnt(0)
	v_mul_f16_e32 v54, s15, v24
.LBB245_65:
	v_pk_min_f16 v24, v22, v62
	v_pk_min_f16 v0, v23, v0
	v_add_nc_u32_e32 v55, 64, v25
	v_add_co_u32 v58, vcc_lo, v1, v6
	s_delay_alu instid0(VALU_DEP_4) | instskip(SKIP_2) | instid1(VALU_DEP_3)
	v_pk_add_f16 v24, v24, v48
	v_add_co_ci_u32_e32 v59, vcc_lo, v59, v7, vcc_lo
	v_mov_b32_e32 v53, 0
	v_pk_add_f16 v0, v0, v24
	s_delay_alu instid0(VALU_DEP_1) | instskip(NEXT) | instid1(VALU_DEP_1)
	v_lshrrev_b32_e32 v24, 16, v0
	v_add_f16_e32 v0, v0, v24
	s_delay_alu instid0(VALU_DEP_1) | instskip(SKIP_4) | instid1(VALU_DEP_1)
	v_add_f16_e32 v0, v0, v54
	v_mov_b32_e32 v54, 0
	v_mad_i64_i32 v[56:57], null, v55, s8, 0
	global_store_b16 v[58:59], v0, off
	v_lshlrev_b64 v[56:57], 1, v[56:57]
	v_add_co_u32 v1, vcc_lo, s4, v56
	s_delay_alu instid0(VALU_DEP_2)
	v_add_co_ci_u32_e32 v24, vcc_lo, s5, v57, vcc_lo
	s_and_b32 vcc_lo, exec_lo, s0
	s_cbranch_vccnz .LBB245_67
; %bb.66:
	s_delay_alu instid0(VALU_DEP_2) | instskip(NEXT) | instid1(VALU_DEP_2)
	v_add_co_u32 v56, vcc_lo, v1, v16
	v_add_co_ci_u32_e32 v57, vcc_lo, v24, v17, vcc_lo
	flat_load_u16 v0, v[56:57]
	s_waitcnt vmcnt(0) lgkmcnt(0)
	v_mul_f16_e32 v54, s15, v0
.LBB245_67:
	v_pk_max_f16 v48, v2, v2
	v_pk_max_f16 v0, v3, v3
	s_delay_alu instid0(VALU_DEP_2) | instskip(NEXT) | instid1(VALU_DEP_2)
	v_pk_min_f16 v2, v26, v48
	v_pk_min_f16 v56, v27, v0
	s_delay_alu instid0(VALU_DEP_2) | instskip(SKIP_1) | instid1(VALU_DEP_2)
	v_pk_add_f16 v47, v2, v47
	v_mad_i64_i32 v[2:3], null, v55, s3, 0
	v_pk_add_f16 v47, v56, v47
	s_delay_alu instid0(VALU_DEP_2) | instskip(NEXT) | instid1(VALU_DEP_2)
	v_lshlrev_b64 v[2:3], 1, v[2:3]
	v_lshrrev_b32_e32 v55, 16, v47
	s_delay_alu instid0(VALU_DEP_2) | instskip(NEXT) | instid1(VALU_DEP_2)
	v_add_co_u32 v2, vcc_lo, s1, v2
	v_add_f16_e32 v47, v47, v55
	s_delay_alu instid0(VALU_DEP_4) | instskip(NEXT) | instid1(VALU_DEP_2)
	v_add_co_ci_u32_e32 v3, vcc_lo, s6, v3, vcc_lo
	v_add_f16_e32 v47, v47, v54
	s_delay_alu instid0(VALU_DEP_4) | instskip(NEXT) | instid1(VALU_DEP_3)
	v_add_co_u32 v54, vcc_lo, v2, v16
	v_add_co_ci_u32_e32 v55, vcc_lo, v3, v17, vcc_lo
	s_and_b32 vcc_lo, exec_lo, s0
	global_store_b16 v[54:55], v47, off
	s_cbranch_vccnz .LBB245_69
; %bb.68:
	v_add_co_u32 v53, vcc_lo, v1, v20
	v_add_co_ci_u32_e32 v54, vcc_lo, v24, v21, vcc_lo
	flat_load_u16 v47, v[53:54]
	s_waitcnt vmcnt(0) lgkmcnt(0)
	v_mul_f16_e32 v53, s15, v47
.LBB245_69:
	v_pk_min_f16 v47, v28, v48
	v_pk_min_f16 v54, v29, v0
	s_delay_alu instid0(VALU_DEP_2) | instskip(NEXT) | instid1(VALU_DEP_1)
	v_pk_add_f16 v46, v47, v46
	v_pk_add_f16 v46, v54, v46
	v_add_co_u32 v54, vcc_lo, v2, v20
	v_add_co_ci_u32_e32 v55, vcc_lo, v3, v21, vcc_lo
	s_delay_alu instid0(VALU_DEP_3) | instskip(SKIP_1) | instid1(VALU_DEP_1)
	v_lshrrev_b32_e32 v47, 16, v46
	s_and_b32 vcc_lo, exec_lo, s0
	v_add_f16_e32 v46, v46, v47
	v_mov_b32_e32 v47, 0
	s_delay_alu instid0(VALU_DEP_2)
	v_add_f16_e32 v53, v46, v53
	v_mov_b32_e32 v46, 0
	global_store_b16 v[54:55], v53, off
	s_cbranch_vccnz .LBB245_71
; %bb.70:
	v_add_co_u32 v53, vcc_lo, v1, v12
	v_add_co_ci_u32_e32 v54, vcc_lo, v24, v13, vcc_lo
	flat_load_u16 v47, v[53:54]
	s_waitcnt vmcnt(0) lgkmcnt(0)
	v_mul_f16_e32 v47, s15, v47
.LBB245_71:
	v_pk_min_f16 v53, v30, v48
	v_pk_min_f16 v54, v31, v0
	s_delay_alu instid0(VALU_DEP_2) | instskip(NEXT) | instid1(VALU_DEP_1)
	v_pk_add_f16 v45, v53, v45
	v_pk_add_f16 v45, v54, v45
	s_delay_alu instid0(VALU_DEP_1) | instskip(NEXT) | instid1(VALU_DEP_1)
	v_lshrrev_b32_e32 v53, 16, v45
	v_add_f16_e32 v45, v45, v53
	v_add_co_u32 v53, vcc_lo, v2, v12
	v_add_co_ci_u32_e32 v54, vcc_lo, v3, v13, vcc_lo
	s_delay_alu instid0(VALU_DEP_3)
	v_add_f16_e32 v45, v45, v47
	s_and_b32 vcc_lo, exec_lo, s0
	global_store_b16 v[53:54], v45, off
	s_cbranch_vccnz .LBB245_73
; %bb.72:
	v_add_co_u32 v45, vcc_lo, v1, v14
	v_add_co_ci_u32_e32 v46, vcc_lo, v24, v15, vcc_lo
	flat_load_u16 v45, v[45:46]
	s_waitcnt vmcnt(0) lgkmcnt(0)
	v_mul_f16_e32 v46, s15, v45
.LBB245_73:
	v_pk_min_f16 v45, v49, v48
	v_pk_min_f16 v47, v50, v0
	v_add_co_u32 v53, vcc_lo, v2, v14
	v_add_co_ci_u32_e32 v54, vcc_lo, v3, v15, vcc_lo
	s_delay_alu instid0(VALU_DEP_4) | instskip(SKIP_1) | instid1(VALU_DEP_1)
	v_pk_add_f16 v44, v45, v44
	s_and_b32 vcc_lo, exec_lo, s0
	v_pk_add_f16 v44, v47, v44
	s_delay_alu instid0(VALU_DEP_1) | instskip(NEXT) | instid1(VALU_DEP_1)
	v_lshrrev_b32_e32 v45, 16, v44
	v_add_f16_e32 v44, v44, v45
	v_mov_b32_e32 v45, 0
	s_delay_alu instid0(VALU_DEP_2)
	v_add_f16_e32 v46, v44, v46
	v_mov_b32_e32 v44, 0
	global_store_b16 v[53:54], v46, off
	s_cbranch_vccnz .LBB245_75
; %bb.74:
	v_add_co_u32 v45, vcc_lo, v1, v8
	v_add_co_ci_u32_e32 v46, vcc_lo, v24, v9, vcc_lo
	flat_load_u16 v45, v[45:46]
	s_waitcnt vmcnt(0) lgkmcnt(0)
	v_mul_f16_e32 v45, s15, v45
.LBB245_75:
	v_pk_min_f16 v46, v51, v48
	v_pk_min_f16 v47, v52, v0
	s_delay_alu instid0(VALU_DEP_2) | instskip(NEXT) | instid1(VALU_DEP_1)
	v_pk_add_f16 v43, v46, v43
	v_pk_add_f16 v43, v47, v43
	s_delay_alu instid0(VALU_DEP_1) | instskip(NEXT) | instid1(VALU_DEP_1)
	v_lshrrev_b32_e32 v46, 16, v43
	v_add_f16_e32 v43, v43, v46
	s_delay_alu instid0(VALU_DEP_1)
	v_add_f16_e32 v43, v43, v45
	v_add_co_u32 v45, vcc_lo, v2, v8
	v_add_co_ci_u32_e32 v46, vcc_lo, v3, v9, vcc_lo
	s_and_b32 vcc_lo, exec_lo, s0
	global_store_b16 v[45:46], v43, off
	s_cbranch_vccnz .LBB245_77
; %bb.76:
	v_add_co_u32 v43, vcc_lo, v1, v10
	v_add_co_ci_u32_e32 v44, vcc_lo, v24, v11, vcc_lo
	flat_load_u16 v43, v[43:44]
	s_waitcnt vmcnt(0) lgkmcnt(0)
	v_mul_f16_e32 v44, s15, v43
.LBB245_77:
	v_pk_min_f16 v43, v61, v48
	v_pk_min_f16 v45, v64, v0
	s_delay_alu instid0(VALU_DEP_2) | instskip(NEXT) | instid1(VALU_DEP_1)
	v_pk_add_f16 v42, v43, v42
	v_pk_add_f16 v42, v45, v42
	v_add_co_u32 v45, vcc_lo, v2, v10
	v_add_co_ci_u32_e32 v46, vcc_lo, v3, v11, vcc_lo
	s_delay_alu instid0(VALU_DEP_3) | instskip(SKIP_1) | instid1(VALU_DEP_1)
	v_lshrrev_b32_e32 v43, 16, v42
	s_and_b32 vcc_lo, exec_lo, s0
	v_add_f16_e32 v42, v42, v43
	v_mov_b32_e32 v43, 0
	s_delay_alu instid0(VALU_DEP_2)
	v_add_f16_e32 v44, v42, v44
	v_mov_b32_e32 v42, 0
	global_store_b16 v[45:46], v44, off
	s_cbranch_vccnz .LBB245_79
; %bb.78:
	v_add_co_u32 v43, vcc_lo, v1, v4
	v_add_co_ci_u32_e32 v44, vcc_lo, v24, v5, vcc_lo
	flat_load_u16 v43, v[43:44]
	s_waitcnt vmcnt(0) lgkmcnt(0)
	v_mul_f16_e32 v43, s15, v43
.LBB245_79:
	v_pk_min_f16 v44, v63, v48
	v_pk_min_f16 v45, v65, v0
	s_delay_alu instid0(VALU_DEP_2) | instskip(NEXT) | instid1(VALU_DEP_1)
	v_pk_add_f16 v41, v44, v41
	v_pk_add_f16 v41, v45, v41
	s_delay_alu instid0(VALU_DEP_1) | instskip(NEXT) | instid1(VALU_DEP_1)
	v_lshrrev_b32_e32 v44, 16, v41
	v_add_f16_e32 v41, v41, v44
	s_delay_alu instid0(VALU_DEP_1)
	v_add_f16_e32 v41, v41, v43
	v_add_co_u32 v43, vcc_lo, v2, v4
	v_add_co_ci_u32_e32 v44, vcc_lo, v3, v5, vcc_lo
	s_and_b32 vcc_lo, exec_lo, s0
	global_store_b16 v[43:44], v41, off
	s_cbranch_vccnz .LBB245_81
; %bb.80:
	v_add_co_u32 v41, vcc_lo, v1, v6
	v_add_co_ci_u32_e32 v42, vcc_lo, v24, v7, vcc_lo
	flat_load_u16 v1, v[41:42]
	s_waitcnt vmcnt(0) lgkmcnt(0)
	v_mul_f16_e32 v42, s15, v1
.LBB245_81:
	v_pk_min_f16 v1, v22, v48
	v_pk_min_f16 v24, v23, v0
	v_add_nc_u32_e32 v25, 0x60, v25
	v_add_co_u32 v2, vcc_lo, v2, v6
	s_delay_alu instid0(VALU_DEP_4) | instskip(SKIP_1) | instid1(VALU_DEP_2)
	v_pk_add_f16 v40, v1, v40
	v_add_co_ci_u32_e32 v3, vcc_lo, v3, v7, vcc_lo
	v_pk_add_f16 v24, v24, v40
	s_delay_alu instid0(VALU_DEP_1) | instskip(NEXT) | instid1(VALU_DEP_1)
	v_lshrrev_b32_e32 v40, 16, v24
	v_add_f16_e32 v24, v24, v40
	v_mov_b32_e32 v40, 0
	s_delay_alu instid0(VALU_DEP_2) | instskip(SKIP_4) | instid1(VALU_DEP_1)
	v_add_f16_e32 v41, v24, v42
	v_mov_b32_e32 v24, 0
	v_mad_i64_i32 v[0:1], null, v25, s8, 0
	global_store_b16 v[2:3], v41, off
	v_lshlrev_b64 v[0:1], 1, v[0:1]
	v_add_co_u32 v0, vcc_lo, s4, v0
	s_delay_alu instid0(VALU_DEP_2)
	v_add_co_ci_u32_e32 v1, vcc_lo, s5, v1, vcc_lo
	s_and_b32 vcc_lo, exec_lo, s0
	s_cbranch_vccnz .LBB245_83
; %bb.82:
	s_delay_alu instid0(VALU_DEP_2) | instskip(NEXT) | instid1(VALU_DEP_2)
	v_add_co_u32 v2, vcc_lo, v0, v16
	v_add_co_ci_u32_e32 v3, vcc_lo, v1, v17, vcc_lo
	flat_load_u16 v2, v[2:3]
	s_waitcnt vmcnt(0) lgkmcnt(0)
	v_mul_f16_e32 v40, s15, v2
.LBB245_83:
	v_pk_max_f16 v2, v18, v18
	v_pk_max_f16 v3, v19, v19
	s_delay_alu instid0(VALU_DEP_2) | instskip(NEXT) | instid1(VALU_DEP_2)
	v_pk_min_f16 v18, v26, v2
	v_pk_min_f16 v26, v27, v3
	s_delay_alu instid0(VALU_DEP_2) | instskip(SKIP_1) | instid1(VALU_DEP_2)
	v_pk_add_f16 v27, v18, v39
	v_mad_i64_i32 v[18:19], null, v25, s3, 0
	v_pk_add_f16 v25, v26, v27
	s_delay_alu instid0(VALU_DEP_2) | instskip(NEXT) | instid1(VALU_DEP_2)
	v_lshlrev_b64 v[18:19], 1, v[18:19]
	v_lshrrev_b32_e32 v26, 16, v25
	s_delay_alu instid0(VALU_DEP_2) | instskip(NEXT) | instid1(VALU_DEP_2)
	v_add_co_u32 v18, vcc_lo, s1, v18
	v_add_f16_e32 v25, v25, v26
	s_delay_alu instid0(VALU_DEP_4) | instskip(NEXT) | instid1(VALU_DEP_3)
	v_add_co_ci_u32_e32 v19, vcc_lo, s6, v19, vcc_lo
	v_add_co_u32 v16, vcc_lo, v18, v16
	s_delay_alu instid0(VALU_DEP_3) | instskip(NEXT) | instid1(VALU_DEP_3)
	v_add_f16_e32 v25, v25, v40
	v_add_co_ci_u32_e32 v17, vcc_lo, v19, v17, vcc_lo
	s_and_b32 vcc_lo, exec_lo, s0
	global_store_b16 v[16:17], v25, off
	s_cbranch_vccnz .LBB245_85
; %bb.84:
	v_add_co_u32 v16, vcc_lo, v0, v20
	v_add_co_ci_u32_e32 v17, vcc_lo, v1, v21, vcc_lo
	flat_load_u16 v16, v[16:17]
	s_waitcnt vmcnt(0) lgkmcnt(0)
	v_mul_f16_e32 v24, s15, v16
.LBB245_85:
	v_pk_min_f16 v16, v28, v2
	v_pk_min_f16 v17, v29, v3
	v_add_co_u32 v20, vcc_lo, v18, v20
	v_add_co_ci_u32_e32 v21, vcc_lo, v19, v21, vcc_lo
	s_delay_alu instid0(VALU_DEP_4) | instskip(SKIP_1) | instid1(VALU_DEP_1)
	v_pk_add_f16 v16, v16, v38
	s_and_b32 vcc_lo, exec_lo, s0
	v_pk_add_f16 v16, v17, v16
	s_delay_alu instid0(VALU_DEP_1) | instskip(NEXT) | instid1(VALU_DEP_1)
	v_lshrrev_b32_e32 v17, 16, v16
	v_add_f16_e32 v16, v16, v17
	v_mov_b32_e32 v17, 0
	s_delay_alu instid0(VALU_DEP_2)
	v_add_f16_e32 v24, v16, v24
	v_mov_b32_e32 v16, 0
	global_store_b16 v[20:21], v24, off
	s_cbranch_vccnz .LBB245_87
; %bb.86:
	v_add_co_u32 v20, vcc_lo, v0, v12
	v_add_co_ci_u32_e32 v21, vcc_lo, v1, v13, vcc_lo
	flat_load_u16 v17, v[20:21]
	s_waitcnt vmcnt(0) lgkmcnt(0)
	v_mul_f16_e32 v17, s15, v17
.LBB245_87:
	v_pk_min_f16 v20, v30, v2
	v_pk_min_f16 v21, v31, v3
	v_add_co_u32 v12, vcc_lo, v18, v12
	v_add_co_ci_u32_e32 v13, vcc_lo, v19, v13, vcc_lo
	s_delay_alu instid0(VALU_DEP_4) | instskip(SKIP_1) | instid1(VALU_DEP_1)
	v_pk_add_f16 v20, v20, v37
	s_and_b32 vcc_lo, exec_lo, s0
	v_pk_add_f16 v20, v21, v20
	s_delay_alu instid0(VALU_DEP_1) | instskip(NEXT) | instid1(VALU_DEP_1)
	v_lshrrev_b32_e32 v21, 16, v20
	v_add_f16_e32 v20, v20, v21
	s_delay_alu instid0(VALU_DEP_1)
	v_add_f16_e32 v17, v20, v17
	global_store_b16 v[12:13], v17, off
	s_cbranch_vccnz .LBB245_89
; %bb.88:
	v_add_co_u32 v12, vcc_lo, v0, v14
	v_add_co_ci_u32_e32 v13, vcc_lo, v1, v15, vcc_lo
	flat_load_u16 v12, v[12:13]
	s_waitcnt vmcnt(0) lgkmcnt(0)
	v_mul_f16_e32 v16, s15, v12
.LBB245_89:
	v_pk_min_f16 v12, v49, v2
	v_pk_min_f16 v13, v50, v3
	v_add_co_u32 v14, vcc_lo, v18, v14
	v_add_co_ci_u32_e32 v15, vcc_lo, v19, v15, vcc_lo
	s_delay_alu instid0(VALU_DEP_4) | instskip(SKIP_1) | instid1(VALU_DEP_1)
	v_pk_add_f16 v12, v12, v36
	s_and_b32 vcc_lo, exec_lo, s0
	v_pk_add_f16 v12, v13, v12
	s_delay_alu instid0(VALU_DEP_1) | instskip(NEXT) | instid1(VALU_DEP_1)
	v_lshrrev_b32_e32 v13, 16, v12
	v_add_f16_e32 v12, v12, v13
	v_mov_b32_e32 v13, 0
	s_delay_alu instid0(VALU_DEP_2)
	v_add_f16_e32 v16, v12, v16
	v_mov_b32_e32 v12, 0
	global_store_b16 v[14:15], v16, off
	s_cbranch_vccnz .LBB245_91
; %bb.90:
	v_add_co_u32 v13, vcc_lo, v0, v8
	v_add_co_ci_u32_e32 v14, vcc_lo, v1, v9, vcc_lo
	flat_load_u16 v13, v[13:14]
	s_waitcnt vmcnt(0) lgkmcnt(0)
	v_mul_f16_e32 v13, s15, v13
.LBB245_91:
	v_pk_min_f16 v14, v51, v2
	v_pk_min_f16 v15, v52, v3
	v_add_co_u32 v8, vcc_lo, v18, v8
	v_add_co_ci_u32_e32 v9, vcc_lo, v19, v9, vcc_lo
	s_delay_alu instid0(VALU_DEP_4) | instskip(SKIP_1) | instid1(VALU_DEP_1)
	v_pk_add_f16 v14, v14, v34
	s_and_b32 vcc_lo, exec_lo, s0
	v_pk_add_f16 v14, v15, v14
	s_delay_alu instid0(VALU_DEP_1) | instskip(NEXT) | instid1(VALU_DEP_1)
	v_lshrrev_b32_e32 v15, 16, v14
	v_add_f16_e32 v14, v14, v15
	s_delay_alu instid0(VALU_DEP_1)
	v_add_f16_e32 v13, v14, v13
	global_store_b16 v[8:9], v13, off
	s_cbranch_vccnz .LBB245_93
; %bb.92:
	v_add_co_u32 v8, vcc_lo, v0, v10
	v_add_co_ci_u32_e32 v9, vcc_lo, v1, v11, vcc_lo
	flat_load_u16 v8, v[8:9]
	s_waitcnt vmcnt(0) lgkmcnt(0)
	v_mul_f16_e32 v12, s15, v8
.LBB245_93:
	v_pk_min_f16 v8, v61, v2
	v_pk_min_f16 v9, v64, v3
	;; [unrolled: 1-line block ×3, first 2 shown]
	s_delay_alu instid0(VALU_DEP_3) | instskip(NEXT) | instid1(VALU_DEP_2)
	v_pk_add_f16 v8, v8, v33
	v_pk_add_f16 v13, v13, v35
	s_delay_alu instid0(VALU_DEP_2) | instskip(SKIP_1) | instid1(VALU_DEP_2)
	v_pk_add_f16 v8, v9, v8
	v_pk_min_f16 v9, v65, v3
	v_lshrrev_b32_e32 v14, 16, v8
	s_delay_alu instid0(VALU_DEP_2) | instskip(SKIP_2) | instid1(VALU_DEP_4)
	v_pk_add_f16 v13, v9, v13
	v_add_co_u32 v9, vcc_lo, v18, v10
	v_add_co_ci_u32_e32 v10, vcc_lo, v19, v11, vcc_lo
	v_add_f16_e32 v8, v8, v14
	s_delay_alu instid0(VALU_DEP_4) | instskip(SKIP_1) | instid1(VALU_DEP_2)
	v_lshrrev_b32_e32 v11, 16, v13
	s_mov_b32 vcc_lo, s2
	v_add_f16_e32 v12, v8, v12
	s_delay_alu instid0(VALU_DEP_2)
	v_add_f16_e32 v8, v13, v11
	global_store_b16 v[9:10], v12, off
	s_cbranch_vccz .LBB245_96
; %bb.94:
	v_add_co_u32 v9, vcc_lo, v18, v4
	v_add_f16_e32 v11, 0, v8
	v_add_co_ci_u32_e32 v10, vcc_lo, v19, v5, vcc_lo
	s_mov_b32 s0, 0
	global_store_b16 v[9:10], v11, off
	s_cbranch_execz .LBB245_97
; %bb.95:
	v_mov_b32_e32 v0, s0
	s_branch .LBB245_98
.LBB245_96:
	s_mov_b32 s0, -1
.LBB245_97:
	v_add_co_u32 v9, vcc_lo, v0, v4
	v_add_co_ci_u32_e32 v10, vcc_lo, v1, v5, vcc_lo
	v_add_co_u32 v4, vcc_lo, v18, v4
	v_add_co_ci_u32_e32 v5, vcc_lo, v19, v5, vcc_lo
	flat_load_u16 v9, v[9:10]
	v_add_co_u32 v0, vcc_lo, v0, v6
	v_add_co_ci_u32_e32 v1, vcc_lo, v1, v7, vcc_lo
	s_waitcnt vmcnt(0) lgkmcnt(0)
	v_fmac_f16_e32 v8, s15, v9
	global_store_b16 v[4:5], v8, off
	flat_load_u16 v0, v[0:1]
	s_waitcnt vmcnt(0) lgkmcnt(0)
	v_mul_f16_e32 v0, s15, v0
.LBB245_98:
	v_pk_min_f16 v1, v22, v2
	v_pk_min_f16 v2, v23, v3
	s_delay_alu instid0(VALU_DEP_2) | instskip(NEXT) | instid1(VALU_DEP_1)
	v_pk_add_f16 v1, v1, v32
	v_pk_add_f16 v1, v2, v1
	s_delay_alu instid0(VALU_DEP_1) | instskip(NEXT) | instid1(VALU_DEP_1)
	v_lshrrev_b32_e32 v2, 16, v1
	v_add_f16_e32 v1, v1, v2
	s_delay_alu instid0(VALU_DEP_1)
	v_add_f16_e32 v2, v1, v0
	v_add_co_u32 v0, vcc_lo, v18, v6
	v_add_co_ci_u32_e32 v1, vcc_lo, v19, v7, vcc_lo
	global_store_b16 v[0:1], v2, off
	s_nop 0
	s_sendmsg sendmsg(MSG_DEALLOC_VGPRS)
	s_endpgm
	.section	.rodata,"a",@progbits
	.p2align	6, 0x0
	.amdhsa_kernel _ZN12_GLOBAL__N_120geam_min_plus_kernelIDF16_Dv2_DF16_S1_Li8ELi32ELi64ELi128ELi4ELi64ELi4ELi64ELi4ELc78ELc84ELb0ELb0ELb0EDF16_KPKDF16_KPDF16_EEviiiT16_PT17_ilS9_ilS7_S9_ilPT18_ili26rocblas_geam_ex_operation_
		.amdhsa_group_segment_fixed_size 3072
		.amdhsa_private_segment_fixed_size 0
		.amdhsa_kernarg_size 128
		.amdhsa_user_sgpr_count 14
		.amdhsa_user_sgpr_dispatch_ptr 0
		.amdhsa_user_sgpr_queue_ptr 0
		.amdhsa_user_sgpr_kernarg_segment_ptr 1
		.amdhsa_user_sgpr_dispatch_id 0
		.amdhsa_user_sgpr_private_segment_size 0
		.amdhsa_wavefront_size32 1
		.amdhsa_uses_dynamic_stack 0
		.amdhsa_enable_private_segment 0
		.amdhsa_system_sgpr_workgroup_id_x 1
		.amdhsa_system_sgpr_workgroup_id_y 0
		.amdhsa_system_sgpr_workgroup_id_z 1
		.amdhsa_system_sgpr_workgroup_info 0
		.amdhsa_system_vgpr_workitem_id 1
		.amdhsa_next_free_vgpr 124
		.amdhsa_next_free_sgpr 24
		.amdhsa_reserve_vcc 1
		.amdhsa_float_round_mode_32 0
		.amdhsa_float_round_mode_16_64 0
		.amdhsa_float_denorm_mode_32 3
		.amdhsa_float_denorm_mode_16_64 3
		.amdhsa_dx10_clamp 1
		.amdhsa_ieee_mode 1
		.amdhsa_fp16_overflow 0
		.amdhsa_workgroup_processor_mode 1
		.amdhsa_memory_ordered 1
		.amdhsa_forward_progress 0
		.amdhsa_shared_vgpr_count 0
		.amdhsa_exception_fp_ieee_invalid_op 0
		.amdhsa_exception_fp_denorm_src 0
		.amdhsa_exception_fp_ieee_div_zero 0
		.amdhsa_exception_fp_ieee_overflow 0
		.amdhsa_exception_fp_ieee_underflow 0
		.amdhsa_exception_fp_ieee_inexact 0
		.amdhsa_exception_int_div_zero 0
	.end_amdhsa_kernel
	.section	.text._ZN12_GLOBAL__N_120geam_min_plus_kernelIDF16_Dv2_DF16_S1_Li8ELi32ELi64ELi128ELi4ELi64ELi4ELi64ELi4ELc78ELc84ELb0ELb0ELb0EDF16_KPKDF16_KPDF16_EEviiiT16_PT17_ilS9_ilS7_S9_ilPT18_ili26rocblas_geam_ex_operation_,"axG",@progbits,_ZN12_GLOBAL__N_120geam_min_plus_kernelIDF16_Dv2_DF16_S1_Li8ELi32ELi64ELi128ELi4ELi64ELi4ELi64ELi4ELc78ELc84ELb0ELb0ELb0EDF16_KPKDF16_KPDF16_EEviiiT16_PT17_ilS9_ilS7_S9_ilPT18_ili26rocblas_geam_ex_operation_,comdat
.Lfunc_end245:
	.size	_ZN12_GLOBAL__N_120geam_min_plus_kernelIDF16_Dv2_DF16_S1_Li8ELi32ELi64ELi128ELi4ELi64ELi4ELi64ELi4ELc78ELc84ELb0ELb0ELb0EDF16_KPKDF16_KPDF16_EEviiiT16_PT17_ilS9_ilS7_S9_ilPT18_ili26rocblas_geam_ex_operation_, .Lfunc_end245-_ZN12_GLOBAL__N_120geam_min_plus_kernelIDF16_Dv2_DF16_S1_Li8ELi32ELi64ELi128ELi4ELi64ELi4ELi64ELi4ELc78ELc84ELb0ELb0ELb0EDF16_KPKDF16_KPDF16_EEviiiT16_PT17_ilS9_ilS7_S9_ilPT18_ili26rocblas_geam_ex_operation_
                                        ; -- End function
	.section	.AMDGPU.csdata,"",@progbits
; Kernel info:
; codeLenInByte = 10120
; NumSgprs: 26
; NumVgprs: 124
; ScratchSize: 0
; MemoryBound: 0
; FloatMode: 240
; IeeeMode: 1
; LDSByteSize: 3072 bytes/workgroup (compile time only)
; SGPRBlocks: 3
; VGPRBlocks: 15
; NumSGPRsForWavesPerEU: 26
; NumVGPRsForWavesPerEU: 124
; Occupancy: 10
; WaveLimiterHint : 1
; COMPUTE_PGM_RSRC2:SCRATCH_EN: 0
; COMPUTE_PGM_RSRC2:USER_SGPR: 14
; COMPUTE_PGM_RSRC2:TRAP_HANDLER: 0
; COMPUTE_PGM_RSRC2:TGID_X_EN: 1
; COMPUTE_PGM_RSRC2:TGID_Y_EN: 0
; COMPUTE_PGM_RSRC2:TGID_Z_EN: 1
; COMPUTE_PGM_RSRC2:TIDIG_COMP_CNT: 1
	.section	.text._ZN12_GLOBAL__N_120geam_min_plus_kernelIDF16_Dv2_DF16_S1_Li8ELi32ELi64ELi128ELi4ELi64ELi4ELi64ELi4ELc78ELc84ELb0ELb1ELb0EPKDF16_KS3_KPDF16_EEviiiT16_PT17_ilS9_ilS7_S9_ilPT18_ili26rocblas_geam_ex_operation_,"axG",@progbits,_ZN12_GLOBAL__N_120geam_min_plus_kernelIDF16_Dv2_DF16_S1_Li8ELi32ELi64ELi128ELi4ELi64ELi4ELi64ELi4ELc78ELc84ELb0ELb1ELb0EPKDF16_KS3_KPDF16_EEviiiT16_PT17_ilS9_ilS7_S9_ilPT18_ili26rocblas_geam_ex_operation_,comdat
	.globl	_ZN12_GLOBAL__N_120geam_min_plus_kernelIDF16_Dv2_DF16_S1_Li8ELi32ELi64ELi128ELi4ELi64ELi4ELi64ELi4ELc78ELc84ELb0ELb1ELb0EPKDF16_KS3_KPDF16_EEviiiT16_PT17_ilS9_ilS7_S9_ilPT18_ili26rocblas_geam_ex_operation_ ; -- Begin function _ZN12_GLOBAL__N_120geam_min_plus_kernelIDF16_Dv2_DF16_S1_Li8ELi32ELi64ELi128ELi4ELi64ELi4ELi64ELi4ELc78ELc84ELb0ELb1ELb0EPKDF16_KS3_KPDF16_EEviiiT16_PT17_ilS9_ilS7_S9_ilPT18_ili26rocblas_geam_ex_operation_
	.p2align	8
	.type	_ZN12_GLOBAL__N_120geam_min_plus_kernelIDF16_Dv2_DF16_S1_Li8ELi32ELi64ELi128ELi4ELi64ELi4ELi64ELi4ELc78ELc84ELb0ELb1ELb0EPKDF16_KS3_KPDF16_EEviiiT16_PT17_ilS9_ilS7_S9_ilPT18_ili26rocblas_geam_ex_operation_,@function
_ZN12_GLOBAL__N_120geam_min_plus_kernelIDF16_Dv2_DF16_S1_Li8ELi32ELi64ELi128ELi4ELi64ELi4ELi64ELi4ELc78ELc84ELb0ELb1ELb0EPKDF16_KS3_KPDF16_EEviiiT16_PT17_ilS9_ilS7_S9_ilPT18_ili26rocblas_geam_ex_operation_: ; @_ZN12_GLOBAL__N_120geam_min_plus_kernelIDF16_Dv2_DF16_S1_Li8ELi32ELi64ELi128ELi4ELi64ELi4ELi64ELi4ELc78ELc84ELb0ELb1ELb0EPKDF16_KS3_KPDF16_EEviiiT16_PT17_ilS9_ilS7_S9_ilPT18_ili26rocblas_geam_ex_operation_
; %bb.0:
	s_clause 0x1
	s_load_b128 s[16:19], s[0:1], 0x10
	s_load_b128 s[4:7], s[0:1], 0x40
	s_mov_b32 s12, s15
	s_mov_b32 s13, 0
	v_mov_b32_e32 v1, 0
	s_lshl_b64 s[2:3], s[12:13], 1
	s_load_b128 s[8:11], s[0:1], 0x28
	s_mov_b64 s[20:21], 0
	s_mov_b64 s[22:23], 0
	s_waitcnt lgkmcnt(0)
	s_add_u32 s16, s16, s2
	s_addc_u32 s17, s17, s3
	s_add_u32 s2, s6, s2
	global_load_u16 v30, v1, s[16:17]
	s_addc_u32 s3, s7, s3
	global_load_u16 v42, v1, s[2:3]
	s_load_b64 s[16:17], s[0:1], 0x50
	s_waitcnt vmcnt(1)
	v_cmp_eq_f16_e32 vcc_lo, 0, v30
	v_cmp_neq_f16_e64 s3, 0, v30
	s_cbranch_vccnz .LBB246_2
; %bb.1:
	s_lshl_b64 s[6:7], s[12:13], 3
	s_delay_alu instid0(SALU_CYCLE_1)
	s_add_u32 s6, s18, s6
	s_addc_u32 s7, s19, s7
	s_lshl_b64 s[8:9], s[8:9], 1
	s_load_b64 s[6:7], s[6:7], 0x0
	s_waitcnt lgkmcnt(0)
	s_add_u32 s22, s6, s8
	s_addc_u32 s23, s7, s9
.LBB246_2:
	s_delay_alu instid0(VALU_DEP_1)
	s_and_not1_b32 vcc_lo, exec_lo, s3
	s_cbranch_vccnz .LBB246_4
; %bb.3:
	s_lshl_b64 s[6:7], s[12:13], 3
	s_delay_alu instid0(SALU_CYCLE_1)
	s_add_u32 s6, s10, s6
	s_addc_u32 s7, s11, s7
	s_lshl_b64 s[4:5], s[4:5], 1
	s_load_b64 s[6:7], s[6:7], 0x0
	s_waitcnt lgkmcnt(0)
	s_add_u32 s20, s6, s4
	s_addc_u32 s21, s7, s5
.LBB246_4:
	s_load_b128 s[4:7], s[0:1], 0x60
	s_waitcnt vmcnt(0)
	v_cmp_eq_f16_e32 vcc_lo, 0, v42
	v_cmp_neq_f16_e64 s2, 0, v42
	s_cbranch_vccnz .LBB246_6
; %bb.5:
	s_lshl_b64 s[8:9], s[12:13], 3
	s_waitcnt lgkmcnt(0)
	s_add_u32 s8, s16, s8
	s_addc_u32 s9, s17, s9
	s_lshl_b64 s[4:5], s[4:5], 1
	s_load_b64 s[8:9], s[8:9], 0x0
	s_waitcnt lgkmcnt(0)
	s_add_u32 s10, s8, s4
	s_addc_u32 s11, s9, s5
	s_branch .LBB246_7
.LBB246_6:
	s_mov_b64 s[10:11], 0
.LBB246_7:
	s_load_b32 s8, s[0:1], 0x20
	s_waitcnt lgkmcnt(0)
	s_load_b128 s[16:19], s[0:1], 0x0
	s_lshl_b64 s[4:5], s[12:13], 3
	v_and_b32_e32 v31, 0x3ff, v0
	v_bfe_u32 v32, v0, 10, 10
	v_dual_mov_b32 v9, 0 :: v_dual_mov_b32 v8, 0
	s_ashr_i32 s9, s8, 31
	s_add_u32 s6, s6, s4
	s_addc_u32 s7, s7, s5
	s_waitcnt lgkmcnt(0)
	s_add_i32 s4, s16, -1
	s_delay_alu instid0(SALU_CYCLE_1) | instskip(NEXT) | instid1(SALU_CYCLE_1)
	s_ashr_i32 s5, s4, 31
	s_lshr_b32 s5, s5, 26
	s_delay_alu instid0(SALU_CYCLE_1) | instskip(NEXT) | instid1(SALU_CYCLE_1)
	s_add_i32 s4, s4, s5
	s_ashr_i32 s4, s4, 6
	s_delay_alu instid0(SALU_CYCLE_1) | instskip(SKIP_2) | instid1(VALU_DEP_1)
	s_add_i32 s12, s4, 1
	s_not_b32 s4, s4
	v_cvt_f32_u32_e32 v1, s12
	v_rcp_iflag_f32_e32 v1, v1
	s_waitcnt_depctr 0xfff
	v_mul_f32_e32 v1, 0x4f7ffffe, v1
	s_delay_alu instid0(VALU_DEP_1) | instskip(NEXT) | instid1(VALU_DEP_1)
	v_cvt_u32_f32_e32 v1, v1
	v_readfirstlane_b32 s5, v1
	v_lshl_add_u32 v1, v32, 3, v31
	s_delay_alu instid0(VALU_DEP_2) | instskip(NEXT) | instid1(VALU_DEP_1)
	s_mul_i32 s4, s4, s5
	v_and_b32_e32 v7, 63, v1
	s_mul_hi_u32 s4, s5, s4
	v_lshrrev_b32_e32 v33, 6, v1
	s_add_i32 s5, s5, s4
	s_delay_alu instid0(SALU_CYCLE_1) | instskip(NEXT) | instid1(SALU_CYCLE_1)
	s_mul_hi_u32 s4, s14, s5
	s_mul_i32 s5, s4, s12
	s_add_i32 s13, s4, 1
	s_sub_i32 s5, s14, s5
	s_delay_alu instid0(SALU_CYCLE_1)
	s_sub_i32 s15, s5, s12
	s_cmp_ge_u32 s5, s12
	s_cselect_b32 s4, s13, s4
	s_cselect_b32 s5, s15, s5
	s_add_i32 s13, s4, 1
	s_cmp_ge_u32 s5, s12
	s_cselect_b32 s5, s13, s4
	s_delay_alu instid0(SALU_CYCLE_1) | instskip(SKIP_2) | instid1(SALU_CYCLE_1)
	s_mul_i32 s4, s5, s12
	s_load_b64 s[12:13], s[6:7], 0x0
	s_sub_i32 s4, s14, s4
	s_lshl_b32 s14, s4, 6
	v_cmp_gt_i32_e64 s4, s18, v33
	v_or_b32_e32 v0, s14, v7
	s_delay_alu instid0(VALU_DEP_1) | instskip(SKIP_1) | instid1(VALU_DEP_4)
	v_cmp_gt_i32_e32 vcc_lo, s16, v0
	v_ashrrev_i32_e32 v1, 31, v0
	s_and_b32 s4, s4, vcc_lo
	s_delay_alu instid0(SALU_CYCLE_1) | instskip(NEXT) | instid1(SALU_CYCLE_1)
	s_and_b32 s4, s3, s4
	s_and_saveexec_b32 s6, s4
	s_cbranch_execz .LBB246_9
; %bb.8:
	v_mad_i64_i32 v[2:3], null, s8, v33, 0
	v_lshlrev_b64 v[4:5], 1, v[0:1]
	s_delay_alu instid0(VALU_DEP_2) | instskip(NEXT) | instid1(VALU_DEP_1)
	v_lshlrev_b64 v[2:3], 1, v[2:3]
	v_add_co_u32 v2, s4, s22, v2
	s_delay_alu instid0(VALU_DEP_1) | instskip(NEXT) | instid1(VALU_DEP_2)
	v_add_co_ci_u32_e64 v3, s4, s23, v3, s4
	v_add_co_u32 v2, s4, v2, v4
	s_delay_alu instid0(VALU_DEP_1)
	v_add_co_ci_u32_e64 v3, s4, v3, v5, s4
	flat_load_u16 v2, v[2:3]
	s_waitcnt vmcnt(0) lgkmcnt(0)
	v_mul_f16_e32 v9, v30, v2
.LBB246_9:
	s_or_b32 exec_lo, exec_lo, s6
	s_load_b32 s19, s[0:1], 0x38
	s_add_i32 s24, s18, -1
	s_lshl_b32 s15, s5, 7
	v_min_i32_e32 v2, s24, v33
	v_cmp_le_i32_e64 s6, s18, v33
	s_xor_b32 s25, s3, -1
	s_waitcnt lgkmcnt(0)
	s_delay_alu instid0(VALU_DEP_2) | instskip(SKIP_1) | instid1(VALU_DEP_1)
	v_mad_i64_i32 v[3:4], null, s19, v2, 0
	v_or_b32_e32 v2, s15, v7
	v_cmp_le_i32_e64 s4, s17, v2
	s_delay_alu instid0(VALU_DEP_3) | instskip(NEXT) | instid1(VALU_DEP_2)
	v_lshlrev_b64 v[3:4], 1, v[3:4]
	s_or_b32 s7, s6, s4
	s_delay_alu instid0(VALU_DEP_1) | instskip(NEXT) | instid1(VALU_DEP_1)
	v_add_co_u32 v5, s5, s20, v3
	v_add_co_ci_u32_e64 v6, s5, s21, v4, s5
	v_ashrrev_i32_e32 v3, 31, v2
	s_or_b32 s5, s7, s25
	s_delay_alu instid0(SALU_CYCLE_1) | instskip(NEXT) | instid1(SALU_CYCLE_1)
	s_xor_b32 s5, s5, -1
	s_and_saveexec_b32 s7, s5
	s_cbranch_execz .LBB246_11
; %bb.10:
	v_lshlrev_b64 v[10:11], 1, v[2:3]
	s_delay_alu instid0(VALU_DEP_1) | instskip(NEXT) | instid1(VALU_DEP_1)
	v_add_co_u32 v10, s5, v5, v10
	v_add_co_ci_u32_e64 v11, s5, v6, v11, s5
	flat_load_u16 v4, v[10:11]
	s_waitcnt vmcnt(0) lgkmcnt(0)
	v_mul_f16_e32 v8, v30, v4
.LBB246_11:
	s_or_b32 exec_lo, exec_lo, s7
	v_or_b32_e32 v4, 64, v2
	v_mov_b32_e32 v10, 0
	s_delay_alu instid0(VALU_DEP_2) | instskip(SKIP_1) | instid1(VALU_DEP_2)
	v_cmp_le_i32_e64 s5, s17, v4
	v_mov_b32_e32 v4, 0
	s_or_b32 s6, s6, s5
	s_delay_alu instid0(SALU_CYCLE_1) | instskip(NEXT) | instid1(SALU_CYCLE_1)
	s_or_b32 s6, s6, s25
	s_xor_b32 s6, s6, -1
	s_delay_alu instid0(SALU_CYCLE_1)
	s_and_saveexec_b32 s7, s6
	s_cbranch_execz .LBB246_13
; %bb.12:
	v_lshlrev_b64 v[10:11], 1, v[2:3]
	s_delay_alu instid0(VALU_DEP_1) | instskip(NEXT) | instid1(VALU_DEP_1)
	v_add_co_u32 v5, s6, v5, v10
	v_add_co_ci_u32_e64 v6, s6, v6, v11, s6
	flat_load_u16 v5, v[5:6] offset:128
	s_waitcnt vmcnt(0) lgkmcnt(0)
	v_mul_f16_e32 v10, v30, v5
.LBB246_13:
	s_or_b32 exec_lo, exec_lo, s7
	v_add_nc_u32_e32 v5, 4, v33
	s_delay_alu instid0(VALU_DEP_1) | instskip(NEXT) | instid1(VALU_DEP_1)
	v_cmp_gt_i32_e64 s6, s18, v5
	s_and_b32 s6, vcc_lo, s6
	s_delay_alu instid0(SALU_CYCLE_1) | instskip(NEXT) | instid1(SALU_CYCLE_1)
	s_and_b32 s6, s3, s6
	s_and_saveexec_b32 s7, s6
	s_cbranch_execz .LBB246_15
; %bb.14:
	v_mad_u64_u32 v[11:12], null, s8, v5, 0
	s_delay_alu instid0(VALU_DEP_1) | instskip(NEXT) | instid1(VALU_DEP_1)
	v_mov_b32_e32 v4, v12
	v_mad_u64_u32 v[12:13], null, s9, v5, v[4:5]
	v_lshlrev_b64 v[13:14], 1, v[0:1]
	s_delay_alu instid0(VALU_DEP_2) | instskip(NEXT) | instid1(VALU_DEP_1)
	v_lshlrev_b64 v[11:12], 1, v[11:12]
	v_add_co_u32 v4, s6, s22, v11
	s_delay_alu instid0(VALU_DEP_1) | instskip(NEXT) | instid1(VALU_DEP_2)
	v_add_co_ci_u32_e64 v6, s6, s23, v12, s6
	v_add_co_u32 v11, s6, v4, v13
	s_delay_alu instid0(VALU_DEP_1)
	v_add_co_ci_u32_e64 v12, s6, v6, v14, s6
	flat_load_u16 v4, v[11:12]
	s_waitcnt vmcnt(0) lgkmcnt(0)
	v_mul_f16_e32 v4, v30, v4
.LBB246_15:
	s_or_b32 exec_lo, exec_lo, s7
	v_min_i32_e32 v6, s24, v5
	v_cmp_le_i32_e64 s6, s18, v5
	v_mov_b32_e32 v5, 0
	s_delay_alu instid0(VALU_DEP_3) | instskip(SKIP_1) | instid1(VALU_DEP_4)
	v_mad_i64_i32 v[11:12], null, s19, v6, 0
	v_mov_b32_e32 v6, 0
	s_or_b32 s26, s4, s6
	s_delay_alu instid0(VALU_DEP_2) | instskip(NEXT) | instid1(VALU_DEP_1)
	v_lshlrev_b64 v[11:12], 1, v[11:12]
	v_add_co_u32 v11, s7, s20, v11
	s_delay_alu instid0(VALU_DEP_1) | instskip(SKIP_1) | instid1(SALU_CYCLE_1)
	v_add_co_ci_u32_e64 v12, s7, s21, v12, s7
	s_or_b32 s7, s26, s25
	s_xor_b32 s7, s7, -1
	s_delay_alu instid0(SALU_CYCLE_1)
	s_and_saveexec_b32 s26, s7
	s_cbranch_execz .LBB246_17
; %bb.16:
	v_lshlrev_b64 v[13:14], 1, v[2:3]
	s_delay_alu instid0(VALU_DEP_1) | instskip(NEXT) | instid1(VALU_DEP_1)
	v_add_co_u32 v13, s7, v11, v13
	v_add_co_ci_u32_e64 v14, s7, v12, v14, s7
	flat_load_u16 v6, v[13:14]
	s_waitcnt vmcnt(0) lgkmcnt(0)
	v_mul_f16_e32 v6, v30, v6
.LBB246_17:
	s_or_b32 exec_lo, exec_lo, s26
	s_or_b32 s6, s5, s6
	s_delay_alu instid0(SALU_CYCLE_1) | instskip(NEXT) | instid1(SALU_CYCLE_1)
	s_or_b32 s6, s6, s25
	s_xor_b32 s6, s6, -1
	s_delay_alu instid0(SALU_CYCLE_1)
	s_and_saveexec_b32 s7, s6
	s_cbranch_execz .LBB246_19
; %bb.18:
	v_lshlrev_b64 v[13:14], 1, v[2:3]
	s_delay_alu instid0(VALU_DEP_1) | instskip(NEXT) | instid1(VALU_DEP_1)
	v_add_co_u32 v11, s6, v11, v13
	v_add_co_ci_u32_e64 v12, s6, v12, v14, s6
	flat_load_u16 v5, v[11:12] offset:128
	s_waitcnt vmcnt(0) lgkmcnt(0)
	v_mul_f16_e32 v5, v30, v5
.LBB246_19:
	s_or_b32 exec_lo, exec_lo, s7
	v_lshlrev_b32_e32 v11, 1, v33
	v_lshlrev_b32_e32 v35, 3, v31
	;; [unrolled: 1-line block ×3, first 2 shown]
	s_mov_b32 s26, 0
	s_cmp_lt_i32 s18, 9
	v_lshl_add_u32 v36, v7, 3, v11
	v_add_nc_u32_e32 v27, 0x800, v35
	ds_store_b16 v36, v8
	ds_store_b16 v36, v9 offset:2048
	ds_store_b16 v36, v10 offset:512
	s_waitcnt lgkmcnt(0)
	s_barrier
	buffer_gl0_inv
	ds_load_2addr_b64 v[7:10], v34 offset1:32
	ds_load_2addr_b64 v[11:14], v27 offset0:48 offset1:56
	ds_load_2addr_b64 v[15:18], v34 offset0:64 offset1:96
	ds_load_2addr_b64 v[19:22], v27 offset1:8
	ds_load_2addr_b64 v[23:26], v27 offset0:16 offset1:24
	ds_load_2addr_b64 v[37:40], v27 offset0:32 offset1:40
	ds_store_b16 v36, v6 offset:1024
	ds_store_b16 v36, v4 offset:2560
	ds_store_b16 v36, v5 offset:1536
	s_waitcnt lgkmcnt(0)
	s_barrier
	buffer_gl0_inv
	v_pk_max_f16 v9, v9, v9
	v_pk_max_f16 v7, v7, v7
	;; [unrolled: 1-line block ×8, first 2 shown]
	v_pk_min_f16 v49, v23, v9
	v_pk_min_f16 v50, v23, v15
	v_pk_max_f16 v19, v19, v19
	v_pk_max_f16 v21, v21, v21
	v_pk_min_f16 v27, v13, v7
	v_pk_add_f16 v52, v49, 0
	v_pk_min_f16 v49, v25, v7
	v_pk_add_f16 v53, v50, 0
	v_pk_min_f16 v50, v25, v9
	v_pk_min_f16 v51, v25, v15
	v_pk_max_f16 v39, v39, v39
	v_pk_add_f16 v54, v49, 0
	v_pk_min_f16 v49, v37, v7
	v_pk_add_f16 v55, v50, 0
	v_pk_min_f16 v50, v37, v9
	v_pk_max_f16 v11, v11, v11
	v_pk_max_f16 v8, v8, v8
	v_pk_add_f16 v61, v49, 0
	v_pk_min_f16 v49, v37, v15
	v_pk_min_f16 v37, v37, v17
	v_pk_max_f16 v14, v14, v14
	v_pk_min_f16 v28, v13, v9
	v_pk_min_f16 v29, v13, v15
	;; [unrolled: 1-line block ×8, first 2 shown]
	v_pk_add_f16 v27, v27, 0
	v_pk_min_f16 v47, v21, v15
	v_pk_min_f16 v21, v21, v17
	v_pk_min_f16 v48, v23, v7
	v_pk_min_f16 v23, v23, v17
	v_pk_min_f16 v25, v25, v17
	v_pk_add_f16 v60, v51, 0
	v_pk_add_f16 v62, v50, 0
	v_pk_min_f16 v50, v39, v7
	v_pk_min_f16 v51, v39, v9
	v_pk_add_f16 v72, v37, 0
	v_pk_min_f16 v37, v39, v15
	v_pk_min_f16 v39, v39, v17
	;; [unrolled: 1-line block ×6, first 2 shown]
	v_pk_max_f16 v10, v10, v10
	v_pk_min_f16 v13, v13, v17
	v_pk_min_f16 v17, v14, v8
	v_pk_add_f16 v28, v28, 0
	v_pk_add_f16 v75, v37, 0
	v_pk_max_f16 v16, v16, v16
	v_pk_min_f16 v37, v14, v10
	v_pk_max_f16 v20, v20, v20
	v_pk_add_f16 v69, v27, v17
	v_pk_max_f16 v17, v18, v18
	v_pk_add_f16 v41, v41, 0
	v_pk_add_f16 v19, v19, 0
	;; [unrolled: 1-line block ×3, first 2 shown]
	v_pk_min_f16 v18, v20, v8
	v_pk_min_f16 v27, v20, v10
	v_pk_min_f16 v28, v20, v16
	v_pk_min_f16 v20, v20, v17
	v_pk_max_f16 v22, v22, v22
	v_pk_add_f16 v45, v45, 0
	v_pk_add_f16 v46, v46, 0
	v_pk_add_f16 v47, v47, 0
	v_pk_add_f16 v21, v21, 0
	v_pk_add_f16 v73, v50, 0
	v_pk_add_f16 v71, v41, v18
	v_pk_add_f16 v50, v19, v20
	v_pk_min_f16 v18, v22, v8
	v_pk_min_f16 v19, v22, v10
	;; [unrolled: 1-line block ×4, first 2 shown]
	v_pk_max_f16 v24, v24, v24
	v_pk_add_f16 v48, v48, 0
	v_pk_add_f16 v23, v23, 0
	;; [unrolled: 1-line block ×7, first 2 shown]
	v_pk_min_f16 v18, v24, v8
	v_pk_min_f16 v19, v24, v10
	;; [unrolled: 1-line block ×4, first 2 shown]
	v_pk_max_f16 v22, v26, v26
	v_pk_add_f16 v29, v29, 0
	v_pk_add_f16 v25, v25, 0
	;; [unrolled: 1-line block ×3, first 2 shown]
	v_pk_min_f16 v39, v14, v16
	v_pk_add_f16 v41, v48, v18
	v_pk_add_f16 v65, v52, v19
	;; [unrolled: 1-line block ×4, first 2 shown]
	v_pk_min_f16 v18, v22, v8
	v_pk_min_f16 v19, v22, v10
	;; [unrolled: 1-line block ×4, first 2 shown]
	v_pk_max_f16 v22, v38, v38
	v_pk_add_f16 v74, v51, 0
	v_pk_add_f16 v51, v29, v39
	v_pk_add_f16 v39, v54, v18
	v_pk_add_f16 v64, v55, v19
	v_pk_add_f16 v55, v60, v20
	v_pk_add_f16 v47, v25, v21
	v_pk_min_f16 v18, v22, v8
	v_pk_min_f16 v19, v22, v10
	;; [unrolled: 1-line block ×4, first 2 shown]
	v_pk_max_f16 v22, v40, v40
	v_pk_max_f16 v12, v12, v12
	v_pk_add_f16 v43, v43, 0
	v_pk_add_f16 v44, v44, 0
	;; [unrolled: 1-line block ×11, first 2 shown]
	v_pk_min_f16 v18, v22, v8
	v_pk_min_f16 v19, v22, v10
	;; [unrolled: 1-line block ×9, first 2 shown]
	v_pk_add_f16 v68, v43, v27
	v_pk_add_f16 v58, v44, v28
	v_pk_add_f16 v38, v73, v18
	v_pk_add_f16 v62, v74, v19
	v_pk_add_f16 v53, v75, v20
	v_pk_add_f16 v45, v76, v21
	v_pk_add_f16 v40, v7, v8
	v_pk_add_f16 v61, v9, v10
	v_pk_add_f16 v52, v15, v16
	v_pk_add_f16 v44, v11, v12
	v_pk_add_f16 v43, v13, v14
	s_cbranch_scc1 .LBB246_34
; %bb.20:
	v_add_nc_u32_e32 v4, v34, v31
	v_lshlrev_b64 v[0:1], 1, v[0:1]
	v_lshlrev_b64 v[28:29], 1, v[2:3]
	v_or_b32_e32 v60, 0x800, v36
	v_add_nc_u32_e32 v67, 0x800, v35
	v_lshrrev_b32_e32 v4, 6, v4
	v_add_nc_u32_e32 v72, 0xa00, v36
	v_add_co_u32 v75, s6, s22, v0
	v_or_b32_e32 v73, 0x400, v36
	s_delay_alu instid0(VALU_DEP_4) | instskip(SKIP_3) | instid1(VALU_DEP_4)
	v_add_nc_u32_e32 v6, 12, v4
	v_add_nc_u32_e32 v8, 8, v4
	v_lshl_add_u32 v74, v31, 3, 0xa00
	v_add_co_ci_u32_e64 v76, s6, s23, v1, s6
	v_mad_i64_i32 v[4:5], null, v6, s8, 0
	s_delay_alu instid0(VALU_DEP_4) | instskip(SKIP_3) | instid1(VALU_DEP_3)
	v_mad_i64_i32 v[6:7], null, v8, s8, 0
	v_add_nc_u32_e32 v77, 0x400, v34
	s_add_i32 s22, s18, -8
	s_lshl_b64 s[8:9], s[8:9], 4
	v_lshlrev_b64 v[24:25], 1, v[4:5]
	s_delay_alu instid0(VALU_DEP_3)
	v_lshlrev_b64 v[26:27], 1, v[6:7]
	s_branch .LBB246_22
.LBB246_21:                             ;   in Loop: Header=BB246_22 Depth=1
	s_or_b32 exec_lo, exec_lo, s7
	v_pk_add_f16 v22, v50, v22
	v_pk_add_f16 v50, v66, v83
	v_pk_add_f16 v49, v49, v85
	v_pk_add_f16 v48, v48, v88
	v_pk_add_f16 v2, v69, v2
	v_pk_add_f16 v12, v59, v12
	v_pk_add_f16 v16, v51, v16
	v_pk_add_f16 v14, v71, v14
	v_pk_add_f16 v18, v68, v18
	v_pk_add_f16 v20, v58, v20
	v_pk_add_f16 v51, v57, v84
	v_pk_add_f16 v10, v65, v10
	v_pk_add_f16 v4, v39, v4
	v_pk_add_f16 v57, v64, v89
	v_pk_add_f16 v58, v47, v91
	v_pk_add_f16 v59, v37, v92
	v_pk_add_f16 v64, v46, v94
	v_pk_add_f16 v65, v38, v95
	v_pk_add_f16 v68, v45, v98
	v_pk_add_f16 v69, v40, v99
	v_pk_add_f16 v71, v44, v102
	v_pk_add_f16 v81, v43, v107
	v_pk_add_f16 v83, v50, v117
	v_pk_add_f16 v85, v49, v119
	ds_load_2addr_b64 v[37:40], v67 offset0:48 offset1:56
	ds_load_2addr_b64 v[43:46], v34 offset1:32
	v_pk_add_f16 v9, v48, v9
	ds_load_2addr_b64 v[47:50], v34 offset0:64 offset1:96
	v_pk_add_f16 v8, v70, v8
	v_pk_add_f16 v6, v63, v6
	;; [unrolled: 1-line block ×6, first 2 shown]
	ds_load_2addr_b64 v[51:54], v67 offset1:8
	v_pk_add_f16 v62, v62, v96
	v_pk_add_f16 v61, v61, v100
	;; [unrolled: 1-line block ×9, first 2 shown]
	s_waitcnt lgkmcnt(3)
	v_pk_max_f16 v39, v39, v39
	s_waitcnt lgkmcnt(2)
	v_pk_max_f16 v43, v43, v43
	v_pk_max_f16 v45, v45, v45
	s_waitcnt lgkmcnt(1)
	v_pk_max_f16 v47, v47, v47
	v_pk_add_f16 v64, v64, v3
	v_pk_add_f16 v65, v65, v7
	;; [unrolled: 1-line block ×6, first 2 shown]
	v_pk_min_f16 v4, v39, v43
	v_pk_min_f16 v5, v39, v45
	;; [unrolled: 1-line block ×3, first 2 shown]
	ds_load_2addr_b64 v[0:3], v67 offset0:16 offset1:24
	s_waitcnt lgkmcnt(1)
	v_pk_max_f16 v7, v51, v51
	v_pk_max_f16 v49, v49, v49
	v_pk_add_f16 v14, v14, v112
	v_pk_add_f16 v18, v18, v113
	;; [unrolled: 1-line block ×7, first 2 shown]
	v_pk_min_f16 v4, v7, v43
	v_pk_min_f16 v5, v7, v45
	;; [unrolled: 1-line block ×4, first 2 shown]
	v_pk_max_f16 v53, v53, v53
	v_pk_add_f16 v14, v14, v4
	v_pk_add_f16 v18, v18, v5
	;; [unrolled: 1-line block ×4, first 2 shown]
	ds_load_2addr_b64 v[4:7], v67 offset0:32 offset1:40
	v_pk_add_f16 v8, v8, v116
	v_pk_add_f16 v13, v66, v13
	;; [unrolled: 1-line block ×4, first 2 shown]
	v_pk_min_f16 v66, v53, v43
	v_pk_min_f16 v68, v53, v45
	;; [unrolled: 1-line block ×3, first 2 shown]
	s_waitcnt lgkmcnt(1)
	v_pk_max_f16 v0, v0, v0
	v_pk_add_f16 v41, v41, v120
	v_pk_add_f16 v21, v70, v21
	;; [unrolled: 1-line block ×5, first 2 shown]
	v_pk_min_f16 v68, v0, v43
	v_pk_min_f16 v69, v0, v45
	;; [unrolled: 1-line block ×4, first 2 shown]
	v_pk_max_f16 v2, v2, v2
	v_pk_add_f16 v10, v10, v121
	v_pk_add_f16 v57, v57, v103
	;; [unrolled: 1-line block ×4, first 2 shown]
	v_pk_min_f16 v9, v2, v43
	v_pk_min_f16 v68, v2, v45
	s_waitcnt lgkmcnt(0)
	v_pk_max_f16 v4, v4, v4
	v_pk_add_f16 v58, v58, v105
	v_pk_add_f16 v59, v59, v106
	;; [unrolled: 1-line block ×3, first 2 shown]
	v_pk_min_f16 v69, v2, v47
	v_pk_min_f16 v2, v2, v49
	v_pk_add_f16 v9, v23, v9
	v_pk_add_f16 v23, v57, v68
	v_pk_min_f16 v57, v4, v43
	v_pk_max_f16 v6, v6, v6
	v_pk_add_f16 v2, v58, v2
	v_pk_min_f16 v58, v4, v45
	v_pk_max_f16 v37, v37, v37
	v_pk_add_f16 v82, v59, v57
	v_pk_min_f16 v57, v4, v47
	v_pk_min_f16 v59, v6, v45
	v_pk_add_f16 v83, v86, v58
	v_pk_min_f16 v58, v6, v43
	v_pk_min_f16 v43, v37, v43
	v_pk_add_f16 v84, v63, v57
	v_pk_min_f16 v57, v6, v47
	v_pk_min_f16 v6, v6, v49
	v_pk_min_f16 v45, v37, v45
	v_pk_min_f16 v47, v37, v47
	v_pk_max_f16 v40, v40, v40
	v_pk_add_f16 v55, v55, v90
	v_pk_add_f16 v6, v15, v6
	;; [unrolled: 1-line block ×3, first 2 shown]
	v_pk_max_f16 v43, v44, v44
	v_pk_max_f16 v44, v46, v46
	v_pk_add_f16 v17, v19, v45
	v_pk_add_f16 v19, v21, v47
	v_pk_min_f16 v21, v37, v49
	v_pk_min_f16 v37, v39, v49
	v_pk_max_f16 v86, v48, v48
	v_pk_min_f16 v45, v40, v44
	v_pk_add_f16 v56, v56, v87
	v_pk_add_f16 v55, v55, v104
	;; [unrolled: 1-line block ×3, first 2 shown]
	v_pk_min_f16 v39, v40, v43
	v_pk_add_f16 v87, v62, v37
	v_pk_min_f16 v37, v40, v86
	v_pk_max_f16 v46, v52, v52
	v_pk_add_f16 v59, v12, v45
	v_pk_max_f16 v12, v50, v50
	v_pk_add_f16 v55, v55, v69
	v_pk_add_f16 v69, v51, v39
	;; [unrolled: 1-line block ×3, first 2 shown]
	v_pk_min_f16 v16, v46, v43
	v_pk_min_f16 v37, v46, v44
	;; [unrolled: 1-line block ×4, first 2 shown]
	v_pk_max_f16 v46, v54, v54
	v_pk_add_f16 v56, v56, v122
	v_pk_add_f16 v71, v14, v16
	v_pk_max_f16 v1, v1, v1
	v_pk_max_f16 v3, v3, v3
	v_pk_min_f16 v14, v46, v43
	v_pk_min_f16 v16, v46, v44
	v_pk_add_f16 v56, v56, v70
	v_pk_min_f16 v53, v53, v49
	v_pk_min_f16 v4, v4, v49
	v_pk_add_f16 v70, v8, v14
	v_pk_add_f16 v66, v66, v16
	v_pk_min_f16 v8, v1, v43
	v_pk_min_f16 v14, v1, v44
	;; [unrolled: 1-line block ×4, first 2 shown]
	v_pk_max_f16 v5, v5, v5
	v_pk_add_f16 v41, v41, v8
	v_pk_min_f16 v8, v3, v86
	v_pk_add_f16 v53, v85, v53
	v_pk_add_f16 v48, v0, v1
	v_pk_min_f16 v0, v3, v43
	v_pk_min_f16 v1, v3, v44
	;; [unrolled: 1-line block ×3, first 2 shown]
	v_pk_add_f16 v4, v64, v4
	v_pk_add_f16 v85, v65, v58
	;; [unrolled: 1-line block ×6, first 2 shown]
	v_pk_min_f16 v0, v5, v43
	v_pk_min_f16 v1, v5, v44
	v_pk_min_f16 v2, v5, v86
	v_pk_min_f16 v3, v5, v12
	v_pk_max_f16 v5, v7, v7
	v_pk_add_f16 v13, v13, v57
	v_pk_add_f16 v68, v18, v37
	v_pk_min_f16 v18, v46, v86
	v_pk_min_f16 v20, v46, v12
	v_pk_add_f16 v37, v82, v0
	v_pk_add_f16 v63, v83, v1
	;; [unrolled: 1-line block ×4, first 2 shown]
	v_pk_min_f16 v0, v5, v43
	v_pk_min_f16 v1, v5, v44
	v_pk_min_f16 v2, v5, v86
	v_pk_min_f16 v3, v5, v12
	v_pk_max_f16 v4, v38, v38
	v_pk_add_f16 v21, v61, v21
	v_pk_add_f16 v50, v22, v45
	;; [unrolled: 1-line block ×7, first 2 shown]
	v_pk_min_f16 v0, v4, v43
	v_pk_min_f16 v1, v4, v44
	v_pk_min_f16 v2, v4, v86
	v_pk_min_f16 v3, v4, v12
	v_pk_min_f16 v4, v40, v12
	v_add_co_u32 v75, s6, v75, s8
	v_pk_add_f16 v57, v81, v18
	v_pk_add_f16 v65, v10, v14
	;; [unrolled: 1-line block ×9, first 2 shown]
	v_add_co_ci_u32_e64 v76, s6, s9, v76, s6
	s_add_i32 s26, s26, 8
	ds_store_b16 v72, v78
	ds_store_b16 v73, v80
	ds_store_b16 v73, v79 offset:512
	s_cmp_ge_i32 s26, s22
	s_waitcnt lgkmcnt(0)
	s_barrier
	buffer_gl0_inv
	s_cbranch_scc1 .LBB246_34
.LBB246_22:                             ; =>This Inner Loop Header: Depth=1
	v_dual_mov_b32 v80, 0 :: v_dual_add_nc_u32 v79, s26, v33
	s_delay_alu instid0(VALU_DEP_1) | instskip(NEXT) | instid1(VALU_DEP_1)
	v_dual_mov_b32 v81, 0 :: v_dual_add_nc_u32 v0, 8, v79
	v_cmp_gt_i32_e64 s6, s18, v0
	s_delay_alu instid0(VALU_DEP_1) | instskip(NEXT) | instid1(SALU_CYCLE_1)
	s_and_b32 s6, vcc_lo, s6
	s_and_b32 s6, s3, s6
	s_delay_alu instid0(SALU_CYCLE_1)
	s_and_saveexec_b32 s7, s6
	s_cbranch_execz .LBB246_24
; %bb.23:                               ;   in Loop: Header=BB246_22 Depth=1
	v_add_co_u32 v1, s6, v75, v26
	s_delay_alu instid0(VALU_DEP_1)
	v_add_co_ci_u32_e64 v2, s6, v76, v27, s6
	flat_load_u16 v1, v[1:2]
	s_waitcnt vmcnt(0) lgkmcnt(0)
	v_mul_f16_e32 v81, v30, v1
.LBB246_24:                             ;   in Loop: Header=BB246_22 Depth=1
	s_or_b32 exec_lo, exec_lo, s7
	v_min_i32_e32 v3, s24, v0
	v_cmp_le_i32_e64 s6, s18, v0
	s_delay_alu instid0(VALU_DEP_2) | instskip(NEXT) | instid1(VALU_DEP_2)
	v_mad_i64_i32 v[1:2], null, v3, s19, 0
	s_or_b32 s23, s4, s6
	s_delay_alu instid0(VALU_DEP_1) | instskip(NEXT) | instid1(VALU_DEP_1)
	v_lshlrev_b64 v[0:1], 1, v[1:2]
	v_add_co_u32 v0, s7, s20, v0
	s_delay_alu instid0(VALU_DEP_1) | instskip(SKIP_1) | instid1(SALU_CYCLE_1)
	v_add_co_ci_u32_e64 v1, s7, s21, v1, s7
	s_or_b32 s7, s23, s25
	s_xor_b32 s7, s7, -1
	s_delay_alu instid0(SALU_CYCLE_1)
	s_and_saveexec_b32 s23, s7
	s_cbranch_execz .LBB246_26
; %bb.25:                               ;   in Loop: Header=BB246_22 Depth=1
	v_add_co_u32 v2, s7, v0, v28
	s_delay_alu instid0(VALU_DEP_1)
	v_add_co_ci_u32_e64 v3, s7, v1, v29, s7
	flat_load_u16 v2, v[2:3]
	s_waitcnt vmcnt(0) lgkmcnt(0)
	v_mul_f16_e32 v80, v30, v2
.LBB246_26:                             ;   in Loop: Header=BB246_22 Depth=1
	s_or_b32 exec_lo, exec_lo, s23
	s_or_b32 s6, s5, s6
	v_mov_b32_e32 v78, 0
	v_mov_b32_e32 v82, 0
	s_or_b32 s6, s6, s25
	s_delay_alu instid0(SALU_CYCLE_1) | instskip(NEXT) | instid1(SALU_CYCLE_1)
	s_xor_b32 s6, s6, -1
	s_and_saveexec_b32 s7, s6
	s_cbranch_execz .LBB246_28
; %bb.27:                               ;   in Loop: Header=BB246_22 Depth=1
	v_add_co_u32 v0, s6, v0, v28
	s_delay_alu instid0(VALU_DEP_1)
	v_add_co_ci_u32_e64 v1, s6, v1, v29, s6
	flat_load_u16 v0, v[0:1] offset:128
	s_waitcnt vmcnt(0) lgkmcnt(0)
	v_mul_f16_e32 v82, v30, v0
.LBB246_28:                             ;   in Loop: Header=BB246_22 Depth=1
	s_or_b32 exec_lo, exec_lo, s7
	ds_load_2addr_b64 v[0:3], v74 offset0:48 offset1:56
	ds_load_2addr_b64 v[12:15], v77 offset0:64 offset1:96
	ds_load_2addr_b64 v[20:23], v77 offset1:32
	ds_load_2addr_b64 v[16:19], v74 offset1:8
	ds_load_2addr_b64 v[8:11], v74 offset0:16 offset1:24
	ds_load_2addr_b64 v[4:7], v74 offset0:32 offset1:40
	v_add_nc_u32_e32 v79, 12, v79
	ds_store_b16 v60, v81
	ds_store_b16 v36, v80
	ds_store_b16 v36, v82 offset:512
	s_waitcnt lgkmcnt(0)
	s_barrier
	buffer_gl0_inv
	v_cmp_gt_i32_e64 s6, s18, v79
	s_delay_alu instid0(VALU_DEP_1) | instskip(NEXT) | instid1(SALU_CYCLE_1)
	s_and_b32 s6, vcc_lo, s6
	s_and_b32 s6, s3, s6
	s_delay_alu instid0(SALU_CYCLE_1)
	s_and_saveexec_b32 s7, s6
	s_cbranch_execz .LBB246_30
; %bb.29:                               ;   in Loop: Header=BB246_22 Depth=1
	v_add_co_u32 v80, s6, v75, v24
	s_delay_alu instid0(VALU_DEP_1)
	v_add_co_ci_u32_e64 v81, s6, v76, v25, s6
	flat_load_u16 v78, v[80:81]
	s_waitcnt vmcnt(0) lgkmcnt(0)
	v_mul_f16_e32 v78, v30, v78
.LBB246_30:                             ;   in Loop: Header=BB246_22 Depth=1
	s_or_b32 exec_lo, exec_lo, s7
	v_min_i32_e32 v82, s24, v79
	v_cmp_le_i32_e64 s6, s18, v79
	v_mov_b32_e32 v79, 0
	s_delay_alu instid0(VALU_DEP_3) | instskip(NEXT) | instid1(VALU_DEP_3)
	v_mad_i64_i32 v[80:81], null, v82, s19, 0
	s_or_b32 s23, s4, s6
	s_delay_alu instid0(VALU_DEP_1) | instskip(SKIP_1) | instid1(VALU_DEP_2)
	v_lshlrev_b64 v[81:82], 1, v[80:81]
	v_mov_b32_e32 v80, 0
	v_add_co_u32 v81, s7, s20, v81
	s_delay_alu instid0(VALU_DEP_1) | instskip(SKIP_1) | instid1(SALU_CYCLE_1)
	v_add_co_ci_u32_e64 v82, s7, s21, v82, s7
	s_or_b32 s7, s23, s25
	s_xor_b32 s7, s7, -1
	s_delay_alu instid0(SALU_CYCLE_1)
	s_and_saveexec_b32 s23, s7
	s_cbranch_execz .LBB246_32
; %bb.31:                               ;   in Loop: Header=BB246_22 Depth=1
	v_add_co_u32 v83, s7, v81, v28
	s_delay_alu instid0(VALU_DEP_1)
	v_add_co_ci_u32_e64 v84, s7, v82, v29, s7
	flat_load_u16 v80, v[83:84]
	s_waitcnt vmcnt(0) lgkmcnt(0)
	v_mul_f16_e32 v80, v30, v80
.LBB246_32:                             ;   in Loop: Header=BB246_22 Depth=1
	s_or_b32 exec_lo, exec_lo, s23
	v_pk_max_f16 v103, v2, v2
	v_pk_max_f16 v99, v20, v20
	v_pk_max_f16 v100, v22, v22
	v_pk_max_f16 v101, v12, v12
	v_pk_max_f16 v22, v16, v16
	v_pk_max_f16 v104, v14, v14
	v_pk_max_f16 v85, v18, v18
	v_pk_max_f16 v88, v8, v8
	v_pk_max_f16 v91, v10, v10
	v_pk_max_f16 v94, v4, v4
	v_pk_max_f16 v98, v6, v6
	v_pk_max_f16 v0, v0, v0
	v_pk_min_f16 v2, v103, v99
	v_pk_min_f16 v12, v103, v100
	;; [unrolled: 1-line block ×25, first 2 shown]
	v_pk_max_f16 v123, v3, v3
	v_pk_max_f16 v21, v21, v21
	;; [unrolled: 1-line block ×9, first 2 shown]
	v_pk_min_f16 v112, v0, v21
	v_pk_min_f16 v113, v0, v124
	;; [unrolled: 1-line block ×4, first 2 shown]
	v_pk_max_f16 v0, v9, v9
	v_pk_min_f16 v116, v3, v21
	v_pk_min_f16 v117, v3, v124
	;; [unrolled: 1-line block ×4, first 2 shown]
	v_pk_max_f16 v3, v11, v11
	v_pk_max_f16 v1, v1, v1
	s_or_b32 s6, s5, s6
	v_pk_min_f16 v22, v22, v104
	v_pk_min_f16 v85, v85, v104
	v_pk_min_f16 v88, v88, v104
	v_pk_min_f16 v91, v91, v104
	v_pk_min_f16 v94, v94, v104
	v_pk_min_f16 v98, v98, v104
	v_pk_min_f16 v107, v103, v104
	v_pk_min_f16 v109, v123, v21
	v_pk_min_f16 v110, v123, v124
	v_pk_min_f16 v111, v123, v125
	v_pk_min_f16 v120, v0, v21
	v_pk_min_f16 v121, v0, v124
	v_pk_min_f16 v122, v0, v125
	v_pk_min_f16 v9, v0, v126
	v_pk_min_f16 v23, v3, v21
	v_pk_min_f16 v103, v3, v124
	v_pk_min_f16 v104, v3, v125
	v_pk_min_f16 v105, v3, v126
	v_pk_min_f16 v106, v5, v21
	v_pk_min_f16 v108, v5, v124
	v_pk_min_f16 v0, v5, v125
	v_pk_min_f16 v3, v5, v126
	v_pk_min_f16 v7, v15, v21
	v_pk_min_f16 v11, v15, v124
	v_pk_min_f16 v13, v15, v125
	v_pk_min_f16 v15, v15, v126
	v_pk_min_f16 v17, v1, v21
	v_pk_min_f16 v19, v1, v124
	v_pk_min_f16 v21, v1, v125
	v_pk_min_f16 v1, v1, v126
	v_pk_min_f16 v5, v123, v126
	s_or_b32 s6, s6, s25
	s_delay_alu instid0(SALU_CYCLE_1) | instskip(NEXT) | instid1(SALU_CYCLE_1)
	s_xor_b32 s6, s6, -1
	s_and_saveexec_b32 s7, s6
	s_cbranch_execz .LBB246_21
; %bb.33:                               ;   in Loop: Header=BB246_22 Depth=1
	v_add_co_u32 v81, s6, v81, v28
	s_delay_alu instid0(VALU_DEP_1)
	v_add_co_ci_u32_e64 v82, s6, v82, v29, s6
	flat_load_u16 v79, v[81:82] offset:128
	s_waitcnt vmcnt(0) lgkmcnt(0)
	v_mul_f16_e32 v79, v30, v79
	s_branch .LBB246_21
.LBB246_34:
	s_clause 0x2
	s_load_b32 s18, s[0:1], 0x58
	s_load_b32 s9, s[0:1], 0x70
	s_load_b64 s[4:5], s[0:1], 0x78
	v_add_nc_u32_e32 v67, s15, v32
	v_add_nc_u32_e32 v8, 0x800, v35
	ds_load_2addr_b64 v[0:3], v34 offset0:192 offset1:224
	ds_load_2addr_b64 v[20:23], v34 offset0:128 offset1:160
	v_add_nc_u32_e32 v24, s14, v31
	ds_load_2addr_b64 v[4:7], v8 offset0:112 offset1:120
	ds_load_2addr_b64 v[16:19], v8 offset0:64 offset1:72
	;; [unrolled: 1-line block ×4, first 2 shown]
	v_cmp_gt_i32_e64 s8, s17, v67
	v_cmp_gt_i32_e64 s0, s16, v24
	v_cndmask_b32_e64 v60, 0, 1, s2
	s_waitcnt lgkmcnt(0)
	v_mad_i64_i32 v[25:26], null, v67, s18, 0
	v_mad_i64_i32 v[27:28], null, v67, s9, 0
	s_lshl_b64 s[4:5], s[4:5], 1
	s_delay_alu instid0(SALU_CYCLE_1) | instskip(SKIP_1) | instid1(VALU_DEP_2)
	s_add_u32 s12, s12, s4
	s_addc_u32 s13, s13, s5
	v_lshlrev_b64 v[29:30], 1, v[25:26]
	v_ashrrev_i32_e32 v25, 31, v24
	s_delay_alu instid0(VALU_DEP_3) | instskip(SKIP_1) | instid1(VALU_DEP_3)
	v_lshlrev_b64 v[26:27], 1, v[27:28]
	s_and_b32 s3, s0, s8
	v_add_co_u32 v74, vcc_lo, s10, v29
	s_delay_alu instid0(VALU_DEP_4) | instskip(NEXT) | instid1(VALU_DEP_3)
	v_add_co_ci_u32_e32 v75, vcc_lo, s11, v30, vcc_lo
	v_add_co_u32 v72, vcc_lo, s12, v26
	s_delay_alu instid0(VALU_DEP_4)
	v_add_co_ci_u32_e32 v73, vcc_lo, s13, v27, vcc_lo
	s_and_saveexec_b32 s1, s3
	s_cbranch_execz .LBB246_39
; %bb.35:
	v_lshlrev_b64 v[26:27], 1, v[24:25]
	s_and_not1_b32 vcc_lo, exec_lo, s2
	s_cbranch_vccnz .LBB246_37
; %bb.36:
	s_delay_alu instid0(VALU_DEP_1) | instskip(NEXT) | instid1(VALU_DEP_2)
	v_add_co_u32 v28, vcc_lo, v74, v26
	v_add_co_ci_u32_e32 v29, vcc_lo, v75, v27, vcc_lo
	flat_load_u16 v28, v[28:29]
	s_waitcnt vmcnt(0) lgkmcnt(0)
	v_mul_f16_e32 v28, v42, v28
	s_branch .LBB246_38
.LBB246_37:
	v_mov_b32_e32 v28, 0
.LBB246_38:
	v_pk_max_f16 v29, v20, v20
	v_pk_max_f16 v30, v16, v16
	;; [unrolled: 1-line block ×4, first 2 shown]
	v_add_co_u32 v26, vcc_lo, v72, v26
	s_delay_alu instid0(VALU_DEP_4) | instskip(SKIP_1) | instid1(VALU_DEP_4)
	v_pk_min_f16 v29, v30, v29
	v_add_co_ci_u32_e32 v27, vcc_lo, v73, v27, vcc_lo
	v_pk_min_f16 v30, v32, v31
	s_delay_alu instid0(VALU_DEP_3) | instskip(NEXT) | instid1(VALU_DEP_1)
	v_pk_add_f16 v29, v71, v29
	v_pk_add_f16 v29, v29, v30
	s_delay_alu instid0(VALU_DEP_1) | instskip(NEXT) | instid1(VALU_DEP_1)
	v_lshrrev_b32_e32 v30, 16, v29
	v_add_f16_e32 v29, v29, v30
	s_delay_alu instid0(VALU_DEP_1)
	v_add_f16_e32 v28, v29, v28
	global_store_b16 v[26:27], v28, off
.LBB246_39:
	s_or_b32 exec_lo, exec_lo, s1
	v_add_nc_u32_e32 v26, 8, v24
	s_delay_alu instid0(VALU_DEP_1) | instskip(SKIP_1) | instid1(VALU_DEP_2)
	v_cmp_gt_i32_e64 s1, s16, v26
	v_ashrrev_i32_e32 v27, 31, v26
	s_and_b32 s3, s1, s8
	s_delay_alu instid0(SALU_CYCLE_1)
	s_and_saveexec_b32 s2, s3
	s_cbranch_execz .LBB246_44
; %bb.40:
	v_cmp_ne_u32_e32 vcc_lo, 1, v60
	v_lshlrev_b64 v[28:29], 1, v[26:27]
	s_cbranch_vccnz .LBB246_42
; %bb.41:
	s_delay_alu instid0(VALU_DEP_1) | instskip(NEXT) | instid1(VALU_DEP_2)
	v_add_co_u32 v30, vcc_lo, v74, v28
	v_add_co_ci_u32_e32 v31, vcc_lo, v75, v29, vcc_lo
	flat_load_u16 v30, v[30:31]
	s_waitcnt vmcnt(0) lgkmcnt(0)
	v_mul_f16_e32 v30, v42, v30
	s_branch .LBB246_43
.LBB246_42:
	v_mov_b32_e32 v30, 0
.LBB246_43:
	v_pk_max_f16 v31, v20, v20
	v_pk_max_f16 v32, v18, v18
	v_pk_max_f16 v33, v21, v21
	v_pk_max_f16 v34, v19, v19
	v_add_co_u32 v28, vcc_lo, v72, v28
	s_delay_alu instid0(VALU_DEP_4) | instskip(SKIP_1) | instid1(VALU_DEP_4)
	v_pk_min_f16 v31, v32, v31
	v_add_co_ci_u32_e32 v29, vcc_lo, v73, v29, vcc_lo
	v_pk_min_f16 v32, v34, v33
	s_delay_alu instid0(VALU_DEP_3) | instskip(NEXT) | instid1(VALU_DEP_1)
	v_pk_add_f16 v31, v70, v31
	v_pk_add_f16 v31, v31, v32
	s_delay_alu instid0(VALU_DEP_1) | instskip(NEXT) | instid1(VALU_DEP_1)
	v_lshrrev_b32_e32 v32, 16, v31
	v_add_f16_e32 v31, v31, v32
	s_delay_alu instid0(VALU_DEP_1)
	v_add_f16_e32 v30, v31, v30
	global_store_b16 v[28:29], v30, off
.LBB246_44:
	s_or_b32 exec_lo, exec_lo, s2
	v_add_nc_u32_e32 v28, 16, v24
	s_delay_alu instid0(VALU_DEP_1) | instskip(SKIP_1) | instid1(VALU_DEP_2)
	v_cmp_gt_i32_e64 s2, s16, v28
	v_ashrrev_i32_e32 v29, 31, v28
	s_and_b32 s4, s2, s8
	s_delay_alu instid0(SALU_CYCLE_1)
	s_and_saveexec_b32 s3, s4
	s_cbranch_execz .LBB246_49
; %bb.45:
	v_cmp_ne_u32_e32 vcc_lo, 1, v60
	v_lshlrev_b64 v[30:31], 1, v[28:29]
	s_cbranch_vccnz .LBB246_47
; %bb.46:
	s_delay_alu instid0(VALU_DEP_1) | instskip(NEXT) | instid1(VALU_DEP_2)
	v_add_co_u32 v32, vcc_lo, v74, v30
	v_add_co_ci_u32_e32 v33, vcc_lo, v75, v31, vcc_lo
	flat_load_u16 v32, v[32:33]
	s_waitcnt vmcnt(0) lgkmcnt(0)
	v_mul_f16_e32 v32, v42, v32
	s_branch .LBB246_48
.LBB246_47:
	v_mov_b32_e32 v32, 0
.LBB246_48:
	v_pk_max_f16 v33, v20, v20
	v_pk_max_f16 v34, v12, v12
	v_pk_max_f16 v35, v21, v21
	v_pk_max_f16 v36, v13, v13
	v_add_co_u32 v30, vcc_lo, v72, v30
	s_delay_alu instid0(VALU_DEP_4) | instskip(SKIP_1) | instid1(VALU_DEP_4)
	v_pk_min_f16 v33, v34, v33
	v_add_co_ci_u32_e32 v31, vcc_lo, v73, v31, vcc_lo
	v_pk_min_f16 v34, v36, v35
	s_delay_alu instid0(VALU_DEP_3) | instskip(NEXT) | instid1(VALU_DEP_1)
	v_pk_add_f16 v33, v41, v33
	v_pk_add_f16 v33, v33, v34
	s_delay_alu instid0(VALU_DEP_1) | instskip(NEXT) | instid1(VALU_DEP_1)
	v_lshrrev_b32_e32 v34, 16, v33
	v_add_f16_e32 v33, v33, v34
	s_delay_alu instid0(VALU_DEP_1)
	v_add_f16_e32 v32, v33, v32
	global_store_b16 v[30:31], v32, off
.LBB246_49:
	;; [unrolled: 43-line block ×6, first 2 shown]
	s_or_b32 exec_lo, exec_lo, s7
	v_add_nc_u32_e32 v38, 56, v24
	s_delay_alu instid0(VALU_DEP_1) | instskip(SKIP_1) | instid1(VALU_DEP_2)
	v_cmp_gt_i32_e64 s7, s16, v38
	v_ashrrev_i32_e32 v39, 31, v38
	s_and_b32 s14, s7, s8
	s_delay_alu instid0(SALU_CYCLE_1)
	s_and_saveexec_b32 s8, s14
	s_cbranch_execz .LBB246_74
; %bb.70:
	v_cmp_ne_u32_e32 vcc_lo, 1, v60
	v_lshlrev_b64 v[40:41], 1, v[38:39]
	s_cbranch_vccnz .LBB246_72
; %bb.71:
	s_delay_alu instid0(VALU_DEP_1) | instskip(NEXT) | instid1(VALU_DEP_2)
	v_add_co_u32 v70, vcc_lo, v74, v40
	v_add_co_ci_u32_e32 v71, vcc_lo, v75, v41, vcc_lo
	flat_load_u16 v70, v[70:71]
	s_waitcnt vmcnt(0) lgkmcnt(0)
	v_mul_f16_e32 v70, v42, v70
	s_branch .LBB246_73
.LBB246_72:
	v_mov_b32_e32 v70, 0
.LBB246_73:
	v_pk_max_f16 v20, v20, v20
	v_pk_max_f16 v71, v6, v6
	;; [unrolled: 1-line block ×4, first 2 shown]
	s_delay_alu instid0(VALU_DEP_3) | instskip(NEXT) | instid1(VALU_DEP_2)
	v_pk_min_f16 v20, v71, v20
	v_pk_min_f16 v21, v74, v21
	s_delay_alu instid0(VALU_DEP_2) | instskip(NEXT) | instid1(VALU_DEP_1)
	v_pk_add_f16 v20, v69, v20
	v_pk_add_f16 v20, v20, v21
	s_delay_alu instid0(VALU_DEP_1) | instskip(NEXT) | instid1(VALU_DEP_1)
	v_lshrrev_b32_e32 v21, 16, v20
	v_add_f16_e32 v20, v20, v21
	s_delay_alu instid0(VALU_DEP_1)
	v_add_f16_e32 v69, v20, v70
	v_add_co_u32 v20, vcc_lo, v72, v40
	v_add_co_ci_u32_e32 v21, vcc_lo, v73, v41, vcc_lo
	global_store_b16 v[20:21], v69, off
.LBB246_74:
	s_or_b32 exec_lo, exec_lo, s8
	v_add_nc_u32_e32 v69, 32, v67
	s_delay_alu instid0(VALU_DEP_1) | instskip(SKIP_2) | instid1(VALU_DEP_3)
	v_mad_i64_i32 v[20:21], null, v69, s18, 0
	v_mad_i64_i32 v[40:41], null, v69, s9, 0
	v_cmp_gt_i32_e64 s8, s17, v69
	v_lshlrev_b64 v[20:21], 1, v[20:21]
	s_delay_alu instid0(VALU_DEP_2) | instskip(NEXT) | instid1(VALU_DEP_3)
	s_and_b32 s15, s0, s8
	v_lshlrev_b64 v[40:41], 1, v[40:41]
	s_delay_alu instid0(VALU_DEP_2) | instskip(NEXT) | instid1(VALU_DEP_3)
	v_add_co_u32 v69, vcc_lo, s10, v20
	v_add_co_ci_u32_e32 v70, vcc_lo, s11, v21, vcc_lo
	s_delay_alu instid0(VALU_DEP_3) | instskip(NEXT) | instid1(VALU_DEP_4)
	v_add_co_u32 v40, vcc_lo, s12, v40
	v_add_co_ci_u32_e32 v41, vcc_lo, s13, v41, vcc_lo
	s_and_saveexec_b32 s14, s15
	s_cbranch_execnz .LBB246_82
; %bb.75:
	s_or_b32 exec_lo, exec_lo, s14
	s_and_b32 s15, s1, s8
	s_delay_alu instid0(SALU_CYCLE_1)
	s_and_saveexec_b32 s14, s15
	s_cbranch_execnz .LBB246_86
.LBB246_76:
	s_or_b32 exec_lo, exec_lo, s14
	s_and_b32 s15, s2, s8
	s_delay_alu instid0(SALU_CYCLE_1)
	s_and_saveexec_b32 s14, s15
	s_cbranch_execnz .LBB246_90
.LBB246_77:
	s_or_b32 exec_lo, exec_lo, s14
	s_and_b32 s15, s3, s8
	s_delay_alu instid0(SALU_CYCLE_1)
	s_and_saveexec_b32 s14, s15
	s_cbranch_execnz .LBB246_94
.LBB246_78:
	s_or_b32 exec_lo, exec_lo, s14
	s_and_b32 s15, s4, s8
	s_delay_alu instid0(SALU_CYCLE_1)
	s_and_saveexec_b32 s14, s15
	s_cbranch_execnz .LBB246_98
.LBB246_79:
	s_or_b32 exec_lo, exec_lo, s14
	s_and_b32 s15, s5, s8
	s_delay_alu instid0(SALU_CYCLE_1)
	s_and_saveexec_b32 s14, s15
	s_cbranch_execnz .LBB246_102
.LBB246_80:
	s_or_b32 exec_lo, exec_lo, s14
	s_and_b32 s15, s6, s8
	s_delay_alu instid0(SALU_CYCLE_1)
	s_and_saveexec_b32 s14, s15
	s_cbranch_execnz .LBB246_106
.LBB246_81:
	s_or_b32 exec_lo, exec_lo, s14
	s_and_b32 s14, s7, s8
	s_delay_alu instid0(SALU_CYCLE_1)
	s_and_saveexec_b32 s8, s14
	s_cbranch_execnz .LBB246_110
	s_branch .LBB246_114
.LBB246_82:
	v_cmp_ne_u32_e32 vcc_lo, 1, v60
	v_lshlrev_b64 v[20:21], 1, v[24:25]
	s_cbranch_vccnz .LBB246_84
; %bb.83:
	s_delay_alu instid0(VALU_DEP_1) | instskip(NEXT) | instid1(VALU_DEP_2)
	v_add_co_u32 v71, vcc_lo, v69, v20
	v_add_co_ci_u32_e32 v72, vcc_lo, v70, v21, vcc_lo
	flat_load_u16 v71, v[71:72]
	s_waitcnt vmcnt(0) lgkmcnt(0)
	v_mul_f16_e32 v71, v42, v71
	s_branch .LBB246_85
.LBB246_84:
	v_mov_b32_e32 v71, 0
.LBB246_85:
	v_pk_max_f16 v72, v22, v22
	v_pk_max_f16 v73, v16, v16
	;; [unrolled: 1-line block ×4, first 2 shown]
	v_add_co_u32 v20, vcc_lo, v40, v20
	s_delay_alu instid0(VALU_DEP_4) | instskip(SKIP_1) | instid1(VALU_DEP_4)
	v_pk_min_f16 v72, v73, v72
	v_add_co_ci_u32_e32 v21, vcc_lo, v41, v21, vcc_lo
	v_pk_min_f16 v73, v75, v74
	s_delay_alu instid0(VALU_DEP_3) | instskip(NEXT) | instid1(VALU_DEP_1)
	v_pk_add_f16 v68, v68, v72
	v_pk_add_f16 v68, v68, v73
	s_delay_alu instid0(VALU_DEP_1) | instskip(NEXT) | instid1(VALU_DEP_1)
	v_lshrrev_b32_e32 v72, 16, v68
	v_add_f16_e32 v68, v68, v72
	s_delay_alu instid0(VALU_DEP_1) | instskip(SKIP_3) | instid1(SALU_CYCLE_1)
	v_add_f16_e32 v68, v68, v71
	global_store_b16 v[20:21], v68, off
	s_or_b32 exec_lo, exec_lo, s14
	s_and_b32 s15, s1, s8
	s_and_saveexec_b32 s14, s15
	s_cbranch_execz .LBB246_76
.LBB246_86:
	v_cmp_ne_u32_e32 vcc_lo, 1, v60
	v_lshlrev_b64 v[20:21], 1, v[26:27]
	s_cbranch_vccnz .LBB246_88
; %bb.87:
	s_delay_alu instid0(VALU_DEP_1) | instskip(NEXT) | instid1(VALU_DEP_2)
	v_add_co_u32 v71, vcc_lo, v69, v20
	v_add_co_ci_u32_e32 v72, vcc_lo, v70, v21, vcc_lo
	flat_load_u16 v68, v[71:72]
	s_waitcnt vmcnt(0) lgkmcnt(0)
	v_mul_f16_e32 v68, v42, v68
	s_branch .LBB246_89
.LBB246_88:
	v_mov_b32_e32 v68, 0
.LBB246_89:
	v_pk_max_f16 v71, v22, v22
	v_pk_max_f16 v72, v18, v18
	;; [unrolled: 1-line block ×4, first 2 shown]
	v_add_co_u32 v20, vcc_lo, v40, v20
	s_delay_alu instid0(VALU_DEP_4) | instskip(SKIP_1) | instid1(VALU_DEP_4)
	v_pk_min_f16 v71, v72, v71
	v_add_co_ci_u32_e32 v21, vcc_lo, v41, v21, vcc_lo
	v_pk_min_f16 v72, v74, v73
	s_delay_alu instid0(VALU_DEP_3) | instskip(NEXT) | instid1(VALU_DEP_1)
	v_pk_add_f16 v66, v66, v71
	v_pk_add_f16 v66, v66, v72
	s_delay_alu instid0(VALU_DEP_1) | instskip(NEXT) | instid1(VALU_DEP_1)
	v_lshrrev_b32_e32 v71, 16, v66
	v_add_f16_e32 v66, v66, v71
	s_delay_alu instid0(VALU_DEP_1) | instskip(SKIP_3) | instid1(SALU_CYCLE_1)
	v_add_f16_e32 v66, v66, v68
	global_store_b16 v[20:21], v66, off
	s_or_b32 exec_lo, exec_lo, s14
	s_and_b32 s15, s2, s8
	s_and_saveexec_b32 s14, s15
	s_cbranch_execz .LBB246_77
.LBB246_90:
	v_cmp_ne_u32_e32 vcc_lo, 1, v60
	v_lshlrev_b64 v[20:21], 1, v[28:29]
	s_cbranch_vccnz .LBB246_92
; %bb.91:
	s_delay_alu instid0(VALU_DEP_1) | instskip(NEXT) | instid1(VALU_DEP_2)
	v_add_co_u32 v71, vcc_lo, v69, v20
	v_add_co_ci_u32_e32 v72, vcc_lo, v70, v21, vcc_lo
	flat_load_u16 v66, v[71:72]
	s_waitcnt vmcnt(0) lgkmcnt(0)
	v_mul_f16_e32 v66, v42, v66
	s_branch .LBB246_93
.LBB246_92:
	v_mov_b32_e32 v66, 0
.LBB246_93:
	v_pk_max_f16 v68, v22, v22
	v_pk_max_f16 v71, v12, v12
	;; [unrolled: 1-line block ×4, first 2 shown]
	v_add_co_u32 v20, vcc_lo, v40, v20
	s_delay_alu instid0(VALU_DEP_4) | instskip(SKIP_1) | instid1(VALU_DEP_4)
	v_pk_min_f16 v68, v71, v68
	v_add_co_ci_u32_e32 v21, vcc_lo, v41, v21, vcc_lo
	v_pk_min_f16 v71, v73, v72
	s_delay_alu instid0(VALU_DEP_3) | instskip(NEXT) | instid1(VALU_DEP_1)
	v_pk_add_f16 v65, v65, v68
	v_pk_add_f16 v65, v65, v71
	s_delay_alu instid0(VALU_DEP_1) | instskip(NEXT) | instid1(VALU_DEP_1)
	v_lshrrev_b32_e32 v68, 16, v65
	v_add_f16_e32 v65, v65, v68
	s_delay_alu instid0(VALU_DEP_1) | instskip(SKIP_3) | instid1(SALU_CYCLE_1)
	v_add_f16_e32 v65, v65, v66
	global_store_b16 v[20:21], v65, off
	s_or_b32 exec_lo, exec_lo, s14
	s_and_b32 s15, s3, s8
	s_and_saveexec_b32 s14, s15
	s_cbranch_execz .LBB246_78
.LBB246_94:
	v_cmp_ne_u32_e32 vcc_lo, 1, v60
	v_lshlrev_b64 v[20:21], 1, v[30:31]
	s_cbranch_vccnz .LBB246_96
; %bb.95:
	s_delay_alu instid0(VALU_DEP_1) | instskip(NEXT) | instid1(VALU_DEP_2)
	v_add_co_u32 v65, vcc_lo, v69, v20
	v_add_co_ci_u32_e32 v66, vcc_lo, v70, v21, vcc_lo
	flat_load_u16 v65, v[65:66]
	s_waitcnt vmcnt(0) lgkmcnt(0)
	v_mul_f16_e32 v65, v42, v65
	s_branch .LBB246_97
.LBB246_96:
	v_mov_b32_e32 v65, 0
.LBB246_97:
	v_pk_max_f16 v66, v22, v22
	v_pk_max_f16 v68, v14, v14
	;; [unrolled: 1-line block ×4, first 2 shown]
	v_add_co_u32 v20, vcc_lo, v40, v20
	s_delay_alu instid0(VALU_DEP_4) | instskip(SKIP_1) | instid1(VALU_DEP_4)
	v_pk_min_f16 v66, v68, v66
	v_add_co_ci_u32_e32 v21, vcc_lo, v41, v21, vcc_lo
	v_pk_min_f16 v68, v72, v71
	s_delay_alu instid0(VALU_DEP_3) | instskip(NEXT) | instid1(VALU_DEP_1)
	v_pk_add_f16 v64, v64, v66
	v_pk_add_f16 v64, v64, v68
	s_delay_alu instid0(VALU_DEP_1) | instskip(NEXT) | instid1(VALU_DEP_1)
	v_lshrrev_b32_e32 v66, 16, v64
	v_add_f16_e32 v64, v64, v66
	s_delay_alu instid0(VALU_DEP_1) | instskip(SKIP_3) | instid1(SALU_CYCLE_1)
	v_add_f16_e32 v64, v64, v65
	global_store_b16 v[20:21], v64, off
	s_or_b32 exec_lo, exec_lo, s14
	s_and_b32 s15, s4, s8
	s_and_saveexec_b32 s14, s15
	s_cbranch_execz .LBB246_79
.LBB246_98:
	v_cmp_ne_u32_e32 vcc_lo, 1, v60
	v_lshlrev_b64 v[20:21], 1, v[32:33]
	s_cbranch_vccnz .LBB246_100
; %bb.99:
	s_delay_alu instid0(VALU_DEP_1) | instskip(NEXT) | instid1(VALU_DEP_2)
	v_add_co_u32 v64, vcc_lo, v69, v20
	v_add_co_ci_u32_e32 v65, vcc_lo, v70, v21, vcc_lo
	flat_load_u16 v64, v[64:65]
	s_waitcnt vmcnt(0) lgkmcnt(0)
	v_mul_f16_e32 v64, v42, v64
	s_branch .LBB246_101
.LBB246_100:
	v_mov_b32_e32 v64, 0
.LBB246_101:
	v_pk_max_f16 v65, v22, v22
	v_pk_max_f16 v66, v8, v8
	;; [unrolled: 1-line block ×4, first 2 shown]
	v_add_co_u32 v20, vcc_lo, v40, v20
	s_delay_alu instid0(VALU_DEP_4) | instskip(SKIP_1) | instid1(VALU_DEP_4)
	v_pk_min_f16 v65, v66, v65
	v_add_co_ci_u32_e32 v21, vcc_lo, v41, v21, vcc_lo
	v_pk_min_f16 v66, v71, v68
	s_delay_alu instid0(VALU_DEP_3) | instskip(NEXT) | instid1(VALU_DEP_1)
	v_pk_add_f16 v63, v63, v65
	v_pk_add_f16 v63, v63, v66
	s_delay_alu instid0(VALU_DEP_1) | instskip(NEXT) | instid1(VALU_DEP_1)
	v_lshrrev_b32_e32 v65, 16, v63
	v_add_f16_e32 v63, v63, v65
	s_delay_alu instid0(VALU_DEP_1) | instskip(SKIP_3) | instid1(SALU_CYCLE_1)
	v_add_f16_e32 v63, v63, v64
	global_store_b16 v[20:21], v63, off
	s_or_b32 exec_lo, exec_lo, s14
	s_and_b32 s15, s5, s8
	s_and_saveexec_b32 s14, s15
	s_cbranch_execz .LBB246_80
.LBB246_102:
	v_cmp_ne_u32_e32 vcc_lo, 1, v60
	v_lshlrev_b64 v[20:21], 1, v[34:35]
	s_cbranch_vccnz .LBB246_104
; %bb.103:
	s_delay_alu instid0(VALU_DEP_1) | instskip(NEXT) | instid1(VALU_DEP_2)
	v_add_co_u32 v63, vcc_lo, v69, v20
	v_add_co_ci_u32_e32 v64, vcc_lo, v70, v21, vcc_lo
	flat_load_u16 v63, v[63:64]
	s_waitcnt vmcnt(0) lgkmcnt(0)
	v_mul_f16_e32 v63, v42, v63
	s_branch .LBB246_105
.LBB246_104:
	v_mov_b32_e32 v63, 0
.LBB246_105:
	v_pk_max_f16 v64, v22, v22
	v_pk_max_f16 v65, v10, v10
	;; [unrolled: 1-line block ×4, first 2 shown]
	v_add_co_u32 v20, vcc_lo, v40, v20
	s_delay_alu instid0(VALU_DEP_4) | instskip(SKIP_1) | instid1(VALU_DEP_4)
	v_pk_min_f16 v64, v65, v64
	v_add_co_ci_u32_e32 v21, vcc_lo, v41, v21, vcc_lo
	v_pk_min_f16 v65, v68, v66
	s_delay_alu instid0(VALU_DEP_3) | instskip(NEXT) | instid1(VALU_DEP_1)
	v_pk_add_f16 v62, v62, v64
	v_pk_add_f16 v62, v62, v65
	s_delay_alu instid0(VALU_DEP_1) | instskip(NEXT) | instid1(VALU_DEP_1)
	v_lshrrev_b32_e32 v64, 16, v62
	v_add_f16_e32 v62, v62, v64
	s_delay_alu instid0(VALU_DEP_1) | instskip(SKIP_3) | instid1(SALU_CYCLE_1)
	v_add_f16_e32 v62, v62, v63
	global_store_b16 v[20:21], v62, off
	s_or_b32 exec_lo, exec_lo, s14
	s_and_b32 s15, s6, s8
	s_and_saveexec_b32 s14, s15
	s_cbranch_execz .LBB246_81
.LBB246_106:
	v_cmp_ne_u32_e32 vcc_lo, 1, v60
	v_lshlrev_b64 v[20:21], 1, v[36:37]
	s_cbranch_vccnz .LBB246_108
; %bb.107:
	s_delay_alu instid0(VALU_DEP_1) | instskip(NEXT) | instid1(VALU_DEP_2)
	v_add_co_u32 v62, vcc_lo, v69, v20
	v_add_co_ci_u32_e32 v63, vcc_lo, v70, v21, vcc_lo
	flat_load_u16 v62, v[62:63]
	s_waitcnt vmcnt(0) lgkmcnt(0)
	v_mul_f16_e32 v62, v42, v62
	s_branch .LBB246_109
.LBB246_108:
	v_mov_b32_e32 v62, 0
.LBB246_109:
	v_pk_max_f16 v63, v22, v22
	v_pk_max_f16 v64, v4, v4
	;; [unrolled: 1-line block ×4, first 2 shown]
	v_add_co_u32 v20, vcc_lo, v40, v20
	s_delay_alu instid0(VALU_DEP_4) | instskip(SKIP_1) | instid1(VALU_DEP_4)
	v_pk_min_f16 v63, v64, v63
	v_add_co_ci_u32_e32 v21, vcc_lo, v41, v21, vcc_lo
	v_pk_min_f16 v64, v66, v65
	s_delay_alu instid0(VALU_DEP_3) | instskip(NEXT) | instid1(VALU_DEP_1)
	v_pk_add_f16 v61, v61, v63
	v_pk_add_f16 v61, v61, v64
	s_delay_alu instid0(VALU_DEP_1) | instskip(NEXT) | instid1(VALU_DEP_1)
	v_lshrrev_b32_e32 v63, 16, v61
	v_add_f16_e32 v61, v61, v63
	s_delay_alu instid0(VALU_DEP_1) | instskip(SKIP_3) | instid1(SALU_CYCLE_1)
	v_add_f16_e32 v61, v61, v62
	global_store_b16 v[20:21], v61, off
	s_or_b32 exec_lo, exec_lo, s14
	s_and_b32 s14, s7, s8
	s_and_saveexec_b32 s8, s14
	s_cbranch_execz .LBB246_114
.LBB246_110:
	v_cmp_ne_u32_e32 vcc_lo, 1, v60
	v_lshlrev_b64 v[20:21], 1, v[38:39]
	s_cbranch_vccnz .LBB246_112
; %bb.111:
	s_delay_alu instid0(VALU_DEP_1) | instskip(NEXT) | instid1(VALU_DEP_2)
	v_add_co_u32 v61, vcc_lo, v69, v20
	v_add_co_ci_u32_e32 v62, vcc_lo, v70, v21, vcc_lo
	flat_load_u16 v61, v[61:62]
	s_waitcnt vmcnt(0) lgkmcnt(0)
	v_mul_f16_e32 v61, v42, v61
	s_branch .LBB246_113
.LBB246_112:
	v_mov_b32_e32 v61, 0
.LBB246_113:
	v_pk_max_f16 v22, v22, v22
	v_pk_max_f16 v62, v6, v6
	;; [unrolled: 1-line block ×4, first 2 shown]
	v_add_co_u32 v20, vcc_lo, v40, v20
	s_delay_alu instid0(VALU_DEP_4) | instskip(SKIP_1) | instid1(VALU_DEP_4)
	v_pk_min_f16 v22, v62, v22
	v_add_co_ci_u32_e32 v21, vcc_lo, v41, v21, vcc_lo
	v_pk_min_f16 v23, v63, v23
	s_delay_alu instid0(VALU_DEP_3) | instskip(NEXT) | instid1(VALU_DEP_1)
	v_pk_add_f16 v22, v59, v22
	v_pk_add_f16 v22, v22, v23
	s_delay_alu instid0(VALU_DEP_1) | instskip(NEXT) | instid1(VALU_DEP_1)
	v_lshrrev_b32_e32 v23, 16, v22
	v_add_f16_e32 v22, v22, v23
	s_delay_alu instid0(VALU_DEP_1)
	v_add_f16_e32 v22, v22, v61
	global_store_b16 v[20:21], v22, off
.LBB246_114:
	s_or_b32 exec_lo, exec_lo, s8
	v_add_nc_u32_e32 v40, 64, v67
	s_delay_alu instid0(VALU_DEP_1) | instskip(SKIP_2) | instid1(VALU_DEP_3)
	v_mad_i64_i32 v[20:21], null, v40, s18, 0
	v_mad_i64_i32 v[22:23], null, v40, s9, 0
	v_cmp_gt_i32_e64 s8, s17, v40
	v_lshlrev_b64 v[20:21], 1, v[20:21]
	s_delay_alu instid0(VALU_DEP_2) | instskip(NEXT) | instid1(VALU_DEP_3)
	s_and_b32 s15, s0, s8
	v_lshlrev_b64 v[22:23], 1, v[22:23]
	s_delay_alu instid0(VALU_DEP_2) | instskip(NEXT) | instid1(VALU_DEP_3)
	v_add_co_u32 v40, vcc_lo, s10, v20
	v_add_co_ci_u32_e32 v41, vcc_lo, s11, v21, vcc_lo
	s_delay_alu instid0(VALU_DEP_3) | instskip(NEXT) | instid1(VALU_DEP_4)
	v_add_co_u32 v22, vcc_lo, s12, v22
	v_add_co_ci_u32_e32 v23, vcc_lo, s13, v23, vcc_lo
	s_and_saveexec_b32 s14, s15
	s_cbranch_execnz .LBB246_122
; %bb.115:
	s_or_b32 exec_lo, exec_lo, s14
	s_and_b32 s15, s1, s8
	s_delay_alu instid0(SALU_CYCLE_1)
	s_and_saveexec_b32 s14, s15
	s_cbranch_execnz .LBB246_126
.LBB246_116:
	s_or_b32 exec_lo, exec_lo, s14
	s_and_b32 s15, s2, s8
	s_delay_alu instid0(SALU_CYCLE_1)
	s_and_saveexec_b32 s14, s15
	s_cbranch_execnz .LBB246_130
.LBB246_117:
	s_or_b32 exec_lo, exec_lo, s14
	s_and_b32 s15, s3, s8
	s_delay_alu instid0(SALU_CYCLE_1)
	s_and_saveexec_b32 s14, s15
	s_cbranch_execnz .LBB246_134
.LBB246_118:
	s_or_b32 exec_lo, exec_lo, s14
	s_and_b32 s15, s4, s8
	s_delay_alu instid0(SALU_CYCLE_1)
	s_and_saveexec_b32 s14, s15
	s_cbranch_execnz .LBB246_138
.LBB246_119:
	s_or_b32 exec_lo, exec_lo, s14
	s_and_b32 s15, s5, s8
	s_delay_alu instid0(SALU_CYCLE_1)
	s_and_saveexec_b32 s14, s15
	s_cbranch_execnz .LBB246_142
.LBB246_120:
	s_or_b32 exec_lo, exec_lo, s14
	s_and_b32 s15, s6, s8
	s_delay_alu instid0(SALU_CYCLE_1)
	s_and_saveexec_b32 s14, s15
	s_cbranch_execnz .LBB246_146
.LBB246_121:
	s_or_b32 exec_lo, exec_lo, s14
	s_and_b32 s14, s7, s8
	s_delay_alu instid0(SALU_CYCLE_1)
	s_and_saveexec_b32 s8, s14
	s_cbranch_execnz .LBB246_150
	s_branch .LBB246_154
.LBB246_122:
	v_cmp_ne_u32_e32 vcc_lo, 1, v60
	v_lshlrev_b64 v[20:21], 1, v[24:25]
	s_cbranch_vccnz .LBB246_124
; %bb.123:
	s_delay_alu instid0(VALU_DEP_1) | instskip(NEXT) | instid1(VALU_DEP_2)
	v_add_co_u32 v61, vcc_lo, v40, v20
	v_add_co_ci_u32_e32 v62, vcc_lo, v41, v21, vcc_lo
	flat_load_u16 v59, v[61:62]
	s_waitcnt vmcnt(0) lgkmcnt(0)
	v_mul_f16_e32 v59, v42, v59
	s_branch .LBB246_125
.LBB246_124:
	v_mov_b32_e32 v59, 0
.LBB246_125:
	v_pk_max_f16 v61, v0, v0
	v_pk_max_f16 v62, v16, v16
	;; [unrolled: 1-line block ×4, first 2 shown]
	v_add_co_u32 v20, vcc_lo, v22, v20
	s_delay_alu instid0(VALU_DEP_4) | instskip(SKIP_1) | instid1(VALU_DEP_4)
	v_pk_min_f16 v61, v62, v61
	v_add_co_ci_u32_e32 v21, vcc_lo, v23, v21, vcc_lo
	v_pk_min_f16 v62, v64, v63
	s_delay_alu instid0(VALU_DEP_3) | instskip(NEXT) | instid1(VALU_DEP_1)
	v_pk_add_f16 v58, v58, v61
	v_pk_add_f16 v58, v58, v62
	s_delay_alu instid0(VALU_DEP_1) | instskip(NEXT) | instid1(VALU_DEP_1)
	v_lshrrev_b32_e32 v61, 16, v58
	v_add_f16_e32 v58, v58, v61
	s_delay_alu instid0(VALU_DEP_1) | instskip(SKIP_3) | instid1(SALU_CYCLE_1)
	v_add_f16_e32 v58, v58, v59
	global_store_b16 v[20:21], v58, off
	s_or_b32 exec_lo, exec_lo, s14
	s_and_b32 s15, s1, s8
	s_and_saveexec_b32 s14, s15
	s_cbranch_execz .LBB246_116
.LBB246_126:
	v_cmp_ne_u32_e32 vcc_lo, 1, v60
	v_lshlrev_b64 v[20:21], 1, v[26:27]
	s_cbranch_vccnz .LBB246_128
; %bb.127:
	s_delay_alu instid0(VALU_DEP_1) | instskip(NEXT) | instid1(VALU_DEP_2)
	v_add_co_u32 v58, vcc_lo, v40, v20
	v_add_co_ci_u32_e32 v59, vcc_lo, v41, v21, vcc_lo
	flat_load_u16 v58, v[58:59]
	s_waitcnt vmcnt(0) lgkmcnt(0)
	v_mul_f16_e32 v58, v42, v58
	s_branch .LBB246_129
.LBB246_128:
	v_mov_b32_e32 v58, 0
.LBB246_129:
	v_pk_max_f16 v59, v0, v0
	v_pk_max_f16 v61, v18, v18
	;; [unrolled: 1-line block ×4, first 2 shown]
	v_add_co_u32 v20, vcc_lo, v22, v20
	s_delay_alu instid0(VALU_DEP_4) | instskip(SKIP_1) | instid1(VALU_DEP_4)
	v_pk_min_f16 v59, v61, v59
	v_add_co_ci_u32_e32 v21, vcc_lo, v23, v21, vcc_lo
	v_pk_min_f16 v61, v63, v62
	s_delay_alu instid0(VALU_DEP_3) | instskip(NEXT) | instid1(VALU_DEP_1)
	v_pk_add_f16 v57, v57, v59
	v_pk_add_f16 v57, v57, v61
	s_delay_alu instid0(VALU_DEP_1) | instskip(NEXT) | instid1(VALU_DEP_1)
	v_lshrrev_b32_e32 v59, 16, v57
	v_add_f16_e32 v57, v57, v59
	s_delay_alu instid0(VALU_DEP_1) | instskip(SKIP_3) | instid1(SALU_CYCLE_1)
	v_add_f16_e32 v57, v57, v58
	global_store_b16 v[20:21], v57, off
	s_or_b32 exec_lo, exec_lo, s14
	s_and_b32 s15, s2, s8
	s_and_saveexec_b32 s14, s15
	s_cbranch_execz .LBB246_117
.LBB246_130:
	v_cmp_ne_u32_e32 vcc_lo, 1, v60
	v_lshlrev_b64 v[20:21], 1, v[28:29]
	s_cbranch_vccnz .LBB246_132
; %bb.131:
	s_delay_alu instid0(VALU_DEP_1) | instskip(NEXT) | instid1(VALU_DEP_2)
	v_add_co_u32 v57, vcc_lo, v40, v20
	v_add_co_ci_u32_e32 v58, vcc_lo, v41, v21, vcc_lo
	flat_load_u16 v57, v[57:58]
	s_waitcnt vmcnt(0) lgkmcnt(0)
	v_mul_f16_e32 v57, v42, v57
	s_branch .LBB246_133
.LBB246_132:
	v_mov_b32_e32 v57, 0
.LBB246_133:
	v_pk_max_f16 v58, v0, v0
	v_pk_max_f16 v59, v12, v12
	;; [unrolled: 1-line block ×4, first 2 shown]
	v_add_co_u32 v20, vcc_lo, v22, v20
	s_delay_alu instid0(VALU_DEP_4) | instskip(SKIP_1) | instid1(VALU_DEP_4)
	v_pk_min_f16 v58, v59, v58
	v_add_co_ci_u32_e32 v21, vcc_lo, v23, v21, vcc_lo
	v_pk_min_f16 v59, v62, v61
	s_delay_alu instid0(VALU_DEP_3) | instskip(NEXT) | instid1(VALU_DEP_1)
	v_pk_add_f16 v56, v56, v58
	v_pk_add_f16 v56, v56, v59
	s_delay_alu instid0(VALU_DEP_1) | instskip(NEXT) | instid1(VALU_DEP_1)
	v_lshrrev_b32_e32 v58, 16, v56
	v_add_f16_e32 v56, v56, v58
	s_delay_alu instid0(VALU_DEP_1) | instskip(SKIP_3) | instid1(SALU_CYCLE_1)
	v_add_f16_e32 v56, v56, v57
	global_store_b16 v[20:21], v56, off
	s_or_b32 exec_lo, exec_lo, s14
	s_and_b32 s15, s3, s8
	s_and_saveexec_b32 s14, s15
	s_cbranch_execz .LBB246_118
.LBB246_134:
	v_cmp_ne_u32_e32 vcc_lo, 1, v60
	v_lshlrev_b64 v[20:21], 1, v[30:31]
	s_cbranch_vccnz .LBB246_136
; %bb.135:
	s_delay_alu instid0(VALU_DEP_1) | instskip(NEXT) | instid1(VALU_DEP_2)
	v_add_co_u32 v56, vcc_lo, v40, v20
	v_add_co_ci_u32_e32 v57, vcc_lo, v41, v21, vcc_lo
	flat_load_u16 v56, v[56:57]
	s_waitcnt vmcnt(0) lgkmcnt(0)
	v_mul_f16_e32 v56, v42, v56
	s_branch .LBB246_137
.LBB246_136:
	v_mov_b32_e32 v56, 0
.LBB246_137:
	v_pk_max_f16 v57, v0, v0
	v_pk_max_f16 v58, v14, v14
	;; [unrolled: 1-line block ×4, first 2 shown]
	v_add_co_u32 v20, vcc_lo, v22, v20
	s_delay_alu instid0(VALU_DEP_4) | instskip(SKIP_1) | instid1(VALU_DEP_4)
	v_pk_min_f16 v57, v58, v57
	v_add_co_ci_u32_e32 v21, vcc_lo, v23, v21, vcc_lo
	v_pk_min_f16 v58, v61, v59
	s_delay_alu instid0(VALU_DEP_3) | instskip(NEXT) | instid1(VALU_DEP_1)
	v_pk_add_f16 v55, v55, v57
	v_pk_add_f16 v55, v55, v58
	s_delay_alu instid0(VALU_DEP_1) | instskip(NEXT) | instid1(VALU_DEP_1)
	v_lshrrev_b32_e32 v57, 16, v55
	v_add_f16_e32 v55, v55, v57
	s_delay_alu instid0(VALU_DEP_1) | instskip(SKIP_3) | instid1(SALU_CYCLE_1)
	v_add_f16_e32 v55, v55, v56
	global_store_b16 v[20:21], v55, off
	s_or_b32 exec_lo, exec_lo, s14
	s_and_b32 s15, s4, s8
	s_and_saveexec_b32 s14, s15
	s_cbranch_execz .LBB246_119
.LBB246_138:
	v_cmp_ne_u32_e32 vcc_lo, 1, v60
	v_lshlrev_b64 v[20:21], 1, v[32:33]
	s_cbranch_vccnz .LBB246_140
; %bb.139:
	s_delay_alu instid0(VALU_DEP_1) | instskip(NEXT) | instid1(VALU_DEP_2)
	v_add_co_u32 v55, vcc_lo, v40, v20
	v_add_co_ci_u32_e32 v56, vcc_lo, v41, v21, vcc_lo
	flat_load_u16 v55, v[55:56]
	s_waitcnt vmcnt(0) lgkmcnt(0)
	v_mul_f16_e32 v55, v42, v55
	s_branch .LBB246_141
.LBB246_140:
	v_mov_b32_e32 v55, 0
.LBB246_141:
	v_pk_max_f16 v56, v0, v0
	v_pk_max_f16 v57, v8, v8
	;; [unrolled: 1-line block ×4, first 2 shown]
	v_add_co_u32 v20, vcc_lo, v22, v20
	s_delay_alu instid0(VALU_DEP_4) | instskip(SKIP_1) | instid1(VALU_DEP_4)
	v_pk_min_f16 v56, v57, v56
	v_add_co_ci_u32_e32 v21, vcc_lo, v23, v21, vcc_lo
	v_pk_min_f16 v57, v59, v58
	s_delay_alu instid0(VALU_DEP_3) | instskip(NEXT) | instid1(VALU_DEP_1)
	v_pk_add_f16 v54, v54, v56
	v_pk_add_f16 v54, v54, v57
	s_delay_alu instid0(VALU_DEP_1) | instskip(NEXT) | instid1(VALU_DEP_1)
	v_lshrrev_b32_e32 v56, 16, v54
	v_add_f16_e32 v54, v54, v56
	s_delay_alu instid0(VALU_DEP_1) | instskip(SKIP_3) | instid1(SALU_CYCLE_1)
	v_add_f16_e32 v54, v54, v55
	global_store_b16 v[20:21], v54, off
	s_or_b32 exec_lo, exec_lo, s14
	s_and_b32 s15, s5, s8
	s_and_saveexec_b32 s14, s15
	s_cbranch_execz .LBB246_120
.LBB246_142:
	v_cmp_ne_u32_e32 vcc_lo, 1, v60
	v_lshlrev_b64 v[20:21], 1, v[34:35]
	s_cbranch_vccnz .LBB246_144
; %bb.143:
	s_delay_alu instid0(VALU_DEP_1) | instskip(NEXT) | instid1(VALU_DEP_2)
	v_add_co_u32 v54, vcc_lo, v40, v20
	v_add_co_ci_u32_e32 v55, vcc_lo, v41, v21, vcc_lo
	flat_load_u16 v54, v[54:55]
	s_waitcnt vmcnt(0) lgkmcnt(0)
	v_mul_f16_e32 v54, v42, v54
	s_branch .LBB246_145
.LBB246_144:
	v_mov_b32_e32 v54, 0
.LBB246_145:
	v_pk_max_f16 v55, v0, v0
	v_pk_max_f16 v56, v10, v10
	;; [unrolled: 1-line block ×4, first 2 shown]
	v_add_co_u32 v20, vcc_lo, v22, v20
	s_delay_alu instid0(VALU_DEP_4) | instskip(SKIP_1) | instid1(VALU_DEP_4)
	v_pk_min_f16 v55, v56, v55
	v_add_co_ci_u32_e32 v21, vcc_lo, v23, v21, vcc_lo
	v_pk_min_f16 v56, v58, v57
	s_delay_alu instid0(VALU_DEP_3) | instskip(NEXT) | instid1(VALU_DEP_1)
	v_pk_add_f16 v53, v53, v55
	v_pk_add_f16 v53, v53, v56
	s_delay_alu instid0(VALU_DEP_1) | instskip(NEXT) | instid1(VALU_DEP_1)
	v_lshrrev_b32_e32 v55, 16, v53
	v_add_f16_e32 v53, v53, v55
	s_delay_alu instid0(VALU_DEP_1) | instskip(SKIP_3) | instid1(SALU_CYCLE_1)
	v_add_f16_e32 v53, v53, v54
	global_store_b16 v[20:21], v53, off
	s_or_b32 exec_lo, exec_lo, s14
	s_and_b32 s15, s6, s8
	s_and_saveexec_b32 s14, s15
	s_cbranch_execz .LBB246_121
.LBB246_146:
	v_cmp_ne_u32_e32 vcc_lo, 1, v60
	v_lshlrev_b64 v[20:21], 1, v[36:37]
	s_cbranch_vccnz .LBB246_148
; %bb.147:
	s_delay_alu instid0(VALU_DEP_1) | instskip(NEXT) | instid1(VALU_DEP_2)
	v_add_co_u32 v53, vcc_lo, v40, v20
	v_add_co_ci_u32_e32 v54, vcc_lo, v41, v21, vcc_lo
	flat_load_u16 v53, v[53:54]
	s_waitcnt vmcnt(0) lgkmcnt(0)
	v_mul_f16_e32 v53, v42, v53
	s_branch .LBB246_149
.LBB246_148:
	v_mov_b32_e32 v53, 0
.LBB246_149:
	v_pk_max_f16 v54, v0, v0
	v_pk_max_f16 v55, v4, v4
	;; [unrolled: 1-line block ×4, first 2 shown]
	v_add_co_u32 v20, vcc_lo, v22, v20
	s_delay_alu instid0(VALU_DEP_4) | instskip(SKIP_1) | instid1(VALU_DEP_4)
	v_pk_min_f16 v54, v55, v54
	v_add_co_ci_u32_e32 v21, vcc_lo, v23, v21, vcc_lo
	v_pk_min_f16 v55, v57, v56
	s_delay_alu instid0(VALU_DEP_3) | instskip(NEXT) | instid1(VALU_DEP_1)
	v_pk_add_f16 v52, v52, v54
	v_pk_add_f16 v52, v52, v55
	s_delay_alu instid0(VALU_DEP_1) | instskip(NEXT) | instid1(VALU_DEP_1)
	v_lshrrev_b32_e32 v54, 16, v52
	v_add_f16_e32 v52, v52, v54
	s_delay_alu instid0(VALU_DEP_1) | instskip(SKIP_3) | instid1(SALU_CYCLE_1)
	v_add_f16_e32 v52, v52, v53
	global_store_b16 v[20:21], v52, off
	s_or_b32 exec_lo, exec_lo, s14
	s_and_b32 s14, s7, s8
	s_and_saveexec_b32 s8, s14
	s_cbranch_execz .LBB246_154
.LBB246_150:
	v_cmp_ne_u32_e32 vcc_lo, 1, v60
	v_lshlrev_b64 v[20:21], 1, v[38:39]
	s_cbranch_vccnz .LBB246_152
; %bb.151:
	s_delay_alu instid0(VALU_DEP_1) | instskip(NEXT) | instid1(VALU_DEP_2)
	v_add_co_u32 v40, vcc_lo, v40, v20
	v_add_co_ci_u32_e32 v41, vcc_lo, v41, v21, vcc_lo
	flat_load_u16 v40, v[40:41]
	s_waitcnt vmcnt(0) lgkmcnt(0)
	v_mul_f16_e32 v40, v42, v40
	s_branch .LBB246_153
.LBB246_152:
	v_mov_b32_e32 v40, 0
.LBB246_153:
	v_pk_max_f16 v0, v0, v0
	v_pk_max_f16 v41, v6, v6
	;; [unrolled: 1-line block ×4, first 2 shown]
	s_delay_alu instid0(VALU_DEP_3) | instskip(NEXT) | instid1(VALU_DEP_2)
	v_pk_min_f16 v0, v41, v0
	v_pk_min_f16 v1, v52, v1
	s_delay_alu instid0(VALU_DEP_2) | instskip(NEXT) | instid1(VALU_DEP_1)
	v_pk_add_f16 v0, v51, v0
	v_pk_add_f16 v0, v0, v1
	s_delay_alu instid0(VALU_DEP_1) | instskip(NEXT) | instid1(VALU_DEP_1)
	v_lshrrev_b32_e32 v1, 16, v0
	v_add_f16_e32 v0, v0, v1
	s_delay_alu instid0(VALU_DEP_1)
	v_add_f16_e32 v40, v0, v40
	v_add_co_u32 v0, vcc_lo, v22, v20
	v_add_co_ci_u32_e32 v1, vcc_lo, v23, v21, vcc_lo
	global_store_b16 v[0:1], v40, off
.LBB246_154:
	s_or_b32 exec_lo, exec_lo, s8
	v_add_nc_u32_e32 v22, 0x60, v67
	s_delay_alu instid0(VALU_DEP_1) | instskip(SKIP_2) | instid1(VALU_DEP_3)
	v_mad_i64_i32 v[0:1], null, v22, s18, 0
	v_mad_i64_i32 v[20:21], null, v22, s9, 0
	v_cmp_gt_i32_e64 s8, s17, v22
	v_lshlrev_b64 v[0:1], 1, v[0:1]
	s_delay_alu instid0(VALU_DEP_2) | instskip(NEXT) | instid1(VALU_DEP_3)
	s_and_b32 s9, s0, s8
	v_lshlrev_b64 v[20:21], 1, v[20:21]
	s_delay_alu instid0(VALU_DEP_2) | instskip(NEXT) | instid1(VALU_DEP_3)
	v_add_co_u32 v22, vcc_lo, s10, v0
	v_add_co_ci_u32_e32 v23, vcc_lo, s11, v1, vcc_lo
	s_delay_alu instid0(VALU_DEP_3) | instskip(NEXT) | instid1(VALU_DEP_4)
	v_add_co_u32 v20, vcc_lo, s12, v20
	v_add_co_ci_u32_e32 v21, vcc_lo, s13, v21, vcc_lo
	s_and_saveexec_b32 s0, s9
	s_cbranch_execnz .LBB246_163
; %bb.155:
	s_or_b32 exec_lo, exec_lo, s0
	s_and_b32 s1, s1, s8
	s_delay_alu instid0(SALU_CYCLE_1)
	s_and_saveexec_b32 s0, s1
	s_cbranch_execnz .LBB246_167
.LBB246_156:
	s_or_b32 exec_lo, exec_lo, s0
	s_and_b32 s1, s2, s8
	s_delay_alu instid0(SALU_CYCLE_1)
	s_and_saveexec_b32 s0, s1
	s_cbranch_execnz .LBB246_171
.LBB246_157:
	s_or_b32 exec_lo, exec_lo, s0
	s_and_b32 s1, s3, s8
	s_delay_alu instid0(SALU_CYCLE_1)
	s_and_saveexec_b32 s0, s1
	s_cbranch_execnz .LBB246_175
.LBB246_158:
	s_or_b32 exec_lo, exec_lo, s0
	s_and_b32 s1, s4, s8
	s_delay_alu instid0(SALU_CYCLE_1)
	s_and_saveexec_b32 s0, s1
	s_cbranch_execnz .LBB246_179
.LBB246_159:
	s_or_b32 exec_lo, exec_lo, s0
	s_and_b32 s1, s5, s8
	s_delay_alu instid0(SALU_CYCLE_1)
	s_and_saveexec_b32 s0, s1
	s_cbranch_execnz .LBB246_183
.LBB246_160:
	s_or_b32 exec_lo, exec_lo, s0
	s_and_b32 s1, s6, s8
	s_delay_alu instid0(SALU_CYCLE_1)
	s_and_saveexec_b32 s0, s1
	s_cbranch_execnz .LBB246_187
.LBB246_161:
	s_or_b32 exec_lo, exec_lo, s0
	s_and_b32 s0, s7, s8
	s_delay_alu instid0(SALU_CYCLE_1)
	s_and_saveexec_b32 s1, s0
	s_cbranch_execnz .LBB246_191
.LBB246_162:
	s_nop 0
	s_sendmsg sendmsg(MSG_DEALLOC_VGPRS)
	s_endpgm
.LBB246_163:
	v_cmp_ne_u32_e32 vcc_lo, 1, v60
	v_lshlrev_b64 v[0:1], 1, v[24:25]
	s_cbranch_vccnz .LBB246_165
; %bb.164:
	s_delay_alu instid0(VALU_DEP_1) | instskip(NEXT) | instid1(VALU_DEP_2)
	v_add_co_u32 v24, vcc_lo, v22, v0
	v_add_co_ci_u32_e32 v25, vcc_lo, v23, v1, vcc_lo
	flat_load_u16 v24, v[24:25]
	s_waitcnt vmcnt(0) lgkmcnt(0)
	v_mul_f16_e32 v24, v42, v24
	s_branch .LBB246_166
.LBB246_165:
	v_mov_b32_e32 v24, 0
.LBB246_166:
	v_pk_max_f16 v25, v2, v2
	v_pk_max_f16 v16, v16, v16
	v_pk_max_f16 v40, v3, v3
	v_pk_max_f16 v17, v17, v17
	v_add_co_u32 v0, vcc_lo, v20, v0
	s_delay_alu instid0(VALU_DEP_4) | instskip(SKIP_1) | instid1(VALU_DEP_4)
	v_pk_min_f16 v16, v16, v25
	v_add_co_ci_u32_e32 v1, vcc_lo, v21, v1, vcc_lo
	v_pk_min_f16 v17, v17, v40
	s_delay_alu instid0(VALU_DEP_3) | instskip(NEXT) | instid1(VALU_DEP_1)
	v_pk_add_f16 v16, v50, v16
	v_pk_add_f16 v16, v16, v17
	s_delay_alu instid0(VALU_DEP_1) | instskip(NEXT) | instid1(VALU_DEP_1)
	v_lshrrev_b32_e32 v17, 16, v16
	v_add_f16_e32 v16, v16, v17
	s_delay_alu instid0(VALU_DEP_1) | instskip(SKIP_3) | instid1(SALU_CYCLE_1)
	v_add_f16_e32 v16, v16, v24
	global_store_b16 v[0:1], v16, off
	s_or_b32 exec_lo, exec_lo, s0
	s_and_b32 s1, s1, s8
	s_and_saveexec_b32 s0, s1
	s_cbranch_execz .LBB246_156
.LBB246_167:
	v_cmp_ne_u32_e32 vcc_lo, 1, v60
	v_lshlrev_b64 v[0:1], 1, v[26:27]
	s_cbranch_vccnz .LBB246_169
; %bb.168:
	s_delay_alu instid0(VALU_DEP_1) | instskip(NEXT) | instid1(VALU_DEP_2)
	v_add_co_u32 v16, vcc_lo, v22, v0
	v_add_co_ci_u32_e32 v17, vcc_lo, v23, v1, vcc_lo
	flat_load_u16 v16, v[16:17]
	s_waitcnt vmcnt(0) lgkmcnt(0)
	v_mul_f16_e32 v16, v42, v16
	s_branch .LBB246_170
.LBB246_169:
	v_mov_b32_e32 v16, 0
.LBB246_170:
	v_pk_max_f16 v17, v2, v2
	v_pk_max_f16 v18, v18, v18
	;; [unrolled: 1-line block ×4, first 2 shown]
	v_add_co_u32 v0, vcc_lo, v20, v0
	s_delay_alu instid0(VALU_DEP_4) | instskip(SKIP_1) | instid1(VALU_DEP_4)
	v_pk_min_f16 v17, v18, v17
	v_add_co_ci_u32_e32 v1, vcc_lo, v21, v1, vcc_lo
	v_pk_min_f16 v18, v19, v24
	s_delay_alu instid0(VALU_DEP_3) | instskip(NEXT) | instid1(VALU_DEP_1)
	v_pk_add_f16 v17, v49, v17
	v_pk_add_f16 v17, v17, v18
	s_delay_alu instid0(VALU_DEP_1) | instskip(NEXT) | instid1(VALU_DEP_1)
	v_lshrrev_b32_e32 v18, 16, v17
	v_add_f16_e32 v17, v17, v18
	s_delay_alu instid0(VALU_DEP_1) | instskip(SKIP_3) | instid1(SALU_CYCLE_1)
	v_add_f16_e32 v16, v17, v16
	global_store_b16 v[0:1], v16, off
	s_or_b32 exec_lo, exec_lo, s0
	s_and_b32 s1, s2, s8
	s_and_saveexec_b32 s0, s1
	s_cbranch_execz .LBB246_157
.LBB246_171:
	v_cmp_ne_u32_e32 vcc_lo, 1, v60
	v_lshlrev_b64 v[0:1], 1, v[28:29]
	s_cbranch_vccnz .LBB246_173
; %bb.172:
	s_delay_alu instid0(VALU_DEP_1) | instskip(NEXT) | instid1(VALU_DEP_2)
	v_add_co_u32 v16, vcc_lo, v22, v0
	v_add_co_ci_u32_e32 v17, vcc_lo, v23, v1, vcc_lo
	flat_load_u16 v16, v[16:17]
	s_waitcnt vmcnt(0) lgkmcnt(0)
	v_mul_f16_e32 v16, v42, v16
	s_branch .LBB246_174
.LBB246_173:
	v_mov_b32_e32 v16, 0
.LBB246_174:
	v_pk_max_f16 v17, v2, v2
	v_pk_max_f16 v12, v12, v12
	;; [unrolled: 1-line block ×4, first 2 shown]
	v_add_co_u32 v0, vcc_lo, v20, v0
	s_delay_alu instid0(VALU_DEP_4) | instskip(SKIP_1) | instid1(VALU_DEP_4)
	v_pk_min_f16 v12, v12, v17
	v_add_co_ci_u32_e32 v1, vcc_lo, v21, v1, vcc_lo
	v_pk_min_f16 v13, v13, v18
	s_delay_alu instid0(VALU_DEP_3) | instskip(NEXT) | instid1(VALU_DEP_1)
	v_pk_add_f16 v12, v48, v12
	v_pk_add_f16 v12, v12, v13
	s_delay_alu instid0(VALU_DEP_1) | instskip(NEXT) | instid1(VALU_DEP_1)
	v_lshrrev_b32_e32 v13, 16, v12
	v_add_f16_e32 v12, v12, v13
	s_delay_alu instid0(VALU_DEP_1) | instskip(SKIP_3) | instid1(SALU_CYCLE_1)
	v_add_f16_e32 v12, v12, v16
	global_store_b16 v[0:1], v12, off
	s_or_b32 exec_lo, exec_lo, s0
	s_and_b32 s1, s3, s8
	s_and_saveexec_b32 s0, s1
	s_cbranch_execz .LBB246_158
.LBB246_175:
	v_cmp_ne_u32_e32 vcc_lo, 1, v60
	v_lshlrev_b64 v[0:1], 1, v[30:31]
	s_cbranch_vccnz .LBB246_177
; %bb.176:
	s_delay_alu instid0(VALU_DEP_1) | instskip(NEXT) | instid1(VALU_DEP_2)
	v_add_co_u32 v12, vcc_lo, v22, v0
	v_add_co_ci_u32_e32 v13, vcc_lo, v23, v1, vcc_lo
	flat_load_u16 v12, v[12:13]
	s_waitcnt vmcnt(0) lgkmcnt(0)
	v_mul_f16_e32 v12, v42, v12
	s_branch .LBB246_178
.LBB246_177:
	v_mov_b32_e32 v12, 0
.LBB246_178:
	v_pk_max_f16 v13, v2, v2
	v_pk_max_f16 v14, v14, v14
	;; [unrolled: 1-line block ×4, first 2 shown]
	v_add_co_u32 v0, vcc_lo, v20, v0
	s_delay_alu instid0(VALU_DEP_4) | instskip(SKIP_1) | instid1(VALU_DEP_4)
	v_pk_min_f16 v13, v14, v13
	v_add_co_ci_u32_e32 v1, vcc_lo, v21, v1, vcc_lo
	v_pk_min_f16 v14, v15, v16
	s_delay_alu instid0(VALU_DEP_3) | instskip(NEXT) | instid1(VALU_DEP_1)
	v_pk_add_f16 v13, v47, v13
	v_pk_add_f16 v13, v13, v14
	s_delay_alu instid0(VALU_DEP_1) | instskip(NEXT) | instid1(VALU_DEP_1)
	v_lshrrev_b32_e32 v14, 16, v13
	v_add_f16_e32 v13, v13, v14
	s_delay_alu instid0(VALU_DEP_1) | instskip(SKIP_3) | instid1(SALU_CYCLE_1)
	v_add_f16_e32 v12, v13, v12
	global_store_b16 v[0:1], v12, off
	s_or_b32 exec_lo, exec_lo, s0
	s_and_b32 s1, s4, s8
	s_and_saveexec_b32 s0, s1
	s_cbranch_execz .LBB246_159
.LBB246_179:
	v_cmp_ne_u32_e32 vcc_lo, 1, v60
	v_lshlrev_b64 v[0:1], 1, v[32:33]
	s_cbranch_vccnz .LBB246_181
; %bb.180:
	s_delay_alu instid0(VALU_DEP_1) | instskip(NEXT) | instid1(VALU_DEP_2)
	v_add_co_u32 v12, vcc_lo, v22, v0
	v_add_co_ci_u32_e32 v13, vcc_lo, v23, v1, vcc_lo
	flat_load_u16 v12, v[12:13]
	s_waitcnt vmcnt(0) lgkmcnt(0)
	v_mul_f16_e32 v12, v42, v12
	s_branch .LBB246_182
.LBB246_181:
	v_mov_b32_e32 v12, 0
.LBB246_182:
	v_pk_max_f16 v13, v2, v2
	v_pk_max_f16 v8, v8, v8
	;; [unrolled: 1-line block ×4, first 2 shown]
	v_add_co_u32 v0, vcc_lo, v20, v0
	s_delay_alu instid0(VALU_DEP_4) | instskip(SKIP_1) | instid1(VALU_DEP_4)
	v_pk_min_f16 v8, v8, v13
	v_add_co_ci_u32_e32 v1, vcc_lo, v21, v1, vcc_lo
	v_pk_min_f16 v9, v9, v14
	s_delay_alu instid0(VALU_DEP_3) | instskip(NEXT) | instid1(VALU_DEP_1)
	v_pk_add_f16 v8, v46, v8
	v_pk_add_f16 v8, v8, v9
	s_delay_alu instid0(VALU_DEP_1) | instskip(NEXT) | instid1(VALU_DEP_1)
	v_lshrrev_b32_e32 v9, 16, v8
	v_add_f16_e32 v8, v8, v9
	s_delay_alu instid0(VALU_DEP_1) | instskip(SKIP_3) | instid1(SALU_CYCLE_1)
	v_add_f16_e32 v8, v8, v12
	global_store_b16 v[0:1], v8, off
	s_or_b32 exec_lo, exec_lo, s0
	s_and_b32 s1, s5, s8
	s_and_saveexec_b32 s0, s1
	s_cbranch_execz .LBB246_160
.LBB246_183:
	v_cmp_ne_u32_e32 vcc_lo, 1, v60
	v_lshlrev_b64 v[0:1], 1, v[34:35]
	s_cbranch_vccnz .LBB246_185
; %bb.184:
	s_delay_alu instid0(VALU_DEP_1) | instskip(NEXT) | instid1(VALU_DEP_2)
	v_add_co_u32 v8, vcc_lo, v22, v0
	v_add_co_ci_u32_e32 v9, vcc_lo, v23, v1, vcc_lo
	flat_load_u16 v8, v[8:9]
	s_waitcnt vmcnt(0) lgkmcnt(0)
	v_mul_f16_e32 v8, v42, v8
	s_branch .LBB246_186
.LBB246_185:
	v_mov_b32_e32 v8, 0
.LBB246_186:
	v_pk_max_f16 v9, v2, v2
	v_pk_max_f16 v10, v10, v10
	;; [unrolled: 1-line block ×4, first 2 shown]
	v_add_co_u32 v0, vcc_lo, v20, v0
	s_delay_alu instid0(VALU_DEP_4) | instskip(SKIP_1) | instid1(VALU_DEP_4)
	v_pk_min_f16 v9, v10, v9
	v_add_co_ci_u32_e32 v1, vcc_lo, v21, v1, vcc_lo
	v_pk_min_f16 v10, v11, v12
	s_delay_alu instid0(VALU_DEP_3) | instskip(NEXT) | instid1(VALU_DEP_1)
	v_pk_add_f16 v9, v45, v9
	v_pk_add_f16 v9, v9, v10
	s_delay_alu instid0(VALU_DEP_1) | instskip(NEXT) | instid1(VALU_DEP_1)
	v_lshrrev_b32_e32 v10, 16, v9
	v_add_f16_e32 v9, v9, v10
	s_delay_alu instid0(VALU_DEP_1) | instskip(SKIP_3) | instid1(SALU_CYCLE_1)
	v_add_f16_e32 v8, v9, v8
	global_store_b16 v[0:1], v8, off
	s_or_b32 exec_lo, exec_lo, s0
	s_and_b32 s1, s6, s8
	s_and_saveexec_b32 s0, s1
	s_cbranch_execz .LBB246_161
.LBB246_187:
	v_cmp_ne_u32_e32 vcc_lo, 1, v60
	v_lshlrev_b64 v[0:1], 1, v[36:37]
	s_cbranch_vccnz .LBB246_189
; %bb.188:
	s_delay_alu instid0(VALU_DEP_1) | instskip(NEXT) | instid1(VALU_DEP_2)
	v_add_co_u32 v8, vcc_lo, v22, v0
	v_add_co_ci_u32_e32 v9, vcc_lo, v23, v1, vcc_lo
	flat_load_u16 v8, v[8:9]
	s_waitcnt vmcnt(0) lgkmcnt(0)
	v_mul_f16_e32 v8, v42, v8
	s_branch .LBB246_190
.LBB246_189:
	v_mov_b32_e32 v8, 0
.LBB246_190:
	v_pk_max_f16 v9, v2, v2
	v_pk_max_f16 v4, v4, v4
	;; [unrolled: 1-line block ×4, first 2 shown]
	v_add_co_u32 v0, vcc_lo, v20, v0
	s_delay_alu instid0(VALU_DEP_4) | instskip(SKIP_1) | instid1(VALU_DEP_4)
	v_pk_min_f16 v4, v4, v9
	v_add_co_ci_u32_e32 v1, vcc_lo, v21, v1, vcc_lo
	v_pk_min_f16 v5, v5, v10
	s_delay_alu instid0(VALU_DEP_3) | instskip(NEXT) | instid1(VALU_DEP_1)
	v_pk_add_f16 v4, v44, v4
	v_pk_add_f16 v4, v4, v5
	s_delay_alu instid0(VALU_DEP_1) | instskip(NEXT) | instid1(VALU_DEP_1)
	v_lshrrev_b32_e32 v5, 16, v4
	v_add_f16_e32 v4, v4, v5
	s_delay_alu instid0(VALU_DEP_1) | instskip(SKIP_3) | instid1(SALU_CYCLE_1)
	v_add_f16_e32 v4, v4, v8
	global_store_b16 v[0:1], v4, off
	s_or_b32 exec_lo, exec_lo, s0
	s_and_b32 s0, s7, s8
	s_and_saveexec_b32 s1, s0
	s_cbranch_execz .LBB246_162
.LBB246_191:
	v_cmp_ne_u32_e32 vcc_lo, 1, v60
	v_lshlrev_b64 v[0:1], 1, v[38:39]
	s_cbranch_vccnz .LBB246_193
; %bb.192:
	s_delay_alu instid0(VALU_DEP_1) | instskip(NEXT) | instid1(VALU_DEP_2)
	v_add_co_u32 v4, vcc_lo, v22, v0
	v_add_co_ci_u32_e32 v5, vcc_lo, v23, v1, vcc_lo
	flat_load_u16 v4, v[4:5]
	s_waitcnt vmcnt(0) lgkmcnt(0)
	v_mul_f16_e32 v4, v42, v4
	s_branch .LBB246_194
.LBB246_193:
	v_mov_b32_e32 v4, 0
.LBB246_194:
	v_pk_max_f16 v2, v2, v2
	v_pk_max_f16 v5, v6, v6
	;; [unrolled: 1-line block ×4, first 2 shown]
	v_add_co_u32 v0, vcc_lo, v20, v0
	s_delay_alu instid0(VALU_DEP_4) | instskip(SKIP_1) | instid1(VALU_DEP_4)
	v_pk_min_f16 v2, v5, v2
	v_add_co_ci_u32_e32 v1, vcc_lo, v21, v1, vcc_lo
	v_pk_min_f16 v3, v6, v3
	s_delay_alu instid0(VALU_DEP_3) | instskip(NEXT) | instid1(VALU_DEP_1)
	v_pk_add_f16 v2, v43, v2
	v_pk_add_f16 v2, v2, v3
	s_delay_alu instid0(VALU_DEP_1) | instskip(NEXT) | instid1(VALU_DEP_1)
	v_lshrrev_b32_e32 v3, 16, v2
	v_add_f16_e32 v2, v2, v3
	s_delay_alu instid0(VALU_DEP_1)
	v_add_f16_e32 v2, v2, v4
	global_store_b16 v[0:1], v2, off
	s_nop 0
	s_sendmsg sendmsg(MSG_DEALLOC_VGPRS)
	s_endpgm
	.section	.rodata,"a",@progbits
	.p2align	6, 0x0
	.amdhsa_kernel _ZN12_GLOBAL__N_120geam_min_plus_kernelIDF16_Dv2_DF16_S1_Li8ELi32ELi64ELi128ELi4ELi64ELi4ELi64ELi4ELc78ELc84ELb0ELb1ELb0EPKDF16_KS3_KPDF16_EEviiiT16_PT17_ilS9_ilS7_S9_ilPT18_ili26rocblas_geam_ex_operation_
		.amdhsa_group_segment_fixed_size 3072
		.amdhsa_private_segment_fixed_size 0
		.amdhsa_kernarg_size 136
		.amdhsa_user_sgpr_count 14
		.amdhsa_user_sgpr_dispatch_ptr 0
		.amdhsa_user_sgpr_queue_ptr 0
		.amdhsa_user_sgpr_kernarg_segment_ptr 1
		.amdhsa_user_sgpr_dispatch_id 0
		.amdhsa_user_sgpr_private_segment_size 0
		.amdhsa_wavefront_size32 1
		.amdhsa_uses_dynamic_stack 0
		.amdhsa_enable_private_segment 0
		.amdhsa_system_sgpr_workgroup_id_x 1
		.amdhsa_system_sgpr_workgroup_id_y 0
		.amdhsa_system_sgpr_workgroup_id_z 1
		.amdhsa_system_sgpr_workgroup_info 0
		.amdhsa_system_vgpr_workitem_id 1
		.amdhsa_next_free_vgpr 127
		.amdhsa_next_free_sgpr 27
		.amdhsa_reserve_vcc 1
		.amdhsa_float_round_mode_32 0
		.amdhsa_float_round_mode_16_64 0
		.amdhsa_float_denorm_mode_32 3
		.amdhsa_float_denorm_mode_16_64 3
		.amdhsa_dx10_clamp 1
		.amdhsa_ieee_mode 1
		.amdhsa_fp16_overflow 0
		.amdhsa_workgroup_processor_mode 1
		.amdhsa_memory_ordered 1
		.amdhsa_forward_progress 0
		.amdhsa_shared_vgpr_count 0
		.amdhsa_exception_fp_ieee_invalid_op 0
		.amdhsa_exception_fp_denorm_src 0
		.amdhsa_exception_fp_ieee_div_zero 0
		.amdhsa_exception_fp_ieee_overflow 0
		.amdhsa_exception_fp_ieee_underflow 0
		.amdhsa_exception_fp_ieee_inexact 0
		.amdhsa_exception_int_div_zero 0
	.end_amdhsa_kernel
	.section	.text._ZN12_GLOBAL__N_120geam_min_plus_kernelIDF16_Dv2_DF16_S1_Li8ELi32ELi64ELi128ELi4ELi64ELi4ELi64ELi4ELc78ELc84ELb0ELb1ELb0EPKDF16_KS3_KPDF16_EEviiiT16_PT17_ilS9_ilS7_S9_ilPT18_ili26rocblas_geam_ex_operation_,"axG",@progbits,_ZN12_GLOBAL__N_120geam_min_plus_kernelIDF16_Dv2_DF16_S1_Li8ELi32ELi64ELi128ELi4ELi64ELi4ELi64ELi4ELc78ELc84ELb0ELb1ELb0EPKDF16_KS3_KPDF16_EEviiiT16_PT17_ilS9_ilS7_S9_ilPT18_ili26rocblas_geam_ex_operation_,comdat
.Lfunc_end246:
	.size	_ZN12_GLOBAL__N_120geam_min_plus_kernelIDF16_Dv2_DF16_S1_Li8ELi32ELi64ELi128ELi4ELi64ELi4ELi64ELi4ELc78ELc84ELb0ELb1ELb0EPKDF16_KS3_KPDF16_EEviiiT16_PT17_ilS9_ilS7_S9_ilPT18_ili26rocblas_geam_ex_operation_, .Lfunc_end246-_ZN12_GLOBAL__N_120geam_min_plus_kernelIDF16_Dv2_DF16_S1_Li8ELi32ELi64ELi128ELi4ELi64ELi4ELi64ELi4ELc78ELc84ELb0ELb1ELb0EPKDF16_KS3_KPDF16_EEviiiT16_PT17_ilS9_ilS7_S9_ilPT18_ili26rocblas_geam_ex_operation_
                                        ; -- End function
	.section	.AMDGPU.csdata,"",@progbits
; Kernel info:
; codeLenInByte = 13004
; NumSgprs: 29
; NumVgprs: 127
; ScratchSize: 0
; MemoryBound: 0
; FloatMode: 240
; IeeeMode: 1
; LDSByteSize: 3072 bytes/workgroup (compile time only)
; SGPRBlocks: 3
; VGPRBlocks: 15
; NumSGPRsForWavesPerEU: 29
; NumVGPRsForWavesPerEU: 127
; Occupancy: 10
; WaveLimiterHint : 1
; COMPUTE_PGM_RSRC2:SCRATCH_EN: 0
; COMPUTE_PGM_RSRC2:USER_SGPR: 14
; COMPUTE_PGM_RSRC2:TRAP_HANDLER: 0
; COMPUTE_PGM_RSRC2:TGID_X_EN: 1
; COMPUTE_PGM_RSRC2:TGID_Y_EN: 0
; COMPUTE_PGM_RSRC2:TGID_Z_EN: 1
; COMPUTE_PGM_RSRC2:TIDIG_COMP_CNT: 1
	.section	.text._ZN12_GLOBAL__N_120geam_min_plus_kernelIDF16_Dv2_DF16_S1_Li8ELi32ELi64ELi128ELi4ELi64ELi4ELi64ELi4ELc78ELc84ELb1ELb1ELb0EDF16_KPKDF16_KPDF16_EEviiiT16_PT17_ilS9_ilS7_S9_ilPT18_ili26rocblas_geam_ex_operation_,"axG",@progbits,_ZN12_GLOBAL__N_120geam_min_plus_kernelIDF16_Dv2_DF16_S1_Li8ELi32ELi64ELi128ELi4ELi64ELi4ELi64ELi4ELc78ELc84ELb1ELb1ELb0EDF16_KPKDF16_KPDF16_EEviiiT16_PT17_ilS9_ilS7_S9_ilPT18_ili26rocblas_geam_ex_operation_,comdat
	.globl	_ZN12_GLOBAL__N_120geam_min_plus_kernelIDF16_Dv2_DF16_S1_Li8ELi32ELi64ELi128ELi4ELi64ELi4ELi64ELi4ELc78ELc84ELb1ELb1ELb0EDF16_KPKDF16_KPDF16_EEviiiT16_PT17_ilS9_ilS7_S9_ilPT18_ili26rocblas_geam_ex_operation_ ; -- Begin function _ZN12_GLOBAL__N_120geam_min_plus_kernelIDF16_Dv2_DF16_S1_Li8ELi32ELi64ELi128ELi4ELi64ELi4ELi64ELi4ELc78ELc84ELb1ELb1ELb0EDF16_KPKDF16_KPDF16_EEviiiT16_PT17_ilS9_ilS7_S9_ilPT18_ili26rocblas_geam_ex_operation_
	.p2align	8
	.type	_ZN12_GLOBAL__N_120geam_min_plus_kernelIDF16_Dv2_DF16_S1_Li8ELi32ELi64ELi128ELi4ELi64ELi4ELi64ELi4ELc78ELc84ELb1ELb1ELb0EDF16_KPKDF16_KPDF16_EEviiiT16_PT17_ilS9_ilS7_S9_ilPT18_ili26rocblas_geam_ex_operation_,@function
_ZN12_GLOBAL__N_120geam_min_plus_kernelIDF16_Dv2_DF16_S1_Li8ELi32ELi64ELi128ELi4ELi64ELi4ELi64ELi4ELc78ELc84ELb1ELb1ELb0EDF16_KPKDF16_KPDF16_EEviiiT16_PT17_ilS9_ilS7_S9_ilPT18_ili26rocblas_geam_ex_operation_: ; @_ZN12_GLOBAL__N_120geam_min_plus_kernelIDF16_Dv2_DF16_S1_Li8ELi32ELi64ELi128ELi4ELi64ELi4ELi64ELi4ELc78ELc84ELb1ELb1ELb0EDF16_KPKDF16_KPDF16_EEviiiT16_PT17_ilS9_ilS7_S9_ilPT18_ili26rocblas_geam_ex_operation_
; %bb.0:
	s_clause 0x1
	s_load_b128 s[16:19], s[0:1], 0x0
	s_load_b128 s[4:7], s[0:1], 0x20
	s_mov_b32 s2, s15
	s_mov_b32 s3, 0
	s_waitcnt lgkmcnt(0)
	v_cmp_eq_f16_e64 s10, s19, 0
	s_delay_alu instid0(VALU_DEP_1)
	s_and_b32 vcc_lo, exec_lo, s10
	s_cbranch_vccnz .LBB247_3
; %bb.1:
	s_load_b64 s[8:9], s[0:1], 0x10
	s_lshl_b64 s[12:13], s[2:3], 3
	s_waitcnt lgkmcnt(0)
	s_add_u32 s8, s8, s12
	s_addc_u32 s9, s9, s13
	s_lshl_b64 s[4:5], s[4:5], 1
	s_load_b64 s[8:9], s[8:9], 0x0
	s_waitcnt lgkmcnt(0)
	s_add_u32 s8, s8, s4
	s_addc_u32 s9, s9, s5
	s_and_not1_b32 vcc_lo, exec_lo, s10
	s_cbranch_vccnz .LBB247_4
.LBB247_2:
	s_mov_b64 s[12:13], 0
	s_and_not1_b32 vcc_lo, exec_lo, s3
	s_cbranch_vccz .LBB247_5
	s_branch .LBB247_6
.LBB247_3:
	s_mov_b64 s[8:9], 0
	s_and_not1_b32 vcc_lo, exec_lo, s10
	s_cbranch_vccz .LBB247_2
.LBB247_4:
	s_mov_b32 s3, -1
                                        ; implicit-def: $sgpr12_sgpr13
.LBB247_5:
	s_mov_b32 s3, 0
	s_load_b64 s[10:11], s[0:1], 0x38
	s_lshl_b64 s[4:5], s[2:3], 3
	s_delay_alu instid0(SALU_CYCLE_1) | instskip(SKIP_4) | instid1(SALU_CYCLE_1)
	s_add_u32 s4, s6, s4
	s_addc_u32 s5, s7, s5
	s_load_b64 s[4:5], s[4:5], 0x0
	s_waitcnt lgkmcnt(0)
	s_lshl_b64 s[6:7], s[10:11], 1
	s_add_u32 s12, s4, s6
	s_addc_u32 s13, s5, s7
.LBB247_6:
	s_clause 0x1
	s_load_b32 s19, s[0:1], 0x40
	s_load_b128 s[4:7], s[0:1], 0x58
	s_waitcnt lgkmcnt(0)
	v_cmp_eq_f16_e64 s10, s19, 0
	v_cmp_neq_f16_e64 s22, s19, 0
	s_delay_alu instid0(VALU_DEP_2)
	s_and_b32 vcc_lo, exec_lo, s10
	s_cbranch_vccnz .LBB247_8
; %bb.7:
	s_load_b64 s[10:11], s[0:1], 0x48
	s_lshl_b64 s[20:21], s[2:3], 3
	s_waitcnt lgkmcnt(0)
	s_add_u32 s10, s10, s20
	s_addc_u32 s11, s11, s21
	s_lshl_b64 s[4:5], s[4:5], 1
	s_load_b64 s[10:11], s[10:11], 0x0
	s_waitcnt lgkmcnt(0)
	s_add_u32 s10, s10, s4
	s_addc_u32 s11, s11, s5
	s_branch .LBB247_9
.LBB247_8:
	s_mov_b64 s[10:11], 0
.LBB247_9:
	s_load_b32 s20, s[0:1], 0x18
	s_lshl_b64 s[2:3], s[2:3], 3
	v_dual_mov_b32 v9, 0 :: v_dual_and_b32 v32, 0x3ff, v0
	v_bfe_u32 v33, v0, 10, 10
	v_mov_b32_e32 v8, 0
	s_waitcnt lgkmcnt(0)
	s_ashr_i32 s21, s20, 31
	s_add_u32 s4, s6, s2
	s_addc_u32 s5, s7, s3
	s_add_i32 s2, s16, -1
	s_delay_alu instid0(SALU_CYCLE_1) | instskip(NEXT) | instid1(SALU_CYCLE_1)
	s_ashr_i32 s3, s2, 31
	s_lshr_b32 s3, s3, 26
	s_delay_alu instid0(SALU_CYCLE_1) | instskip(NEXT) | instid1(SALU_CYCLE_1)
	s_add_i32 s2, s2, s3
	s_ashr_i32 s2, s2, 6
	s_delay_alu instid0(SALU_CYCLE_1) | instskip(SKIP_2) | instid1(VALU_DEP_1)
	s_add_i32 s6, s2, 1
	s_not_b32 s2, s2
	v_cvt_f32_u32_e32 v1, s6
	v_rcp_iflag_f32_e32 v1, v1
	s_waitcnt_depctr 0xfff
	v_mul_f32_e32 v1, 0x4f7ffffe, v1
	s_delay_alu instid0(VALU_DEP_1) | instskip(NEXT) | instid1(VALU_DEP_1)
	v_cvt_u32_f32_e32 v1, v1
	v_readfirstlane_b32 s3, v1
	v_lshl_add_u32 v1, v33, 3, v32
	s_delay_alu instid0(VALU_DEP_2) | instskip(NEXT) | instid1(VALU_DEP_1)
	s_mul_i32 s2, s2, s3
	v_and_b32_e32 v7, 63, v1
	s_mul_hi_u32 s2, s3, s2
	v_lshrrev_b32_e32 v34, 6, v1
	s_add_i32 s3, s3, s2
	s_delay_alu instid0(SALU_CYCLE_1) | instskip(NEXT) | instid1(SALU_CYCLE_1)
	s_mul_hi_u32 s2, s14, s3
	s_mul_i32 s3, s2, s6
	s_add_i32 s7, s2, 1
	s_sub_i32 s3, s14, s3
	s_delay_alu instid0(SALU_CYCLE_1)
	s_sub_i32 s15, s3, s6
	s_cmp_ge_u32 s3, s6
	s_cselect_b32 s2, s7, s2
	s_cselect_b32 s3, s15, s3
	s_add_i32 s7, s2, 1
	s_cmp_ge_u32 s3, s6
	s_cselect_b32 s3, s7, s2
	s_delay_alu instid0(SALU_CYCLE_1) | instskip(SKIP_4) | instid1(SALU_CYCLE_1)
	s_mul_i32 s2, s3, s6
	s_load_b64 s[6:7], s[4:5], 0x0
	s_sub_i32 s2, s14, s2
	v_cmp_le_i32_e64 s4, s18, v34
	s_lshl_b32 s23, s2, 6
	v_or_b32_e32 v0, s23, v7
	s_delay_alu instid0(VALU_DEP_1) | instskip(SKIP_2) | instid1(SALU_CYCLE_1)
	v_cmp_le_i32_e32 vcc_lo, s16, v0
	v_ashrrev_i32_e32 v1, 31, v0
	s_or_b32 s2, s4, vcc_lo
	s_xor_b32 s2, s2, -1
	s_delay_alu instid0(SALU_CYCLE_1)
	s_and_saveexec_b32 s5, s2
	s_cbranch_execz .LBB247_11
; %bb.10:
	v_mad_i64_i32 v[2:3], null, s20, v34, 0
	v_lshlrev_b64 v[4:5], 1, v[0:1]
	s_delay_alu instid0(VALU_DEP_2) | instskip(NEXT) | instid1(VALU_DEP_1)
	v_lshlrev_b64 v[2:3], 1, v[2:3]
	v_add_co_u32 v2, s2, s8, v2
	s_delay_alu instid0(VALU_DEP_1) | instskip(NEXT) | instid1(VALU_DEP_2)
	v_add_co_ci_u32_e64 v3, s2, s9, v3, s2
	v_add_co_u32 v2, s2, v2, v4
	s_delay_alu instid0(VALU_DEP_1)
	v_add_co_ci_u32_e64 v3, s2, v3, v5, s2
	flat_load_u16 v9, v[2:3]
.LBB247_11:
	s_or_b32 exec_lo, exec_lo, s5
	s_load_b32 s14, s[0:1], 0x30
	s_lshl_b32 s24, s3, 7
	s_delay_alu instid0(SALU_CYCLE_1) | instskip(NEXT) | instid1(VALU_DEP_1)
	v_or_b32_e32 v2, s24, v7
	v_cmp_le_i32_e64 s2, s17, v2
	s_waitcnt lgkmcnt(0)
	v_mad_i64_i32 v[3:4], null, v34, s14, 0
	s_ashr_i32 s15, s14, 31
	s_delay_alu instid0(VALU_DEP_1) | instskip(NEXT) | instid1(VALU_DEP_1)
	v_lshlrev_b64 v[3:4], 1, v[3:4]
	v_add_co_u32 v5, s3, s12, v3
	s_delay_alu instid0(VALU_DEP_1) | instskip(SKIP_2) | instid1(SALU_CYCLE_1)
	v_add_co_ci_u32_e64 v6, s3, s13, v4, s3
	v_ashrrev_i32_e32 v3, 31, v2
	s_or_b32 s3, s4, s2
	s_xor_b32 s3, s3, -1
	s_delay_alu instid0(SALU_CYCLE_1)
	s_and_saveexec_b32 s5, s3
	s_cbranch_execz .LBB247_13
; %bb.12:
	v_lshlrev_b64 v[10:11], 1, v[2:3]
	s_delay_alu instid0(VALU_DEP_1) | instskip(NEXT) | instid1(VALU_DEP_1)
	v_add_co_u32 v10, s3, v5, v10
	v_add_co_ci_u32_e64 v11, s3, v6, v11, s3
	flat_load_u16 v8, v[10:11]
.LBB247_13:
	s_or_b32 exec_lo, exec_lo, s5
	v_or_b32_e32 v4, 64, v2
	v_mov_b32_e32 v10, 0
	s_delay_alu instid0(VALU_DEP_2) | instskip(SKIP_1) | instid1(VALU_DEP_2)
	v_cmp_le_i32_e64 s3, s17, v4
	v_mov_b32_e32 v4, 0
	s_or_b32 s4, s4, s3
	s_delay_alu instid0(SALU_CYCLE_1) | instskip(NEXT) | instid1(SALU_CYCLE_1)
	s_xor_b32 s4, s4, -1
	s_and_saveexec_b32 s5, s4
	s_cbranch_execz .LBB247_15
; %bb.14:
	v_lshlrev_b64 v[10:11], 1, v[2:3]
	s_delay_alu instid0(VALU_DEP_1) | instskip(NEXT) | instid1(VALU_DEP_1)
	v_add_co_u32 v5, s4, v5, v10
	v_add_co_ci_u32_e64 v6, s4, v6, v11, s4
	flat_load_u16 v10, v[5:6] offset:128
.LBB247_15:
	s_or_b32 exec_lo, exec_lo, s5
	v_add_nc_u32_e32 v5, 4, v34
	s_delay_alu instid0(VALU_DEP_1) | instskip(NEXT) | instid1(VALU_DEP_1)
	v_cmp_le_i32_e64 s4, s18, v5
	s_or_b32 s5, vcc_lo, s4
	s_delay_alu instid0(SALU_CYCLE_1) | instskip(NEXT) | instid1(SALU_CYCLE_1)
	s_xor_b32 s5, s5, -1
	s_and_saveexec_b32 s25, s5
	s_cbranch_execz .LBB247_17
; %bb.16:
	v_mad_i64_i32 v[11:12], null, s20, v5, 0
	v_lshlrev_b64 v[13:14], 1, v[0:1]
	s_delay_alu instid0(VALU_DEP_2) | instskip(NEXT) | instid1(VALU_DEP_1)
	v_lshlrev_b64 v[11:12], 1, v[11:12]
	v_add_co_u32 v4, s5, s8, v11
	s_delay_alu instid0(VALU_DEP_1) | instskip(NEXT) | instid1(VALU_DEP_2)
	v_add_co_ci_u32_e64 v6, s5, s9, v12, s5
	v_add_co_u32 v11, s5, v4, v13
	s_delay_alu instid0(VALU_DEP_1)
	v_add_co_ci_u32_e64 v12, s5, v6, v14, s5
	flat_load_u16 v4, v[11:12]
.LBB247_17:
	s_or_b32 exec_lo, exec_lo, s25
	v_mad_i64_i32 v[11:12], null, v5, s14, 0
	v_dual_mov_b32 v5, 0 :: v_dual_mov_b32 v6, 0
	s_delay_alu instid0(VALU_DEP_2) | instskip(NEXT) | instid1(VALU_DEP_1)
	v_lshlrev_b64 v[11:12], 1, v[11:12]
	v_add_co_u32 v11, s5, s12, v11
	s_delay_alu instid0(VALU_DEP_1) | instskip(SKIP_1) | instid1(SALU_CYCLE_1)
	v_add_co_ci_u32_e64 v12, s5, s13, v12, s5
	s_or_b32 s5, s2, s4
	s_xor_b32 s5, s5, -1
	s_delay_alu instid0(SALU_CYCLE_1)
	s_and_saveexec_b32 s25, s5
	s_cbranch_execz .LBB247_19
; %bb.18:
	v_lshlrev_b64 v[13:14], 1, v[2:3]
	s_delay_alu instid0(VALU_DEP_1) | instskip(NEXT) | instid1(VALU_DEP_1)
	v_add_co_u32 v13, s5, v11, v13
	v_add_co_ci_u32_e64 v14, s5, v12, v14, s5
	flat_load_u16 v6, v[13:14]
.LBB247_19:
	s_or_b32 exec_lo, exec_lo, s25
	s_or_b32 s4, s3, s4
	s_delay_alu instid0(SALU_CYCLE_1) | instskip(NEXT) | instid1(SALU_CYCLE_1)
	s_xor_b32 s4, s4, -1
	s_and_saveexec_b32 s5, s4
	s_cbranch_execz .LBB247_21
; %bb.20:
	v_lshlrev_b64 v[13:14], 1, v[2:3]
	s_delay_alu instid0(VALU_DEP_1) | instskip(NEXT) | instid1(VALU_DEP_1)
	v_add_co_u32 v11, s4, v11, v13
	v_add_co_ci_u32_e64 v12, s4, v12, v14, s4
	flat_load_u16 v5, v[11:12] offset:128
.LBB247_21:
	s_or_b32 exec_lo, exec_lo, s5
	v_lshlrev_b32_e32 v11, 1, v34
	v_lshlrev_b32_e32 v36, 3, v32
	;; [unrolled: 1-line block ×3, first 2 shown]
	s_mov_b32 s25, 0
	s_cmp_lt_i32 s18, 9
	v_lshl_add_u32 v37, v7, 3, v11
	v_add_nc_u32_e32 v27, 0x800, v36
	s_waitcnt vmcnt(0) lgkmcnt(0)
	ds_store_b16 v37, v8
	ds_store_b16 v37, v9 offset:2048
	ds_store_b16 v37, v10 offset:512
	s_waitcnt lgkmcnt(0)
	s_barrier
	buffer_gl0_inv
	ds_load_2addr_b64 v[7:10], v35 offset1:32
	ds_load_2addr_b64 v[11:14], v27 offset0:48 offset1:56
	ds_load_2addr_b64 v[15:18], v35 offset0:64 offset1:96
	ds_load_2addr_b64 v[19:22], v27 offset1:8
	ds_load_2addr_b64 v[23:26], v27 offset0:16 offset1:24
	ds_load_2addr_b64 v[27:30], v27 offset0:32 offset1:40
	ds_store_b16 v37, v6 offset:1024
	ds_store_b16 v37, v4 offset:2560
	;; [unrolled: 1-line block ×3, first 2 shown]
	s_waitcnt lgkmcnt(0)
	s_barrier
	buffer_gl0_inv
	v_pk_max_f16 v7, v7, v7
	v_pk_max_f16 v9, v9, v9
	;; [unrolled: 1-line block ×8, first 2 shown]
	v_pk_min_f16 v48, v23, v15
	v_pk_min_f16 v49, v25, v9
	v_pk_max_f16 v17, v17, v17
	v_pk_max_f16 v21, v21, v21
	v_pk_min_f16 v31, v13, v7
	v_pk_add_f16 v51, v48, 0
	v_pk_min_f16 v48, v25, v7
	v_pk_min_f16 v50, v25, v15
	v_pk_add_f16 v53, v49, 0
	v_pk_min_f16 v49, v27, v9
	v_pk_max_f16 v29, v29, v29
	v_pk_add_f16 v52, v48, 0
	v_pk_min_f16 v48, v27, v7
	v_pk_max_f16 v11, v11, v11
	v_pk_max_f16 v8, v8, v8
	;; [unrolled: 1-line block ×3, first 2 shown]
	v_pk_min_f16 v38, v13, v9
	v_pk_add_f16 v59, v48, 0
	v_pk_min_f16 v48, v27, v15
	v_pk_min_f16 v39, v13, v15
	;; [unrolled: 1-line block ×8, first 2 shown]
	v_pk_add_f16 v31, v31, 0
	v_pk_min_f16 v45, v21, v15
	v_pk_min_f16 v21, v21, v17
	;; [unrolled: 1-line block ×6, first 2 shown]
	v_pk_add_f16 v54, v50, 0
	v_pk_min_f16 v27, v27, v17
	v_pk_add_f16 v60, v49, 0
	v_pk_min_f16 v49, v29, v7
	v_pk_min_f16 v50, v29, v9
	v_pk_add_f16 v61, v48, 0
	v_pk_min_f16 v48, v29, v15
	v_pk_min_f16 v29, v29, v17
	;; [unrolled: 1-line block ×6, first 2 shown]
	v_pk_max_f16 v10, v10, v10
	v_pk_min_f16 v13, v13, v17
	v_pk_min_f16 v17, v14, v8
	v_pk_add_f16 v38, v38, 0
	v_pk_add_f16 v73, v48, 0
	v_pk_max_f16 v16, v16, v16
	v_pk_min_f16 v48, v14, v10
	v_pk_max_f16 v20, v20, v20
	v_pk_add_f16 v68, v31, v17
	v_pk_max_f16 v17, v18, v18
	v_pk_add_f16 v39, v39, 0
	v_pk_add_f16 v40, v40, 0
	;; [unrolled: 1-line block ×4, first 2 shown]
	v_pk_min_f16 v49, v14, v16
	v_pk_add_f16 v58, v38, v48
	v_pk_min_f16 v18, v20, v8
	v_pk_min_f16 v31, v20, v10
	v_pk_min_f16 v38, v20, v16
	v_pk_min_f16 v20, v20, v17
	v_pk_max_f16 v22, v22, v22
	v_pk_add_f16 v43, v43, 0
	v_pk_add_f16 v44, v44, 0
	;; [unrolled: 1-line block ×8, first 2 shown]
	v_pk_min_f16 v18, v22, v8
	v_pk_min_f16 v19, v22, v10
	;; [unrolled: 1-line block ×4, first 2 shown]
	v_pk_max_f16 v24, v24, v24
	v_pk_add_f16 v46, v46, 0
	v_pk_add_f16 v47, v47, 0
	;; [unrolled: 1-line block ×7, first 2 shown]
	v_pk_min_f16 v18, v24, v8
	v_pk_min_f16 v19, v24, v10
	;; [unrolled: 1-line block ×4, first 2 shown]
	v_pk_max_f16 v22, v26, v26
	v_pk_add_f16 v41, v41, 0
	v_pk_add_f16 v25, v25, 0
	;; [unrolled: 1-line block ×6, first 2 shown]
	v_pk_min_f16 v18, v22, v8
	v_pk_min_f16 v19, v22, v10
	;; [unrolled: 1-line block ×4, first 2 shown]
	v_pk_max_f16 v22, v28, v28
	v_pk_add_f16 v27, v27, 0
	v_pk_add_f16 v67, v41, v31
	;; [unrolled: 1-line block ×6, first 2 shown]
	v_pk_min_f16 v18, v22, v8
	v_pk_min_f16 v19, v22, v10
	;; [unrolled: 1-line block ×4, first 2 shown]
	v_pk_max_f16 v22, v30, v30
	v_pk_max_f16 v12, v12, v12
	v_pk_add_f16 v42, v42, 0
	v_pk_add_f16 v29, v29, 0
	v_pk_add_f16 v7, v7, 0
	v_pk_add_f16 v9, v9, 0
	v_pk_add_f16 v15, v15, 0
	v_pk_add_f16 v11, v11, 0
	v_pk_add_f16 v13, v13, 0
	v_pk_add_f16 v39, v59, v18
	v_pk_add_f16 v62, v60, v19
	v_pk_add_f16 v53, v61, v20
	v_pk_add_f16 v45, v27, v21
	v_pk_min_f16 v18, v22, v8
	v_pk_min_f16 v19, v22, v10
	;; [unrolled: 1-line block ×9, first 2 shown]
	v_pk_add_f16 v57, v42, v38
	v_pk_add_f16 v38, v66, v18
	;; [unrolled: 1-line block ×10, first 2 shown]
	s_cbranch_scc1 .LBB247_36
; %bb.22:
	v_add_nc_u32_e32 v4, v35, v32
	v_lshlrev_b64 v[0:1], 1, v[0:1]
	v_or_b32_e32 v59, 0x800, v37
	v_add_nc_u32_e32 v66, 0x800, v36
	v_add_nc_u32_e32 v72, 0xa00, v37
	v_lshrrev_b32_e32 v4, 6, v4
	v_or_b32_e32 v73, 0x400, v37
	v_add_co_u32 v74, s4, s8, v0
	s_delay_alu instid0(VALU_DEP_1) | instskip(NEXT) | instid1(VALU_DEP_4)
	v_add_co_ci_u32_e64 v75, s4, s9, v1, s4
	v_add_nc_u32_e32 v8, 12, v4
	v_add_nc_u32_e32 v12, 8, v4
	v_lshlrev_b64 v[0:1], 1, v[2:3]
	v_lshl_add_u32 v76, v32, 3, 0xa00
	v_add_nc_u32_e32 v77, 0x400, v35
	v_mad_i64_i32 v[4:5], null, v8, s14, 0
	v_mad_i64_i32 v[6:7], null, v8, s20, 0
	;; [unrolled: 1-line block ×4, first 2 shown]
	v_add_co_u32 v78, s4, s12, v0
	v_lshlrev_b64 v[24:25], 1, v[4:5]
	v_lshlrev_b64 v[26:27], 1, v[6:7]
	;; [unrolled: 1-line block ×3, first 2 shown]
	v_add_co_ci_u32_e64 v79, s4, s13, v1, s4
	v_lshlrev_b64 v[30:31], 1, v[10:11]
	s_add_i32 s26, s18, -8
	s_lshl_b64 s[8:9], s[14:15], 4
	s_lshl_b64 s[12:13], s[20:21], 4
	s_branch .LBB247_24
.LBB247_23:                             ;   in Loop: Header=BB247_24 Depth=1
	s_or_b32 exec_lo, exec_lo, s5
	v_pk_add_f16 v16, v50, v16
	v_pk_add_f16 v22, v49, v22
	;; [unrolled: 1-line block ×27, first 2 shown]
	ds_load_2addr_b64 v[39:42], v66 offset0:48 offset1:56
	ds_load_2addr_b64 v[43:46], v35 offset1:32
	v_pk_add_f16 v9, v47, v9
	ds_load_2addr_b64 v[47:50], v35 offset0:64 offset1:96
	v_pk_add_f16 v55, v55, v87
	v_pk_add_f16 v6, v62, v6
	v_pk_add_f16 v62, v53, v93
	v_pk_add_f16 v65, v52, v97
	v_pk_add_f16 v69, v51, v101
	v_pk_add_f16 v87, v54, v104
	ds_load_2addr_b64 v[51:54], v66 offset1:8
	v_pk_add_f16 v38, v38, v95
	v_pk_add_f16 v61, v61, v96
	;; [unrolled: 1-line block ×9, first 2 shown]
	s_waitcnt lgkmcnt(3)
	v_pk_max_f16 v41, v41, v41
	s_waitcnt lgkmcnt(2)
	v_pk_max_f16 v43, v43, v43
	v_pk_max_f16 v45, v45, v45
	s_waitcnt lgkmcnt(1)
	v_pk_max_f16 v47, v47, v47
	v_pk_add_f16 v64, v64, v3
	v_pk_add_f16 v38, v38, v7
	;; [unrolled: 1-line block ×6, first 2 shown]
	v_pk_min_f16 v4, v41, v43
	v_pk_min_f16 v5, v41, v45
	;; [unrolled: 1-line block ×3, first 2 shown]
	ds_load_2addr_b64 v[0:3], v66 offset0:16 offset1:24
	s_waitcnt lgkmcnt(1)
	v_pk_max_f16 v7, v51, v51
	v_pk_max_f16 v49, v49, v49
	v_pk_add_f16 v14, v14, v112
	v_pk_add_f16 v18, v18, v113
	;; [unrolled: 1-line block ×7, first 2 shown]
	v_pk_min_f16 v4, v7, v43
	v_pk_min_f16 v5, v7, v45
	;; [unrolled: 1-line block ×4, first 2 shown]
	v_pk_max_f16 v53, v53, v53
	v_pk_add_f16 v14, v14, v4
	v_pk_add_f16 v18, v18, v5
	;; [unrolled: 1-line block ×4, first 2 shown]
	ds_load_2addr_b64 v[4:7], v66 offset0:32 offset1:40
	v_pk_add_f16 v8, v8, v116
	v_pk_add_f16 v13, v65, v13
	;; [unrolled: 1-line block ×4, first 2 shown]
	v_pk_min_f16 v65, v53, v43
	v_pk_min_f16 v67, v53, v45
	;; [unrolled: 1-line block ×3, first 2 shown]
	s_waitcnt lgkmcnt(1)
	v_pk_max_f16 v0, v0, v0
	v_pk_add_f16 v56, v56, v120
	v_pk_add_f16 v21, v69, v21
	;; [unrolled: 1-line block ×5, first 2 shown]
	v_pk_min_f16 v67, v0, v43
	v_pk_min_f16 v68, v0, v45
	;; [unrolled: 1-line block ×4, first 2 shown]
	v_pk_max_f16 v2, v2, v2
	v_pk_add_f16 v57, v57, v103
	v_pk_add_f16 v83, v56, v67
	s_waitcnt lgkmcnt(0)
	v_pk_max_f16 v4, v4, v4
	v_pk_add_f16 v0, v9, v0
	v_pk_min_f16 v9, v2, v43
	v_pk_min_f16 v56, v2, v45
	v_pk_add_f16 v63, v63, v106
	v_pk_add_f16 v58, v58, v105
	v_pk_min_f16 v53, v53, v49
	v_pk_add_f16 v9, v23, v9
	v_pk_add_f16 v23, v57, v56
	v_pk_min_f16 v56, v4, v43
	v_pk_min_f16 v67, v2, v47
	;; [unrolled: 1-line block ×4, first 2 shown]
	v_pk_max_f16 v6, v6, v6
	v_pk_add_f16 v85, v63, v56
	v_pk_min_f16 v56, v4, v47
	v_pk_max_f16 v39, v39, v39
	v_pk_add_f16 v53, v86, v53
	v_pk_add_f16 v84, v87, v67
	;; [unrolled: 1-line block ×4, first 2 shown]
	v_pk_min_f16 v57, v6, v43
	v_pk_min_f16 v58, v6, v45
	v_pk_add_f16 v87, v62, v56
	v_pk_min_f16 v56, v6, v47
	v_pk_min_f16 v6, v6, v49
	;; [unrolled: 1-line block ×5, first 2 shown]
	v_pk_max_f16 v42, v42, v42
	v_pk_max_f16 v88, v46, v46
	v_pk_add_f16 v6, v15, v6
	v_pk_add_f16 v15, v17, v43
	;; [unrolled: 1-line block ×4, first 2 shown]
	v_pk_min_f16 v21, v39, v49
	v_pk_max_f16 v43, v44, v44
	v_pk_min_f16 v39, v41, v49
	v_pk_max_f16 v89, v48, v48
	v_pk_min_f16 v44, v42, v88
	v_pk_add_f16 v10, v10, v121
	v_pk_add_f16 v11, v11, v58
	v_pk_min_f16 v41, v42, v43
	v_pk_add_f16 v90, v61, v39
	v_pk_min_f16 v39, v42, v89
	v_pk_max_f16 v45, v52, v52
	v_pk_add_f16 v58, v12, v44
	v_pk_max_f16 v12, v50, v50
	v_pk_add_f16 v10, v10, v68
	v_pk_add_f16 v68, v51, v41
	;; [unrolled: 1-line block ×3, first 2 shown]
	v_pk_min_f16 v16, v45, v43
	v_pk_min_f16 v39, v45, v88
	;; [unrolled: 1-line block ×4, first 2 shown]
	v_pk_max_f16 v45, v54, v54
	v_pk_add_f16 v55, v55, v122
	v_pk_add_f16 v71, v14, v16
	v_pk_max_f16 v1, v1, v1
	v_pk_add_f16 v67, v18, v39
	v_pk_min_f16 v14, v45, v43
	v_pk_min_f16 v16, v45, v88
	v_pk_add_f16 v55, v55, v70
	v_pk_min_f16 v18, v45, v89
	v_pk_max_f16 v3, v3, v3
	v_pk_add_f16 v70, v8, v14
	v_pk_add_f16 v65, v65, v16
	v_pk_min_f16 v8, v1, v43
	v_pk_min_f16 v14, v1, v88
	;; [unrolled: 1-line block ×5, first 2 shown]
	v_pk_add_f16 v13, v13, v56
	v_pk_add_f16 v56, v69, v18
	;; [unrolled: 1-line block ×4, first 2 shown]
	v_pk_min_f16 v0, v3, v43
	v_pk_min_f16 v1, v3, v88
	;; [unrolled: 1-line block ×4, first 2 shown]
	v_pk_max_f16 v5, v5, v5
	v_pk_add_f16 v4, v64, v4
	v_pk_add_f16 v38, v38, v57
	;; [unrolled: 1-line block ×3, first 2 shown]
	v_pk_min_f16 v20, v45, v12
	v_pk_add_f16 v41, v9, v0
	v_pk_add_f16 v63, v23, v1
	;; [unrolled: 1-line block ×3, first 2 shown]
	v_pk_min_f16 v0, v5, v43
	v_pk_min_f16 v1, v5, v88
	;; [unrolled: 1-line block ×4, first 2 shown]
	v_pk_max_f16 v5, v7, v7
	v_pk_add_f16 v48, v53, v20
	v_pk_add_f16 v39, v85, v0
	;; [unrolled: 1-line block ×5, first 2 shown]
	v_pk_min_f16 v0, v5, v43
	v_pk_min_f16 v1, v5, v88
	;; [unrolled: 1-line block ×4, first 2 shown]
	v_pk_max_f16 v4, v40, v40
	v_pk_add_f16 v21, v60, v21
	v_pk_add_f16 v49, v22, v44
	;; [unrolled: 1-line block ×6, first 2 shown]
	v_pk_min_f16 v0, v4, v43
	v_pk_min_f16 v1, v4, v88
	;; [unrolled: 1-line block ×5, first 2 shown]
	v_add_co_u32 v78, s4, v78, s8
	s_delay_alu instid0(VALU_DEP_1)
	v_add_co_ci_u32_e64 v79, s4, s9, v79, s4
	v_add_co_u32 v74, s4, v74, s12
	v_pk_add_f16 v64, v10, v14
	v_pk_add_f16 v55, v55, v16
	;; [unrolled: 1-line block ×8, first 2 shown]
	v_add_co_ci_u32_e64 v75, s4, s13, v75, s4
	s_add_i32 s25, s25, 8
	s_waitcnt vmcnt(0)
	ds_store_b16 v72, v80
	ds_store_b16 v73, v82
	ds_store_b16 v73, v81 offset:512
	s_cmp_ge_i32 s25, s26
	s_waitcnt lgkmcnt(0)
	s_barrier
	buffer_gl0_inv
	s_cbranch_scc1 .LBB247_36
.LBB247_24:                             ; =>This Inner Loop Header: Depth=1
	v_dual_mov_b32 v82, 0 :: v_dual_add_nc_u32 v81, s25, v34
	s_delay_alu instid0(VALU_DEP_1) | instskip(NEXT) | instid1(VALU_DEP_1)
	v_dual_mov_b32 v83, 0 :: v_dual_add_nc_u32 v0, 8, v81
	v_cmp_le_i32_e64 s4, s18, v0
	s_delay_alu instid0(VALU_DEP_1) | instskip(NEXT) | instid1(SALU_CYCLE_1)
	s_or_b32 s5, vcc_lo, s4
	s_xor_b32 s5, s5, -1
	s_delay_alu instid0(SALU_CYCLE_1)
	s_and_saveexec_b32 s14, s5
	s_cbranch_execz .LBB247_26
; %bb.25:                               ;   in Loop: Header=BB247_24 Depth=1
	v_add_co_u32 v0, s5, v74, v28
	s_delay_alu instid0(VALU_DEP_1)
	v_add_co_ci_u32_e64 v1, s5, v75, v29, s5
	flat_load_u16 v83, v[0:1]
.LBB247_26:                             ;   in Loop: Header=BB247_24 Depth=1
	s_or_b32 exec_lo, exec_lo, s14
	s_or_b32 s5, s2, s4
	s_delay_alu instid0(SALU_CYCLE_1) | instskip(NEXT) | instid1(SALU_CYCLE_1)
	s_xor_b32 s5, s5, -1
	s_and_saveexec_b32 s14, s5
	s_cbranch_execz .LBB247_28
; %bb.27:                               ;   in Loop: Header=BB247_24 Depth=1
	v_add_co_u32 v0, s5, v78, v30
	s_delay_alu instid0(VALU_DEP_1)
	v_add_co_ci_u32_e64 v1, s5, v79, v31, s5
	flat_load_u16 v82, v[0:1]
.LBB247_28:                             ;   in Loop: Header=BB247_24 Depth=1
	s_or_b32 exec_lo, exec_lo, s14
	v_mov_b32_e32 v80, 0
	v_mov_b32_e32 v84, 0
	s_or_b32 s4, s3, s4
	s_delay_alu instid0(SALU_CYCLE_1) | instskip(NEXT) | instid1(SALU_CYCLE_1)
	s_xor_b32 s4, s4, -1
	s_and_saveexec_b32 s5, s4
	s_cbranch_execz .LBB247_30
; %bb.29:                               ;   in Loop: Header=BB247_24 Depth=1
	v_add_co_u32 v0, s4, v78, v30
	s_delay_alu instid0(VALU_DEP_1)
	v_add_co_ci_u32_e64 v1, s4, v79, v31, s4
	flat_load_u16 v84, v[0:1] offset:128
.LBB247_30:                             ;   in Loop: Header=BB247_24 Depth=1
	s_or_b32 exec_lo, exec_lo, s5
	ds_load_2addr_b64 v[0:3], v76 offset0:48 offset1:56
	ds_load_2addr_b64 v[12:15], v77 offset0:64 offset1:96
	ds_load_2addr_b64 v[20:23], v77 offset1:32
	ds_load_2addr_b64 v[16:19], v76 offset1:8
	ds_load_2addr_b64 v[8:11], v76 offset0:16 offset1:24
	ds_load_2addr_b64 v[4:7], v76 offset0:32 offset1:40
	v_add_nc_u32_e32 v81, 12, v81
	s_waitcnt vmcnt(0) lgkmcnt(6)
	ds_store_b16 v59, v83
	ds_store_b16 v37, v82
	ds_store_b16 v37, v84 offset:512
	s_waitcnt lgkmcnt(0)
	s_barrier
	buffer_gl0_inv
	v_cmp_le_i32_e64 s4, s18, v81
	s_delay_alu instid0(VALU_DEP_1) | instskip(NEXT) | instid1(SALU_CYCLE_1)
	s_or_b32 s5, vcc_lo, s4
	s_xor_b32 s5, s5, -1
	s_delay_alu instid0(SALU_CYCLE_1)
	s_and_saveexec_b32 s14, s5
	s_cbranch_execz .LBB247_32
; %bb.31:                               ;   in Loop: Header=BB247_24 Depth=1
	v_add_co_u32 v80, s5, v74, v26
	s_delay_alu instid0(VALU_DEP_1)
	v_add_co_ci_u32_e64 v81, s5, v75, v27, s5
	flat_load_u16 v80, v[80:81]
.LBB247_32:                             ;   in Loop: Header=BB247_24 Depth=1
	s_or_b32 exec_lo, exec_lo, s14
	v_dual_mov_b32 v81, 0 :: v_dual_mov_b32 v82, 0
	s_or_b32 s5, s2, s4
	s_delay_alu instid0(SALU_CYCLE_1) | instskip(NEXT) | instid1(SALU_CYCLE_1)
	s_xor_b32 s5, s5, -1
	s_and_saveexec_b32 s14, s5
	s_cbranch_execz .LBB247_34
; %bb.33:                               ;   in Loop: Header=BB247_24 Depth=1
	v_add_co_u32 v82, s5, v78, v24
	s_delay_alu instid0(VALU_DEP_1)
	v_add_co_ci_u32_e64 v83, s5, v79, v25, s5
	flat_load_u16 v82, v[82:83]
.LBB247_34:                             ;   in Loop: Header=BB247_24 Depth=1
	s_or_b32 exec_lo, exec_lo, s14
	v_pk_max_f16 v103, v2, v2
	v_pk_max_f16 v99, v20, v20
	;; [unrolled: 1-line block ×12, first 2 shown]
	v_pk_min_f16 v2, v103, v99
	v_pk_min_f16 v12, v103, v100
	v_pk_min_f16 v16, v103, v101
	v_pk_min_f16 v14, v22, v99
	v_pk_min_f16 v18, v22, v100
	v_pk_min_f16 v20, v22, v101
	v_pk_min_f16 v8, v85, v99
	v_pk_min_f16 v83, v85, v100
	v_pk_min_f16 v84, v85, v101
	v_pk_min_f16 v86, v88, v99
	v_pk_min_f16 v10, v88, v100
	v_pk_min_f16 v87, v88, v101
	v_pk_min_f16 v4, v91, v99
	v_pk_min_f16 v89, v91, v100
	v_pk_min_f16 v90, v91, v101
	v_pk_min_f16 v92, v94, v99
	v_pk_min_f16 v6, v94, v100
	v_pk_min_f16 v93, v94, v101
	v_pk_min_f16 v95, v98, v99
	v_pk_min_f16 v96, v98, v100
	v_pk_min_f16 v97, v98, v101
	v_pk_min_f16 v99, v0, v99
	v_pk_min_f16 v100, v0, v100
	v_pk_min_f16 v101, v0, v101
	v_pk_min_f16 v102, v0, v104
	v_pk_max_f16 v123, v3, v3
	v_pk_max_f16 v21, v21, v21
	;; [unrolled: 1-line block ×9, first 2 shown]
	v_pk_min_f16 v112, v0, v21
	v_pk_min_f16 v113, v0, v124
	;; [unrolled: 1-line block ×4, first 2 shown]
	v_pk_max_f16 v0, v9, v9
	v_pk_min_f16 v116, v3, v21
	v_pk_min_f16 v117, v3, v124
	;; [unrolled: 1-line block ×4, first 2 shown]
	v_pk_max_f16 v3, v11, v11
	v_pk_max_f16 v1, v1, v1
	v_pk_min_f16 v22, v22, v104
	v_pk_min_f16 v85, v85, v104
	;; [unrolled: 1-line block ×31, first 2 shown]
	s_or_b32 s4, s3, s4
	s_delay_alu instid0(SALU_CYCLE_1) | instskip(NEXT) | instid1(SALU_CYCLE_1)
	s_xor_b32 s4, s4, -1
	s_and_saveexec_b32 s5, s4
	s_cbranch_execz .LBB247_23
; %bb.35:                               ;   in Loop: Header=BB247_24 Depth=1
	v_add_co_u32 v123, s4, v78, v24
	s_delay_alu instid0(VALU_DEP_1)
	v_add_co_ci_u32_e64 v124, s4, v79, v25, s4
	flat_load_u16 v81, v[123:124] offset:128
	s_branch .LBB247_23
.LBB247_36:
	s_clause 0x2
	s_load_b32 s12, s[0:1], 0x50
	s_load_b32 s9, s[0:1], 0x68
	s_load_b64 s[2:3], s[0:1], 0x70
	v_add_nc_u32_e32 v66, s24, v33
	v_add_nc_u32_e32 v8, 0x800, v36
	ds_load_2addr_b64 v[0:3], v35 offset0:192 offset1:224
	ds_load_2addr_b64 v[20:23], v35 offset0:128 offset1:160
	v_add_nc_u32_e32 v24, s23, v32
	ds_load_2addr_b64 v[4:7], v8 offset0:112 offset1:120
	ds_load_2addr_b64 v[16:19], v8 offset0:64 offset1:72
	;; [unrolled: 1-line block ×4, first 2 shown]
	v_cmp_gt_i32_e64 s8, s17, v66
	v_cmp_gt_i32_e64 s0, s16, v24
	v_cndmask_b32_e64 v59, 0, 1, s22
	s_waitcnt lgkmcnt(0)
	v_mad_i64_i32 v[25:26], null, v66, s12, 0
	v_mad_i64_i32 v[27:28], null, v66, s9, 0
	s_lshl_b64 s[2:3], s[2:3], 1
	s_delay_alu instid0(SALU_CYCLE_1) | instskip(SKIP_1) | instid1(VALU_DEP_2)
	s_add_u32 s13, s6, s2
	s_addc_u32 s14, s7, s3
	v_lshlrev_b64 v[29:30], 1, v[25:26]
	v_ashrrev_i32_e32 v25, 31, v24
	s_delay_alu instid0(VALU_DEP_3) | instskip(SKIP_1) | instid1(VALU_DEP_3)
	v_lshlrev_b64 v[26:27], 1, v[27:28]
	s_and_b32 s2, s0, s8
	v_add_co_u32 v74, vcc_lo, s10, v29
	s_delay_alu instid0(VALU_DEP_4) | instskip(NEXT) | instid1(VALU_DEP_3)
	v_add_co_ci_u32_e32 v75, vcc_lo, s11, v30, vcc_lo
	v_add_co_u32 v72, vcc_lo, s13, v26
	s_delay_alu instid0(VALU_DEP_4)
	v_add_co_ci_u32_e32 v73, vcc_lo, s14, v27, vcc_lo
	s_and_saveexec_b32 s1, s2
	s_cbranch_execz .LBB247_41
; %bb.37:
	v_lshlrev_b64 v[26:27], 1, v[24:25]
	s_and_not1_b32 vcc_lo, exec_lo, s22
	s_cbranch_vccnz .LBB247_39
; %bb.38:
	s_delay_alu instid0(VALU_DEP_1) | instskip(NEXT) | instid1(VALU_DEP_2)
	v_add_co_u32 v28, vcc_lo, v74, v26
	v_add_co_ci_u32_e32 v29, vcc_lo, v75, v27, vcc_lo
	flat_load_u16 v28, v[28:29]
	s_waitcnt vmcnt(0) lgkmcnt(0)
	v_mul_f16_e32 v28, s19, v28
	s_branch .LBB247_40
.LBB247_39:
	v_mov_b32_e32 v28, 0
.LBB247_40:
	v_pk_max_f16 v29, v20, v20
	v_pk_max_f16 v30, v16, v16
	;; [unrolled: 1-line block ×4, first 2 shown]
	v_add_co_u32 v26, vcc_lo, v72, v26
	s_delay_alu instid0(VALU_DEP_4) | instskip(SKIP_1) | instid1(VALU_DEP_4)
	v_pk_min_f16 v29, v30, v29
	v_add_co_ci_u32_e32 v27, vcc_lo, v73, v27, vcc_lo
	v_pk_min_f16 v30, v32, v31
	s_delay_alu instid0(VALU_DEP_3) | instskip(NEXT) | instid1(VALU_DEP_1)
	v_pk_add_f16 v29, v71, v29
	v_pk_add_f16 v29, v29, v30
	s_delay_alu instid0(VALU_DEP_1) | instskip(NEXT) | instid1(VALU_DEP_1)
	v_lshrrev_b32_e32 v30, 16, v29
	v_add_f16_e32 v29, v29, v30
	s_delay_alu instid0(VALU_DEP_1)
	v_add_f16_e32 v28, v29, v28
	global_store_b16 v[26:27], v28, off
.LBB247_41:
	s_or_b32 exec_lo, exec_lo, s1
	v_add_nc_u32_e32 v26, 8, v24
	s_delay_alu instid0(VALU_DEP_1) | instskip(SKIP_1) | instid1(VALU_DEP_2)
	v_cmp_gt_i32_e64 s1, s16, v26
	v_ashrrev_i32_e32 v27, 31, v26
	s_and_b32 s3, s1, s8
	s_delay_alu instid0(SALU_CYCLE_1)
	s_and_saveexec_b32 s2, s3
	s_cbranch_execz .LBB247_46
; %bb.42:
	v_cmp_ne_u32_e32 vcc_lo, 1, v59
	v_lshlrev_b64 v[28:29], 1, v[26:27]
	s_cbranch_vccnz .LBB247_44
; %bb.43:
	s_delay_alu instid0(VALU_DEP_1) | instskip(NEXT) | instid1(VALU_DEP_2)
	v_add_co_u32 v30, vcc_lo, v74, v28
	v_add_co_ci_u32_e32 v31, vcc_lo, v75, v29, vcc_lo
	flat_load_u16 v30, v[30:31]
	s_waitcnt vmcnt(0) lgkmcnt(0)
	v_mul_f16_e32 v30, s19, v30
	s_branch .LBB247_45
.LBB247_44:
	v_mov_b32_e32 v30, 0
.LBB247_45:
	v_pk_max_f16 v31, v20, v20
	v_pk_max_f16 v32, v18, v18
	v_pk_max_f16 v33, v21, v21
	v_pk_max_f16 v34, v19, v19
	v_add_co_u32 v28, vcc_lo, v72, v28
	s_delay_alu instid0(VALU_DEP_4) | instskip(SKIP_1) | instid1(VALU_DEP_4)
	v_pk_min_f16 v31, v32, v31
	v_add_co_ci_u32_e32 v29, vcc_lo, v73, v29, vcc_lo
	v_pk_min_f16 v32, v34, v33
	s_delay_alu instid0(VALU_DEP_3) | instskip(NEXT) | instid1(VALU_DEP_1)
	v_pk_add_f16 v31, v70, v31
	v_pk_add_f16 v31, v31, v32
	s_delay_alu instid0(VALU_DEP_1) | instskip(NEXT) | instid1(VALU_DEP_1)
	v_lshrrev_b32_e32 v32, 16, v31
	v_add_f16_e32 v31, v31, v32
	s_delay_alu instid0(VALU_DEP_1)
	v_add_f16_e32 v30, v31, v30
	global_store_b16 v[28:29], v30, off
.LBB247_46:
	s_or_b32 exec_lo, exec_lo, s2
	v_add_nc_u32_e32 v28, 16, v24
	s_delay_alu instid0(VALU_DEP_1) | instskip(SKIP_1) | instid1(VALU_DEP_2)
	v_cmp_gt_i32_e64 s2, s16, v28
	v_ashrrev_i32_e32 v29, 31, v28
	s_and_b32 s4, s2, s8
	s_delay_alu instid0(SALU_CYCLE_1)
	s_and_saveexec_b32 s3, s4
	s_cbranch_execz .LBB247_51
; %bb.47:
	v_cmp_ne_u32_e32 vcc_lo, 1, v59
	v_lshlrev_b64 v[30:31], 1, v[28:29]
	s_cbranch_vccnz .LBB247_49
; %bb.48:
	s_delay_alu instid0(VALU_DEP_1) | instskip(NEXT) | instid1(VALU_DEP_2)
	v_add_co_u32 v32, vcc_lo, v74, v30
	v_add_co_ci_u32_e32 v33, vcc_lo, v75, v31, vcc_lo
	flat_load_u16 v32, v[32:33]
	s_waitcnt vmcnt(0) lgkmcnt(0)
	v_mul_f16_e32 v32, s19, v32
	s_branch .LBB247_50
.LBB247_49:
	v_mov_b32_e32 v32, 0
.LBB247_50:
	v_pk_max_f16 v33, v20, v20
	v_pk_max_f16 v34, v12, v12
	v_pk_max_f16 v35, v21, v21
	v_pk_max_f16 v36, v13, v13
	v_add_co_u32 v30, vcc_lo, v72, v30
	s_delay_alu instid0(VALU_DEP_4) | instskip(SKIP_1) | instid1(VALU_DEP_4)
	v_pk_min_f16 v33, v34, v33
	v_add_co_ci_u32_e32 v31, vcc_lo, v73, v31, vcc_lo
	v_pk_min_f16 v34, v36, v35
	s_delay_alu instid0(VALU_DEP_3) | instskip(NEXT) | instid1(VALU_DEP_1)
	v_pk_add_f16 v33, v69, v33
	v_pk_add_f16 v33, v33, v34
	s_delay_alu instid0(VALU_DEP_1) | instskip(NEXT) | instid1(VALU_DEP_1)
	v_lshrrev_b32_e32 v34, 16, v33
	v_add_f16_e32 v33, v33, v34
	s_delay_alu instid0(VALU_DEP_1)
	v_add_f16_e32 v32, v33, v32
	global_store_b16 v[30:31], v32, off
.LBB247_51:
	;; [unrolled: 43-line block ×6, first 2 shown]
	s_or_b32 exec_lo, exec_lo, s7
	v_add_nc_u32_e32 v38, 56, v24
	s_delay_alu instid0(VALU_DEP_1) | instskip(SKIP_1) | instid1(VALU_DEP_2)
	v_cmp_gt_i32_e64 s7, s16, v38
	v_ashrrev_i32_e32 v39, 31, v38
	s_and_b32 s15, s7, s8
	s_delay_alu instid0(SALU_CYCLE_1)
	s_and_saveexec_b32 s8, s15
	s_cbranch_execz .LBB247_76
; %bb.72:
	v_cmp_ne_u32_e32 vcc_lo, 1, v59
	v_lshlrev_b64 v[40:41], 1, v[38:39]
	s_cbranch_vccnz .LBB247_74
; %bb.73:
	s_delay_alu instid0(VALU_DEP_1) | instskip(NEXT) | instid1(VALU_DEP_2)
	v_add_co_u32 v69, vcc_lo, v74, v40
	v_add_co_ci_u32_e32 v70, vcc_lo, v75, v41, vcc_lo
	flat_load_u16 v69, v[69:70]
	s_waitcnt vmcnt(0) lgkmcnt(0)
	v_mul_f16_e32 v69, s19, v69
	s_branch .LBB247_75
.LBB247_74:
	v_mov_b32_e32 v69, 0
.LBB247_75:
	v_pk_max_f16 v20, v20, v20
	v_pk_max_f16 v70, v6, v6
	;; [unrolled: 1-line block ×4, first 2 shown]
	s_delay_alu instid0(VALU_DEP_3) | instskip(NEXT) | instid1(VALU_DEP_2)
	v_pk_min_f16 v20, v70, v20
	v_pk_min_f16 v21, v71, v21
	s_delay_alu instid0(VALU_DEP_2) | instskip(NEXT) | instid1(VALU_DEP_1)
	v_pk_add_f16 v20, v68, v20
	v_pk_add_f16 v20, v20, v21
	s_delay_alu instid0(VALU_DEP_1) | instskip(NEXT) | instid1(VALU_DEP_1)
	v_lshrrev_b32_e32 v21, 16, v20
	v_add_f16_e32 v20, v20, v21
	s_delay_alu instid0(VALU_DEP_1)
	v_add_f16_e32 v68, v20, v69
	v_add_co_u32 v20, vcc_lo, v72, v40
	v_add_co_ci_u32_e32 v21, vcc_lo, v73, v41, vcc_lo
	global_store_b16 v[20:21], v68, off
.LBB247_76:
	s_or_b32 exec_lo, exec_lo, s8
	v_add_nc_u32_e32 v68, 32, v66
	s_delay_alu instid0(VALU_DEP_1) | instskip(SKIP_2) | instid1(VALU_DEP_3)
	v_mad_i64_i32 v[20:21], null, v68, s12, 0
	v_mad_i64_i32 v[40:41], null, v68, s9, 0
	v_cmp_gt_i32_e64 s8, s17, v68
	v_lshlrev_b64 v[20:21], 1, v[20:21]
	s_delay_alu instid0(VALU_DEP_2) | instskip(NEXT) | instid1(VALU_DEP_3)
	s_and_b32 s16, s0, s8
	v_lshlrev_b64 v[40:41], 1, v[40:41]
	s_delay_alu instid0(VALU_DEP_2) | instskip(NEXT) | instid1(VALU_DEP_3)
	v_add_co_u32 v68, vcc_lo, s10, v20
	v_add_co_ci_u32_e32 v69, vcc_lo, s11, v21, vcc_lo
	s_delay_alu instid0(VALU_DEP_3) | instskip(NEXT) | instid1(VALU_DEP_4)
	v_add_co_u32 v40, vcc_lo, s13, v40
	v_add_co_ci_u32_e32 v41, vcc_lo, s14, v41, vcc_lo
	s_and_saveexec_b32 s15, s16
	s_cbranch_execnz .LBB247_84
; %bb.77:
	s_or_b32 exec_lo, exec_lo, s15
	s_and_b32 s16, s1, s8
	s_delay_alu instid0(SALU_CYCLE_1)
	s_and_saveexec_b32 s15, s16
	s_cbranch_execnz .LBB247_88
.LBB247_78:
	s_or_b32 exec_lo, exec_lo, s15
	s_and_b32 s16, s2, s8
	s_delay_alu instid0(SALU_CYCLE_1)
	s_and_saveexec_b32 s15, s16
	s_cbranch_execnz .LBB247_92
.LBB247_79:
	s_or_b32 exec_lo, exec_lo, s15
	s_and_b32 s16, s3, s8
	s_delay_alu instid0(SALU_CYCLE_1)
	s_and_saveexec_b32 s15, s16
	s_cbranch_execnz .LBB247_96
.LBB247_80:
	s_or_b32 exec_lo, exec_lo, s15
	s_and_b32 s16, s4, s8
	s_delay_alu instid0(SALU_CYCLE_1)
	s_and_saveexec_b32 s15, s16
	s_cbranch_execnz .LBB247_100
.LBB247_81:
	s_or_b32 exec_lo, exec_lo, s15
	s_and_b32 s16, s5, s8
	s_delay_alu instid0(SALU_CYCLE_1)
	s_and_saveexec_b32 s15, s16
	s_cbranch_execnz .LBB247_104
.LBB247_82:
	s_or_b32 exec_lo, exec_lo, s15
	s_and_b32 s16, s6, s8
	s_delay_alu instid0(SALU_CYCLE_1)
	s_and_saveexec_b32 s15, s16
	s_cbranch_execnz .LBB247_108
.LBB247_83:
	s_or_b32 exec_lo, exec_lo, s15
	s_and_b32 s15, s7, s8
	s_delay_alu instid0(SALU_CYCLE_1)
	s_and_saveexec_b32 s8, s15
	s_cbranch_execnz .LBB247_112
	s_branch .LBB247_116
.LBB247_84:
	v_cmp_ne_u32_e32 vcc_lo, 1, v59
	v_lshlrev_b64 v[20:21], 1, v[24:25]
	s_cbranch_vccnz .LBB247_86
; %bb.85:
	s_delay_alu instid0(VALU_DEP_1) | instskip(NEXT) | instid1(VALU_DEP_2)
	v_add_co_u32 v70, vcc_lo, v68, v20
	v_add_co_ci_u32_e32 v71, vcc_lo, v69, v21, vcc_lo
	flat_load_u16 v70, v[70:71]
	s_waitcnt vmcnt(0) lgkmcnt(0)
	v_mul_f16_e32 v70, s19, v70
	s_branch .LBB247_87
.LBB247_86:
	v_mov_b32_e32 v70, 0
.LBB247_87:
	v_pk_max_f16 v71, v22, v22
	v_pk_max_f16 v72, v16, v16
	;; [unrolled: 1-line block ×4, first 2 shown]
	v_add_co_u32 v20, vcc_lo, v40, v20
	s_delay_alu instid0(VALU_DEP_4) | instskip(SKIP_1) | instid1(VALU_DEP_4)
	v_pk_min_f16 v71, v72, v71
	v_add_co_ci_u32_e32 v21, vcc_lo, v41, v21, vcc_lo
	v_pk_min_f16 v72, v74, v73
	s_delay_alu instid0(VALU_DEP_3) | instskip(NEXT) | instid1(VALU_DEP_1)
	v_pk_add_f16 v67, v67, v71
	v_pk_add_f16 v67, v67, v72
	s_delay_alu instid0(VALU_DEP_1) | instskip(NEXT) | instid1(VALU_DEP_1)
	v_lshrrev_b32_e32 v71, 16, v67
	v_add_f16_e32 v67, v67, v71
	s_delay_alu instid0(VALU_DEP_1) | instskip(SKIP_3) | instid1(SALU_CYCLE_1)
	v_add_f16_e32 v67, v67, v70
	global_store_b16 v[20:21], v67, off
	s_or_b32 exec_lo, exec_lo, s15
	s_and_b32 s16, s1, s8
	s_and_saveexec_b32 s15, s16
	s_cbranch_execz .LBB247_78
.LBB247_88:
	v_cmp_ne_u32_e32 vcc_lo, 1, v59
	v_lshlrev_b64 v[20:21], 1, v[26:27]
	s_cbranch_vccnz .LBB247_90
; %bb.89:
	s_delay_alu instid0(VALU_DEP_1) | instskip(NEXT) | instid1(VALU_DEP_2)
	v_add_co_u32 v70, vcc_lo, v68, v20
	v_add_co_ci_u32_e32 v71, vcc_lo, v69, v21, vcc_lo
	flat_load_u16 v67, v[70:71]
	s_waitcnt vmcnt(0) lgkmcnt(0)
	v_mul_f16_e32 v67, s19, v67
	s_branch .LBB247_91
.LBB247_90:
	v_mov_b32_e32 v67, 0
.LBB247_91:
	v_pk_max_f16 v70, v22, v22
	v_pk_max_f16 v71, v18, v18
	;; [unrolled: 1-line block ×4, first 2 shown]
	v_add_co_u32 v20, vcc_lo, v40, v20
	s_delay_alu instid0(VALU_DEP_4) | instskip(SKIP_1) | instid1(VALU_DEP_4)
	v_pk_min_f16 v70, v71, v70
	v_add_co_ci_u32_e32 v21, vcc_lo, v41, v21, vcc_lo
	v_pk_min_f16 v71, v73, v72
	s_delay_alu instid0(VALU_DEP_3) | instskip(NEXT) | instid1(VALU_DEP_1)
	v_pk_add_f16 v65, v65, v70
	v_pk_add_f16 v65, v65, v71
	s_delay_alu instid0(VALU_DEP_1) | instskip(NEXT) | instid1(VALU_DEP_1)
	v_lshrrev_b32_e32 v70, 16, v65
	v_add_f16_e32 v65, v65, v70
	s_delay_alu instid0(VALU_DEP_1) | instskip(SKIP_3) | instid1(SALU_CYCLE_1)
	v_add_f16_e32 v65, v65, v67
	global_store_b16 v[20:21], v65, off
	s_or_b32 exec_lo, exec_lo, s15
	s_and_b32 s16, s2, s8
	s_and_saveexec_b32 s15, s16
	s_cbranch_execz .LBB247_79
.LBB247_92:
	v_cmp_ne_u32_e32 vcc_lo, 1, v59
	v_lshlrev_b64 v[20:21], 1, v[28:29]
	s_cbranch_vccnz .LBB247_94
; %bb.93:
	s_delay_alu instid0(VALU_DEP_1) | instskip(NEXT) | instid1(VALU_DEP_2)
	v_add_co_u32 v70, vcc_lo, v68, v20
	v_add_co_ci_u32_e32 v71, vcc_lo, v69, v21, vcc_lo
	flat_load_u16 v65, v[70:71]
	s_waitcnt vmcnt(0) lgkmcnt(0)
	v_mul_f16_e32 v65, s19, v65
	s_branch .LBB247_95
.LBB247_94:
	v_mov_b32_e32 v65, 0
.LBB247_95:
	v_pk_max_f16 v67, v22, v22
	v_pk_max_f16 v70, v12, v12
	;; [unrolled: 1-line block ×4, first 2 shown]
	v_add_co_u32 v20, vcc_lo, v40, v20
	s_delay_alu instid0(VALU_DEP_4) | instskip(SKIP_1) | instid1(VALU_DEP_4)
	v_pk_min_f16 v67, v70, v67
	v_add_co_ci_u32_e32 v21, vcc_lo, v41, v21, vcc_lo
	v_pk_min_f16 v70, v72, v71
	s_delay_alu instid0(VALU_DEP_3) | instskip(NEXT) | instid1(VALU_DEP_1)
	v_pk_add_f16 v64, v64, v67
	v_pk_add_f16 v64, v64, v70
	s_delay_alu instid0(VALU_DEP_1) | instskip(NEXT) | instid1(VALU_DEP_1)
	v_lshrrev_b32_e32 v67, 16, v64
	v_add_f16_e32 v64, v64, v67
	s_delay_alu instid0(VALU_DEP_1) | instskip(SKIP_3) | instid1(SALU_CYCLE_1)
	v_add_f16_e32 v64, v64, v65
	global_store_b16 v[20:21], v64, off
	s_or_b32 exec_lo, exec_lo, s15
	s_and_b32 s16, s3, s8
	s_and_saveexec_b32 s15, s16
	s_cbranch_execz .LBB247_80
.LBB247_96:
	v_cmp_ne_u32_e32 vcc_lo, 1, v59
	v_lshlrev_b64 v[20:21], 1, v[30:31]
	s_cbranch_vccnz .LBB247_98
; %bb.97:
	s_delay_alu instid0(VALU_DEP_1) | instskip(NEXT) | instid1(VALU_DEP_2)
	v_add_co_u32 v64, vcc_lo, v68, v20
	v_add_co_ci_u32_e32 v65, vcc_lo, v69, v21, vcc_lo
	flat_load_u16 v64, v[64:65]
	s_waitcnt vmcnt(0) lgkmcnt(0)
	v_mul_f16_e32 v64, s19, v64
	s_branch .LBB247_99
.LBB247_98:
	v_mov_b32_e32 v64, 0
.LBB247_99:
	v_pk_max_f16 v65, v22, v22
	v_pk_max_f16 v67, v14, v14
	;; [unrolled: 1-line block ×4, first 2 shown]
	v_add_co_u32 v20, vcc_lo, v40, v20
	s_delay_alu instid0(VALU_DEP_4) | instskip(SKIP_1) | instid1(VALU_DEP_4)
	v_pk_min_f16 v65, v67, v65
	v_add_co_ci_u32_e32 v21, vcc_lo, v41, v21, vcc_lo
	v_pk_min_f16 v67, v71, v70
	s_delay_alu instid0(VALU_DEP_3) | instskip(NEXT) | instid1(VALU_DEP_1)
	v_pk_add_f16 v63, v63, v65
	v_pk_add_f16 v63, v63, v67
	s_delay_alu instid0(VALU_DEP_1) | instskip(NEXT) | instid1(VALU_DEP_1)
	v_lshrrev_b32_e32 v65, 16, v63
	v_add_f16_e32 v63, v63, v65
	s_delay_alu instid0(VALU_DEP_1) | instskip(SKIP_3) | instid1(SALU_CYCLE_1)
	v_add_f16_e32 v63, v63, v64
	global_store_b16 v[20:21], v63, off
	s_or_b32 exec_lo, exec_lo, s15
	s_and_b32 s16, s4, s8
	s_and_saveexec_b32 s15, s16
	s_cbranch_execz .LBB247_81
.LBB247_100:
	v_cmp_ne_u32_e32 vcc_lo, 1, v59
	v_lshlrev_b64 v[20:21], 1, v[32:33]
	s_cbranch_vccnz .LBB247_102
; %bb.101:
	s_delay_alu instid0(VALU_DEP_1) | instskip(NEXT) | instid1(VALU_DEP_2)
	v_add_co_u32 v63, vcc_lo, v68, v20
	v_add_co_ci_u32_e32 v64, vcc_lo, v69, v21, vcc_lo
	flat_load_u16 v63, v[63:64]
	s_waitcnt vmcnt(0) lgkmcnt(0)
	v_mul_f16_e32 v63, s19, v63
	s_branch .LBB247_103
.LBB247_102:
	v_mov_b32_e32 v63, 0
.LBB247_103:
	v_pk_max_f16 v64, v22, v22
	v_pk_max_f16 v65, v8, v8
	;; [unrolled: 1-line block ×4, first 2 shown]
	v_add_co_u32 v20, vcc_lo, v40, v20
	s_delay_alu instid0(VALU_DEP_4) | instskip(SKIP_1) | instid1(VALU_DEP_4)
	v_pk_min_f16 v64, v65, v64
	v_add_co_ci_u32_e32 v21, vcc_lo, v41, v21, vcc_lo
	v_pk_min_f16 v65, v70, v67
	s_delay_alu instid0(VALU_DEP_3) | instskip(NEXT) | instid1(VALU_DEP_1)
	v_pk_add_f16 v62, v62, v64
	v_pk_add_f16 v62, v62, v65
	s_delay_alu instid0(VALU_DEP_1) | instskip(NEXT) | instid1(VALU_DEP_1)
	v_lshrrev_b32_e32 v64, 16, v62
	v_add_f16_e32 v62, v62, v64
	s_delay_alu instid0(VALU_DEP_1) | instskip(SKIP_3) | instid1(SALU_CYCLE_1)
	v_add_f16_e32 v62, v62, v63
	global_store_b16 v[20:21], v62, off
	s_or_b32 exec_lo, exec_lo, s15
	s_and_b32 s16, s5, s8
	s_and_saveexec_b32 s15, s16
	s_cbranch_execz .LBB247_82
.LBB247_104:
	v_cmp_ne_u32_e32 vcc_lo, 1, v59
	v_lshlrev_b64 v[20:21], 1, v[34:35]
	s_cbranch_vccnz .LBB247_106
; %bb.105:
	s_delay_alu instid0(VALU_DEP_1) | instskip(NEXT) | instid1(VALU_DEP_2)
	v_add_co_u32 v62, vcc_lo, v68, v20
	v_add_co_ci_u32_e32 v63, vcc_lo, v69, v21, vcc_lo
	flat_load_u16 v62, v[62:63]
	s_waitcnt vmcnt(0) lgkmcnt(0)
	v_mul_f16_e32 v62, s19, v62
	s_branch .LBB247_107
.LBB247_106:
	v_mov_b32_e32 v62, 0
.LBB247_107:
	v_pk_max_f16 v63, v22, v22
	v_pk_max_f16 v64, v10, v10
	;; [unrolled: 1-line block ×4, first 2 shown]
	v_add_co_u32 v20, vcc_lo, v40, v20
	s_delay_alu instid0(VALU_DEP_4) | instskip(SKIP_1) | instid1(VALU_DEP_4)
	v_pk_min_f16 v63, v64, v63
	v_add_co_ci_u32_e32 v21, vcc_lo, v41, v21, vcc_lo
	v_pk_min_f16 v64, v67, v65
	s_delay_alu instid0(VALU_DEP_3) | instskip(NEXT) | instid1(VALU_DEP_1)
	v_pk_add_f16 v61, v61, v63
	v_pk_add_f16 v61, v61, v64
	s_delay_alu instid0(VALU_DEP_1) | instskip(NEXT) | instid1(VALU_DEP_1)
	v_lshrrev_b32_e32 v63, 16, v61
	v_add_f16_e32 v61, v61, v63
	s_delay_alu instid0(VALU_DEP_1) | instskip(SKIP_3) | instid1(SALU_CYCLE_1)
	v_add_f16_e32 v61, v61, v62
	global_store_b16 v[20:21], v61, off
	s_or_b32 exec_lo, exec_lo, s15
	s_and_b32 s16, s6, s8
	s_and_saveexec_b32 s15, s16
	s_cbranch_execz .LBB247_83
.LBB247_108:
	v_cmp_ne_u32_e32 vcc_lo, 1, v59
	v_lshlrev_b64 v[20:21], 1, v[36:37]
	s_cbranch_vccnz .LBB247_110
; %bb.109:
	s_delay_alu instid0(VALU_DEP_1) | instskip(NEXT) | instid1(VALU_DEP_2)
	v_add_co_u32 v61, vcc_lo, v68, v20
	v_add_co_ci_u32_e32 v62, vcc_lo, v69, v21, vcc_lo
	flat_load_u16 v61, v[61:62]
	s_waitcnt vmcnt(0) lgkmcnt(0)
	v_mul_f16_e32 v61, s19, v61
	s_branch .LBB247_111
.LBB247_110:
	v_mov_b32_e32 v61, 0
.LBB247_111:
	v_pk_max_f16 v62, v22, v22
	v_pk_max_f16 v63, v4, v4
	;; [unrolled: 1-line block ×4, first 2 shown]
	v_add_co_u32 v20, vcc_lo, v40, v20
	s_delay_alu instid0(VALU_DEP_4) | instskip(SKIP_1) | instid1(VALU_DEP_4)
	v_pk_min_f16 v62, v63, v62
	v_add_co_ci_u32_e32 v21, vcc_lo, v41, v21, vcc_lo
	v_pk_min_f16 v63, v65, v64
	s_delay_alu instid0(VALU_DEP_3) | instskip(NEXT) | instid1(VALU_DEP_1)
	v_pk_add_f16 v60, v60, v62
	v_pk_add_f16 v60, v60, v63
	s_delay_alu instid0(VALU_DEP_1) | instskip(NEXT) | instid1(VALU_DEP_1)
	v_lshrrev_b32_e32 v62, 16, v60
	v_add_f16_e32 v60, v60, v62
	s_delay_alu instid0(VALU_DEP_1) | instskip(SKIP_3) | instid1(SALU_CYCLE_1)
	v_add_f16_e32 v60, v60, v61
	global_store_b16 v[20:21], v60, off
	s_or_b32 exec_lo, exec_lo, s15
	s_and_b32 s15, s7, s8
	s_and_saveexec_b32 s8, s15
	s_cbranch_execz .LBB247_116
.LBB247_112:
	v_cmp_ne_u32_e32 vcc_lo, 1, v59
	v_lshlrev_b64 v[20:21], 1, v[38:39]
	s_cbranch_vccnz .LBB247_114
; %bb.113:
	s_delay_alu instid0(VALU_DEP_1) | instskip(NEXT) | instid1(VALU_DEP_2)
	v_add_co_u32 v60, vcc_lo, v68, v20
	v_add_co_ci_u32_e32 v61, vcc_lo, v69, v21, vcc_lo
	flat_load_u16 v60, v[60:61]
	s_waitcnt vmcnt(0) lgkmcnt(0)
	v_mul_f16_e32 v60, s19, v60
	s_branch .LBB247_115
.LBB247_114:
	v_mov_b32_e32 v60, 0
.LBB247_115:
	v_pk_max_f16 v22, v22, v22
	v_pk_max_f16 v61, v6, v6
	;; [unrolled: 1-line block ×4, first 2 shown]
	v_add_co_u32 v20, vcc_lo, v40, v20
	s_delay_alu instid0(VALU_DEP_4) | instskip(SKIP_1) | instid1(VALU_DEP_4)
	v_pk_min_f16 v22, v61, v22
	v_add_co_ci_u32_e32 v21, vcc_lo, v41, v21, vcc_lo
	v_pk_min_f16 v23, v62, v23
	s_delay_alu instid0(VALU_DEP_3) | instskip(NEXT) | instid1(VALU_DEP_1)
	v_pk_add_f16 v22, v58, v22
	v_pk_add_f16 v22, v22, v23
	s_delay_alu instid0(VALU_DEP_1) | instskip(NEXT) | instid1(VALU_DEP_1)
	v_lshrrev_b32_e32 v23, 16, v22
	v_add_f16_e32 v22, v22, v23
	s_delay_alu instid0(VALU_DEP_1)
	v_add_f16_e32 v22, v22, v60
	global_store_b16 v[20:21], v22, off
.LBB247_116:
	s_or_b32 exec_lo, exec_lo, s8
	v_add_nc_u32_e32 v40, 64, v66
	s_delay_alu instid0(VALU_DEP_1) | instskip(SKIP_2) | instid1(VALU_DEP_3)
	v_mad_i64_i32 v[20:21], null, v40, s12, 0
	v_mad_i64_i32 v[22:23], null, v40, s9, 0
	v_cmp_gt_i32_e64 s8, s17, v40
	v_lshlrev_b64 v[20:21], 1, v[20:21]
	s_delay_alu instid0(VALU_DEP_2) | instskip(NEXT) | instid1(VALU_DEP_3)
	s_and_b32 s16, s0, s8
	v_lshlrev_b64 v[22:23], 1, v[22:23]
	s_delay_alu instid0(VALU_DEP_2) | instskip(NEXT) | instid1(VALU_DEP_3)
	v_add_co_u32 v40, vcc_lo, s10, v20
	v_add_co_ci_u32_e32 v41, vcc_lo, s11, v21, vcc_lo
	s_delay_alu instid0(VALU_DEP_3) | instskip(NEXT) | instid1(VALU_DEP_4)
	v_add_co_u32 v22, vcc_lo, s13, v22
	v_add_co_ci_u32_e32 v23, vcc_lo, s14, v23, vcc_lo
	s_and_saveexec_b32 s15, s16
	s_cbranch_execnz .LBB247_124
; %bb.117:
	s_or_b32 exec_lo, exec_lo, s15
	s_and_b32 s16, s1, s8
	s_delay_alu instid0(SALU_CYCLE_1)
	s_and_saveexec_b32 s15, s16
	s_cbranch_execnz .LBB247_128
.LBB247_118:
	s_or_b32 exec_lo, exec_lo, s15
	s_and_b32 s16, s2, s8
	s_delay_alu instid0(SALU_CYCLE_1)
	s_and_saveexec_b32 s15, s16
	s_cbranch_execnz .LBB247_132
.LBB247_119:
	s_or_b32 exec_lo, exec_lo, s15
	s_and_b32 s16, s3, s8
	s_delay_alu instid0(SALU_CYCLE_1)
	s_and_saveexec_b32 s15, s16
	s_cbranch_execnz .LBB247_136
.LBB247_120:
	s_or_b32 exec_lo, exec_lo, s15
	s_and_b32 s16, s4, s8
	s_delay_alu instid0(SALU_CYCLE_1)
	s_and_saveexec_b32 s15, s16
	s_cbranch_execnz .LBB247_140
.LBB247_121:
	s_or_b32 exec_lo, exec_lo, s15
	s_and_b32 s16, s5, s8
	s_delay_alu instid0(SALU_CYCLE_1)
	s_and_saveexec_b32 s15, s16
	s_cbranch_execnz .LBB247_144
.LBB247_122:
	s_or_b32 exec_lo, exec_lo, s15
	s_and_b32 s16, s6, s8
	s_delay_alu instid0(SALU_CYCLE_1)
	s_and_saveexec_b32 s15, s16
	s_cbranch_execnz .LBB247_148
.LBB247_123:
	s_or_b32 exec_lo, exec_lo, s15
	s_and_b32 s15, s7, s8
	s_delay_alu instid0(SALU_CYCLE_1)
	s_and_saveexec_b32 s8, s15
	s_cbranch_execnz .LBB247_152
	s_branch .LBB247_156
.LBB247_124:
	v_cmp_ne_u32_e32 vcc_lo, 1, v59
	v_lshlrev_b64 v[20:21], 1, v[24:25]
	s_cbranch_vccnz .LBB247_126
; %bb.125:
	s_delay_alu instid0(VALU_DEP_1) | instskip(NEXT) | instid1(VALU_DEP_2)
	v_add_co_u32 v60, vcc_lo, v40, v20
	v_add_co_ci_u32_e32 v61, vcc_lo, v41, v21, vcc_lo
	flat_load_u16 v58, v[60:61]
	s_waitcnt vmcnt(0) lgkmcnt(0)
	v_mul_f16_e32 v58, s19, v58
	s_branch .LBB247_127
.LBB247_126:
	v_mov_b32_e32 v58, 0
.LBB247_127:
	v_pk_max_f16 v60, v0, v0
	v_pk_max_f16 v61, v16, v16
	;; [unrolled: 1-line block ×4, first 2 shown]
	v_add_co_u32 v20, vcc_lo, v22, v20
	s_delay_alu instid0(VALU_DEP_4) | instskip(SKIP_1) | instid1(VALU_DEP_4)
	v_pk_min_f16 v60, v61, v60
	v_add_co_ci_u32_e32 v21, vcc_lo, v23, v21, vcc_lo
	v_pk_min_f16 v61, v63, v62
	s_delay_alu instid0(VALU_DEP_3) | instskip(NEXT) | instid1(VALU_DEP_1)
	v_pk_add_f16 v57, v57, v60
	v_pk_add_f16 v57, v57, v61
	s_delay_alu instid0(VALU_DEP_1) | instskip(NEXT) | instid1(VALU_DEP_1)
	v_lshrrev_b32_e32 v60, 16, v57
	v_add_f16_e32 v57, v57, v60
	s_delay_alu instid0(VALU_DEP_1) | instskip(SKIP_3) | instid1(SALU_CYCLE_1)
	v_add_f16_e32 v57, v57, v58
	global_store_b16 v[20:21], v57, off
	s_or_b32 exec_lo, exec_lo, s15
	s_and_b32 s16, s1, s8
	s_and_saveexec_b32 s15, s16
	s_cbranch_execz .LBB247_118
.LBB247_128:
	v_cmp_ne_u32_e32 vcc_lo, 1, v59
	v_lshlrev_b64 v[20:21], 1, v[26:27]
	s_cbranch_vccnz .LBB247_130
; %bb.129:
	s_delay_alu instid0(VALU_DEP_1) | instskip(NEXT) | instid1(VALU_DEP_2)
	v_add_co_u32 v57, vcc_lo, v40, v20
	v_add_co_ci_u32_e32 v58, vcc_lo, v41, v21, vcc_lo
	flat_load_u16 v57, v[57:58]
	s_waitcnt vmcnt(0) lgkmcnt(0)
	v_mul_f16_e32 v57, s19, v57
	s_branch .LBB247_131
.LBB247_130:
	v_mov_b32_e32 v57, 0
.LBB247_131:
	v_pk_max_f16 v58, v0, v0
	v_pk_max_f16 v60, v18, v18
	;; [unrolled: 1-line block ×4, first 2 shown]
	v_add_co_u32 v20, vcc_lo, v22, v20
	s_delay_alu instid0(VALU_DEP_4) | instskip(SKIP_1) | instid1(VALU_DEP_4)
	v_pk_min_f16 v58, v60, v58
	v_add_co_ci_u32_e32 v21, vcc_lo, v23, v21, vcc_lo
	v_pk_min_f16 v60, v62, v61
	s_delay_alu instid0(VALU_DEP_3) | instskip(NEXT) | instid1(VALU_DEP_1)
	v_pk_add_f16 v56, v56, v58
	v_pk_add_f16 v56, v56, v60
	s_delay_alu instid0(VALU_DEP_1) | instskip(NEXT) | instid1(VALU_DEP_1)
	v_lshrrev_b32_e32 v58, 16, v56
	v_add_f16_e32 v56, v56, v58
	s_delay_alu instid0(VALU_DEP_1) | instskip(SKIP_3) | instid1(SALU_CYCLE_1)
	v_add_f16_e32 v56, v56, v57
	global_store_b16 v[20:21], v56, off
	s_or_b32 exec_lo, exec_lo, s15
	s_and_b32 s16, s2, s8
	s_and_saveexec_b32 s15, s16
	s_cbranch_execz .LBB247_119
.LBB247_132:
	v_cmp_ne_u32_e32 vcc_lo, 1, v59
	v_lshlrev_b64 v[20:21], 1, v[28:29]
	s_cbranch_vccnz .LBB247_134
; %bb.133:
	s_delay_alu instid0(VALU_DEP_1) | instskip(NEXT) | instid1(VALU_DEP_2)
	v_add_co_u32 v56, vcc_lo, v40, v20
	v_add_co_ci_u32_e32 v57, vcc_lo, v41, v21, vcc_lo
	flat_load_u16 v56, v[56:57]
	s_waitcnt vmcnt(0) lgkmcnt(0)
	v_mul_f16_e32 v56, s19, v56
	s_branch .LBB247_135
.LBB247_134:
	v_mov_b32_e32 v56, 0
.LBB247_135:
	v_pk_max_f16 v57, v0, v0
	v_pk_max_f16 v58, v12, v12
	;; [unrolled: 1-line block ×4, first 2 shown]
	v_add_co_u32 v20, vcc_lo, v22, v20
	s_delay_alu instid0(VALU_DEP_4) | instskip(SKIP_1) | instid1(VALU_DEP_4)
	v_pk_min_f16 v57, v58, v57
	v_add_co_ci_u32_e32 v21, vcc_lo, v23, v21, vcc_lo
	v_pk_min_f16 v58, v61, v60
	s_delay_alu instid0(VALU_DEP_3) | instskip(NEXT) | instid1(VALU_DEP_1)
	v_pk_add_f16 v55, v55, v57
	v_pk_add_f16 v55, v55, v58
	s_delay_alu instid0(VALU_DEP_1) | instskip(NEXT) | instid1(VALU_DEP_1)
	v_lshrrev_b32_e32 v57, 16, v55
	v_add_f16_e32 v55, v55, v57
	s_delay_alu instid0(VALU_DEP_1) | instskip(SKIP_3) | instid1(SALU_CYCLE_1)
	v_add_f16_e32 v55, v55, v56
	global_store_b16 v[20:21], v55, off
	s_or_b32 exec_lo, exec_lo, s15
	s_and_b32 s16, s3, s8
	s_and_saveexec_b32 s15, s16
	s_cbranch_execz .LBB247_120
.LBB247_136:
	v_cmp_ne_u32_e32 vcc_lo, 1, v59
	v_lshlrev_b64 v[20:21], 1, v[30:31]
	s_cbranch_vccnz .LBB247_138
; %bb.137:
	s_delay_alu instid0(VALU_DEP_1) | instskip(NEXT) | instid1(VALU_DEP_2)
	v_add_co_u32 v55, vcc_lo, v40, v20
	v_add_co_ci_u32_e32 v56, vcc_lo, v41, v21, vcc_lo
	flat_load_u16 v55, v[55:56]
	s_waitcnt vmcnt(0) lgkmcnt(0)
	v_mul_f16_e32 v55, s19, v55
	s_branch .LBB247_139
.LBB247_138:
	v_mov_b32_e32 v55, 0
.LBB247_139:
	v_pk_max_f16 v56, v0, v0
	v_pk_max_f16 v57, v14, v14
	;; [unrolled: 1-line block ×4, first 2 shown]
	v_add_co_u32 v20, vcc_lo, v22, v20
	s_delay_alu instid0(VALU_DEP_4) | instskip(SKIP_1) | instid1(VALU_DEP_4)
	v_pk_min_f16 v56, v57, v56
	v_add_co_ci_u32_e32 v21, vcc_lo, v23, v21, vcc_lo
	v_pk_min_f16 v57, v60, v58
	s_delay_alu instid0(VALU_DEP_3) | instskip(NEXT) | instid1(VALU_DEP_1)
	v_pk_add_f16 v54, v54, v56
	v_pk_add_f16 v54, v54, v57
	s_delay_alu instid0(VALU_DEP_1) | instskip(NEXT) | instid1(VALU_DEP_1)
	v_lshrrev_b32_e32 v56, 16, v54
	v_add_f16_e32 v54, v54, v56
	s_delay_alu instid0(VALU_DEP_1) | instskip(SKIP_3) | instid1(SALU_CYCLE_1)
	v_add_f16_e32 v54, v54, v55
	global_store_b16 v[20:21], v54, off
	s_or_b32 exec_lo, exec_lo, s15
	s_and_b32 s16, s4, s8
	s_and_saveexec_b32 s15, s16
	s_cbranch_execz .LBB247_121
.LBB247_140:
	v_cmp_ne_u32_e32 vcc_lo, 1, v59
	v_lshlrev_b64 v[20:21], 1, v[32:33]
	s_cbranch_vccnz .LBB247_142
; %bb.141:
	s_delay_alu instid0(VALU_DEP_1) | instskip(NEXT) | instid1(VALU_DEP_2)
	v_add_co_u32 v54, vcc_lo, v40, v20
	v_add_co_ci_u32_e32 v55, vcc_lo, v41, v21, vcc_lo
	flat_load_u16 v54, v[54:55]
	s_waitcnt vmcnt(0) lgkmcnt(0)
	v_mul_f16_e32 v54, s19, v54
	s_branch .LBB247_143
.LBB247_142:
	v_mov_b32_e32 v54, 0
.LBB247_143:
	v_pk_max_f16 v55, v0, v0
	v_pk_max_f16 v56, v8, v8
	;; [unrolled: 1-line block ×4, first 2 shown]
	v_add_co_u32 v20, vcc_lo, v22, v20
	s_delay_alu instid0(VALU_DEP_4) | instskip(SKIP_1) | instid1(VALU_DEP_4)
	v_pk_min_f16 v55, v56, v55
	v_add_co_ci_u32_e32 v21, vcc_lo, v23, v21, vcc_lo
	v_pk_min_f16 v56, v58, v57
	s_delay_alu instid0(VALU_DEP_3) | instskip(NEXT) | instid1(VALU_DEP_1)
	v_pk_add_f16 v53, v53, v55
	v_pk_add_f16 v53, v53, v56
	s_delay_alu instid0(VALU_DEP_1) | instskip(NEXT) | instid1(VALU_DEP_1)
	v_lshrrev_b32_e32 v55, 16, v53
	v_add_f16_e32 v53, v53, v55
	s_delay_alu instid0(VALU_DEP_1) | instskip(SKIP_3) | instid1(SALU_CYCLE_1)
	v_add_f16_e32 v53, v53, v54
	global_store_b16 v[20:21], v53, off
	s_or_b32 exec_lo, exec_lo, s15
	s_and_b32 s16, s5, s8
	s_and_saveexec_b32 s15, s16
	s_cbranch_execz .LBB247_122
.LBB247_144:
	v_cmp_ne_u32_e32 vcc_lo, 1, v59
	v_lshlrev_b64 v[20:21], 1, v[34:35]
	s_cbranch_vccnz .LBB247_146
; %bb.145:
	s_delay_alu instid0(VALU_DEP_1) | instskip(NEXT) | instid1(VALU_DEP_2)
	v_add_co_u32 v53, vcc_lo, v40, v20
	v_add_co_ci_u32_e32 v54, vcc_lo, v41, v21, vcc_lo
	flat_load_u16 v53, v[53:54]
	s_waitcnt vmcnt(0) lgkmcnt(0)
	v_mul_f16_e32 v53, s19, v53
	s_branch .LBB247_147
.LBB247_146:
	v_mov_b32_e32 v53, 0
.LBB247_147:
	v_pk_max_f16 v54, v0, v0
	v_pk_max_f16 v55, v10, v10
	;; [unrolled: 1-line block ×4, first 2 shown]
	v_add_co_u32 v20, vcc_lo, v22, v20
	s_delay_alu instid0(VALU_DEP_4) | instskip(SKIP_1) | instid1(VALU_DEP_4)
	v_pk_min_f16 v54, v55, v54
	v_add_co_ci_u32_e32 v21, vcc_lo, v23, v21, vcc_lo
	v_pk_min_f16 v55, v57, v56
	s_delay_alu instid0(VALU_DEP_3) | instskip(NEXT) | instid1(VALU_DEP_1)
	v_pk_add_f16 v52, v52, v54
	v_pk_add_f16 v52, v52, v55
	s_delay_alu instid0(VALU_DEP_1) | instskip(NEXT) | instid1(VALU_DEP_1)
	v_lshrrev_b32_e32 v54, 16, v52
	v_add_f16_e32 v52, v52, v54
	s_delay_alu instid0(VALU_DEP_1) | instskip(SKIP_3) | instid1(SALU_CYCLE_1)
	v_add_f16_e32 v52, v52, v53
	global_store_b16 v[20:21], v52, off
	s_or_b32 exec_lo, exec_lo, s15
	s_and_b32 s16, s6, s8
	s_and_saveexec_b32 s15, s16
	s_cbranch_execz .LBB247_123
.LBB247_148:
	v_cmp_ne_u32_e32 vcc_lo, 1, v59
	v_lshlrev_b64 v[20:21], 1, v[36:37]
	s_cbranch_vccnz .LBB247_150
; %bb.149:
	s_delay_alu instid0(VALU_DEP_1) | instskip(NEXT) | instid1(VALU_DEP_2)
	v_add_co_u32 v52, vcc_lo, v40, v20
	v_add_co_ci_u32_e32 v53, vcc_lo, v41, v21, vcc_lo
	flat_load_u16 v52, v[52:53]
	s_waitcnt vmcnt(0) lgkmcnt(0)
	v_mul_f16_e32 v52, s19, v52
	s_branch .LBB247_151
.LBB247_150:
	v_mov_b32_e32 v52, 0
.LBB247_151:
	v_pk_max_f16 v53, v0, v0
	v_pk_max_f16 v54, v4, v4
	;; [unrolled: 1-line block ×4, first 2 shown]
	v_add_co_u32 v20, vcc_lo, v22, v20
	s_delay_alu instid0(VALU_DEP_4) | instskip(SKIP_1) | instid1(VALU_DEP_4)
	v_pk_min_f16 v53, v54, v53
	v_add_co_ci_u32_e32 v21, vcc_lo, v23, v21, vcc_lo
	v_pk_min_f16 v54, v56, v55
	s_delay_alu instid0(VALU_DEP_3) | instskip(NEXT) | instid1(VALU_DEP_1)
	v_pk_add_f16 v51, v51, v53
	v_pk_add_f16 v51, v51, v54
	s_delay_alu instid0(VALU_DEP_1) | instskip(NEXT) | instid1(VALU_DEP_1)
	v_lshrrev_b32_e32 v53, 16, v51
	v_add_f16_e32 v51, v51, v53
	s_delay_alu instid0(VALU_DEP_1) | instskip(SKIP_3) | instid1(SALU_CYCLE_1)
	v_add_f16_e32 v51, v51, v52
	global_store_b16 v[20:21], v51, off
	s_or_b32 exec_lo, exec_lo, s15
	s_and_b32 s15, s7, s8
	s_and_saveexec_b32 s8, s15
	s_cbranch_execz .LBB247_156
.LBB247_152:
	v_cmp_ne_u32_e32 vcc_lo, 1, v59
	v_lshlrev_b64 v[20:21], 1, v[38:39]
	s_cbranch_vccnz .LBB247_154
; %bb.153:
	s_delay_alu instid0(VALU_DEP_1) | instskip(NEXT) | instid1(VALU_DEP_2)
	v_add_co_u32 v40, vcc_lo, v40, v20
	v_add_co_ci_u32_e32 v41, vcc_lo, v41, v21, vcc_lo
	flat_load_u16 v40, v[40:41]
	s_waitcnt vmcnt(0) lgkmcnt(0)
	v_mul_f16_e32 v40, s19, v40
	s_branch .LBB247_155
.LBB247_154:
	v_mov_b32_e32 v40, 0
.LBB247_155:
	v_pk_max_f16 v0, v0, v0
	v_pk_max_f16 v41, v6, v6
	;; [unrolled: 1-line block ×4, first 2 shown]
	s_delay_alu instid0(VALU_DEP_3) | instskip(NEXT) | instid1(VALU_DEP_2)
	v_pk_min_f16 v0, v41, v0
	v_pk_min_f16 v1, v51, v1
	s_delay_alu instid0(VALU_DEP_2) | instskip(NEXT) | instid1(VALU_DEP_1)
	v_pk_add_f16 v0, v50, v0
	v_pk_add_f16 v0, v0, v1
	s_delay_alu instid0(VALU_DEP_1) | instskip(NEXT) | instid1(VALU_DEP_1)
	v_lshrrev_b32_e32 v1, 16, v0
	v_add_f16_e32 v0, v0, v1
	s_delay_alu instid0(VALU_DEP_1)
	v_add_f16_e32 v40, v0, v40
	v_add_co_u32 v0, vcc_lo, v22, v20
	v_add_co_ci_u32_e32 v1, vcc_lo, v23, v21, vcc_lo
	global_store_b16 v[0:1], v40, off
.LBB247_156:
	s_or_b32 exec_lo, exec_lo, s8
	v_add_nc_u32_e32 v22, 0x60, v66
	s_delay_alu instid0(VALU_DEP_1) | instskip(SKIP_2) | instid1(VALU_DEP_3)
	v_mad_i64_i32 v[0:1], null, v22, s12, 0
	v_mad_i64_i32 v[20:21], null, v22, s9, 0
	v_cmp_gt_i32_e64 s8, s17, v22
	v_lshlrev_b64 v[0:1], 1, v[0:1]
	s_delay_alu instid0(VALU_DEP_2) | instskip(NEXT) | instid1(VALU_DEP_3)
	s_and_b32 s9, s0, s8
	v_lshlrev_b64 v[20:21], 1, v[20:21]
	s_delay_alu instid0(VALU_DEP_2) | instskip(NEXT) | instid1(VALU_DEP_3)
	v_add_co_u32 v22, vcc_lo, s10, v0
	v_add_co_ci_u32_e32 v23, vcc_lo, s11, v1, vcc_lo
	s_delay_alu instid0(VALU_DEP_3) | instskip(NEXT) | instid1(VALU_DEP_4)
	v_add_co_u32 v20, vcc_lo, s13, v20
	v_add_co_ci_u32_e32 v21, vcc_lo, s14, v21, vcc_lo
	s_and_saveexec_b32 s0, s9
	s_cbranch_execnz .LBB247_165
; %bb.157:
	s_or_b32 exec_lo, exec_lo, s0
	s_and_b32 s1, s1, s8
	s_delay_alu instid0(SALU_CYCLE_1)
	s_and_saveexec_b32 s0, s1
	s_cbranch_execnz .LBB247_169
.LBB247_158:
	s_or_b32 exec_lo, exec_lo, s0
	s_and_b32 s1, s2, s8
	s_delay_alu instid0(SALU_CYCLE_1)
	s_and_saveexec_b32 s0, s1
	s_cbranch_execnz .LBB247_173
.LBB247_159:
	s_or_b32 exec_lo, exec_lo, s0
	s_and_b32 s1, s3, s8
	s_delay_alu instid0(SALU_CYCLE_1)
	s_and_saveexec_b32 s0, s1
	s_cbranch_execnz .LBB247_177
.LBB247_160:
	s_or_b32 exec_lo, exec_lo, s0
	s_and_b32 s1, s4, s8
	s_delay_alu instid0(SALU_CYCLE_1)
	s_and_saveexec_b32 s0, s1
	s_cbranch_execnz .LBB247_181
.LBB247_161:
	s_or_b32 exec_lo, exec_lo, s0
	s_and_b32 s1, s5, s8
	s_delay_alu instid0(SALU_CYCLE_1)
	s_and_saveexec_b32 s0, s1
	s_cbranch_execnz .LBB247_185
.LBB247_162:
	s_or_b32 exec_lo, exec_lo, s0
	s_and_b32 s1, s6, s8
	s_delay_alu instid0(SALU_CYCLE_1)
	s_and_saveexec_b32 s0, s1
	s_cbranch_execnz .LBB247_189
.LBB247_163:
	s_or_b32 exec_lo, exec_lo, s0
	s_and_b32 s0, s7, s8
	s_delay_alu instid0(SALU_CYCLE_1)
	s_and_saveexec_b32 s1, s0
	s_cbranch_execnz .LBB247_193
.LBB247_164:
	s_nop 0
	s_sendmsg sendmsg(MSG_DEALLOC_VGPRS)
	s_endpgm
.LBB247_165:
	v_cmp_ne_u32_e32 vcc_lo, 1, v59
	v_lshlrev_b64 v[0:1], 1, v[24:25]
	s_cbranch_vccnz .LBB247_167
; %bb.166:
	s_delay_alu instid0(VALU_DEP_1) | instskip(NEXT) | instid1(VALU_DEP_2)
	v_add_co_u32 v24, vcc_lo, v22, v0
	v_add_co_ci_u32_e32 v25, vcc_lo, v23, v1, vcc_lo
	flat_load_u16 v24, v[24:25]
	s_waitcnt vmcnt(0) lgkmcnt(0)
	v_mul_f16_e32 v24, s19, v24
	s_branch .LBB247_168
.LBB247_167:
	v_mov_b32_e32 v24, 0
.LBB247_168:
	v_pk_max_f16 v25, v2, v2
	v_pk_max_f16 v16, v16, v16
	;; [unrolled: 1-line block ×4, first 2 shown]
	v_add_co_u32 v0, vcc_lo, v20, v0
	s_delay_alu instid0(VALU_DEP_4) | instskip(SKIP_1) | instid1(VALU_DEP_4)
	v_pk_min_f16 v16, v16, v25
	v_add_co_ci_u32_e32 v1, vcc_lo, v21, v1, vcc_lo
	v_pk_min_f16 v17, v17, v40
	s_delay_alu instid0(VALU_DEP_3) | instskip(NEXT) | instid1(VALU_DEP_1)
	v_pk_add_f16 v16, v49, v16
	v_pk_add_f16 v16, v16, v17
	s_delay_alu instid0(VALU_DEP_1) | instskip(NEXT) | instid1(VALU_DEP_1)
	v_lshrrev_b32_e32 v17, 16, v16
	v_add_f16_e32 v16, v16, v17
	s_delay_alu instid0(VALU_DEP_1) | instskip(SKIP_3) | instid1(SALU_CYCLE_1)
	v_add_f16_e32 v16, v16, v24
	global_store_b16 v[0:1], v16, off
	s_or_b32 exec_lo, exec_lo, s0
	s_and_b32 s1, s1, s8
	s_and_saveexec_b32 s0, s1
	s_cbranch_execz .LBB247_158
.LBB247_169:
	v_cmp_ne_u32_e32 vcc_lo, 1, v59
	v_lshlrev_b64 v[0:1], 1, v[26:27]
	s_cbranch_vccnz .LBB247_171
; %bb.170:
	s_delay_alu instid0(VALU_DEP_1) | instskip(NEXT) | instid1(VALU_DEP_2)
	v_add_co_u32 v16, vcc_lo, v22, v0
	v_add_co_ci_u32_e32 v17, vcc_lo, v23, v1, vcc_lo
	flat_load_u16 v16, v[16:17]
	s_waitcnt vmcnt(0) lgkmcnt(0)
	v_mul_f16_e32 v16, s19, v16
	s_branch .LBB247_172
.LBB247_171:
	v_mov_b32_e32 v16, 0
.LBB247_172:
	v_pk_max_f16 v17, v2, v2
	v_pk_max_f16 v18, v18, v18
	;; [unrolled: 1-line block ×4, first 2 shown]
	v_add_co_u32 v0, vcc_lo, v20, v0
	s_delay_alu instid0(VALU_DEP_4) | instskip(SKIP_1) | instid1(VALU_DEP_4)
	v_pk_min_f16 v17, v18, v17
	v_add_co_ci_u32_e32 v1, vcc_lo, v21, v1, vcc_lo
	v_pk_min_f16 v18, v19, v24
	s_delay_alu instid0(VALU_DEP_3) | instskip(NEXT) | instid1(VALU_DEP_1)
	v_pk_add_f16 v17, v48, v17
	v_pk_add_f16 v17, v17, v18
	s_delay_alu instid0(VALU_DEP_1) | instskip(NEXT) | instid1(VALU_DEP_1)
	v_lshrrev_b32_e32 v18, 16, v17
	v_add_f16_e32 v17, v17, v18
	s_delay_alu instid0(VALU_DEP_1) | instskip(SKIP_3) | instid1(SALU_CYCLE_1)
	v_add_f16_e32 v16, v17, v16
	global_store_b16 v[0:1], v16, off
	s_or_b32 exec_lo, exec_lo, s0
	s_and_b32 s1, s2, s8
	s_and_saveexec_b32 s0, s1
	s_cbranch_execz .LBB247_159
.LBB247_173:
	v_cmp_ne_u32_e32 vcc_lo, 1, v59
	v_lshlrev_b64 v[0:1], 1, v[28:29]
	s_cbranch_vccnz .LBB247_175
; %bb.174:
	s_delay_alu instid0(VALU_DEP_1) | instskip(NEXT) | instid1(VALU_DEP_2)
	v_add_co_u32 v16, vcc_lo, v22, v0
	v_add_co_ci_u32_e32 v17, vcc_lo, v23, v1, vcc_lo
	flat_load_u16 v16, v[16:17]
	s_waitcnt vmcnt(0) lgkmcnt(0)
	v_mul_f16_e32 v16, s19, v16
	s_branch .LBB247_176
.LBB247_175:
	v_mov_b32_e32 v16, 0
.LBB247_176:
	v_pk_max_f16 v17, v2, v2
	v_pk_max_f16 v12, v12, v12
	;; [unrolled: 1-line block ×4, first 2 shown]
	v_add_co_u32 v0, vcc_lo, v20, v0
	s_delay_alu instid0(VALU_DEP_4) | instskip(SKIP_1) | instid1(VALU_DEP_4)
	v_pk_min_f16 v12, v12, v17
	v_add_co_ci_u32_e32 v1, vcc_lo, v21, v1, vcc_lo
	v_pk_min_f16 v13, v13, v18
	s_delay_alu instid0(VALU_DEP_3) | instskip(NEXT) | instid1(VALU_DEP_1)
	v_pk_add_f16 v12, v47, v12
	v_pk_add_f16 v12, v12, v13
	s_delay_alu instid0(VALU_DEP_1) | instskip(NEXT) | instid1(VALU_DEP_1)
	v_lshrrev_b32_e32 v13, 16, v12
	v_add_f16_e32 v12, v12, v13
	s_delay_alu instid0(VALU_DEP_1) | instskip(SKIP_3) | instid1(SALU_CYCLE_1)
	v_add_f16_e32 v12, v12, v16
	global_store_b16 v[0:1], v12, off
	s_or_b32 exec_lo, exec_lo, s0
	s_and_b32 s1, s3, s8
	s_and_saveexec_b32 s0, s1
	s_cbranch_execz .LBB247_160
.LBB247_177:
	v_cmp_ne_u32_e32 vcc_lo, 1, v59
	v_lshlrev_b64 v[0:1], 1, v[30:31]
	s_cbranch_vccnz .LBB247_179
; %bb.178:
	s_delay_alu instid0(VALU_DEP_1) | instskip(NEXT) | instid1(VALU_DEP_2)
	v_add_co_u32 v12, vcc_lo, v22, v0
	v_add_co_ci_u32_e32 v13, vcc_lo, v23, v1, vcc_lo
	flat_load_u16 v12, v[12:13]
	s_waitcnt vmcnt(0) lgkmcnt(0)
	v_mul_f16_e32 v12, s19, v12
	s_branch .LBB247_180
.LBB247_179:
	v_mov_b32_e32 v12, 0
.LBB247_180:
	v_pk_max_f16 v13, v2, v2
	v_pk_max_f16 v14, v14, v14
	;; [unrolled: 1-line block ×4, first 2 shown]
	v_add_co_u32 v0, vcc_lo, v20, v0
	s_delay_alu instid0(VALU_DEP_4) | instskip(SKIP_1) | instid1(VALU_DEP_4)
	v_pk_min_f16 v13, v14, v13
	v_add_co_ci_u32_e32 v1, vcc_lo, v21, v1, vcc_lo
	v_pk_min_f16 v14, v15, v16
	s_delay_alu instid0(VALU_DEP_3) | instskip(NEXT) | instid1(VALU_DEP_1)
	v_pk_add_f16 v13, v46, v13
	v_pk_add_f16 v13, v13, v14
	s_delay_alu instid0(VALU_DEP_1) | instskip(NEXT) | instid1(VALU_DEP_1)
	v_lshrrev_b32_e32 v14, 16, v13
	v_add_f16_e32 v13, v13, v14
	s_delay_alu instid0(VALU_DEP_1) | instskip(SKIP_3) | instid1(SALU_CYCLE_1)
	v_add_f16_e32 v12, v13, v12
	global_store_b16 v[0:1], v12, off
	s_or_b32 exec_lo, exec_lo, s0
	s_and_b32 s1, s4, s8
	s_and_saveexec_b32 s0, s1
	s_cbranch_execz .LBB247_161
.LBB247_181:
	v_cmp_ne_u32_e32 vcc_lo, 1, v59
	v_lshlrev_b64 v[0:1], 1, v[32:33]
	s_cbranch_vccnz .LBB247_183
; %bb.182:
	s_delay_alu instid0(VALU_DEP_1) | instskip(NEXT) | instid1(VALU_DEP_2)
	v_add_co_u32 v12, vcc_lo, v22, v0
	v_add_co_ci_u32_e32 v13, vcc_lo, v23, v1, vcc_lo
	flat_load_u16 v12, v[12:13]
	s_waitcnt vmcnt(0) lgkmcnt(0)
	v_mul_f16_e32 v12, s19, v12
	s_branch .LBB247_184
.LBB247_183:
	v_mov_b32_e32 v12, 0
.LBB247_184:
	v_pk_max_f16 v13, v2, v2
	v_pk_max_f16 v8, v8, v8
	v_pk_max_f16 v14, v3, v3
	v_pk_max_f16 v9, v9, v9
	v_add_co_u32 v0, vcc_lo, v20, v0
	s_delay_alu instid0(VALU_DEP_4) | instskip(SKIP_1) | instid1(VALU_DEP_4)
	v_pk_min_f16 v8, v8, v13
	v_add_co_ci_u32_e32 v1, vcc_lo, v21, v1, vcc_lo
	v_pk_min_f16 v9, v9, v14
	s_delay_alu instid0(VALU_DEP_3) | instskip(NEXT) | instid1(VALU_DEP_1)
	v_pk_add_f16 v8, v45, v8
	v_pk_add_f16 v8, v8, v9
	s_delay_alu instid0(VALU_DEP_1) | instskip(NEXT) | instid1(VALU_DEP_1)
	v_lshrrev_b32_e32 v9, 16, v8
	v_add_f16_e32 v8, v8, v9
	s_delay_alu instid0(VALU_DEP_1) | instskip(SKIP_3) | instid1(SALU_CYCLE_1)
	v_add_f16_e32 v8, v8, v12
	global_store_b16 v[0:1], v8, off
	s_or_b32 exec_lo, exec_lo, s0
	s_and_b32 s1, s5, s8
	s_and_saveexec_b32 s0, s1
	s_cbranch_execz .LBB247_162
.LBB247_185:
	v_cmp_ne_u32_e32 vcc_lo, 1, v59
	v_lshlrev_b64 v[0:1], 1, v[34:35]
	s_cbranch_vccnz .LBB247_187
; %bb.186:
	s_delay_alu instid0(VALU_DEP_1) | instskip(NEXT) | instid1(VALU_DEP_2)
	v_add_co_u32 v8, vcc_lo, v22, v0
	v_add_co_ci_u32_e32 v9, vcc_lo, v23, v1, vcc_lo
	flat_load_u16 v8, v[8:9]
	s_waitcnt vmcnt(0) lgkmcnt(0)
	v_mul_f16_e32 v8, s19, v8
	s_branch .LBB247_188
.LBB247_187:
	v_mov_b32_e32 v8, 0
.LBB247_188:
	v_pk_max_f16 v9, v2, v2
	v_pk_max_f16 v10, v10, v10
	v_pk_max_f16 v12, v3, v3
	v_pk_max_f16 v11, v11, v11
	v_add_co_u32 v0, vcc_lo, v20, v0
	s_delay_alu instid0(VALU_DEP_4) | instskip(SKIP_1) | instid1(VALU_DEP_4)
	v_pk_min_f16 v9, v10, v9
	v_add_co_ci_u32_e32 v1, vcc_lo, v21, v1, vcc_lo
	v_pk_min_f16 v10, v11, v12
	s_delay_alu instid0(VALU_DEP_3) | instskip(NEXT) | instid1(VALU_DEP_1)
	v_pk_add_f16 v9, v44, v9
	v_pk_add_f16 v9, v9, v10
	s_delay_alu instid0(VALU_DEP_1) | instskip(NEXT) | instid1(VALU_DEP_1)
	v_lshrrev_b32_e32 v10, 16, v9
	v_add_f16_e32 v9, v9, v10
	s_delay_alu instid0(VALU_DEP_1) | instskip(SKIP_3) | instid1(SALU_CYCLE_1)
	v_add_f16_e32 v8, v9, v8
	global_store_b16 v[0:1], v8, off
	s_or_b32 exec_lo, exec_lo, s0
	s_and_b32 s1, s6, s8
	s_and_saveexec_b32 s0, s1
	s_cbranch_execz .LBB247_163
.LBB247_189:
	v_cmp_ne_u32_e32 vcc_lo, 1, v59
	v_lshlrev_b64 v[0:1], 1, v[36:37]
	s_cbranch_vccnz .LBB247_191
; %bb.190:
	s_delay_alu instid0(VALU_DEP_1) | instskip(NEXT) | instid1(VALU_DEP_2)
	v_add_co_u32 v8, vcc_lo, v22, v0
	v_add_co_ci_u32_e32 v9, vcc_lo, v23, v1, vcc_lo
	flat_load_u16 v8, v[8:9]
	s_waitcnt vmcnt(0) lgkmcnt(0)
	v_mul_f16_e32 v8, s19, v8
	s_branch .LBB247_192
.LBB247_191:
	v_mov_b32_e32 v8, 0
.LBB247_192:
	v_pk_max_f16 v9, v2, v2
	v_pk_max_f16 v4, v4, v4
	;; [unrolled: 1-line block ×4, first 2 shown]
	v_add_co_u32 v0, vcc_lo, v20, v0
	s_delay_alu instid0(VALU_DEP_4) | instskip(SKIP_1) | instid1(VALU_DEP_4)
	v_pk_min_f16 v4, v4, v9
	v_add_co_ci_u32_e32 v1, vcc_lo, v21, v1, vcc_lo
	v_pk_min_f16 v5, v5, v10
	s_delay_alu instid0(VALU_DEP_3) | instskip(NEXT) | instid1(VALU_DEP_1)
	v_pk_add_f16 v4, v43, v4
	v_pk_add_f16 v4, v4, v5
	s_delay_alu instid0(VALU_DEP_1) | instskip(NEXT) | instid1(VALU_DEP_1)
	v_lshrrev_b32_e32 v5, 16, v4
	v_add_f16_e32 v4, v4, v5
	s_delay_alu instid0(VALU_DEP_1) | instskip(SKIP_3) | instid1(SALU_CYCLE_1)
	v_add_f16_e32 v4, v4, v8
	global_store_b16 v[0:1], v4, off
	s_or_b32 exec_lo, exec_lo, s0
	s_and_b32 s0, s7, s8
	s_and_saveexec_b32 s1, s0
	s_cbranch_execz .LBB247_164
.LBB247_193:
	v_cmp_ne_u32_e32 vcc_lo, 1, v59
	v_lshlrev_b64 v[0:1], 1, v[38:39]
	s_cbranch_vccnz .LBB247_195
; %bb.194:
	s_delay_alu instid0(VALU_DEP_1) | instskip(NEXT) | instid1(VALU_DEP_2)
	v_add_co_u32 v4, vcc_lo, v22, v0
	v_add_co_ci_u32_e32 v5, vcc_lo, v23, v1, vcc_lo
	flat_load_u16 v4, v[4:5]
	s_waitcnt vmcnt(0) lgkmcnt(0)
	v_mul_f16_e32 v4, s19, v4
	s_branch .LBB247_196
.LBB247_195:
	v_mov_b32_e32 v4, 0
.LBB247_196:
	v_pk_max_f16 v2, v2, v2
	v_pk_max_f16 v5, v6, v6
	;; [unrolled: 1-line block ×4, first 2 shown]
	v_add_co_u32 v0, vcc_lo, v20, v0
	s_delay_alu instid0(VALU_DEP_4) | instskip(SKIP_1) | instid1(VALU_DEP_4)
	v_pk_min_f16 v2, v5, v2
	v_add_co_ci_u32_e32 v1, vcc_lo, v21, v1, vcc_lo
	v_pk_min_f16 v3, v6, v3
	s_delay_alu instid0(VALU_DEP_3) | instskip(NEXT) | instid1(VALU_DEP_1)
	v_pk_add_f16 v2, v42, v2
	v_pk_add_f16 v2, v2, v3
	s_delay_alu instid0(VALU_DEP_1) | instskip(NEXT) | instid1(VALU_DEP_1)
	v_lshrrev_b32_e32 v3, 16, v2
	v_add_f16_e32 v2, v2, v3
	s_delay_alu instid0(VALU_DEP_1)
	v_add_f16_e32 v2, v2, v4
	global_store_b16 v[0:1], v2, off
	s_nop 0
	s_sendmsg sendmsg(MSG_DEALLOC_VGPRS)
	s_endpgm
	.section	.rodata,"a",@progbits
	.p2align	6, 0x0
	.amdhsa_kernel _ZN12_GLOBAL__N_120geam_min_plus_kernelIDF16_Dv2_DF16_S1_Li8ELi32ELi64ELi128ELi4ELi64ELi4ELi64ELi4ELc78ELc84ELb1ELb1ELb0EDF16_KPKDF16_KPDF16_EEviiiT16_PT17_ilS9_ilS7_S9_ilPT18_ili26rocblas_geam_ex_operation_
		.amdhsa_group_segment_fixed_size 3072
		.amdhsa_private_segment_fixed_size 0
		.amdhsa_kernarg_size 128
		.amdhsa_user_sgpr_count 14
		.amdhsa_user_sgpr_dispatch_ptr 0
		.amdhsa_user_sgpr_queue_ptr 0
		.amdhsa_user_sgpr_kernarg_segment_ptr 1
		.amdhsa_user_sgpr_dispatch_id 0
		.amdhsa_user_sgpr_private_segment_size 0
		.amdhsa_wavefront_size32 1
		.amdhsa_uses_dynamic_stack 0
		.amdhsa_enable_private_segment 0
		.amdhsa_system_sgpr_workgroup_id_x 1
		.amdhsa_system_sgpr_workgroup_id_y 0
		.amdhsa_system_sgpr_workgroup_id_z 1
		.amdhsa_system_sgpr_workgroup_info 0
		.amdhsa_system_vgpr_workitem_id 1
		.amdhsa_next_free_vgpr 127
		.amdhsa_next_free_sgpr 27
		.amdhsa_reserve_vcc 1
		.amdhsa_float_round_mode_32 0
		.amdhsa_float_round_mode_16_64 0
		.amdhsa_float_denorm_mode_32 3
		.amdhsa_float_denorm_mode_16_64 3
		.amdhsa_dx10_clamp 1
		.amdhsa_ieee_mode 1
		.amdhsa_fp16_overflow 0
		.amdhsa_workgroup_processor_mode 1
		.amdhsa_memory_ordered 1
		.amdhsa_forward_progress 0
		.amdhsa_shared_vgpr_count 0
		.amdhsa_exception_fp_ieee_invalid_op 0
		.amdhsa_exception_fp_denorm_src 0
		.amdhsa_exception_fp_ieee_div_zero 0
		.amdhsa_exception_fp_ieee_overflow 0
		.amdhsa_exception_fp_ieee_underflow 0
		.amdhsa_exception_fp_ieee_inexact 0
		.amdhsa_exception_int_div_zero 0
	.end_amdhsa_kernel
	.section	.text._ZN12_GLOBAL__N_120geam_min_plus_kernelIDF16_Dv2_DF16_S1_Li8ELi32ELi64ELi128ELi4ELi64ELi4ELi64ELi4ELc78ELc84ELb1ELb1ELb0EDF16_KPKDF16_KPDF16_EEviiiT16_PT17_ilS9_ilS7_S9_ilPT18_ili26rocblas_geam_ex_operation_,"axG",@progbits,_ZN12_GLOBAL__N_120geam_min_plus_kernelIDF16_Dv2_DF16_S1_Li8ELi32ELi64ELi128ELi4ELi64ELi4ELi64ELi4ELc78ELc84ELb1ELb1ELb0EDF16_KPKDF16_KPDF16_EEviiiT16_PT17_ilS9_ilS7_S9_ilPT18_ili26rocblas_geam_ex_operation_,comdat
.Lfunc_end247:
	.size	_ZN12_GLOBAL__N_120geam_min_plus_kernelIDF16_Dv2_DF16_S1_Li8ELi32ELi64ELi128ELi4ELi64ELi4ELi64ELi4ELc78ELc84ELb1ELb1ELb0EDF16_KPKDF16_KPDF16_EEviiiT16_PT17_ilS9_ilS7_S9_ilPT18_ili26rocblas_geam_ex_operation_, .Lfunc_end247-_ZN12_GLOBAL__N_120geam_min_plus_kernelIDF16_Dv2_DF16_S1_Li8ELi32ELi64ELi128ELi4ELi64ELi4ELi64ELi4ELc78ELc84ELb1ELb1ELb0EDF16_KPKDF16_KPDF16_EEviiiT16_PT17_ilS9_ilS7_S9_ilPT18_ili26rocblas_geam_ex_operation_
                                        ; -- End function
	.section	.AMDGPU.csdata,"",@progbits
; Kernel info:
; codeLenInByte = 12788
; NumSgprs: 29
; NumVgprs: 127
; ScratchSize: 0
; MemoryBound: 0
; FloatMode: 240
; IeeeMode: 1
; LDSByteSize: 3072 bytes/workgroup (compile time only)
; SGPRBlocks: 3
; VGPRBlocks: 15
; NumSGPRsForWavesPerEU: 29
; NumVGPRsForWavesPerEU: 127
; Occupancy: 10
; WaveLimiterHint : 1
; COMPUTE_PGM_RSRC2:SCRATCH_EN: 0
; COMPUTE_PGM_RSRC2:USER_SGPR: 14
; COMPUTE_PGM_RSRC2:TRAP_HANDLER: 0
; COMPUTE_PGM_RSRC2:TGID_X_EN: 1
; COMPUTE_PGM_RSRC2:TGID_Y_EN: 0
; COMPUTE_PGM_RSRC2:TGID_Z_EN: 1
; COMPUTE_PGM_RSRC2:TIDIG_COMP_CNT: 1
	.section	.text._ZN12_GLOBAL__N_120geam_min_plus_kernelIDF16_Dv2_DF16_S1_Li8ELi32ELi64ELi128ELi4ELi64ELi4ELi64ELi4ELc78ELc84ELb0ELb1ELb0EDF16_KPKDF16_KPDF16_EEviiiT16_PT17_ilS9_ilS7_S9_ilPT18_ili26rocblas_geam_ex_operation_,"axG",@progbits,_ZN12_GLOBAL__N_120geam_min_plus_kernelIDF16_Dv2_DF16_S1_Li8ELi32ELi64ELi128ELi4ELi64ELi4ELi64ELi4ELc78ELc84ELb0ELb1ELb0EDF16_KPKDF16_KPDF16_EEviiiT16_PT17_ilS9_ilS7_S9_ilPT18_ili26rocblas_geam_ex_operation_,comdat
	.globl	_ZN12_GLOBAL__N_120geam_min_plus_kernelIDF16_Dv2_DF16_S1_Li8ELi32ELi64ELi128ELi4ELi64ELi4ELi64ELi4ELc78ELc84ELb0ELb1ELb0EDF16_KPKDF16_KPDF16_EEviiiT16_PT17_ilS9_ilS7_S9_ilPT18_ili26rocblas_geam_ex_operation_ ; -- Begin function _ZN12_GLOBAL__N_120geam_min_plus_kernelIDF16_Dv2_DF16_S1_Li8ELi32ELi64ELi128ELi4ELi64ELi4ELi64ELi4ELc78ELc84ELb0ELb1ELb0EDF16_KPKDF16_KPDF16_EEviiiT16_PT17_ilS9_ilS7_S9_ilPT18_ili26rocblas_geam_ex_operation_
	.p2align	8
	.type	_ZN12_GLOBAL__N_120geam_min_plus_kernelIDF16_Dv2_DF16_S1_Li8ELi32ELi64ELi128ELi4ELi64ELi4ELi64ELi4ELc78ELc84ELb0ELb1ELb0EDF16_KPKDF16_KPDF16_EEviiiT16_PT17_ilS9_ilS7_S9_ilPT18_ili26rocblas_geam_ex_operation_,@function
_ZN12_GLOBAL__N_120geam_min_plus_kernelIDF16_Dv2_DF16_S1_Li8ELi32ELi64ELi128ELi4ELi64ELi4ELi64ELi4ELc78ELc84ELb0ELb1ELb0EDF16_KPKDF16_KPDF16_EEviiiT16_PT17_ilS9_ilS7_S9_ilPT18_ili26rocblas_geam_ex_operation_: ; @_ZN12_GLOBAL__N_120geam_min_plus_kernelIDF16_Dv2_DF16_S1_Li8ELi32ELi64ELi128ELi4ELi64ELi4ELi64ELi4ELc78ELc84ELb0ELb1ELb0EDF16_KPKDF16_KPDF16_EEviiiT16_PT17_ilS9_ilS7_S9_ilPT18_ili26rocblas_geam_ex_operation_
; %bb.0:
	s_clause 0x1
	s_load_b128 s[16:19], s[0:1], 0x0
	s_load_b128 s[4:7], s[0:1], 0x20
	s_mov_b32 s2, s15
	s_mov_b32 s3, 0
	s_waitcnt lgkmcnt(0)
	v_cmp_eq_f16_e64 s8, s19, 0
	v_cmp_neq_f16_e64 s23, s19, 0
	s_delay_alu instid0(VALU_DEP_2)
	s_and_b32 vcc_lo, exec_lo, s8
	s_cbranch_vccnz .LBB248_3
; %bb.1:
	s_load_b64 s[10:11], s[0:1], 0x10
	s_lshl_b64 s[12:13], s[2:3], 3
	s_waitcnt lgkmcnt(0)
	s_add_u32 s10, s10, s12
	s_addc_u32 s11, s11, s13
	s_lshl_b64 s[4:5], s[4:5], 1
	s_load_b64 s[10:11], s[10:11], 0x0
	s_waitcnt lgkmcnt(0)
	s_add_u32 s12, s10, s4
	s_addc_u32 s13, s11, s5
	s_and_not1_b32 vcc_lo, exec_lo, s8
	s_cbranch_vccnz .LBB248_4
.LBB248_2:
	s_mov_b64 s[8:9], 0
	s_and_not1_b32 vcc_lo, exec_lo, s3
	s_cbranch_vccz .LBB248_5
	s_branch .LBB248_6
.LBB248_3:
	s_mov_b64 s[12:13], 0
	s_and_not1_b32 vcc_lo, exec_lo, s8
	s_cbranch_vccz .LBB248_2
.LBB248_4:
	s_mov_b32 s3, -1
                                        ; implicit-def: $sgpr8_sgpr9
.LBB248_5:
	s_mov_b32 s3, 0
	s_load_b64 s[8:9], s[0:1], 0x38
	s_lshl_b64 s[4:5], s[2:3], 3
	s_delay_alu instid0(SALU_CYCLE_1) | instskip(SKIP_4) | instid1(SALU_CYCLE_1)
	s_add_u32 s4, s6, s4
	s_addc_u32 s5, s7, s5
	s_load_b64 s[4:5], s[4:5], 0x0
	s_waitcnt lgkmcnt(0)
	s_lshl_b64 s[6:7], s[8:9], 1
	s_add_u32 s8, s4, s6
	s_addc_u32 s9, s5, s7
.LBB248_6:
	s_clause 0x1
	s_load_b32 s15, s[0:1], 0x40
	s_load_b128 s[4:7], s[0:1], 0x58
	s_waitcnt lgkmcnt(0)
	v_cmp_eq_f16_e64 s10, s15, 0
	v_cmp_neq_f16_e64 s22, s15, 0
	s_delay_alu instid0(VALU_DEP_2)
	s_and_b32 vcc_lo, exec_lo, s10
	s_cbranch_vccnz .LBB248_8
; %bb.7:
	s_load_b64 s[10:11], s[0:1], 0x48
	s_lshl_b64 s[20:21], s[2:3], 3
	s_waitcnt lgkmcnt(0)
	s_add_u32 s10, s10, s20
	s_addc_u32 s11, s11, s21
	s_lshl_b64 s[4:5], s[4:5], 1
	s_load_b64 s[10:11], s[10:11], 0x0
	s_waitcnt lgkmcnt(0)
	s_add_u32 s10, s10, s4
	s_addc_u32 s11, s11, s5
	s_branch .LBB248_9
.LBB248_8:
	s_mov_b64 s[10:11], 0
.LBB248_9:
	s_load_b32 s20, s[0:1], 0x18
	s_lshl_b64 s[2:3], s[2:3], 3
	v_dual_mov_b32 v9, 0 :: v_dual_and_b32 v30, 0x3ff, v0
	v_bfe_u32 v31, v0, 10, 10
	v_mov_b32_e32 v8, 0
	s_waitcnt lgkmcnt(0)
	s_ashr_i32 s21, s20, 31
	s_add_u32 s4, s6, s2
	s_addc_u32 s5, s7, s3
	s_add_i32 s2, s16, -1
	s_delay_alu instid0(SALU_CYCLE_1) | instskip(NEXT) | instid1(SALU_CYCLE_1)
	s_ashr_i32 s3, s2, 31
	s_lshr_b32 s3, s3, 26
	s_delay_alu instid0(SALU_CYCLE_1) | instskip(NEXT) | instid1(SALU_CYCLE_1)
	s_add_i32 s2, s2, s3
	s_ashr_i32 s2, s2, 6
	s_delay_alu instid0(SALU_CYCLE_1) | instskip(SKIP_2) | instid1(VALU_DEP_1)
	s_add_i32 s6, s2, 1
	s_not_b32 s2, s2
	v_cvt_f32_u32_e32 v1, s6
	v_rcp_iflag_f32_e32 v1, v1
	s_waitcnt_depctr 0xfff
	v_mul_f32_e32 v1, 0x4f7ffffe, v1
	s_delay_alu instid0(VALU_DEP_1) | instskip(NEXT) | instid1(VALU_DEP_1)
	v_cvt_u32_f32_e32 v1, v1
	v_readfirstlane_b32 s3, v1
	v_lshl_add_u32 v1, v31, 3, v30
	s_delay_alu instid0(VALU_DEP_2) | instskip(NEXT) | instid1(VALU_DEP_1)
	s_mul_i32 s2, s2, s3
	v_and_b32_e32 v7, 63, v1
	s_mul_hi_u32 s2, s3, s2
	v_lshrrev_b32_e32 v32, 6, v1
	s_add_i32 s3, s3, s2
	s_delay_alu instid0(SALU_CYCLE_1) | instskip(NEXT) | instid1(SALU_CYCLE_1)
	s_mul_hi_u32 s2, s14, s3
	s_mul_i32 s3, s2, s6
	s_add_i32 s7, s2, 1
	s_sub_i32 s3, s14, s3
	s_delay_alu instid0(SALU_CYCLE_1)
	s_sub_i32 s24, s3, s6
	s_cmp_ge_u32 s3, s6
	s_cselect_b32 s2, s7, s2
	s_cselect_b32 s3, s24, s3
	s_add_i32 s7, s2, 1
	s_cmp_ge_u32 s3, s6
	s_cselect_b32 s3, s7, s2
	s_delay_alu instid0(SALU_CYCLE_1) | instskip(SKIP_2) | instid1(SALU_CYCLE_1)
	s_mul_i32 s2, s3, s6
	s_load_b64 s[6:7], s[4:5], 0x0
	s_sub_i32 s2, s14, s2
	s_lshl_b32 s14, s2, 6
	v_cmp_gt_i32_e64 s2, s18, v32
	v_or_b32_e32 v0, s14, v7
	s_delay_alu instid0(VALU_DEP_1) | instskip(SKIP_1) | instid1(VALU_DEP_4)
	v_cmp_gt_i32_e32 vcc_lo, s16, v0
	v_ashrrev_i32_e32 v1, 31, v0
	s_and_b32 s2, s2, vcc_lo
	s_delay_alu instid0(SALU_CYCLE_1) | instskip(NEXT) | instid1(SALU_CYCLE_1)
	s_and_b32 s2, s23, s2
	s_and_saveexec_b32 s4, s2
	s_cbranch_execz .LBB248_11
; %bb.10:
	v_mad_i64_i32 v[2:3], null, s20, v32, 0
	v_lshlrev_b64 v[4:5], 1, v[0:1]
	s_delay_alu instid0(VALU_DEP_2) | instskip(NEXT) | instid1(VALU_DEP_1)
	v_lshlrev_b64 v[2:3], 1, v[2:3]
	v_add_co_u32 v2, s2, s12, v2
	s_delay_alu instid0(VALU_DEP_1) | instskip(NEXT) | instid1(VALU_DEP_2)
	v_add_co_ci_u32_e64 v3, s2, s13, v3, s2
	v_add_co_u32 v2, s2, v2, v4
	s_delay_alu instid0(VALU_DEP_1)
	v_add_co_ci_u32_e64 v3, s2, v3, v5, s2
	flat_load_u16 v2, v[2:3]
	s_waitcnt vmcnt(0) lgkmcnt(0)
	v_mul_f16_e32 v9, s19, v2
.LBB248_11:
	s_or_b32 exec_lo, exec_lo, s4
	s_load_b32 s25, s[0:1], 0x30
	s_add_i32 s26, s18, -1
	s_lshl_b32 s24, s3, 7
	v_min_i32_e32 v2, s26, v32
	v_cmp_le_i32_e64 s4, s18, v32
	s_xor_b32 s27, s23, -1
	s_waitcnt lgkmcnt(0)
	s_delay_alu instid0(VALU_DEP_2) | instskip(SKIP_1) | instid1(VALU_DEP_1)
	v_mad_i64_i32 v[3:4], null, s25, v2, 0
	v_or_b32_e32 v2, s24, v7
	v_cmp_le_i32_e64 s2, s17, v2
	s_delay_alu instid0(VALU_DEP_3) | instskip(NEXT) | instid1(VALU_DEP_2)
	v_lshlrev_b64 v[3:4], 1, v[3:4]
	s_or_b32 s5, s4, s2
	s_delay_alu instid0(VALU_DEP_1) | instskip(NEXT) | instid1(VALU_DEP_1)
	v_add_co_u32 v5, s3, s8, v3
	v_add_co_ci_u32_e64 v6, s3, s9, v4, s3
	v_ashrrev_i32_e32 v3, 31, v2
	s_or_b32 s3, s5, s27
	s_delay_alu instid0(SALU_CYCLE_1) | instskip(NEXT) | instid1(SALU_CYCLE_1)
	s_xor_b32 s3, s3, -1
	s_and_saveexec_b32 s5, s3
	s_cbranch_execz .LBB248_13
; %bb.12:
	v_lshlrev_b64 v[10:11], 1, v[2:3]
	s_delay_alu instid0(VALU_DEP_1) | instskip(NEXT) | instid1(VALU_DEP_1)
	v_add_co_u32 v10, s3, v5, v10
	v_add_co_ci_u32_e64 v11, s3, v6, v11, s3
	flat_load_u16 v4, v[10:11]
	s_waitcnt vmcnt(0) lgkmcnt(0)
	v_mul_f16_e32 v8, s19, v4
.LBB248_13:
	s_or_b32 exec_lo, exec_lo, s5
	v_or_b32_e32 v4, 64, v2
	v_mov_b32_e32 v10, 0
	s_delay_alu instid0(VALU_DEP_2) | instskip(SKIP_1) | instid1(VALU_DEP_2)
	v_cmp_le_i32_e64 s3, s17, v4
	v_mov_b32_e32 v4, 0
	s_or_b32 s4, s4, s3
	s_delay_alu instid0(SALU_CYCLE_1) | instskip(NEXT) | instid1(SALU_CYCLE_1)
	s_or_b32 s4, s4, s27
	s_xor_b32 s4, s4, -1
	s_delay_alu instid0(SALU_CYCLE_1)
	s_and_saveexec_b32 s5, s4
	s_cbranch_execz .LBB248_15
; %bb.14:
	v_lshlrev_b64 v[10:11], 1, v[2:3]
	s_delay_alu instid0(VALU_DEP_1) | instskip(NEXT) | instid1(VALU_DEP_1)
	v_add_co_u32 v5, s4, v5, v10
	v_add_co_ci_u32_e64 v6, s4, v6, v11, s4
	flat_load_u16 v5, v[5:6] offset:128
	s_waitcnt vmcnt(0) lgkmcnt(0)
	v_mul_f16_e32 v10, s19, v5
.LBB248_15:
	s_or_b32 exec_lo, exec_lo, s5
	v_add_nc_u32_e32 v5, 4, v32
	s_delay_alu instid0(VALU_DEP_1) | instskip(NEXT) | instid1(VALU_DEP_1)
	v_cmp_gt_i32_e64 s4, s18, v5
	s_and_b32 s4, vcc_lo, s4
	s_delay_alu instid0(SALU_CYCLE_1) | instskip(NEXT) | instid1(SALU_CYCLE_1)
	s_and_b32 s4, s23, s4
	s_and_saveexec_b32 s5, s4
	s_cbranch_execz .LBB248_17
; %bb.16:
	v_mad_u64_u32 v[11:12], null, s20, v5, 0
	s_delay_alu instid0(VALU_DEP_1) | instskip(NEXT) | instid1(VALU_DEP_1)
	v_mov_b32_e32 v4, v12
	v_mad_u64_u32 v[12:13], null, s21, v5, v[4:5]
	v_lshlrev_b64 v[13:14], 1, v[0:1]
	s_delay_alu instid0(VALU_DEP_2) | instskip(NEXT) | instid1(VALU_DEP_1)
	v_lshlrev_b64 v[11:12], 1, v[11:12]
	v_add_co_u32 v4, s4, s12, v11
	s_delay_alu instid0(VALU_DEP_1) | instskip(NEXT) | instid1(VALU_DEP_2)
	v_add_co_ci_u32_e64 v6, s4, s13, v12, s4
	v_add_co_u32 v11, s4, v4, v13
	s_delay_alu instid0(VALU_DEP_1)
	v_add_co_ci_u32_e64 v12, s4, v6, v14, s4
	flat_load_u16 v4, v[11:12]
	s_waitcnt vmcnt(0) lgkmcnt(0)
	v_mul_f16_e32 v4, s19, v4
.LBB248_17:
	s_or_b32 exec_lo, exec_lo, s5
	v_min_i32_e32 v6, s26, v5
	v_cmp_le_i32_e64 s4, s18, v5
	v_mov_b32_e32 v5, 0
	s_delay_alu instid0(VALU_DEP_3) | instskip(SKIP_1) | instid1(VALU_DEP_4)
	v_mad_i64_i32 v[11:12], null, s25, v6, 0
	v_mov_b32_e32 v6, 0
	s_or_b32 s28, s2, s4
	s_delay_alu instid0(VALU_DEP_2) | instskip(NEXT) | instid1(VALU_DEP_1)
	v_lshlrev_b64 v[11:12], 1, v[11:12]
	v_add_co_u32 v11, s5, s8, v11
	s_delay_alu instid0(VALU_DEP_1) | instskip(SKIP_1) | instid1(SALU_CYCLE_1)
	v_add_co_ci_u32_e64 v12, s5, s9, v12, s5
	s_or_b32 s5, s28, s27
	s_xor_b32 s5, s5, -1
	s_delay_alu instid0(SALU_CYCLE_1)
	s_and_saveexec_b32 s28, s5
	s_cbranch_execz .LBB248_19
; %bb.18:
	v_lshlrev_b64 v[13:14], 1, v[2:3]
	s_delay_alu instid0(VALU_DEP_1) | instskip(NEXT) | instid1(VALU_DEP_1)
	v_add_co_u32 v13, s5, v11, v13
	v_add_co_ci_u32_e64 v14, s5, v12, v14, s5
	flat_load_u16 v6, v[13:14]
	s_waitcnt vmcnt(0) lgkmcnt(0)
	v_mul_f16_e32 v6, s19, v6
.LBB248_19:
	s_or_b32 exec_lo, exec_lo, s28
	s_or_b32 s4, s3, s4
	s_delay_alu instid0(SALU_CYCLE_1) | instskip(NEXT) | instid1(SALU_CYCLE_1)
	s_or_b32 s4, s4, s27
	s_xor_b32 s4, s4, -1
	s_delay_alu instid0(SALU_CYCLE_1)
	s_and_saveexec_b32 s5, s4
	s_cbranch_execz .LBB248_21
; %bb.20:
	v_lshlrev_b64 v[13:14], 1, v[2:3]
	s_delay_alu instid0(VALU_DEP_1) | instskip(NEXT) | instid1(VALU_DEP_1)
	v_add_co_u32 v11, s4, v11, v13
	v_add_co_ci_u32_e64 v12, s4, v12, v14, s4
	flat_load_u16 v5, v[11:12] offset:128
	s_waitcnt vmcnt(0) lgkmcnt(0)
	v_mul_f16_e32 v5, s19, v5
.LBB248_21:
	s_or_b32 exec_lo, exec_lo, s5
	v_lshlrev_b32_e32 v11, 1, v32
	v_lshlrev_b32_e32 v34, 3, v30
	v_lshlrev_b32_e32 v33, 3, v31
	s_mov_b32 s28, 0
	s_cmp_lt_i32 s18, 9
	v_lshl_add_u32 v35, v7, 3, v11
	v_add_nc_u32_e32 v27, 0x800, v34
	ds_store_b16 v35, v8
	ds_store_b16 v35, v9 offset:2048
	ds_store_b16 v35, v10 offset:512
	s_waitcnt lgkmcnt(0)
	s_barrier
	buffer_gl0_inv
	ds_load_2addr_b64 v[7:10], v33 offset1:32
	ds_load_2addr_b64 v[11:14], v27 offset0:48 offset1:56
	ds_load_2addr_b64 v[15:18], v33 offset0:64 offset1:96
	ds_load_2addr_b64 v[19:22], v27 offset1:8
	ds_load_2addr_b64 v[23:26], v27 offset0:16 offset1:24
	ds_load_2addr_b64 v[37:40], v27 offset0:32 offset1:40
	ds_store_b16 v35, v6 offset:1024
	ds_store_b16 v35, v4 offset:2560
	;; [unrolled: 1-line block ×3, first 2 shown]
	s_waitcnt lgkmcnt(0)
	s_barrier
	buffer_gl0_inv
	v_pk_max_f16 v7, v7, v7
	v_pk_max_f16 v9, v9, v9
	;; [unrolled: 1-line block ×8, first 2 shown]
	v_pk_min_f16 v48, v23, v15
	v_pk_min_f16 v49, v25, v9
	v_pk_max_f16 v19, v19, v19
	v_pk_max_f16 v21, v21, v21
	v_pk_min_f16 v27, v13, v7
	v_pk_add_f16 v51, v48, 0
	v_pk_min_f16 v48, v25, v7
	v_pk_min_f16 v50, v25, v15
	v_pk_add_f16 v53, v49, 0
	v_pk_min_f16 v49, v37, v9
	v_pk_max_f16 v39, v39, v39
	v_pk_add_f16 v52, v48, 0
	v_pk_min_f16 v48, v37, v7
	v_pk_max_f16 v11, v11, v11
	v_pk_max_f16 v8, v8, v8
	;; [unrolled: 1-line block ×3, first 2 shown]
	v_pk_min_f16 v28, v13, v9
	v_pk_add_f16 v59, v48, 0
	v_pk_min_f16 v48, v37, v15
	v_pk_min_f16 v37, v37, v17
	;; [unrolled: 1-line block ×9, first 2 shown]
	v_pk_add_f16 v27, v27, 0
	v_pk_min_f16 v45, v21, v15
	v_pk_min_f16 v21, v21, v17
	;; [unrolled: 1-line block ×6, first 2 shown]
	v_pk_add_f16 v54, v50, 0
	v_pk_add_f16 v60, v49, 0
	v_pk_min_f16 v49, v39, v7
	v_pk_min_f16 v50, v39, v9
	v_pk_add_f16 v66, v37, 0
	v_pk_min_f16 v37, v39, v15
	v_pk_min_f16 v39, v39, v17
	;; [unrolled: 1-line block ×6, first 2 shown]
	v_pk_max_f16 v10, v10, v10
	v_pk_min_f16 v13, v13, v17
	v_pk_min_f16 v17, v14, v8
	v_pk_add_f16 v28, v28, 0
	v_pk_add_f16 v72, v37, 0
	v_pk_max_f16 v16, v16, v16
	v_pk_min_f16 v37, v14, v10
	v_pk_max_f16 v20, v20, v20
	v_pk_add_f16 v68, v27, v17
	v_pk_max_f16 v17, v18, v18
	v_pk_add_f16 v36, v36, 0
	v_pk_add_f16 v19, v19, 0
	v_pk_add_f16 v58, v28, v37
	v_pk_min_f16 v18, v20, v8
	v_pk_min_f16 v27, v20, v10
	;; [unrolled: 1-line block ×4, first 2 shown]
	v_pk_max_f16 v22, v22, v22
	v_pk_add_f16 v41, v41, 0
	v_pk_add_f16 v43, v43, 0
	;; [unrolled: 1-line block ×8, first 2 shown]
	v_pk_min_f16 v18, v22, v8
	v_pk_min_f16 v19, v22, v10
	;; [unrolled: 1-line block ×4, first 2 shown]
	v_pk_max_f16 v24, v24, v24
	v_pk_add_f16 v29, v29, 0
	v_pk_add_f16 v46, v46, 0
	;; [unrolled: 1-line block ×6, first 2 shown]
	v_pk_min_f16 v39, v14, v16
	v_pk_add_f16 v67, v41, v27
	v_pk_add_f16 v41, v43, v18
	;; [unrolled: 1-line block ×5, first 2 shown]
	v_pk_min_f16 v18, v24, v8
	v_pk_min_f16 v19, v24, v10
	;; [unrolled: 1-line block ×4, first 2 shown]
	v_pk_max_f16 v22, v26, v26
	v_pk_add_f16 v25, v25, 0
	v_pk_add_f16 v71, v50, 0
	;; [unrolled: 1-line block ×7, first 2 shown]
	v_pk_min_f16 v18, v22, v8
	v_pk_min_f16 v19, v22, v10
	;; [unrolled: 1-line block ×4, first 2 shown]
	v_pk_max_f16 v22, v38, v38
	v_pk_add_f16 v37, v52, v18
	v_pk_add_f16 v63, v53, v19
	;; [unrolled: 1-line block ×4, first 2 shown]
	v_pk_min_f16 v18, v22, v8
	v_pk_min_f16 v19, v22, v10
	;; [unrolled: 1-line block ×4, first 2 shown]
	v_pk_max_f16 v22, v40, v40
	v_pk_max_f16 v12, v12, v12
	v_pk_add_f16 v42, v42, 0
	v_pk_add_f16 v7, v7, 0
	;; [unrolled: 1-line block ×10, first 2 shown]
	v_pk_min_f16 v18, v22, v8
	v_pk_min_f16 v19, v22, v10
	;; [unrolled: 1-line block ×9, first 2 shown]
	v_pk_add_f16 v57, v42, v28
	v_pk_add_f16 v38, v70, v18
	;; [unrolled: 1-line block ×10, first 2 shown]
	s_cbranch_scc1 .LBB248_36
; %bb.22:
	v_add_nc_u32_e32 v4, v33, v30
	v_lshlrev_b64 v[0:1], 1, v[0:1]
	v_lshlrev_b64 v[28:29], 1, v[2:3]
	v_or_b32_e32 v59, 0x800, v35
	v_add_nc_u32_e32 v66, 0x800, v34
	v_lshrrev_b32_e32 v4, 6, v4
	v_add_nc_u32_e32 v70, 0xa00, v35
	v_add_co_u32 v73, s4, s12, v0
	v_or_b32_e32 v71, 0x400, v35
	s_delay_alu instid0(VALU_DEP_4) | instskip(SKIP_3) | instid1(VALU_DEP_4)
	v_add_nc_u32_e32 v6, 12, v4
	v_add_nc_u32_e32 v8, 8, v4
	v_lshl_add_u32 v72, v30, 3, 0xa00
	v_add_co_ci_u32_e64 v74, s4, s13, v1, s4
	v_mad_i64_i32 v[4:5], null, v6, s20, 0
	s_delay_alu instid0(VALU_DEP_4) | instskip(SKIP_3) | instid1(VALU_DEP_3)
	v_mad_i64_i32 v[6:7], null, v8, s20, 0
	v_add_nc_u32_e32 v75, 0x400, v33
	s_add_i32 s29, s18, -8
	s_lshl_b64 s[12:13], s[20:21], 4
	v_lshlrev_b64 v[24:25], 1, v[4:5]
	s_delay_alu instid0(VALU_DEP_3)
	v_lshlrev_b64 v[26:27], 1, v[6:7]
	s_branch .LBB248_24
.LBB248_23:                             ;   in Loop: Header=BB248_24 Depth=1
	s_or_b32 exec_lo, exec_lo, s5
	v_pk_add_f16 v8, v41, v8
	v_pk_add_f16 v41, v65, v81
	;; [unrolled: 1-line block ×26, first 2 shown]
	ds_load_2addr_b64 v[37:40], v66 offset0:48 offset1:56
	ds_load_2addr_b64 v[41:44], v33 offset1:32
	v_pk_add_f16 v9, v47, v9
	ds_load_2addr_b64 v[45:48], v33 offset0:64 offset1:96
	v_pk_add_f16 v6, v62, v6
	v_pk_add_f16 v62, v52, v95
	;; [unrolled: 1-line block ×5, first 2 shown]
	ds_load_2addr_b64 v[49:52], v66 offset1:8
	v_pk_add_f16 v53, v53, v91
	v_pk_add_f16 v61, v61, v94
	;; [unrolled: 1-line block ×10, first 2 shown]
	s_waitcnt lgkmcnt(3)
	v_pk_max_f16 v39, v39, v39
	s_waitcnt lgkmcnt(2)
	v_pk_max_f16 v41, v41, v41
	v_pk_max_f16 v43, v43, v43
	s_waitcnt lgkmcnt(1)
	v_pk_max_f16 v45, v45, v45
	v_pk_add_f16 v57, v57, v3
	v_pk_add_f16 v58, v58, v7
	;; [unrolled: 1-line block ×6, first 2 shown]
	v_pk_min_f16 v4, v39, v41
	v_pk_min_f16 v5, v39, v43
	;; [unrolled: 1-line block ×3, first 2 shown]
	ds_load_2addr_b64 v[0:3], v66 offset0:16 offset1:24
	s_waitcnt lgkmcnt(1)
	v_pk_max_f16 v7, v49, v49
	v_pk_max_f16 v47, v47, v47
	v_pk_add_f16 v14, v14, v110
	v_pk_add_f16 v18, v18, v111
	;; [unrolled: 1-line block ×7, first 2 shown]
	v_pk_min_f16 v4, v7, v41
	v_pk_min_f16 v5, v7, v43
	;; [unrolled: 1-line block ×4, first 2 shown]
	v_pk_max_f16 v51, v51, v51
	v_pk_add_f16 v14, v14, v4
	v_pk_add_f16 v18, v18, v5
	v_pk_add_f16 v20, v20, v6
	v_pk_add_f16 v22, v22, v7
	ds_load_2addr_b64 v[4:7], v66 offset0:32 offset1:40
	v_pk_add_f16 v8, v8, v114
	v_pk_add_f16 v13, v62, v13
	;; [unrolled: 1-line block ×4, first 2 shown]
	v_pk_min_f16 v62, v51, v41
	v_pk_min_f16 v63, v51, v43
	;; [unrolled: 1-line block ×3, first 2 shown]
	s_waitcnt lgkmcnt(1)
	v_pk_max_f16 v0, v0, v0
	v_pk_add_f16 v10, v10, v119
	v_pk_add_f16 v21, v65, v21
	;; [unrolled: 1-line block ×5, first 2 shown]
	v_pk_min_f16 v64, v0, v41
	v_pk_min_f16 v65, v0, v43
	;; [unrolled: 1-line block ×4, first 2 shown]
	v_pk_max_f16 v2, v2, v2
	v_pk_add_f16 v36, v36, v90
	v_pk_add_f16 v55, v55, v101
	;; [unrolled: 1-line block ×4, first 2 shown]
	v_pk_min_f16 v9, v2, v41
	v_pk_min_f16 v65, v2, v43
	s_waitcnt lgkmcnt(0)
	v_pk_max_f16 v4, v4, v4
	v_pk_add_f16 v56, v56, v103
	v_pk_add_f16 v36, v36, v104
	;; [unrolled: 1-line block ×3, first 2 shown]
	v_pk_min_f16 v67, v2, v45
	v_pk_min_f16 v2, v2, v47
	v_pk_add_f16 v9, v23, v9
	v_pk_add_f16 v23, v55, v65
	v_pk_min_f16 v55, v4, v41
	v_pk_max_f16 v6, v6, v6
	v_pk_add_f16 v2, v56, v2
	v_pk_min_f16 v56, v4, v43
	v_pk_max_f16 v37, v37, v37
	v_pk_add_f16 v36, v36, v55
	v_pk_min_f16 v55, v4, v45
	v_pk_min_f16 v65, v6, v43
	v_pk_add_f16 v80, v84, v56
	v_pk_min_f16 v56, v6, v41
	v_pk_min_f16 v41, v37, v41
	;; [unrolled: 3-line block ×3, first 2 shown]
	v_pk_min_f16 v43, v37, v43
	v_pk_min_f16 v45, v37, v45
	v_pk_max_f16 v40, v40, v40
	v_pk_min_f16 v51, v51, v47
	v_pk_add_f16 v6, v15, v6
	v_pk_add_f16 v15, v17, v41
	;; [unrolled: 1-line block ×3, first 2 shown]
	v_pk_max_f16 v43, v44, v44
	v_pk_add_f16 v64, v82, v64
	v_pk_add_f16 v19, v21, v45
	v_pk_min_f16 v21, v37, v47
	v_pk_max_f16 v42, v42, v42
	v_pk_min_f16 v37, v39, v47
	v_pk_max_f16 v82, v46, v46
	v_pk_min_f16 v41, v40, v43
	v_pk_add_f16 v51, v81, v51
	v_pk_add_f16 v81, v58, v56
	v_pk_min_f16 v39, v40, v42
	v_pk_add_f16 v83, v61, v37
	v_pk_min_f16 v37, v40, v82
	v_pk_max_f16 v44, v50, v50
	v_pk_add_f16 v58, v12, v41
	v_pk_max_f16 v12, v48, v48
	v_pk_add_f16 v68, v49, v39
	v_pk_add_f16 v50, v16, v37
	v_pk_min_f16 v16, v44, v42
	v_pk_min_f16 v37, v44, v43
	;; [unrolled: 1-line block ×4, first 2 shown]
	v_pk_max_f16 v44, v52, v52
	v_pk_add_f16 v54, v54, v88
	v_pk_add_f16 v69, v14, v16
	v_pk_max_f16 v1, v1, v1
	v_pk_min_f16 v4, v4, v47
	v_pk_min_f16 v14, v44, v42
	;; [unrolled: 1-line block ×3, first 2 shown]
	v_pk_add_f16 v54, v54, v102
	v_pk_add_f16 v11, v11, v65
	;; [unrolled: 1-line block ×5, first 2 shown]
	v_pk_min_f16 v8, v1, v42
	v_pk_min_f16 v14, v1, v43
	;; [unrolled: 1-line block ×4, first 2 shown]
	v_pk_max_f16 v3, v3, v3
	v_pk_add_f16 v54, v54, v67
	v_pk_add_f16 v4, v57, v4
	;; [unrolled: 1-line block ×4, first 2 shown]
	v_pk_min_f16 v18, v44, v82
	v_pk_add_f16 v39, v64, v8
	v_pk_add_f16 v47, v0, v1
	v_pk_min_f16 v0, v3, v42
	v_pk_min_f16 v1, v3, v43
	v_pk_min_f16 v8, v3, v82
	v_pk_min_f16 v3, v3, v12
	v_pk_max_f16 v5, v5, v5
	v_pk_add_f16 v56, v63, v18
	v_pk_add_f16 v37, v9, v0
	;; [unrolled: 1-line block ×4, first 2 shown]
	v_pk_min_f16 v0, v5, v42
	v_pk_min_f16 v1, v5, v43
	;; [unrolled: 1-line block ×4, first 2 shown]
	v_pk_max_f16 v5, v7, v7
	v_pk_add_f16 v13, v13, v55
	v_pk_add_f16 v36, v36, v0
	;; [unrolled: 1-line block ×5, first 2 shown]
	v_pk_min_f16 v0, v5, v42
	v_pk_min_f16 v1, v5, v43
	;; [unrolled: 1-line block ×4, first 2 shown]
	v_pk_max_f16 v4, v38, v38
	v_pk_add_f16 v21, v60, v21
	v_pk_min_f16 v20, v44, v12
	v_pk_add_f16 v38, v81, v0
	v_pk_add_f16 v61, v11, v1
	;; [unrolled: 1-line block ×4, first 2 shown]
	v_pk_min_f16 v0, v4, v42
	v_pk_min_f16 v1, v4, v43
	;; [unrolled: 1-line block ×5, first 2 shown]
	v_add_co_u32 v73, s4, v73, s12
	v_pk_add_f16 v48, v51, v20
	v_pk_add_f16 v64, v10, v14
	;; [unrolled: 1-line block ×9, first 2 shown]
	v_add_co_ci_u32_e64 v74, s4, s13, v74, s4
	s_add_i32 s28, s28, 8
	ds_store_b16 v70, v76
	ds_store_b16 v71, v78
	ds_store_b16 v71, v77 offset:512
	s_cmp_ge_i32 s28, s29
	s_waitcnt lgkmcnt(0)
	s_barrier
	buffer_gl0_inv
	s_cbranch_scc1 .LBB248_36
.LBB248_24:                             ; =>This Inner Loop Header: Depth=1
	v_dual_mov_b32 v78, 0 :: v_dual_add_nc_u32 v77, s28, v32
	s_delay_alu instid0(VALU_DEP_1) | instskip(NEXT) | instid1(VALU_DEP_1)
	v_dual_mov_b32 v79, 0 :: v_dual_add_nc_u32 v0, 8, v77
	v_cmp_gt_i32_e64 s4, s18, v0
	s_delay_alu instid0(VALU_DEP_1) | instskip(NEXT) | instid1(SALU_CYCLE_1)
	s_and_b32 s4, vcc_lo, s4
	s_and_b32 s4, s23, s4
	s_delay_alu instid0(SALU_CYCLE_1)
	s_and_saveexec_b32 s5, s4
	s_cbranch_execz .LBB248_26
; %bb.25:                               ;   in Loop: Header=BB248_24 Depth=1
	v_add_co_u32 v1, s4, v73, v26
	s_delay_alu instid0(VALU_DEP_1)
	v_add_co_ci_u32_e64 v2, s4, v74, v27, s4
	flat_load_u16 v1, v[1:2]
	s_waitcnt vmcnt(0) lgkmcnt(0)
	v_mul_f16_e32 v79, s19, v1
.LBB248_26:                             ;   in Loop: Header=BB248_24 Depth=1
	s_or_b32 exec_lo, exec_lo, s5
	v_min_i32_e32 v3, s26, v0
	v_cmp_le_i32_e64 s4, s18, v0
	s_delay_alu instid0(VALU_DEP_2) | instskip(NEXT) | instid1(VALU_DEP_2)
	v_mad_i64_i32 v[1:2], null, v3, s25, 0
	s_or_b32 s20, s2, s4
	s_delay_alu instid0(VALU_DEP_1) | instskip(NEXT) | instid1(VALU_DEP_1)
	v_lshlrev_b64 v[0:1], 1, v[1:2]
	v_add_co_u32 v0, s5, s8, v0
	s_delay_alu instid0(VALU_DEP_1) | instskip(SKIP_1) | instid1(SALU_CYCLE_1)
	v_add_co_ci_u32_e64 v1, s5, s9, v1, s5
	s_or_b32 s5, s20, s27
	s_xor_b32 s5, s5, -1
	s_delay_alu instid0(SALU_CYCLE_1)
	s_and_saveexec_b32 s20, s5
	s_cbranch_execz .LBB248_28
; %bb.27:                               ;   in Loop: Header=BB248_24 Depth=1
	v_add_co_u32 v2, s5, v0, v28
	s_delay_alu instid0(VALU_DEP_1)
	v_add_co_ci_u32_e64 v3, s5, v1, v29, s5
	flat_load_u16 v2, v[2:3]
	s_waitcnt vmcnt(0) lgkmcnt(0)
	v_mul_f16_e32 v78, s19, v2
.LBB248_28:                             ;   in Loop: Header=BB248_24 Depth=1
	s_or_b32 exec_lo, exec_lo, s20
	s_or_b32 s4, s3, s4
	v_mov_b32_e32 v76, 0
	v_mov_b32_e32 v80, 0
	s_or_b32 s4, s4, s27
	s_delay_alu instid0(SALU_CYCLE_1) | instskip(NEXT) | instid1(SALU_CYCLE_1)
	s_xor_b32 s4, s4, -1
	s_and_saveexec_b32 s5, s4
	s_cbranch_execz .LBB248_30
; %bb.29:                               ;   in Loop: Header=BB248_24 Depth=1
	v_add_co_u32 v0, s4, v0, v28
	s_delay_alu instid0(VALU_DEP_1)
	v_add_co_ci_u32_e64 v1, s4, v1, v29, s4
	flat_load_u16 v0, v[0:1] offset:128
	s_waitcnt vmcnt(0) lgkmcnt(0)
	v_mul_f16_e32 v80, s19, v0
.LBB248_30:                             ;   in Loop: Header=BB248_24 Depth=1
	s_or_b32 exec_lo, exec_lo, s5
	ds_load_2addr_b64 v[0:3], v72 offset0:48 offset1:56
	ds_load_2addr_b64 v[12:15], v75 offset0:64 offset1:96
	ds_load_2addr_b64 v[20:23], v75 offset1:32
	ds_load_2addr_b64 v[16:19], v72 offset1:8
	ds_load_2addr_b64 v[8:11], v72 offset0:16 offset1:24
	ds_load_2addr_b64 v[4:7], v72 offset0:32 offset1:40
	v_add_nc_u32_e32 v77, 12, v77
	ds_store_b16 v59, v79
	ds_store_b16 v35, v78
	ds_store_b16 v35, v80 offset:512
	s_waitcnt lgkmcnt(0)
	s_barrier
	buffer_gl0_inv
	v_cmp_gt_i32_e64 s4, s18, v77
	s_delay_alu instid0(VALU_DEP_1) | instskip(NEXT) | instid1(SALU_CYCLE_1)
	s_and_b32 s4, vcc_lo, s4
	s_and_b32 s4, s23, s4
	s_delay_alu instid0(SALU_CYCLE_1)
	s_and_saveexec_b32 s5, s4
	s_cbranch_execz .LBB248_32
; %bb.31:                               ;   in Loop: Header=BB248_24 Depth=1
	v_add_co_u32 v78, s4, v73, v24
	s_delay_alu instid0(VALU_DEP_1)
	v_add_co_ci_u32_e64 v79, s4, v74, v25, s4
	flat_load_u16 v76, v[78:79]
	s_waitcnt vmcnt(0) lgkmcnt(0)
	v_mul_f16_e32 v76, s19, v76
.LBB248_32:                             ;   in Loop: Header=BB248_24 Depth=1
	s_or_b32 exec_lo, exec_lo, s5
	v_min_i32_e32 v80, s26, v77
	v_cmp_le_i32_e64 s4, s18, v77
	v_mov_b32_e32 v77, 0
	s_delay_alu instid0(VALU_DEP_3) | instskip(NEXT) | instid1(VALU_DEP_3)
	v_mad_i64_i32 v[78:79], null, v80, s25, 0
	s_or_b32 s20, s2, s4
	s_delay_alu instid0(VALU_DEP_1) | instskip(SKIP_1) | instid1(VALU_DEP_2)
	v_lshlrev_b64 v[79:80], 1, v[78:79]
	v_mov_b32_e32 v78, 0
	v_add_co_u32 v79, s5, s8, v79
	s_delay_alu instid0(VALU_DEP_1) | instskip(SKIP_1) | instid1(SALU_CYCLE_1)
	v_add_co_ci_u32_e64 v80, s5, s9, v80, s5
	s_or_b32 s5, s20, s27
	s_xor_b32 s5, s5, -1
	s_delay_alu instid0(SALU_CYCLE_1)
	s_and_saveexec_b32 s20, s5
	s_cbranch_execz .LBB248_34
; %bb.33:                               ;   in Loop: Header=BB248_24 Depth=1
	v_add_co_u32 v81, s5, v79, v28
	s_delay_alu instid0(VALU_DEP_1)
	v_add_co_ci_u32_e64 v82, s5, v80, v29, s5
	flat_load_u16 v78, v[81:82]
	s_waitcnt vmcnt(0) lgkmcnt(0)
	v_mul_f16_e32 v78, s19, v78
.LBB248_34:                             ;   in Loop: Header=BB248_24 Depth=1
	s_or_b32 exec_lo, exec_lo, s20
	v_pk_max_f16 v101, v2, v2
	v_pk_max_f16 v97, v20, v20
	;; [unrolled: 1-line block ×12, first 2 shown]
	v_pk_min_f16 v2, v101, v97
	v_pk_min_f16 v12, v101, v98
	v_pk_min_f16 v16, v101, v99
	v_pk_min_f16 v14, v22, v97
	v_pk_min_f16 v18, v22, v98
	v_pk_min_f16 v20, v22, v99
	v_pk_min_f16 v8, v83, v97
	v_pk_min_f16 v81, v83, v98
	v_pk_min_f16 v82, v83, v99
	v_pk_min_f16 v84, v86, v97
	v_pk_min_f16 v10, v86, v98
	v_pk_min_f16 v85, v86, v99
	v_pk_min_f16 v4, v89, v97
	v_pk_min_f16 v87, v89, v98
	v_pk_min_f16 v88, v89, v99
	v_pk_min_f16 v90, v92, v97
	v_pk_min_f16 v6, v92, v98
	v_pk_min_f16 v91, v92, v99
	v_pk_min_f16 v93, v96, v97
	v_pk_min_f16 v94, v96, v98
	v_pk_min_f16 v95, v96, v99
	v_pk_min_f16 v97, v0, v97
	v_pk_min_f16 v98, v0, v98
	v_pk_min_f16 v99, v0, v99
	v_pk_min_f16 v100, v0, v102
	v_pk_max_f16 v121, v3, v3
	v_pk_max_f16 v21, v21, v21
	v_pk_max_f16 v122, v23, v23
	v_pk_max_f16 v123, v13, v13
	v_pk_max_f16 v0, v17, v17
	v_pk_max_f16 v124, v15, v15
	v_pk_max_f16 v3, v19, v19
	v_pk_max_f16 v5, v5, v5
	v_pk_max_f16 v15, v7, v7
	v_pk_min_f16 v110, v0, v21
	v_pk_min_f16 v111, v0, v122
	;; [unrolled: 1-line block ×4, first 2 shown]
	v_pk_max_f16 v0, v9, v9
	v_pk_min_f16 v114, v3, v21
	v_pk_min_f16 v115, v3, v122
	;; [unrolled: 1-line block ×4, first 2 shown]
	v_pk_max_f16 v3, v11, v11
	v_pk_max_f16 v1, v1, v1
	s_or_b32 s4, s3, s4
	v_pk_min_f16 v22, v22, v102
	v_pk_min_f16 v83, v83, v102
	;; [unrolled: 1-line block ×31, first 2 shown]
	s_or_b32 s4, s4, s27
	s_delay_alu instid0(SALU_CYCLE_1) | instskip(NEXT) | instid1(SALU_CYCLE_1)
	s_xor_b32 s4, s4, -1
	s_and_saveexec_b32 s5, s4
	s_cbranch_execz .LBB248_23
; %bb.35:                               ;   in Loop: Header=BB248_24 Depth=1
	v_add_co_u32 v79, s4, v79, v28
	s_delay_alu instid0(VALU_DEP_1)
	v_add_co_ci_u32_e64 v80, s4, v80, v29, s4
	flat_load_u16 v77, v[79:80] offset:128
	s_waitcnt vmcnt(0) lgkmcnt(0)
	v_mul_f16_e32 v77, s19, v77
	s_branch .LBB248_23
.LBB248_36:
	s_clause 0x2
	s_load_b32 s12, s[0:1], 0x50
	s_load_b32 s9, s[0:1], 0x68
	s_load_b64 s[2:3], s[0:1], 0x70
	v_add_nc_u32_e32 v66, s24, v31
	v_add_nc_u32_e32 v8, 0x800, v34
	ds_load_2addr_b64 v[0:3], v33 offset0:192 offset1:224
	ds_load_2addr_b64 v[20:23], v33 offset0:128 offset1:160
	v_add_nc_u32_e32 v24, s14, v30
	ds_load_2addr_b64 v[4:7], v8 offset0:112 offset1:120
	ds_load_2addr_b64 v[16:19], v8 offset0:64 offset1:72
	;; [unrolled: 1-line block ×4, first 2 shown]
	v_cmp_gt_i32_e64 s8, s17, v66
	v_cmp_gt_i32_e64 s0, s16, v24
	v_cndmask_b32_e64 v59, 0, 1, s22
	s_waitcnt lgkmcnt(0)
	v_mad_i64_i32 v[25:26], null, v66, s12, 0
	v_mad_i64_i32 v[27:28], null, v66, s9, 0
	s_lshl_b64 s[2:3], s[2:3], 1
	s_delay_alu instid0(SALU_CYCLE_1) | instskip(SKIP_1) | instid1(VALU_DEP_2)
	s_add_u32 s13, s6, s2
	s_addc_u32 s14, s7, s3
	v_lshlrev_b64 v[29:30], 1, v[25:26]
	v_ashrrev_i32_e32 v25, 31, v24
	s_delay_alu instid0(VALU_DEP_3) | instskip(SKIP_1) | instid1(VALU_DEP_3)
	v_lshlrev_b64 v[26:27], 1, v[27:28]
	s_and_b32 s2, s0, s8
	v_add_co_u32 v72, vcc_lo, s10, v29
	s_delay_alu instid0(VALU_DEP_4) | instskip(NEXT) | instid1(VALU_DEP_3)
	v_add_co_ci_u32_e32 v73, vcc_lo, s11, v30, vcc_lo
	v_add_co_u32 v70, vcc_lo, s13, v26
	s_delay_alu instid0(VALU_DEP_4)
	v_add_co_ci_u32_e32 v71, vcc_lo, s14, v27, vcc_lo
	s_and_saveexec_b32 s1, s2
	s_cbranch_execz .LBB248_41
; %bb.37:
	v_lshlrev_b64 v[26:27], 1, v[24:25]
	s_and_not1_b32 vcc_lo, exec_lo, s22
	s_cbranch_vccnz .LBB248_39
; %bb.38:
	s_delay_alu instid0(VALU_DEP_1) | instskip(NEXT) | instid1(VALU_DEP_2)
	v_add_co_u32 v28, vcc_lo, v72, v26
	v_add_co_ci_u32_e32 v29, vcc_lo, v73, v27, vcc_lo
	flat_load_u16 v28, v[28:29]
	s_waitcnt vmcnt(0) lgkmcnt(0)
	v_mul_f16_e32 v28, s15, v28
	s_branch .LBB248_40
.LBB248_39:
	v_mov_b32_e32 v28, 0
.LBB248_40:
	v_pk_max_f16 v29, v20, v20
	v_pk_max_f16 v30, v16, v16
	;; [unrolled: 1-line block ×4, first 2 shown]
	v_add_co_u32 v26, vcc_lo, v70, v26
	s_delay_alu instid0(VALU_DEP_4) | instskip(SKIP_1) | instid1(VALU_DEP_4)
	v_pk_min_f16 v29, v30, v29
	v_add_co_ci_u32_e32 v27, vcc_lo, v71, v27, vcc_lo
	v_pk_min_f16 v30, v32, v31
	s_delay_alu instid0(VALU_DEP_3) | instskip(NEXT) | instid1(VALU_DEP_1)
	v_pk_add_f16 v29, v69, v29
	v_pk_add_f16 v29, v29, v30
	s_delay_alu instid0(VALU_DEP_1) | instskip(NEXT) | instid1(VALU_DEP_1)
	v_lshrrev_b32_e32 v30, 16, v29
	v_add_f16_e32 v29, v29, v30
	s_delay_alu instid0(VALU_DEP_1)
	v_add_f16_e32 v28, v29, v28
	global_store_b16 v[26:27], v28, off
.LBB248_41:
	s_or_b32 exec_lo, exec_lo, s1
	v_add_nc_u32_e32 v26, 8, v24
	s_delay_alu instid0(VALU_DEP_1) | instskip(SKIP_1) | instid1(VALU_DEP_2)
	v_cmp_gt_i32_e64 s1, s16, v26
	v_ashrrev_i32_e32 v27, 31, v26
	s_and_b32 s3, s1, s8
	s_delay_alu instid0(SALU_CYCLE_1)
	s_and_saveexec_b32 s2, s3
	s_cbranch_execz .LBB248_46
; %bb.42:
	v_cmp_ne_u32_e32 vcc_lo, 1, v59
	v_lshlrev_b64 v[28:29], 1, v[26:27]
	s_cbranch_vccnz .LBB248_44
; %bb.43:
	s_delay_alu instid0(VALU_DEP_1) | instskip(NEXT) | instid1(VALU_DEP_2)
	v_add_co_u32 v30, vcc_lo, v72, v28
	v_add_co_ci_u32_e32 v31, vcc_lo, v73, v29, vcc_lo
	flat_load_u16 v30, v[30:31]
	s_waitcnt vmcnt(0) lgkmcnt(0)
	v_mul_f16_e32 v30, s15, v30
	s_branch .LBB248_45
.LBB248_44:
	v_mov_b32_e32 v30, 0
.LBB248_45:
	v_pk_max_f16 v31, v20, v20
	v_pk_max_f16 v32, v18, v18
	v_pk_max_f16 v33, v21, v21
	v_pk_max_f16 v34, v19, v19
	v_add_co_u32 v28, vcc_lo, v70, v28
	s_delay_alu instid0(VALU_DEP_4) | instskip(SKIP_1) | instid1(VALU_DEP_4)
	v_pk_min_f16 v31, v32, v31
	v_add_co_ci_u32_e32 v29, vcc_lo, v71, v29, vcc_lo
	v_pk_min_f16 v32, v34, v33
	s_delay_alu instid0(VALU_DEP_3) | instskip(NEXT) | instid1(VALU_DEP_1)
	v_pk_add_f16 v31, v41, v31
	v_pk_add_f16 v31, v31, v32
	s_delay_alu instid0(VALU_DEP_1) | instskip(NEXT) | instid1(VALU_DEP_1)
	v_lshrrev_b32_e32 v32, 16, v31
	v_add_f16_e32 v31, v31, v32
	s_delay_alu instid0(VALU_DEP_1)
	v_add_f16_e32 v30, v31, v30
	global_store_b16 v[28:29], v30, off
.LBB248_46:
	s_or_b32 exec_lo, exec_lo, s2
	v_add_nc_u32_e32 v28, 16, v24
	s_delay_alu instid0(VALU_DEP_1) | instskip(SKIP_1) | instid1(VALU_DEP_2)
	v_cmp_gt_i32_e64 s2, s16, v28
	v_ashrrev_i32_e32 v29, 31, v28
	s_and_b32 s4, s2, s8
	s_delay_alu instid0(SALU_CYCLE_1)
	s_and_saveexec_b32 s3, s4
	s_cbranch_execz .LBB248_51
; %bb.47:
	v_cmp_ne_u32_e32 vcc_lo, 1, v59
	v_lshlrev_b64 v[30:31], 1, v[28:29]
	s_cbranch_vccnz .LBB248_49
; %bb.48:
	s_delay_alu instid0(VALU_DEP_1) | instskip(NEXT) | instid1(VALU_DEP_2)
	v_add_co_u32 v32, vcc_lo, v72, v30
	v_add_co_ci_u32_e32 v33, vcc_lo, v73, v31, vcc_lo
	flat_load_u16 v32, v[32:33]
	s_waitcnt vmcnt(0) lgkmcnt(0)
	v_mul_f16_e32 v32, s15, v32
	s_branch .LBB248_50
.LBB248_49:
	v_mov_b32_e32 v32, 0
.LBB248_50:
	v_pk_max_f16 v33, v20, v20
	v_pk_max_f16 v34, v12, v12
	v_pk_max_f16 v35, v21, v21
	v_pk_max_f16 v41, v13, v13
	v_add_co_u32 v30, vcc_lo, v70, v30
	s_delay_alu instid0(VALU_DEP_4) | instskip(SKIP_1) | instid1(VALU_DEP_4)
	v_pk_min_f16 v33, v34, v33
	v_add_co_ci_u32_e32 v31, vcc_lo, v71, v31, vcc_lo
	v_pk_min_f16 v34, v41, v35
	s_delay_alu instid0(VALU_DEP_3) | instskip(NEXT) | instid1(VALU_DEP_1)
	v_pk_add_f16 v33, v39, v33
	v_pk_add_f16 v33, v33, v34
	s_delay_alu instid0(VALU_DEP_1) | instskip(NEXT) | instid1(VALU_DEP_1)
	v_lshrrev_b32_e32 v34, 16, v33
	v_add_f16_e32 v33, v33, v34
	s_delay_alu instid0(VALU_DEP_1)
	v_add_f16_e32 v32, v33, v32
	global_store_b16 v[30:31], v32, off
.LBB248_51:
	;; [unrolled: 43-line block ×6, first 2 shown]
	s_or_b32 exec_lo, exec_lo, s7
	v_add_nc_u32_e32 v38, 56, v24
	s_delay_alu instid0(VALU_DEP_1) | instskip(SKIP_1) | instid1(VALU_DEP_2)
	v_cmp_gt_i32_e64 s7, s16, v38
	v_ashrrev_i32_e32 v39, 31, v38
	s_and_b32 s16, s7, s8
	s_delay_alu instid0(SALU_CYCLE_1)
	s_and_saveexec_b32 s8, s16
	s_cbranch_execz .LBB248_76
; %bb.72:
	v_cmp_ne_u32_e32 vcc_lo, 1, v59
	v_lshlrev_b64 v[40:41], 1, v[38:39]
	s_cbranch_vccnz .LBB248_74
; %bb.73:
	s_delay_alu instid0(VALU_DEP_1) | instskip(NEXT) | instid1(VALU_DEP_2)
	v_add_co_u32 v72, vcc_lo, v72, v40
	v_add_co_ci_u32_e32 v73, vcc_lo, v73, v41, vcc_lo
	flat_load_u16 v69, v[72:73]
	s_waitcnt vmcnt(0) lgkmcnt(0)
	v_mul_f16_e32 v69, s15, v69
	s_branch .LBB248_75
.LBB248_74:
	v_mov_b32_e32 v69, 0
.LBB248_75:
	v_pk_max_f16 v20, v20, v20
	v_pk_max_f16 v72, v6, v6
	;; [unrolled: 1-line block ×4, first 2 shown]
	s_delay_alu instid0(VALU_DEP_3) | instskip(NEXT) | instid1(VALU_DEP_2)
	v_pk_min_f16 v20, v72, v20
	v_pk_min_f16 v21, v73, v21
	s_delay_alu instid0(VALU_DEP_2) | instskip(NEXT) | instid1(VALU_DEP_1)
	v_pk_add_f16 v20, v68, v20
	v_pk_add_f16 v20, v20, v21
	s_delay_alu instid0(VALU_DEP_1) | instskip(NEXT) | instid1(VALU_DEP_1)
	v_lshrrev_b32_e32 v21, 16, v20
	v_add_f16_e32 v20, v20, v21
	s_delay_alu instid0(VALU_DEP_1)
	v_add_f16_e32 v68, v20, v69
	v_add_co_u32 v20, vcc_lo, v70, v40
	v_add_co_ci_u32_e32 v21, vcc_lo, v71, v41, vcc_lo
	global_store_b16 v[20:21], v68, off
.LBB248_76:
	s_or_b32 exec_lo, exec_lo, s8
	v_add_nc_u32_e32 v68, 32, v66
	s_delay_alu instid0(VALU_DEP_1) | instskip(SKIP_2) | instid1(VALU_DEP_3)
	v_mad_i64_i32 v[20:21], null, v68, s12, 0
	v_mad_i64_i32 v[40:41], null, v68, s9, 0
	v_cmp_gt_i32_e64 s8, s17, v68
	v_lshlrev_b64 v[20:21], 1, v[20:21]
	s_delay_alu instid0(VALU_DEP_2) | instskip(NEXT) | instid1(VALU_DEP_3)
	s_and_b32 s18, s0, s8
	v_lshlrev_b64 v[40:41], 1, v[40:41]
	s_delay_alu instid0(VALU_DEP_2) | instskip(NEXT) | instid1(VALU_DEP_3)
	v_add_co_u32 v68, vcc_lo, s10, v20
	v_add_co_ci_u32_e32 v69, vcc_lo, s11, v21, vcc_lo
	s_delay_alu instid0(VALU_DEP_3) | instskip(NEXT) | instid1(VALU_DEP_4)
	v_add_co_u32 v40, vcc_lo, s13, v40
	v_add_co_ci_u32_e32 v41, vcc_lo, s14, v41, vcc_lo
	s_and_saveexec_b32 s16, s18
	s_cbranch_execnz .LBB248_84
; %bb.77:
	s_or_b32 exec_lo, exec_lo, s16
	s_and_b32 s18, s1, s8
	s_delay_alu instid0(SALU_CYCLE_1)
	s_and_saveexec_b32 s16, s18
	s_cbranch_execnz .LBB248_88
.LBB248_78:
	s_or_b32 exec_lo, exec_lo, s16
	s_and_b32 s18, s2, s8
	s_delay_alu instid0(SALU_CYCLE_1)
	s_and_saveexec_b32 s16, s18
	s_cbranch_execnz .LBB248_92
.LBB248_79:
	s_or_b32 exec_lo, exec_lo, s16
	s_and_b32 s18, s3, s8
	s_delay_alu instid0(SALU_CYCLE_1)
	s_and_saveexec_b32 s16, s18
	s_cbranch_execnz .LBB248_96
.LBB248_80:
	s_or_b32 exec_lo, exec_lo, s16
	s_and_b32 s18, s4, s8
	s_delay_alu instid0(SALU_CYCLE_1)
	s_and_saveexec_b32 s16, s18
	s_cbranch_execnz .LBB248_100
.LBB248_81:
	s_or_b32 exec_lo, exec_lo, s16
	s_and_b32 s18, s5, s8
	s_delay_alu instid0(SALU_CYCLE_1)
	s_and_saveexec_b32 s16, s18
	s_cbranch_execnz .LBB248_104
.LBB248_82:
	s_or_b32 exec_lo, exec_lo, s16
	s_and_b32 s18, s6, s8
	s_delay_alu instid0(SALU_CYCLE_1)
	s_and_saveexec_b32 s16, s18
	s_cbranch_execnz .LBB248_108
.LBB248_83:
	s_or_b32 exec_lo, exec_lo, s16
	s_and_b32 s16, s7, s8
	s_delay_alu instid0(SALU_CYCLE_1)
	s_and_saveexec_b32 s8, s16
	s_cbranch_execnz .LBB248_112
	s_branch .LBB248_116
.LBB248_84:
	v_cmp_ne_u32_e32 vcc_lo, 1, v59
	v_lshlrev_b64 v[20:21], 1, v[24:25]
	s_cbranch_vccnz .LBB248_86
; %bb.85:
	s_delay_alu instid0(VALU_DEP_1) | instskip(NEXT) | instid1(VALU_DEP_2)
	v_add_co_u32 v70, vcc_lo, v68, v20
	v_add_co_ci_u32_e32 v71, vcc_lo, v69, v21, vcc_lo
	flat_load_u16 v70, v[70:71]
	s_waitcnt vmcnt(0) lgkmcnt(0)
	v_mul_f16_e32 v70, s15, v70
	s_branch .LBB248_87
.LBB248_86:
	v_mov_b32_e32 v70, 0
.LBB248_87:
	v_pk_max_f16 v71, v22, v22
	v_pk_max_f16 v72, v16, v16
	;; [unrolled: 1-line block ×4, first 2 shown]
	v_add_co_u32 v20, vcc_lo, v40, v20
	s_delay_alu instid0(VALU_DEP_4) | instskip(SKIP_1) | instid1(VALU_DEP_4)
	v_pk_min_f16 v71, v72, v71
	v_add_co_ci_u32_e32 v21, vcc_lo, v41, v21, vcc_lo
	v_pk_min_f16 v72, v74, v73
	s_delay_alu instid0(VALU_DEP_3) | instskip(NEXT) | instid1(VALU_DEP_1)
	v_pk_add_f16 v67, v67, v71
	v_pk_add_f16 v67, v67, v72
	s_delay_alu instid0(VALU_DEP_1) | instskip(NEXT) | instid1(VALU_DEP_1)
	v_lshrrev_b32_e32 v71, 16, v67
	v_add_f16_e32 v67, v67, v71
	s_delay_alu instid0(VALU_DEP_1) | instskip(SKIP_3) | instid1(SALU_CYCLE_1)
	v_add_f16_e32 v67, v67, v70
	global_store_b16 v[20:21], v67, off
	s_or_b32 exec_lo, exec_lo, s16
	s_and_b32 s18, s1, s8
	s_and_saveexec_b32 s16, s18
	s_cbranch_execz .LBB248_78
.LBB248_88:
	v_cmp_ne_u32_e32 vcc_lo, 1, v59
	v_lshlrev_b64 v[20:21], 1, v[26:27]
	s_cbranch_vccnz .LBB248_90
; %bb.89:
	s_delay_alu instid0(VALU_DEP_1) | instskip(NEXT) | instid1(VALU_DEP_2)
	v_add_co_u32 v70, vcc_lo, v68, v20
	v_add_co_ci_u32_e32 v71, vcc_lo, v69, v21, vcc_lo
	flat_load_u16 v67, v[70:71]
	s_waitcnt vmcnt(0) lgkmcnt(0)
	v_mul_f16_e32 v67, s15, v67
	s_branch .LBB248_91
.LBB248_90:
	v_mov_b32_e32 v67, 0
.LBB248_91:
	v_pk_max_f16 v70, v22, v22
	v_pk_max_f16 v71, v18, v18
	;; [unrolled: 1-line block ×4, first 2 shown]
	v_add_co_u32 v20, vcc_lo, v40, v20
	s_delay_alu instid0(VALU_DEP_4) | instskip(SKIP_1) | instid1(VALU_DEP_4)
	v_pk_min_f16 v70, v71, v70
	v_add_co_ci_u32_e32 v21, vcc_lo, v41, v21, vcc_lo
	v_pk_min_f16 v71, v73, v72
	s_delay_alu instid0(VALU_DEP_3) | instskip(NEXT) | instid1(VALU_DEP_1)
	v_pk_add_f16 v65, v65, v70
	v_pk_add_f16 v65, v65, v71
	s_delay_alu instid0(VALU_DEP_1) | instskip(NEXT) | instid1(VALU_DEP_1)
	v_lshrrev_b32_e32 v70, 16, v65
	v_add_f16_e32 v65, v65, v70
	s_delay_alu instid0(VALU_DEP_1) | instskip(SKIP_3) | instid1(SALU_CYCLE_1)
	v_add_f16_e32 v65, v65, v67
	global_store_b16 v[20:21], v65, off
	s_or_b32 exec_lo, exec_lo, s16
	s_and_b32 s18, s2, s8
	s_and_saveexec_b32 s16, s18
	s_cbranch_execz .LBB248_79
.LBB248_92:
	v_cmp_ne_u32_e32 vcc_lo, 1, v59
	v_lshlrev_b64 v[20:21], 1, v[28:29]
	s_cbranch_vccnz .LBB248_94
; %bb.93:
	s_delay_alu instid0(VALU_DEP_1) | instskip(NEXT) | instid1(VALU_DEP_2)
	v_add_co_u32 v70, vcc_lo, v68, v20
	v_add_co_ci_u32_e32 v71, vcc_lo, v69, v21, vcc_lo
	flat_load_u16 v65, v[70:71]
	s_waitcnt vmcnt(0) lgkmcnt(0)
	v_mul_f16_e32 v65, s15, v65
	s_branch .LBB248_95
.LBB248_94:
	v_mov_b32_e32 v65, 0
.LBB248_95:
	v_pk_max_f16 v67, v22, v22
	v_pk_max_f16 v70, v12, v12
	;; [unrolled: 1-line block ×4, first 2 shown]
	v_add_co_u32 v20, vcc_lo, v40, v20
	s_delay_alu instid0(VALU_DEP_4) | instskip(SKIP_1) | instid1(VALU_DEP_4)
	v_pk_min_f16 v67, v70, v67
	v_add_co_ci_u32_e32 v21, vcc_lo, v41, v21, vcc_lo
	v_pk_min_f16 v70, v72, v71
	s_delay_alu instid0(VALU_DEP_3) | instskip(NEXT) | instid1(VALU_DEP_1)
	v_pk_add_f16 v64, v64, v67
	v_pk_add_f16 v64, v64, v70
	s_delay_alu instid0(VALU_DEP_1) | instskip(NEXT) | instid1(VALU_DEP_1)
	v_lshrrev_b32_e32 v67, 16, v64
	v_add_f16_e32 v64, v64, v67
	s_delay_alu instid0(VALU_DEP_1) | instskip(SKIP_3) | instid1(SALU_CYCLE_1)
	v_add_f16_e32 v64, v64, v65
	global_store_b16 v[20:21], v64, off
	s_or_b32 exec_lo, exec_lo, s16
	s_and_b32 s18, s3, s8
	s_and_saveexec_b32 s16, s18
	s_cbranch_execz .LBB248_80
.LBB248_96:
	v_cmp_ne_u32_e32 vcc_lo, 1, v59
	v_lshlrev_b64 v[20:21], 1, v[30:31]
	s_cbranch_vccnz .LBB248_98
; %bb.97:
	s_delay_alu instid0(VALU_DEP_1) | instskip(NEXT) | instid1(VALU_DEP_2)
	v_add_co_u32 v64, vcc_lo, v68, v20
	v_add_co_ci_u32_e32 v65, vcc_lo, v69, v21, vcc_lo
	flat_load_u16 v64, v[64:65]
	s_waitcnt vmcnt(0) lgkmcnt(0)
	v_mul_f16_e32 v64, s15, v64
	s_branch .LBB248_99
.LBB248_98:
	v_mov_b32_e32 v64, 0
.LBB248_99:
	v_pk_max_f16 v65, v22, v22
	v_pk_max_f16 v67, v14, v14
	;; [unrolled: 1-line block ×4, first 2 shown]
	v_add_co_u32 v20, vcc_lo, v40, v20
	s_delay_alu instid0(VALU_DEP_4) | instskip(SKIP_1) | instid1(VALU_DEP_4)
	v_pk_min_f16 v65, v67, v65
	v_add_co_ci_u32_e32 v21, vcc_lo, v41, v21, vcc_lo
	v_pk_min_f16 v67, v71, v70
	s_delay_alu instid0(VALU_DEP_3) | instskip(NEXT) | instid1(VALU_DEP_1)
	v_pk_add_f16 v63, v63, v65
	v_pk_add_f16 v63, v63, v67
	s_delay_alu instid0(VALU_DEP_1) | instskip(NEXT) | instid1(VALU_DEP_1)
	v_lshrrev_b32_e32 v65, 16, v63
	v_add_f16_e32 v63, v63, v65
	s_delay_alu instid0(VALU_DEP_1) | instskip(SKIP_3) | instid1(SALU_CYCLE_1)
	v_add_f16_e32 v63, v63, v64
	global_store_b16 v[20:21], v63, off
	s_or_b32 exec_lo, exec_lo, s16
	s_and_b32 s18, s4, s8
	s_and_saveexec_b32 s16, s18
	s_cbranch_execz .LBB248_81
.LBB248_100:
	v_cmp_ne_u32_e32 vcc_lo, 1, v59
	v_lshlrev_b64 v[20:21], 1, v[32:33]
	s_cbranch_vccnz .LBB248_102
; %bb.101:
	s_delay_alu instid0(VALU_DEP_1) | instskip(NEXT) | instid1(VALU_DEP_2)
	v_add_co_u32 v63, vcc_lo, v68, v20
	v_add_co_ci_u32_e32 v64, vcc_lo, v69, v21, vcc_lo
	flat_load_u16 v63, v[63:64]
	s_waitcnt vmcnt(0) lgkmcnt(0)
	v_mul_f16_e32 v63, s15, v63
	s_branch .LBB248_103
.LBB248_102:
	v_mov_b32_e32 v63, 0
.LBB248_103:
	v_pk_max_f16 v64, v22, v22
	v_pk_max_f16 v65, v8, v8
	;; [unrolled: 1-line block ×4, first 2 shown]
	v_add_co_u32 v20, vcc_lo, v40, v20
	s_delay_alu instid0(VALU_DEP_4) | instskip(SKIP_1) | instid1(VALU_DEP_4)
	v_pk_min_f16 v64, v65, v64
	v_add_co_ci_u32_e32 v21, vcc_lo, v41, v21, vcc_lo
	v_pk_min_f16 v65, v70, v67
	s_delay_alu instid0(VALU_DEP_3) | instskip(NEXT) | instid1(VALU_DEP_1)
	v_pk_add_f16 v62, v62, v64
	v_pk_add_f16 v62, v62, v65
	s_delay_alu instid0(VALU_DEP_1) | instskip(NEXT) | instid1(VALU_DEP_1)
	v_lshrrev_b32_e32 v64, 16, v62
	v_add_f16_e32 v62, v62, v64
	s_delay_alu instid0(VALU_DEP_1) | instskip(SKIP_3) | instid1(SALU_CYCLE_1)
	v_add_f16_e32 v62, v62, v63
	global_store_b16 v[20:21], v62, off
	s_or_b32 exec_lo, exec_lo, s16
	s_and_b32 s18, s5, s8
	s_and_saveexec_b32 s16, s18
	s_cbranch_execz .LBB248_82
.LBB248_104:
	v_cmp_ne_u32_e32 vcc_lo, 1, v59
	v_lshlrev_b64 v[20:21], 1, v[34:35]
	s_cbranch_vccnz .LBB248_106
; %bb.105:
	s_delay_alu instid0(VALU_DEP_1) | instskip(NEXT) | instid1(VALU_DEP_2)
	v_add_co_u32 v62, vcc_lo, v68, v20
	v_add_co_ci_u32_e32 v63, vcc_lo, v69, v21, vcc_lo
	flat_load_u16 v62, v[62:63]
	s_waitcnt vmcnt(0) lgkmcnt(0)
	v_mul_f16_e32 v62, s15, v62
	s_branch .LBB248_107
.LBB248_106:
	v_mov_b32_e32 v62, 0
.LBB248_107:
	v_pk_max_f16 v63, v22, v22
	v_pk_max_f16 v64, v10, v10
	;; [unrolled: 1-line block ×4, first 2 shown]
	v_add_co_u32 v20, vcc_lo, v40, v20
	s_delay_alu instid0(VALU_DEP_4) | instskip(SKIP_1) | instid1(VALU_DEP_4)
	v_pk_min_f16 v63, v64, v63
	v_add_co_ci_u32_e32 v21, vcc_lo, v41, v21, vcc_lo
	v_pk_min_f16 v64, v67, v65
	s_delay_alu instid0(VALU_DEP_3) | instskip(NEXT) | instid1(VALU_DEP_1)
	v_pk_add_f16 v61, v61, v63
	v_pk_add_f16 v61, v61, v64
	s_delay_alu instid0(VALU_DEP_1) | instskip(NEXT) | instid1(VALU_DEP_1)
	v_lshrrev_b32_e32 v63, 16, v61
	v_add_f16_e32 v61, v61, v63
	s_delay_alu instid0(VALU_DEP_1) | instskip(SKIP_3) | instid1(SALU_CYCLE_1)
	v_add_f16_e32 v61, v61, v62
	global_store_b16 v[20:21], v61, off
	s_or_b32 exec_lo, exec_lo, s16
	s_and_b32 s18, s6, s8
	s_and_saveexec_b32 s16, s18
	s_cbranch_execz .LBB248_83
.LBB248_108:
	v_cmp_ne_u32_e32 vcc_lo, 1, v59
	v_lshlrev_b64 v[20:21], 1, v[36:37]
	s_cbranch_vccnz .LBB248_110
; %bb.109:
	s_delay_alu instid0(VALU_DEP_1) | instskip(NEXT) | instid1(VALU_DEP_2)
	v_add_co_u32 v61, vcc_lo, v68, v20
	v_add_co_ci_u32_e32 v62, vcc_lo, v69, v21, vcc_lo
	flat_load_u16 v61, v[61:62]
	s_waitcnt vmcnt(0) lgkmcnt(0)
	v_mul_f16_e32 v61, s15, v61
	s_branch .LBB248_111
.LBB248_110:
	v_mov_b32_e32 v61, 0
.LBB248_111:
	v_pk_max_f16 v62, v22, v22
	v_pk_max_f16 v63, v4, v4
	;; [unrolled: 1-line block ×4, first 2 shown]
	v_add_co_u32 v20, vcc_lo, v40, v20
	s_delay_alu instid0(VALU_DEP_4) | instskip(SKIP_1) | instid1(VALU_DEP_4)
	v_pk_min_f16 v62, v63, v62
	v_add_co_ci_u32_e32 v21, vcc_lo, v41, v21, vcc_lo
	v_pk_min_f16 v63, v65, v64
	s_delay_alu instid0(VALU_DEP_3) | instskip(NEXT) | instid1(VALU_DEP_1)
	v_pk_add_f16 v60, v60, v62
	v_pk_add_f16 v60, v60, v63
	s_delay_alu instid0(VALU_DEP_1) | instskip(NEXT) | instid1(VALU_DEP_1)
	v_lshrrev_b32_e32 v62, 16, v60
	v_add_f16_e32 v60, v60, v62
	s_delay_alu instid0(VALU_DEP_1) | instskip(SKIP_3) | instid1(SALU_CYCLE_1)
	v_add_f16_e32 v60, v60, v61
	global_store_b16 v[20:21], v60, off
	s_or_b32 exec_lo, exec_lo, s16
	s_and_b32 s16, s7, s8
	s_and_saveexec_b32 s8, s16
	s_cbranch_execz .LBB248_116
.LBB248_112:
	v_cmp_ne_u32_e32 vcc_lo, 1, v59
	v_lshlrev_b64 v[20:21], 1, v[38:39]
	s_cbranch_vccnz .LBB248_114
; %bb.113:
	s_delay_alu instid0(VALU_DEP_1) | instskip(NEXT) | instid1(VALU_DEP_2)
	v_add_co_u32 v60, vcc_lo, v68, v20
	v_add_co_ci_u32_e32 v61, vcc_lo, v69, v21, vcc_lo
	flat_load_u16 v60, v[60:61]
	s_waitcnt vmcnt(0) lgkmcnt(0)
	v_mul_f16_e32 v60, s15, v60
	s_branch .LBB248_115
.LBB248_114:
	v_mov_b32_e32 v60, 0
.LBB248_115:
	v_pk_max_f16 v22, v22, v22
	v_pk_max_f16 v61, v6, v6
	v_pk_max_f16 v23, v23, v23
	v_pk_max_f16 v62, v7, v7
	v_add_co_u32 v20, vcc_lo, v40, v20
	s_delay_alu instid0(VALU_DEP_4) | instskip(SKIP_1) | instid1(VALU_DEP_4)
	v_pk_min_f16 v22, v61, v22
	v_add_co_ci_u32_e32 v21, vcc_lo, v41, v21, vcc_lo
	v_pk_min_f16 v23, v62, v23
	s_delay_alu instid0(VALU_DEP_3) | instskip(NEXT) | instid1(VALU_DEP_1)
	v_pk_add_f16 v22, v58, v22
	v_pk_add_f16 v22, v22, v23
	s_delay_alu instid0(VALU_DEP_1) | instskip(NEXT) | instid1(VALU_DEP_1)
	v_lshrrev_b32_e32 v23, 16, v22
	v_add_f16_e32 v22, v22, v23
	s_delay_alu instid0(VALU_DEP_1)
	v_add_f16_e32 v22, v22, v60
	global_store_b16 v[20:21], v22, off
.LBB248_116:
	s_or_b32 exec_lo, exec_lo, s8
	v_add_nc_u32_e32 v40, 64, v66
	s_delay_alu instid0(VALU_DEP_1) | instskip(SKIP_2) | instid1(VALU_DEP_3)
	v_mad_i64_i32 v[20:21], null, v40, s12, 0
	v_mad_i64_i32 v[22:23], null, v40, s9, 0
	v_cmp_gt_i32_e64 s8, s17, v40
	v_lshlrev_b64 v[20:21], 1, v[20:21]
	s_delay_alu instid0(VALU_DEP_2) | instskip(NEXT) | instid1(VALU_DEP_3)
	s_and_b32 s18, s0, s8
	v_lshlrev_b64 v[22:23], 1, v[22:23]
	s_delay_alu instid0(VALU_DEP_2) | instskip(NEXT) | instid1(VALU_DEP_3)
	v_add_co_u32 v40, vcc_lo, s10, v20
	v_add_co_ci_u32_e32 v41, vcc_lo, s11, v21, vcc_lo
	s_delay_alu instid0(VALU_DEP_3) | instskip(NEXT) | instid1(VALU_DEP_4)
	v_add_co_u32 v22, vcc_lo, s13, v22
	v_add_co_ci_u32_e32 v23, vcc_lo, s14, v23, vcc_lo
	s_and_saveexec_b32 s16, s18
	s_cbranch_execnz .LBB248_124
; %bb.117:
	s_or_b32 exec_lo, exec_lo, s16
	s_and_b32 s18, s1, s8
	s_delay_alu instid0(SALU_CYCLE_1)
	s_and_saveexec_b32 s16, s18
	s_cbranch_execnz .LBB248_128
.LBB248_118:
	s_or_b32 exec_lo, exec_lo, s16
	s_and_b32 s18, s2, s8
	s_delay_alu instid0(SALU_CYCLE_1)
	s_and_saveexec_b32 s16, s18
	s_cbranch_execnz .LBB248_132
.LBB248_119:
	s_or_b32 exec_lo, exec_lo, s16
	s_and_b32 s18, s3, s8
	s_delay_alu instid0(SALU_CYCLE_1)
	s_and_saveexec_b32 s16, s18
	s_cbranch_execnz .LBB248_136
.LBB248_120:
	s_or_b32 exec_lo, exec_lo, s16
	s_and_b32 s18, s4, s8
	s_delay_alu instid0(SALU_CYCLE_1)
	s_and_saveexec_b32 s16, s18
	s_cbranch_execnz .LBB248_140
.LBB248_121:
	s_or_b32 exec_lo, exec_lo, s16
	s_and_b32 s18, s5, s8
	s_delay_alu instid0(SALU_CYCLE_1)
	s_and_saveexec_b32 s16, s18
	s_cbranch_execnz .LBB248_144
.LBB248_122:
	s_or_b32 exec_lo, exec_lo, s16
	s_and_b32 s18, s6, s8
	s_delay_alu instid0(SALU_CYCLE_1)
	s_and_saveexec_b32 s16, s18
	s_cbranch_execnz .LBB248_148
.LBB248_123:
	s_or_b32 exec_lo, exec_lo, s16
	s_and_b32 s16, s7, s8
	s_delay_alu instid0(SALU_CYCLE_1)
	s_and_saveexec_b32 s8, s16
	s_cbranch_execnz .LBB248_152
	s_branch .LBB248_156
.LBB248_124:
	v_cmp_ne_u32_e32 vcc_lo, 1, v59
	v_lshlrev_b64 v[20:21], 1, v[24:25]
	s_cbranch_vccnz .LBB248_126
; %bb.125:
	s_delay_alu instid0(VALU_DEP_1) | instskip(NEXT) | instid1(VALU_DEP_2)
	v_add_co_u32 v60, vcc_lo, v40, v20
	v_add_co_ci_u32_e32 v61, vcc_lo, v41, v21, vcc_lo
	flat_load_u16 v58, v[60:61]
	s_waitcnt vmcnt(0) lgkmcnt(0)
	v_mul_f16_e32 v58, s15, v58
	s_branch .LBB248_127
.LBB248_126:
	v_mov_b32_e32 v58, 0
.LBB248_127:
	v_pk_max_f16 v60, v0, v0
	v_pk_max_f16 v61, v16, v16
	;; [unrolled: 1-line block ×4, first 2 shown]
	v_add_co_u32 v20, vcc_lo, v22, v20
	s_delay_alu instid0(VALU_DEP_4) | instskip(SKIP_1) | instid1(VALU_DEP_4)
	v_pk_min_f16 v60, v61, v60
	v_add_co_ci_u32_e32 v21, vcc_lo, v23, v21, vcc_lo
	v_pk_min_f16 v61, v63, v62
	s_delay_alu instid0(VALU_DEP_3) | instskip(NEXT) | instid1(VALU_DEP_1)
	v_pk_add_f16 v57, v57, v60
	v_pk_add_f16 v57, v57, v61
	s_delay_alu instid0(VALU_DEP_1) | instskip(NEXT) | instid1(VALU_DEP_1)
	v_lshrrev_b32_e32 v60, 16, v57
	v_add_f16_e32 v57, v57, v60
	s_delay_alu instid0(VALU_DEP_1) | instskip(SKIP_3) | instid1(SALU_CYCLE_1)
	v_add_f16_e32 v57, v57, v58
	global_store_b16 v[20:21], v57, off
	s_or_b32 exec_lo, exec_lo, s16
	s_and_b32 s18, s1, s8
	s_and_saveexec_b32 s16, s18
	s_cbranch_execz .LBB248_118
.LBB248_128:
	v_cmp_ne_u32_e32 vcc_lo, 1, v59
	v_lshlrev_b64 v[20:21], 1, v[26:27]
	s_cbranch_vccnz .LBB248_130
; %bb.129:
	s_delay_alu instid0(VALU_DEP_1) | instskip(NEXT) | instid1(VALU_DEP_2)
	v_add_co_u32 v57, vcc_lo, v40, v20
	v_add_co_ci_u32_e32 v58, vcc_lo, v41, v21, vcc_lo
	flat_load_u16 v57, v[57:58]
	s_waitcnt vmcnt(0) lgkmcnt(0)
	v_mul_f16_e32 v57, s15, v57
	s_branch .LBB248_131
.LBB248_130:
	v_mov_b32_e32 v57, 0
.LBB248_131:
	v_pk_max_f16 v58, v0, v0
	v_pk_max_f16 v60, v18, v18
	;; [unrolled: 1-line block ×4, first 2 shown]
	v_add_co_u32 v20, vcc_lo, v22, v20
	s_delay_alu instid0(VALU_DEP_4) | instskip(SKIP_1) | instid1(VALU_DEP_4)
	v_pk_min_f16 v58, v60, v58
	v_add_co_ci_u32_e32 v21, vcc_lo, v23, v21, vcc_lo
	v_pk_min_f16 v60, v62, v61
	s_delay_alu instid0(VALU_DEP_3) | instskip(NEXT) | instid1(VALU_DEP_1)
	v_pk_add_f16 v56, v56, v58
	v_pk_add_f16 v56, v56, v60
	s_delay_alu instid0(VALU_DEP_1) | instskip(NEXT) | instid1(VALU_DEP_1)
	v_lshrrev_b32_e32 v58, 16, v56
	v_add_f16_e32 v56, v56, v58
	s_delay_alu instid0(VALU_DEP_1) | instskip(SKIP_3) | instid1(SALU_CYCLE_1)
	v_add_f16_e32 v56, v56, v57
	global_store_b16 v[20:21], v56, off
	s_or_b32 exec_lo, exec_lo, s16
	s_and_b32 s18, s2, s8
	s_and_saveexec_b32 s16, s18
	s_cbranch_execz .LBB248_119
.LBB248_132:
	v_cmp_ne_u32_e32 vcc_lo, 1, v59
	v_lshlrev_b64 v[20:21], 1, v[28:29]
	s_cbranch_vccnz .LBB248_134
; %bb.133:
	s_delay_alu instid0(VALU_DEP_1) | instskip(NEXT) | instid1(VALU_DEP_2)
	v_add_co_u32 v56, vcc_lo, v40, v20
	v_add_co_ci_u32_e32 v57, vcc_lo, v41, v21, vcc_lo
	flat_load_u16 v56, v[56:57]
	s_waitcnt vmcnt(0) lgkmcnt(0)
	v_mul_f16_e32 v56, s15, v56
	s_branch .LBB248_135
.LBB248_134:
	v_mov_b32_e32 v56, 0
.LBB248_135:
	v_pk_max_f16 v57, v0, v0
	v_pk_max_f16 v58, v12, v12
	;; [unrolled: 1-line block ×4, first 2 shown]
	v_add_co_u32 v20, vcc_lo, v22, v20
	s_delay_alu instid0(VALU_DEP_4) | instskip(SKIP_1) | instid1(VALU_DEP_4)
	v_pk_min_f16 v57, v58, v57
	v_add_co_ci_u32_e32 v21, vcc_lo, v23, v21, vcc_lo
	v_pk_min_f16 v58, v61, v60
	s_delay_alu instid0(VALU_DEP_3) | instskip(NEXT) | instid1(VALU_DEP_1)
	v_pk_add_f16 v55, v55, v57
	v_pk_add_f16 v55, v55, v58
	s_delay_alu instid0(VALU_DEP_1) | instskip(NEXT) | instid1(VALU_DEP_1)
	v_lshrrev_b32_e32 v57, 16, v55
	v_add_f16_e32 v55, v55, v57
	s_delay_alu instid0(VALU_DEP_1) | instskip(SKIP_3) | instid1(SALU_CYCLE_1)
	v_add_f16_e32 v55, v55, v56
	global_store_b16 v[20:21], v55, off
	s_or_b32 exec_lo, exec_lo, s16
	s_and_b32 s18, s3, s8
	s_and_saveexec_b32 s16, s18
	s_cbranch_execz .LBB248_120
.LBB248_136:
	v_cmp_ne_u32_e32 vcc_lo, 1, v59
	v_lshlrev_b64 v[20:21], 1, v[30:31]
	s_cbranch_vccnz .LBB248_138
; %bb.137:
	s_delay_alu instid0(VALU_DEP_1) | instskip(NEXT) | instid1(VALU_DEP_2)
	v_add_co_u32 v55, vcc_lo, v40, v20
	v_add_co_ci_u32_e32 v56, vcc_lo, v41, v21, vcc_lo
	flat_load_u16 v55, v[55:56]
	s_waitcnt vmcnt(0) lgkmcnt(0)
	v_mul_f16_e32 v55, s15, v55
	s_branch .LBB248_139
.LBB248_138:
	v_mov_b32_e32 v55, 0
.LBB248_139:
	v_pk_max_f16 v56, v0, v0
	v_pk_max_f16 v57, v14, v14
	;; [unrolled: 1-line block ×4, first 2 shown]
	v_add_co_u32 v20, vcc_lo, v22, v20
	s_delay_alu instid0(VALU_DEP_4) | instskip(SKIP_1) | instid1(VALU_DEP_4)
	v_pk_min_f16 v56, v57, v56
	v_add_co_ci_u32_e32 v21, vcc_lo, v23, v21, vcc_lo
	v_pk_min_f16 v57, v60, v58
	s_delay_alu instid0(VALU_DEP_3) | instskip(NEXT) | instid1(VALU_DEP_1)
	v_pk_add_f16 v54, v54, v56
	v_pk_add_f16 v54, v54, v57
	s_delay_alu instid0(VALU_DEP_1) | instskip(NEXT) | instid1(VALU_DEP_1)
	v_lshrrev_b32_e32 v56, 16, v54
	v_add_f16_e32 v54, v54, v56
	s_delay_alu instid0(VALU_DEP_1) | instskip(SKIP_3) | instid1(SALU_CYCLE_1)
	v_add_f16_e32 v54, v54, v55
	global_store_b16 v[20:21], v54, off
	s_or_b32 exec_lo, exec_lo, s16
	s_and_b32 s18, s4, s8
	s_and_saveexec_b32 s16, s18
	s_cbranch_execz .LBB248_121
.LBB248_140:
	v_cmp_ne_u32_e32 vcc_lo, 1, v59
	v_lshlrev_b64 v[20:21], 1, v[32:33]
	s_cbranch_vccnz .LBB248_142
; %bb.141:
	s_delay_alu instid0(VALU_DEP_1) | instskip(NEXT) | instid1(VALU_DEP_2)
	v_add_co_u32 v54, vcc_lo, v40, v20
	v_add_co_ci_u32_e32 v55, vcc_lo, v41, v21, vcc_lo
	flat_load_u16 v54, v[54:55]
	s_waitcnt vmcnt(0) lgkmcnt(0)
	v_mul_f16_e32 v54, s15, v54
	s_branch .LBB248_143
.LBB248_142:
	v_mov_b32_e32 v54, 0
.LBB248_143:
	v_pk_max_f16 v55, v0, v0
	v_pk_max_f16 v56, v8, v8
	v_pk_max_f16 v57, v1, v1
	v_pk_max_f16 v58, v9, v9
	v_add_co_u32 v20, vcc_lo, v22, v20
	s_delay_alu instid0(VALU_DEP_4) | instskip(SKIP_1) | instid1(VALU_DEP_4)
	v_pk_min_f16 v55, v56, v55
	v_add_co_ci_u32_e32 v21, vcc_lo, v23, v21, vcc_lo
	v_pk_min_f16 v56, v58, v57
	s_delay_alu instid0(VALU_DEP_3) | instskip(NEXT) | instid1(VALU_DEP_1)
	v_pk_add_f16 v53, v53, v55
	v_pk_add_f16 v53, v53, v56
	s_delay_alu instid0(VALU_DEP_1) | instskip(NEXT) | instid1(VALU_DEP_1)
	v_lshrrev_b32_e32 v55, 16, v53
	v_add_f16_e32 v53, v53, v55
	s_delay_alu instid0(VALU_DEP_1) | instskip(SKIP_3) | instid1(SALU_CYCLE_1)
	v_add_f16_e32 v53, v53, v54
	global_store_b16 v[20:21], v53, off
	s_or_b32 exec_lo, exec_lo, s16
	s_and_b32 s18, s5, s8
	s_and_saveexec_b32 s16, s18
	s_cbranch_execz .LBB248_122
.LBB248_144:
	v_cmp_ne_u32_e32 vcc_lo, 1, v59
	v_lshlrev_b64 v[20:21], 1, v[34:35]
	s_cbranch_vccnz .LBB248_146
; %bb.145:
	s_delay_alu instid0(VALU_DEP_1) | instskip(NEXT) | instid1(VALU_DEP_2)
	v_add_co_u32 v53, vcc_lo, v40, v20
	v_add_co_ci_u32_e32 v54, vcc_lo, v41, v21, vcc_lo
	flat_load_u16 v53, v[53:54]
	s_waitcnt vmcnt(0) lgkmcnt(0)
	v_mul_f16_e32 v53, s15, v53
	s_branch .LBB248_147
.LBB248_146:
	v_mov_b32_e32 v53, 0
.LBB248_147:
	v_pk_max_f16 v54, v0, v0
	v_pk_max_f16 v55, v10, v10
	;; [unrolled: 1-line block ×4, first 2 shown]
	v_add_co_u32 v20, vcc_lo, v22, v20
	s_delay_alu instid0(VALU_DEP_4) | instskip(SKIP_1) | instid1(VALU_DEP_4)
	v_pk_min_f16 v54, v55, v54
	v_add_co_ci_u32_e32 v21, vcc_lo, v23, v21, vcc_lo
	v_pk_min_f16 v55, v57, v56
	s_delay_alu instid0(VALU_DEP_3) | instskip(NEXT) | instid1(VALU_DEP_1)
	v_pk_add_f16 v52, v52, v54
	v_pk_add_f16 v52, v52, v55
	s_delay_alu instid0(VALU_DEP_1) | instskip(NEXT) | instid1(VALU_DEP_1)
	v_lshrrev_b32_e32 v54, 16, v52
	v_add_f16_e32 v52, v52, v54
	s_delay_alu instid0(VALU_DEP_1) | instskip(SKIP_3) | instid1(SALU_CYCLE_1)
	v_add_f16_e32 v52, v52, v53
	global_store_b16 v[20:21], v52, off
	s_or_b32 exec_lo, exec_lo, s16
	s_and_b32 s18, s6, s8
	s_and_saveexec_b32 s16, s18
	s_cbranch_execz .LBB248_123
.LBB248_148:
	v_cmp_ne_u32_e32 vcc_lo, 1, v59
	v_lshlrev_b64 v[20:21], 1, v[36:37]
	s_cbranch_vccnz .LBB248_150
; %bb.149:
	s_delay_alu instid0(VALU_DEP_1) | instskip(NEXT) | instid1(VALU_DEP_2)
	v_add_co_u32 v52, vcc_lo, v40, v20
	v_add_co_ci_u32_e32 v53, vcc_lo, v41, v21, vcc_lo
	flat_load_u16 v52, v[52:53]
	s_waitcnt vmcnt(0) lgkmcnt(0)
	v_mul_f16_e32 v52, s15, v52
	s_branch .LBB248_151
.LBB248_150:
	v_mov_b32_e32 v52, 0
.LBB248_151:
	v_pk_max_f16 v53, v0, v0
	v_pk_max_f16 v54, v4, v4
	;; [unrolled: 1-line block ×4, first 2 shown]
	v_add_co_u32 v20, vcc_lo, v22, v20
	s_delay_alu instid0(VALU_DEP_4) | instskip(SKIP_1) | instid1(VALU_DEP_4)
	v_pk_min_f16 v53, v54, v53
	v_add_co_ci_u32_e32 v21, vcc_lo, v23, v21, vcc_lo
	v_pk_min_f16 v54, v56, v55
	s_delay_alu instid0(VALU_DEP_3) | instskip(NEXT) | instid1(VALU_DEP_1)
	v_pk_add_f16 v51, v51, v53
	v_pk_add_f16 v51, v51, v54
	s_delay_alu instid0(VALU_DEP_1) | instskip(NEXT) | instid1(VALU_DEP_1)
	v_lshrrev_b32_e32 v53, 16, v51
	v_add_f16_e32 v51, v51, v53
	s_delay_alu instid0(VALU_DEP_1) | instskip(SKIP_3) | instid1(SALU_CYCLE_1)
	v_add_f16_e32 v51, v51, v52
	global_store_b16 v[20:21], v51, off
	s_or_b32 exec_lo, exec_lo, s16
	s_and_b32 s16, s7, s8
	s_and_saveexec_b32 s8, s16
	s_cbranch_execz .LBB248_156
.LBB248_152:
	v_cmp_ne_u32_e32 vcc_lo, 1, v59
	v_lshlrev_b64 v[20:21], 1, v[38:39]
	s_cbranch_vccnz .LBB248_154
; %bb.153:
	s_delay_alu instid0(VALU_DEP_1) | instskip(NEXT) | instid1(VALU_DEP_2)
	v_add_co_u32 v40, vcc_lo, v40, v20
	v_add_co_ci_u32_e32 v41, vcc_lo, v41, v21, vcc_lo
	flat_load_u16 v40, v[40:41]
	s_waitcnt vmcnt(0) lgkmcnt(0)
	v_mul_f16_e32 v40, s15, v40
	s_branch .LBB248_155
.LBB248_154:
	v_mov_b32_e32 v40, 0
.LBB248_155:
	v_pk_max_f16 v0, v0, v0
	v_pk_max_f16 v41, v6, v6
	;; [unrolled: 1-line block ×4, first 2 shown]
	s_delay_alu instid0(VALU_DEP_3) | instskip(NEXT) | instid1(VALU_DEP_2)
	v_pk_min_f16 v0, v41, v0
	v_pk_min_f16 v1, v51, v1
	s_delay_alu instid0(VALU_DEP_2) | instskip(NEXT) | instid1(VALU_DEP_1)
	v_pk_add_f16 v0, v50, v0
	v_pk_add_f16 v0, v0, v1
	s_delay_alu instid0(VALU_DEP_1) | instskip(NEXT) | instid1(VALU_DEP_1)
	v_lshrrev_b32_e32 v1, 16, v0
	v_add_f16_e32 v0, v0, v1
	s_delay_alu instid0(VALU_DEP_1)
	v_add_f16_e32 v40, v0, v40
	v_add_co_u32 v0, vcc_lo, v22, v20
	v_add_co_ci_u32_e32 v1, vcc_lo, v23, v21, vcc_lo
	global_store_b16 v[0:1], v40, off
.LBB248_156:
	s_or_b32 exec_lo, exec_lo, s8
	v_add_nc_u32_e32 v22, 0x60, v66
	s_delay_alu instid0(VALU_DEP_1) | instskip(SKIP_2) | instid1(VALU_DEP_3)
	v_mad_i64_i32 v[0:1], null, v22, s12, 0
	v_mad_i64_i32 v[20:21], null, v22, s9, 0
	v_cmp_gt_i32_e64 s8, s17, v22
	v_lshlrev_b64 v[0:1], 1, v[0:1]
	s_delay_alu instid0(VALU_DEP_2) | instskip(NEXT) | instid1(VALU_DEP_3)
	s_and_b32 s9, s0, s8
	v_lshlrev_b64 v[20:21], 1, v[20:21]
	s_delay_alu instid0(VALU_DEP_2) | instskip(NEXT) | instid1(VALU_DEP_3)
	v_add_co_u32 v22, vcc_lo, s10, v0
	v_add_co_ci_u32_e32 v23, vcc_lo, s11, v1, vcc_lo
	s_delay_alu instid0(VALU_DEP_3) | instskip(NEXT) | instid1(VALU_DEP_4)
	v_add_co_u32 v20, vcc_lo, s13, v20
	v_add_co_ci_u32_e32 v21, vcc_lo, s14, v21, vcc_lo
	s_and_saveexec_b32 s0, s9
	s_cbranch_execnz .LBB248_165
; %bb.157:
	s_or_b32 exec_lo, exec_lo, s0
	s_and_b32 s1, s1, s8
	s_delay_alu instid0(SALU_CYCLE_1)
	s_and_saveexec_b32 s0, s1
	s_cbranch_execnz .LBB248_169
.LBB248_158:
	s_or_b32 exec_lo, exec_lo, s0
	s_and_b32 s1, s2, s8
	s_delay_alu instid0(SALU_CYCLE_1)
	s_and_saveexec_b32 s0, s1
	s_cbranch_execnz .LBB248_173
.LBB248_159:
	s_or_b32 exec_lo, exec_lo, s0
	s_and_b32 s1, s3, s8
	s_delay_alu instid0(SALU_CYCLE_1)
	s_and_saveexec_b32 s0, s1
	s_cbranch_execnz .LBB248_177
.LBB248_160:
	s_or_b32 exec_lo, exec_lo, s0
	s_and_b32 s1, s4, s8
	s_delay_alu instid0(SALU_CYCLE_1)
	s_and_saveexec_b32 s0, s1
	s_cbranch_execnz .LBB248_181
.LBB248_161:
	s_or_b32 exec_lo, exec_lo, s0
	s_and_b32 s1, s5, s8
	s_delay_alu instid0(SALU_CYCLE_1)
	s_and_saveexec_b32 s0, s1
	s_cbranch_execnz .LBB248_185
.LBB248_162:
	s_or_b32 exec_lo, exec_lo, s0
	s_and_b32 s1, s6, s8
	s_delay_alu instid0(SALU_CYCLE_1)
	s_and_saveexec_b32 s0, s1
	s_cbranch_execnz .LBB248_189
.LBB248_163:
	s_or_b32 exec_lo, exec_lo, s0
	s_and_b32 s0, s7, s8
	s_delay_alu instid0(SALU_CYCLE_1)
	s_and_saveexec_b32 s1, s0
	s_cbranch_execnz .LBB248_193
.LBB248_164:
	s_nop 0
	s_sendmsg sendmsg(MSG_DEALLOC_VGPRS)
	s_endpgm
.LBB248_165:
	v_cmp_ne_u32_e32 vcc_lo, 1, v59
	v_lshlrev_b64 v[0:1], 1, v[24:25]
	s_cbranch_vccnz .LBB248_167
; %bb.166:
	s_delay_alu instid0(VALU_DEP_1) | instskip(NEXT) | instid1(VALU_DEP_2)
	v_add_co_u32 v24, vcc_lo, v22, v0
	v_add_co_ci_u32_e32 v25, vcc_lo, v23, v1, vcc_lo
	flat_load_u16 v24, v[24:25]
	s_waitcnt vmcnt(0) lgkmcnt(0)
	v_mul_f16_e32 v24, s15, v24
	s_branch .LBB248_168
.LBB248_167:
	v_mov_b32_e32 v24, 0
.LBB248_168:
	v_pk_max_f16 v25, v2, v2
	v_pk_max_f16 v16, v16, v16
	;; [unrolled: 1-line block ×4, first 2 shown]
	v_add_co_u32 v0, vcc_lo, v20, v0
	s_delay_alu instid0(VALU_DEP_4) | instskip(SKIP_1) | instid1(VALU_DEP_4)
	v_pk_min_f16 v16, v16, v25
	v_add_co_ci_u32_e32 v1, vcc_lo, v21, v1, vcc_lo
	v_pk_min_f16 v17, v17, v40
	s_delay_alu instid0(VALU_DEP_3) | instskip(NEXT) | instid1(VALU_DEP_1)
	v_pk_add_f16 v16, v49, v16
	v_pk_add_f16 v16, v16, v17
	s_delay_alu instid0(VALU_DEP_1) | instskip(NEXT) | instid1(VALU_DEP_1)
	v_lshrrev_b32_e32 v17, 16, v16
	v_add_f16_e32 v16, v16, v17
	s_delay_alu instid0(VALU_DEP_1) | instskip(SKIP_3) | instid1(SALU_CYCLE_1)
	v_add_f16_e32 v16, v16, v24
	global_store_b16 v[0:1], v16, off
	s_or_b32 exec_lo, exec_lo, s0
	s_and_b32 s1, s1, s8
	s_and_saveexec_b32 s0, s1
	s_cbranch_execz .LBB248_158
.LBB248_169:
	v_cmp_ne_u32_e32 vcc_lo, 1, v59
	v_lshlrev_b64 v[0:1], 1, v[26:27]
	s_cbranch_vccnz .LBB248_171
; %bb.170:
	s_delay_alu instid0(VALU_DEP_1) | instskip(NEXT) | instid1(VALU_DEP_2)
	v_add_co_u32 v16, vcc_lo, v22, v0
	v_add_co_ci_u32_e32 v17, vcc_lo, v23, v1, vcc_lo
	flat_load_u16 v16, v[16:17]
	s_waitcnt vmcnt(0) lgkmcnt(0)
	v_mul_f16_e32 v16, s15, v16
	s_branch .LBB248_172
.LBB248_171:
	v_mov_b32_e32 v16, 0
.LBB248_172:
	v_pk_max_f16 v17, v2, v2
	v_pk_max_f16 v18, v18, v18
	;; [unrolled: 1-line block ×4, first 2 shown]
	v_add_co_u32 v0, vcc_lo, v20, v0
	s_delay_alu instid0(VALU_DEP_4) | instskip(SKIP_1) | instid1(VALU_DEP_4)
	v_pk_min_f16 v17, v18, v17
	v_add_co_ci_u32_e32 v1, vcc_lo, v21, v1, vcc_lo
	v_pk_min_f16 v18, v19, v24
	s_delay_alu instid0(VALU_DEP_3) | instskip(NEXT) | instid1(VALU_DEP_1)
	v_pk_add_f16 v17, v48, v17
	v_pk_add_f16 v17, v17, v18
	s_delay_alu instid0(VALU_DEP_1) | instskip(NEXT) | instid1(VALU_DEP_1)
	v_lshrrev_b32_e32 v18, 16, v17
	v_add_f16_e32 v17, v17, v18
	s_delay_alu instid0(VALU_DEP_1) | instskip(SKIP_3) | instid1(SALU_CYCLE_1)
	v_add_f16_e32 v16, v17, v16
	global_store_b16 v[0:1], v16, off
	s_or_b32 exec_lo, exec_lo, s0
	s_and_b32 s1, s2, s8
	s_and_saveexec_b32 s0, s1
	s_cbranch_execz .LBB248_159
.LBB248_173:
	v_cmp_ne_u32_e32 vcc_lo, 1, v59
	v_lshlrev_b64 v[0:1], 1, v[28:29]
	s_cbranch_vccnz .LBB248_175
; %bb.174:
	s_delay_alu instid0(VALU_DEP_1) | instskip(NEXT) | instid1(VALU_DEP_2)
	v_add_co_u32 v16, vcc_lo, v22, v0
	v_add_co_ci_u32_e32 v17, vcc_lo, v23, v1, vcc_lo
	flat_load_u16 v16, v[16:17]
	s_waitcnt vmcnt(0) lgkmcnt(0)
	v_mul_f16_e32 v16, s15, v16
	s_branch .LBB248_176
.LBB248_175:
	v_mov_b32_e32 v16, 0
.LBB248_176:
	v_pk_max_f16 v17, v2, v2
	v_pk_max_f16 v12, v12, v12
	;; [unrolled: 1-line block ×4, first 2 shown]
	v_add_co_u32 v0, vcc_lo, v20, v0
	s_delay_alu instid0(VALU_DEP_4) | instskip(SKIP_1) | instid1(VALU_DEP_4)
	v_pk_min_f16 v12, v12, v17
	v_add_co_ci_u32_e32 v1, vcc_lo, v21, v1, vcc_lo
	v_pk_min_f16 v13, v13, v18
	s_delay_alu instid0(VALU_DEP_3) | instskip(NEXT) | instid1(VALU_DEP_1)
	v_pk_add_f16 v12, v47, v12
	v_pk_add_f16 v12, v12, v13
	s_delay_alu instid0(VALU_DEP_1) | instskip(NEXT) | instid1(VALU_DEP_1)
	v_lshrrev_b32_e32 v13, 16, v12
	v_add_f16_e32 v12, v12, v13
	s_delay_alu instid0(VALU_DEP_1) | instskip(SKIP_3) | instid1(SALU_CYCLE_1)
	v_add_f16_e32 v12, v12, v16
	global_store_b16 v[0:1], v12, off
	s_or_b32 exec_lo, exec_lo, s0
	s_and_b32 s1, s3, s8
	s_and_saveexec_b32 s0, s1
	s_cbranch_execz .LBB248_160
.LBB248_177:
	v_cmp_ne_u32_e32 vcc_lo, 1, v59
	v_lshlrev_b64 v[0:1], 1, v[30:31]
	s_cbranch_vccnz .LBB248_179
; %bb.178:
	s_delay_alu instid0(VALU_DEP_1) | instskip(NEXT) | instid1(VALU_DEP_2)
	v_add_co_u32 v12, vcc_lo, v22, v0
	v_add_co_ci_u32_e32 v13, vcc_lo, v23, v1, vcc_lo
	flat_load_u16 v12, v[12:13]
	s_waitcnt vmcnt(0) lgkmcnt(0)
	v_mul_f16_e32 v12, s15, v12
	s_branch .LBB248_180
.LBB248_179:
	v_mov_b32_e32 v12, 0
.LBB248_180:
	v_pk_max_f16 v13, v2, v2
	v_pk_max_f16 v14, v14, v14
	v_pk_max_f16 v16, v3, v3
	v_pk_max_f16 v15, v15, v15
	v_add_co_u32 v0, vcc_lo, v20, v0
	s_delay_alu instid0(VALU_DEP_4) | instskip(SKIP_1) | instid1(VALU_DEP_4)
	v_pk_min_f16 v13, v14, v13
	v_add_co_ci_u32_e32 v1, vcc_lo, v21, v1, vcc_lo
	v_pk_min_f16 v14, v15, v16
	s_delay_alu instid0(VALU_DEP_3) | instskip(NEXT) | instid1(VALU_DEP_1)
	v_pk_add_f16 v13, v46, v13
	v_pk_add_f16 v13, v13, v14
	s_delay_alu instid0(VALU_DEP_1) | instskip(NEXT) | instid1(VALU_DEP_1)
	v_lshrrev_b32_e32 v14, 16, v13
	v_add_f16_e32 v13, v13, v14
	s_delay_alu instid0(VALU_DEP_1) | instskip(SKIP_3) | instid1(SALU_CYCLE_1)
	v_add_f16_e32 v12, v13, v12
	global_store_b16 v[0:1], v12, off
	s_or_b32 exec_lo, exec_lo, s0
	s_and_b32 s1, s4, s8
	s_and_saveexec_b32 s0, s1
	s_cbranch_execz .LBB248_161
.LBB248_181:
	v_cmp_ne_u32_e32 vcc_lo, 1, v59
	v_lshlrev_b64 v[0:1], 1, v[32:33]
	s_cbranch_vccnz .LBB248_183
; %bb.182:
	s_delay_alu instid0(VALU_DEP_1) | instskip(NEXT) | instid1(VALU_DEP_2)
	v_add_co_u32 v12, vcc_lo, v22, v0
	v_add_co_ci_u32_e32 v13, vcc_lo, v23, v1, vcc_lo
	flat_load_u16 v12, v[12:13]
	s_waitcnt vmcnt(0) lgkmcnt(0)
	v_mul_f16_e32 v12, s15, v12
	s_branch .LBB248_184
.LBB248_183:
	v_mov_b32_e32 v12, 0
.LBB248_184:
	v_pk_max_f16 v13, v2, v2
	v_pk_max_f16 v8, v8, v8
	;; [unrolled: 1-line block ×4, first 2 shown]
	v_add_co_u32 v0, vcc_lo, v20, v0
	s_delay_alu instid0(VALU_DEP_4) | instskip(SKIP_1) | instid1(VALU_DEP_4)
	v_pk_min_f16 v8, v8, v13
	v_add_co_ci_u32_e32 v1, vcc_lo, v21, v1, vcc_lo
	v_pk_min_f16 v9, v9, v14
	s_delay_alu instid0(VALU_DEP_3) | instskip(NEXT) | instid1(VALU_DEP_1)
	v_pk_add_f16 v8, v45, v8
	v_pk_add_f16 v8, v8, v9
	s_delay_alu instid0(VALU_DEP_1) | instskip(NEXT) | instid1(VALU_DEP_1)
	v_lshrrev_b32_e32 v9, 16, v8
	v_add_f16_e32 v8, v8, v9
	s_delay_alu instid0(VALU_DEP_1) | instskip(SKIP_3) | instid1(SALU_CYCLE_1)
	v_add_f16_e32 v8, v8, v12
	global_store_b16 v[0:1], v8, off
	s_or_b32 exec_lo, exec_lo, s0
	s_and_b32 s1, s5, s8
	s_and_saveexec_b32 s0, s1
	s_cbranch_execz .LBB248_162
.LBB248_185:
	v_cmp_ne_u32_e32 vcc_lo, 1, v59
	v_lshlrev_b64 v[0:1], 1, v[34:35]
	s_cbranch_vccnz .LBB248_187
; %bb.186:
	s_delay_alu instid0(VALU_DEP_1) | instskip(NEXT) | instid1(VALU_DEP_2)
	v_add_co_u32 v8, vcc_lo, v22, v0
	v_add_co_ci_u32_e32 v9, vcc_lo, v23, v1, vcc_lo
	flat_load_u16 v8, v[8:9]
	s_waitcnt vmcnt(0) lgkmcnt(0)
	v_mul_f16_e32 v8, s15, v8
	s_branch .LBB248_188
.LBB248_187:
	v_mov_b32_e32 v8, 0
.LBB248_188:
	v_pk_max_f16 v9, v2, v2
	v_pk_max_f16 v10, v10, v10
	;; [unrolled: 1-line block ×4, first 2 shown]
	v_add_co_u32 v0, vcc_lo, v20, v0
	s_delay_alu instid0(VALU_DEP_4) | instskip(SKIP_1) | instid1(VALU_DEP_4)
	v_pk_min_f16 v9, v10, v9
	v_add_co_ci_u32_e32 v1, vcc_lo, v21, v1, vcc_lo
	v_pk_min_f16 v10, v11, v12
	s_delay_alu instid0(VALU_DEP_3) | instskip(NEXT) | instid1(VALU_DEP_1)
	v_pk_add_f16 v9, v44, v9
	v_pk_add_f16 v9, v9, v10
	s_delay_alu instid0(VALU_DEP_1) | instskip(NEXT) | instid1(VALU_DEP_1)
	v_lshrrev_b32_e32 v10, 16, v9
	v_add_f16_e32 v9, v9, v10
	s_delay_alu instid0(VALU_DEP_1) | instskip(SKIP_3) | instid1(SALU_CYCLE_1)
	v_add_f16_e32 v8, v9, v8
	global_store_b16 v[0:1], v8, off
	s_or_b32 exec_lo, exec_lo, s0
	s_and_b32 s1, s6, s8
	s_and_saveexec_b32 s0, s1
	s_cbranch_execz .LBB248_163
.LBB248_189:
	v_cmp_ne_u32_e32 vcc_lo, 1, v59
	v_lshlrev_b64 v[0:1], 1, v[36:37]
	s_cbranch_vccnz .LBB248_191
; %bb.190:
	s_delay_alu instid0(VALU_DEP_1) | instskip(NEXT) | instid1(VALU_DEP_2)
	v_add_co_u32 v8, vcc_lo, v22, v0
	v_add_co_ci_u32_e32 v9, vcc_lo, v23, v1, vcc_lo
	flat_load_u16 v8, v[8:9]
	s_waitcnt vmcnt(0) lgkmcnt(0)
	v_mul_f16_e32 v8, s15, v8
	s_branch .LBB248_192
.LBB248_191:
	v_mov_b32_e32 v8, 0
.LBB248_192:
	v_pk_max_f16 v9, v2, v2
	v_pk_max_f16 v4, v4, v4
	;; [unrolled: 1-line block ×4, first 2 shown]
	v_add_co_u32 v0, vcc_lo, v20, v0
	s_delay_alu instid0(VALU_DEP_4) | instskip(SKIP_1) | instid1(VALU_DEP_4)
	v_pk_min_f16 v4, v4, v9
	v_add_co_ci_u32_e32 v1, vcc_lo, v21, v1, vcc_lo
	v_pk_min_f16 v5, v5, v10
	s_delay_alu instid0(VALU_DEP_3) | instskip(NEXT) | instid1(VALU_DEP_1)
	v_pk_add_f16 v4, v43, v4
	v_pk_add_f16 v4, v4, v5
	s_delay_alu instid0(VALU_DEP_1) | instskip(NEXT) | instid1(VALU_DEP_1)
	v_lshrrev_b32_e32 v5, 16, v4
	v_add_f16_e32 v4, v4, v5
	s_delay_alu instid0(VALU_DEP_1) | instskip(SKIP_3) | instid1(SALU_CYCLE_1)
	v_add_f16_e32 v4, v4, v8
	global_store_b16 v[0:1], v4, off
	s_or_b32 exec_lo, exec_lo, s0
	s_and_b32 s0, s7, s8
	s_and_saveexec_b32 s1, s0
	s_cbranch_execz .LBB248_164
.LBB248_193:
	v_cmp_ne_u32_e32 vcc_lo, 1, v59
	v_lshlrev_b64 v[0:1], 1, v[38:39]
	s_cbranch_vccnz .LBB248_195
; %bb.194:
	s_delay_alu instid0(VALU_DEP_1) | instskip(NEXT) | instid1(VALU_DEP_2)
	v_add_co_u32 v4, vcc_lo, v22, v0
	v_add_co_ci_u32_e32 v5, vcc_lo, v23, v1, vcc_lo
	flat_load_u16 v4, v[4:5]
	s_waitcnt vmcnt(0) lgkmcnt(0)
	v_mul_f16_e32 v4, s15, v4
	s_branch .LBB248_196
.LBB248_195:
	v_mov_b32_e32 v4, 0
.LBB248_196:
	v_pk_max_f16 v2, v2, v2
	v_pk_max_f16 v5, v6, v6
	;; [unrolled: 1-line block ×4, first 2 shown]
	v_add_co_u32 v0, vcc_lo, v20, v0
	s_delay_alu instid0(VALU_DEP_4) | instskip(SKIP_1) | instid1(VALU_DEP_4)
	v_pk_min_f16 v2, v5, v2
	v_add_co_ci_u32_e32 v1, vcc_lo, v21, v1, vcc_lo
	v_pk_min_f16 v3, v6, v3
	s_delay_alu instid0(VALU_DEP_3) | instskip(NEXT) | instid1(VALU_DEP_1)
	v_pk_add_f16 v2, v42, v2
	v_pk_add_f16 v2, v2, v3
	s_delay_alu instid0(VALU_DEP_1) | instskip(NEXT) | instid1(VALU_DEP_1)
	v_lshrrev_b32_e32 v3, 16, v2
	v_add_f16_e32 v2, v2, v3
	s_delay_alu instid0(VALU_DEP_1)
	v_add_f16_e32 v2, v2, v4
	global_store_b16 v[0:1], v2, off
	s_nop 0
	s_sendmsg sendmsg(MSG_DEALLOC_VGPRS)
	s_endpgm
	.section	.rodata,"a",@progbits
	.p2align	6, 0x0
	.amdhsa_kernel _ZN12_GLOBAL__N_120geam_min_plus_kernelIDF16_Dv2_DF16_S1_Li8ELi32ELi64ELi128ELi4ELi64ELi4ELi64ELi4ELc78ELc84ELb0ELb1ELb0EDF16_KPKDF16_KPDF16_EEviiiT16_PT17_ilS9_ilS7_S9_ilPT18_ili26rocblas_geam_ex_operation_
		.amdhsa_group_segment_fixed_size 3072
		.amdhsa_private_segment_fixed_size 0
		.amdhsa_kernarg_size 128
		.amdhsa_user_sgpr_count 14
		.amdhsa_user_sgpr_dispatch_ptr 0
		.amdhsa_user_sgpr_queue_ptr 0
		.amdhsa_user_sgpr_kernarg_segment_ptr 1
		.amdhsa_user_sgpr_dispatch_id 0
		.amdhsa_user_sgpr_private_segment_size 0
		.amdhsa_wavefront_size32 1
		.amdhsa_uses_dynamic_stack 0
		.amdhsa_enable_private_segment 0
		.amdhsa_system_sgpr_workgroup_id_x 1
		.amdhsa_system_sgpr_workgroup_id_y 0
		.amdhsa_system_sgpr_workgroup_id_z 1
		.amdhsa_system_sgpr_workgroup_info 0
		.amdhsa_system_vgpr_workitem_id 1
		.amdhsa_next_free_vgpr 125
		.amdhsa_next_free_sgpr 30
		.amdhsa_reserve_vcc 1
		.amdhsa_float_round_mode_32 0
		.amdhsa_float_round_mode_16_64 0
		.amdhsa_float_denorm_mode_32 3
		.amdhsa_float_denorm_mode_16_64 3
		.amdhsa_dx10_clamp 1
		.amdhsa_ieee_mode 1
		.amdhsa_fp16_overflow 0
		.amdhsa_workgroup_processor_mode 1
		.amdhsa_memory_ordered 1
		.amdhsa_forward_progress 0
		.amdhsa_shared_vgpr_count 0
		.amdhsa_exception_fp_ieee_invalid_op 0
		.amdhsa_exception_fp_denorm_src 0
		.amdhsa_exception_fp_ieee_div_zero 0
		.amdhsa_exception_fp_ieee_overflow 0
		.amdhsa_exception_fp_ieee_underflow 0
		.amdhsa_exception_fp_ieee_inexact 0
		.amdhsa_exception_int_div_zero 0
	.end_amdhsa_kernel
	.section	.text._ZN12_GLOBAL__N_120geam_min_plus_kernelIDF16_Dv2_DF16_S1_Li8ELi32ELi64ELi128ELi4ELi64ELi4ELi64ELi4ELc78ELc84ELb0ELb1ELb0EDF16_KPKDF16_KPDF16_EEviiiT16_PT17_ilS9_ilS7_S9_ilPT18_ili26rocblas_geam_ex_operation_,"axG",@progbits,_ZN12_GLOBAL__N_120geam_min_plus_kernelIDF16_Dv2_DF16_S1_Li8ELi32ELi64ELi128ELi4ELi64ELi4ELi64ELi4ELc78ELc84ELb0ELb1ELb0EDF16_KPKDF16_KPDF16_EEviiiT16_PT17_ilS9_ilS7_S9_ilPT18_ili26rocblas_geam_ex_operation_,comdat
.Lfunc_end248:
	.size	_ZN12_GLOBAL__N_120geam_min_plus_kernelIDF16_Dv2_DF16_S1_Li8ELi32ELi64ELi128ELi4ELi64ELi4ELi64ELi4ELc78ELc84ELb0ELb1ELb0EDF16_KPKDF16_KPDF16_EEviiiT16_PT17_ilS9_ilS7_S9_ilPT18_ili26rocblas_geam_ex_operation_, .Lfunc_end248-_ZN12_GLOBAL__N_120geam_min_plus_kernelIDF16_Dv2_DF16_S1_Li8ELi32ELi64ELi128ELi4ELi64ELi4ELi64ELi4ELc78ELc84ELb0ELb1ELb0EDF16_KPKDF16_KPDF16_EEviiiT16_PT17_ilS9_ilS7_S9_ilPT18_ili26rocblas_geam_ex_operation_
                                        ; -- End function
	.section	.AMDGPU.csdata,"",@progbits
; Kernel info:
; codeLenInByte = 13016
; NumSgprs: 32
; NumVgprs: 125
; ScratchSize: 0
; MemoryBound: 0
; FloatMode: 240
; IeeeMode: 1
; LDSByteSize: 3072 bytes/workgroup (compile time only)
; SGPRBlocks: 3
; VGPRBlocks: 15
; NumSGPRsForWavesPerEU: 32
; NumVGPRsForWavesPerEU: 125
; Occupancy: 10
; WaveLimiterHint : 1
; COMPUTE_PGM_RSRC2:SCRATCH_EN: 0
; COMPUTE_PGM_RSRC2:USER_SGPR: 14
; COMPUTE_PGM_RSRC2:TRAP_HANDLER: 0
; COMPUTE_PGM_RSRC2:TGID_X_EN: 1
; COMPUTE_PGM_RSRC2:TGID_Y_EN: 0
; COMPUTE_PGM_RSRC2:TGID_Z_EN: 1
; COMPUTE_PGM_RSRC2:TIDIG_COMP_CNT: 1
	.section	.text._ZN12_GLOBAL__N_120geam_min_plus_kernelIDF16_Dv2_DF16_S1_Li8ELi32ELi64ELi128ELi4ELi4ELi64ELi64ELi4ELc84ELc84ELb0ELb0ELb0EPKDF16_KS3_KPDF16_EEviiiT16_PT17_ilS9_ilS7_S9_ilPT18_ili26rocblas_geam_ex_operation_,"axG",@progbits,_ZN12_GLOBAL__N_120geam_min_plus_kernelIDF16_Dv2_DF16_S1_Li8ELi32ELi64ELi128ELi4ELi4ELi64ELi64ELi4ELc84ELc84ELb0ELb0ELb0EPKDF16_KS3_KPDF16_EEviiiT16_PT17_ilS9_ilS7_S9_ilPT18_ili26rocblas_geam_ex_operation_,comdat
	.globl	_ZN12_GLOBAL__N_120geam_min_plus_kernelIDF16_Dv2_DF16_S1_Li8ELi32ELi64ELi128ELi4ELi4ELi64ELi64ELi4ELc84ELc84ELb0ELb0ELb0EPKDF16_KS3_KPDF16_EEviiiT16_PT17_ilS9_ilS7_S9_ilPT18_ili26rocblas_geam_ex_operation_ ; -- Begin function _ZN12_GLOBAL__N_120geam_min_plus_kernelIDF16_Dv2_DF16_S1_Li8ELi32ELi64ELi128ELi4ELi4ELi64ELi64ELi4ELc84ELc84ELb0ELb0ELb0EPKDF16_KS3_KPDF16_EEviiiT16_PT17_ilS9_ilS7_S9_ilPT18_ili26rocblas_geam_ex_operation_
	.p2align	8
	.type	_ZN12_GLOBAL__N_120geam_min_plus_kernelIDF16_Dv2_DF16_S1_Li8ELi32ELi64ELi128ELi4ELi4ELi64ELi64ELi4ELc84ELc84ELb0ELb0ELb0EPKDF16_KS3_KPDF16_EEviiiT16_PT17_ilS9_ilS7_S9_ilPT18_ili26rocblas_geam_ex_operation_,@function
_ZN12_GLOBAL__N_120geam_min_plus_kernelIDF16_Dv2_DF16_S1_Li8ELi32ELi64ELi128ELi4ELi4ELi64ELi64ELi4ELc84ELc84ELb0ELb0ELb0EPKDF16_KS3_KPDF16_EEviiiT16_PT17_ilS9_ilS7_S9_ilPT18_ili26rocblas_geam_ex_operation_: ; @_ZN12_GLOBAL__N_120geam_min_plus_kernelIDF16_Dv2_DF16_S1_Li8ELi32ELi64ELi128ELi4ELi4ELi64ELi64ELi4ELc84ELc84ELb0ELb0ELb0EPKDF16_KS3_KPDF16_EEviiiT16_PT17_ilS9_ilS7_S9_ilPT18_ili26rocblas_geam_ex_operation_
; %bb.0:
	s_clause 0x1
	s_load_b128 s[16:19], s[0:1], 0x10
	s_load_b128 s[4:7], s[0:1], 0x28
	s_mov_b32 s20, s15
	s_mov_b32 s21, 0
	v_mov_b32_e32 v1, 0
	s_lshl_b64 s[2:3], s[20:21], 1
	s_mov_b64 s[12:13], 0
	s_waitcnt lgkmcnt(0)
	s_add_u32 s8, s16, s2
	s_addc_u32 s9, s17, s3
	global_load_u16 v48, v1, s[8:9]
	s_clause 0x1
	s_load_b128 s[8:11], s[0:1], 0x40
	s_load_b64 s[16:17], s[0:1], 0x50
	s_waitcnt lgkmcnt(0)
	s_add_u32 s22, s10, s2
	s_addc_u32 s23, s11, s3
	s_mov_b64 s[10:11], 0
	s_waitcnt vmcnt(0)
	v_cmp_eq_f16_e32 vcc_lo, 0, v48
	v_cmp_neq_f16_e64 s2, 0, v48
	s_cbranch_vccnz .LBB249_2
; %bb.1:
	s_lshl_b64 s[12:13], s[20:21], 3
	s_delay_alu instid0(SALU_CYCLE_1)
	s_add_u32 s12, s18, s12
	s_addc_u32 s13, s19, s13
	s_lshl_b64 s[4:5], s[4:5], 1
	s_load_b64 s[12:13], s[12:13], 0x0
	s_waitcnt lgkmcnt(0)
	s_add_u32 s12, s12, s4
	s_addc_u32 s13, s13, s5
.LBB249_2:
	global_load_u16 v30, v1, s[22:23]
	v_cndmask_b32_e64 v1, 0, 1, s2
	s_and_not1_b32 vcc_lo, exec_lo, s2
	s_delay_alu instid0(VALU_DEP_1)
	v_cmp_ne_u32_e64 s3, 1, v1
	s_cbranch_vccnz .LBB249_4
; %bb.3:
	s_lshl_b64 s[4:5], s[20:21], 3
	s_delay_alu instid0(SALU_CYCLE_1)
	s_add_u32 s4, s6, s4
	s_addc_u32 s5, s7, s5
	s_lshl_b64 s[6:7], s[8:9], 1
	s_load_b64 s[4:5], s[4:5], 0x0
	s_waitcnt lgkmcnt(0)
	s_add_u32 s10, s4, s6
	s_addc_u32 s11, s5, s7
.LBB249_4:
	s_load_b128 s[4:7], s[0:1], 0x60
	s_waitcnt vmcnt(0)
	v_cmp_eq_f16_e32 vcc_lo, 0, v30
	s_and_b32 s2, exec_lo, vcc_lo
	s_delay_alu instid0(SALU_CYCLE_1)
	s_mov_b32 vcc_lo, s2
	s_cbranch_vccnz .LBB249_6
; %bb.5:
	s_lshl_b64 s[8:9], s[20:21], 3
	s_delay_alu instid0(SALU_CYCLE_1)
	s_add_u32 s8, s16, s8
	s_addc_u32 s9, s17, s9
	s_waitcnt lgkmcnt(0)
	s_lshl_b64 s[4:5], s[4:5], 1
	s_load_b64 s[8:9], s[8:9], 0x0
	s_waitcnt lgkmcnt(0)
	s_add_u32 s8, s8, s4
	s_addc_u32 s9, s9, s5
	s_branch .LBB249_7
.LBB249_6:
	s_mov_b64 s[8:9], 0
.LBB249_7:
	s_clause 0x1
	s_load_b32 s15, s[0:1], 0x0
	s_load_b32 s16, s[0:1], 0x20
	s_waitcnt lgkmcnt(0)
	s_lshl_b64 s[4:5], s[20:21], 3
	v_and_b32_e32 v49, 0x3ff, v0
	s_add_u32 s6, s6, s4
	s_addc_u32 s7, s7, s5
	v_bfe_u32 v50, v0, 10, 10
	s_delay_alu instid0(VALU_DEP_2) | instskip(NEXT) | instid1(VALU_DEP_1)
	v_and_b32_e32 v0, 3, v49
	v_lshlrev_b32_e32 v2, 1, v0
	s_add_i32 s4, s15, -1
	s_delay_alu instid0(SALU_CYCLE_1) | instskip(NEXT) | instid1(SALU_CYCLE_1)
	s_ashr_i32 s5, s4, 31
	s_lshr_b32 s5, s5, 26
	s_delay_alu instid0(SALU_CYCLE_1) | instskip(NEXT) | instid1(SALU_CYCLE_1)
	s_add_i32 s4, s4, s5
	s_ashr_i32 s4, s4, 6
	s_delay_alu instid0(SALU_CYCLE_1) | instskip(SKIP_2) | instid1(VALU_DEP_1)
	s_add_i32 s15, s4, 1
	s_not_b32 s4, s4
	v_cvt_f32_u32_e32 v1, s15
	v_rcp_iflag_f32_e32 v1, v1
	s_waitcnt_depctr 0xfff
	v_mul_f32_e32 v1, 0x4f7ffffe, v1
	s_delay_alu instid0(VALU_DEP_1) | instskip(NEXT) | instid1(VALU_DEP_1)
	v_cvt_u32_f32_e32 v1, v1
	v_readfirstlane_b32 s5, v1
	v_lshl_add_u32 v1, v50, 3, v49
	s_delay_alu instid0(VALU_DEP_2) | instskip(NEXT) | instid1(VALU_DEP_1)
	s_mul_i32 s4, s4, s5
	v_lshrrev_b32_e32 v8, 2, v1
	s_mul_hi_u32 s4, s5, s4
	s_delay_alu instid0(SALU_CYCLE_1) | instskip(NEXT) | instid1(SALU_CYCLE_1)
	s_add_i32 s5, s5, s4
	s_mul_hi_u32 s4, s14, s5
	s_delay_alu instid0(SALU_CYCLE_1) | instskip(SKIP_2) | instid1(SALU_CYCLE_1)
	s_mul_i32 s5, s4, s15
	s_add_i32 s17, s4, 1
	s_sub_i32 s5, s14, s5
	s_sub_i32 s18, s5, s15
	s_cmp_ge_u32 s5, s15
	s_cselect_b32 s4, s17, s4
	s_cselect_b32 s5, s18, s5
	s_add_i32 s17, s4, 1
	s_cmp_ge_u32 s5, s15
	s_cselect_b32 s5, s17, s4
	s_and_b32 vcc_lo, exec_lo, s3
	s_mul_i32 s4, s5, s15
	s_delay_alu instid0(SALU_CYCLE_1) | instskip(NEXT) | instid1(SALU_CYCLE_1)
	s_sub_i32 s4, s14, s4
	s_lshl_b32 s14, s4, 6
	s_delay_alu instid0(SALU_CYCLE_1)
	v_add_nc_u32_e32 v3, s14, v8
	s_cbranch_vccnz .LBB249_9
; %bb.8:
	s_delay_alu instid0(VALU_DEP_1) | instskip(NEXT) | instid1(VALU_DEP_1)
	v_mad_i64_i32 v[4:5], null, v3, s16, 0
	v_lshlrev_b64 v[4:5], 1, v[4:5]
	s_delay_alu instid0(VALU_DEP_1) | instskip(NEXT) | instid1(VALU_DEP_2)
	v_add_co_u32 v0, vcc_lo, s12, v4
	v_add_co_ci_u32_e32 v5, vcc_lo, s13, v5, vcc_lo
	s_delay_alu instid0(VALU_DEP_2) | instskip(NEXT) | instid1(VALU_DEP_2)
	v_add_co_u32 v4, vcc_lo, v0, v2
	v_add_co_ci_u32_e32 v5, vcc_lo, 0, v5, vcc_lo
	flat_load_u16 v0, v[4:5]
	s_waitcnt vmcnt(0) lgkmcnt(0)
	v_mul_f16_e32 v9, v48, v0
	s_branch .LBB249_10
.LBB249_9:
	v_mov_b32_e32 v9, 0
.LBB249_10:
	s_load_b32 s4, s[0:1], 0x38
	v_and_b32_e32 v5, 63, v1
	s_lshl_b32 s15, s5, 7
	v_lshrrev_b32_e32 v4, 6, v1
	s_and_b32 vcc_lo, exec_lo, s3
	s_delay_alu instid0(VALU_DEP_2) | instskip(NEXT) | instid1(VALU_DEP_1)
	v_or_b32_e32 v0, s15, v5
	v_ashrrev_i32_e32 v1, 31, v0
	s_waitcnt lgkmcnt(0)
	s_ashr_i32 s5, s4, 31
	s_cbranch_vccnz .LBB249_14
; %bb.11:
	v_mad_i64_i32 v[6:7], null, s4, v4, 0
	v_lshlrev_b64 v[10:11], 1, v[0:1]
	s_delay_alu instid0(VALU_DEP_2) | instskip(NEXT) | instid1(VALU_DEP_1)
	v_lshlrev_b64 v[6:7], 1, v[6:7]
	v_add_co_u32 v6, vcc_lo, s10, v6
	s_delay_alu instid0(VALU_DEP_2) | instskip(NEXT) | instid1(VALU_DEP_2)
	v_add_co_ci_u32_e32 v7, vcc_lo, s11, v7, vcc_lo
	v_add_co_u32 v6, vcc_lo, v6, v10
	s_delay_alu instid0(VALU_DEP_2)
	v_add_co_ci_u32_e32 v7, vcc_lo, v7, v11, vcc_lo
	s_clause 0x1
	flat_load_u16 v10, v[6:7]
	flat_load_u16 v6, v[6:7] offset:128
	s_waitcnt vmcnt(1) lgkmcnt(1)
	v_mul_f16_e32 v10, v48, v10
	s_waitcnt vmcnt(0) lgkmcnt(0)
	v_mul_f16_e32 v11, v48, v6
	s_and_b32 vcc_lo, exec_lo, s3
	s_cbranch_vccnz .LBB249_15
.LBB249_12:
	v_mad_i64_i32 v[6:7], null, v3, s16, 0
	s_delay_alu instid0(VALU_DEP_1) | instskip(NEXT) | instid1(VALU_DEP_1)
	v_lshlrev_b64 v[6:7], 1, v[6:7]
	v_add_co_u32 v6, vcc_lo, s12, v6
	s_delay_alu instid0(VALU_DEP_2) | instskip(NEXT) | instid1(VALU_DEP_2)
	v_add_co_ci_u32_e32 v7, vcc_lo, s13, v7, vcc_lo
	v_add_co_u32 v6, vcc_lo, v6, v2
	s_delay_alu instid0(VALU_DEP_2)
	v_add_co_ci_u32_e32 v7, vcc_lo, 0, v7, vcc_lo
	flat_load_u16 v6, v[6:7] offset:8
	s_waitcnt vmcnt(0) lgkmcnt(0)
	v_mul_f16_e32 v6, v48, v6
	s_and_b32 vcc_lo, exec_lo, s3
	s_cbranch_vccnz .LBB249_16
.LBB249_13:
	v_add_nc_u32_e32 v7, 4, v4
	v_lshlrev_b64 v[0:1], 1, v[0:1]
	s_delay_alu instid0(VALU_DEP_2) | instskip(NEXT) | instid1(VALU_DEP_1)
	v_mad_i64_i32 v[12:13], null, s4, v7, 0
	v_lshlrev_b64 v[12:13], 1, v[12:13]
	s_delay_alu instid0(VALU_DEP_1) | instskip(NEXT) | instid1(VALU_DEP_2)
	v_add_co_u32 v7, vcc_lo, s10, v12
	v_add_co_ci_u32_e32 v12, vcc_lo, s11, v13, vcc_lo
	s_delay_alu instid0(VALU_DEP_2) | instskip(NEXT) | instid1(VALU_DEP_2)
	v_add_co_u32 v0, vcc_lo, v7, v0
	v_add_co_ci_u32_e32 v1, vcc_lo, v12, v1, vcc_lo
	s_clause 0x1
	flat_load_u16 v7, v[0:1]
	flat_load_u16 v0, v[0:1] offset:128
	s_waitcnt vmcnt(1) lgkmcnt(1)
	v_mul_f16_e32 v1, v48, v7
	s_waitcnt vmcnt(0) lgkmcnt(0)
	v_mul_f16_e32 v7, v48, v0
	s_branch .LBB249_17
.LBB249_14:
	v_dual_mov_b32 v10, 0 :: v_dual_mov_b32 v11, 0
	s_and_b32 vcc_lo, exec_lo, s3
	s_cbranch_vccz .LBB249_12
.LBB249_15:
	v_mov_b32_e32 v6, 0
	s_and_b32 vcc_lo, exec_lo, s3
	s_cbranch_vccz .LBB249_13
.LBB249_16:
	v_mov_b32_e32 v1, 0
	v_mov_b32_e32 v7, 0
.LBB249_17:
	v_lshlrev_b32_e32 v0, 1, v4
	v_lshlrev_b32_e32 v51, 3, v49
	;; [unrolled: 1-line block ×3, first 2 shown]
	s_load_b64 s[6:7], s[6:7], 0x0
	s_load_b32 s17, s[0:1], 0x8
	v_lshl_add_u32 v61, v5, 3, v0
	v_lshl_or_b32 v0, v8, 3, v2
	v_add_nc_u32_e32 v28, 0x800, v51
	ds_store_b16 v61, v10
	ds_store_b16 v0, v9 offset:2048
	ds_store_b16 v61, v11 offset:512
	s_waitcnt lgkmcnt(0)
	s_barrier
	buffer_gl0_inv
	ds_load_2addr_b64 v[8:11], v52 offset1:32
	ds_load_2addr_b64 v[12:15], v28 offset0:48 offset1:56
	ds_load_2addr_b64 v[16:19], v52 offset0:64 offset1:96
	ds_load_2addr_b64 v[20:23], v28 offset1:8
	ds_load_2addr_b64 v[24:27], v28 offset0:16 offset1:24
	s_cmp_lt_i32 s17, 9
	s_waitcnt lgkmcnt(4)
	v_pk_max_f16 v8, v8, v8
	s_waitcnt lgkmcnt(3)
	v_pk_max_f16 v14, v14, v14
	v_pk_max_f16 v10, v10, v10
	s_waitcnt lgkmcnt(2)
	v_pk_max_f16 v16, v16, v16
	s_waitcnt lgkmcnt(1)
	v_pk_max_f16 v20, v20, v20
	v_pk_max_f16 v22, v22, v22
	s_waitcnt lgkmcnt(0)
	v_pk_max_f16 v24, v24, v24
	v_pk_min_f16 v31, v14, v10
	v_pk_min_f16 v32, v14, v16
	;; [unrolled: 1-line block ×5, first 2 shown]
	v_pk_add_f16 v37, v31, 0
	v_pk_add_f16 v38, v32, 0
	;; [unrolled: 1-line block ×4, first 2 shown]
	ds_load_2addr_b64 v[31:34], v28 offset0:32 offset1:40
	v_pk_add_f16 v42, v39, 0
	v_pk_min_f16 v39, v24, v8
	v_pk_max_f16 v26, v26, v26
	v_pk_max_f16 v18, v18, v18
	v_pk_min_f16 v29, v14, v8
	v_pk_max_f16 v12, v12, v12
	v_pk_add_f16 v53, v39, 0
	v_pk_min_f16 v39, v26, v8
	v_pk_min_f16 v45, v26, v10
	;; [unrolled: 1-line block ×3, first 2 shown]
	v_pk_max_f16 v9, v9, v9
	v_pk_max_f16 v15, v15, v15
	v_pk_add_f16 v54, v39, 0
	v_pk_add_f16 v55, v45, 0
	v_pk_min_f16 v35, v20, v16
	v_pk_min_f16 v20, v20, v18
	;; [unrolled: 1-line block ×3, first 2 shown]
	v_pk_add_f16 v29, v29, 0
	v_pk_min_f16 v28, v22, v10
	s_waitcnt lgkmcnt(0)
	v_pk_max_f16 v31, v31, v31
	v_pk_max_f16 v33, v33, v33
	v_pk_min_f16 v22, v22, v18
	v_pk_min_f16 v43, v24, v10
	;; [unrolled: 1-line block ×7, first 2 shown]
	v_pk_add_f16 v62, v46, 0
	v_pk_add_f16 v63, v39, 0
	v_pk_min_f16 v39, v31, v16
	v_pk_min_f16 v31, v31, v18
	v_pk_add_f16 v69, v45, 0
	v_pk_min_f16 v45, v33, v8
	v_pk_min_f16 v46, v33, v10
	;; [unrolled: 3-line block ×3, first 2 shown]
	v_pk_min_f16 v8, v12, v8
	v_pk_min_f16 v10, v12, v10
	;; [unrolled: 1-line block ×4, first 2 shown]
	v_pk_max_f16 v11, v11, v11
	v_pk_min_f16 v14, v14, v18
	v_pk_min_f16 v18, v15, v9
	v_pk_add_f16 v74, v33, 0
	v_pk_max_f16 v17, v17, v17
	v_pk_min_f16 v33, v15, v11
	v_pk_max_f16 v21, v21, v21
	v_pk_add_f16 v60, v18, v29
	v_pk_max_f16 v18, v19, v19
	v_pk_add_f16 v20, v20, 0
	v_pk_add_f16 v73, v39, 0
	v_pk_min_f16 v39, v15, v17
	v_pk_add_f16 v47, v33, v37
	v_pk_min_f16 v19, v21, v9
	v_pk_min_f16 v29, v21, v11
	;; [unrolled: 1-line block ×4, first 2 shown]
	v_pk_max_f16 v23, v23, v23
	v_pk_add_f16 v36, v36, 0
	v_pk_add_f16 v28, v28, 0
	;; [unrolled: 1-line block ×6, first 2 shown]
	v_pk_min_f16 v19, v23, v9
	v_pk_min_f16 v20, v23, v11
	;; [unrolled: 1-line block ×4, first 2 shown]
	v_pk_max_f16 v25, v25, v25
	v_pk_add_f16 v43, v43, 0
	v_pk_add_f16 v44, v44, 0
	;; [unrolled: 1-line block ×8, first 2 shown]
	v_pk_min_f16 v19, v25, v9
	v_pk_min_f16 v20, v25, v11
	;; [unrolled: 1-line block ×4, first 2 shown]
	v_pk_max_f16 v23, v27, v27
	v_pk_add_f16 v35, v35, 0
	v_pk_add_f16 v26, v26, 0
	;; [unrolled: 1-line block ×6, first 2 shown]
	v_pk_min_f16 v19, v23, v9
	v_pk_min_f16 v20, v23, v11
	v_pk_min_f16 v21, v23, v17
	v_pk_min_f16 v22, v23, v18
	v_pk_max_f16 v23, v32, v32
	v_pk_add_f16 v31, v31, 0
	v_pk_add_f16 v72, v46, 0
	;; [unrolled: 1-line block ×7, first 2 shown]
	v_pk_min_f16 v19, v23, v9
	v_pk_min_f16 v20, v23, v11
	;; [unrolled: 1-line block ×4, first 2 shown]
	v_pk_max_f16 v23, v34, v34
	v_pk_max_f16 v13, v13, v13
	v_pk_add_f16 v8, v8, 0
	v_pk_add_f16 v10, v10, 0
	v_pk_add_f16 v16, v16, 0
	v_pk_add_f16 v12, v12, 0
	v_pk_add_f16 v14, v14, 0
	v_pk_add_f16 v64, v19, v63
	v_pk_add_f16 v55, v20, v69
	v_pk_add_f16 v42, v21, v70
	v_pk_add_f16 v33, v22, v31
	v_pk_min_f16 v19, v23, v9
	v_pk_min_f16 v20, v23, v11
	;; [unrolled: 1-line block ×9, first 2 shown]
	v_pk_add_f16 v59, v29, v41
	v_pk_add_f16 v63, v19, v71
	v_pk_add_f16 v54, v20, v72
	v_pk_add_f16 v41, v21, v73
	v_pk_add_f16 v32, v22, v74
	v_pk_add_f16 v62, v9, v8
	v_pk_add_f16 v53, v11, v10
	v_pk_add_f16 v40, v17, v16
	v_pk_add_f16 v34, v13, v12
	v_pk_add_f16 v31, v15, v14
	ds_store_b16 v61, v1 offset:1024
	ds_store_b16 v0, v6 offset:2560
	;; [unrolled: 1-line block ×3, first 2 shown]
	s_waitcnt lgkmcnt(0)
	s_barrier
	buffer_gl0_inv
	s_cbranch_scc1 .LBB249_31
; %bb.18:
	v_mad_i64_i32 v[7:8], null, s16, v3, 0
	v_add_nc_u32_e32 v5, s15, v5
	v_add_nc_u32_e32 v1, 12, v4
	;; [unrolled: 1-line block ×5, first 2 shown]
	v_ashrrev_i32_e32 v6, 31, v5
	v_mad_i64_i32 v[9:10], null, v1, s4, 0
	v_lshlrev_b64 v[0:1], 1, v[7:8]
	v_add_nc_u32_e32 v70, 0x800, v51
	s_delay_alu instid0(VALU_DEP_4)
	v_lshlrev_b64 v[5:6], 1, v[5:6]
	v_or_b32_e32 v72, 0x400, v61
	v_lshl_add_u32 v73, v49, 3, 0xa00
	v_lshl_add_u32 v74, v50, 3, 0x400
	v_add_co_u32 v2, vcc_lo, v0, v2
	v_add_co_ci_u32_e32 v4, vcc_lo, 0, v1, vcc_lo
	v_add_co_u32 v75, vcc_lo, s10, v5
	v_mad_i64_i32 v[0:1], null, v3, s4, 0
	v_add_co_ci_u32_e32 v76, vcc_lo, s11, v6, vcc_lo
	v_add_co_u32 v2, vcc_lo, v2, s12
	v_add_co_ci_u32_e32 v3, vcc_lo, s13, v4, vcc_lo
	v_lshlrev_b64 v[24:25], 1, v[9:10]
	s_delay_alu instid0(VALU_DEP_3) | instskip(SKIP_1) | instid1(VALU_DEP_4)
	v_add_co_u32 v28, vcc_lo, v2, 16
	v_lshlrev_b64 v[26:27], 1, v[0:1]
	v_add_co_ci_u32_e32 v29, vcc_lo, 0, v3, vcc_lo
	s_add_i32 s10, s17, -8
	s_lshl_b64 s[4:5], s[4:5], 4
	s_mov_b32 s11, 0
	s_branch .LBB249_21
.LBB249_19:                             ;   in Loop: Header=BB249_21 Depth=1
	v_add_co_u32 v0, vcc_lo, v75, v24
	v_add_co_ci_u32_e32 v1, vcc_lo, v76, v25, vcc_lo
	s_clause 0x1
	flat_load_u16 v120, v[0:1]
	flat_load_u16 v1, v[0:1] offset:128
	s_waitcnt vmcnt(1) lgkmcnt(1)
	v_mul_f16_e32 v0, v48, v120
	s_waitcnt vmcnt(0) lgkmcnt(0)
	v_mul_f16_e32 v1, v48, v1
.LBB249_20:                             ;   in Loop: Header=BB249_21 Depth=1
	v_pk_add_f16 v16, v16, v39
	v_pk_add_f16 v22, v22, v38
	;; [unrolled: 1-line block ×30, first 2 shown]
	ds_load_2addr_b64 v[31:34], v70 offset0:48 offset1:56
	ds_load_2addr_b64 v[35:38], v52 offset1:32
	ds_load_2addr_b64 v[39:42], v52 offset0:64 offset1:96
	v_pk_add_f16 v81, v117, v45
	v_pk_add_f16 v82, v119, v44
	;; [unrolled: 1-line block ×4, first 2 shown]
	ds_load_2addr_b64 v[43:46], v70 offset1:8
	v_pk_add_f16 v8, v8, v67
	v_pk_add_f16 v54, v92, v54
	;; [unrolled: 1-line block ×12, first 2 shown]
	s_waitcnt lgkmcnt(3)
	v_pk_max_f16 v33, v33, v33
	s_waitcnt lgkmcnt(2)
	v_pk_max_f16 v35, v35, v35
	v_pk_max_f16 v37, v37, v37
	s_waitcnt lgkmcnt(1)
	v_pk_max_f16 v39, v39, v39
	v_pk_add_f16 v15, v15, v54
	v_pk_add_f16 v54, v7, v65
	;; [unrolled: 1-line block ×3, first 2 shown]
	v_pk_min_f16 v6, v33, v35
	v_pk_min_f16 v7, v33, v37
	;; [unrolled: 1-line block ×3, first 2 shown]
	ds_load_2addr_b64 v[2:5], v70 offset0:16 offset1:24
	s_waitcnt lgkmcnt(1)
	v_pk_max_f16 v9, v43, v43
	v_pk_max_f16 v41, v41, v41
	v_pk_add_f16 v14, v109, v14
	v_pk_add_f16 v18, v110, v18
	;; [unrolled: 1-line block ×7, first 2 shown]
	v_pk_min_f16 v6, v9, v35
	v_pk_min_f16 v7, v9, v37
	;; [unrolled: 1-line block ×4, first 2 shown]
	v_pk_add_f16 v62, v95, v62
	v_pk_add_f16 v14, v6, v14
	;; [unrolled: 1-line block ×5, first 2 shown]
	ds_load_2addr_b64 v[6:9], v70 offset0:32 offset1:40
	v_pk_max_f16 v45, v45, v45
	v_pk_add_f16 v17, v17, v60
	v_pk_add_f16 v19, v19, v63
	;; [unrolled: 1-line block ×3, first 2 shown]
	s_waitcnt lgkmcnt(1)
	v_pk_max_f16 v2, v2, v2
	v_pk_min_f16 v60, v45, v35
	v_pk_min_f16 v62, v45, v37
	;; [unrolled: 1-line block ×4, first 2 shown]
	v_pk_max_f16 v4, v4, v4
	v_pk_add_f16 v53, v96, v53
	v_pk_add_f16 v47, v100, v47
	;; [unrolled: 1-line block ×4, first 2 shown]
	v_pk_min_f16 v45, v2, v35
	v_pk_add_f16 v10, v118, v10
	v_pk_add_f16 v57, v103, v57
	;; [unrolled: 1-line block ×5, first 2 shown]
	v_pk_min_f16 v45, v4, v37
	s_waitcnt lgkmcnt(0)
	v_pk_max_f16 v6, v6, v6
	v_pk_add_f16 v64, v60, v68
	v_pk_min_f16 v60, v2, v37
	v_pk_min_f16 v66, v2, v39
	v_pk_min_f16 v2, v2, v41
	v_pk_add_f16 v80, v45, v47
	v_pk_min_f16 v45, v6, v35
	v_pk_add_f16 v56, v102, v56
	v_pk_add_f16 v63, v63, v79
	v_pk_add_f16 v10, v60, v10
	v_pk_add_f16 v79, v66, v82
	v_pk_add_f16 v2, v2, v11
	v_pk_min_f16 v11, v4, v35
	v_pk_min_f16 v60, v4, v39
	;; [unrolled: 1-line block ×4, first 2 shown]
	v_pk_max_f16 v8, v8, v8
	v_pk_add_f16 v82, v45, v57
	v_pk_min_f16 v45, v6, v39
	v_pk_max_f16 v31, v31, v31
	v_pk_add_f16 v11, v11, v83
	v_pk_add_f16 v81, v60, v84
	;; [unrolled: 1-line block ×4, first 2 shown]
	v_pk_min_f16 v47, v8, v35
	v_pk_min_f16 v56, v8, v37
	v_pk_add_f16 v84, v45, v55
	v_pk_min_f16 v45, v8, v39
	v_pk_min_f16 v8, v8, v41
	;; [unrolled: 1-line block ×5, first 2 shown]
	v_pk_max_f16 v34, v34, v34
	v_pk_max_f16 v85, v38, v38
	v_pk_add_f16 v8, v8, v19
	v_pk_add_f16 v19, v35, v21
	;; [unrolled: 1-line block ×4, first 2 shown]
	v_pk_max_f16 v53, v36, v36
	v_pk_min_f16 v33, v33, v41
	v_pk_max_f16 v40, v40, v40
	v_pk_min_f16 v36, v34, v85
	v_pk_add_f16 v13, v47, v13
	v_pk_min_f16 v35, v34, v53
	v_pk_add_f16 v86, v33, v59
	v_pk_min_f16 v33, v34, v40
	v_pk_max_f16 v37, v44, v44
	v_pk_add_f16 v47, v36, v12
	v_pk_max_f16 v12, v42, v42
	v_pk_add_f16 v60, v35, v43
	v_pk_add_f16 v39, v33, v16
	v_pk_min_f16 v16, v37, v53
	v_pk_min_f16 v33, v37, v85
	;; [unrolled: 1-line block ×4, first 2 shown]
	v_pk_max_f16 v37, v46, v46
	v_pk_min_f16 v6, v6, v41
	v_pk_add_f16 v68, v16, v14
	v_pk_add_f16 v59, v33, v18
	v_pk_max_f16 v3, v3, v3
	v_pk_min_f16 v14, v37, v53
	v_pk_min_f16 v16, v37, v85
	;; [unrolled: 1-line block ×3, first 2 shown]
	v_pk_add_f16 v6, v6, v58
	v_pk_add_f16 v17, v45, v17
	;; [unrolled: 1-line block ×5, first 2 shown]
	v_pk_min_f16 v14, v3, v53
	v_pk_min_f16 v16, v3, v85
	;; [unrolled: 1-line block ×4, first 2 shown]
	v_pk_max_f16 v5, v5, v5
	v_pk_add_f16 v46, v35, v20
	v_pk_add_f16 v38, v36, v22
	v_pk_min_f16 v20, v37, v12
	v_pk_add_f16 v57, v16, v10
	v_pk_add_f16 v36, v3, v2
	v_pk_min_f16 v2, v5, v53
	v_pk_min_f16 v3, v5, v85
	;; [unrolled: 1-line block ×4, first 2 shown]
	v_pk_max_f16 v7, v7, v7
	v_pk_add_f16 v15, v56, v15
	v_pk_add_f16 v37, v20, v65
	;; [unrolled: 1-line block ×5, first 2 shown]
	v_pk_min_f16 v2, v7, v53
	v_pk_min_f16 v3, v7, v85
	v_pk_min_f16 v4, v7, v40
	v_pk_min_f16 v5, v7, v12
	v_pk_max_f16 v7, v9, v9
	v_pk_min_f16 v31, v31, v41
	v_pk_add_f16 v64, v2, v82
	v_pk_add_f16 v55, v3, v83
	;; [unrolled: 1-line block ×4, first 2 shown]
	v_pk_min_f16 v2, v7, v53
	v_pk_min_f16 v3, v7, v85
	;; [unrolled: 1-line block ×4, first 2 shown]
	v_pk_max_f16 v6, v32, v32
	v_pk_add_f16 v31, v31, v54
	v_pk_add_f16 v63, v2, v13
	;; [unrolled: 1-line block ×5, first 2 shown]
	v_pk_min_f16 v2, v6, v53
	v_pk_min_f16 v3, v6, v85
	;; [unrolled: 1-line block ×5, first 2 shown]
	v_add_co_u32 v75, vcc_lo, v75, s4
	v_add_co_ci_u32_e32 v76, vcc_lo, s5, v76, vcc_lo
	v_add_co_u32 v28, vcc_lo, v28, 16
	v_pk_add_f16 v66, v14, v78
	v_pk_add_f16 v44, v18, v79
	;; [unrolled: 1-line block ×8, first 2 shown]
	v_add_co_ci_u32_e32 v29, vcc_lo, 0, v29, vcc_lo
	s_add_i32 s11, s11, 8
	ds_store_b16 v71, v77
	ds_store_b16 v72, v0
	ds_store_b16 v72, v1 offset:512
	s_cmp_ge_i32 s11, s10
	s_waitcnt lgkmcnt(0)
	s_barrier
	buffer_gl0_inv
	s_cbranch_scc1 .LBB249_31
.LBB249_21:                             ; =>This Inner Loop Header: Depth=1
	v_mov_b32_e32 v77, 0
	s_and_b32 vcc_lo, exec_lo, s3
	s_cbranch_vccnz .LBB249_23
; %bb.22:                               ;   in Loop: Header=BB249_21 Depth=1
	flat_load_u16 v0, v[28:29]
	s_waitcnt vmcnt(0) lgkmcnt(0)
	v_mul_f16_e32 v77, v48, v0
.LBB249_23:                             ;   in Loop: Header=BB249_21 Depth=1
	s_and_b32 vcc_lo, exec_lo, s3
	s_cbranch_vccnz .LBB249_25
; %bb.24:                               ;   in Loop: Header=BB249_21 Depth=1
	v_add_co_u32 v0, vcc_lo, v75, v26
	v_add_co_ci_u32_e32 v1, vcc_lo, v76, v27, vcc_lo
	s_clause 0x1
	flat_load_u16 v2, v[0:1]
	flat_load_u16 v0, v[0:1] offset:128
	s_waitcnt vmcnt(1) lgkmcnt(1)
	v_mul_f16_e32 v78, v48, v2
	s_waitcnt vmcnt(0) lgkmcnt(0)
	v_mul_f16_e32 v79, v48, v0
	s_branch .LBB249_26
.LBB249_25:                             ;   in Loop: Header=BB249_21 Depth=1
	v_dual_mov_b32 v78, 0 :: v_dual_mov_b32 v79, 0
.LBB249_26:                             ;   in Loop: Header=BB249_21 Depth=1
	ds_load_2addr_b64 v[0:3], v73 offset0:48 offset1:56
	ds_load_2addr_b64 v[12:15], v74 offset0:64 offset1:96
	ds_load_2addr_b64 v[20:23], v74 offset1:32
	ds_load_2addr_b64 v[16:19], v73 offset1:8
	ds_load_2addr_b64 v[8:11], v73 offset0:16 offset1:24
	ds_load_2addr_b64 v[4:7], v73 offset0:32 offset1:40
	s_and_b32 vcc_lo, exec_lo, s3
	ds_store_b16 v69, v77
	ds_store_b16 v61, v78
	ds_store_b16 v61, v79 offset:512
	s_waitcnt lgkmcnt(0)
	s_barrier
	buffer_gl0_inv
	s_cbranch_vccnz .LBB249_28
; %bb.27:                               ;   in Loop: Header=BB249_21 Depth=1
	flat_load_u16 v77, v[28:29] offset:8
	s_waitcnt vmcnt(0) lgkmcnt(0)
	v_mul_f16_e32 v77, v48, v77
	s_branch .LBB249_29
.LBB249_28:                             ;   in Loop: Header=BB249_21 Depth=1
	v_mov_b32_e32 v77, 0
.LBB249_29:                             ;   in Loop: Header=BB249_21 Depth=1
	v_pk_max_f16 v90, v2, v2
	v_pk_max_f16 v95, v20, v20
	;; [unrolled: 1-line block ×12, first 2 shown]
	v_pk_min_f16 v2, v90, v95
	v_pk_min_f16 v12, v90, v96
	;; [unrolled: 1-line block ×25, first 2 shown]
	v_pk_max_f16 v0, v3, v3
	v_pk_max_f16 v21, v21, v21
	;; [unrolled: 1-line block ×9, first 2 shown]
	v_pk_min_f16 v109, v3, v21
	v_pk_min_f16 v110, v3, v23
	;; [unrolled: 1-line block ×4, first 2 shown]
	v_pk_max_f16 v3, v9, v9
	v_pk_max_f16 v9, v11, v11
	;; [unrolled: 1-line block ×3, first 2 shown]
	v_pk_min_f16 v22, v22, v99
	v_pk_min_f16 v80, v80, v99
	;; [unrolled: 1-line block ×35, first 2 shown]
	s_and_b32 vcc_lo, exec_lo, s3
	s_cbranch_vccz .LBB249_19
; %bb.30:                               ;   in Loop: Header=BB249_21 Depth=1
	v_dual_mov_b32 v0, 0 :: v_dual_mov_b32 v1, 0
	s_branch .LBB249_20
.LBB249_31:
	s_load_b32 s5, s[0:1], 0x58
	v_dual_mov_b32 v48, 0 :: v_dual_add_nc_u32 v25, s15, v50
	ds_load_b64 v[0:1], v52 offset:1024
	ds_load_b64 v[2:3], v51 offset:2560
	v_add_nc_u32_e32 v22, s14, v49
	v_cmp_neq_f16_e64 s3, 0, v30
	v_mov_b32_e32 v20, 0
	s_delay_alu instid0(VALU_DEP_3) | instskip(NEXT) | instid1(VALU_DEP_3)
	v_ashrrev_i32_e32 v23, 31, v22
	s_and_b32 vcc_lo, exec_lo, s3
	s_delay_alu instid0(VALU_DEP_1) | instskip(SKIP_2) | instid1(VALU_DEP_1)
	v_lshlrev_b64 v[16:17], 1, v[22:23]
	s_waitcnt lgkmcnt(0)
	v_mad_i64_i32 v[4:5], null, v25, s5, 0
	v_lshlrev_b64 v[4:5], 1, v[4:5]
	s_delay_alu instid0(VALU_DEP_1) | instskip(NEXT) | instid1(VALU_DEP_1)
	v_add_co_u32 v69, s4, s8, v4
	v_add_co_ci_u32_e64 v70, s4, s9, v5, s4
	s_cbranch_vccz .LBB249_33
; %bb.32:
	s_delay_alu instid0(VALU_DEP_2) | instskip(NEXT) | instid1(VALU_DEP_2)
	v_add_co_u32 v4, vcc_lo, v69, v16
	v_add_co_ci_u32_e32 v5, vcc_lo, v70, v17, vcc_lo
	flat_load_u16 v4, v[4:5]
	s_waitcnt vmcnt(0) lgkmcnt(0)
	v_mul_f16_e32 v20, v30, v4
.LBB249_33:
	s_clause 0x1
	s_load_b32 s4, s[0:1], 0x70
	s_load_b64 s[0:1], s[0:1], 0x78
	v_pk_max_f16 v72, v0, v0
	v_pk_max_f16 v26, v2, v2
	;; [unrolled: 1-line block ×4, first 2 shown]
	v_add_nc_u32_e32 v5, 0x800, v51
	ds_load_b64 v[23:24], v51 offset:3008
	ds_load_b64 v[18:19], v52 offset:1792
	v_pk_min_f16 v4, v26, v72
	ds_load_2addr_b64 v[0:3], v52 offset0:160 offset1:192
	v_pk_min_f16 v6, v27, v71
	ds_load_2addr_b64 v[12:15], v5 offset0:72 offset1:80
	v_add_nc_u32_e32 v28, 8, v22
	v_pk_add_f16 v4, v4, v68
	v_cndmask_b32_e64 v21, 0, 1, s3
	s_delay_alu instid0(VALU_DEP_3) | instskip(NEXT) | instid1(VALU_DEP_3)
	v_ashrrev_i32_e32 v29, 31, v28
	v_pk_add_f16 v51, v6, v4
	ds_load_2addr_b64 v[8:11], v5 offset0:88 offset1:96
	ds_load_2addr_b64 v[4:7], v5 offset0:104 offset1:112
	s_waitcnt lgkmcnt(0)
	v_mad_i64_i32 v[49:50], null, v25, s4, 0
	s_lshl_b64 s[10:11], s[0:1], 1
	v_lshrrev_b32_e32 v52, 16, v51
	s_add_u32 s1, s6, s10
	s_addc_u32 s6, s7, s11
	v_cmp_ne_u32_e64 s0, 1, v21
	s_delay_alu instid0(VALU_DEP_2) | instskip(NEXT) | instid1(VALU_DEP_4)
	v_add_f16_e32 v21, v51, v52
	v_lshlrev_b64 v[49:50], 1, v[49:50]
	s_delay_alu instid0(VALU_DEP_2) | instskip(SKIP_1) | instid1(VALU_DEP_3)
	v_add_f16_e32 v51, v21, v20
	v_lshlrev_b64 v[20:21], 1, v[28:29]
	v_add_co_u32 v68, vcc_lo, s1, v49
	s_delay_alu instid0(VALU_DEP_4) | instskip(NEXT) | instid1(VALU_DEP_2)
	v_add_co_ci_u32_e32 v73, vcc_lo, s6, v50, vcc_lo
	v_add_co_u32 v49, vcc_lo, v68, v16
	s_delay_alu instid0(VALU_DEP_2)
	v_add_co_ci_u32_e32 v50, vcc_lo, v73, v17, vcc_lo
	s_and_not1_b32 vcc_lo, exec_lo, s3
	global_store_b16 v[49:50], v51, off
	s_cbranch_vccnz .LBB249_35
; %bb.34:
	v_add_co_u32 v28, vcc_lo, v69, v20
	v_add_co_ci_u32_e32 v29, vcc_lo, v70, v21, vcc_lo
	flat_load_u16 v28, v[28:29]
	s_waitcnt vmcnt(0) lgkmcnt(0)
	v_mul_f16_e32 v48, v30, v28
.LBB249_35:
	v_pk_max_f16 v28, v12, v12
	v_pk_max_f16 v29, v13, v13
	v_add_co_u32 v74, vcc_lo, v68, v20
	v_add_co_ci_u32_e32 v75, vcc_lo, v73, v21, vcc_lo
	s_delay_alu instid0(VALU_DEP_4) | instskip(NEXT) | instid1(VALU_DEP_4)
	v_pk_min_f16 v12, v28, v72
	v_pk_min_f16 v13, v29, v71
	v_mov_b32_e32 v52, 0
	s_and_b32 vcc_lo, exec_lo, s0
	s_delay_alu instid0(VALU_DEP_3) | instskip(NEXT) | instid1(VALU_DEP_1)
	v_pk_add_f16 v12, v12, v67
	v_pk_add_f16 v49, v13, v12
	v_add_nc_u32_e32 v12, 16, v22
	s_delay_alu instid0(VALU_DEP_2) | instskip(NEXT) | instid1(VALU_DEP_2)
	v_lshrrev_b32_e32 v50, 16, v49
	v_ashrrev_i32_e32 v13, 31, v12
	s_delay_alu instid0(VALU_DEP_2) | instskip(NEXT) | instid1(VALU_DEP_2)
	v_add_f16_e32 v49, v49, v50
	v_lshlrev_b64 v[12:13], 1, v[12:13]
	v_mov_b32_e32 v50, 0
	s_delay_alu instid0(VALU_DEP_3)
	v_add_f16_e32 v48, v49, v48
	global_store_b16 v[74:75], v48, off
	s_cbranch_vccnz .LBB249_37
; %bb.36:
	v_add_co_u32 v48, vcc_lo, v69, v12
	v_add_co_ci_u32_e32 v49, vcc_lo, v70, v13, vcc_lo
	flat_load_u16 v48, v[48:49]
	s_waitcnt vmcnt(0) lgkmcnt(0)
	v_mul_f16_e32 v50, v30, v48
.LBB249_37:
	v_pk_max_f16 v48, v14, v14
	v_pk_max_f16 v49, v15, v15
	s_delay_alu instid0(VALU_DEP_2) | instskip(NEXT) | instid1(VALU_DEP_2)
	v_pk_min_f16 v14, v48, v72
	v_pk_min_f16 v15, v49, v71
	s_delay_alu instid0(VALU_DEP_2) | instskip(SKIP_2) | instid1(VALU_DEP_3)
	v_pk_add_f16 v14, v14, v66
	v_add_co_u32 v66, vcc_lo, v68, v12
	v_add_co_ci_u32_e32 v67, vcc_lo, v73, v13, vcc_lo
	v_pk_add_f16 v51, v15, v14
	v_add_nc_u32_e32 v14, 24, v22
	s_and_b32 vcc_lo, exec_lo, s0
	s_delay_alu instid0(VALU_DEP_2) | instskip(NEXT) | instid1(VALU_DEP_2)
	v_lshrrev_b32_e32 v61, 16, v51
	v_ashrrev_i32_e32 v15, 31, v14
	s_delay_alu instid0(VALU_DEP_2) | instskip(NEXT) | instid1(VALU_DEP_2)
	v_add_f16_e32 v51, v51, v61
	v_lshlrev_b64 v[14:15], 1, v[14:15]
	s_delay_alu instid0(VALU_DEP_2)
	v_add_f16_e32 v50, v51, v50
	global_store_b16 v[66:67], v50, off
	s_cbranch_vccnz .LBB249_39
; %bb.38:
	v_add_co_u32 v50, vcc_lo, v69, v14
	v_add_co_ci_u32_e32 v51, vcc_lo, v70, v15, vcc_lo
	flat_load_u16 v50, v[50:51]
	s_waitcnt vmcnt(0) lgkmcnt(0)
	v_mul_f16_e32 v52, v30, v50
.LBB249_39:
	v_pk_max_f16 v50, v8, v8
	v_pk_max_f16 v51, v9, v9
	v_add_co_u32 v74, vcc_lo, v68, v14
	v_add_co_ci_u32_e32 v75, vcc_lo, v73, v15, vcc_lo
	s_delay_alu instid0(VALU_DEP_4) | instskip(NEXT) | instid1(VALU_DEP_4)
	v_pk_min_f16 v8, v50, v72
	v_pk_min_f16 v9, v51, v71
	v_mov_b32_e32 v66, 0
	s_and_b32 vcc_lo, exec_lo, s0
	s_delay_alu instid0(VALU_DEP_3) | instskip(NEXT) | instid1(VALU_DEP_1)
	v_pk_add_f16 v8, v8, v65
	v_pk_add_f16 v61, v9, v8
	v_add_nc_u32_e32 v8, 32, v22
	s_delay_alu instid0(VALU_DEP_2) | instskip(NEXT) | instid1(VALU_DEP_1)
	v_lshrrev_b32_e32 v65, 16, v61
	v_add_f16_e32 v61, v61, v65
	v_mov_b32_e32 v65, 0
	s_delay_alu instid0(VALU_DEP_4) | instskip(NEXT) | instid1(VALU_DEP_3)
	v_ashrrev_i32_e32 v9, 31, v8
	v_add_f16_e32 v52, v61, v52
	s_delay_alu instid0(VALU_DEP_2)
	v_lshlrev_b64 v[8:9], 1, v[8:9]
	global_store_b16 v[74:75], v52, off
	s_cbranch_vccnz .LBB249_41
; %bb.40:
	v_add_co_u32 v74, vcc_lo, v69, v8
	v_add_co_ci_u32_e32 v75, vcc_lo, v70, v9, vcc_lo
	flat_load_u16 v52, v[74:75]
	s_waitcnt vmcnt(0) lgkmcnt(0)
	v_mul_f16_e32 v65, v30, v52
.LBB249_41:
	v_pk_max_f16 v52, v10, v10
	v_pk_max_f16 v61, v11, v11
	v_add_co_u32 v74, vcc_lo, v68, v8
	v_add_co_ci_u32_e32 v75, vcc_lo, v73, v9, vcc_lo
	s_delay_alu instid0(VALU_DEP_4) | instskip(NEXT) | instid1(VALU_DEP_4)
	v_pk_min_f16 v10, v52, v72
	v_pk_min_f16 v11, v61, v71
	s_and_b32 vcc_lo, exec_lo, s0
	s_delay_alu instid0(VALU_DEP_2) | instskip(NEXT) | instid1(VALU_DEP_1)
	v_pk_add_f16 v10, v10, v64
	v_pk_add_f16 v64, v11, v10
	v_add_nc_u32_e32 v10, 40, v22
	s_delay_alu instid0(VALU_DEP_2) | instskip(NEXT) | instid1(VALU_DEP_2)
	v_lshrrev_b32_e32 v67, 16, v64
	v_ashrrev_i32_e32 v11, 31, v10
	s_delay_alu instid0(VALU_DEP_2) | instskip(NEXT) | instid1(VALU_DEP_2)
	v_add_f16_e32 v64, v64, v67
	v_lshlrev_b64 v[10:11], 1, v[10:11]
	s_delay_alu instid0(VALU_DEP_2)
	v_add_f16_e32 v64, v64, v65
	global_store_b16 v[74:75], v64, off
	s_cbranch_vccnz .LBB249_43
; %bb.42:
	v_add_co_u32 v64, vcc_lo, v69, v10
	v_add_co_ci_u32_e32 v65, vcc_lo, v70, v11, vcc_lo
	flat_load_u16 v64, v[64:65]
	s_waitcnt vmcnt(0) lgkmcnt(0)
	v_mul_f16_e32 v66, v30, v64
.LBB249_43:
	v_pk_max_f16 v64, v4, v4
	v_pk_max_f16 v65, v5, v5
	v_add_co_u32 v75, vcc_lo, v68, v10
	v_add_co_ci_u32_e32 v76, vcc_lo, v73, v11, vcc_lo
	s_delay_alu instid0(VALU_DEP_4) | instskip(NEXT) | instid1(VALU_DEP_4)
	v_pk_min_f16 v4, v64, v72
	v_pk_min_f16 v5, v65, v71
	v_mov_b32_e32 v74, 0
	s_and_b32 vcc_lo, exec_lo, s0
	s_delay_alu instid0(VALU_DEP_3) | instskip(NEXT) | instid1(VALU_DEP_1)
	v_pk_add_f16 v4, v4, v63
	v_pk_add_f16 v63, v5, v4
	v_add_nc_u32_e32 v4, 48, v22
	s_delay_alu instid0(VALU_DEP_2) | instskip(NEXT) | instid1(VALU_DEP_1)
	v_lshrrev_b32_e32 v67, 16, v63
	v_add_f16_e32 v63, v63, v67
	v_mov_b32_e32 v67, 0
	s_delay_alu instid0(VALU_DEP_4) | instskip(NEXT) | instid1(VALU_DEP_3)
	v_ashrrev_i32_e32 v5, 31, v4
	v_add_f16_e32 v63, v63, v66
	s_delay_alu instid0(VALU_DEP_2)
	v_lshlrev_b64 v[4:5], 1, v[4:5]
	global_store_b16 v[75:76], v63, off
	s_cbranch_vccnz .LBB249_45
; %bb.44:
	v_add_co_u32 v74, vcc_lo, v69, v4
	v_add_co_ci_u32_e32 v75, vcc_lo, v70, v5, vcc_lo
	flat_load_u16 v63, v[74:75]
	s_waitcnt vmcnt(0) lgkmcnt(0)
	v_mul_f16_e32 v74, v30, v63
.LBB249_45:
	v_pk_max_f16 v63, v6, v6
	v_pk_max_f16 v66, v7, v7
	v_add_co_u32 v75, vcc_lo, v68, v4
	v_add_co_ci_u32_e32 v76, vcc_lo, v73, v5, vcc_lo
	s_delay_alu instid0(VALU_DEP_4) | instskip(NEXT) | instid1(VALU_DEP_4)
	v_pk_min_f16 v6, v63, v72
	v_pk_min_f16 v7, v66, v71
	s_and_b32 vcc_lo, exec_lo, s0
	s_delay_alu instid0(VALU_DEP_2) | instskip(NEXT) | instid1(VALU_DEP_1)
	v_pk_add_f16 v6, v6, v62
	v_pk_add_f16 v62, v7, v6
	v_add_nc_u32_e32 v6, 56, v22
	s_delay_alu instid0(VALU_DEP_2) | instskip(NEXT) | instid1(VALU_DEP_2)
	v_lshrrev_b32_e32 v22, 16, v62
	v_ashrrev_i32_e32 v7, 31, v6
	s_delay_alu instid0(VALU_DEP_2) | instskip(NEXT) | instid1(VALU_DEP_2)
	v_add_f16_e32 v22, v62, v22
	v_lshlrev_b64 v[6:7], 1, v[6:7]
	s_delay_alu instid0(VALU_DEP_2)
	v_add_f16_e32 v22, v22, v74
	global_store_b16 v[75:76], v22, off
	s_cbranch_vccnz .LBB249_47
; %bb.46:
	v_add_co_u32 v69, vcc_lo, v69, v6
	v_add_co_ci_u32_e32 v70, vcc_lo, v70, v7, vcc_lo
	flat_load_u16 v22, v[69:70]
	s_waitcnt vmcnt(0) lgkmcnt(0)
	v_mul_f16_e32 v67, v30, v22
.LBB249_47:
	v_pk_max_f16 v22, v23, v23
	v_pk_max_f16 v23, v24, v24
	v_add_nc_u32_e32 v69, 32, v25
	s_delay_alu instid0(VALU_DEP_3) | instskip(NEXT) | instid1(VALU_DEP_3)
	v_pk_min_f16 v24, v22, v72
	v_pk_min_f16 v62, v23, v71
	v_add_co_u32 v72, vcc_lo, v68, v6
	v_mov_b32_e32 v68, 0
	s_delay_alu instid0(VALU_DEP_4) | instskip(SKIP_2) | instid1(VALU_DEP_3)
	v_pk_add_f16 v24, v24, v60
	v_mad_i64_i32 v[70:71], null, v69, s5, 0
	v_add_co_ci_u32_e32 v73, vcc_lo, v73, v7, vcc_lo
	v_pk_add_f16 v24, v62, v24
	s_delay_alu instid0(VALU_DEP_3) | instskip(NEXT) | instid1(VALU_DEP_2)
	v_lshlrev_b64 v[70:71], 1, v[70:71]
	v_lshrrev_b32_e32 v60, 16, v24
	s_delay_alu instid0(VALU_DEP_1) | instskip(NEXT) | instid1(VALU_DEP_3)
	v_add_f16_e32 v62, v24, v60
	v_add_co_u32 v24, vcc_lo, s8, v70
	s_delay_alu instid0(VALU_DEP_4) | instskip(NEXT) | instid1(VALU_DEP_3)
	v_add_co_ci_u32_e32 v60, vcc_lo, s9, v71, vcc_lo
	v_add_f16_e32 v62, v62, v67
	v_mov_b32_e32 v67, 0
	s_and_b32 vcc_lo, exec_lo, s0
	global_store_b16 v[72:73], v62, off
	s_cbranch_vccnz .LBB249_49
; %bb.48:
	v_add_co_u32 v70, vcc_lo, v24, v16
	v_add_co_ci_u32_e32 v71, vcc_lo, v60, v17, vcc_lo
	flat_load_u16 v62, v[70:71]
	s_waitcnt vmcnt(0) lgkmcnt(0)
	v_mul_f16_e32 v68, v30, v62
.LBB249_49:
	v_pk_max_f16 v62, v0, v0
	v_pk_max_f16 v0, v1, v1
	v_mad_i64_i32 v[70:71], null, v69, s4, 0
	s_delay_alu instid0(VALU_DEP_3) | instskip(NEXT) | instid1(VALU_DEP_3)
	v_pk_min_f16 v1, v26, v62
	v_pk_min_f16 v72, v27, v0
	s_delay_alu instid0(VALU_DEP_3) | instskip(NEXT) | instid1(VALU_DEP_3)
	v_lshlrev_b64 v[69:70], 1, v[70:71]
	v_pk_add_f16 v1, v1, v59
	s_delay_alu instid0(VALU_DEP_1) | instskip(NEXT) | instid1(VALU_DEP_1)
	v_pk_add_f16 v1, v72, v1
	v_lshrrev_b32_e32 v59, 16, v1
	s_delay_alu instid0(VALU_DEP_1) | instskip(SKIP_2) | instid1(VALU_DEP_3)
	v_add_f16_e32 v71, v1, v59
	v_add_co_u32 v1, vcc_lo, s1, v69
	v_add_co_ci_u32_e32 v59, vcc_lo, s6, v70, vcc_lo
	v_add_f16_e32 v70, v71, v68
	s_delay_alu instid0(VALU_DEP_3) | instskip(NEXT) | instid1(VALU_DEP_3)
	v_add_co_u32 v68, vcc_lo, v1, v16
	v_add_co_ci_u32_e32 v69, vcc_lo, v59, v17, vcc_lo
	s_and_b32 vcc_lo, exec_lo, s0
	global_store_b16 v[68:69], v70, off
	s_cbranch_vccnz .LBB249_51
; %bb.50:
	v_add_co_u32 v67, vcc_lo, v24, v20
	v_add_co_ci_u32_e32 v68, vcc_lo, v60, v21, vcc_lo
	flat_load_u16 v67, v[67:68]
	s_waitcnt vmcnt(0) lgkmcnt(0)
	v_mul_f16_e32 v67, v30, v67
.LBB249_51:
	v_pk_min_f16 v68, v28, v62
	v_pk_min_f16 v69, v29, v0
	s_delay_alu instid0(VALU_DEP_2) | instskip(NEXT) | instid1(VALU_DEP_1)
	v_pk_add_f16 v58, v68, v58
	v_pk_add_f16 v58, v69, v58
	s_delay_alu instid0(VALU_DEP_1) | instskip(NEXT) | instid1(VALU_DEP_1)
	v_lshrrev_b32_e32 v68, 16, v58
	v_add_f16_e32 v58, v58, v68
	v_add_co_u32 v68, vcc_lo, v1, v20
	v_add_co_ci_u32_e32 v69, vcc_lo, v59, v21, vcc_lo
	s_delay_alu instid0(VALU_DEP_3)
	v_add_f16_e32 v70, v58, v67
	v_dual_mov_b32 v58, 0 :: v_dual_mov_b32 v67, 0
	s_and_b32 vcc_lo, exec_lo, s0
	global_store_b16 v[68:69], v70, off
	s_cbranch_vccnz .LBB249_53
; %bb.52:
	v_add_co_u32 v67, vcc_lo, v24, v12
	v_add_co_ci_u32_e32 v68, vcc_lo, v60, v13, vcc_lo
	flat_load_u16 v67, v[67:68]
	s_waitcnt vmcnt(0) lgkmcnt(0)
	v_mul_f16_e32 v67, v30, v67
.LBB249_53:
	v_pk_min_f16 v68, v48, v62
	v_pk_min_f16 v69, v49, v0
	s_delay_alu instid0(VALU_DEP_2) | instskip(NEXT) | instid1(VALU_DEP_1)
	v_pk_add_f16 v57, v68, v57
	v_pk_add_f16 v57, v69, v57
	s_delay_alu instid0(VALU_DEP_1) | instskip(NEXT) | instid1(VALU_DEP_1)
	v_lshrrev_b32_e32 v68, 16, v57
	v_add_f16_e32 v57, v57, v68
	s_delay_alu instid0(VALU_DEP_1)
	v_add_f16_e32 v57, v57, v67
	v_add_co_u32 v67, vcc_lo, v1, v12
	v_add_co_ci_u32_e32 v68, vcc_lo, v59, v13, vcc_lo
	s_and_b32 vcc_lo, exec_lo, s0
	global_store_b16 v[67:68], v57, off
	s_cbranch_vccnz .LBB249_55
; %bb.54:
	v_add_co_u32 v57, vcc_lo, v24, v14
	v_add_co_ci_u32_e32 v58, vcc_lo, v60, v15, vcc_lo
	flat_load_u16 v57, v[57:58]
	s_waitcnt vmcnt(0) lgkmcnt(0)
	v_mul_f16_e32 v58, v30, v57
.LBB249_55:
	v_pk_min_f16 v57, v50, v62
	v_pk_min_f16 v67, v51, v0
	s_delay_alu instid0(VALU_DEP_2) | instskip(NEXT) | instid1(VALU_DEP_1)
	v_pk_add_f16 v56, v57, v56
	v_pk_add_f16 v56, v67, v56
	v_add_co_u32 v67, vcc_lo, v1, v14
	v_add_co_ci_u32_e32 v68, vcc_lo, v59, v15, vcc_lo
	s_delay_alu instid0(VALU_DEP_3) | instskip(SKIP_1) | instid1(VALU_DEP_1)
	v_lshrrev_b32_e32 v57, 16, v56
	s_and_b32 vcc_lo, exec_lo, s0
	v_add_f16_e32 v56, v56, v57
	v_mov_b32_e32 v57, 0
	s_delay_alu instid0(VALU_DEP_2)
	v_add_f16_e32 v58, v56, v58
	v_mov_b32_e32 v56, 0
	global_store_b16 v[67:68], v58, off
	s_cbranch_vccnz .LBB249_57
; %bb.56:
	v_add_co_u32 v57, vcc_lo, v24, v8
	v_add_co_ci_u32_e32 v58, vcc_lo, v60, v9, vcc_lo
	flat_load_u16 v57, v[57:58]
	s_waitcnt vmcnt(0) lgkmcnt(0)
	v_mul_f16_e32 v57, v30, v57
.LBB249_57:
	v_pk_min_f16 v58, v52, v62
	v_pk_min_f16 v67, v61, v0
	s_delay_alu instid0(VALU_DEP_2) | instskip(NEXT) | instid1(VALU_DEP_1)
	v_pk_add_f16 v55, v58, v55
	v_pk_add_f16 v55, v67, v55
	s_delay_alu instid0(VALU_DEP_1) | instskip(NEXT) | instid1(VALU_DEP_1)
	v_lshrrev_b32_e32 v58, 16, v55
	v_add_f16_e32 v55, v55, v58
	s_delay_alu instid0(VALU_DEP_1)
	v_add_f16_e32 v55, v55, v57
	v_add_co_u32 v57, vcc_lo, v1, v8
	v_add_co_ci_u32_e32 v58, vcc_lo, v59, v9, vcc_lo
	s_and_b32 vcc_lo, exec_lo, s0
	global_store_b16 v[57:58], v55, off
	s_cbranch_vccnz .LBB249_59
; %bb.58:
	v_add_co_u32 v55, vcc_lo, v24, v10
	v_add_co_ci_u32_e32 v56, vcc_lo, v60, v11, vcc_lo
	flat_load_u16 v55, v[55:56]
	s_waitcnt vmcnt(0) lgkmcnt(0)
	v_mul_f16_e32 v56, v30, v55
.LBB249_59:
	v_pk_min_f16 v55, v64, v62
	v_pk_min_f16 v57, v65, v0
	s_delay_alu instid0(VALU_DEP_2) | instskip(NEXT) | instid1(VALU_DEP_1)
	v_pk_add_f16 v54, v55, v54
	v_pk_add_f16 v54, v57, v54
	v_add_co_u32 v57, vcc_lo, v1, v10
	v_add_co_ci_u32_e32 v58, vcc_lo, v59, v11, vcc_lo
	s_delay_alu instid0(VALU_DEP_3) | instskip(SKIP_1) | instid1(VALU_DEP_1)
	v_lshrrev_b32_e32 v55, 16, v54
	s_and_b32 vcc_lo, exec_lo, s0
	v_add_f16_e32 v54, v54, v55
	v_mov_b32_e32 v55, 0
	s_delay_alu instid0(VALU_DEP_2)
	v_add_f16_e32 v56, v54, v56
	v_mov_b32_e32 v54, 0
	global_store_b16 v[57:58], v56, off
	s_cbranch_vccnz .LBB249_61
; %bb.60:
	v_add_co_u32 v55, vcc_lo, v24, v4
	v_add_co_ci_u32_e32 v56, vcc_lo, v60, v5, vcc_lo
	flat_load_u16 v55, v[55:56]
	s_waitcnt vmcnt(0) lgkmcnt(0)
	v_mul_f16_e32 v55, v30, v55
.LBB249_61:
	v_pk_min_f16 v56, v63, v62
	v_pk_min_f16 v57, v66, v0
	s_delay_alu instid0(VALU_DEP_2) | instskip(NEXT) | instid1(VALU_DEP_1)
	v_pk_add_f16 v53, v56, v53
	v_pk_add_f16 v53, v57, v53
	s_delay_alu instid0(VALU_DEP_1) | instskip(NEXT) | instid1(VALU_DEP_1)
	v_lshrrev_b32_e32 v56, 16, v53
	v_add_f16_e32 v53, v53, v56
	s_delay_alu instid0(VALU_DEP_1)
	v_add_f16_e32 v53, v53, v55
	v_add_co_u32 v55, vcc_lo, v1, v4
	v_add_co_ci_u32_e32 v56, vcc_lo, v59, v5, vcc_lo
	s_and_b32 vcc_lo, exec_lo, s0
	global_store_b16 v[55:56], v53, off
	s_cbranch_vccnz .LBB249_63
; %bb.62:
	v_add_co_u32 v53, vcc_lo, v24, v6
	v_add_co_ci_u32_e32 v54, vcc_lo, v60, v7, vcc_lo
	flat_load_u16 v24, v[53:54]
	s_waitcnt vmcnt(0) lgkmcnt(0)
	v_mul_f16_e32 v54, v30, v24
.LBB249_63:
	v_pk_min_f16 v24, v22, v62
	v_pk_min_f16 v0, v23, v0
	v_add_nc_u32_e32 v55, 64, v25
	v_add_co_u32 v58, vcc_lo, v1, v6
	s_delay_alu instid0(VALU_DEP_4) | instskip(SKIP_2) | instid1(VALU_DEP_3)
	v_pk_add_f16 v24, v24, v47
	v_add_co_ci_u32_e32 v59, vcc_lo, v59, v7, vcc_lo
	v_mov_b32_e32 v53, 0
	v_pk_add_f16 v0, v0, v24
	s_delay_alu instid0(VALU_DEP_1) | instskip(NEXT) | instid1(VALU_DEP_1)
	v_lshrrev_b32_e32 v24, 16, v0
	v_add_f16_e32 v0, v0, v24
	s_delay_alu instid0(VALU_DEP_1) | instskip(SKIP_4) | instid1(VALU_DEP_1)
	v_add_f16_e32 v0, v0, v54
	v_mov_b32_e32 v54, 0
	v_mad_i64_i32 v[56:57], null, v55, s5, 0
	global_store_b16 v[58:59], v0, off
	v_lshlrev_b64 v[56:57], 1, v[56:57]
	v_add_co_u32 v1, vcc_lo, s8, v56
	s_delay_alu instid0(VALU_DEP_2)
	v_add_co_ci_u32_e32 v24, vcc_lo, s9, v57, vcc_lo
	s_and_b32 vcc_lo, exec_lo, s0
	s_cbranch_vccnz .LBB249_65
; %bb.64:
	s_delay_alu instid0(VALU_DEP_2) | instskip(NEXT) | instid1(VALU_DEP_2)
	v_add_co_u32 v56, vcc_lo, v1, v16
	v_add_co_ci_u32_e32 v57, vcc_lo, v24, v17, vcc_lo
	flat_load_u16 v0, v[56:57]
	s_waitcnt vmcnt(0) lgkmcnt(0)
	v_mul_f16_e32 v54, v30, v0
.LBB249_65:
	v_pk_max_f16 v47, v2, v2
	v_pk_max_f16 v0, v3, v3
	s_delay_alu instid0(VALU_DEP_2) | instskip(NEXT) | instid1(VALU_DEP_2)
	v_pk_min_f16 v2, v26, v47
	v_pk_min_f16 v56, v27, v0
	s_delay_alu instid0(VALU_DEP_2) | instskip(SKIP_1) | instid1(VALU_DEP_2)
	v_pk_add_f16 v46, v2, v46
	v_mad_i64_i32 v[2:3], null, v55, s4, 0
	v_pk_add_f16 v46, v56, v46
	s_delay_alu instid0(VALU_DEP_2) | instskip(NEXT) | instid1(VALU_DEP_2)
	v_lshlrev_b64 v[2:3], 1, v[2:3]
	v_lshrrev_b32_e32 v55, 16, v46
	s_delay_alu instid0(VALU_DEP_2) | instskip(NEXT) | instid1(VALU_DEP_2)
	v_add_co_u32 v2, vcc_lo, s1, v2
	v_add_f16_e32 v46, v46, v55
	s_delay_alu instid0(VALU_DEP_4) | instskip(NEXT) | instid1(VALU_DEP_2)
	v_add_co_ci_u32_e32 v3, vcc_lo, s6, v3, vcc_lo
	v_add_f16_e32 v46, v46, v54
	s_delay_alu instid0(VALU_DEP_4) | instskip(NEXT) | instid1(VALU_DEP_3)
	v_add_co_u32 v54, vcc_lo, v2, v16
	v_add_co_ci_u32_e32 v55, vcc_lo, v3, v17, vcc_lo
	s_and_b32 vcc_lo, exec_lo, s0
	global_store_b16 v[54:55], v46, off
	s_cbranch_vccnz .LBB249_67
; %bb.66:
	v_add_co_u32 v53, vcc_lo, v1, v20
	v_add_co_ci_u32_e32 v54, vcc_lo, v24, v21, vcc_lo
	flat_load_u16 v46, v[53:54]
	s_waitcnt vmcnt(0) lgkmcnt(0)
	v_mul_f16_e32 v53, v30, v46
.LBB249_67:
	v_pk_min_f16 v46, v28, v47
	v_pk_min_f16 v54, v29, v0
	s_delay_alu instid0(VALU_DEP_2) | instskip(NEXT) | instid1(VALU_DEP_1)
	v_pk_add_f16 v45, v46, v45
	v_pk_add_f16 v45, v54, v45
	v_add_co_u32 v54, vcc_lo, v2, v20
	v_add_co_ci_u32_e32 v55, vcc_lo, v3, v21, vcc_lo
	s_delay_alu instid0(VALU_DEP_3) | instskip(SKIP_1) | instid1(VALU_DEP_1)
	v_lshrrev_b32_e32 v46, 16, v45
	s_and_b32 vcc_lo, exec_lo, s0
	v_add_f16_e32 v45, v45, v46
	v_mov_b32_e32 v46, 0
	s_delay_alu instid0(VALU_DEP_2)
	v_add_f16_e32 v53, v45, v53
	v_mov_b32_e32 v45, 0
	global_store_b16 v[54:55], v53, off
	s_cbranch_vccnz .LBB249_69
; %bb.68:
	v_add_co_u32 v53, vcc_lo, v1, v12
	v_add_co_ci_u32_e32 v54, vcc_lo, v24, v13, vcc_lo
	flat_load_u16 v46, v[53:54]
	s_waitcnt vmcnt(0) lgkmcnt(0)
	v_mul_f16_e32 v46, v30, v46
.LBB249_69:
	v_pk_min_f16 v53, v48, v47
	v_pk_min_f16 v54, v49, v0
	s_delay_alu instid0(VALU_DEP_2) | instskip(NEXT) | instid1(VALU_DEP_1)
	v_pk_add_f16 v44, v53, v44
	v_pk_add_f16 v44, v54, v44
	s_delay_alu instid0(VALU_DEP_1) | instskip(NEXT) | instid1(VALU_DEP_1)
	v_lshrrev_b32_e32 v53, 16, v44
	v_add_f16_e32 v44, v44, v53
	v_add_co_u32 v53, vcc_lo, v2, v12
	v_add_co_ci_u32_e32 v54, vcc_lo, v3, v13, vcc_lo
	s_delay_alu instid0(VALU_DEP_3)
	v_add_f16_e32 v44, v44, v46
	s_and_b32 vcc_lo, exec_lo, s0
	global_store_b16 v[53:54], v44, off
	s_cbranch_vccnz .LBB249_71
; %bb.70:
	v_add_co_u32 v44, vcc_lo, v1, v14
	v_add_co_ci_u32_e32 v45, vcc_lo, v24, v15, vcc_lo
	flat_load_u16 v44, v[44:45]
	s_waitcnt vmcnt(0) lgkmcnt(0)
	v_mul_f16_e32 v45, v30, v44
.LBB249_71:
	v_pk_min_f16 v44, v50, v47
	v_pk_min_f16 v46, v51, v0
	v_add_co_u32 v53, vcc_lo, v2, v14
	v_add_co_ci_u32_e32 v54, vcc_lo, v3, v15, vcc_lo
	s_delay_alu instid0(VALU_DEP_4) | instskip(SKIP_1) | instid1(VALU_DEP_1)
	v_pk_add_f16 v43, v44, v43
	s_and_b32 vcc_lo, exec_lo, s0
	v_pk_add_f16 v43, v46, v43
	s_delay_alu instid0(VALU_DEP_1) | instskip(NEXT) | instid1(VALU_DEP_1)
	v_lshrrev_b32_e32 v44, 16, v43
	v_add_f16_e32 v43, v43, v44
	v_mov_b32_e32 v44, 0
	s_delay_alu instid0(VALU_DEP_2)
	v_add_f16_e32 v45, v43, v45
	v_mov_b32_e32 v43, 0
	global_store_b16 v[53:54], v45, off
	s_cbranch_vccnz .LBB249_73
; %bb.72:
	v_add_co_u32 v44, vcc_lo, v1, v8
	v_add_co_ci_u32_e32 v45, vcc_lo, v24, v9, vcc_lo
	flat_load_u16 v44, v[44:45]
	s_waitcnt vmcnt(0) lgkmcnt(0)
	v_mul_f16_e32 v44, v30, v44
.LBB249_73:
	v_pk_min_f16 v45, v52, v47
	v_pk_min_f16 v46, v61, v0
	s_delay_alu instid0(VALU_DEP_2) | instskip(NEXT) | instid1(VALU_DEP_1)
	v_pk_add_f16 v42, v45, v42
	v_pk_add_f16 v42, v46, v42
	s_delay_alu instid0(VALU_DEP_1) | instskip(NEXT) | instid1(VALU_DEP_1)
	v_lshrrev_b32_e32 v45, 16, v42
	v_add_f16_e32 v42, v42, v45
	s_delay_alu instid0(VALU_DEP_1)
	v_add_f16_e32 v42, v42, v44
	v_add_co_u32 v44, vcc_lo, v2, v8
	v_add_co_ci_u32_e32 v45, vcc_lo, v3, v9, vcc_lo
	s_and_b32 vcc_lo, exec_lo, s0
	global_store_b16 v[44:45], v42, off
	s_cbranch_vccnz .LBB249_75
; %bb.74:
	v_add_co_u32 v42, vcc_lo, v1, v10
	v_add_co_ci_u32_e32 v43, vcc_lo, v24, v11, vcc_lo
	flat_load_u16 v42, v[42:43]
	s_waitcnt vmcnt(0) lgkmcnt(0)
	v_mul_f16_e32 v43, v30, v42
.LBB249_75:
	v_pk_min_f16 v42, v64, v47
	v_pk_min_f16 v44, v65, v0
	s_delay_alu instid0(VALU_DEP_2) | instskip(NEXT) | instid1(VALU_DEP_1)
	v_pk_add_f16 v41, v42, v41
	v_pk_add_f16 v41, v44, v41
	v_add_co_u32 v44, vcc_lo, v2, v10
	v_add_co_ci_u32_e32 v45, vcc_lo, v3, v11, vcc_lo
	s_delay_alu instid0(VALU_DEP_3) | instskip(SKIP_1) | instid1(VALU_DEP_1)
	v_lshrrev_b32_e32 v42, 16, v41
	s_and_b32 vcc_lo, exec_lo, s0
	v_add_f16_e32 v41, v41, v42
	v_mov_b32_e32 v42, 0
	s_delay_alu instid0(VALU_DEP_2)
	v_add_f16_e32 v43, v41, v43
	v_mov_b32_e32 v41, 0
	global_store_b16 v[44:45], v43, off
	s_cbranch_vccnz .LBB249_77
; %bb.76:
	v_add_co_u32 v42, vcc_lo, v1, v4
	v_add_co_ci_u32_e32 v43, vcc_lo, v24, v5, vcc_lo
	flat_load_u16 v42, v[42:43]
	s_waitcnt vmcnt(0) lgkmcnt(0)
	v_mul_f16_e32 v42, v30, v42
.LBB249_77:
	v_pk_min_f16 v43, v63, v47
	v_pk_min_f16 v44, v66, v0
	s_delay_alu instid0(VALU_DEP_2) | instskip(NEXT) | instid1(VALU_DEP_1)
	v_pk_add_f16 v40, v43, v40
	v_pk_add_f16 v40, v44, v40
	s_delay_alu instid0(VALU_DEP_1) | instskip(NEXT) | instid1(VALU_DEP_1)
	v_lshrrev_b32_e32 v43, 16, v40
	v_add_f16_e32 v40, v40, v43
	s_delay_alu instid0(VALU_DEP_1)
	v_add_f16_e32 v40, v40, v42
	v_add_co_u32 v42, vcc_lo, v2, v4
	v_add_co_ci_u32_e32 v43, vcc_lo, v3, v5, vcc_lo
	s_and_b32 vcc_lo, exec_lo, s0
	global_store_b16 v[42:43], v40, off
	s_cbranch_vccnz .LBB249_79
; %bb.78:
	v_add_co_u32 v40, vcc_lo, v1, v6
	v_add_co_ci_u32_e32 v41, vcc_lo, v24, v7, vcc_lo
	flat_load_u16 v1, v[40:41]
	s_waitcnt vmcnt(0) lgkmcnt(0)
	v_mul_f16_e32 v41, v30, v1
.LBB249_79:
	v_pk_min_f16 v1, v22, v47
	v_pk_min_f16 v24, v23, v0
	v_add_nc_u32_e32 v25, 0x60, v25
	v_add_co_u32 v2, vcc_lo, v2, v6
	s_delay_alu instid0(VALU_DEP_4) | instskip(SKIP_1) | instid1(VALU_DEP_2)
	v_pk_add_f16 v39, v1, v39
	v_add_co_ci_u32_e32 v3, vcc_lo, v3, v7, vcc_lo
	v_pk_add_f16 v24, v24, v39
	s_delay_alu instid0(VALU_DEP_1) | instskip(NEXT) | instid1(VALU_DEP_1)
	v_lshrrev_b32_e32 v39, 16, v24
	v_add_f16_e32 v24, v24, v39
	v_mov_b32_e32 v39, 0
	s_delay_alu instid0(VALU_DEP_2) | instskip(SKIP_4) | instid1(VALU_DEP_1)
	v_add_f16_e32 v40, v24, v41
	v_mov_b32_e32 v24, 0
	v_mad_i64_i32 v[0:1], null, v25, s5, 0
	global_store_b16 v[2:3], v40, off
	v_lshlrev_b64 v[0:1], 1, v[0:1]
	v_add_co_u32 v0, vcc_lo, s8, v0
	s_delay_alu instid0(VALU_DEP_2)
	v_add_co_ci_u32_e32 v1, vcc_lo, s9, v1, vcc_lo
	s_and_b32 vcc_lo, exec_lo, s0
	s_cbranch_vccnz .LBB249_81
; %bb.80:
	s_delay_alu instid0(VALU_DEP_2) | instskip(NEXT) | instid1(VALU_DEP_2)
	v_add_co_u32 v2, vcc_lo, v0, v16
	v_add_co_ci_u32_e32 v3, vcc_lo, v1, v17, vcc_lo
	flat_load_u16 v2, v[2:3]
	s_waitcnt vmcnt(0) lgkmcnt(0)
	v_mul_f16_e32 v39, v30, v2
.LBB249_81:
	v_pk_max_f16 v2, v18, v18
	v_pk_max_f16 v3, v19, v19
	s_delay_alu instid0(VALU_DEP_2) | instskip(NEXT) | instid1(VALU_DEP_2)
	v_pk_min_f16 v18, v26, v2
	v_pk_min_f16 v26, v27, v3
	s_delay_alu instid0(VALU_DEP_2) | instskip(SKIP_1) | instid1(VALU_DEP_2)
	v_pk_add_f16 v27, v18, v38
	v_mad_i64_i32 v[18:19], null, v25, s4, 0
	v_pk_add_f16 v25, v26, v27
	s_delay_alu instid0(VALU_DEP_2) | instskip(NEXT) | instid1(VALU_DEP_2)
	v_lshlrev_b64 v[18:19], 1, v[18:19]
	v_lshrrev_b32_e32 v26, 16, v25
	s_delay_alu instid0(VALU_DEP_2) | instskip(NEXT) | instid1(VALU_DEP_2)
	v_add_co_u32 v18, vcc_lo, s1, v18
	v_add_f16_e32 v25, v25, v26
	s_delay_alu instid0(VALU_DEP_4) | instskip(NEXT) | instid1(VALU_DEP_3)
	v_add_co_ci_u32_e32 v19, vcc_lo, s6, v19, vcc_lo
	v_add_co_u32 v16, vcc_lo, v18, v16
	s_delay_alu instid0(VALU_DEP_3) | instskip(NEXT) | instid1(VALU_DEP_3)
	v_add_f16_e32 v25, v25, v39
	v_add_co_ci_u32_e32 v17, vcc_lo, v19, v17, vcc_lo
	s_and_b32 vcc_lo, exec_lo, s0
	global_store_b16 v[16:17], v25, off
	s_cbranch_vccnz .LBB249_83
; %bb.82:
	v_add_co_u32 v16, vcc_lo, v0, v20
	v_add_co_ci_u32_e32 v17, vcc_lo, v1, v21, vcc_lo
	flat_load_u16 v16, v[16:17]
	s_waitcnt vmcnt(0) lgkmcnt(0)
	v_mul_f16_e32 v24, v30, v16
.LBB249_83:
	v_pk_min_f16 v16, v28, v2
	v_pk_min_f16 v17, v29, v3
	v_add_co_u32 v20, vcc_lo, v18, v20
	v_add_co_ci_u32_e32 v21, vcc_lo, v19, v21, vcc_lo
	s_delay_alu instid0(VALU_DEP_4) | instskip(SKIP_1) | instid1(VALU_DEP_1)
	v_pk_add_f16 v16, v16, v37
	s_and_b32 vcc_lo, exec_lo, s0
	v_pk_add_f16 v16, v17, v16
	s_delay_alu instid0(VALU_DEP_1) | instskip(NEXT) | instid1(VALU_DEP_1)
	v_lshrrev_b32_e32 v17, 16, v16
	v_add_f16_e32 v16, v16, v17
	v_mov_b32_e32 v17, 0
	s_delay_alu instid0(VALU_DEP_2)
	v_add_f16_e32 v24, v16, v24
	v_mov_b32_e32 v16, 0
	global_store_b16 v[20:21], v24, off
	s_cbranch_vccnz .LBB249_85
; %bb.84:
	v_add_co_u32 v20, vcc_lo, v0, v12
	v_add_co_ci_u32_e32 v21, vcc_lo, v1, v13, vcc_lo
	flat_load_u16 v17, v[20:21]
	s_waitcnt vmcnt(0) lgkmcnt(0)
	v_mul_f16_e32 v17, v30, v17
.LBB249_85:
	v_pk_min_f16 v20, v48, v2
	v_pk_min_f16 v21, v49, v3
	v_add_co_u32 v12, vcc_lo, v18, v12
	v_add_co_ci_u32_e32 v13, vcc_lo, v19, v13, vcc_lo
	s_delay_alu instid0(VALU_DEP_4) | instskip(SKIP_1) | instid1(VALU_DEP_1)
	v_pk_add_f16 v20, v20, v36
	s_and_b32 vcc_lo, exec_lo, s0
	v_pk_add_f16 v20, v21, v20
	s_delay_alu instid0(VALU_DEP_1) | instskip(NEXT) | instid1(VALU_DEP_1)
	v_lshrrev_b32_e32 v21, 16, v20
	v_add_f16_e32 v20, v20, v21
	s_delay_alu instid0(VALU_DEP_1)
	v_add_f16_e32 v17, v20, v17
	global_store_b16 v[12:13], v17, off
	s_cbranch_vccnz .LBB249_87
; %bb.86:
	v_add_co_u32 v12, vcc_lo, v0, v14
	v_add_co_ci_u32_e32 v13, vcc_lo, v1, v15, vcc_lo
	flat_load_u16 v12, v[12:13]
	s_waitcnt vmcnt(0) lgkmcnt(0)
	v_mul_f16_e32 v16, v30, v12
.LBB249_87:
	v_pk_min_f16 v12, v50, v2
	v_pk_min_f16 v13, v51, v3
	v_add_co_u32 v14, vcc_lo, v18, v14
	v_add_co_ci_u32_e32 v15, vcc_lo, v19, v15, vcc_lo
	s_delay_alu instid0(VALU_DEP_4) | instskip(SKIP_1) | instid1(VALU_DEP_1)
	v_pk_add_f16 v12, v12, v35
	s_and_b32 vcc_lo, exec_lo, s0
	v_pk_add_f16 v12, v13, v12
	s_delay_alu instid0(VALU_DEP_1) | instskip(NEXT) | instid1(VALU_DEP_1)
	v_lshrrev_b32_e32 v13, 16, v12
	v_add_f16_e32 v12, v12, v13
	v_mov_b32_e32 v13, 0
	s_delay_alu instid0(VALU_DEP_2)
	v_add_f16_e32 v16, v12, v16
	v_mov_b32_e32 v12, 0
	global_store_b16 v[14:15], v16, off
	s_cbranch_vccnz .LBB249_89
; %bb.88:
	v_add_co_u32 v13, vcc_lo, v0, v8
	v_add_co_ci_u32_e32 v14, vcc_lo, v1, v9, vcc_lo
	flat_load_u16 v13, v[13:14]
	s_waitcnt vmcnt(0) lgkmcnt(0)
	v_mul_f16_e32 v13, v30, v13
.LBB249_89:
	v_pk_min_f16 v14, v52, v2
	v_pk_min_f16 v15, v61, v3
	v_add_co_u32 v8, vcc_lo, v18, v8
	v_add_co_ci_u32_e32 v9, vcc_lo, v19, v9, vcc_lo
	s_delay_alu instid0(VALU_DEP_4) | instskip(SKIP_1) | instid1(VALU_DEP_1)
	v_pk_add_f16 v14, v14, v33
	s_and_b32 vcc_lo, exec_lo, s0
	v_pk_add_f16 v14, v15, v14
	s_delay_alu instid0(VALU_DEP_1) | instskip(NEXT) | instid1(VALU_DEP_1)
	v_lshrrev_b32_e32 v15, 16, v14
	v_add_f16_e32 v14, v14, v15
	s_delay_alu instid0(VALU_DEP_1)
	v_add_f16_e32 v13, v14, v13
	global_store_b16 v[8:9], v13, off
	s_cbranch_vccnz .LBB249_91
; %bb.90:
	v_add_co_u32 v8, vcc_lo, v0, v10
	v_add_co_ci_u32_e32 v9, vcc_lo, v1, v11, vcc_lo
	flat_load_u16 v8, v[8:9]
	s_waitcnt vmcnt(0) lgkmcnt(0)
	v_mul_f16_e32 v12, v30, v8
.LBB249_91:
	v_pk_min_f16 v8, v64, v2
	v_pk_min_f16 v9, v65, v3
	;; [unrolled: 1-line block ×3, first 2 shown]
	s_delay_alu instid0(VALU_DEP_3) | instskip(NEXT) | instid1(VALU_DEP_2)
	v_pk_add_f16 v8, v8, v32
	v_pk_add_f16 v13, v13, v34
	s_delay_alu instid0(VALU_DEP_2) | instskip(SKIP_1) | instid1(VALU_DEP_2)
	v_pk_add_f16 v8, v9, v8
	v_pk_min_f16 v9, v66, v3
	v_lshrrev_b32_e32 v14, 16, v8
	s_delay_alu instid0(VALU_DEP_2) | instskip(SKIP_2) | instid1(VALU_DEP_4)
	v_pk_add_f16 v13, v9, v13
	v_add_co_u32 v9, vcc_lo, v18, v10
	v_add_co_ci_u32_e32 v10, vcc_lo, v19, v11, vcc_lo
	v_add_f16_e32 v8, v8, v14
	s_delay_alu instid0(VALU_DEP_4) | instskip(SKIP_1) | instid1(VALU_DEP_2)
	v_lshrrev_b32_e32 v11, 16, v13
	s_mov_b32 vcc_lo, s2
	v_add_f16_e32 v12, v8, v12
	s_delay_alu instid0(VALU_DEP_2)
	v_add_f16_e32 v8, v13, v11
	global_store_b16 v[9:10], v12, off
	s_cbranch_vccz .LBB249_94
; %bb.92:
	v_add_co_u32 v9, vcc_lo, v18, v4
	v_add_f16_e32 v11, 0, v8
	v_add_co_ci_u32_e32 v10, vcc_lo, v19, v5, vcc_lo
	s_mov_b32 s0, 0
	global_store_b16 v[9:10], v11, off
	s_cbranch_execz .LBB249_95
; %bb.93:
	v_mov_b32_e32 v0, s0
	s_branch .LBB249_96
.LBB249_94:
	s_mov_b32 s0, -1
.LBB249_95:
	v_add_co_u32 v9, vcc_lo, v0, v4
	v_add_co_ci_u32_e32 v10, vcc_lo, v1, v5, vcc_lo
	v_add_co_u32 v4, vcc_lo, v18, v4
	v_add_co_ci_u32_e32 v5, vcc_lo, v19, v5, vcc_lo
	flat_load_u16 v9, v[9:10]
	v_add_co_u32 v0, vcc_lo, v0, v6
	v_add_co_ci_u32_e32 v1, vcc_lo, v1, v7, vcc_lo
	s_waitcnt vmcnt(0) lgkmcnt(0)
	v_fmac_f16_e32 v8, v30, v9
	global_store_b16 v[4:5], v8, off
	flat_load_u16 v0, v[0:1]
	s_waitcnt vmcnt(0) lgkmcnt(0)
	v_mul_f16_e32 v0, v30, v0
.LBB249_96:
	v_pk_min_f16 v1, v22, v2
	v_pk_min_f16 v2, v23, v3
	s_delay_alu instid0(VALU_DEP_2) | instskip(NEXT) | instid1(VALU_DEP_1)
	v_pk_add_f16 v1, v1, v31
	v_pk_add_f16 v1, v2, v1
	s_delay_alu instid0(VALU_DEP_1) | instskip(NEXT) | instid1(VALU_DEP_1)
	v_lshrrev_b32_e32 v2, 16, v1
	v_add_f16_e32 v1, v1, v2
	s_delay_alu instid0(VALU_DEP_1)
	v_add_f16_e32 v2, v1, v0
	v_add_co_u32 v0, vcc_lo, v18, v6
	v_add_co_ci_u32_e32 v1, vcc_lo, v19, v7, vcc_lo
	global_store_b16 v[0:1], v2, off
	s_nop 0
	s_sendmsg sendmsg(MSG_DEALLOC_VGPRS)
	s_endpgm
	.section	.rodata,"a",@progbits
	.p2align	6, 0x0
	.amdhsa_kernel _ZN12_GLOBAL__N_120geam_min_plus_kernelIDF16_Dv2_DF16_S1_Li8ELi32ELi64ELi128ELi4ELi4ELi64ELi64ELi4ELc84ELc84ELb0ELb0ELb0EPKDF16_KS3_KPDF16_EEviiiT16_PT17_ilS9_ilS7_S9_ilPT18_ili26rocblas_geam_ex_operation_
		.amdhsa_group_segment_fixed_size 3072
		.amdhsa_private_segment_fixed_size 0
		.amdhsa_kernarg_size 136
		.amdhsa_user_sgpr_count 14
		.amdhsa_user_sgpr_dispatch_ptr 0
		.amdhsa_user_sgpr_queue_ptr 0
		.amdhsa_user_sgpr_kernarg_segment_ptr 1
		.amdhsa_user_sgpr_dispatch_id 0
		.amdhsa_user_sgpr_private_segment_size 0
		.amdhsa_wavefront_size32 1
		.amdhsa_uses_dynamic_stack 0
		.amdhsa_enable_private_segment 0
		.amdhsa_system_sgpr_workgroup_id_x 1
		.amdhsa_system_sgpr_workgroup_id_y 0
		.amdhsa_system_sgpr_workgroup_id_z 1
		.amdhsa_system_sgpr_workgroup_info 0
		.amdhsa_system_vgpr_workitem_id 1
		.amdhsa_next_free_vgpr 122
		.amdhsa_next_free_sgpr 24
		.amdhsa_reserve_vcc 1
		.amdhsa_float_round_mode_32 0
		.amdhsa_float_round_mode_16_64 0
		.amdhsa_float_denorm_mode_32 3
		.amdhsa_float_denorm_mode_16_64 3
		.amdhsa_dx10_clamp 1
		.amdhsa_ieee_mode 1
		.amdhsa_fp16_overflow 0
		.amdhsa_workgroup_processor_mode 1
		.amdhsa_memory_ordered 1
		.amdhsa_forward_progress 0
		.amdhsa_shared_vgpr_count 0
		.amdhsa_exception_fp_ieee_invalid_op 0
		.amdhsa_exception_fp_denorm_src 0
		.amdhsa_exception_fp_ieee_div_zero 0
		.amdhsa_exception_fp_ieee_overflow 0
		.amdhsa_exception_fp_ieee_underflow 0
		.amdhsa_exception_fp_ieee_inexact 0
		.amdhsa_exception_int_div_zero 0
	.end_amdhsa_kernel
	.section	.text._ZN12_GLOBAL__N_120geam_min_plus_kernelIDF16_Dv2_DF16_S1_Li8ELi32ELi64ELi128ELi4ELi4ELi64ELi64ELi4ELc84ELc84ELb0ELb0ELb0EPKDF16_KS3_KPDF16_EEviiiT16_PT17_ilS9_ilS7_S9_ilPT18_ili26rocblas_geam_ex_operation_,"axG",@progbits,_ZN12_GLOBAL__N_120geam_min_plus_kernelIDF16_Dv2_DF16_S1_Li8ELi32ELi64ELi128ELi4ELi4ELi64ELi64ELi4ELc84ELc84ELb0ELb0ELb0EPKDF16_KS3_KPDF16_EEviiiT16_PT17_ilS9_ilS7_S9_ilPT18_ili26rocblas_geam_ex_operation_,comdat
.Lfunc_end249:
	.size	_ZN12_GLOBAL__N_120geam_min_plus_kernelIDF16_Dv2_DF16_S1_Li8ELi32ELi64ELi128ELi4ELi4ELi64ELi64ELi4ELc84ELc84ELb0ELb0ELb0EPKDF16_KS3_KPDF16_EEviiiT16_PT17_ilS9_ilS7_S9_ilPT18_ili26rocblas_geam_ex_operation_, .Lfunc_end249-_ZN12_GLOBAL__N_120geam_min_plus_kernelIDF16_Dv2_DF16_S1_Li8ELi32ELi64ELi128ELi4ELi4ELi64ELi64ELi4ELc84ELc84ELb0ELb0ELb0EPKDF16_KS3_KPDF16_EEviiiT16_PT17_ilS9_ilS7_S9_ilPT18_ili26rocblas_geam_ex_operation_
                                        ; -- End function
	.section	.AMDGPU.csdata,"",@progbits
; Kernel info:
; codeLenInByte = 10084
; NumSgprs: 26
; NumVgprs: 122
; ScratchSize: 0
; MemoryBound: 0
; FloatMode: 240
; IeeeMode: 1
; LDSByteSize: 3072 bytes/workgroup (compile time only)
; SGPRBlocks: 3
; VGPRBlocks: 15
; NumSGPRsForWavesPerEU: 26
; NumVGPRsForWavesPerEU: 122
; Occupancy: 10
; WaveLimiterHint : 1
; COMPUTE_PGM_RSRC2:SCRATCH_EN: 0
; COMPUTE_PGM_RSRC2:USER_SGPR: 14
; COMPUTE_PGM_RSRC2:TRAP_HANDLER: 0
; COMPUTE_PGM_RSRC2:TGID_X_EN: 1
; COMPUTE_PGM_RSRC2:TGID_Y_EN: 0
; COMPUTE_PGM_RSRC2:TGID_Z_EN: 1
; COMPUTE_PGM_RSRC2:TIDIG_COMP_CNT: 1
	.section	.text._ZN12_GLOBAL__N_120geam_min_plus_kernelIDF16_Dv2_DF16_S1_Li8ELi32ELi64ELi128ELi4ELi4ELi64ELi64ELi4ELc84ELc84ELb1ELb0ELb0EDF16_KPKDF16_KPDF16_EEviiiT16_PT17_ilS9_ilS7_S9_ilPT18_ili26rocblas_geam_ex_operation_,"axG",@progbits,_ZN12_GLOBAL__N_120geam_min_plus_kernelIDF16_Dv2_DF16_S1_Li8ELi32ELi64ELi128ELi4ELi4ELi64ELi64ELi4ELc84ELc84ELb1ELb0ELb0EDF16_KPKDF16_KPDF16_EEviiiT16_PT17_ilS9_ilS7_S9_ilPT18_ili26rocblas_geam_ex_operation_,comdat
	.globl	_ZN12_GLOBAL__N_120geam_min_plus_kernelIDF16_Dv2_DF16_S1_Li8ELi32ELi64ELi128ELi4ELi4ELi64ELi64ELi4ELc84ELc84ELb1ELb0ELb0EDF16_KPKDF16_KPDF16_EEviiiT16_PT17_ilS9_ilS7_S9_ilPT18_ili26rocblas_geam_ex_operation_ ; -- Begin function _ZN12_GLOBAL__N_120geam_min_plus_kernelIDF16_Dv2_DF16_S1_Li8ELi32ELi64ELi128ELi4ELi4ELi64ELi64ELi4ELc84ELc84ELb1ELb0ELb0EDF16_KPKDF16_KPDF16_EEviiiT16_PT17_ilS9_ilS7_S9_ilPT18_ili26rocblas_geam_ex_operation_
	.p2align	8
	.type	_ZN12_GLOBAL__N_120geam_min_plus_kernelIDF16_Dv2_DF16_S1_Li8ELi32ELi64ELi128ELi4ELi4ELi64ELi64ELi4ELc84ELc84ELb1ELb0ELb0EDF16_KPKDF16_KPDF16_EEviiiT16_PT17_ilS9_ilS7_S9_ilPT18_ili26rocblas_geam_ex_operation_,@function
_ZN12_GLOBAL__N_120geam_min_plus_kernelIDF16_Dv2_DF16_S1_Li8ELi32ELi64ELi128ELi4ELi4ELi64ELi64ELi4ELc84ELc84ELb1ELb0ELb0EDF16_KPKDF16_KPDF16_EEviiiT16_PT17_ilS9_ilS7_S9_ilPT18_ili26rocblas_geam_ex_operation_: ; @_ZN12_GLOBAL__N_120geam_min_plus_kernelIDF16_Dv2_DF16_S1_Li8ELi32ELi64ELi128ELi4ELi4ELi64ELi64ELi4ELc84ELc84ELb1ELb0ELb0EDF16_KPKDF16_KPDF16_EEviiiT16_PT17_ilS9_ilS7_S9_ilPT18_ili26rocblas_geam_ex_operation_
; %bb.0:
	s_clause 0x1
	s_load_b64 s[8:9], s[0:1], 0x8
	s_load_b128 s[4:7], s[0:1], 0x20
	s_mov_b32 s16, s15
	s_mov_b32 s17, 0
	s_waitcnt lgkmcnt(0)
	v_cmp_eq_f16_e64 s2, s9, 0
	s_delay_alu instid0(VALU_DEP_1)
	s_and_b32 vcc_lo, exec_lo, s2
	s_cbranch_vccnz .LBB250_3
; %bb.1:
	s_load_b64 s[10:11], s[0:1], 0x10
	s_lshl_b64 s[12:13], s[16:17], 3
	s_waitcnt lgkmcnt(0)
	s_add_u32 s10, s10, s12
	s_addc_u32 s11, s11, s13
	s_lshl_b64 s[4:5], s[4:5], 1
	s_load_b64 s[10:11], s[10:11], 0x0
	s_waitcnt lgkmcnt(0)
	s_add_u32 s10, s10, s4
	s_addc_u32 s11, s11, s5
	s_and_not1_b32 vcc_lo, exec_lo, s2
	s_cbranch_vccnz .LBB250_4
.LBB250_2:
	s_mov_b64 s[12:13], 0
	s_and_not1_b32 vcc_lo, exec_lo, s17
	s_cbranch_vccz .LBB250_5
	s_branch .LBB250_6
.LBB250_3:
	s_mov_b64 s[10:11], 0
	s_and_not1_b32 vcc_lo, exec_lo, s2
	s_cbranch_vccz .LBB250_2
.LBB250_4:
	s_mov_b32 s17, -1
                                        ; implicit-def: $sgpr12_sgpr13
.LBB250_5:
	s_mov_b32 s17, 0
	s_load_b64 s[4:5], s[0:1], 0x38
	s_lshl_b64 s[2:3], s[16:17], 3
	s_delay_alu instid0(SALU_CYCLE_1) | instskip(SKIP_4) | instid1(SALU_CYCLE_1)
	s_add_u32 s2, s6, s2
	s_addc_u32 s3, s7, s3
	s_load_b64 s[2:3], s[2:3], 0x0
	s_waitcnt lgkmcnt(0)
	s_lshl_b64 s[4:5], s[4:5], 1
	s_add_u32 s12, s2, s4
	s_addc_u32 s13, s3, s5
.LBB250_6:
	s_clause 0x1
	s_load_b32 s15, s[0:1], 0x40
	s_load_b128 s[4:7], s[0:1], 0x58
	s_waitcnt lgkmcnt(0)
	v_cmp_eq_f16_e64 s2, s15, 0
	s_delay_alu instid0(VALU_DEP_1) | instskip(NEXT) | instid1(SALU_CYCLE_1)
	s_and_b32 s2, exec_lo, s2
	s_mov_b32 vcc_lo, s2
	s_cbranch_vccnz .LBB250_8
; %bb.7:
	s_load_b64 s[18:19], s[0:1], 0x48
	s_lshl_b64 s[20:21], s[16:17], 3
	s_waitcnt lgkmcnt(0)
	s_add_u32 s18, s18, s20
	s_addc_u32 s19, s19, s21
	s_lshl_b64 s[4:5], s[4:5], 1
	s_load_b64 s[18:19], s[18:19], 0x0
	s_waitcnt lgkmcnt(0)
	s_add_u32 s4, s18, s4
	s_addc_u32 s5, s19, s5
	s_branch .LBB250_9
.LBB250_8:
	s_mov_b64 s[4:5], 0
.LBB250_9:
	s_load_b32 s3, s[0:1], 0x0
	s_lshl_b64 s[18:19], s[16:17], 3
	v_bfe_u32 v8, v0, 10, 10
	s_add_u32 s6, s6, s18
	s_addc_u32 s7, s7, s19
	s_clause 0x1
	s_load_b32 s9, s[0:1], 0x18
	s_load_b32 s16, s[0:1], 0x30
	v_and_b32_e32 v7, 0x3ff, v0
	v_lshlrev_b32_e32 v6, 3, v8
	s_delay_alu instid0(VALU_DEP_2) | instskip(NEXT) | instid1(VALU_DEP_2)
	v_and_b32_e32 v5, 3, v7
	v_add_nc_u32_e32 v2, v6, v7
	s_delay_alu instid0(VALU_DEP_2) | instskip(NEXT) | instid1(VALU_DEP_2)
	v_lshlrev_b32_e32 v5, 1, v5
	v_lshrrev_b32_e32 v15, 2, v2
	v_lshrrev_b32_e32 v4, 6, v2
	v_and_b32_e32 v16, 63, v2
	s_waitcnt lgkmcnt(0)
	s_add_i32 s3, s3, -1
	s_delay_alu instid0(SALU_CYCLE_1) | instskip(SKIP_2) | instid1(SALU_CYCLE_1)
	s_ashr_i32 s17, s3, 31
	v_add_nc_u32_e32 v17, 4, v4
	s_lshr_b32 s17, s17, 26
	s_add_i32 s3, s3, s17
	s_delay_alu instid0(SALU_CYCLE_1) | instskip(NEXT) | instid1(SALU_CYCLE_1)
	s_ashr_i32 s3, s3, 6
	s_add_i32 s17, s3, 1
	s_not_b32 s3, s3
	v_cvt_f32_u32_e32 v1, s17
	s_delay_alu instid0(VALU_DEP_1) | instskip(SKIP_2) | instid1(VALU_DEP_1)
	v_rcp_iflag_f32_e32 v1, v1
	s_waitcnt_depctr 0xfff
	v_mul_f32_e32 v1, 0x4f7ffffe, v1
	v_cvt_u32_f32_e32 v1, v1
	s_delay_alu instid0(VALU_DEP_1) | instskip(SKIP_1) | instid1(VALU_DEP_2)
	v_readfirstlane_b32 s18, v1
	v_mad_i64_i32 v[0:1], null, s16, v4, 0
	s_mul_i32 s3, s3, s18
	s_delay_alu instid0(SALU_CYCLE_1) | instskip(NEXT) | instid1(SALU_CYCLE_1)
	s_mul_hi_u32 s3, s18, s3
	s_add_i32 s18, s18, s3
	s_delay_alu instid0(VALU_DEP_1) | instskip(SKIP_1) | instid1(SALU_CYCLE_1)
	v_lshlrev_b64 v[11:12], 1, v[0:1]
	s_mul_hi_u32 s3, s14, s18
	s_mul_i32 s18, s3, s17
	s_add_i32 s19, s3, 1
	s_sub_i32 s18, s14, s18
	s_delay_alu instid0(VALU_DEP_1)
	v_add_co_u32 v11, vcc_lo, s12, v11
	s_sub_i32 s20, s18, s17
	s_cmp_ge_u32 s18, s17
	v_add_co_ci_u32_e32 v12, vcc_lo, s13, v12, vcc_lo
	s_cselect_b32 s3, s19, s3
	s_cselect_b32 s18, s20, s18
	s_add_i32 s19, s3, 1
	s_cmp_ge_u32 s18, s17
	s_cselect_b32 s18, s19, s3
	s_delay_alu instid0(SALU_CYCLE_1) | instskip(NEXT) | instid1(SALU_CYCLE_1)
	s_mul_i32 s3, s18, s17
	s_sub_i32 s3, s14, s3
	s_lshl_b32 s14, s18, 7
	s_lshl_b32 s3, s3, 6
	s_cmp_lt_i32 s8, 9
	v_add_nc_u32_e32 v9, s3, v15
	s_delay_alu instid0(VALU_DEP_1) | instskip(SKIP_1) | instid1(VALU_DEP_1)
	v_mad_i64_i32 v[2:3], null, v9, s9, 0
	v_or_b32_e32 v9, s14, v16
	v_ashrrev_i32_e32 v10, 31, v9
	s_delay_alu instid0(VALU_DEP_3) | instskip(NEXT) | instid1(VALU_DEP_2)
	v_lshlrev_b64 v[0:1], 1, v[2:3]
	v_lshlrev_b64 v[2:3], 1, v[9:10]
	s_delay_alu instid0(VALU_DEP_2) | instskip(NEXT) | instid1(VALU_DEP_3)
	v_add_co_u32 v13, vcc_lo, s10, v0
	v_add_co_ci_u32_e32 v14, vcc_lo, s11, v1, vcc_lo
	s_delay_alu instid0(VALU_DEP_3) | instskip(NEXT) | instid1(VALU_DEP_4)
	v_add_co_u32 v9, vcc_lo, v11, v2
	v_add_co_ci_u32_e32 v10, vcc_lo, v12, v3, vcc_lo
	s_delay_alu instid0(VALU_DEP_4) | instskip(NEXT) | instid1(VALU_DEP_4)
	v_add_co_u32 v11, vcc_lo, v13, v5
	v_add_co_ci_u32_e32 v12, vcc_lo, 0, v14, vcc_lo
	v_mad_i64_i32 v[13:14], null, s16, v17, 0
	flat_load_u16 v17, v[9:10]
	flat_load_u16 v18, v[11:12]
	flat_load_u16 v19, v[9:10] offset:128
	v_lshlrev_b64 v[9:10], 1, v[13:14]
	v_lshl_or_b32 v14, v15, 3, v5
	s_delay_alu instid0(VALU_DEP_2) | instskip(NEXT) | instid1(VALU_DEP_3)
	v_add_co_u32 v9, vcc_lo, s12, v9
	v_add_co_ci_u32_e32 v10, vcc_lo, s13, v10, vcc_lo
	s_delay_alu instid0(VALU_DEP_2) | instskip(NEXT) | instid1(VALU_DEP_2)
	v_add_co_u32 v9, vcc_lo, v9, v2
	v_add_co_ci_u32_e32 v10, vcc_lo, v10, v3, vcc_lo
	flat_load_u16 v13, v[9:10]
	flat_load_u16 v12, v[11:12] offset:8
	flat_load_u16 v56, v[9:10] offset:128
	v_lshlrev_b32_e32 v10, 1, v4
	v_lshlrev_b32_e32 v9, 3, v7
	s_load_b64 s[6:7], s[6:7], 0x0
	s_delay_alu instid0(VALU_DEP_2) | instskip(NEXT) | instid1(VALU_DEP_2)
	v_lshl_add_u32 v10, v16, 3, v10
	v_add_nc_u32_e32 v11, 0x800, v9
	s_waitcnt vmcnt(5) lgkmcnt(0)
	ds_store_b16 v10, v17
	s_waitcnt vmcnt(4)
	ds_store_b16 v14, v18 offset:2048
	s_waitcnt vmcnt(3)
	ds_store_b16 v10, v19 offset:512
	s_waitcnt vmcnt(0) lgkmcnt(0)
	s_barrier
	buffer_gl0_inv
	ds_load_2addr_b64 v[15:18], v6 offset1:32
	ds_load_2addr_b64 v[19:22], v11 offset0:48 offset1:56
	ds_load_2addr_b64 v[23:26], v6 offset0:64 offset1:96
	ds_load_2addr_b64 v[27:30], v11 offset1:8
	ds_load_2addr_b64 v[31:34], v11 offset0:16 offset1:24
	ds_load_2addr_b64 v[35:38], v11 offset0:32 offset1:40
	s_waitcnt lgkmcnt(5)
	v_pk_max_f16 v11, v15, v15
	v_pk_max_f16 v15, v17, v17
	s_waitcnt lgkmcnt(3)
	v_pk_max_f16 v17, v23, v23
	ds_store_b16 v10, v13 offset:1024
	v_pk_max_f16 v13, v21, v21
	s_waitcnt lgkmcnt(3)
	v_pk_max_f16 v21, v27, v27
	v_pk_max_f16 v23, v25, v25
	;; [unrolled: 1-line block ×3, first 2 shown]
	s_waitcnt lgkmcnt(2)
	v_pk_max_f16 v27, v31, v31
	v_pk_max_f16 v29, v33, v33
	s_waitcnt lgkmcnt(1)
	v_pk_max_f16 v31, v35, v35
	v_pk_max_f16 v33, v37, v37
	;; [unrolled: 1-line block ×15, first 2 shown]
	v_pk_min_f16 v37, v13, v11
	v_pk_min_f16 v38, v13, v15
	;; [unrolled: 1-line block ×64, first 2 shown]
	v_pk_add_f16 v26, v37, 0
	v_pk_add_f16 v32, v38, 0
	v_pk_add_f16 v36, v39, 0
	v_pk_add_f16 v37, v40, 0
	v_pk_add_f16 v38, v41, 0
	v_pk_add_f16 v39, v42, 0
	v_pk_add_f16 v21, v21, 0
	v_pk_add_f16 v42, v43, 0
	v_pk_add_f16 v43, v44, 0
	v_pk_add_f16 v44, v45, 0
	v_pk_add_f16 v25, v25, 0
	v_pk_add_f16 v45, v46, 0
	v_pk_add_f16 v46, v47, 0
	v_pk_add_f16 v81, v48, 0
	v_pk_add_f16 v27, v27, 0
	v_pk_add_f16 v82, v49, 0
	v_pk_add_f16 v50, v50, 0
	v_pk_add_f16 v51, v51, 0
	v_pk_add_f16 v29, v29, 0
	v_pk_add_f16 v52, v52, 0
	v_pk_add_f16 v83, v53, 0
	v_pk_add_f16 v84, v54, 0
	v_pk_add_f16 v85, v31, 0
	v_pk_add_f16 v86, v55, 0
	v_pk_add_f16 v57, v57, 0
	v_pk_add_f16 v58, v58, 0
	v_pk_add_f16 v87, v33, 0
	v_pk_add_f16 v88, v11, 0
	v_pk_add_f16 v15, v15, 0
	v_pk_add_f16 v17, v17, 0
	v_pk_add_f16 v19, v19, 0
	v_pk_add_f16 v13, v13, 0
	v_pk_add_f16 v49, v23, v26
	v_pk_add_f16 v41, v59, v32
	v_pk_add_f16 v33, v60, v36
	v_pk_add_f16 v11, v61, v37
	v_pk_add_f16 v48, v62, v38
	v_pk_add_f16 v40, v63, v39
	v_pk_add_f16 v32, v28, v21
	v_pk_add_f16 v55, v64, v42
	v_pk_add_f16 v47, v65, v43
	v_pk_add_f16 v39, v66, v44
	v_pk_add_f16 v31, v30, v25
	v_pk_add_f16 v54, v67, v45
	v_pk_add_f16 v46, v68, v46
	v_pk_add_f16 v38, v69, v81
	v_pk_add_f16 v30, v70, v27
	v_pk_add_f16 v53, v71, v82
	v_pk_add_f16 v45, v72, v50
	v_pk_add_f16 v37, v73, v51
	v_pk_add_f16 v29, v34, v29
	v_pk_add_f16 v52, v74, v52
	v_pk_add_f16 v44, v75, v83
	v_pk_add_f16 v36, v76, v84
	v_pk_add_f16 v28, v35, v85
	v_pk_add_f16 v51, v77, v86
	v_pk_add_f16 v43, v78, v57
	v_pk_add_f16 v35, v79, v58
	v_pk_add_f16 v27, v80, v87
	v_pk_add_f16 v50, v16, v88
	v_pk_add_f16 v42, v18, v15
	v_pk_add_f16 v34, v24, v17
	v_pk_add_f16 v26, v20, v19
	v_pk_add_f16 v25, v22, v13
	ds_store_b16 v14, v12 offset:2560
	ds_store_b16 v10, v56 offset:1536
	s_waitcnt lgkmcnt(0)
	s_barrier
	buffer_gl0_inv
	s_cbranch_scc1 .LBB250_12
; %bb.10:
	v_add_nc_u32_e32 v18, 12, v4
	v_add_nc_u32_e32 v4, 8, v4
	;; [unrolled: 1-line block ×5, first 2 shown]
	v_mad_i64_i32 v[20:21], null, v18, s16, 0
	v_add_co_u32 v18, vcc_lo, s12, v2
	v_add_co_ci_u32_e32 v19, vcc_lo, s13, v3, vcc_lo
	v_mad_i64_i32 v[2:3], null, v4, s16, 0
	v_add_co_u32 v4, vcc_lo, v0, v5
	v_add_co_ci_u32_e32 v5, vcc_lo, 0, v1, vcc_lo
	v_lshlrev_b64 v[0:1], 1, v[20:21]
	s_delay_alu instid0(VALU_DEP_3) | instskip(NEXT) | instid1(VALU_DEP_3)
	v_add_co_u32 v4, vcc_lo, v4, s10
	v_add_co_ci_u32_e32 v5, vcc_lo, s11, v5, vcc_lo
	v_lshlrev_b64 v[2:3], 1, v[2:3]
	s_delay_alu instid0(VALU_DEP_3)
	v_add_co_u32 v4, vcc_lo, v4, 16
	v_or_b32_e32 v15, 0x400, v10
	v_lshl_add_u32 v16, v7, 3, 0xa00
	v_add_nc_u32_e32 v17, 0x400, v6
	v_add_co_ci_u32_e32 v5, vcc_lo, 0, v5, vcc_lo
	s_ashr_i32 s17, s16, 31
	s_add_i32 s10, s8, -8
	s_lshl_b64 s[8:9], s[16:17], 4
	s_mov_b32 s11, 0
.LBB250_11:                             ; =>This Inner Loop Header: Depth=1
	v_add_co_u32 v20, vcc_lo, v18, v2
	v_add_co_ci_u32_e32 v21, vcc_lo, v19, v3, vcc_lo
	v_add_co_u32 v76, vcc_lo, v18, v0
	flat_load_u16 v24, v[4:5]
	s_clause 0x1
	flat_load_u16 v78, v[20:21]
	flat_load_u16 v79, v[20:21] offset:128
	v_add_co_ci_u32_e32 v77, vcc_lo, v19, v1, vcc_lo
	ds_load_2addr_b64 v[20:23], v16 offset0:48 offset1:56
	ds_load_2addr_b64 v[56:59], v17 offset1:32
	ds_load_2addr_b64 v[60:63], v17 offset0:64 offset1:96
	ds_load_2addr_b64 v[64:67], v16 offset1:8
	ds_load_2addr_b64 v[68:71], v16 offset0:16 offset1:24
	ds_load_2addr_b64 v[72:75], v16 offset0:32 offset1:40
	v_add_co_u32 v18, vcc_lo, v18, s8
	v_add_co_ci_u32_e32 v19, vcc_lo, s9, v19, vcc_lo
	s_add_i32 s11, s11, 8
	s_waitcnt vmcnt(2) lgkmcnt(8)
	ds_store_b16 v12, v24
	s_waitcnt vmcnt(1) lgkmcnt(8)
	ds_store_b16 v10, v78
	s_waitcnt vmcnt(0) lgkmcnt(8)
	ds_store_b16 v10, v79 offset:512
	s_waitcnt lgkmcnt(0)
	s_barrier
	buffer_gl0_inv
	flat_load_u16 v78, v[4:5] offset:8
	s_clause 0x1
	flat_load_u16 v79, v[76:77]
	flat_load_u16 v76, v[76:77] offset:128
	v_pk_max_f16 v22, v22, v22
	v_pk_max_f16 v56, v56, v56
	;; [unrolled: 1-line block ×24, first 2 shown]
	v_pk_min_f16 v75, v64, v56
	v_pk_min_f16 v77, v64, v58
	;; [unrolled: 1-line block ×64, first 2 shown]
	v_pk_add_f16 v41, v97, v41
	v_pk_add_f16 v33, v98, v33
	;; [unrolled: 1-line block ×42, first 2 shown]
	ds_load_2addr_b64 v[20:23], v6 offset1:32
	ds_load_2addr_b64 v[24:27], v13 offset0:48 offset1:56
	ds_load_2addr_b64 v[28:31], v6 offset0:64 offset1:96
	ds_load_2addr_b64 v[32:35], v13 offset1:8
	ds_load_2addr_b64 v[36:39], v13 offset0:16 offset1:24
	ds_load_2addr_b64 v[40:43], v13 offset0:32 offset1:40
	v_pk_add_f16 v49, v96, v49
	v_pk_add_f16 v48, v77, v48
	;; [unrolled: 1-line block ×14, first 2 shown]
	s_waitcnt lgkmcnt(5)
	v_pk_max_f16 v20, v20, v20
	s_waitcnt lgkmcnt(4)
	v_pk_max_f16 v26, v26, v26
	v_pk_max_f16 v22, v22, v22
	s_waitcnt lgkmcnt(3)
	v_pk_max_f16 v28, v28, v28
	s_waitcnt lgkmcnt(2)
	v_pk_max_f16 v32, v32, v32
	v_pk_max_f16 v30, v30, v30
	;; [unrolled: 1-line block ×3, first 2 shown]
	s_waitcnt lgkmcnt(1)
	v_pk_max_f16 v36, v36, v36
	v_pk_max_f16 v38, v38, v38
	s_waitcnt lgkmcnt(0)
	v_pk_max_f16 v40, v40, v40
	v_pk_max_f16 v42, v42, v42
	;; [unrolled: 1-line block ×3, first 2 shown]
	v_pk_add_f16 v47, v102, v47
	v_pk_add_f16 v54, v104, v54
	;; [unrolled: 1-line block ×8, first 2 shown]
	v_pk_max_f16 v21, v21, v21
	v_pk_max_f16 v23, v23, v23
	;; [unrolled: 1-line block ×12, first 2 shown]
	v_pk_min_f16 v75, v32, v20
	v_pk_min_f16 v77, v32, v22
	;; [unrolled: 1-line block ×64, first 2 shown]
	v_pk_add_f16 v27, v96, v49
	v_pk_add_f16 v29, v97, v56
	;; [unrolled: 1-line block ×32, first 2 shown]
	v_add_co_u32 v4, vcc_lo, v4, 16
	v_add_co_ci_u32_e32 v5, vcc_lo, 0, v5, vcc_lo
	v_pk_add_f16 v49, v33, v27
	v_pk_add_f16 v41, v39, v29
	;; [unrolled: 1-line block ×32, first 2 shown]
	s_cmp_ge_i32 s11, s10
	s_waitcnt vmcnt(2)
	ds_store_b16 v14, v78
	s_waitcnt vmcnt(1)
	ds_store_b16 v15, v79
	s_waitcnt vmcnt(0)
	ds_store_b16 v15, v76 offset:512
	s_waitcnt lgkmcnt(0)
	s_barrier
	buffer_gl0_inv
	s_cbranch_scc0 .LBB250_11
.LBB250_12:
	s_load_b32 s8, s[0:1], 0x50
	v_dual_mov_b32 v61, 0 :: v_dual_add_nc_u32 v56, s14, v8
	ds_load_b64 v[0:1], v6 offset:1024
	ds_load_b64 v[2:3], v9 offset:2560
	v_add_nc_u32_e32 v22, s3, v7
	v_cmp_neq_f16_e64 s9, s15, 0
	v_mov_b32_e32 v20, 0
	s_delay_alu instid0(VALU_DEP_3) | instskip(NEXT) | instid1(VALU_DEP_3)
	v_ashrrev_i32_e32 v23, 31, v22
	s_and_b32 vcc_lo, exec_lo, s9
	s_delay_alu instid0(VALU_DEP_1) | instskip(SKIP_2) | instid1(VALU_DEP_1)
	v_lshlrev_b64 v[16:17], 1, v[22:23]
	s_waitcnt lgkmcnt(0)
	v_mad_i64_i32 v[4:5], null, v56, s8, 0
	v_lshlrev_b64 v[4:5], 1, v[4:5]
	s_delay_alu instid0(VALU_DEP_1) | instskip(NEXT) | instid1(VALU_DEP_1)
	v_add_co_u32 v66, s3, s4, v4
	v_add_co_ci_u32_e64 v67, s3, s5, v5, s3
	s_cbranch_vccz .LBB250_14
; %bb.13:
	s_delay_alu instid0(VALU_DEP_2) | instskip(NEXT) | instid1(VALU_DEP_2)
	v_add_co_u32 v4, vcc_lo, v66, v16
	v_add_co_ci_u32_e32 v5, vcc_lo, v67, v17, vcc_lo
	flat_load_u16 v4, v[4:5]
	s_waitcnt vmcnt(0) lgkmcnt(0)
	v_mul_f16_e32 v20, s15, v4
.LBB250_14:
	s_clause 0x1
	s_load_b32 s3, s[0:1], 0x68
	s_load_b64 s[0:1], s[0:1], 0x70
	v_pk_max_f16 v69, v0, v0
	v_pk_max_f16 v57, v2, v2
	;; [unrolled: 1-line block ×4, first 2 shown]
	ds_load_b64 v[23:24], v9 offset:3008
	ds_load_b64 v[18:19], v6 offset:1792
	ds_load_2addr_b64 v[0:3], v6 offset0:160 offset1:192
	v_pk_min_f16 v4, v57, v69
	v_add_nc_u32_e32 v5, 0x800, v9
	v_pk_min_f16 v6, v58, v68
	v_add_nc_u32_e32 v59, 8, v22
	v_cndmask_b32_e64 v21, 0, 1, s9
	v_pk_add_f16 v4, v4, v11
	ds_load_2addr_b64 v[12:15], v5 offset0:72 offset1:80
	v_ashrrev_i32_e32 v60, 31, v59
	v_pk_add_f16 v64, v6, v4
	ds_load_2addr_b64 v[8:11], v5 offset0:88 offset1:96
	ds_load_2addr_b64 v[4:7], v5 offset0:104 offset1:112
	s_waitcnt lgkmcnt(0)
	v_mad_i64_i32 v[62:63], null, v56, s3, 0
	s_lshl_b64 s[10:11], s[0:1], 1
	v_lshrrev_b32_e32 v65, 16, v64
	s_add_u32 s1, s6, s10
	s_addc_u32 s6, s7, s11
	v_cmp_ne_u32_e64 s0, 1, v21
	s_delay_alu instid0(VALU_DEP_2) | instskip(NEXT) | instid1(VALU_DEP_4)
	v_add_f16_e32 v21, v64, v65
	v_lshlrev_b64 v[62:63], 1, v[62:63]
	s_delay_alu instid0(VALU_DEP_2) | instskip(SKIP_1) | instid1(VALU_DEP_3)
	v_add_f16_e32 v64, v21, v20
	v_lshlrev_b64 v[20:21], 1, v[59:60]
	v_add_co_u32 v70, vcc_lo, s1, v62
	s_delay_alu instid0(VALU_DEP_4) | instskip(NEXT) | instid1(VALU_DEP_2)
	v_add_co_ci_u32_e32 v71, vcc_lo, s6, v63, vcc_lo
	v_add_co_u32 v62, vcc_lo, v70, v16
	s_delay_alu instid0(VALU_DEP_2)
	v_add_co_ci_u32_e32 v63, vcc_lo, v71, v17, vcc_lo
	s_and_not1_b32 vcc_lo, exec_lo, s9
	global_store_b16 v[62:63], v64, off
	s_cbranch_vccnz .LBB250_16
; %bb.15:
	v_add_co_u32 v59, vcc_lo, v66, v20
	v_add_co_ci_u32_e32 v60, vcc_lo, v67, v21, vcc_lo
	flat_load_u16 v59, v[59:60]
	s_waitcnt vmcnt(0) lgkmcnt(0)
	v_mul_f16_e32 v61, s15, v59
.LBB250_16:
	v_pk_max_f16 v59, v12, v12
	v_pk_max_f16 v60, v13, v13
	v_add_co_u32 v64, vcc_lo, v70, v20
	v_add_co_ci_u32_e32 v65, vcc_lo, v71, v21, vcc_lo
	s_delay_alu instid0(VALU_DEP_4) | instskip(NEXT) | instid1(VALU_DEP_4)
	v_pk_min_f16 v12, v59, v69
	v_pk_min_f16 v13, v60, v68
	s_and_b32 vcc_lo, exec_lo, s0
	v_mov_b32_e32 v63, 0
	s_delay_alu instid0(VALU_DEP_3) | instskip(NEXT) | instid1(VALU_DEP_1)
	v_pk_add_f16 v12, v12, v55
	v_pk_add_f16 v55, v13, v12
	v_add_nc_u32_e32 v12, 16, v22
	s_delay_alu instid0(VALU_DEP_2) | instskip(NEXT) | instid1(VALU_DEP_2)
	v_lshrrev_b32_e32 v62, 16, v55
	v_ashrrev_i32_e32 v13, 31, v12
	s_delay_alu instid0(VALU_DEP_2) | instskip(NEXT) | instid1(VALU_DEP_2)
	v_add_f16_e32 v55, v55, v62
	v_lshlrev_b64 v[12:13], 1, v[12:13]
	v_mov_b32_e32 v62, 0
	s_delay_alu instid0(VALU_DEP_3)
	v_add_f16_e32 v55, v55, v61
	global_store_b16 v[64:65], v55, off
	s_cbranch_vccnz .LBB250_18
; %bb.17:
	v_add_co_u32 v61, vcc_lo, v66, v12
	v_add_co_ci_u32_e32 v62, vcc_lo, v67, v13, vcc_lo
	flat_load_u16 v55, v[61:62]
	s_waitcnt vmcnt(0) lgkmcnt(0)
	v_mul_f16_e32 v62, s15, v55
.LBB250_18:
	v_pk_max_f16 v55, v14, v14
	v_pk_max_f16 v61, v15, v15
	s_delay_alu instid0(VALU_DEP_2) | instskip(NEXT) | instid1(VALU_DEP_2)
	v_pk_min_f16 v14, v55, v69
	v_pk_min_f16 v15, v61, v68
	s_delay_alu instid0(VALU_DEP_2) | instskip(NEXT) | instid1(VALU_DEP_1)
	v_pk_add_f16 v14, v14, v54
	v_pk_add_f16 v54, v15, v14
	v_add_nc_u32_e32 v14, 24, v22
	s_delay_alu instid0(VALU_DEP_2) | instskip(NEXT) | instid1(VALU_DEP_2)
	v_lshrrev_b32_e32 v64, 16, v54
	v_ashrrev_i32_e32 v15, 31, v14
	s_delay_alu instid0(VALU_DEP_2) | instskip(SKIP_1) | instid1(VALU_DEP_3)
	v_add_f16_e32 v54, v54, v64
	v_add_co_u32 v64, vcc_lo, v70, v12
	v_lshlrev_b64 v[14:15], 1, v[14:15]
	v_add_co_ci_u32_e32 v65, vcc_lo, v71, v13, vcc_lo
	s_delay_alu instid0(VALU_DEP_4)
	v_add_f16_e32 v54, v54, v62
	s_and_b32 vcc_lo, exec_lo, s0
	global_store_b16 v[64:65], v54, off
	s_cbranch_vccnz .LBB250_20
; %bb.19:
	v_add_co_u32 v62, vcc_lo, v66, v14
	v_add_co_ci_u32_e32 v63, vcc_lo, v67, v15, vcc_lo
	flat_load_u16 v54, v[62:63]
	s_waitcnt vmcnt(0) lgkmcnt(0)
	v_mul_f16_e32 v63, s15, v54
.LBB250_20:
	v_pk_max_f16 v54, v8, v8
	v_pk_max_f16 v62, v9, v9
	v_add_co_u32 v72, vcc_lo, v70, v14
	v_add_co_ci_u32_e32 v73, vcc_lo, v71, v15, vcc_lo
	s_delay_alu instid0(VALU_DEP_4) | instskip(NEXT) | instid1(VALU_DEP_4)
	v_pk_min_f16 v8, v54, v69
	v_pk_min_f16 v9, v62, v68
	s_and_b32 vcc_lo, exec_lo, s0
	v_mov_b32_e32 v65, 0
	s_delay_alu instid0(VALU_DEP_3) | instskip(NEXT) | instid1(VALU_DEP_1)
	v_pk_add_f16 v8, v8, v53
	v_pk_add_f16 v53, v9, v8
	v_add_nc_u32_e32 v8, 32, v22
	s_delay_alu instid0(VALU_DEP_2) | instskip(NEXT) | instid1(VALU_DEP_2)
	v_lshrrev_b32_e32 v64, 16, v53
	v_ashrrev_i32_e32 v9, 31, v8
	s_delay_alu instid0(VALU_DEP_2) | instskip(NEXT) | instid1(VALU_DEP_2)
	v_add_f16_e32 v53, v53, v64
	v_lshlrev_b64 v[8:9], 1, v[8:9]
	v_mov_b32_e32 v64, 0
	s_delay_alu instid0(VALU_DEP_3)
	v_add_f16_e32 v53, v53, v63
	global_store_b16 v[72:73], v53, off
	s_cbranch_vccnz .LBB250_22
; %bb.21:
	v_add_co_u32 v63, vcc_lo, v66, v8
	v_add_co_ci_u32_e32 v64, vcc_lo, v67, v9, vcc_lo
	flat_load_u16 v53, v[63:64]
	s_waitcnt vmcnt(0) lgkmcnt(0)
	v_mul_f16_e32 v64, s15, v53
.LBB250_22:
	v_pk_max_f16 v53, v10, v10
	v_pk_max_f16 v63, v11, v11
	s_delay_alu instid0(VALU_DEP_2) | instskip(NEXT) | instid1(VALU_DEP_2)
	v_pk_min_f16 v10, v53, v69
	v_pk_min_f16 v11, v63, v68
	s_delay_alu instid0(VALU_DEP_2) | instskip(NEXT) | instid1(VALU_DEP_1)
	v_pk_add_f16 v10, v10, v52
	v_pk_add_f16 v52, v11, v10
	v_add_nc_u32_e32 v10, 40, v22
	s_delay_alu instid0(VALU_DEP_2) | instskip(NEXT) | instid1(VALU_DEP_2)
	v_lshrrev_b32_e32 v72, 16, v52
	v_ashrrev_i32_e32 v11, 31, v10
	s_delay_alu instid0(VALU_DEP_2) | instskip(SKIP_1) | instid1(VALU_DEP_3)
	v_add_f16_e32 v52, v52, v72
	v_add_co_u32 v72, vcc_lo, v70, v8
	v_lshlrev_b64 v[10:11], 1, v[10:11]
	v_add_co_ci_u32_e32 v73, vcc_lo, v71, v9, vcc_lo
	s_delay_alu instid0(VALU_DEP_4)
	v_add_f16_e32 v52, v52, v64
	s_and_b32 vcc_lo, exec_lo, s0
	global_store_b16 v[72:73], v52, off
	s_cbranch_vccnz .LBB250_24
; %bb.23:
	v_add_co_u32 v64, vcc_lo, v66, v10
	v_add_co_ci_u32_e32 v65, vcc_lo, v67, v11, vcc_lo
	flat_load_u16 v52, v[64:65]
	s_waitcnt vmcnt(0) lgkmcnt(0)
	v_mul_f16_e32 v65, s15, v52
.LBB250_24:
	v_pk_max_f16 v52, v4, v4
	v_pk_max_f16 v64, v5, v5
	v_add_co_u32 v74, vcc_lo, v70, v10
	v_add_co_ci_u32_e32 v75, vcc_lo, v71, v11, vcc_lo
	s_delay_alu instid0(VALU_DEP_4) | instskip(NEXT) | instid1(VALU_DEP_4)
	v_pk_min_f16 v4, v52, v69
	v_pk_min_f16 v5, v64, v68
	s_and_b32 vcc_lo, exec_lo, s0
	v_mov_b32_e32 v73, 0
	s_delay_alu instid0(VALU_DEP_3) | instskip(NEXT) | instid1(VALU_DEP_1)
	v_pk_add_f16 v4, v4, v51
	v_pk_add_f16 v51, v5, v4
	v_add_nc_u32_e32 v4, 48, v22
	s_delay_alu instid0(VALU_DEP_2) | instskip(NEXT) | instid1(VALU_DEP_2)
	v_lshrrev_b32_e32 v72, 16, v51
	v_ashrrev_i32_e32 v5, 31, v4
	s_delay_alu instid0(VALU_DEP_2) | instskip(NEXT) | instid1(VALU_DEP_2)
	v_add_f16_e32 v51, v51, v72
	v_lshlrev_b64 v[4:5], 1, v[4:5]
	v_mov_b32_e32 v72, 0
	s_delay_alu instid0(VALU_DEP_3)
	v_add_f16_e32 v51, v51, v65
	global_store_b16 v[74:75], v51, off
	s_cbranch_vccnz .LBB250_26
; %bb.25:
	v_add_co_u32 v73, vcc_lo, v66, v4
	v_add_co_ci_u32_e32 v74, vcc_lo, v67, v5, vcc_lo
	flat_load_u16 v51, v[73:74]
	s_waitcnt vmcnt(0) lgkmcnt(0)
	v_mul_f16_e32 v73, s15, v51
.LBB250_26:
	v_pk_max_f16 v51, v6, v6
	v_pk_max_f16 v65, v7, v7
	v_add_co_u32 v74, vcc_lo, v70, v4
	v_add_co_ci_u32_e32 v75, vcc_lo, v71, v5, vcc_lo
	s_delay_alu instid0(VALU_DEP_4) | instskip(NEXT) | instid1(VALU_DEP_4)
	v_pk_min_f16 v6, v51, v69
	v_pk_min_f16 v7, v65, v68
	s_and_b32 vcc_lo, exec_lo, s0
	s_delay_alu instid0(VALU_DEP_2) | instskip(NEXT) | instid1(VALU_DEP_1)
	v_pk_add_f16 v6, v6, v50
	v_pk_add_f16 v50, v7, v6
	v_add_nc_u32_e32 v6, 56, v22
	s_delay_alu instid0(VALU_DEP_2) | instskip(NEXT) | instid1(VALU_DEP_2)
	v_lshrrev_b32_e32 v22, 16, v50
	v_ashrrev_i32_e32 v7, 31, v6
	s_delay_alu instid0(VALU_DEP_2) | instskip(NEXT) | instid1(VALU_DEP_2)
	v_add_f16_e32 v22, v50, v22
	v_lshlrev_b64 v[6:7], 1, v[6:7]
	s_delay_alu instid0(VALU_DEP_2)
	v_add_f16_e32 v22, v22, v73
	global_store_b16 v[74:75], v22, off
	s_cbranch_vccnz .LBB250_28
; %bb.27:
	v_add_co_u32 v66, vcc_lo, v66, v6
	v_add_co_ci_u32_e32 v67, vcc_lo, v67, v7, vcc_lo
	flat_load_u16 v22, v[66:67]
	s_waitcnt vmcnt(0) lgkmcnt(0)
	v_mul_f16_e32 v72, s15, v22
.LBB250_28:
	v_pk_max_f16 v22, v23, v23
	v_pk_max_f16 v23, v24, v24
	v_add_nc_u32_e32 v67, 32, v56
	s_delay_alu instid0(VALU_DEP_3) | instskip(NEXT) | instid1(VALU_DEP_3)
	v_pk_min_f16 v24, v22, v69
	v_pk_min_f16 v66, v23, v68
	v_add_co_u32 v69, vcc_lo, v70, v6
	v_add_co_ci_u32_e32 v70, vcc_lo, v71, v7, vcc_lo
	s_delay_alu instid0(VALU_DEP_4) | instskip(SKIP_2) | instid1(VALU_DEP_3)
	v_pk_add_f16 v24, v24, v49
	v_mad_i64_i32 v[49:50], null, v67, s8, 0
	v_mov_b32_e32 v68, 0
	v_pk_add_f16 v24, v66, v24
	s_delay_alu instid0(VALU_DEP_3) | instskip(NEXT) | instid1(VALU_DEP_2)
	v_lshlrev_b64 v[49:50], 1, v[49:50]
	v_lshrrev_b32_e32 v66, 16, v24
	s_delay_alu instid0(VALU_DEP_1) | instskip(NEXT) | instid1(VALU_DEP_3)
	v_add_f16_e32 v66, v24, v66
	v_add_co_u32 v24, vcc_lo, s4, v49
	s_delay_alu instid0(VALU_DEP_4) | instskip(NEXT) | instid1(VALU_DEP_3)
	v_add_co_ci_u32_e32 v49, vcc_lo, s5, v50, vcc_lo
	v_add_f16_e32 v50, v66, v72
	v_mov_b32_e32 v66, 0
	s_and_b32 vcc_lo, exec_lo, s0
	global_store_b16 v[69:70], v50, off
	s_cbranch_vccnz .LBB250_30
; %bb.29:
	v_add_co_u32 v68, vcc_lo, v24, v16
	v_add_co_ci_u32_e32 v69, vcc_lo, v49, v17, vcc_lo
	flat_load_u16 v50, v[68:69]
	s_waitcnt vmcnt(0) lgkmcnt(0)
	v_mul_f16_e32 v68, s15, v50
.LBB250_30:
	v_pk_max_f16 v50, v0, v0
	v_pk_max_f16 v0, v1, v1
	v_mad_i64_i32 v[69:70], null, v67, s3, 0
	s_delay_alu instid0(VALU_DEP_3) | instskip(NEXT) | instid1(VALU_DEP_3)
	v_pk_min_f16 v1, v57, v50
	v_pk_min_f16 v71, v58, v0
	s_delay_alu instid0(VALU_DEP_3) | instskip(NEXT) | instid1(VALU_DEP_3)
	v_lshlrev_b64 v[69:70], 1, v[69:70]
	v_pk_add_f16 v1, v1, v48
	s_delay_alu instid0(VALU_DEP_1) | instskip(NEXT) | instid1(VALU_DEP_1)
	v_pk_add_f16 v1, v71, v1
	v_lshrrev_b32_e32 v48, 16, v1
	s_delay_alu instid0(VALU_DEP_1) | instskip(SKIP_2) | instid1(VALU_DEP_3)
	v_add_f16_e32 v67, v1, v48
	v_add_co_u32 v1, vcc_lo, s1, v69
	v_add_co_ci_u32_e32 v48, vcc_lo, s6, v70, vcc_lo
	v_add_f16_e32 v69, v67, v68
	s_delay_alu instid0(VALU_DEP_3) | instskip(NEXT) | instid1(VALU_DEP_3)
	v_add_co_u32 v67, vcc_lo, v1, v16
	v_add_co_ci_u32_e32 v68, vcc_lo, v48, v17, vcc_lo
	s_and_b32 vcc_lo, exec_lo, s0
	global_store_b16 v[67:68], v69, off
	s_cbranch_vccnz .LBB250_32
; %bb.31:
	v_add_co_u32 v66, vcc_lo, v24, v20
	v_add_co_ci_u32_e32 v67, vcc_lo, v49, v21, vcc_lo
	flat_load_u16 v66, v[66:67]
	s_waitcnt vmcnt(0) lgkmcnt(0)
	v_mul_f16_e32 v66, s15, v66
.LBB250_32:
	v_pk_min_f16 v67, v59, v50
	v_pk_min_f16 v68, v60, v0
	s_delay_alu instid0(VALU_DEP_2) | instskip(NEXT) | instid1(VALU_DEP_1)
	v_pk_add_f16 v47, v67, v47
	v_pk_add_f16 v47, v68, v47
	s_delay_alu instid0(VALU_DEP_1) | instskip(NEXT) | instid1(VALU_DEP_1)
	v_lshrrev_b32_e32 v67, 16, v47
	v_add_f16_e32 v47, v47, v67
	v_add_co_u32 v67, vcc_lo, v1, v20
	v_add_co_ci_u32_e32 v68, vcc_lo, v48, v21, vcc_lo
	s_delay_alu instid0(VALU_DEP_3)
	v_add_f16_e32 v69, v47, v66
	v_dual_mov_b32 v47, 0 :: v_dual_mov_b32 v66, 0
	s_and_b32 vcc_lo, exec_lo, s0
	global_store_b16 v[67:68], v69, off
	s_cbranch_vccnz .LBB250_34
; %bb.33:
	v_add_co_u32 v66, vcc_lo, v24, v12
	v_add_co_ci_u32_e32 v67, vcc_lo, v49, v13, vcc_lo
	flat_load_u16 v66, v[66:67]
	s_waitcnt vmcnt(0) lgkmcnt(0)
	v_mul_f16_e32 v66, s15, v66
.LBB250_34:
	v_pk_min_f16 v67, v55, v50
	v_pk_min_f16 v68, v61, v0
	s_delay_alu instid0(VALU_DEP_2) | instskip(NEXT) | instid1(VALU_DEP_1)
	v_pk_add_f16 v46, v67, v46
	v_pk_add_f16 v46, v68, v46
	s_delay_alu instid0(VALU_DEP_1) | instskip(NEXT) | instid1(VALU_DEP_1)
	v_lshrrev_b32_e32 v67, 16, v46
	v_add_f16_e32 v46, v46, v67
	s_delay_alu instid0(VALU_DEP_1)
	v_add_f16_e32 v46, v46, v66
	v_add_co_u32 v66, vcc_lo, v1, v12
	v_add_co_ci_u32_e32 v67, vcc_lo, v48, v13, vcc_lo
	s_and_b32 vcc_lo, exec_lo, s0
	global_store_b16 v[66:67], v46, off
	s_cbranch_vccnz .LBB250_36
; %bb.35:
	v_add_co_u32 v46, vcc_lo, v24, v14
	v_add_co_ci_u32_e32 v47, vcc_lo, v49, v15, vcc_lo
	flat_load_u16 v46, v[46:47]
	s_waitcnt vmcnt(0) lgkmcnt(0)
	v_mul_f16_e32 v47, s15, v46
.LBB250_36:
	v_pk_min_f16 v46, v54, v50
	v_pk_min_f16 v66, v62, v0
	s_delay_alu instid0(VALU_DEP_2) | instskip(NEXT) | instid1(VALU_DEP_1)
	v_pk_add_f16 v45, v46, v45
	v_pk_add_f16 v45, v66, v45
	v_add_co_u32 v66, vcc_lo, v1, v14
	v_add_co_ci_u32_e32 v67, vcc_lo, v48, v15, vcc_lo
	s_delay_alu instid0(VALU_DEP_3) | instskip(SKIP_1) | instid1(VALU_DEP_1)
	v_lshrrev_b32_e32 v46, 16, v45
	s_and_b32 vcc_lo, exec_lo, s0
	v_add_f16_e32 v45, v45, v46
	v_mov_b32_e32 v46, 0
	s_delay_alu instid0(VALU_DEP_2)
	v_add_f16_e32 v47, v45, v47
	v_mov_b32_e32 v45, 0
	global_store_b16 v[66:67], v47, off
	s_cbranch_vccnz .LBB250_38
; %bb.37:
	v_add_co_u32 v46, vcc_lo, v24, v8
	v_add_co_ci_u32_e32 v47, vcc_lo, v49, v9, vcc_lo
	flat_load_u16 v46, v[46:47]
	s_waitcnt vmcnt(0) lgkmcnt(0)
	v_mul_f16_e32 v46, s15, v46
.LBB250_38:
	v_pk_min_f16 v47, v53, v50
	v_pk_min_f16 v66, v63, v0
	s_delay_alu instid0(VALU_DEP_2) | instskip(NEXT) | instid1(VALU_DEP_1)
	v_pk_add_f16 v44, v47, v44
	v_pk_add_f16 v44, v66, v44
	s_delay_alu instid0(VALU_DEP_1) | instskip(NEXT) | instid1(VALU_DEP_1)
	v_lshrrev_b32_e32 v47, 16, v44
	v_add_f16_e32 v44, v44, v47
	s_delay_alu instid0(VALU_DEP_1)
	v_add_f16_e32 v44, v44, v46
	v_add_co_u32 v46, vcc_lo, v1, v8
	v_add_co_ci_u32_e32 v47, vcc_lo, v48, v9, vcc_lo
	s_and_b32 vcc_lo, exec_lo, s0
	global_store_b16 v[46:47], v44, off
	s_cbranch_vccnz .LBB250_40
; %bb.39:
	v_add_co_u32 v44, vcc_lo, v24, v10
	v_add_co_ci_u32_e32 v45, vcc_lo, v49, v11, vcc_lo
	flat_load_u16 v44, v[44:45]
	s_waitcnt vmcnt(0) lgkmcnt(0)
	v_mul_f16_e32 v45, s15, v44
.LBB250_40:
	v_pk_min_f16 v44, v52, v50
	v_pk_min_f16 v46, v64, v0
	s_delay_alu instid0(VALU_DEP_2) | instskip(NEXT) | instid1(VALU_DEP_1)
	v_pk_add_f16 v43, v44, v43
	v_pk_add_f16 v43, v46, v43
	v_add_co_u32 v46, vcc_lo, v1, v10
	v_add_co_ci_u32_e32 v47, vcc_lo, v48, v11, vcc_lo
	s_delay_alu instid0(VALU_DEP_3) | instskip(SKIP_1) | instid1(VALU_DEP_1)
	v_lshrrev_b32_e32 v44, 16, v43
	s_and_b32 vcc_lo, exec_lo, s0
	v_add_f16_e32 v43, v43, v44
	v_mov_b32_e32 v44, 0
	s_delay_alu instid0(VALU_DEP_2)
	v_add_f16_e32 v45, v43, v45
	v_mov_b32_e32 v43, 0
	global_store_b16 v[46:47], v45, off
	s_cbranch_vccnz .LBB250_42
; %bb.41:
	v_add_co_u32 v44, vcc_lo, v24, v4
	v_add_co_ci_u32_e32 v45, vcc_lo, v49, v5, vcc_lo
	flat_load_u16 v44, v[44:45]
	s_waitcnt vmcnt(0) lgkmcnt(0)
	v_mul_f16_e32 v44, s15, v44
.LBB250_42:
	v_pk_min_f16 v45, v51, v50
	v_pk_min_f16 v46, v65, v0
	s_delay_alu instid0(VALU_DEP_2) | instskip(NEXT) | instid1(VALU_DEP_1)
	v_pk_add_f16 v42, v45, v42
	v_pk_add_f16 v42, v46, v42
	s_delay_alu instid0(VALU_DEP_1) | instskip(NEXT) | instid1(VALU_DEP_1)
	v_lshrrev_b32_e32 v45, 16, v42
	v_add_f16_e32 v42, v42, v45
	s_delay_alu instid0(VALU_DEP_1)
	v_add_f16_e32 v42, v42, v44
	v_add_co_u32 v44, vcc_lo, v1, v4
	v_add_co_ci_u32_e32 v45, vcc_lo, v48, v5, vcc_lo
	s_and_b32 vcc_lo, exec_lo, s0
	global_store_b16 v[44:45], v42, off
	s_cbranch_vccnz .LBB250_44
; %bb.43:
	v_add_co_u32 v42, vcc_lo, v24, v6
	v_add_co_ci_u32_e32 v43, vcc_lo, v49, v7, vcc_lo
	flat_load_u16 v24, v[42:43]
	s_waitcnt vmcnt(0) lgkmcnt(0)
	v_mul_f16_e32 v43, s15, v24
.LBB250_44:
	v_pk_min_f16 v24, v22, v50
	v_pk_min_f16 v0, v23, v0
	v_add_nc_u32_e32 v44, 64, v56
	v_add_co_u32 v45, vcc_lo, v1, v6
	s_delay_alu instid0(VALU_DEP_4) | instskip(SKIP_1) | instid1(VALU_DEP_2)
	v_pk_add_f16 v24, v24, v41
	v_add_co_ci_u32_e32 v46, vcc_lo, v48, v7, vcc_lo
	v_pk_add_f16 v0, v0, v24
	s_delay_alu instid0(VALU_DEP_1) | instskip(NEXT) | instid1(VALU_DEP_1)
	v_lshrrev_b32_e32 v24, 16, v0
	v_add_f16_e32 v0, v0, v24
	s_delay_alu instid0(VALU_DEP_1) | instskip(SKIP_4) | instid1(VALU_DEP_1)
	v_add_f16_e32 v0, v0, v43
	v_mov_b32_e32 v43, 0
	v_mad_i64_i32 v[41:42], null, v44, s8, 0
	global_store_b16 v[45:46], v0, off
	v_lshlrev_b64 v[41:42], 1, v[41:42]
	v_add_co_u32 v1, vcc_lo, s4, v41
	s_delay_alu instid0(VALU_DEP_2)
	v_add_co_ci_u32_e32 v24, vcc_lo, s5, v42, vcc_lo
	v_mov_b32_e32 v42, 0
	s_and_b32 vcc_lo, exec_lo, s0
	s_cbranch_vccnz .LBB250_46
; %bb.45:
	v_add_co_u32 v45, vcc_lo, v1, v16
	v_add_co_ci_u32_e32 v46, vcc_lo, v24, v17, vcc_lo
	flat_load_u16 v0, v[45:46]
	s_waitcnt vmcnt(0) lgkmcnt(0)
	v_mul_f16_e32 v43, s15, v0
.LBB250_46:
	v_pk_max_f16 v41, v2, v2
	v_pk_max_f16 v0, v3, v3
	s_delay_alu instid0(VALU_DEP_2) | instskip(NEXT) | instid1(VALU_DEP_2)
	v_pk_min_f16 v2, v57, v41
	v_pk_min_f16 v45, v58, v0
	s_delay_alu instid0(VALU_DEP_2) | instskip(SKIP_1) | instid1(VALU_DEP_2)
	v_pk_add_f16 v40, v2, v40
	v_mad_i64_i32 v[2:3], null, v44, s3, 0
	v_pk_add_f16 v40, v45, v40
	s_delay_alu instid0(VALU_DEP_2) | instskip(NEXT) | instid1(VALU_DEP_2)
	v_lshlrev_b64 v[2:3], 1, v[2:3]
	v_lshrrev_b32_e32 v44, 16, v40
	s_delay_alu instid0(VALU_DEP_2) | instskip(NEXT) | instid1(VALU_DEP_2)
	v_add_co_u32 v2, vcc_lo, s1, v2
	v_add_f16_e32 v40, v40, v44
	s_delay_alu instid0(VALU_DEP_4) | instskip(NEXT) | instid1(VALU_DEP_2)
	v_add_co_ci_u32_e32 v3, vcc_lo, s6, v3, vcc_lo
	v_add_f16_e32 v40, v40, v43
	s_delay_alu instid0(VALU_DEP_4) | instskip(NEXT) | instid1(VALU_DEP_3)
	v_add_co_u32 v43, vcc_lo, v2, v16
	v_add_co_ci_u32_e32 v44, vcc_lo, v3, v17, vcc_lo
	s_and_b32 vcc_lo, exec_lo, s0
	global_store_b16 v[43:44], v40, off
	s_cbranch_vccnz .LBB250_48
; %bb.47:
	v_add_co_u32 v42, vcc_lo, v1, v20
	v_add_co_ci_u32_e32 v43, vcc_lo, v24, v21, vcc_lo
	flat_load_u16 v40, v[42:43]
	s_waitcnt vmcnt(0) lgkmcnt(0)
	v_mul_f16_e32 v42, s15, v40
.LBB250_48:
	v_pk_min_f16 v40, v59, v41
	v_pk_min_f16 v43, v60, v0
	s_delay_alu instid0(VALU_DEP_2) | instskip(NEXT) | instid1(VALU_DEP_1)
	v_pk_add_f16 v39, v40, v39
	v_pk_add_f16 v39, v43, v39
	v_add_co_u32 v43, vcc_lo, v2, v20
	v_add_co_ci_u32_e32 v44, vcc_lo, v3, v21, vcc_lo
	s_delay_alu instid0(VALU_DEP_3) | instskip(SKIP_1) | instid1(VALU_DEP_1)
	v_lshrrev_b32_e32 v40, 16, v39
	s_and_b32 vcc_lo, exec_lo, s0
	v_add_f16_e32 v39, v39, v40
	v_mov_b32_e32 v40, 0
	s_delay_alu instid0(VALU_DEP_2)
	v_add_f16_e32 v42, v39, v42
	v_mov_b32_e32 v39, 0
	global_store_b16 v[43:44], v42, off
	s_cbranch_vccnz .LBB250_50
; %bb.49:
	v_add_co_u32 v42, vcc_lo, v1, v12
	v_add_co_ci_u32_e32 v43, vcc_lo, v24, v13, vcc_lo
	flat_load_u16 v40, v[42:43]
	s_waitcnt vmcnt(0) lgkmcnt(0)
	v_mul_f16_e32 v40, s15, v40
.LBB250_50:
	v_pk_min_f16 v42, v55, v41
	v_pk_min_f16 v43, v61, v0
	s_delay_alu instid0(VALU_DEP_2) | instskip(NEXT) | instid1(VALU_DEP_1)
	v_pk_add_f16 v38, v42, v38
	v_pk_add_f16 v38, v43, v38
	s_delay_alu instid0(VALU_DEP_1) | instskip(NEXT) | instid1(VALU_DEP_1)
	v_lshrrev_b32_e32 v42, 16, v38
	v_add_f16_e32 v38, v38, v42
	v_add_co_u32 v42, vcc_lo, v2, v12
	v_add_co_ci_u32_e32 v43, vcc_lo, v3, v13, vcc_lo
	s_delay_alu instid0(VALU_DEP_3)
	v_add_f16_e32 v38, v38, v40
	s_and_b32 vcc_lo, exec_lo, s0
	global_store_b16 v[42:43], v38, off
	s_cbranch_vccnz .LBB250_52
; %bb.51:
	v_add_co_u32 v38, vcc_lo, v1, v14
	v_add_co_ci_u32_e32 v39, vcc_lo, v24, v15, vcc_lo
	flat_load_u16 v38, v[38:39]
	s_waitcnt vmcnt(0) lgkmcnt(0)
	v_mul_f16_e32 v39, s15, v38
.LBB250_52:
	v_pk_min_f16 v38, v54, v41
	v_pk_min_f16 v40, v62, v0
	v_add_co_u32 v42, vcc_lo, v2, v14
	v_add_co_ci_u32_e32 v43, vcc_lo, v3, v15, vcc_lo
	s_delay_alu instid0(VALU_DEP_4) | instskip(SKIP_1) | instid1(VALU_DEP_1)
	v_pk_add_f16 v37, v38, v37
	s_and_b32 vcc_lo, exec_lo, s0
	v_pk_add_f16 v37, v40, v37
	s_delay_alu instid0(VALU_DEP_1) | instskip(NEXT) | instid1(VALU_DEP_1)
	v_lshrrev_b32_e32 v38, 16, v37
	v_add_f16_e32 v37, v37, v38
	v_mov_b32_e32 v38, 0
	s_delay_alu instid0(VALU_DEP_2)
	v_add_f16_e32 v39, v37, v39
	v_mov_b32_e32 v37, 0
	global_store_b16 v[42:43], v39, off
	s_cbranch_vccnz .LBB250_54
; %bb.53:
	v_add_co_u32 v38, vcc_lo, v1, v8
	v_add_co_ci_u32_e32 v39, vcc_lo, v24, v9, vcc_lo
	flat_load_u16 v38, v[38:39]
	s_waitcnt vmcnt(0) lgkmcnt(0)
	v_mul_f16_e32 v38, s15, v38
.LBB250_54:
	v_pk_min_f16 v39, v53, v41
	v_pk_min_f16 v40, v63, v0
	s_delay_alu instid0(VALU_DEP_2) | instskip(NEXT) | instid1(VALU_DEP_1)
	v_pk_add_f16 v36, v39, v36
	v_pk_add_f16 v36, v40, v36
	s_delay_alu instid0(VALU_DEP_1) | instskip(NEXT) | instid1(VALU_DEP_1)
	v_lshrrev_b32_e32 v39, 16, v36
	v_add_f16_e32 v36, v36, v39
	s_delay_alu instid0(VALU_DEP_1)
	v_add_f16_e32 v36, v36, v38
	v_add_co_u32 v38, vcc_lo, v2, v8
	v_add_co_ci_u32_e32 v39, vcc_lo, v3, v9, vcc_lo
	s_and_b32 vcc_lo, exec_lo, s0
	global_store_b16 v[38:39], v36, off
	s_cbranch_vccnz .LBB250_56
; %bb.55:
	v_add_co_u32 v36, vcc_lo, v1, v10
	v_add_co_ci_u32_e32 v37, vcc_lo, v24, v11, vcc_lo
	flat_load_u16 v36, v[36:37]
	s_waitcnt vmcnt(0) lgkmcnt(0)
	v_mul_f16_e32 v37, s15, v36
.LBB250_56:
	v_pk_min_f16 v36, v52, v41
	v_pk_min_f16 v38, v64, v0
	s_delay_alu instid0(VALU_DEP_2) | instskip(NEXT) | instid1(VALU_DEP_1)
	v_pk_add_f16 v35, v36, v35
	v_pk_add_f16 v35, v38, v35
	v_add_co_u32 v38, vcc_lo, v2, v10
	v_add_co_ci_u32_e32 v39, vcc_lo, v3, v11, vcc_lo
	s_delay_alu instid0(VALU_DEP_3) | instskip(SKIP_1) | instid1(VALU_DEP_1)
	v_lshrrev_b32_e32 v36, 16, v35
	s_and_b32 vcc_lo, exec_lo, s0
	v_add_f16_e32 v35, v35, v36
	v_mov_b32_e32 v36, 0
	s_delay_alu instid0(VALU_DEP_2)
	v_add_f16_e32 v37, v35, v37
	v_mov_b32_e32 v35, 0
	global_store_b16 v[38:39], v37, off
	s_cbranch_vccnz .LBB250_58
; %bb.57:
	v_add_co_u32 v36, vcc_lo, v1, v4
	v_add_co_ci_u32_e32 v37, vcc_lo, v24, v5, vcc_lo
	flat_load_u16 v36, v[36:37]
	s_waitcnt vmcnt(0) lgkmcnt(0)
	v_mul_f16_e32 v36, s15, v36
.LBB250_58:
	v_pk_min_f16 v37, v51, v41
	v_pk_min_f16 v38, v65, v0
	s_delay_alu instid0(VALU_DEP_2) | instskip(NEXT) | instid1(VALU_DEP_1)
	v_pk_add_f16 v34, v37, v34
	v_pk_add_f16 v34, v38, v34
	s_delay_alu instid0(VALU_DEP_1) | instskip(NEXT) | instid1(VALU_DEP_1)
	v_lshrrev_b32_e32 v37, 16, v34
	v_add_f16_e32 v34, v34, v37
	s_delay_alu instid0(VALU_DEP_1)
	v_add_f16_e32 v34, v34, v36
	v_add_co_u32 v36, vcc_lo, v2, v4
	v_add_co_ci_u32_e32 v37, vcc_lo, v3, v5, vcc_lo
	s_and_b32 vcc_lo, exec_lo, s0
	global_store_b16 v[36:37], v34, off
	s_cbranch_vccnz .LBB250_60
; %bb.59:
	v_add_co_u32 v34, vcc_lo, v1, v6
	v_add_co_ci_u32_e32 v35, vcc_lo, v24, v7, vcc_lo
	flat_load_u16 v1, v[34:35]
	s_waitcnt vmcnt(0) lgkmcnt(0)
	v_mul_f16_e32 v35, s15, v1
.LBB250_60:
	v_pk_min_f16 v1, v22, v41
	v_pk_min_f16 v24, v23, v0
	v_add_nc_u32_e32 v34, 0x60, v56
	v_add_co_u32 v2, vcc_lo, v2, v6
	s_delay_alu instid0(VALU_DEP_4) | instskip(SKIP_1) | instid1(VALU_DEP_2)
	v_pk_add_f16 v33, v1, v33
	v_add_co_ci_u32_e32 v3, vcc_lo, v3, v7, vcc_lo
	v_pk_add_f16 v24, v24, v33
	s_delay_alu instid0(VALU_DEP_1) | instskip(NEXT) | instid1(VALU_DEP_1)
	v_lshrrev_b32_e32 v33, 16, v24
	v_add_f16_e32 v24, v24, v33
	v_mov_b32_e32 v33, 0
	v_mad_i64_i32 v[0:1], null, v34, s8, 0
	s_delay_alu instid0(VALU_DEP_3) | instskip(SKIP_1) | instid1(VALU_DEP_3)
	v_add_f16_e32 v35, v24, v35
	v_mov_b32_e32 v24, 0
	v_lshlrev_b64 v[0:1], 1, v[0:1]
	global_store_b16 v[2:3], v35, off
	v_add_co_u32 v0, vcc_lo, s4, v0
	v_add_co_ci_u32_e32 v1, vcc_lo, s5, v1, vcc_lo
	s_and_b32 vcc_lo, exec_lo, s0
	s_cbranch_vccnz .LBB250_62
; %bb.61:
	s_delay_alu instid0(VALU_DEP_2) | instskip(NEXT) | instid1(VALU_DEP_2)
	v_add_co_u32 v2, vcc_lo, v0, v16
	v_add_co_ci_u32_e32 v3, vcc_lo, v1, v17, vcc_lo
	flat_load_u16 v2, v[2:3]
	s_waitcnt vmcnt(0) lgkmcnt(0)
	v_mul_f16_e32 v33, s15, v2
.LBB250_62:
	v_pk_max_f16 v2, v18, v18
	v_pk_max_f16 v3, v19, v19
	s_delay_alu instid0(VALU_DEP_2) | instskip(NEXT) | instid1(VALU_DEP_2)
	v_pk_min_f16 v18, v57, v2
	v_pk_min_f16 v35, v58, v3
	s_delay_alu instid0(VALU_DEP_2) | instskip(SKIP_1) | instid1(VALU_DEP_2)
	v_pk_add_f16 v32, v18, v32
	v_mad_i64_i32 v[18:19], null, v34, s3, 0
	v_pk_add_f16 v32, v35, v32
	s_delay_alu instid0(VALU_DEP_2) | instskip(NEXT) | instid1(VALU_DEP_2)
	v_lshlrev_b64 v[18:19], 1, v[18:19]
	v_lshrrev_b32_e32 v34, 16, v32
	s_delay_alu instid0(VALU_DEP_2) | instskip(NEXT) | instid1(VALU_DEP_2)
	v_add_co_u32 v18, vcc_lo, s1, v18
	v_add_f16_e32 v32, v32, v34
	s_delay_alu instid0(VALU_DEP_4) | instskip(NEXT) | instid1(VALU_DEP_3)
	v_add_co_ci_u32_e32 v19, vcc_lo, s6, v19, vcc_lo
	v_add_co_u32 v16, vcc_lo, v18, v16
	s_delay_alu instid0(VALU_DEP_3) | instskip(NEXT) | instid1(VALU_DEP_3)
	v_add_f16_e32 v32, v32, v33
	v_add_co_ci_u32_e32 v17, vcc_lo, v19, v17, vcc_lo
	s_and_b32 vcc_lo, exec_lo, s0
	global_store_b16 v[16:17], v32, off
	s_cbranch_vccnz .LBB250_64
; %bb.63:
	v_add_co_u32 v16, vcc_lo, v0, v20
	v_add_co_ci_u32_e32 v17, vcc_lo, v1, v21, vcc_lo
	flat_load_u16 v16, v[16:17]
	s_waitcnt vmcnt(0) lgkmcnt(0)
	v_mul_f16_e32 v24, s15, v16
.LBB250_64:
	v_pk_min_f16 v16, v59, v2
	v_pk_min_f16 v17, v60, v3
	v_add_co_u32 v20, vcc_lo, v18, v20
	v_add_co_ci_u32_e32 v21, vcc_lo, v19, v21, vcc_lo
	s_delay_alu instid0(VALU_DEP_4) | instskip(SKIP_1) | instid1(VALU_DEP_1)
	v_pk_add_f16 v16, v16, v31
	s_and_b32 vcc_lo, exec_lo, s0
	v_pk_add_f16 v16, v17, v16
	s_delay_alu instid0(VALU_DEP_1) | instskip(NEXT) | instid1(VALU_DEP_1)
	v_lshrrev_b32_e32 v17, 16, v16
	v_add_f16_e32 v16, v16, v17
	v_mov_b32_e32 v17, 0
	s_delay_alu instid0(VALU_DEP_2)
	v_add_f16_e32 v24, v16, v24
	v_mov_b32_e32 v16, 0
	global_store_b16 v[20:21], v24, off
	s_cbranch_vccnz .LBB250_66
; %bb.65:
	v_add_co_u32 v20, vcc_lo, v0, v12
	v_add_co_ci_u32_e32 v21, vcc_lo, v1, v13, vcc_lo
	flat_load_u16 v17, v[20:21]
	s_waitcnt vmcnt(0) lgkmcnt(0)
	v_mul_f16_e32 v17, s15, v17
.LBB250_66:
	v_pk_min_f16 v20, v55, v2
	v_pk_min_f16 v21, v61, v3
	v_add_co_u32 v12, vcc_lo, v18, v12
	v_add_co_ci_u32_e32 v13, vcc_lo, v19, v13, vcc_lo
	s_delay_alu instid0(VALU_DEP_4) | instskip(SKIP_1) | instid1(VALU_DEP_1)
	v_pk_add_f16 v20, v20, v30
	s_and_b32 vcc_lo, exec_lo, s0
	v_pk_add_f16 v20, v21, v20
	s_delay_alu instid0(VALU_DEP_1) | instskip(NEXT) | instid1(VALU_DEP_1)
	v_lshrrev_b32_e32 v21, 16, v20
	v_add_f16_e32 v20, v20, v21
	s_delay_alu instid0(VALU_DEP_1)
	v_add_f16_e32 v17, v20, v17
	global_store_b16 v[12:13], v17, off
	s_cbranch_vccnz .LBB250_68
; %bb.67:
	v_add_co_u32 v12, vcc_lo, v0, v14
	v_add_co_ci_u32_e32 v13, vcc_lo, v1, v15, vcc_lo
	flat_load_u16 v12, v[12:13]
	s_waitcnt vmcnt(0) lgkmcnt(0)
	v_mul_f16_e32 v16, s15, v12
.LBB250_68:
	v_pk_min_f16 v12, v54, v2
	v_pk_min_f16 v13, v62, v3
	v_add_co_u32 v14, vcc_lo, v18, v14
	v_add_co_ci_u32_e32 v15, vcc_lo, v19, v15, vcc_lo
	s_delay_alu instid0(VALU_DEP_4) | instskip(SKIP_1) | instid1(VALU_DEP_1)
	v_pk_add_f16 v12, v12, v29
	s_and_b32 vcc_lo, exec_lo, s0
	v_pk_add_f16 v12, v13, v12
	s_delay_alu instid0(VALU_DEP_1) | instskip(NEXT) | instid1(VALU_DEP_1)
	v_lshrrev_b32_e32 v13, 16, v12
	v_add_f16_e32 v12, v12, v13
	v_mov_b32_e32 v13, 0
	s_delay_alu instid0(VALU_DEP_2)
	v_add_f16_e32 v16, v12, v16
	v_mov_b32_e32 v12, 0
	global_store_b16 v[14:15], v16, off
	s_cbranch_vccnz .LBB250_70
; %bb.69:
	v_add_co_u32 v13, vcc_lo, v0, v8
	v_add_co_ci_u32_e32 v14, vcc_lo, v1, v9, vcc_lo
	flat_load_u16 v13, v[13:14]
	s_waitcnt vmcnt(0) lgkmcnt(0)
	v_mul_f16_e32 v13, s15, v13
.LBB250_70:
	v_pk_min_f16 v14, v53, v2
	v_pk_min_f16 v15, v63, v3
	v_add_co_u32 v8, vcc_lo, v18, v8
	v_add_co_ci_u32_e32 v9, vcc_lo, v19, v9, vcc_lo
	s_delay_alu instid0(VALU_DEP_4) | instskip(SKIP_1) | instid1(VALU_DEP_1)
	v_pk_add_f16 v14, v14, v28
	s_and_b32 vcc_lo, exec_lo, s0
	v_pk_add_f16 v14, v15, v14
	s_delay_alu instid0(VALU_DEP_1) | instskip(NEXT) | instid1(VALU_DEP_1)
	v_lshrrev_b32_e32 v15, 16, v14
	v_add_f16_e32 v14, v14, v15
	s_delay_alu instid0(VALU_DEP_1)
	v_add_f16_e32 v13, v14, v13
	global_store_b16 v[8:9], v13, off
	s_cbranch_vccnz .LBB250_72
; %bb.71:
	v_add_co_u32 v8, vcc_lo, v0, v10
	v_add_co_ci_u32_e32 v9, vcc_lo, v1, v11, vcc_lo
	flat_load_u16 v8, v[8:9]
	s_waitcnt vmcnt(0) lgkmcnt(0)
	v_mul_f16_e32 v12, s15, v8
.LBB250_72:
	v_pk_min_f16 v8, v52, v2
	v_pk_min_f16 v9, v64, v3
	;; [unrolled: 1-line block ×3, first 2 shown]
	s_delay_alu instid0(VALU_DEP_3) | instskip(NEXT) | instid1(VALU_DEP_2)
	v_pk_add_f16 v8, v8, v27
	v_pk_add_f16 v13, v13, v26
	s_delay_alu instid0(VALU_DEP_2) | instskip(SKIP_1) | instid1(VALU_DEP_2)
	v_pk_add_f16 v8, v9, v8
	v_pk_min_f16 v9, v65, v3
	v_lshrrev_b32_e32 v14, 16, v8
	s_delay_alu instid0(VALU_DEP_2) | instskip(SKIP_2) | instid1(VALU_DEP_4)
	v_pk_add_f16 v13, v9, v13
	v_add_co_u32 v9, vcc_lo, v18, v10
	v_add_co_ci_u32_e32 v10, vcc_lo, v19, v11, vcc_lo
	v_add_f16_e32 v8, v8, v14
	s_delay_alu instid0(VALU_DEP_4) | instskip(SKIP_1) | instid1(VALU_DEP_2)
	v_lshrrev_b32_e32 v11, 16, v13
	s_mov_b32 vcc_lo, s2
	v_add_f16_e32 v12, v8, v12
	s_delay_alu instid0(VALU_DEP_2)
	v_add_f16_e32 v8, v13, v11
	global_store_b16 v[9:10], v12, off
	s_cbranch_vccz .LBB250_75
; %bb.73:
	v_add_co_u32 v9, vcc_lo, v18, v4
	v_add_f16_e32 v11, 0, v8
	v_add_co_ci_u32_e32 v10, vcc_lo, v19, v5, vcc_lo
	s_mov_b32 s0, 0
	global_store_b16 v[9:10], v11, off
	s_cbranch_execz .LBB250_76
; %bb.74:
	v_mov_b32_e32 v0, s0
	s_branch .LBB250_77
.LBB250_75:
	s_mov_b32 s0, -1
.LBB250_76:
	v_add_co_u32 v9, vcc_lo, v0, v4
	v_add_co_ci_u32_e32 v10, vcc_lo, v1, v5, vcc_lo
	v_add_co_u32 v4, vcc_lo, v18, v4
	v_add_co_ci_u32_e32 v5, vcc_lo, v19, v5, vcc_lo
	flat_load_u16 v9, v[9:10]
	v_add_co_u32 v0, vcc_lo, v0, v6
	v_add_co_ci_u32_e32 v1, vcc_lo, v1, v7, vcc_lo
	s_waitcnt vmcnt(0) lgkmcnt(0)
	v_fmac_f16_e32 v8, s15, v9
	global_store_b16 v[4:5], v8, off
	flat_load_u16 v0, v[0:1]
	s_waitcnt vmcnt(0) lgkmcnt(0)
	v_mul_f16_e32 v0, s15, v0
.LBB250_77:
	v_pk_min_f16 v1, v22, v2
	v_pk_min_f16 v2, v23, v3
	s_delay_alu instid0(VALU_DEP_2) | instskip(NEXT) | instid1(VALU_DEP_1)
	v_pk_add_f16 v1, v1, v25
	v_pk_add_f16 v1, v2, v1
	s_delay_alu instid0(VALU_DEP_1) | instskip(NEXT) | instid1(VALU_DEP_1)
	v_lshrrev_b32_e32 v2, 16, v1
	v_add_f16_e32 v1, v1, v2
	s_delay_alu instid0(VALU_DEP_1)
	v_add_f16_e32 v2, v1, v0
	v_add_co_u32 v0, vcc_lo, v18, v6
	v_add_co_ci_u32_e32 v1, vcc_lo, v19, v7, vcc_lo
	global_store_b16 v[0:1], v2, off
	s_nop 0
	s_sendmsg sendmsg(MSG_DEALLOC_VGPRS)
	s_endpgm
	.section	.rodata,"a",@progbits
	.p2align	6, 0x0
	.amdhsa_kernel _ZN12_GLOBAL__N_120geam_min_plus_kernelIDF16_Dv2_DF16_S1_Li8ELi32ELi64ELi128ELi4ELi4ELi64ELi64ELi4ELc84ELc84ELb1ELb0ELb0EDF16_KPKDF16_KPDF16_EEviiiT16_PT17_ilS9_ilS7_S9_ilPT18_ili26rocblas_geam_ex_operation_
		.amdhsa_group_segment_fixed_size 3072
		.amdhsa_private_segment_fixed_size 0
		.amdhsa_kernarg_size 128
		.amdhsa_user_sgpr_count 14
		.amdhsa_user_sgpr_dispatch_ptr 0
		.amdhsa_user_sgpr_queue_ptr 0
		.amdhsa_user_sgpr_kernarg_segment_ptr 1
		.amdhsa_user_sgpr_dispatch_id 0
		.amdhsa_user_sgpr_private_segment_size 0
		.amdhsa_wavefront_size32 1
		.amdhsa_uses_dynamic_stack 0
		.amdhsa_enable_private_segment 0
		.amdhsa_system_sgpr_workgroup_id_x 1
		.amdhsa_system_sgpr_workgroup_id_y 0
		.amdhsa_system_sgpr_workgroup_id_z 1
		.amdhsa_system_sgpr_workgroup_info 0
		.amdhsa_system_vgpr_workitem_id 1
		.amdhsa_next_free_vgpr 122
		.amdhsa_next_free_sgpr 22
		.amdhsa_reserve_vcc 1
		.amdhsa_float_round_mode_32 0
		.amdhsa_float_round_mode_16_64 0
		.amdhsa_float_denorm_mode_32 3
		.amdhsa_float_denorm_mode_16_64 3
		.amdhsa_dx10_clamp 1
		.amdhsa_ieee_mode 1
		.amdhsa_fp16_overflow 0
		.amdhsa_workgroup_processor_mode 1
		.amdhsa_memory_ordered 1
		.amdhsa_forward_progress 0
		.amdhsa_shared_vgpr_count 0
		.amdhsa_exception_fp_ieee_invalid_op 0
		.amdhsa_exception_fp_denorm_src 0
		.amdhsa_exception_fp_ieee_div_zero 0
		.amdhsa_exception_fp_ieee_overflow 0
		.amdhsa_exception_fp_ieee_underflow 0
		.amdhsa_exception_fp_ieee_inexact 0
		.amdhsa_exception_int_div_zero 0
	.end_amdhsa_kernel
	.section	.text._ZN12_GLOBAL__N_120geam_min_plus_kernelIDF16_Dv2_DF16_S1_Li8ELi32ELi64ELi128ELi4ELi4ELi64ELi64ELi4ELc84ELc84ELb1ELb0ELb0EDF16_KPKDF16_KPDF16_EEviiiT16_PT17_ilS9_ilS7_S9_ilPT18_ili26rocblas_geam_ex_operation_,"axG",@progbits,_ZN12_GLOBAL__N_120geam_min_plus_kernelIDF16_Dv2_DF16_S1_Li8ELi32ELi64ELi128ELi4ELi4ELi64ELi64ELi4ELc84ELc84ELb1ELb0ELb0EDF16_KPKDF16_KPDF16_EEviiiT16_PT17_ilS9_ilS7_S9_ilPT18_ili26rocblas_geam_ex_operation_,comdat
.Lfunc_end250:
	.size	_ZN12_GLOBAL__N_120geam_min_plus_kernelIDF16_Dv2_DF16_S1_Li8ELi32ELi64ELi128ELi4ELi4ELi64ELi64ELi4ELc84ELc84ELb1ELb0ELb0EDF16_KPKDF16_KPDF16_EEviiiT16_PT17_ilS9_ilS7_S9_ilPT18_ili26rocblas_geam_ex_operation_, .Lfunc_end250-_ZN12_GLOBAL__N_120geam_min_plus_kernelIDF16_Dv2_DF16_S1_Li8ELi32ELi64ELi128ELi4ELi4ELi64ELi64ELi4ELc84ELc84ELb1ELb0ELb0EDF16_KPKDF16_KPDF16_EEviiiT16_PT17_ilS9_ilS7_S9_ilPT18_ili26rocblas_geam_ex_operation_
                                        ; -- End function
	.section	.AMDGPU.csdata,"",@progbits
; Kernel info:
; codeLenInByte = 9708
; NumSgprs: 24
; NumVgprs: 122
; ScratchSize: 0
; MemoryBound: 0
; FloatMode: 240
; IeeeMode: 1
; LDSByteSize: 3072 bytes/workgroup (compile time only)
; SGPRBlocks: 2
; VGPRBlocks: 15
; NumSGPRsForWavesPerEU: 24
; NumVGPRsForWavesPerEU: 122
; Occupancy: 10
; WaveLimiterHint : 1
; COMPUTE_PGM_RSRC2:SCRATCH_EN: 0
; COMPUTE_PGM_RSRC2:USER_SGPR: 14
; COMPUTE_PGM_RSRC2:TRAP_HANDLER: 0
; COMPUTE_PGM_RSRC2:TGID_X_EN: 1
; COMPUTE_PGM_RSRC2:TGID_Y_EN: 0
; COMPUTE_PGM_RSRC2:TGID_Z_EN: 1
; COMPUTE_PGM_RSRC2:TIDIG_COMP_CNT: 1
	.section	.text._ZN12_GLOBAL__N_120geam_min_plus_kernelIDF16_Dv2_DF16_S1_Li8ELi32ELi64ELi128ELi4ELi4ELi64ELi64ELi4ELc84ELc84ELb0ELb0ELb0EDF16_KPKDF16_KPDF16_EEviiiT16_PT17_ilS9_ilS7_S9_ilPT18_ili26rocblas_geam_ex_operation_,"axG",@progbits,_ZN12_GLOBAL__N_120geam_min_plus_kernelIDF16_Dv2_DF16_S1_Li8ELi32ELi64ELi128ELi4ELi4ELi64ELi64ELi4ELc84ELc84ELb0ELb0ELb0EDF16_KPKDF16_KPDF16_EEviiiT16_PT17_ilS9_ilS7_S9_ilPT18_ili26rocblas_geam_ex_operation_,comdat
	.globl	_ZN12_GLOBAL__N_120geam_min_plus_kernelIDF16_Dv2_DF16_S1_Li8ELi32ELi64ELi128ELi4ELi4ELi64ELi64ELi4ELc84ELc84ELb0ELb0ELb0EDF16_KPKDF16_KPDF16_EEviiiT16_PT17_ilS9_ilS7_S9_ilPT18_ili26rocblas_geam_ex_operation_ ; -- Begin function _ZN12_GLOBAL__N_120geam_min_plus_kernelIDF16_Dv2_DF16_S1_Li8ELi32ELi64ELi128ELi4ELi4ELi64ELi64ELi4ELc84ELc84ELb0ELb0ELb0EDF16_KPKDF16_KPDF16_EEviiiT16_PT17_ilS9_ilS7_S9_ilPT18_ili26rocblas_geam_ex_operation_
	.p2align	8
	.type	_ZN12_GLOBAL__N_120geam_min_plus_kernelIDF16_Dv2_DF16_S1_Li8ELi32ELi64ELi128ELi4ELi4ELi64ELi64ELi4ELc84ELc84ELb0ELb0ELb0EDF16_KPKDF16_KPDF16_EEviiiT16_PT17_ilS9_ilS7_S9_ilPT18_ili26rocblas_geam_ex_operation_,@function
_ZN12_GLOBAL__N_120geam_min_plus_kernelIDF16_Dv2_DF16_S1_Li8ELi32ELi64ELi128ELi4ELi4ELi64ELi64ELi4ELc84ELc84ELb0ELb0ELb0EDF16_KPKDF16_KPDF16_EEviiiT16_PT17_ilS9_ilS7_S9_ilPT18_ili26rocblas_geam_ex_operation_: ; @_ZN12_GLOBAL__N_120geam_min_plus_kernelIDF16_Dv2_DF16_S1_Li8ELi32ELi64ELi128ELi4ELi4ELi64ELi64ELi4ELc84ELc84ELb0ELb0ELb0EDF16_KPKDF16_KPDF16_EEviiiT16_PT17_ilS9_ilS7_S9_ilPT18_ili26rocblas_geam_ex_operation_
; %bb.0:
	s_clause 0x1
	s_load_b64 s[8:9], s[0:1], 0x8
	s_load_b128 s[4:7], s[0:1], 0x20
	s_mov_b32 s16, s15
	s_mov_b32 s17, 0
	s_waitcnt lgkmcnt(0)
	v_cmp_eq_f16_e64 s2, s9, 0
	s_delay_alu instid0(VALU_DEP_1)
	s_and_b32 vcc_lo, exec_lo, s2
	s_cbranch_vccnz .LBB251_3
; %bb.1:
	s_load_b64 s[10:11], s[0:1], 0x10
	s_lshl_b64 s[12:13], s[16:17], 3
	s_waitcnt lgkmcnt(0)
	s_add_u32 s10, s10, s12
	s_addc_u32 s11, s11, s13
	s_lshl_b64 s[4:5], s[4:5], 1
	s_load_b64 s[10:11], s[10:11], 0x0
	s_waitcnt lgkmcnt(0)
	s_add_u32 s10, s10, s4
	s_addc_u32 s11, s11, s5
	s_and_not1_b32 vcc_lo, exec_lo, s2
	s_cbranch_vccnz .LBB251_4
.LBB251_2:
	s_mov_b64 s[12:13], 0
	s_and_not1_b32 vcc_lo, exec_lo, s17
	s_cbranch_vccz .LBB251_5
	s_branch .LBB251_6
.LBB251_3:
	s_mov_b64 s[10:11], 0
	s_and_not1_b32 vcc_lo, exec_lo, s2
	s_cbranch_vccz .LBB251_2
.LBB251_4:
	s_mov_b32 s17, -1
                                        ; implicit-def: $sgpr12_sgpr13
.LBB251_5:
	s_mov_b32 s17, 0
	s_load_b64 s[4:5], s[0:1], 0x38
	s_lshl_b64 s[2:3], s[16:17], 3
	s_delay_alu instid0(SALU_CYCLE_1) | instskip(SKIP_4) | instid1(SALU_CYCLE_1)
	s_add_u32 s2, s6, s2
	s_addc_u32 s3, s7, s3
	s_load_b64 s[2:3], s[2:3], 0x0
	s_waitcnt lgkmcnt(0)
	s_lshl_b64 s[4:5], s[4:5], 1
	s_add_u32 s12, s2, s4
	s_addc_u32 s13, s3, s5
.LBB251_6:
	s_clause 0x1
	s_load_b32 s18, s[0:1], 0x40
	s_load_b128 s[4:7], s[0:1], 0x58
	v_cmp_neq_f16_e64 s15, s9, 0
	s_waitcnt lgkmcnt(0)
	v_cmp_eq_f16_e64 s2, s18, 0
	s_delay_alu instid0(VALU_DEP_1) | instskip(NEXT) | instid1(SALU_CYCLE_1)
	s_and_b32 s2, exec_lo, s2
	s_mov_b32 vcc_lo, s2
	s_cbranch_vccnz .LBB251_8
; %bb.7:
	s_load_b64 s[20:21], s[0:1], 0x48
	s_lshl_b64 s[22:23], s[16:17], 3
	s_waitcnt lgkmcnt(0)
	s_add_u32 s20, s20, s22
	s_addc_u32 s21, s21, s23
	s_lshl_b64 s[4:5], s[4:5], 1
	s_load_b64 s[20:21], s[20:21], 0x0
	s_waitcnt lgkmcnt(0)
	s_add_u32 s4, s20, s4
	s_addc_u32 s5, s21, s5
	s_branch .LBB251_9
.LBB251_8:
	s_mov_b64 s[4:5], 0
.LBB251_9:
	s_clause 0x1
	s_load_b32 s3, s[0:1], 0x0
	s_load_b32 s19, s[0:1], 0x18
	s_lshl_b64 s[16:17], s[16:17], 3
	v_and_b32_e32 v47, 0x3ff, v0
	s_add_u32 s6, s6, s16
	s_addc_u32 s7, s7, s17
	v_bfe_u32 v48, v0, 10, 10
	v_cndmask_b32_e64 v0, 0, 1, s15
	v_and_b32_e32 v2, 3, v47
	s_delay_alu instid0(VALU_DEP_1) | instskip(SKIP_2) | instid1(SALU_CYCLE_1)
	v_lshlrev_b32_e32 v2, 1, v2
	s_waitcnt lgkmcnt(0)
	s_add_i32 s3, s3, -1
	s_ashr_i32 s16, s3, 31
	s_delay_alu instid0(SALU_CYCLE_1) | instskip(NEXT) | instid1(SALU_CYCLE_1)
	s_lshr_b32 s16, s16, 26
	s_add_i32 s3, s3, s16
	s_delay_alu instid0(SALU_CYCLE_1) | instskip(NEXT) | instid1(SALU_CYCLE_1)
	s_ashr_i32 s3, s3, 6
	s_add_i32 s16, s3, 1
	s_not_b32 s3, s3
	v_cvt_f32_u32_e32 v1, s16
	s_delay_alu instid0(VALU_DEP_1) | instskip(SKIP_2) | instid1(VALU_DEP_1)
	v_rcp_iflag_f32_e32 v1, v1
	s_waitcnt_depctr 0xfff
	v_mul_f32_e32 v1, 0x4f7ffffe, v1
	v_cvt_u32_f32_e32 v1, v1
	s_delay_alu instid0(VALU_DEP_1) | instskip(SKIP_1) | instid1(VALU_DEP_2)
	v_readfirstlane_b32 s17, v1
	v_lshl_add_u32 v1, v48, 3, v47
	s_mul_i32 s3, s3, s17
	s_delay_alu instid0(VALU_DEP_1) | instskip(SKIP_1) | instid1(SALU_CYCLE_1)
	v_lshrrev_b32_e32 v8, 2, v1
	s_mul_hi_u32 s3, s17, s3
	s_add_i32 s17, s17, s3
	s_delay_alu instid0(SALU_CYCLE_1) | instskip(NEXT) | instid1(SALU_CYCLE_1)
	s_mul_hi_u32 s3, s14, s17
	s_mul_i32 s17, s3, s16
	s_add_i32 s20, s3, 1
	s_sub_i32 s17, s14, s17
	s_delay_alu instid0(SALU_CYCLE_1)
	s_sub_i32 s21, s17, s16
	s_cmp_ge_u32 s17, s16
	s_cselect_b32 s3, s20, s3
	s_cselect_b32 s17, s21, s17
	s_add_i32 s20, s3, 1
	s_cmp_ge_u32 s17, s16
	s_cselect_b32 s17, s20, s3
	s_and_not1_b32 vcc_lo, exec_lo, s15
	s_mul_i32 s3, s17, s16
	s_delay_alu instid0(SALU_CYCLE_1) | instskip(SKIP_2) | instid1(SALU_CYCLE_1)
	s_sub_i32 s14, s14, s3
	v_cmp_ne_u32_e64 s3, 1, v0
	s_lshl_b32 s16, s14, 6
	v_add_nc_u32_e32 v3, s16, v8
	s_cbranch_vccnz .LBB251_11
; %bb.10:
	s_delay_alu instid0(VALU_DEP_1) | instskip(NEXT) | instid1(VALU_DEP_1)
	v_mad_i64_i32 v[4:5], null, v3, s19, 0
	v_lshlrev_b64 v[4:5], 1, v[4:5]
	s_delay_alu instid0(VALU_DEP_1) | instskip(NEXT) | instid1(VALU_DEP_2)
	v_add_co_u32 v0, vcc_lo, s10, v4
	v_add_co_ci_u32_e32 v5, vcc_lo, s11, v5, vcc_lo
	s_delay_alu instid0(VALU_DEP_2) | instskip(NEXT) | instid1(VALU_DEP_2)
	v_add_co_u32 v4, vcc_lo, v0, v2
	v_add_co_ci_u32_e32 v5, vcc_lo, 0, v5, vcc_lo
	flat_load_u16 v0, v[4:5]
	s_waitcnt vmcnt(0) lgkmcnt(0)
	v_mul_f16_e32 v9, s9, v0
	s_branch .LBB251_12
.LBB251_11:
	v_mov_b32_e32 v9, 0
.LBB251_12:
	s_load_b32 s14, s[0:1], 0x30
	v_and_b32_e32 v5, 63, v1
	s_lshl_b32 s17, s17, 7
	v_lshrrev_b32_e32 v4, 6, v1
	s_and_b32 vcc_lo, exec_lo, s3
	s_delay_alu instid0(VALU_DEP_2) | instskip(NEXT) | instid1(VALU_DEP_1)
	v_or_b32_e32 v0, s17, v5
	v_ashrrev_i32_e32 v1, 31, v0
	s_waitcnt lgkmcnt(0)
	s_ashr_i32 s15, s14, 31
	s_cbranch_vccnz .LBB251_16
; %bb.13:
	v_mad_i64_i32 v[6:7], null, s14, v4, 0
	v_lshlrev_b64 v[10:11], 1, v[0:1]
	s_delay_alu instid0(VALU_DEP_2) | instskip(NEXT) | instid1(VALU_DEP_1)
	v_lshlrev_b64 v[6:7], 1, v[6:7]
	v_add_co_u32 v6, vcc_lo, s12, v6
	s_delay_alu instid0(VALU_DEP_2) | instskip(NEXT) | instid1(VALU_DEP_2)
	v_add_co_ci_u32_e32 v7, vcc_lo, s13, v7, vcc_lo
	v_add_co_u32 v6, vcc_lo, v6, v10
	s_delay_alu instid0(VALU_DEP_2)
	v_add_co_ci_u32_e32 v7, vcc_lo, v7, v11, vcc_lo
	s_clause 0x1
	flat_load_u16 v10, v[6:7]
	flat_load_u16 v6, v[6:7] offset:128
	s_waitcnt vmcnt(1) lgkmcnt(1)
	v_mul_f16_e32 v10, s9, v10
	s_waitcnt vmcnt(0) lgkmcnt(0)
	v_mul_f16_e32 v11, s9, v6
	s_and_b32 vcc_lo, exec_lo, s3
	s_cbranch_vccnz .LBB251_17
.LBB251_14:
	v_mad_i64_i32 v[6:7], null, v3, s19, 0
	s_delay_alu instid0(VALU_DEP_1) | instskip(NEXT) | instid1(VALU_DEP_1)
	v_lshlrev_b64 v[6:7], 1, v[6:7]
	v_add_co_u32 v6, vcc_lo, s10, v6
	s_delay_alu instid0(VALU_DEP_2) | instskip(NEXT) | instid1(VALU_DEP_2)
	v_add_co_ci_u32_e32 v7, vcc_lo, s11, v7, vcc_lo
	v_add_co_u32 v6, vcc_lo, v6, v2
	s_delay_alu instid0(VALU_DEP_2)
	v_add_co_ci_u32_e32 v7, vcc_lo, 0, v7, vcc_lo
	flat_load_u16 v6, v[6:7] offset:8
	s_waitcnt vmcnt(0) lgkmcnt(0)
	v_mul_f16_e32 v6, s9, v6
	s_and_b32 vcc_lo, exec_lo, s3
	s_cbranch_vccnz .LBB251_18
.LBB251_15:
	v_add_nc_u32_e32 v7, 4, v4
	v_lshlrev_b64 v[0:1], 1, v[0:1]
	s_delay_alu instid0(VALU_DEP_2) | instskip(NEXT) | instid1(VALU_DEP_1)
	v_mad_i64_i32 v[12:13], null, s14, v7, 0
	v_lshlrev_b64 v[12:13], 1, v[12:13]
	s_delay_alu instid0(VALU_DEP_1) | instskip(NEXT) | instid1(VALU_DEP_2)
	v_add_co_u32 v7, vcc_lo, s12, v12
	v_add_co_ci_u32_e32 v12, vcc_lo, s13, v13, vcc_lo
	s_delay_alu instid0(VALU_DEP_2) | instskip(NEXT) | instid1(VALU_DEP_2)
	v_add_co_u32 v0, vcc_lo, v7, v0
	v_add_co_ci_u32_e32 v1, vcc_lo, v12, v1, vcc_lo
	s_clause 0x1
	flat_load_u16 v7, v[0:1]
	flat_load_u16 v0, v[0:1] offset:128
	s_waitcnt vmcnt(1) lgkmcnt(1)
	v_mul_f16_e32 v1, s9, v7
	s_waitcnt vmcnt(0) lgkmcnt(0)
	v_mul_f16_e32 v7, s9, v0
	s_branch .LBB251_19
.LBB251_16:
	v_dual_mov_b32 v10, 0 :: v_dual_mov_b32 v11, 0
	s_and_b32 vcc_lo, exec_lo, s3
	s_cbranch_vccz .LBB251_14
.LBB251_17:
	v_mov_b32_e32 v6, 0
	s_and_b32 vcc_lo, exec_lo, s3
	s_cbranch_vccz .LBB251_15
.LBB251_18:
	v_mov_b32_e32 v1, 0
	v_mov_b32_e32 v7, 0
.LBB251_19:
	v_lshlrev_b32_e32 v0, 1, v4
	v_lshlrev_b32_e32 v49, 3, v47
	;; [unrolled: 1-line block ×3, first 2 shown]
	s_load_b64 s[6:7], s[6:7], 0x0
	s_cmp_lt_i32 s8, 9
	v_lshl_add_u32 v59, v5, 3, v0
	v_lshl_or_b32 v0, v8, 3, v2
	v_add_nc_u32_e32 v28, 0x800, v49
	ds_store_b16 v59, v10
	ds_store_b16 v0, v9 offset:2048
	ds_store_b16 v59, v11 offset:512
	s_waitcnt lgkmcnt(0)
	s_barrier
	buffer_gl0_inv
	ds_load_2addr_b64 v[8:11], v50 offset1:32
	ds_load_2addr_b64 v[12:15], v28 offset0:48 offset1:56
	ds_load_2addr_b64 v[16:19], v50 offset0:64 offset1:96
	ds_load_2addr_b64 v[20:23], v28 offset1:8
	ds_load_2addr_b64 v[24:27], v28 offset0:16 offset1:24
	ds_load_2addr_b64 v[28:31], v28 offset0:32 offset1:40
	ds_store_b16 v59, v1 offset:1024
	ds_store_b16 v0, v6 offset:2560
	;; [unrolled: 1-line block ×3, first 2 shown]
	s_waitcnt lgkmcnt(0)
	s_barrier
	buffer_gl0_inv
	v_pk_max_f16 v8, v8, v8
	v_pk_max_f16 v10, v10, v10
	;; [unrolled: 1-line block ×8, first 2 shown]
	v_pk_min_f16 v38, v22, v8
	v_pk_max_f16 v20, v20, v20
	v_pk_min_f16 v44, v26, v10
	v_pk_max_f16 v18, v18, v18
	v_pk_min_f16 v32, v14, v8
	v_pk_add_f16 v41, v38, 0
	v_pk_min_f16 v38, v24, v8
	v_pk_min_f16 v45, v26, v16
	v_pk_add_f16 v53, v44, 0
	v_pk_min_f16 v44, v28, v10
	v_pk_max_f16 v30, v30, v30
	v_pk_add_f16 v51, v38, 0
	v_pk_min_f16 v38, v26, v8
	v_pk_max_f16 v12, v12, v12
	v_pk_max_f16 v9, v9, v9
	;; [unrolled: 1-line block ×3, first 2 shown]
	v_pk_min_f16 v33, v14, v10
	v_pk_add_f16 v52, v38, 0
	v_pk_min_f16 v38, v28, v8
	v_pk_min_f16 v34, v14, v16
	;; [unrolled: 1-line block ×5, first 2 shown]
	v_pk_add_f16 v61, v38, 0
	v_pk_min_f16 v38, v28, v16
	v_pk_min_f16 v20, v20, v18
	v_pk_add_f16 v32, v32, 0
	v_pk_min_f16 v39, v22, v10
	v_pk_min_f16 v40, v22, v16
	;; [unrolled: 1-line block ×7, first 2 shown]
	v_pk_add_f16 v60, v45, 0
	v_pk_min_f16 v28, v28, v18
	v_pk_add_f16 v67, v44, 0
	v_pk_min_f16 v44, v30, v8
	v_pk_min_f16 v45, v30, v10
	v_pk_add_f16 v68, v38, 0
	v_pk_min_f16 v38, v30, v16
	v_pk_min_f16 v30, v30, v18
	;; [unrolled: 1-line block ×6, first 2 shown]
	v_pk_max_f16 v11, v11, v11
	v_pk_min_f16 v14, v14, v18
	v_pk_min_f16 v18, v15, v9
	v_pk_add_f16 v33, v33, 0
	v_pk_add_f16 v71, v38, 0
	v_pk_max_f16 v17, v17, v17
	v_pk_min_f16 v38, v15, v11
	v_pk_max_f16 v21, v21, v21
	v_pk_add_f16 v58, v18, v32
	v_pk_max_f16 v18, v19, v19
	v_pk_add_f16 v35, v35, 0
	v_pk_add_f16 v37, v37, 0
	;; [unrolled: 1-line block ×4, first 2 shown]
	v_pk_min_f16 v19, v21, v9
	v_pk_min_f16 v32, v21, v11
	;; [unrolled: 1-line block ×4, first 2 shown]
	v_pk_max_f16 v23, v23, v23
	v_pk_add_f16 v34, v34, 0
	v_pk_add_f16 v36, v36, 0
	v_pk_add_f16 v39, v39, 0
	v_pk_add_f16 v40, v40, 0
	v_pk_add_f16 v22, v22, 0
	v_pk_add_f16 v69, v44, 0
	v_pk_add_f16 v70, v45, 0
	v_pk_min_f16 v44, v15, v17
	v_pk_add_f16 v66, v19, v35
	v_pk_add_f16 v45, v33, v37
	;; [unrolled: 1-line block ×3, first 2 shown]
	v_pk_min_f16 v19, v23, v9
	v_pk_min_f16 v20, v23, v11
	v_pk_min_f16 v21, v23, v17
	v_pk_min_f16 v23, v23, v18
	v_pk_max_f16 v25, v25, v25
	v_pk_add_f16 v42, v42, 0
	v_pk_add_f16 v43, v43, 0
	;; [unrolled: 1-line block ×9, first 2 shown]
	v_pk_min_f16 v19, v25, v9
	v_pk_min_f16 v20, v25, v11
	;; [unrolled: 1-line block ×4, first 2 shown]
	v_pk_max_f16 v23, v27, v27
	v_pk_add_f16 v26, v26, 0
	v_pk_add_f16 v64, v19, v51
	;; [unrolled: 1-line block ×5, first 2 shown]
	v_pk_min_f16 v19, v23, v9
	v_pk_min_f16 v20, v23, v11
	v_pk_min_f16 v21, v23, v17
	v_pk_min_f16 v22, v23, v18
	v_pk_max_f16 v23, v29, v29
	v_pk_add_f16 v28, v28, 0
	v_pk_add_f16 v63, v19, v52
	;; [unrolled: 1-line block ×5, first 2 shown]
	v_pk_min_f16 v19, v23, v9
	v_pk_min_f16 v20, v23, v11
	;; [unrolled: 1-line block ×4, first 2 shown]
	v_pk_max_f16 v23, v31, v31
	v_pk_max_f16 v13, v13, v13
	v_pk_add_f16 v30, v30, 0
	v_pk_add_f16 v8, v8, 0
	v_pk_add_f16 v10, v10, 0
	v_pk_add_f16 v16, v16, 0
	v_pk_add_f16 v12, v12, 0
	v_pk_add_f16 v14, v14, 0
	v_pk_add_f16 v62, v19, v61
	v_pk_add_f16 v53, v20, v67
	v_pk_add_f16 v41, v21, v68
	v_pk_add_f16 v32, v22, v28
	v_pk_min_f16 v19, v23, v9
	v_pk_min_f16 v20, v23, v11
	;; [unrolled: 1-line block ×9, first 2 shown]
	v_pk_add_f16 v61, v19, v69
	v_pk_add_f16 v52, v20, v70
	;; [unrolled: 1-line block ×9, first 2 shown]
	s_cbranch_scc1 .LBB251_33
; %bb.20:
	v_mad_i64_i32 v[7:8], null, s19, v3, 0
	v_add_nc_u32_e32 v5, s17, v5
	v_add_nc_u32_e32 v1, 12, v4
	;; [unrolled: 1-line block ×5, first 2 shown]
	v_ashrrev_i32_e32 v6, 31, v5
	v_mad_i64_i32 v[9:10], null, v1, s14, 0
	v_lshlrev_b64 v[0:1], 1, v[7:8]
	v_add_nc_u32_e32 v68, 0x800, v49
	s_delay_alu instid0(VALU_DEP_4)
	v_lshlrev_b64 v[5:6], 1, v[5:6]
	v_or_b32_e32 v70, 0x400, v59
	v_lshl_add_u32 v71, v47, 3, 0xa00
	v_lshl_add_u32 v72, v48, 3, 0x400
	v_add_co_u32 v2, vcc_lo, v0, v2
	v_add_co_ci_u32_e32 v4, vcc_lo, 0, v1, vcc_lo
	v_add_co_u32 v73, vcc_lo, s12, v5
	v_mad_i64_i32 v[0:1], null, v3, s14, 0
	v_add_co_ci_u32_e32 v74, vcc_lo, s13, v6, vcc_lo
	v_add_co_u32 v2, vcc_lo, v2, s10
	v_add_co_ci_u32_e32 v3, vcc_lo, s11, v4, vcc_lo
	v_lshlrev_b64 v[24:25], 1, v[9:10]
	s_delay_alu instid0(VALU_DEP_3) | instskip(SKIP_1) | instid1(VALU_DEP_4)
	v_add_co_u32 v28, vcc_lo, v2, 16
	v_lshlrev_b64 v[26:27], 1, v[0:1]
	v_add_co_ci_u32_e32 v29, vcc_lo, 0, v3, vcc_lo
	s_add_i32 s8, s8, -8
	s_lshl_b64 s[10:11], s[14:15], 4
	s_mov_b32 s12, 0
	s_branch .LBB251_23
.LBB251_21:                             ;   in Loop: Header=BB251_23 Depth=1
	v_add_co_u32 v0, vcc_lo, v73, v24
	v_add_co_ci_u32_e32 v1, vcc_lo, v74, v25, vcc_lo
	s_clause 0x1
	flat_load_u16 v118, v[0:1]
	flat_load_u16 v1, v[0:1] offset:128
	s_waitcnt vmcnt(1) lgkmcnt(1)
	v_mul_f16_e32 v0, s9, v118
	s_waitcnt vmcnt(0) lgkmcnt(0)
	v_mul_f16_e32 v1, s9, v1
.LBB251_22:                             ;   in Loop: Header=BB251_23 Depth=1
	v_pk_add_f16 v16, v16, v38
	v_pk_add_f16 v22, v22, v37
	;; [unrolled: 1-line block ×30, first 2 shown]
	ds_load_2addr_b64 v[30:33], v68 offset0:48 offset1:56
	ds_load_2addr_b64 v[34:37], v50 offset1:32
	ds_load_2addr_b64 v[38:41], v50 offset0:64 offset1:96
	v_pk_add_f16 v79, v115, v44
	v_pk_add_f16 v80, v117, v43
	;; [unrolled: 1-line block ×4, first 2 shown]
	ds_load_2addr_b64 v[42:45], v68 offset1:8
	v_pk_add_f16 v8, v8, v65
	v_pk_add_f16 v52, v90, v52
	;; [unrolled: 1-line block ×12, first 2 shown]
	s_waitcnt lgkmcnt(3)
	v_pk_max_f16 v32, v32, v32
	s_waitcnt lgkmcnt(2)
	v_pk_max_f16 v34, v34, v34
	v_pk_max_f16 v36, v36, v36
	s_waitcnt lgkmcnt(1)
	v_pk_max_f16 v38, v38, v38
	v_pk_add_f16 v15, v15, v52
	v_pk_add_f16 v52, v7, v63
	;; [unrolled: 1-line block ×3, first 2 shown]
	v_pk_min_f16 v6, v32, v34
	v_pk_min_f16 v7, v32, v36
	;; [unrolled: 1-line block ×3, first 2 shown]
	ds_load_2addr_b64 v[2:5], v68 offset0:16 offset1:24
	s_waitcnt lgkmcnt(1)
	v_pk_max_f16 v9, v42, v42
	v_pk_max_f16 v40, v40, v40
	v_pk_add_f16 v14, v107, v14
	v_pk_add_f16 v18, v108, v18
	;; [unrolled: 1-line block ×7, first 2 shown]
	v_pk_min_f16 v6, v9, v34
	v_pk_min_f16 v7, v9, v36
	;; [unrolled: 1-line block ×4, first 2 shown]
	v_pk_add_f16 v60, v93, v60
	v_pk_add_f16 v14, v6, v14
	;; [unrolled: 1-line block ×5, first 2 shown]
	ds_load_2addr_b64 v[6:9], v68 offset0:32 offset1:40
	v_pk_max_f16 v44, v44, v44
	v_pk_add_f16 v17, v17, v58
	v_pk_add_f16 v19, v19, v61
	;; [unrolled: 1-line block ×3, first 2 shown]
	s_waitcnt lgkmcnt(1)
	v_pk_max_f16 v2, v2, v2
	v_pk_min_f16 v58, v44, v34
	v_pk_min_f16 v60, v44, v36
	;; [unrolled: 1-line block ×4, first 2 shown]
	v_pk_max_f16 v4, v4, v4
	v_pk_add_f16 v51, v94, v51
	v_pk_add_f16 v46, v98, v46
	;; [unrolled: 1-line block ×4, first 2 shown]
	v_pk_min_f16 v44, v2, v34
	v_pk_add_f16 v10, v116, v10
	v_pk_add_f16 v55, v101, v55
	;; [unrolled: 1-line block ×5, first 2 shown]
	v_pk_min_f16 v44, v4, v36
	s_waitcnt lgkmcnt(0)
	v_pk_max_f16 v6, v6, v6
	v_pk_add_f16 v62, v58, v66
	v_pk_min_f16 v58, v2, v36
	v_pk_min_f16 v64, v2, v38
	;; [unrolled: 1-line block ×3, first 2 shown]
	v_pk_add_f16 v78, v44, v46
	v_pk_min_f16 v44, v6, v34
	v_pk_add_f16 v54, v100, v54
	v_pk_add_f16 v61, v61, v77
	v_pk_add_f16 v10, v58, v10
	v_pk_add_f16 v77, v64, v80
	v_pk_add_f16 v2, v2, v11
	v_pk_min_f16 v11, v4, v34
	v_pk_min_f16 v58, v4, v38
	;; [unrolled: 1-line block ×4, first 2 shown]
	v_pk_max_f16 v8, v8, v8
	v_pk_add_f16 v80, v44, v55
	v_pk_min_f16 v44, v6, v38
	v_pk_max_f16 v30, v30, v30
	v_pk_add_f16 v11, v11, v81
	v_pk_add_f16 v79, v58, v82
	;; [unrolled: 1-line block ×4, first 2 shown]
	v_pk_min_f16 v46, v8, v34
	v_pk_min_f16 v54, v8, v36
	v_pk_add_f16 v82, v44, v53
	v_pk_min_f16 v44, v8, v38
	v_pk_min_f16 v8, v8, v40
	;; [unrolled: 1-line block ×5, first 2 shown]
	v_pk_max_f16 v33, v33, v33
	v_pk_max_f16 v83, v37, v37
	v_pk_add_f16 v8, v8, v19
	v_pk_add_f16 v19, v34, v21
	;; [unrolled: 1-line block ×4, first 2 shown]
	v_pk_max_f16 v51, v35, v35
	v_pk_min_f16 v32, v32, v40
	v_pk_max_f16 v39, v39, v39
	v_pk_min_f16 v35, v33, v83
	v_pk_add_f16 v13, v46, v13
	v_pk_min_f16 v34, v33, v51
	v_pk_add_f16 v84, v32, v57
	v_pk_min_f16 v32, v33, v39
	v_pk_max_f16 v36, v43, v43
	v_pk_add_f16 v46, v35, v12
	v_pk_max_f16 v12, v41, v41
	v_pk_add_f16 v58, v34, v42
	v_pk_add_f16 v38, v32, v16
	v_pk_min_f16 v16, v36, v51
	v_pk_min_f16 v32, v36, v83
	v_pk_min_f16 v34, v36, v39
	v_pk_min_f16 v35, v36, v12
	v_pk_max_f16 v36, v45, v45
	v_pk_min_f16 v6, v6, v40
	v_pk_add_f16 v66, v16, v14
	v_pk_add_f16 v57, v32, v18
	v_pk_max_f16 v3, v3, v3
	v_pk_min_f16 v14, v36, v51
	v_pk_min_f16 v16, v36, v83
	;; [unrolled: 1-line block ×3, first 2 shown]
	v_pk_add_f16 v6, v6, v56
	v_pk_add_f16 v17, v44, v17
	;; [unrolled: 1-line block ×5, first 2 shown]
	v_pk_min_f16 v14, v3, v51
	v_pk_min_f16 v16, v3, v83
	;; [unrolled: 1-line block ×4, first 2 shown]
	v_pk_max_f16 v5, v5, v5
	v_pk_add_f16 v45, v34, v20
	v_pk_add_f16 v37, v35, v22
	v_pk_min_f16 v20, v36, v12
	v_pk_add_f16 v55, v16, v10
	v_pk_add_f16 v35, v3, v2
	v_pk_min_f16 v2, v5, v51
	v_pk_min_f16 v3, v5, v83
	;; [unrolled: 1-line block ×4, first 2 shown]
	v_pk_max_f16 v7, v7, v7
	v_pk_add_f16 v15, v54, v15
	v_pk_add_f16 v36, v20, v63
	;; [unrolled: 1-line block ×5, first 2 shown]
	v_pk_min_f16 v2, v7, v51
	v_pk_min_f16 v3, v7, v83
	;; [unrolled: 1-line block ×4, first 2 shown]
	v_pk_max_f16 v7, v9, v9
	v_pk_min_f16 v30, v30, v40
	v_pk_add_f16 v62, v2, v80
	v_pk_add_f16 v53, v3, v81
	;; [unrolled: 1-line block ×4, first 2 shown]
	v_pk_min_f16 v2, v7, v51
	v_pk_min_f16 v3, v7, v83
	;; [unrolled: 1-line block ×4, first 2 shown]
	v_pk_max_f16 v6, v31, v31
	v_pk_add_f16 v30, v30, v52
	v_pk_add_f16 v61, v2, v13
	v_pk_add_f16 v52, v3, v15
	v_pk_add_f16 v40, v4, v17
	v_pk_add_f16 v31, v5, v8
	v_pk_min_f16 v2, v6, v51
	v_pk_min_f16 v3, v6, v83
	;; [unrolled: 1-line block ×5, first 2 shown]
	v_add_co_u32 v73, vcc_lo, v73, s10
	v_add_co_ci_u32_e32 v74, vcc_lo, s11, v74, vcc_lo
	v_add_co_u32 v28, vcc_lo, v28, 16
	v_pk_add_f16 v64, v14, v76
	v_pk_add_f16 v43, v18, v77
	;; [unrolled: 1-line block ×8, first 2 shown]
	v_add_co_ci_u32_e32 v29, vcc_lo, 0, v29, vcc_lo
	s_add_i32 s12, s12, 8
	ds_store_b16 v69, v75
	ds_store_b16 v70, v0
	ds_store_b16 v70, v1 offset:512
	s_cmp_ge_i32 s12, s8
	s_waitcnt lgkmcnt(0)
	s_barrier
	buffer_gl0_inv
	s_cbranch_scc1 .LBB251_33
.LBB251_23:                             ; =>This Inner Loop Header: Depth=1
	v_mov_b32_e32 v75, 0
	s_and_b32 vcc_lo, exec_lo, s3
	s_cbranch_vccnz .LBB251_25
; %bb.24:                               ;   in Loop: Header=BB251_23 Depth=1
	flat_load_u16 v0, v[28:29]
	s_waitcnt vmcnt(0) lgkmcnt(0)
	v_mul_f16_e32 v75, s9, v0
.LBB251_25:                             ;   in Loop: Header=BB251_23 Depth=1
	s_and_b32 vcc_lo, exec_lo, s3
	s_cbranch_vccnz .LBB251_27
; %bb.26:                               ;   in Loop: Header=BB251_23 Depth=1
	v_add_co_u32 v0, vcc_lo, v73, v26
	v_add_co_ci_u32_e32 v1, vcc_lo, v74, v27, vcc_lo
	s_clause 0x1
	flat_load_u16 v2, v[0:1]
	flat_load_u16 v0, v[0:1] offset:128
	s_waitcnt vmcnt(1) lgkmcnt(1)
	v_mul_f16_e32 v76, s9, v2
	s_waitcnt vmcnt(0) lgkmcnt(0)
	v_mul_f16_e32 v77, s9, v0
	s_branch .LBB251_28
.LBB251_27:                             ;   in Loop: Header=BB251_23 Depth=1
	v_dual_mov_b32 v76, 0 :: v_dual_mov_b32 v77, 0
.LBB251_28:                             ;   in Loop: Header=BB251_23 Depth=1
	ds_load_2addr_b64 v[0:3], v71 offset0:48 offset1:56
	ds_load_2addr_b64 v[12:15], v72 offset0:64 offset1:96
	ds_load_2addr_b64 v[20:23], v72 offset1:32
	ds_load_2addr_b64 v[16:19], v71 offset1:8
	ds_load_2addr_b64 v[8:11], v71 offset0:16 offset1:24
	ds_load_2addr_b64 v[4:7], v71 offset0:32 offset1:40
	s_and_b32 vcc_lo, exec_lo, s3
	ds_store_b16 v67, v75
	ds_store_b16 v59, v76
	ds_store_b16 v59, v77 offset:512
	s_waitcnt lgkmcnt(0)
	s_barrier
	buffer_gl0_inv
	s_cbranch_vccnz .LBB251_30
; %bb.29:                               ;   in Loop: Header=BB251_23 Depth=1
	flat_load_u16 v75, v[28:29] offset:8
	s_waitcnt vmcnt(0) lgkmcnt(0)
	v_mul_f16_e32 v75, s9, v75
	s_branch .LBB251_31
.LBB251_30:                             ;   in Loop: Header=BB251_23 Depth=1
	v_mov_b32_e32 v75, 0
.LBB251_31:                             ;   in Loop: Header=BB251_23 Depth=1
	v_pk_max_f16 v88, v2, v2
	v_pk_max_f16 v93, v20, v20
	;; [unrolled: 1-line block ×12, first 2 shown]
	v_pk_min_f16 v2, v88, v93
	v_pk_min_f16 v12, v88, v94
	;; [unrolled: 1-line block ×25, first 2 shown]
	v_pk_max_f16 v0, v3, v3
	v_pk_max_f16 v21, v21, v21
	;; [unrolled: 1-line block ×9, first 2 shown]
	v_pk_min_f16 v107, v3, v21
	v_pk_min_f16 v108, v3, v23
	;; [unrolled: 1-line block ×4, first 2 shown]
	v_pk_max_f16 v3, v9, v9
	v_pk_max_f16 v9, v11, v11
	;; [unrolled: 1-line block ×3, first 2 shown]
	v_pk_min_f16 v22, v22, v97
	v_pk_min_f16 v78, v78, v97
	v_pk_min_f16 v81, v81, v97
	v_pk_min_f16 v84, v84, v97
	v_pk_min_f16 v87, v87, v97
	v_pk_min_f16 v92, v92, v97
	v_pk_min_f16 v102, v88, v97
	v_pk_min_f16 v104, v0, v21
	v_pk_min_f16 v105, v0, v23
	v_pk_min_f16 v106, v0, v118
	v_pk_min_f16 v111, v13, v21
	v_pk_min_f16 v112, v13, v23
	v_pk_min_f16 v113, v13, v118
	v_pk_min_f16 v114, v13, v119
	v_pk_min_f16 v115, v3, v21
	v_pk_min_f16 v116, v3, v23
	v_pk_min_f16 v117, v3, v118
	v_pk_min_f16 v11, v3, v119
	v_pk_min_f16 v97, v9, v21
	v_pk_min_f16 v98, v9, v23
	v_pk_min_f16 v99, v9, v118
	v_pk_min_f16 v100, v9, v119
	v_pk_min_f16 v101, v5, v21
	v_pk_min_f16 v103, v5, v23
	v_pk_min_f16 v3, v5, v118
	v_pk_min_f16 v5, v5, v119
	v_pk_min_f16 v13, v7, v21
	v_pk_min_f16 v15, v7, v23
	v_pk_min_f16 v17, v7, v118
	v_pk_min_f16 v19, v7, v119
	v_pk_min_f16 v21, v1, v21
	v_pk_min_f16 v23, v1, v23
	v_pk_min_f16 v88, v1, v118
	v_pk_min_f16 v7, v1, v119
	v_pk_min_f16 v9, v0, v119
	s_and_b32 vcc_lo, exec_lo, s3
	s_cbranch_vccz .LBB251_21
; %bb.32:                               ;   in Loop: Header=BB251_23 Depth=1
	v_dual_mov_b32 v0, 0 :: v_dual_mov_b32 v1, 0
	s_branch .LBB251_22
.LBB251_33:
	s_load_b32 s8, s[0:1], 0x50
	v_dual_mov_b32 v20, 0 :: v_dual_add_nc_u32 v25, s17, v48
	ds_load_b64 v[0:1], v50 offset:1024
	ds_load_b64 v[2:3], v49 offset:2560
	v_dual_mov_b32 v47, 0 :: v_dual_add_nc_u32 v22, s16, v47
	v_cmp_neq_f16_e64 s9, s18, 0
	s_delay_alu instid0(VALU_DEP_2) | instskip(NEXT) | instid1(VALU_DEP_2)
	v_ashrrev_i32_e32 v23, 31, v22
	s_and_b32 vcc_lo, exec_lo, s9
	s_delay_alu instid0(VALU_DEP_1) | instskip(SKIP_2) | instid1(VALU_DEP_1)
	v_lshlrev_b64 v[16:17], 1, v[22:23]
	s_waitcnt lgkmcnt(0)
	v_mad_i64_i32 v[4:5], null, v25, s8, 0
	v_lshlrev_b64 v[4:5], 1, v[4:5]
	s_delay_alu instid0(VALU_DEP_1) | instskip(NEXT) | instid1(VALU_DEP_1)
	v_add_co_u32 v67, s3, s4, v4
	v_add_co_ci_u32_e64 v68, s3, s5, v5, s3
	s_cbranch_vccz .LBB251_35
; %bb.34:
	s_delay_alu instid0(VALU_DEP_2) | instskip(NEXT) | instid1(VALU_DEP_2)
	v_add_co_u32 v4, vcc_lo, v67, v16
	v_add_co_ci_u32_e32 v5, vcc_lo, v68, v17, vcc_lo
	flat_load_u16 v4, v[4:5]
	s_waitcnt vmcnt(0) lgkmcnt(0)
	v_mul_f16_e32 v20, s18, v4
.LBB251_35:
	s_clause 0x1
	s_load_b32 s3, s[0:1], 0x68
	s_load_b64 s[0:1], s[0:1], 0x70
	v_pk_max_f16 v70, v0, v0
	v_pk_max_f16 v26, v2, v2
	;; [unrolled: 1-line block ×4, first 2 shown]
	ds_load_b64 v[23:24], v49 offset:3008
	ds_load_b64 v[18:19], v50 offset:1792
	v_add_nc_u32_e32 v5, 0x800, v49
	v_pk_min_f16 v4, v26, v70
	ds_load_2addr_b64 v[0:3], v50 offset0:160 offset1:192
	v_pk_min_f16 v6, v27, v69
	v_add_nc_u32_e32 v28, 8, v22
	ds_load_2addr_b64 v[12:15], v5 offset0:72 offset1:80
	v_pk_add_f16 v4, v4, v66
	v_cndmask_b32_e64 v21, 0, 1, s9
	v_ashrrev_i32_e32 v29, 31, v28
	s_delay_alu instid0(VALU_DEP_3)
	v_pk_add_f16 v50, v6, v4
	ds_load_2addr_b64 v[8:11], v5 offset0:88 offset1:96
	ds_load_2addr_b64 v[4:7], v5 offset0:104 offset1:112
	s_waitcnt lgkmcnt(0)
	v_mad_i64_i32 v[48:49], null, v25, s3, 0
	s_lshl_b64 s[10:11], s[0:1], 1
	v_lshrrev_b32_e32 v59, 16, v50
	s_add_u32 s1, s6, s10
	s_addc_u32 s6, s7, s11
	v_cmp_ne_u32_e64 s0, 1, v21
	s_delay_alu instid0(VALU_DEP_2) | instskip(NEXT) | instid1(VALU_DEP_4)
	v_add_f16_e32 v21, v50, v59
	v_lshlrev_b64 v[48:49], 1, v[48:49]
	s_delay_alu instid0(VALU_DEP_2) | instskip(SKIP_1) | instid1(VALU_DEP_3)
	v_add_f16_e32 v50, v21, v20
	v_lshlrev_b64 v[20:21], 1, v[28:29]
	v_add_co_u32 v66, vcc_lo, s1, v48
	s_delay_alu instid0(VALU_DEP_4) | instskip(NEXT) | instid1(VALU_DEP_2)
	v_add_co_ci_u32_e32 v71, vcc_lo, s6, v49, vcc_lo
	v_add_co_u32 v48, vcc_lo, v66, v16
	s_delay_alu instid0(VALU_DEP_2)
	v_add_co_ci_u32_e32 v49, vcc_lo, v71, v17, vcc_lo
	s_and_not1_b32 vcc_lo, exec_lo, s9
	global_store_b16 v[48:49], v50, off
	s_cbranch_vccnz .LBB251_37
; %bb.36:
	v_add_co_u32 v28, vcc_lo, v67, v20
	v_add_co_ci_u32_e32 v29, vcc_lo, v68, v21, vcc_lo
	flat_load_u16 v28, v[28:29]
	s_waitcnt vmcnt(0) lgkmcnt(0)
	v_mul_f16_e32 v47, s18, v28
.LBB251_37:
	v_pk_max_f16 v28, v12, v12
	v_pk_max_f16 v29, v13, v13
	v_add_co_u32 v72, vcc_lo, v66, v20
	v_add_co_ci_u32_e32 v73, vcc_lo, v71, v21, vcc_lo
	s_delay_alu instid0(VALU_DEP_4) | instskip(NEXT) | instid1(VALU_DEP_4)
	v_pk_min_f16 v12, v28, v70
	v_pk_min_f16 v13, v29, v69
	s_and_b32 vcc_lo, exec_lo, s0
	v_mov_b32_e32 v59, 0
	s_delay_alu instid0(VALU_DEP_3) | instskip(NEXT) | instid1(VALU_DEP_1)
	v_pk_add_f16 v12, v12, v65
	v_pk_add_f16 v48, v13, v12
	v_add_nc_u32_e32 v12, 16, v22
	s_delay_alu instid0(VALU_DEP_2) | instskip(NEXT) | instid1(VALU_DEP_2)
	v_lshrrev_b32_e32 v49, 16, v48
	v_ashrrev_i32_e32 v13, 31, v12
	s_delay_alu instid0(VALU_DEP_2) | instskip(NEXT) | instid1(VALU_DEP_2)
	v_add_f16_e32 v48, v48, v49
	v_lshlrev_b64 v[12:13], 1, v[12:13]
	v_mov_b32_e32 v49, 0
	s_delay_alu instid0(VALU_DEP_3)
	v_add_f16_e32 v47, v48, v47
	global_store_b16 v[72:73], v47, off
	s_cbranch_vccnz .LBB251_39
; %bb.38:
	v_add_co_u32 v47, vcc_lo, v67, v12
	v_add_co_ci_u32_e32 v48, vcc_lo, v68, v13, vcc_lo
	flat_load_u16 v47, v[47:48]
	s_waitcnt vmcnt(0) lgkmcnt(0)
	v_mul_f16_e32 v49, s18, v47
.LBB251_39:
	v_pk_max_f16 v47, v14, v14
	v_pk_max_f16 v48, v15, v15
	s_delay_alu instid0(VALU_DEP_2) | instskip(NEXT) | instid1(VALU_DEP_2)
	v_pk_min_f16 v14, v47, v70
	v_pk_min_f16 v15, v48, v69
	s_delay_alu instid0(VALU_DEP_2) | instskip(NEXT) | instid1(VALU_DEP_1)
	v_pk_add_f16 v14, v14, v64
	v_pk_add_f16 v50, v15, v14
	v_add_nc_u32_e32 v14, 24, v22
	s_delay_alu instid0(VALU_DEP_2) | instskip(NEXT) | instid1(VALU_DEP_2)
	v_lshrrev_b32_e32 v64, 16, v50
	v_ashrrev_i32_e32 v15, 31, v14
	s_delay_alu instid0(VALU_DEP_2) | instskip(SKIP_1) | instid1(VALU_DEP_3)
	v_add_f16_e32 v50, v50, v64
	v_add_co_u32 v64, vcc_lo, v66, v12
	v_lshlrev_b64 v[14:15], 1, v[14:15]
	v_add_co_ci_u32_e32 v65, vcc_lo, v71, v13, vcc_lo
	s_delay_alu instid0(VALU_DEP_4)
	v_add_f16_e32 v49, v50, v49
	s_and_b32 vcc_lo, exec_lo, s0
	global_store_b16 v[64:65], v49, off
	s_cbranch_vccnz .LBB251_41
; %bb.40:
	v_add_co_u32 v49, vcc_lo, v67, v14
	v_add_co_ci_u32_e32 v50, vcc_lo, v68, v15, vcc_lo
	flat_load_u16 v49, v[49:50]
	s_waitcnt vmcnt(0) lgkmcnt(0)
	v_mul_f16_e32 v59, s18, v49
.LBB251_41:
	v_pk_max_f16 v49, v8, v8
	v_pk_max_f16 v50, v9, v9
	v_add_co_u32 v72, vcc_lo, v66, v14
	v_add_co_ci_u32_e32 v73, vcc_lo, v71, v15, vcc_lo
	s_delay_alu instid0(VALU_DEP_4) | instskip(NEXT) | instid1(VALU_DEP_4)
	v_pk_min_f16 v8, v49, v70
	v_pk_min_f16 v9, v50, v69
	s_and_b32 vcc_lo, exec_lo, s0
	v_mov_b32_e32 v65, 0
	s_delay_alu instid0(VALU_DEP_3) | instskip(NEXT) | instid1(VALU_DEP_1)
	v_pk_add_f16 v8, v8, v63
	v_pk_add_f16 v63, v9, v8
	v_add_nc_u32_e32 v8, 32, v22
	s_delay_alu instid0(VALU_DEP_2) | instskip(NEXT) | instid1(VALU_DEP_2)
	v_lshrrev_b32_e32 v64, 16, v63
	v_ashrrev_i32_e32 v9, 31, v8
	s_delay_alu instid0(VALU_DEP_2) | instskip(NEXT) | instid1(VALU_DEP_2)
	v_add_f16_e32 v63, v63, v64
	v_lshlrev_b64 v[8:9], 1, v[8:9]
	v_mov_b32_e32 v64, 0
	s_delay_alu instid0(VALU_DEP_3)
	v_add_f16_e32 v59, v63, v59
	global_store_b16 v[72:73], v59, off
	s_cbranch_vccnz .LBB251_43
; %bb.42:
	v_add_co_u32 v63, vcc_lo, v67, v8
	v_add_co_ci_u32_e32 v64, vcc_lo, v68, v9, vcc_lo
	flat_load_u16 v59, v[63:64]
	s_waitcnt vmcnt(0) lgkmcnt(0)
	v_mul_f16_e32 v64, s18, v59
.LBB251_43:
	v_pk_max_f16 v59, v10, v10
	v_pk_max_f16 v63, v11, v11
	s_delay_alu instid0(VALU_DEP_2) | instskip(NEXT) | instid1(VALU_DEP_2)
	v_pk_min_f16 v10, v59, v70
	v_pk_min_f16 v11, v63, v69
	s_delay_alu instid0(VALU_DEP_2) | instskip(NEXT) | instid1(VALU_DEP_1)
	v_pk_add_f16 v10, v10, v62
	v_pk_add_f16 v62, v11, v10
	v_add_nc_u32_e32 v10, 40, v22
	s_delay_alu instid0(VALU_DEP_2) | instskip(NEXT) | instid1(VALU_DEP_2)
	v_lshrrev_b32_e32 v72, 16, v62
	v_ashrrev_i32_e32 v11, 31, v10
	s_delay_alu instid0(VALU_DEP_2) | instskip(SKIP_1) | instid1(VALU_DEP_3)
	v_add_f16_e32 v62, v62, v72
	v_add_co_u32 v72, vcc_lo, v66, v8
	v_lshlrev_b64 v[10:11], 1, v[10:11]
	v_add_co_ci_u32_e32 v73, vcc_lo, v71, v9, vcc_lo
	s_delay_alu instid0(VALU_DEP_4)
	v_add_f16_e32 v62, v62, v64
	s_and_b32 vcc_lo, exec_lo, s0
	global_store_b16 v[72:73], v62, off
	s_cbranch_vccnz .LBB251_45
; %bb.44:
	v_add_co_u32 v64, vcc_lo, v67, v10
	v_add_co_ci_u32_e32 v65, vcc_lo, v68, v11, vcc_lo
	flat_load_u16 v62, v[64:65]
	s_waitcnt vmcnt(0) lgkmcnt(0)
	v_mul_f16_e32 v65, s18, v62
.LBB251_45:
	v_pk_max_f16 v62, v4, v4
	v_pk_max_f16 v64, v5, v5
	v_add_co_u32 v74, vcc_lo, v66, v10
	v_add_co_ci_u32_e32 v75, vcc_lo, v71, v11, vcc_lo
	s_delay_alu instid0(VALU_DEP_4) | instskip(NEXT) | instid1(VALU_DEP_4)
	v_pk_min_f16 v4, v62, v70
	v_pk_min_f16 v5, v64, v69
	s_and_b32 vcc_lo, exec_lo, s0
	v_mov_b32_e32 v73, 0
	s_delay_alu instid0(VALU_DEP_3) | instskip(NEXT) | instid1(VALU_DEP_1)
	v_pk_add_f16 v4, v4, v61
	v_pk_add_f16 v61, v5, v4
	v_add_nc_u32_e32 v4, 48, v22
	s_delay_alu instid0(VALU_DEP_2) | instskip(NEXT) | instid1(VALU_DEP_2)
	v_lshrrev_b32_e32 v72, 16, v61
	v_ashrrev_i32_e32 v5, 31, v4
	s_delay_alu instid0(VALU_DEP_2) | instskip(NEXT) | instid1(VALU_DEP_2)
	v_add_f16_e32 v61, v61, v72
	v_lshlrev_b64 v[4:5], 1, v[4:5]
	v_mov_b32_e32 v72, 0
	s_delay_alu instid0(VALU_DEP_3)
	v_add_f16_e32 v61, v61, v65
	global_store_b16 v[74:75], v61, off
	s_cbranch_vccnz .LBB251_47
; %bb.46:
	v_add_co_u32 v73, vcc_lo, v67, v4
	v_add_co_ci_u32_e32 v74, vcc_lo, v68, v5, vcc_lo
	flat_load_u16 v61, v[73:74]
	s_waitcnt vmcnt(0) lgkmcnt(0)
	v_mul_f16_e32 v73, s18, v61
.LBB251_47:
	v_pk_max_f16 v61, v6, v6
	v_pk_max_f16 v65, v7, v7
	v_add_co_u32 v74, vcc_lo, v66, v4
	v_add_co_ci_u32_e32 v75, vcc_lo, v71, v5, vcc_lo
	s_delay_alu instid0(VALU_DEP_4) | instskip(NEXT) | instid1(VALU_DEP_4)
	v_pk_min_f16 v6, v61, v70
	v_pk_min_f16 v7, v65, v69
	s_and_b32 vcc_lo, exec_lo, s0
	s_delay_alu instid0(VALU_DEP_2) | instskip(NEXT) | instid1(VALU_DEP_1)
	v_pk_add_f16 v6, v6, v60
	v_pk_add_f16 v60, v7, v6
	v_add_nc_u32_e32 v6, 56, v22
	s_delay_alu instid0(VALU_DEP_2) | instskip(NEXT) | instid1(VALU_DEP_2)
	v_lshrrev_b32_e32 v22, 16, v60
	v_ashrrev_i32_e32 v7, 31, v6
	s_delay_alu instid0(VALU_DEP_2) | instskip(NEXT) | instid1(VALU_DEP_2)
	v_add_f16_e32 v22, v60, v22
	v_lshlrev_b64 v[6:7], 1, v[6:7]
	s_delay_alu instid0(VALU_DEP_2)
	v_add_f16_e32 v22, v22, v73
	global_store_b16 v[74:75], v22, off
	s_cbranch_vccnz .LBB251_49
; %bb.48:
	v_add_co_u32 v67, vcc_lo, v67, v6
	v_add_co_ci_u32_e32 v68, vcc_lo, v68, v7, vcc_lo
	flat_load_u16 v22, v[67:68]
	s_waitcnt vmcnt(0) lgkmcnt(0)
	v_mul_f16_e32 v72, s18, v22
.LBB251_49:
	v_pk_max_f16 v22, v23, v23
	v_pk_max_f16 v23, v24, v24
	v_add_nc_u32_e32 v67, 32, v25
	s_delay_alu instid0(VALU_DEP_3) | instskip(NEXT) | instid1(VALU_DEP_3)
	v_pk_min_f16 v24, v22, v70
	v_pk_min_f16 v60, v23, v69
	v_add_co_u32 v70, vcc_lo, v66, v6
	v_mov_b32_e32 v66, 0
	s_delay_alu instid0(VALU_DEP_4) | instskip(SKIP_2) | instid1(VALU_DEP_3)
	v_pk_add_f16 v24, v24, v58
	v_mad_i64_i32 v[68:69], null, v67, s8, 0
	v_add_co_ci_u32_e32 v71, vcc_lo, v71, v7, vcc_lo
	v_pk_add_f16 v24, v60, v24
	s_delay_alu instid0(VALU_DEP_3) | instskip(NEXT) | instid1(VALU_DEP_2)
	v_lshlrev_b64 v[68:69], 1, v[68:69]
	v_lshrrev_b32_e32 v58, 16, v24
	s_delay_alu instid0(VALU_DEP_1) | instskip(NEXT) | instid1(VALU_DEP_3)
	v_add_f16_e32 v60, v24, v58
	v_add_co_u32 v24, vcc_lo, s4, v68
	s_delay_alu instid0(VALU_DEP_4) | instskip(NEXT) | instid1(VALU_DEP_3)
	v_add_co_ci_u32_e32 v58, vcc_lo, s5, v69, vcc_lo
	v_add_f16_e32 v60, v60, v72
	v_mov_b32_e32 v68, 0
	s_and_b32 vcc_lo, exec_lo, s0
	global_store_b16 v[70:71], v60, off
	s_cbranch_vccnz .LBB251_51
; %bb.50:
	v_add_co_u32 v68, vcc_lo, v24, v16
	v_add_co_ci_u32_e32 v69, vcc_lo, v58, v17, vcc_lo
	flat_load_u16 v60, v[68:69]
	s_waitcnt vmcnt(0) lgkmcnt(0)
	v_mul_f16_e32 v68, s18, v60
.LBB251_51:
	v_pk_max_f16 v60, v0, v0
	v_pk_max_f16 v0, v1, v1
	v_mad_i64_i32 v[69:70], null, v67, s3, 0
	s_delay_alu instid0(VALU_DEP_3) | instskip(NEXT) | instid1(VALU_DEP_3)
	v_pk_min_f16 v1, v26, v60
	v_pk_min_f16 v71, v27, v0
	s_delay_alu instid0(VALU_DEP_3) | instskip(NEXT) | instid1(VALU_DEP_3)
	v_lshlrev_b64 v[69:70], 1, v[69:70]
	v_pk_add_f16 v1, v1, v57
	s_delay_alu instid0(VALU_DEP_1) | instskip(NEXT) | instid1(VALU_DEP_1)
	v_pk_add_f16 v1, v71, v1
	v_lshrrev_b32_e32 v57, 16, v1
	s_delay_alu instid0(VALU_DEP_1) | instskip(SKIP_2) | instid1(VALU_DEP_3)
	v_add_f16_e32 v67, v1, v57
	v_add_co_u32 v1, vcc_lo, s1, v69
	v_add_co_ci_u32_e32 v57, vcc_lo, s6, v70, vcc_lo
	v_add_f16_e32 v69, v67, v68
	s_delay_alu instid0(VALU_DEP_3) | instskip(NEXT) | instid1(VALU_DEP_3)
	v_add_co_u32 v67, vcc_lo, v1, v16
	v_add_co_ci_u32_e32 v68, vcc_lo, v57, v17, vcc_lo
	s_and_b32 vcc_lo, exec_lo, s0
	global_store_b16 v[67:68], v69, off
	s_cbranch_vccnz .LBB251_53
; %bb.52:
	v_add_co_u32 v66, vcc_lo, v24, v20
	v_add_co_ci_u32_e32 v67, vcc_lo, v58, v21, vcc_lo
	flat_load_u16 v66, v[66:67]
	s_waitcnt vmcnt(0) lgkmcnt(0)
	v_mul_f16_e32 v66, s18, v66
.LBB251_53:
	v_pk_min_f16 v67, v28, v60
	v_pk_min_f16 v68, v29, v0
	s_delay_alu instid0(VALU_DEP_2) | instskip(NEXT) | instid1(VALU_DEP_1)
	v_pk_add_f16 v56, v67, v56
	v_pk_add_f16 v56, v68, v56
	s_delay_alu instid0(VALU_DEP_1) | instskip(NEXT) | instid1(VALU_DEP_1)
	v_lshrrev_b32_e32 v67, 16, v56
	v_add_f16_e32 v56, v56, v67
	v_add_co_u32 v67, vcc_lo, v1, v20
	v_add_co_ci_u32_e32 v68, vcc_lo, v57, v21, vcc_lo
	s_delay_alu instid0(VALU_DEP_3)
	v_add_f16_e32 v69, v56, v66
	v_mov_b32_e32 v56, 0
	v_mov_b32_e32 v66, 0
	s_and_b32 vcc_lo, exec_lo, s0
	global_store_b16 v[67:68], v69, off
	s_cbranch_vccnz .LBB251_55
; %bb.54:
	v_add_co_u32 v66, vcc_lo, v24, v12
	v_add_co_ci_u32_e32 v67, vcc_lo, v58, v13, vcc_lo
	flat_load_u16 v66, v[66:67]
	s_waitcnt vmcnt(0) lgkmcnt(0)
	v_mul_f16_e32 v66, s18, v66
.LBB251_55:
	v_pk_min_f16 v67, v47, v60
	v_pk_min_f16 v68, v48, v0
	s_delay_alu instid0(VALU_DEP_2) | instskip(NEXT) | instid1(VALU_DEP_1)
	v_pk_add_f16 v55, v67, v55
	v_pk_add_f16 v55, v68, v55
	s_delay_alu instid0(VALU_DEP_1) | instskip(NEXT) | instid1(VALU_DEP_1)
	v_lshrrev_b32_e32 v67, 16, v55
	v_add_f16_e32 v55, v55, v67
	s_delay_alu instid0(VALU_DEP_1)
	v_add_f16_e32 v55, v55, v66
	v_add_co_u32 v66, vcc_lo, v1, v12
	v_add_co_ci_u32_e32 v67, vcc_lo, v57, v13, vcc_lo
	s_and_b32 vcc_lo, exec_lo, s0
	global_store_b16 v[66:67], v55, off
	s_cbranch_vccnz .LBB251_57
; %bb.56:
	v_add_co_u32 v55, vcc_lo, v24, v14
	v_add_co_ci_u32_e32 v56, vcc_lo, v58, v15, vcc_lo
	flat_load_u16 v55, v[55:56]
	s_waitcnt vmcnt(0) lgkmcnt(0)
	v_mul_f16_e32 v56, s18, v55
.LBB251_57:
	v_pk_min_f16 v55, v49, v60
	v_pk_min_f16 v66, v50, v0
	s_delay_alu instid0(VALU_DEP_2) | instskip(NEXT) | instid1(VALU_DEP_1)
	v_pk_add_f16 v54, v55, v54
	v_pk_add_f16 v54, v66, v54
	v_add_co_u32 v66, vcc_lo, v1, v14
	v_add_co_ci_u32_e32 v67, vcc_lo, v57, v15, vcc_lo
	s_delay_alu instid0(VALU_DEP_3) | instskip(SKIP_1) | instid1(VALU_DEP_1)
	v_lshrrev_b32_e32 v55, 16, v54
	s_and_b32 vcc_lo, exec_lo, s0
	v_add_f16_e32 v54, v54, v55
	v_mov_b32_e32 v55, 0
	s_delay_alu instid0(VALU_DEP_2)
	v_add_f16_e32 v56, v54, v56
	v_mov_b32_e32 v54, 0
	global_store_b16 v[66:67], v56, off
	s_cbranch_vccnz .LBB251_59
; %bb.58:
	v_add_co_u32 v55, vcc_lo, v24, v8
	v_add_co_ci_u32_e32 v56, vcc_lo, v58, v9, vcc_lo
	flat_load_u16 v55, v[55:56]
	s_waitcnt vmcnt(0) lgkmcnt(0)
	v_mul_f16_e32 v55, s18, v55
.LBB251_59:
	v_pk_min_f16 v56, v59, v60
	v_pk_min_f16 v66, v63, v0
	s_delay_alu instid0(VALU_DEP_2) | instskip(NEXT) | instid1(VALU_DEP_1)
	v_pk_add_f16 v53, v56, v53
	v_pk_add_f16 v53, v66, v53
	s_delay_alu instid0(VALU_DEP_1) | instskip(NEXT) | instid1(VALU_DEP_1)
	v_lshrrev_b32_e32 v56, 16, v53
	v_add_f16_e32 v53, v53, v56
	s_delay_alu instid0(VALU_DEP_1)
	v_add_f16_e32 v53, v53, v55
	v_add_co_u32 v55, vcc_lo, v1, v8
	v_add_co_ci_u32_e32 v56, vcc_lo, v57, v9, vcc_lo
	s_and_b32 vcc_lo, exec_lo, s0
	global_store_b16 v[55:56], v53, off
	s_cbranch_vccnz .LBB251_61
; %bb.60:
	v_add_co_u32 v53, vcc_lo, v24, v10
	v_add_co_ci_u32_e32 v54, vcc_lo, v58, v11, vcc_lo
	flat_load_u16 v53, v[53:54]
	s_waitcnt vmcnt(0) lgkmcnt(0)
	v_mul_f16_e32 v54, s18, v53
.LBB251_61:
	v_pk_min_f16 v53, v62, v60
	v_pk_min_f16 v55, v64, v0
	s_delay_alu instid0(VALU_DEP_2) | instskip(NEXT) | instid1(VALU_DEP_1)
	v_pk_add_f16 v52, v53, v52
	v_pk_add_f16 v52, v55, v52
	v_add_co_u32 v55, vcc_lo, v1, v10
	v_add_co_ci_u32_e32 v56, vcc_lo, v57, v11, vcc_lo
	s_delay_alu instid0(VALU_DEP_3) | instskip(SKIP_1) | instid1(VALU_DEP_1)
	v_lshrrev_b32_e32 v53, 16, v52
	s_and_b32 vcc_lo, exec_lo, s0
	v_add_f16_e32 v52, v52, v53
	v_mov_b32_e32 v53, 0
	s_delay_alu instid0(VALU_DEP_2)
	v_add_f16_e32 v54, v52, v54
	v_mov_b32_e32 v52, 0
	global_store_b16 v[55:56], v54, off
	s_cbranch_vccnz .LBB251_63
; %bb.62:
	v_add_co_u32 v53, vcc_lo, v24, v4
	v_add_co_ci_u32_e32 v54, vcc_lo, v58, v5, vcc_lo
	flat_load_u16 v53, v[53:54]
	s_waitcnt vmcnt(0) lgkmcnt(0)
	v_mul_f16_e32 v53, s18, v53
.LBB251_63:
	v_pk_min_f16 v54, v61, v60
	v_pk_min_f16 v55, v65, v0
	s_delay_alu instid0(VALU_DEP_2) | instskip(NEXT) | instid1(VALU_DEP_1)
	v_pk_add_f16 v51, v54, v51
	v_pk_add_f16 v51, v55, v51
	s_delay_alu instid0(VALU_DEP_1) | instskip(NEXT) | instid1(VALU_DEP_1)
	v_lshrrev_b32_e32 v54, 16, v51
	v_add_f16_e32 v51, v51, v54
	s_delay_alu instid0(VALU_DEP_1)
	v_add_f16_e32 v51, v51, v53
	v_add_co_u32 v53, vcc_lo, v1, v4
	v_add_co_ci_u32_e32 v54, vcc_lo, v57, v5, vcc_lo
	s_and_b32 vcc_lo, exec_lo, s0
	global_store_b16 v[53:54], v51, off
	s_cbranch_vccnz .LBB251_65
; %bb.64:
	v_add_co_u32 v51, vcc_lo, v24, v6
	v_add_co_ci_u32_e32 v52, vcc_lo, v58, v7, vcc_lo
	flat_load_u16 v24, v[51:52]
	s_waitcnt vmcnt(0) lgkmcnt(0)
	v_mul_f16_e32 v52, s18, v24
.LBB251_65:
	v_pk_min_f16 v24, v22, v60
	v_pk_min_f16 v0, v23, v0
	v_add_nc_u32_e32 v53, 64, v25
	v_add_co_u32 v56, vcc_lo, v1, v6
	s_delay_alu instid0(VALU_DEP_4) | instskip(SKIP_2) | instid1(VALU_DEP_3)
	v_pk_add_f16 v24, v24, v46
	v_add_co_ci_u32_e32 v57, vcc_lo, v57, v7, vcc_lo
	v_mov_b32_e32 v51, 0
	v_pk_add_f16 v0, v0, v24
	s_delay_alu instid0(VALU_DEP_1) | instskip(NEXT) | instid1(VALU_DEP_1)
	v_lshrrev_b32_e32 v24, 16, v0
	v_add_f16_e32 v0, v0, v24
	s_delay_alu instid0(VALU_DEP_1) | instskip(SKIP_4) | instid1(VALU_DEP_1)
	v_add_f16_e32 v0, v0, v52
	v_mov_b32_e32 v52, 0
	v_mad_i64_i32 v[54:55], null, v53, s8, 0
	global_store_b16 v[56:57], v0, off
	v_lshlrev_b64 v[54:55], 1, v[54:55]
	v_add_co_u32 v1, vcc_lo, s4, v54
	s_delay_alu instid0(VALU_DEP_2)
	v_add_co_ci_u32_e32 v24, vcc_lo, s5, v55, vcc_lo
	s_and_b32 vcc_lo, exec_lo, s0
	s_cbranch_vccnz .LBB251_67
; %bb.66:
	s_delay_alu instid0(VALU_DEP_2) | instskip(NEXT) | instid1(VALU_DEP_2)
	v_add_co_u32 v54, vcc_lo, v1, v16
	v_add_co_ci_u32_e32 v55, vcc_lo, v24, v17, vcc_lo
	flat_load_u16 v0, v[54:55]
	s_waitcnt vmcnt(0) lgkmcnt(0)
	v_mul_f16_e32 v52, s18, v0
.LBB251_67:
	v_pk_max_f16 v46, v2, v2
	v_pk_max_f16 v0, v3, v3
	s_delay_alu instid0(VALU_DEP_2) | instskip(NEXT) | instid1(VALU_DEP_2)
	v_pk_min_f16 v2, v26, v46
	v_pk_min_f16 v54, v27, v0
	s_delay_alu instid0(VALU_DEP_2) | instskip(SKIP_1) | instid1(VALU_DEP_2)
	v_pk_add_f16 v45, v2, v45
	v_mad_i64_i32 v[2:3], null, v53, s3, 0
	v_pk_add_f16 v45, v54, v45
	s_delay_alu instid0(VALU_DEP_2) | instskip(NEXT) | instid1(VALU_DEP_2)
	v_lshlrev_b64 v[2:3], 1, v[2:3]
	v_lshrrev_b32_e32 v53, 16, v45
	s_delay_alu instid0(VALU_DEP_2) | instskip(NEXT) | instid1(VALU_DEP_2)
	v_add_co_u32 v2, vcc_lo, s1, v2
	v_add_f16_e32 v45, v45, v53
	s_delay_alu instid0(VALU_DEP_4) | instskip(NEXT) | instid1(VALU_DEP_2)
	v_add_co_ci_u32_e32 v3, vcc_lo, s6, v3, vcc_lo
	v_add_f16_e32 v45, v45, v52
	s_delay_alu instid0(VALU_DEP_4) | instskip(NEXT) | instid1(VALU_DEP_3)
	v_add_co_u32 v52, vcc_lo, v2, v16
	v_add_co_ci_u32_e32 v53, vcc_lo, v3, v17, vcc_lo
	s_and_b32 vcc_lo, exec_lo, s0
	global_store_b16 v[52:53], v45, off
	s_cbranch_vccnz .LBB251_69
; %bb.68:
	v_add_co_u32 v51, vcc_lo, v1, v20
	v_add_co_ci_u32_e32 v52, vcc_lo, v24, v21, vcc_lo
	flat_load_u16 v45, v[51:52]
	s_waitcnt vmcnt(0) lgkmcnt(0)
	v_mul_f16_e32 v51, s18, v45
.LBB251_69:
	v_pk_min_f16 v45, v28, v46
	v_pk_min_f16 v52, v29, v0
	s_delay_alu instid0(VALU_DEP_2) | instskip(NEXT) | instid1(VALU_DEP_1)
	v_pk_add_f16 v44, v45, v44
	v_pk_add_f16 v44, v52, v44
	v_add_co_u32 v52, vcc_lo, v2, v20
	v_add_co_ci_u32_e32 v53, vcc_lo, v3, v21, vcc_lo
	s_delay_alu instid0(VALU_DEP_3) | instskip(SKIP_1) | instid1(VALU_DEP_1)
	v_lshrrev_b32_e32 v45, 16, v44
	s_and_b32 vcc_lo, exec_lo, s0
	v_add_f16_e32 v44, v44, v45
	v_mov_b32_e32 v45, 0
	s_delay_alu instid0(VALU_DEP_2)
	v_add_f16_e32 v51, v44, v51
	v_mov_b32_e32 v44, 0
	global_store_b16 v[52:53], v51, off
	s_cbranch_vccnz .LBB251_71
; %bb.70:
	v_add_co_u32 v51, vcc_lo, v1, v12
	v_add_co_ci_u32_e32 v52, vcc_lo, v24, v13, vcc_lo
	flat_load_u16 v45, v[51:52]
	s_waitcnt vmcnt(0) lgkmcnt(0)
	v_mul_f16_e32 v45, s18, v45
.LBB251_71:
	v_pk_min_f16 v51, v47, v46
	v_pk_min_f16 v52, v48, v0
	s_delay_alu instid0(VALU_DEP_2) | instskip(NEXT) | instid1(VALU_DEP_1)
	v_pk_add_f16 v43, v51, v43
	v_pk_add_f16 v43, v52, v43
	s_delay_alu instid0(VALU_DEP_1) | instskip(NEXT) | instid1(VALU_DEP_1)
	v_lshrrev_b32_e32 v51, 16, v43
	v_add_f16_e32 v43, v43, v51
	v_add_co_u32 v51, vcc_lo, v2, v12
	v_add_co_ci_u32_e32 v52, vcc_lo, v3, v13, vcc_lo
	s_delay_alu instid0(VALU_DEP_3)
	v_add_f16_e32 v43, v43, v45
	s_and_b32 vcc_lo, exec_lo, s0
	global_store_b16 v[51:52], v43, off
	s_cbranch_vccnz .LBB251_73
; %bb.72:
	v_add_co_u32 v43, vcc_lo, v1, v14
	v_add_co_ci_u32_e32 v44, vcc_lo, v24, v15, vcc_lo
	flat_load_u16 v43, v[43:44]
	s_waitcnt vmcnt(0) lgkmcnt(0)
	v_mul_f16_e32 v44, s18, v43
.LBB251_73:
	v_pk_min_f16 v43, v49, v46
	v_pk_min_f16 v45, v50, v0
	v_add_co_u32 v51, vcc_lo, v2, v14
	v_add_co_ci_u32_e32 v52, vcc_lo, v3, v15, vcc_lo
	s_delay_alu instid0(VALU_DEP_4) | instskip(SKIP_1) | instid1(VALU_DEP_1)
	v_pk_add_f16 v42, v43, v42
	s_and_b32 vcc_lo, exec_lo, s0
	v_pk_add_f16 v42, v45, v42
	s_delay_alu instid0(VALU_DEP_1) | instskip(NEXT) | instid1(VALU_DEP_1)
	v_lshrrev_b32_e32 v43, 16, v42
	v_add_f16_e32 v42, v42, v43
	v_mov_b32_e32 v43, 0
	s_delay_alu instid0(VALU_DEP_2)
	v_add_f16_e32 v44, v42, v44
	v_mov_b32_e32 v42, 0
	global_store_b16 v[51:52], v44, off
	s_cbranch_vccnz .LBB251_75
; %bb.74:
	v_add_co_u32 v43, vcc_lo, v1, v8
	v_add_co_ci_u32_e32 v44, vcc_lo, v24, v9, vcc_lo
	flat_load_u16 v43, v[43:44]
	s_waitcnt vmcnt(0) lgkmcnt(0)
	v_mul_f16_e32 v43, s18, v43
.LBB251_75:
	v_pk_min_f16 v44, v59, v46
	v_pk_min_f16 v45, v63, v0
	s_delay_alu instid0(VALU_DEP_2) | instskip(NEXT) | instid1(VALU_DEP_1)
	v_pk_add_f16 v41, v44, v41
	v_pk_add_f16 v41, v45, v41
	s_delay_alu instid0(VALU_DEP_1) | instskip(NEXT) | instid1(VALU_DEP_1)
	v_lshrrev_b32_e32 v44, 16, v41
	v_add_f16_e32 v41, v41, v44
	s_delay_alu instid0(VALU_DEP_1)
	v_add_f16_e32 v41, v41, v43
	v_add_co_u32 v43, vcc_lo, v2, v8
	v_add_co_ci_u32_e32 v44, vcc_lo, v3, v9, vcc_lo
	s_and_b32 vcc_lo, exec_lo, s0
	global_store_b16 v[43:44], v41, off
	s_cbranch_vccnz .LBB251_77
; %bb.76:
	v_add_co_u32 v41, vcc_lo, v1, v10
	v_add_co_ci_u32_e32 v42, vcc_lo, v24, v11, vcc_lo
	flat_load_u16 v41, v[41:42]
	s_waitcnt vmcnt(0) lgkmcnt(0)
	v_mul_f16_e32 v42, s18, v41
.LBB251_77:
	v_pk_min_f16 v41, v62, v46
	v_pk_min_f16 v43, v64, v0
	s_delay_alu instid0(VALU_DEP_2) | instskip(NEXT) | instid1(VALU_DEP_1)
	v_pk_add_f16 v40, v41, v40
	v_pk_add_f16 v40, v43, v40
	v_add_co_u32 v43, vcc_lo, v2, v10
	v_add_co_ci_u32_e32 v44, vcc_lo, v3, v11, vcc_lo
	s_delay_alu instid0(VALU_DEP_3) | instskip(SKIP_1) | instid1(VALU_DEP_1)
	v_lshrrev_b32_e32 v41, 16, v40
	s_and_b32 vcc_lo, exec_lo, s0
	v_add_f16_e32 v40, v40, v41
	v_mov_b32_e32 v41, 0
	s_delay_alu instid0(VALU_DEP_2)
	v_add_f16_e32 v42, v40, v42
	v_mov_b32_e32 v40, 0
	global_store_b16 v[43:44], v42, off
	s_cbranch_vccnz .LBB251_79
; %bb.78:
	v_add_co_u32 v41, vcc_lo, v1, v4
	v_add_co_ci_u32_e32 v42, vcc_lo, v24, v5, vcc_lo
	flat_load_u16 v41, v[41:42]
	s_waitcnt vmcnt(0) lgkmcnt(0)
	v_mul_f16_e32 v41, s18, v41
.LBB251_79:
	v_pk_min_f16 v42, v61, v46
	v_pk_min_f16 v43, v65, v0
	s_delay_alu instid0(VALU_DEP_2) | instskip(NEXT) | instid1(VALU_DEP_1)
	v_pk_add_f16 v39, v42, v39
	v_pk_add_f16 v39, v43, v39
	s_delay_alu instid0(VALU_DEP_1) | instskip(NEXT) | instid1(VALU_DEP_1)
	v_lshrrev_b32_e32 v42, 16, v39
	v_add_f16_e32 v39, v39, v42
	s_delay_alu instid0(VALU_DEP_1)
	v_add_f16_e32 v39, v39, v41
	v_add_co_u32 v41, vcc_lo, v2, v4
	v_add_co_ci_u32_e32 v42, vcc_lo, v3, v5, vcc_lo
	s_and_b32 vcc_lo, exec_lo, s0
	global_store_b16 v[41:42], v39, off
	s_cbranch_vccnz .LBB251_81
; %bb.80:
	v_add_co_u32 v39, vcc_lo, v1, v6
	v_add_co_ci_u32_e32 v40, vcc_lo, v24, v7, vcc_lo
	flat_load_u16 v1, v[39:40]
	s_waitcnt vmcnt(0) lgkmcnt(0)
	v_mul_f16_e32 v40, s18, v1
.LBB251_81:
	v_pk_min_f16 v1, v22, v46
	v_pk_min_f16 v24, v23, v0
	v_add_nc_u32_e32 v25, 0x60, v25
	v_add_co_u32 v2, vcc_lo, v2, v6
	s_delay_alu instid0(VALU_DEP_4) | instskip(SKIP_1) | instid1(VALU_DEP_2)
	v_pk_add_f16 v38, v1, v38
	v_add_co_ci_u32_e32 v3, vcc_lo, v3, v7, vcc_lo
	v_pk_add_f16 v24, v24, v38
	s_delay_alu instid0(VALU_DEP_1) | instskip(NEXT) | instid1(VALU_DEP_1)
	v_lshrrev_b32_e32 v38, 16, v24
	v_add_f16_e32 v24, v24, v38
	v_mov_b32_e32 v38, 0
	s_delay_alu instid0(VALU_DEP_2) | instskip(SKIP_4) | instid1(VALU_DEP_1)
	v_add_f16_e32 v39, v24, v40
	v_mov_b32_e32 v24, 0
	v_mad_i64_i32 v[0:1], null, v25, s8, 0
	global_store_b16 v[2:3], v39, off
	v_lshlrev_b64 v[0:1], 1, v[0:1]
	v_add_co_u32 v0, vcc_lo, s4, v0
	s_delay_alu instid0(VALU_DEP_2)
	v_add_co_ci_u32_e32 v1, vcc_lo, s5, v1, vcc_lo
	s_and_b32 vcc_lo, exec_lo, s0
	s_cbranch_vccnz .LBB251_83
; %bb.82:
	s_delay_alu instid0(VALU_DEP_2) | instskip(NEXT) | instid1(VALU_DEP_2)
	v_add_co_u32 v2, vcc_lo, v0, v16
	v_add_co_ci_u32_e32 v3, vcc_lo, v1, v17, vcc_lo
	flat_load_u16 v2, v[2:3]
	s_waitcnt vmcnt(0) lgkmcnt(0)
	v_mul_f16_e32 v38, s18, v2
.LBB251_83:
	v_pk_max_f16 v2, v18, v18
	v_pk_max_f16 v3, v19, v19
	s_delay_alu instid0(VALU_DEP_2) | instskip(NEXT) | instid1(VALU_DEP_2)
	v_pk_min_f16 v18, v26, v2
	v_pk_min_f16 v26, v27, v3
	s_delay_alu instid0(VALU_DEP_2) | instskip(SKIP_1) | instid1(VALU_DEP_2)
	v_pk_add_f16 v27, v18, v37
	v_mad_i64_i32 v[18:19], null, v25, s3, 0
	v_pk_add_f16 v25, v26, v27
	s_delay_alu instid0(VALU_DEP_2) | instskip(NEXT) | instid1(VALU_DEP_2)
	v_lshlrev_b64 v[18:19], 1, v[18:19]
	v_lshrrev_b32_e32 v26, 16, v25
	s_delay_alu instid0(VALU_DEP_2) | instskip(NEXT) | instid1(VALU_DEP_2)
	v_add_co_u32 v18, vcc_lo, s1, v18
	v_add_f16_e32 v25, v25, v26
	s_delay_alu instid0(VALU_DEP_4) | instskip(NEXT) | instid1(VALU_DEP_3)
	v_add_co_ci_u32_e32 v19, vcc_lo, s6, v19, vcc_lo
	v_add_co_u32 v16, vcc_lo, v18, v16
	s_delay_alu instid0(VALU_DEP_3) | instskip(NEXT) | instid1(VALU_DEP_3)
	v_add_f16_e32 v25, v25, v38
	v_add_co_ci_u32_e32 v17, vcc_lo, v19, v17, vcc_lo
	s_and_b32 vcc_lo, exec_lo, s0
	global_store_b16 v[16:17], v25, off
	s_cbranch_vccnz .LBB251_85
; %bb.84:
	v_add_co_u32 v16, vcc_lo, v0, v20
	v_add_co_ci_u32_e32 v17, vcc_lo, v1, v21, vcc_lo
	flat_load_u16 v16, v[16:17]
	s_waitcnt vmcnt(0) lgkmcnt(0)
	v_mul_f16_e32 v24, s18, v16
.LBB251_85:
	v_pk_min_f16 v16, v28, v2
	v_pk_min_f16 v17, v29, v3
	v_add_co_u32 v20, vcc_lo, v18, v20
	v_add_co_ci_u32_e32 v21, vcc_lo, v19, v21, vcc_lo
	s_delay_alu instid0(VALU_DEP_4) | instskip(SKIP_1) | instid1(VALU_DEP_1)
	v_pk_add_f16 v16, v16, v36
	s_and_b32 vcc_lo, exec_lo, s0
	v_pk_add_f16 v16, v17, v16
	s_delay_alu instid0(VALU_DEP_1) | instskip(NEXT) | instid1(VALU_DEP_1)
	v_lshrrev_b32_e32 v17, 16, v16
	v_add_f16_e32 v16, v16, v17
	v_mov_b32_e32 v17, 0
	s_delay_alu instid0(VALU_DEP_2)
	v_add_f16_e32 v24, v16, v24
	v_mov_b32_e32 v16, 0
	global_store_b16 v[20:21], v24, off
	s_cbranch_vccnz .LBB251_87
; %bb.86:
	v_add_co_u32 v20, vcc_lo, v0, v12
	v_add_co_ci_u32_e32 v21, vcc_lo, v1, v13, vcc_lo
	flat_load_u16 v17, v[20:21]
	s_waitcnt vmcnt(0) lgkmcnt(0)
	v_mul_f16_e32 v17, s18, v17
.LBB251_87:
	v_pk_min_f16 v20, v47, v2
	v_pk_min_f16 v21, v48, v3
	v_add_co_u32 v12, vcc_lo, v18, v12
	v_add_co_ci_u32_e32 v13, vcc_lo, v19, v13, vcc_lo
	s_delay_alu instid0(VALU_DEP_4) | instskip(SKIP_1) | instid1(VALU_DEP_1)
	v_pk_add_f16 v20, v20, v35
	s_and_b32 vcc_lo, exec_lo, s0
	v_pk_add_f16 v20, v21, v20
	s_delay_alu instid0(VALU_DEP_1) | instskip(NEXT) | instid1(VALU_DEP_1)
	v_lshrrev_b32_e32 v21, 16, v20
	v_add_f16_e32 v20, v20, v21
	s_delay_alu instid0(VALU_DEP_1)
	v_add_f16_e32 v17, v20, v17
	global_store_b16 v[12:13], v17, off
	s_cbranch_vccnz .LBB251_89
; %bb.88:
	v_add_co_u32 v12, vcc_lo, v0, v14
	v_add_co_ci_u32_e32 v13, vcc_lo, v1, v15, vcc_lo
	flat_load_u16 v12, v[12:13]
	s_waitcnt vmcnt(0) lgkmcnt(0)
	v_mul_f16_e32 v16, s18, v12
.LBB251_89:
	v_pk_min_f16 v12, v49, v2
	v_pk_min_f16 v13, v50, v3
	v_add_co_u32 v14, vcc_lo, v18, v14
	v_add_co_ci_u32_e32 v15, vcc_lo, v19, v15, vcc_lo
	s_delay_alu instid0(VALU_DEP_4) | instskip(SKIP_1) | instid1(VALU_DEP_1)
	v_pk_add_f16 v12, v12, v34
	s_and_b32 vcc_lo, exec_lo, s0
	v_pk_add_f16 v12, v13, v12
	s_delay_alu instid0(VALU_DEP_1) | instskip(NEXT) | instid1(VALU_DEP_1)
	v_lshrrev_b32_e32 v13, 16, v12
	v_add_f16_e32 v12, v12, v13
	v_mov_b32_e32 v13, 0
	s_delay_alu instid0(VALU_DEP_2)
	v_add_f16_e32 v16, v12, v16
	v_mov_b32_e32 v12, 0
	global_store_b16 v[14:15], v16, off
	s_cbranch_vccnz .LBB251_91
; %bb.90:
	v_add_co_u32 v13, vcc_lo, v0, v8
	v_add_co_ci_u32_e32 v14, vcc_lo, v1, v9, vcc_lo
	flat_load_u16 v13, v[13:14]
	s_waitcnt vmcnt(0) lgkmcnt(0)
	v_mul_f16_e32 v13, s18, v13
.LBB251_91:
	v_pk_min_f16 v14, v59, v2
	v_pk_min_f16 v15, v63, v3
	v_add_co_u32 v8, vcc_lo, v18, v8
	v_add_co_ci_u32_e32 v9, vcc_lo, v19, v9, vcc_lo
	s_delay_alu instid0(VALU_DEP_4) | instskip(SKIP_1) | instid1(VALU_DEP_1)
	v_pk_add_f16 v14, v14, v32
	s_and_b32 vcc_lo, exec_lo, s0
	v_pk_add_f16 v14, v15, v14
	s_delay_alu instid0(VALU_DEP_1) | instskip(NEXT) | instid1(VALU_DEP_1)
	v_lshrrev_b32_e32 v15, 16, v14
	v_add_f16_e32 v14, v14, v15
	s_delay_alu instid0(VALU_DEP_1)
	v_add_f16_e32 v13, v14, v13
	global_store_b16 v[8:9], v13, off
	s_cbranch_vccnz .LBB251_93
; %bb.92:
	v_add_co_u32 v8, vcc_lo, v0, v10
	v_add_co_ci_u32_e32 v9, vcc_lo, v1, v11, vcc_lo
	flat_load_u16 v8, v[8:9]
	s_waitcnt vmcnt(0) lgkmcnt(0)
	v_mul_f16_e32 v12, s18, v8
.LBB251_93:
	v_pk_min_f16 v8, v62, v2
	v_pk_min_f16 v9, v64, v3
	;; [unrolled: 1-line block ×3, first 2 shown]
	s_delay_alu instid0(VALU_DEP_3) | instskip(NEXT) | instid1(VALU_DEP_2)
	v_pk_add_f16 v8, v8, v31
	v_pk_add_f16 v13, v13, v33
	s_delay_alu instid0(VALU_DEP_2) | instskip(SKIP_1) | instid1(VALU_DEP_2)
	v_pk_add_f16 v8, v9, v8
	v_pk_min_f16 v9, v65, v3
	v_lshrrev_b32_e32 v14, 16, v8
	s_delay_alu instid0(VALU_DEP_2) | instskip(SKIP_2) | instid1(VALU_DEP_4)
	v_pk_add_f16 v13, v9, v13
	v_add_co_u32 v9, vcc_lo, v18, v10
	v_add_co_ci_u32_e32 v10, vcc_lo, v19, v11, vcc_lo
	v_add_f16_e32 v8, v8, v14
	s_delay_alu instid0(VALU_DEP_4) | instskip(SKIP_1) | instid1(VALU_DEP_2)
	v_lshrrev_b32_e32 v11, 16, v13
	s_mov_b32 vcc_lo, s2
	v_add_f16_e32 v12, v8, v12
	s_delay_alu instid0(VALU_DEP_2)
	v_add_f16_e32 v8, v13, v11
	global_store_b16 v[9:10], v12, off
	s_cbranch_vccz .LBB251_96
; %bb.94:
	v_add_co_u32 v9, vcc_lo, v18, v4
	v_add_f16_e32 v11, 0, v8
	v_add_co_ci_u32_e32 v10, vcc_lo, v19, v5, vcc_lo
	s_mov_b32 s0, 0
	global_store_b16 v[9:10], v11, off
	s_cbranch_execz .LBB251_97
; %bb.95:
	v_mov_b32_e32 v0, s0
	s_branch .LBB251_98
.LBB251_96:
	s_mov_b32 s0, -1
.LBB251_97:
	v_add_co_u32 v9, vcc_lo, v0, v4
	v_add_co_ci_u32_e32 v10, vcc_lo, v1, v5, vcc_lo
	v_add_co_u32 v4, vcc_lo, v18, v4
	v_add_co_ci_u32_e32 v5, vcc_lo, v19, v5, vcc_lo
	flat_load_u16 v9, v[9:10]
	v_add_co_u32 v0, vcc_lo, v0, v6
	v_add_co_ci_u32_e32 v1, vcc_lo, v1, v7, vcc_lo
	s_waitcnt vmcnt(0) lgkmcnt(0)
	v_fmac_f16_e32 v8, s18, v9
	global_store_b16 v[4:5], v8, off
	flat_load_u16 v0, v[0:1]
	s_waitcnt vmcnt(0) lgkmcnt(0)
	v_mul_f16_e32 v0, s18, v0
.LBB251_98:
	v_pk_min_f16 v1, v22, v2
	v_pk_min_f16 v2, v23, v3
	s_delay_alu instid0(VALU_DEP_2) | instskip(NEXT) | instid1(VALU_DEP_1)
	v_pk_add_f16 v1, v1, v30
	v_pk_add_f16 v1, v2, v1
	s_delay_alu instid0(VALU_DEP_1) | instskip(NEXT) | instid1(VALU_DEP_1)
	v_lshrrev_b32_e32 v2, 16, v1
	v_add_f16_e32 v1, v1, v2
	s_delay_alu instid0(VALU_DEP_1)
	v_add_f16_e32 v2, v1, v0
	v_add_co_u32 v0, vcc_lo, v18, v6
	v_add_co_ci_u32_e32 v1, vcc_lo, v19, v7, vcc_lo
	global_store_b16 v[0:1], v2, off
	s_nop 0
	s_sendmsg sendmsg(MSG_DEALLOC_VGPRS)
	s_endpgm
	.section	.rodata,"a",@progbits
	.p2align	6, 0x0
	.amdhsa_kernel _ZN12_GLOBAL__N_120geam_min_plus_kernelIDF16_Dv2_DF16_S1_Li8ELi32ELi64ELi128ELi4ELi4ELi64ELi64ELi4ELc84ELc84ELb0ELb0ELb0EDF16_KPKDF16_KPDF16_EEviiiT16_PT17_ilS9_ilS7_S9_ilPT18_ili26rocblas_geam_ex_operation_
		.amdhsa_group_segment_fixed_size 3072
		.amdhsa_private_segment_fixed_size 0
		.amdhsa_kernarg_size 128
		.amdhsa_user_sgpr_count 14
		.amdhsa_user_sgpr_dispatch_ptr 0
		.amdhsa_user_sgpr_queue_ptr 0
		.amdhsa_user_sgpr_kernarg_segment_ptr 1
		.amdhsa_user_sgpr_dispatch_id 0
		.amdhsa_user_sgpr_private_segment_size 0
		.amdhsa_wavefront_size32 1
		.amdhsa_uses_dynamic_stack 0
		.amdhsa_enable_private_segment 0
		.amdhsa_system_sgpr_workgroup_id_x 1
		.amdhsa_system_sgpr_workgroup_id_y 0
		.amdhsa_system_sgpr_workgroup_id_z 1
		.amdhsa_system_sgpr_workgroup_info 0
		.amdhsa_system_vgpr_workitem_id 1
		.amdhsa_next_free_vgpr 120
		.amdhsa_next_free_sgpr 24
		.amdhsa_reserve_vcc 1
		.amdhsa_float_round_mode_32 0
		.amdhsa_float_round_mode_16_64 0
		.amdhsa_float_denorm_mode_32 3
		.amdhsa_float_denorm_mode_16_64 3
		.amdhsa_dx10_clamp 1
		.amdhsa_ieee_mode 1
		.amdhsa_fp16_overflow 0
		.amdhsa_workgroup_processor_mode 1
		.amdhsa_memory_ordered 1
		.amdhsa_forward_progress 0
		.amdhsa_shared_vgpr_count 0
		.amdhsa_exception_fp_ieee_invalid_op 0
		.amdhsa_exception_fp_denorm_src 0
		.amdhsa_exception_fp_ieee_div_zero 0
		.amdhsa_exception_fp_ieee_overflow 0
		.amdhsa_exception_fp_ieee_underflow 0
		.amdhsa_exception_fp_ieee_inexact 0
		.amdhsa_exception_int_div_zero 0
	.end_amdhsa_kernel
	.section	.text._ZN12_GLOBAL__N_120geam_min_plus_kernelIDF16_Dv2_DF16_S1_Li8ELi32ELi64ELi128ELi4ELi4ELi64ELi64ELi4ELc84ELc84ELb0ELb0ELb0EDF16_KPKDF16_KPDF16_EEviiiT16_PT17_ilS9_ilS7_S9_ilPT18_ili26rocblas_geam_ex_operation_,"axG",@progbits,_ZN12_GLOBAL__N_120geam_min_plus_kernelIDF16_Dv2_DF16_S1_Li8ELi32ELi64ELi128ELi4ELi4ELi64ELi64ELi4ELc84ELc84ELb0ELb0ELb0EDF16_KPKDF16_KPDF16_EEviiiT16_PT17_ilS9_ilS7_S9_ilPT18_ili26rocblas_geam_ex_operation_,comdat
.Lfunc_end251:
	.size	_ZN12_GLOBAL__N_120geam_min_plus_kernelIDF16_Dv2_DF16_S1_Li8ELi32ELi64ELi128ELi4ELi4ELi64ELi64ELi4ELc84ELc84ELb0ELb0ELb0EDF16_KPKDF16_KPDF16_EEviiiT16_PT17_ilS9_ilS7_S9_ilPT18_ili26rocblas_geam_ex_operation_, .Lfunc_end251-_ZN12_GLOBAL__N_120geam_min_plus_kernelIDF16_Dv2_DF16_S1_Li8ELi32ELi64ELi128ELi4ELi4ELi64ELi64ELi4ELc84ELc84ELb0ELb0ELb0EDF16_KPKDF16_KPDF16_EEviiiT16_PT17_ilS9_ilS7_S9_ilPT18_ili26rocblas_geam_ex_operation_
                                        ; -- End function
	.section	.AMDGPU.csdata,"",@progbits
; Kernel info:
; codeLenInByte = 10052
; NumSgprs: 26
; NumVgprs: 120
; ScratchSize: 0
; MemoryBound: 0
; FloatMode: 240
; IeeeMode: 1
; LDSByteSize: 3072 bytes/workgroup (compile time only)
; SGPRBlocks: 3
; VGPRBlocks: 14
; NumSGPRsForWavesPerEU: 26
; NumVGPRsForWavesPerEU: 120
; Occupancy: 12
; WaveLimiterHint : 1
; COMPUTE_PGM_RSRC2:SCRATCH_EN: 0
; COMPUTE_PGM_RSRC2:USER_SGPR: 14
; COMPUTE_PGM_RSRC2:TRAP_HANDLER: 0
; COMPUTE_PGM_RSRC2:TGID_X_EN: 1
; COMPUTE_PGM_RSRC2:TGID_Y_EN: 0
; COMPUTE_PGM_RSRC2:TGID_Z_EN: 1
; COMPUTE_PGM_RSRC2:TIDIG_COMP_CNT: 1
	.section	.text._ZN12_GLOBAL__N_120geam_min_plus_kernelIDF16_Dv2_DF16_S1_Li8ELi32ELi64ELi128ELi4ELi4ELi64ELi64ELi4ELc84ELc84ELb0ELb1ELb0EPKDF16_KS3_KPDF16_EEviiiT16_PT17_ilS9_ilS7_S9_ilPT18_ili26rocblas_geam_ex_operation_,"axG",@progbits,_ZN12_GLOBAL__N_120geam_min_plus_kernelIDF16_Dv2_DF16_S1_Li8ELi32ELi64ELi128ELi4ELi4ELi64ELi64ELi4ELc84ELc84ELb0ELb1ELb0EPKDF16_KS3_KPDF16_EEviiiT16_PT17_ilS9_ilS7_S9_ilPT18_ili26rocblas_geam_ex_operation_,comdat
	.globl	_ZN12_GLOBAL__N_120geam_min_plus_kernelIDF16_Dv2_DF16_S1_Li8ELi32ELi64ELi128ELi4ELi4ELi64ELi64ELi4ELc84ELc84ELb0ELb1ELb0EPKDF16_KS3_KPDF16_EEviiiT16_PT17_ilS9_ilS7_S9_ilPT18_ili26rocblas_geam_ex_operation_ ; -- Begin function _ZN12_GLOBAL__N_120geam_min_plus_kernelIDF16_Dv2_DF16_S1_Li8ELi32ELi64ELi128ELi4ELi4ELi64ELi64ELi4ELc84ELc84ELb0ELb1ELb0EPKDF16_KS3_KPDF16_EEviiiT16_PT17_ilS9_ilS7_S9_ilPT18_ili26rocblas_geam_ex_operation_
	.p2align	8
	.type	_ZN12_GLOBAL__N_120geam_min_plus_kernelIDF16_Dv2_DF16_S1_Li8ELi32ELi64ELi128ELi4ELi4ELi64ELi64ELi4ELc84ELc84ELb0ELb1ELb0EPKDF16_KS3_KPDF16_EEviiiT16_PT17_ilS9_ilS7_S9_ilPT18_ili26rocblas_geam_ex_operation_,@function
_ZN12_GLOBAL__N_120geam_min_plus_kernelIDF16_Dv2_DF16_S1_Li8ELi32ELi64ELi128ELi4ELi4ELi64ELi64ELi4ELc84ELc84ELb0ELb1ELb0EPKDF16_KS3_KPDF16_EEviiiT16_PT17_ilS9_ilS7_S9_ilPT18_ili26rocblas_geam_ex_operation_: ; @_ZN12_GLOBAL__N_120geam_min_plus_kernelIDF16_Dv2_DF16_S1_Li8ELi32ELi64ELi128ELi4ELi4ELi64ELi64ELi4ELc84ELc84ELb0ELb1ELb0EPKDF16_KS3_KPDF16_EEviiiT16_PT17_ilS9_ilS7_S9_ilPT18_ili26rocblas_geam_ex_operation_
; %bb.0:
	s_clause 0x1
	s_load_b128 s[16:19], s[0:1], 0x10
	s_load_b128 s[4:7], s[0:1], 0x40
	s_mov_b32 s12, s15
	s_mov_b32 s13, 0
	v_mov_b32_e32 v1, 0
	s_lshl_b64 s[2:3], s[12:13], 1
	s_load_b128 s[8:11], s[0:1], 0x28
	s_mov_b64 s[20:21], 0
	s_mov_b64 s[22:23], 0
	s_waitcnt lgkmcnt(0)
	s_add_u32 s16, s16, s2
	s_addc_u32 s17, s17, s3
	s_add_u32 s2, s6, s2
	global_load_u16 v29, v1, s[16:17]
	s_addc_u32 s3, s7, s3
	global_load_u16 v42, v1, s[2:3]
	s_load_b64 s[16:17], s[0:1], 0x50
	s_waitcnt vmcnt(1)
	v_cmp_eq_f16_e32 vcc_lo, 0, v29
	v_cmp_neq_f16_e64 s3, 0, v29
	s_cbranch_vccnz .LBB252_2
; %bb.1:
	s_lshl_b64 s[6:7], s[12:13], 3
	s_delay_alu instid0(SALU_CYCLE_1)
	s_add_u32 s6, s18, s6
	s_addc_u32 s7, s19, s7
	s_lshl_b64 s[8:9], s[8:9], 1
	s_load_b64 s[6:7], s[6:7], 0x0
	s_waitcnt lgkmcnt(0)
	s_add_u32 s22, s6, s8
	s_addc_u32 s23, s7, s9
.LBB252_2:
	s_delay_alu instid0(VALU_DEP_1)
	s_and_not1_b32 vcc_lo, exec_lo, s3
	s_cbranch_vccnz .LBB252_4
; %bb.3:
	s_lshl_b64 s[6:7], s[12:13], 3
	s_delay_alu instid0(SALU_CYCLE_1)
	s_add_u32 s6, s10, s6
	s_addc_u32 s7, s11, s7
	s_lshl_b64 s[4:5], s[4:5], 1
	s_load_b64 s[6:7], s[6:7], 0x0
	s_waitcnt lgkmcnt(0)
	s_add_u32 s20, s6, s4
	s_addc_u32 s21, s7, s5
.LBB252_4:
	s_load_b128 s[4:7], s[0:1], 0x60
	s_waitcnt vmcnt(0)
	v_cmp_eq_f16_e32 vcc_lo, 0, v42
	v_cmp_neq_f16_e64 s2, 0, v42
	s_cbranch_vccnz .LBB252_6
; %bb.5:
	s_lshl_b64 s[8:9], s[12:13], 3
	s_waitcnt lgkmcnt(0)
	s_add_u32 s8, s16, s8
	s_addc_u32 s9, s17, s9
	s_lshl_b64 s[4:5], s[4:5], 1
	s_load_b64 s[8:9], s[8:9], 0x0
	s_waitcnt lgkmcnt(0)
	s_add_u32 s10, s8, s4
	s_addc_u32 s11, s9, s5
	s_branch .LBB252_7
.LBB252_6:
	s_mov_b64 s[10:11], 0
.LBB252_7:
	s_waitcnt lgkmcnt(0)
	s_clause 0x1
	s_load_b128 s[16:19], s[0:1], 0x0
	s_load_b32 s25, s[0:1], 0x20
	s_lshl_b64 s[4:5], s[12:13], 3
	v_dual_mov_b32 v9, 0 :: v_dual_and_b32 v28, 0x3ff, v0
	s_add_u32 s6, s6, s4
	s_addc_u32 s7, s7, s5
	v_bfe_u32 v30, v0, 10, 10
	s_delay_alu instid0(VALU_DEP_2) | instskip(NEXT) | instid1(VALU_DEP_2)
	v_dual_mov_b32 v8, 0 :: v_dual_and_b32 v31, 3, v28
	v_lshl_add_u32 v0, v30, 3, v28
	s_delay_alu instid0(VALU_DEP_2) | instskip(NEXT) | instid1(VALU_DEP_2)
	v_lshlrev_b32_e32 v2, 1, v31
	v_lshrrev_b32_e32 v7, 2, v0
	s_waitcnt lgkmcnt(0)
	s_add_i32 s4, s16, -1
	s_delay_alu instid0(SALU_CYCLE_1) | instskip(NEXT) | instid1(SALU_CYCLE_1)
	s_ashr_i32 s5, s4, 31
	s_lshr_b32 s5, s5, 26
	s_delay_alu instid0(SALU_CYCLE_1) | instskip(NEXT) | instid1(SALU_CYCLE_1)
	s_add_i32 s4, s4, s5
	s_ashr_i32 s4, s4, 6
	s_delay_alu instid0(SALU_CYCLE_1) | instskip(SKIP_2) | instid1(VALU_DEP_1)
	s_add_i32 s8, s4, 1
	s_not_b32 s4, s4
	v_cvt_f32_u32_e32 v1, s8
	v_rcp_iflag_f32_e32 v1, v1
	s_waitcnt_depctr 0xfff
	v_mul_f32_e32 v1, 0x4f7ffffe, v1
	s_delay_alu instid0(VALU_DEP_1) | instskip(NEXT) | instid1(VALU_DEP_1)
	v_cvt_u32_f32_e32 v1, v1
	v_readfirstlane_b32 s5, v1
	s_delay_alu instid0(VALU_DEP_1) | instskip(NEXT) | instid1(SALU_CYCLE_1)
	s_mul_i32 s4, s4, s5
	s_mul_hi_u32 s4, s5, s4
	s_delay_alu instid0(SALU_CYCLE_1) | instskip(NEXT) | instid1(SALU_CYCLE_1)
	s_add_i32 s5, s5, s4
	s_mul_hi_u32 s4, s14, s5
	s_delay_alu instid0(SALU_CYCLE_1) | instskip(SKIP_2) | instid1(SALU_CYCLE_1)
	s_mul_i32 s5, s4, s8
	s_add_i32 s9, s4, 1
	s_sub_i32 s5, s14, s5
	s_sub_i32 s12, s5, s8
	s_cmp_ge_u32 s5, s8
	s_cselect_b32 s4, s9, s4
	s_cselect_b32 s5, s12, s5
	s_add_i32 s9, s4, 1
	s_cmp_ge_u32 s5, s8
	s_load_b64 s[12:13], s[6:7], 0x0
	s_cselect_b32 s5, s9, s4
	s_delay_alu instid0(SALU_CYCLE_1) | instskip(NEXT) | instid1(SALU_CYCLE_1)
	s_mul_i32 s4, s5, s8
	s_sub_i32 s4, s14, s4
	s_delay_alu instid0(SALU_CYCLE_1) | instskip(SKIP_2) | instid1(VALU_DEP_1)
	s_lshl_b32 s8, s4, 6
	v_cmp_gt_i32_e64 s4, s18, v31
	v_add_nc_u32_e32 v3, s8, v7
	v_cmp_gt_i32_e32 vcc_lo, s16, v3
	s_delay_alu instid0(VALU_DEP_3) | instskip(NEXT) | instid1(SALU_CYCLE_1)
	s_and_b32 s4, s4, vcc_lo
	s_and_b32 s4, s3, s4
	s_delay_alu instid0(SALU_CYCLE_1)
	s_and_saveexec_b32 s6, s4
	s_cbranch_execz .LBB252_9
; %bb.8:
	v_mad_i64_i32 v[4:5], null, v3, s25, 0
	s_delay_alu instid0(VALU_DEP_1) | instskip(NEXT) | instid1(VALU_DEP_1)
	v_lshlrev_b64 v[4:5], 1, v[4:5]
	v_add_co_u32 v1, s4, s22, v4
	s_delay_alu instid0(VALU_DEP_1) | instskip(NEXT) | instid1(VALU_DEP_2)
	v_add_co_ci_u32_e64 v5, s4, s23, v5, s4
	v_add_co_u32 v4, s4, v1, v2
	s_delay_alu instid0(VALU_DEP_1)
	v_add_co_ci_u32_e64 v5, s4, 0, v5, s4
	flat_load_u16 v1, v[4:5]
	s_waitcnt vmcnt(0) lgkmcnt(0)
	v_mul_f16_e32 v9, v29, v1
.LBB252_9:
	s_or_b32 exec_lo, exec_lo, s6
	s_load_b32 s14, s[0:1], 0x38
	v_lshrrev_b32_e32 v32, 6, v0
	s_add_i32 s15, s18, -1
	v_and_b32_e32 v10, 63, v0
	s_lshl_b32 s9, s5, 7
	s_xor_b32 s19, s3, -1
	v_min_i32_e32 v1, s15, v32
	v_cmp_le_i32_e64 s6, s18, v32
	v_or_b32_e32 v0, s9, v10
	s_delay_alu instid0(VALU_DEP_1) | instskip(NEXT) | instid1(VALU_DEP_1)
	v_cmp_le_i32_e64 s4, s17, v0
	s_or_b32 s7, s4, s6
	s_waitcnt lgkmcnt(0)
	v_mad_i64_i32 v[4:5], null, s14, v1, 0
	v_ashrrev_i32_e32 v1, 31, v0
	s_delay_alu instid0(VALU_DEP_2) | instskip(NEXT) | instid1(VALU_DEP_1)
	v_lshlrev_b64 v[5:6], 1, v[4:5]
	v_add_co_u32 v5, s5, s20, v5
	s_delay_alu instid0(VALU_DEP_1) | instskip(SKIP_1) | instid1(SALU_CYCLE_1)
	v_add_co_ci_u32_e64 v6, s5, s21, v6, s5
	s_or_b32 s5, s7, s19
	s_xor_b32 s5, s5, -1
	s_delay_alu instid0(SALU_CYCLE_1)
	s_and_saveexec_b32 s7, s5
	s_cbranch_execz .LBB252_11
; %bb.10:
	v_lshlrev_b64 v[11:12], 1, v[0:1]
	s_delay_alu instid0(VALU_DEP_1) | instskip(NEXT) | instid1(VALU_DEP_1)
	v_add_co_u32 v11, s5, v5, v11
	v_add_co_ci_u32_e64 v12, s5, v6, v12, s5
	flat_load_u16 v4, v[11:12]
	s_waitcnt vmcnt(0) lgkmcnt(0)
	v_mul_f16_e32 v8, v29, v4
.LBB252_11:
	s_or_b32 exec_lo, exec_lo, s7
	v_or_b32_e32 v4, 64, v0
	v_mov_b32_e32 v11, 0
	s_delay_alu instid0(VALU_DEP_2) | instskip(SKIP_1) | instid1(VALU_DEP_2)
	v_cmp_le_i32_e64 s5, s17, v4
	v_mov_b32_e32 v4, 0
	s_or_b32 s6, s5, s6
	s_delay_alu instid0(SALU_CYCLE_1) | instskip(NEXT) | instid1(SALU_CYCLE_1)
	s_or_b32 s6, s6, s19
	s_xor_b32 s6, s6, -1
	s_delay_alu instid0(SALU_CYCLE_1)
	s_and_saveexec_b32 s7, s6
	s_cbranch_execz .LBB252_13
; %bb.12:
	v_lshlrev_b64 v[11:12], 1, v[0:1]
	s_delay_alu instid0(VALU_DEP_1) | instskip(NEXT) | instid1(VALU_DEP_1)
	v_add_co_u32 v5, s6, v5, v11
	v_add_co_ci_u32_e64 v6, s6, v6, v12, s6
	flat_load_u16 v5, v[5:6] offset:128
	s_waitcnt vmcnt(0) lgkmcnt(0)
	v_mul_f16_e32 v11, v29, v5
.LBB252_13:
	s_or_b32 exec_lo, exec_lo, s7
	v_or_b32_e32 v5, 4, v31
	s_delay_alu instid0(VALU_DEP_1) | instskip(NEXT) | instid1(VALU_DEP_1)
	v_cmp_gt_i32_e64 s6, s18, v5
	s_and_b32 s6, s6, vcc_lo
	s_delay_alu instid0(SALU_CYCLE_1) | instskip(NEXT) | instid1(SALU_CYCLE_1)
	s_and_b32 s6, s3, s6
	s_and_saveexec_b32 s7, s6
	s_cbranch_execz .LBB252_15
; %bb.14:
	v_mad_i64_i32 v[4:5], null, v3, s25, 0
	s_delay_alu instid0(VALU_DEP_1) | instskip(NEXT) | instid1(VALU_DEP_1)
	v_lshlrev_b64 v[4:5], 1, v[4:5]
	v_add_co_u32 v4, s6, s22, v4
	s_delay_alu instid0(VALU_DEP_1) | instskip(NEXT) | instid1(VALU_DEP_2)
	v_add_co_ci_u32_e64 v5, s6, s23, v5, s6
	v_add_co_u32 v4, s6, v4, v2
	s_delay_alu instid0(VALU_DEP_1)
	v_add_co_ci_u32_e64 v5, s6, 0, v5, s6
	flat_load_u16 v4, v[4:5] offset:8
	s_waitcnt vmcnt(0) lgkmcnt(0)
	v_mul_f16_e32 v4, v29, v4
.LBB252_15:
	s_or_b32 exec_lo, exec_lo, s7
	v_add_nc_u32_e32 v12, 4, v32
	s_delay_alu instid0(VALU_DEP_1) | instskip(SKIP_1) | instid1(VALU_DEP_2)
	v_min_i32_e32 v13, s15, v12
	v_cmp_le_i32_e64 s6, s18, v12
	v_mad_i64_i32 v[5:6], null, s14, v13, 0
	s_delay_alu instid0(VALU_DEP_2) | instskip(NEXT) | instid1(VALU_DEP_1)
	s_or_b32 s24, s4, s6
	v_lshlrev_b64 v[12:13], 1, v[5:6]
	v_dual_mov_b32 v5, 0 :: v_dual_mov_b32 v6, 0
	s_delay_alu instid0(VALU_DEP_2) | instskip(NEXT) | instid1(VALU_DEP_1)
	v_add_co_u32 v12, s7, s20, v12
	v_add_co_ci_u32_e64 v13, s7, s21, v13, s7
	s_or_b32 s7, s24, s19
	s_delay_alu instid0(SALU_CYCLE_1) | instskip(NEXT) | instid1(SALU_CYCLE_1)
	s_xor_b32 s7, s7, -1
	s_and_saveexec_b32 s24, s7
	s_cbranch_execz .LBB252_17
; %bb.16:
	v_lshlrev_b64 v[14:15], 1, v[0:1]
	s_delay_alu instid0(VALU_DEP_1) | instskip(NEXT) | instid1(VALU_DEP_1)
	v_add_co_u32 v14, s7, v12, v14
	v_add_co_ci_u32_e64 v15, s7, v13, v15, s7
	flat_load_u16 v6, v[14:15]
	s_waitcnt vmcnt(0) lgkmcnt(0)
	v_mul_f16_e32 v6, v29, v6
.LBB252_17:
	s_or_b32 exec_lo, exec_lo, s24
	s_or_b32 s6, s5, s6
	s_delay_alu instid0(SALU_CYCLE_1) | instskip(NEXT) | instid1(SALU_CYCLE_1)
	s_or_b32 s6, s6, s19
	s_xor_b32 s6, s6, -1
	s_delay_alu instid0(SALU_CYCLE_1)
	s_and_saveexec_b32 s7, s6
	s_cbranch_execz .LBB252_19
; %bb.18:
	v_lshlrev_b64 v[14:15], 1, v[0:1]
	s_delay_alu instid0(VALU_DEP_1) | instskip(NEXT) | instid1(VALU_DEP_1)
	v_add_co_u32 v12, s6, v12, v14
	v_add_co_ci_u32_e64 v13, s6, v13, v15, s6
	flat_load_u16 v5, v[12:13] offset:128
	s_waitcnt vmcnt(0) lgkmcnt(0)
	v_mul_f16_e32 v5, v29, v5
.LBB252_19:
	s_or_b32 exec_lo, exec_lo, s7
	v_lshlrev_b32_e32 v12, 1, v32
	v_lshlrev_b32_e32 v34, 3, v28
	;; [unrolled: 1-line block ×3, first 2 shown]
	v_lshl_or_b32 v7, v7, 3, v2
	s_mov_b32 s24, 0
	v_lshl_add_u32 v35, v10, 3, v12
	v_add_nc_u32_e32 v36, 0x800, v34
	s_cmp_lt_i32 s18, 9
	ds_store_b16 v35, v8
	ds_store_b16 v7, v9 offset:2048
	ds_store_b16 v35, v11 offset:512
	s_waitcnt lgkmcnt(0)
	s_barrier
	buffer_gl0_inv
	ds_load_2addr_b64 v[8:11], v33 offset1:32
	ds_load_2addr_b64 v[12:15], v36 offset0:48 offset1:56
	ds_load_2addr_b64 v[16:19], v33 offset0:64 offset1:96
	ds_load_2addr_b64 v[20:23], v36 offset1:8
	ds_load_2addr_b64 v[24:27], v36 offset0:16 offset1:24
	ds_load_2addr_b64 v[37:40], v36 offset0:32 offset1:40
	ds_store_b16 v35, v6 offset:1024
	ds_store_b16 v7, v4 offset:2560
	;; [unrolled: 1-line block ×3, first 2 shown]
	s_waitcnt lgkmcnt(0)
	s_barrier
	buffer_gl0_inv
	v_pk_max_f16 v8, v8, v8
	v_pk_max_f16 v10, v10, v10
	;; [unrolled: 1-line block ×8, first 2 shown]
	v_pk_min_f16 v50, v24, v8
	v_pk_min_f16 v51, v24, v10
	v_pk_max_f16 v20, v20, v20
	v_pk_max_f16 v22, v22, v22
	v_pk_min_f16 v36, v14, v8
	v_pk_add_f16 v53, v50, 0
	v_pk_min_f16 v50, v26, v8
	v_pk_add_f16 v54, v51, 0
	v_pk_min_f16 v51, v26, v10
	v_pk_max_f16 v39, v39, v39
	v_pk_max_f16 v12, v12, v12
	v_pk_add_f16 v60, v50, 0
	v_pk_min_f16 v50, v37, v8
	v_pk_add_f16 v61, v51, 0
	v_pk_min_f16 v51, v37, v10
	v_pk_max_f16 v9, v9, v9
	v_pk_max_f16 v15, v15, v15
	v_pk_add_f16 v62, v50, 0
	v_pk_min_f16 v50, v37, v16
	v_pk_min_f16 v37, v37, v18
	;; [unrolled: 1-line block ×9, first 2 shown]
	v_pk_add_f16 v36, v36, 0
	v_pk_min_f16 v48, v22, v10
	v_pk_min_f16 v49, v22, v16
	;; [unrolled: 1-line block ×7, first 2 shown]
	v_pk_add_f16 v63, v51, 0
	v_pk_min_f16 v51, v39, v8
	v_pk_min_f16 v56, v39, v10
	v_pk_add_f16 v71, v37, 0
	v_pk_min_f16 v37, v39, v16
	v_pk_min_f16 v39, v39, v18
	;; [unrolled: 1-line block ×6, first 2 shown]
	v_pk_max_f16 v11, v11, v11
	v_pk_min_f16 v14, v14, v18
	v_pk_min_f16 v18, v15, v9
	v_pk_add_f16 v41, v41, 0
	v_pk_add_f16 v74, v37, 0
	v_pk_max_f16 v17, v17, v17
	v_pk_min_f16 v37, v15, v11
	v_pk_max_f16 v21, v21, v21
	v_pk_add_f16 v69, v36, v18
	v_pk_max_f16 v18, v19, v19
	v_pk_add_f16 v44, v44, 0
	v_pk_add_f16 v20, v20, 0
	;; [unrolled: 1-line block ×3, first 2 shown]
	v_pk_min_f16 v19, v21, v9
	v_pk_min_f16 v36, v21, v11
	;; [unrolled: 1-line block ×4, first 2 shown]
	v_pk_max_f16 v23, v23, v23
	v_pk_add_f16 v47, v47, 0
	v_pk_add_f16 v48, v48, 0
	;; [unrolled: 1-line block ×7, first 2 shown]
	v_pk_min_f16 v19, v23, v9
	v_pk_min_f16 v20, v23, v11
	;; [unrolled: 1-line block ×4, first 2 shown]
	v_pk_max_f16 v25, v25, v25
	v_pk_add_f16 v43, v43, 0
	v_pk_add_f16 v52, v52, 0
	;; [unrolled: 1-line block ×4, first 2 shown]
	v_pk_min_f16 v39, v15, v17
	v_pk_add_f16 v41, v47, v19
	v_pk_add_f16 v66, v48, v20
	v_pk_add_f16 v57, v49, v21
	v_pk_add_f16 v49, v22, v23
	v_pk_min_f16 v19, v25, v9
	v_pk_min_f16 v20, v25, v11
	;; [unrolled: 1-line block ×4, first 2 shown]
	v_pk_max_f16 v23, v27, v27
	v_pk_add_f16 v46, v46, 0
	v_pk_add_f16 v55, v55, 0
	;; [unrolled: 1-line block ×10, first 2 shown]
	v_pk_min_f16 v19, v23, v9
	v_pk_min_f16 v20, v23, v11
	;; [unrolled: 1-line block ×4, first 2 shown]
	v_pk_max_f16 v23, v38, v38
	v_pk_add_f16 v45, v45, 0
	v_pk_add_f16 v58, v46, v37
	;; [unrolled: 1-line block ×6, first 2 shown]
	v_pk_min_f16 v19, v23, v9
	v_pk_min_f16 v20, v23, v11
	;; [unrolled: 1-line block ×4, first 2 shown]
	v_pk_max_f16 v23, v40, v40
	v_pk_max_f16 v13, v13, v13
	v_pk_add_f16 v8, v8, 0
	v_pk_add_f16 v10, v10, 0
	;; [unrolled: 1-line block ×10, first 2 shown]
	v_pk_min_f16 v19, v23, v9
	v_pk_min_f16 v20, v23, v11
	;; [unrolled: 1-line block ×9, first 2 shown]
	v_pk_add_f16 v38, v72, v19
	v_pk_add_f16 v62, v73, v20
	;; [unrolled: 1-line block ×9, first 2 shown]
	s_cbranch_scc1 .LBB252_34
; %bb.20:
	v_mad_i64_i32 v[4:5], null, s25, v3, 0
	v_lshlrev_b64 v[24:25], 1, v[0:1]
	v_add_nc_u32_e32 v60, 0x800, v7
	v_add_nc_u32_e32 v67, 0x800, v34
	;; [unrolled: 1-line block ×3, first 2 shown]
	v_or_b32_e32 v72, 0x400, v35
	v_lshl_add_u32 v73, v28, 3, 0xa00
	v_lshlrev_b64 v[3:4], 1, v[4:5]
	v_lshl_add_u32 v74, v30, 3, 0x400
	s_delay_alu instid0(VALU_DEP_2) | instskip(NEXT) | instid1(VALU_DEP_1)
	v_add_co_u32 v2, s6, v3, v2
	v_add_co_ci_u32_e64 v3, s6, 0, v4, s6
	s_delay_alu instid0(VALU_DEP_2) | instskip(NEXT) | instid1(VALU_DEP_1)
	v_add_co_u32 v2, s6, v2, s22
	v_add_co_ci_u32_e64 v3, s6, s23, v3, s6
	s_add_i32 s22, s18, -8
	s_delay_alu instid0(VALU_DEP_2) | instskip(NEXT) | instid1(VALU_DEP_1)
	v_add_co_u32 v26, s6, v2, 24
	v_add_co_ci_u32_e64 v27, s6, 0, v3, s6
	s_branch .LBB252_22
.LBB252_21:                             ;   in Loop: Header=BB252_22 Depth=1
	s_or_b32 exec_lo, exec_lo, s7
	v_pk_add_f16 v22, v50, v22
	v_pk_add_f16 v50, v57, v80
	;; [unrolled: 1-line block ×25, first 2 shown]
	ds_load_2addr_b64 v[37:40], v67 offset0:48 offset1:56
	ds_load_2addr_b64 v[43:46], v33 offset1:32
	v_pk_add_f16 v9, v48, v9
	ds_load_2addr_b64 v[47:50], v33 offset0:64 offset1:96
	v_pk_add_f16 v18, v68, v18
	v_pk_add_f16 v20, v58, v20
	;; [unrolled: 1-line block ×7, first 2 shown]
	ds_load_2addr_b64 v[51:54], v67 offset1:8
	v_pk_add_f16 v62, v62, v92
	v_pk_add_f16 v61, v61, v96
	v_pk_add_f16 v77, v2, v106
	v_pk_add_f16 v12, v12, v107
	v_pk_add_f16 v16, v16, v108
	v_pk_add_f16 v78, v8, v113
	v_pk_add_f16 v83, v4, v99
	v_pk_add_f16 v84, v6, v105
	s_waitcnt lgkmcnt(3)
	v_pk_max_f16 v39, v39, v39
	s_waitcnt lgkmcnt(2)
	v_pk_max_f16 v43, v43, v43
	v_pk_max_f16 v45, v45, v45
	s_waitcnt lgkmcnt(1)
	v_pk_max_f16 v47, v47, v47
	v_pk_add_f16 v58, v58, v3
	v_pk_add_f16 v59, v59, v5
	;; [unrolled: 1-line block ×6, first 2 shown]
	v_pk_min_f16 v5, v39, v43
	v_pk_min_f16 v6, v39, v45
	;; [unrolled: 1-line block ×3, first 2 shown]
	ds_load_2addr_b64 v[1:4], v67 offset0:16 offset1:24
	s_waitcnt lgkmcnt(1)
	v_pk_max_f16 v8, v51, v51
	v_pk_max_f16 v49, v49, v49
	v_pk_add_f16 v14, v14, v109
	v_pk_add_f16 v18, v18, v110
	;; [unrolled: 1-line block ×7, first 2 shown]
	v_pk_min_f16 v5, v8, v43
	v_pk_min_f16 v6, v8, v45
	;; [unrolled: 1-line block ×4, first 2 shown]
	v_pk_max_f16 v53, v53, v53
	v_pk_add_f16 v14, v14, v5
	v_pk_add_f16 v18, v18, v6
	;; [unrolled: 1-line block ×4, first 2 shown]
	ds_load_2addr_b64 v[5:8], v67 offset0:32 offset1:40
	v_pk_add_f16 v41, v41, v114
	v_pk_add_f16 v15, v64, v15
	v_pk_min_f16 v64, v53, v45
	s_waitcnt lgkmcnt(1)
	v_pk_max_f16 v1, v1, v1
	v_pk_max_f16 v3, v3, v3
	v_pk_add_f16 v36, v36, v88
	v_pk_add_f16 v56, v56, v100
	;; [unrolled: 1-line block ×3, first 2 shown]
	v_pk_min_f16 v41, v1, v43
	v_pk_add_f16 v17, v65, v17
	v_pk_min_f16 v65, v53, v47
	v_pk_add_f16 v10, v10, v118
	v_pk_add_f16 v36, v36, v103
	;; [unrolled: 1-line block ×3, first 2 shown]
	v_pk_min_f16 v41, v3, v45
	v_pk_add_f16 v19, v66, v19
	v_pk_add_f16 v23, v68, v23
	;; [unrolled: 1-line block ×3, first 2 shown]
	v_pk_min_f16 v66, v1, v45
	s_waitcnt lgkmcnt(0)
	v_pk_max_f16 v5, v5, v5
	v_pk_min_f16 v68, v1, v47
	v_pk_min_f16 v1, v1, v49
	v_pk_add_f16 v79, v56, v41
	v_pk_add_f16 v57, v57, v102
	v_pk_min_f16 v41, v5, v43
	v_pk_add_f16 v11, v63, v11
	v_pk_min_f16 v63, v53, v43
	v_pk_min_f16 v53, v53, v49
	v_pk_add_f16 v10, v10, v66
	v_pk_add_f16 v1, v9, v1
	v_pk_min_f16 v9, v3, v43
	v_pk_min_f16 v66, v3, v47
	;; [unrolled: 1-line block ×4, first 2 shown]
	v_pk_max_f16 v7, v7, v7
	v_pk_add_f16 v36, v36, v41
	v_pk_min_f16 v41, v5, v47
	v_pk_max_f16 v37, v37, v37
	v_pk_add_f16 v53, v80, v53
	v_pk_add_f16 v3, v57, v3
	;; [unrolled: 1-line block ×3, first 2 shown]
	v_pk_min_f16 v56, v7, v43
	v_pk_min_f16 v57, v7, v45
	v_pk_add_f16 v81, v58, v41
	v_pk_min_f16 v41, v7, v47
	v_pk_min_f16 v7, v7, v49
	v_pk_min_f16 v43, v37, v43
	v_pk_min_f16 v45, v37, v45
	v_pk_min_f16 v47, v37, v47
	v_pk_max_f16 v40, v40, v40
	v_pk_add_f16 v7, v17, v7
	v_pk_add_f16 v17, v19, v43
	v_pk_max_f16 v43, v44, v44
	v_pk_max_f16 v44, v46, v46
	v_pk_add_f16 v63, v78, v63
	v_pk_add_f16 v78, v82, v68
	v_pk_min_f16 v5, v5, v49
	v_pk_add_f16 v15, v15, v41
	v_pk_add_f16 v19, v21, v45
	;; [unrolled: 1-line block ×3, first 2 shown]
	v_pk_min_f16 v23, v37, v49
	v_pk_min_f16 v37, v39, v49
	v_pk_max_f16 v82, v48, v48
	v_pk_min_f16 v41, v40, v44
	v_pk_add_f16 v9, v83, v9
	v_pk_add_f16 v5, v59, v5
	v_pk_min_f16 v39, v40, v43
	v_pk_add_f16 v83, v62, v37
	v_pk_min_f16 v37, v40, v82
	v_pk_max_f16 v45, v52, v52
	v_pk_add_f16 v59, v12, v41
	v_pk_max_f16 v12, v50, v50
	v_pk_add_f16 v55, v55, v86
	v_pk_add_f16 v69, v51, v39
	;; [unrolled: 1-line block ×3, first 2 shown]
	v_pk_min_f16 v16, v45, v43
	v_pk_min_f16 v37, v45, v44
	;; [unrolled: 1-line block ×4, first 2 shown]
	v_pk_max_f16 v45, v54, v54
	v_pk_add_f16 v55, v55, v101
	v_pk_add_f16 v70, v14, v16
	;; [unrolled: 1-line block ×3, first 2 shown]
	v_pk_max_f16 v2, v2, v2
	v_pk_min_f16 v14, v45, v43
	v_pk_min_f16 v16, v45, v44
	;; [unrolled: 1-line block ×3, first 2 shown]
	v_pk_add_f16 v55, v55, v66
	v_pk_add_f16 v13, v13, v57
	;; [unrolled: 1-line block ×6, first 2 shown]
	v_pk_min_f16 v14, v2, v43
	v_pk_min_f16 v16, v2, v44
	;; [unrolled: 1-line block ×4, first 2 shown]
	v_pk_max_f16 v4, v4, v4
	v_pk_max_f16 v6, v6, v6
	v_pk_add_f16 v65, v10, v16
	v_pk_add_f16 v11, v11, v56
	;; [unrolled: 1-line block ×3, first 2 shown]
	v_pk_min_f16 v1, v4, v43
	v_pk_min_f16 v2, v4, v44
	;; [unrolled: 1-line block ×4, first 2 shown]
	v_pk_add_f16 v58, v20, v39
	v_pk_add_f16 v37, v9, v1
	;; [unrolled: 1-line block ×3, first 2 shown]
	v_pk_min_f16 v1, v6, v43
	v_pk_add_f16 v47, v3, v4
	v_pk_min_f16 v2, v6, v44
	v_pk_min_f16 v3, v6, v82
	;; [unrolled: 1-line block ×3, first 2 shown]
	v_pk_max_f16 v6, v8, v8
	v_pk_min_f16 v20, v45, v12
	v_pk_add_f16 v36, v36, v1
	v_pk_add_f16 v63, v80, v2
	;; [unrolled: 1-line block ×4, first 2 shown]
	v_pk_min_f16 v1, v6, v43
	v_pk_min_f16 v2, v6, v44
	;; [unrolled: 1-line block ×4, first 2 shown]
	v_pk_max_f16 v5, v38, v38
	v_pk_add_f16 v23, v61, v23
	v_pk_add_f16 v49, v53, v20
	v_pk_add_f16 v38, v11, v1
	v_pk_add_f16 v62, v13, v2
	v_pk_add_f16 v53, v15, v3
	v_pk_add_f16 v45, v7, v4
	v_pk_min_f16 v1, v5, v43
	v_pk_min_f16 v2, v5, v44
	;; [unrolled: 1-line block ×5, first 2 shown]
	v_add_co_u32 v26, s6, v26, 16
	v_pk_add_f16 v39, v77, v14
	v_pk_add_f16 v56, v78, v18
	;; [unrolled: 1-line block ×8, first 2 shown]
	v_add_co_ci_u32_e64 v27, s6, 0, v27, s6
	s_add_i32 s24, s24, 8
	ds_store_b16 v71, v75
	ds_store_b16 v72, v76
	ds_store_b16 v72, v0 offset:512
	s_cmp_ge_i32 s24, s22
	s_waitcnt lgkmcnt(0)
	s_barrier
	buffer_gl0_inv
	s_cbranch_scc1 .LBB252_34
.LBB252_22:                             ; =>This Inner Loop Header: Depth=1
	v_dual_mov_b32 v76, 0 :: v_dual_add_nc_u32 v75, s24, v31
	s_delay_alu instid0(VALU_DEP_1) | instskip(NEXT) | instid1(VALU_DEP_1)
	v_add_nc_u32_e32 v0, 8, v75
	v_cmp_gt_i32_e64 s6, s18, v0
	s_delay_alu instid0(VALU_DEP_1) | instskip(NEXT) | instid1(SALU_CYCLE_1)
	s_and_b32 s6, s6, vcc_lo
	s_and_b32 s6, s3, s6
	s_delay_alu instid0(SALU_CYCLE_1)
	s_and_saveexec_b32 s7, s6
	s_cbranch_execz .LBB252_24
; %bb.23:                               ;   in Loop: Header=BB252_22 Depth=1
	v_add_co_u32 v0, s6, -8, v26
	s_delay_alu instid0(VALU_DEP_1)
	v_add_co_ci_u32_e64 v1, s6, -1, v27, s6
	flat_load_u16 v0, v[0:1]
	s_waitcnt vmcnt(0) lgkmcnt(0)
	v_mul_f16_e32 v76, v29, v0
.LBB252_24:                             ;   in Loop: Header=BB252_22 Depth=1
	s_or_b32 exec_lo, exec_lo, s7
	v_dual_mov_b32 v78, 0 :: v_dual_add_nc_u32 v77, s24, v32
	s_delay_alu instid0(VALU_DEP_1) | instskip(NEXT) | instid1(VALU_DEP_1)
	v_dual_mov_b32 v79, 0 :: v_dual_add_nc_u32 v2, 8, v77
	v_min_i32_e32 v3, s15, v2
	v_cmp_le_i32_e64 s6, s18, v2
	s_delay_alu instid0(VALU_DEP_2) | instskip(NEXT) | instid1(VALU_DEP_2)
	v_mad_i64_i32 v[0:1], null, v3, s14, 0
	s_or_b32 s23, s4, s6
	s_delay_alu instid0(VALU_DEP_1) | instskip(NEXT) | instid1(VALU_DEP_1)
	v_lshlrev_b64 v[0:1], 1, v[0:1]
	v_add_co_u32 v0, s7, s20, v0
	s_delay_alu instid0(VALU_DEP_1) | instskip(SKIP_1) | instid1(SALU_CYCLE_1)
	v_add_co_ci_u32_e64 v1, s7, s21, v1, s7
	s_or_b32 s7, s23, s19
	s_xor_b32 s7, s7, -1
	s_delay_alu instid0(SALU_CYCLE_1)
	s_and_saveexec_b32 s23, s7
	s_cbranch_execz .LBB252_26
; %bb.25:                               ;   in Loop: Header=BB252_22 Depth=1
	v_add_co_u32 v2, s7, v0, v24
	s_delay_alu instid0(VALU_DEP_1)
	v_add_co_ci_u32_e64 v3, s7, v1, v25, s7
	flat_load_u16 v2, v[2:3]
	s_waitcnt vmcnt(0) lgkmcnt(0)
	v_mul_f16_e32 v79, v29, v2
.LBB252_26:                             ;   in Loop: Header=BB252_22 Depth=1
	s_or_b32 exec_lo, exec_lo, s23
	s_or_b32 s6, s5, s6
	s_delay_alu instid0(SALU_CYCLE_1) | instskip(NEXT) | instid1(SALU_CYCLE_1)
	s_or_b32 s6, s6, s19
	s_xor_b32 s6, s6, -1
	s_delay_alu instid0(SALU_CYCLE_1)
	s_and_saveexec_b32 s7, s6
	s_cbranch_execz .LBB252_28
; %bb.27:                               ;   in Loop: Header=BB252_22 Depth=1
	v_add_co_u32 v0, s6, v0, v24
	s_delay_alu instid0(VALU_DEP_1)
	v_add_co_ci_u32_e64 v1, s6, v1, v25, s6
	flat_load_u16 v0, v[0:1] offset:128
	s_waitcnt vmcnt(0) lgkmcnt(0)
	v_mul_f16_e32 v78, v29, v0
.LBB252_28:                             ;   in Loop: Header=BB252_22 Depth=1
	s_or_b32 exec_lo, exec_lo, s7
	ds_load_2addr_b64 v[0:3], v73 offset0:48 offset1:56
	ds_load_2addr_b64 v[12:15], v74 offset0:64 offset1:96
	ds_load_2addr_b64 v[20:23], v74 offset1:32
	ds_load_2addr_b64 v[16:19], v73 offset1:8
	ds_load_2addr_b64 v[8:11], v73 offset0:16 offset1:24
	ds_load_2addr_b64 v[4:7], v73 offset0:32 offset1:40
	v_add_nc_u32_e32 v75, 12, v75
	ds_store_b16 v60, v76
	ds_store_b16 v35, v79
	ds_store_b16 v35, v78 offset:512
	v_mov_b32_e32 v76, 0
	s_waitcnt lgkmcnt(0)
	s_barrier
	v_cmp_gt_i32_e64 s6, s18, v75
	v_mov_b32_e32 v75, 0
	buffer_gl0_inv
	s_and_b32 s6, s6, vcc_lo
	s_delay_alu instid0(SALU_CYCLE_1) | instskip(NEXT) | instid1(SALU_CYCLE_1)
	s_and_b32 s7, s3, s6
	s_and_saveexec_b32 s6, s7
	s_cbranch_execz .LBB252_30
; %bb.29:                               ;   in Loop: Header=BB252_22 Depth=1
	flat_load_u16 v75, v[26:27]
	s_waitcnt vmcnt(0) lgkmcnt(0)
	v_mul_f16_e32 v75, v29, v75
.LBB252_30:                             ;   in Loop: Header=BB252_22 Depth=1
	s_or_b32 exec_lo, exec_lo, s6
	v_add_nc_u32_e32 v79, 12, v77
	s_delay_alu instid0(VALU_DEP_1) | instskip(SKIP_1) | instid1(VALU_DEP_2)
	v_min_i32_e32 v80, s15, v79
	v_cmp_le_i32_e64 s6, s18, v79
	v_mad_i64_i32 v[77:78], null, v80, s14, 0
	s_delay_alu instid0(VALU_DEP_2) | instskip(NEXT) | instid1(VALU_DEP_1)
	s_or_b32 s23, s4, s6
	v_lshlrev_b64 v[77:78], 1, v[77:78]
	s_delay_alu instid0(VALU_DEP_1) | instskip(NEXT) | instid1(VALU_DEP_1)
	v_add_co_u32 v77, s7, s20, v77
	v_add_co_ci_u32_e64 v78, s7, s21, v78, s7
	s_or_b32 s7, s23, s19
	s_delay_alu instid0(SALU_CYCLE_1) | instskip(NEXT) | instid1(SALU_CYCLE_1)
	s_xor_b32 s7, s7, -1
	s_and_saveexec_b32 s23, s7
	s_cbranch_execz .LBB252_32
; %bb.31:                               ;   in Loop: Header=BB252_22 Depth=1
	v_add_co_u32 v79, s7, v77, v24
	s_delay_alu instid0(VALU_DEP_1)
	v_add_co_ci_u32_e64 v80, s7, v78, v25, s7
	flat_load_u16 v76, v[79:80]
	s_waitcnt vmcnt(0) lgkmcnt(0)
	v_mul_f16_e32 v76, v29, v76
.LBB252_32:                             ;   in Loop: Header=BB252_22 Depth=1
	s_or_b32 exec_lo, exec_lo, s23
	v_pk_max_f16 v99, v2, v2
	v_pk_max_f16 v95, v20, v20
	;; [unrolled: 1-line block ×12, first 2 shown]
	v_pk_min_f16 v2, v99, v95
	v_pk_min_f16 v12, v99, v96
	;; [unrolled: 1-line block ×25, first 2 shown]
	v_pk_max_f16 v0, v3, v3
	v_pk_max_f16 v21, v21, v21
	;; [unrolled: 1-line block ×9, first 2 shown]
	v_pk_min_f16 v109, v3, v21
	v_pk_min_f16 v110, v3, v23
	;; [unrolled: 1-line block ×4, first 2 shown]
	v_pk_max_f16 v3, v9, v9
	v_pk_max_f16 v7, v7, v7
	;; [unrolled: 1-line block ×3, first 2 shown]
	s_or_b32 s6, s5, s6
	v_pk_min_f16 v22, v22, v100
	v_pk_min_f16 v81, v81, v100
	;; [unrolled: 1-line block ×35, first 2 shown]
	v_mov_b32_e32 v0, 0
	s_or_b32 s6, s6, s19
	s_delay_alu instid0(SALU_CYCLE_1) | instskip(NEXT) | instid1(SALU_CYCLE_1)
	s_xor_b32 s6, s6, -1
	s_and_saveexec_b32 s7, s6
	s_cbranch_execz .LBB252_21
; %bb.33:                               ;   in Loop: Header=BB252_22 Depth=1
	v_add_co_u32 v77, s6, v77, v24
	s_delay_alu instid0(VALU_DEP_1)
	v_add_co_ci_u32_e64 v78, s6, v78, v25, s6
	flat_load_u16 v0, v[77:78] offset:128
	s_waitcnt vmcnt(0) lgkmcnt(0)
	v_mul_f16_e32 v0, v29, v0
	s_branch .LBB252_21
.LBB252_34:
	s_clause 0x2
	s_load_b32 s15, s[0:1], 0x58
	s_load_b32 s14, s[0:1], 0x70
	s_load_b64 s[4:5], s[0:1], 0x78
	v_add_nc_u32_e32 v67, s9, v30
	v_add_nc_u32_e32 v8, 0x800, v34
	v_add_nc_u32_e32 v24, s8, v28
	ds_load_2addr_b64 v[0:3], v33 offset0:192 offset1:224
	ds_load_2addr_b64 v[20:23], v33 offset0:128 offset1:160
	;; [unrolled: 1-line block ×6, first 2 shown]
	v_cmp_gt_i32_e64 s8, s17, v67
	v_cmp_gt_i32_e64 s0, s16, v24
	v_cndmask_b32_e64 v60, 0, 1, s2
	s_waitcnt lgkmcnt(0)
	v_mad_i64_i32 v[25:26], null, v67, s15, 0
	v_mad_i64_i32 v[27:28], null, v67, s14, 0
	s_lshl_b64 s[4:5], s[4:5], 1
	s_delay_alu instid0(SALU_CYCLE_1) | instskip(SKIP_1) | instid1(VALU_DEP_2)
	s_add_u32 s9, s12, s4
	s_addc_u32 s12, s13, s5
	v_lshlrev_b64 v[29:30], 1, v[25:26]
	v_ashrrev_i32_e32 v25, 31, v24
	s_delay_alu instid0(VALU_DEP_3) | instskip(SKIP_1) | instid1(VALU_DEP_3)
	v_lshlrev_b64 v[26:27], 1, v[27:28]
	s_and_b32 s3, s0, s8
	v_add_co_u32 v73, vcc_lo, s10, v29
	s_delay_alu instid0(VALU_DEP_4) | instskip(NEXT) | instid1(VALU_DEP_3)
	v_add_co_ci_u32_e32 v74, vcc_lo, s11, v30, vcc_lo
	v_add_co_u32 v71, vcc_lo, s9, v26
	s_delay_alu instid0(VALU_DEP_4)
	v_add_co_ci_u32_e32 v72, vcc_lo, s12, v27, vcc_lo
	s_and_saveexec_b32 s1, s3
	s_cbranch_execz .LBB252_39
; %bb.35:
	v_lshlrev_b64 v[26:27], 1, v[24:25]
	s_and_not1_b32 vcc_lo, exec_lo, s2
	s_cbranch_vccnz .LBB252_37
; %bb.36:
	s_delay_alu instid0(VALU_DEP_1) | instskip(NEXT) | instid1(VALU_DEP_2)
	v_add_co_u32 v28, vcc_lo, v73, v26
	v_add_co_ci_u32_e32 v29, vcc_lo, v74, v27, vcc_lo
	flat_load_u16 v28, v[28:29]
	s_waitcnt vmcnt(0) lgkmcnt(0)
	v_mul_f16_e32 v28, v42, v28
	s_branch .LBB252_38
.LBB252_37:
	v_mov_b32_e32 v28, 0
.LBB252_38:
	v_pk_max_f16 v29, v20, v20
	v_pk_max_f16 v30, v16, v16
	;; [unrolled: 1-line block ×4, first 2 shown]
	v_add_co_u32 v26, vcc_lo, v71, v26
	s_delay_alu instid0(VALU_DEP_4) | instskip(SKIP_1) | instid1(VALU_DEP_4)
	v_pk_min_f16 v29, v30, v29
	v_add_co_ci_u32_e32 v27, vcc_lo, v72, v27, vcc_lo
	v_pk_min_f16 v30, v32, v31
	s_delay_alu instid0(VALU_DEP_3) | instskip(NEXT) | instid1(VALU_DEP_1)
	v_pk_add_f16 v29, v70, v29
	v_pk_add_f16 v29, v29, v30
	s_delay_alu instid0(VALU_DEP_1) | instskip(NEXT) | instid1(VALU_DEP_1)
	v_lshrrev_b32_e32 v30, 16, v29
	v_add_f16_e32 v29, v29, v30
	s_delay_alu instid0(VALU_DEP_1)
	v_add_f16_e32 v28, v29, v28
	global_store_b16 v[26:27], v28, off
.LBB252_39:
	s_or_b32 exec_lo, exec_lo, s1
	v_add_nc_u32_e32 v26, 8, v24
	s_delay_alu instid0(VALU_DEP_1) | instskip(SKIP_1) | instid1(VALU_DEP_2)
	v_cmp_gt_i32_e64 s1, s16, v26
	v_ashrrev_i32_e32 v27, 31, v26
	s_and_b32 s3, s1, s8
	s_delay_alu instid0(SALU_CYCLE_1)
	s_and_saveexec_b32 s2, s3
	s_cbranch_execz .LBB252_44
; %bb.40:
	v_cmp_ne_u32_e32 vcc_lo, 1, v60
	v_lshlrev_b64 v[28:29], 1, v[26:27]
	s_cbranch_vccnz .LBB252_42
; %bb.41:
	s_delay_alu instid0(VALU_DEP_1) | instskip(NEXT) | instid1(VALU_DEP_2)
	v_add_co_u32 v30, vcc_lo, v73, v28
	v_add_co_ci_u32_e32 v31, vcc_lo, v74, v29, vcc_lo
	flat_load_u16 v30, v[30:31]
	s_waitcnt vmcnt(0) lgkmcnt(0)
	v_mul_f16_e32 v30, v42, v30
	s_branch .LBB252_43
.LBB252_42:
	v_mov_b32_e32 v30, 0
.LBB252_43:
	v_pk_max_f16 v31, v20, v20
	v_pk_max_f16 v32, v18, v18
	v_pk_max_f16 v33, v21, v21
	v_pk_max_f16 v34, v19, v19
	v_add_co_u32 v28, vcc_lo, v71, v28
	s_delay_alu instid0(VALU_DEP_4) | instskip(SKIP_1) | instid1(VALU_DEP_4)
	v_pk_min_f16 v31, v32, v31
	v_add_co_ci_u32_e32 v29, vcc_lo, v72, v29, vcc_lo
	v_pk_min_f16 v32, v34, v33
	s_delay_alu instid0(VALU_DEP_3) | instskip(NEXT) | instid1(VALU_DEP_1)
	v_pk_add_f16 v31, v41, v31
	v_pk_add_f16 v31, v31, v32
	s_delay_alu instid0(VALU_DEP_1) | instskip(NEXT) | instid1(VALU_DEP_1)
	v_lshrrev_b32_e32 v32, 16, v31
	v_add_f16_e32 v31, v31, v32
	s_delay_alu instid0(VALU_DEP_1)
	v_add_f16_e32 v30, v31, v30
	global_store_b16 v[28:29], v30, off
.LBB252_44:
	s_or_b32 exec_lo, exec_lo, s2
	v_add_nc_u32_e32 v28, 16, v24
	s_delay_alu instid0(VALU_DEP_1) | instskip(SKIP_1) | instid1(VALU_DEP_2)
	v_cmp_gt_i32_e64 s2, s16, v28
	v_ashrrev_i32_e32 v29, 31, v28
	s_and_b32 s4, s2, s8
	s_delay_alu instid0(SALU_CYCLE_1)
	s_and_saveexec_b32 s3, s4
	s_cbranch_execz .LBB252_49
; %bb.45:
	v_cmp_ne_u32_e32 vcc_lo, 1, v60
	v_lshlrev_b64 v[30:31], 1, v[28:29]
	s_cbranch_vccnz .LBB252_47
; %bb.46:
	s_delay_alu instid0(VALU_DEP_1) | instskip(NEXT) | instid1(VALU_DEP_2)
	v_add_co_u32 v32, vcc_lo, v73, v30
	v_add_co_ci_u32_e32 v33, vcc_lo, v74, v31, vcc_lo
	flat_load_u16 v32, v[32:33]
	s_waitcnt vmcnt(0) lgkmcnt(0)
	v_mul_f16_e32 v32, v42, v32
	s_branch .LBB252_48
.LBB252_47:
	v_mov_b32_e32 v32, 0
.LBB252_48:
	v_pk_max_f16 v33, v20, v20
	v_pk_max_f16 v34, v12, v12
	v_pk_max_f16 v35, v21, v21
	v_pk_max_f16 v41, v13, v13
	v_add_co_u32 v30, vcc_lo, v71, v30
	s_delay_alu instid0(VALU_DEP_4) | instskip(SKIP_1) | instid1(VALU_DEP_4)
	v_pk_min_f16 v33, v34, v33
	v_add_co_ci_u32_e32 v31, vcc_lo, v72, v31, vcc_lo
	v_pk_min_f16 v34, v41, v35
	s_delay_alu instid0(VALU_DEP_3) | instskip(NEXT) | instid1(VALU_DEP_1)
	v_pk_add_f16 v33, v39, v33
	v_pk_add_f16 v33, v33, v34
	s_delay_alu instid0(VALU_DEP_1) | instskip(NEXT) | instid1(VALU_DEP_1)
	v_lshrrev_b32_e32 v34, 16, v33
	v_add_f16_e32 v33, v33, v34
	s_delay_alu instid0(VALU_DEP_1)
	v_add_f16_e32 v32, v33, v32
	global_store_b16 v[30:31], v32, off
.LBB252_49:
	s_or_b32 exec_lo, exec_lo, s3
	v_add_nc_u32_e32 v30, 24, v24
	s_delay_alu instid0(VALU_DEP_1) | instskip(SKIP_1) | instid1(VALU_DEP_2)
	v_cmp_gt_i32_e64 s3, s16, v30
	v_ashrrev_i32_e32 v31, 31, v30
	s_and_b32 s5, s3, s8
	s_delay_alu instid0(SALU_CYCLE_1)
	s_and_saveexec_b32 s4, s5
	s_cbranch_execz .LBB252_54
; %bb.50:
	v_cmp_ne_u32_e32 vcc_lo, 1, v60
	v_lshlrev_b64 v[32:33], 1, v[30:31]
	s_cbranch_vccnz .LBB252_52
; %bb.51:
	s_delay_alu instid0(VALU_DEP_1) | instskip(NEXT) | instid1(VALU_DEP_2)
	v_add_co_u32 v34, vcc_lo, v73, v32
	v_add_co_ci_u32_e32 v35, vcc_lo, v74, v33, vcc_lo
	flat_load_u16 v34, v[34:35]
	s_waitcnt vmcnt(0) lgkmcnt(0)
	v_mul_f16_e32 v34, v42, v34
	s_branch .LBB252_53
.LBB252_52:
	v_mov_b32_e32 v34, 0
.LBB252_53:
	v_pk_max_f16 v35, v20, v20
	v_pk_max_f16 v39, v14, v14
	v_pk_max_f16 v41, v21, v21
	v_pk_max_f16 v70, v15, v15
	v_add_co_u32 v32, vcc_lo, v71, v32
	s_delay_alu instid0(VALU_DEP_4) | instskip(SKIP_1) | instid1(VALU_DEP_4)
	v_pk_min_f16 v35, v39, v35
	v_add_co_ci_u32_e32 v33, vcc_lo, v72, v33, vcc_lo
	v_pk_min_f16 v39, v70, v41
	s_delay_alu instid0(VALU_DEP_3) | instskip(NEXT) | instid1(VALU_DEP_1)
	v_pk_add_f16 v35, v37, v35
	v_pk_add_f16 v35, v35, v39
	s_delay_alu instid0(VALU_DEP_1) | instskip(NEXT) | instid1(VALU_DEP_1)
	v_lshrrev_b32_e32 v37, 16, v35
	v_add_f16_e32 v35, v35, v37
	s_delay_alu instid0(VALU_DEP_1)
	v_add_f16_e32 v34, v35, v34
	global_store_b16 v[32:33], v34, off
.LBB252_54:
	s_or_b32 exec_lo, exec_lo, s4
	v_add_nc_u32_e32 v32, 32, v24
	s_delay_alu instid0(VALU_DEP_1) | instskip(SKIP_1) | instid1(VALU_DEP_2)
	v_cmp_gt_i32_e64 s4, s16, v32
	v_ashrrev_i32_e32 v33, 31, v32
	s_and_b32 s6, s4, s8
	s_delay_alu instid0(SALU_CYCLE_1)
	s_and_saveexec_b32 s5, s6
	s_cbranch_execz .LBB252_59
; %bb.55:
	v_cmp_ne_u32_e32 vcc_lo, 1, v60
	v_lshlrev_b64 v[34:35], 1, v[32:33]
	s_cbranch_vccnz .LBB252_57
; %bb.56:
	s_delay_alu instid0(VALU_DEP_1) | instskip(NEXT) | instid1(VALU_DEP_2)
	v_add_co_u32 v75, vcc_lo, v73, v34
	v_add_co_ci_u32_e32 v76, vcc_lo, v74, v35, vcc_lo
	flat_load_u16 v37, v[75:76]
	s_waitcnt vmcnt(0) lgkmcnt(0)
	v_mul_f16_e32 v37, v42, v37
	s_branch .LBB252_58
.LBB252_57:
	v_mov_b32_e32 v37, 0
.LBB252_58:
	v_pk_max_f16 v39, v20, v20
	v_pk_max_f16 v41, v8, v8
	v_pk_max_f16 v70, v21, v21
	v_pk_max_f16 v75, v9, v9
	v_add_co_u32 v34, vcc_lo, v71, v34
	s_delay_alu instid0(VALU_DEP_4) | instskip(SKIP_1) | instid1(VALU_DEP_4)
	v_pk_min_f16 v39, v41, v39
	v_add_co_ci_u32_e32 v35, vcc_lo, v72, v35, vcc_lo
	v_pk_min_f16 v41, v75, v70
	s_delay_alu instid0(VALU_DEP_3) | instskip(NEXT) | instid1(VALU_DEP_1)
	v_pk_add_f16 v36, v36, v39
	v_pk_add_f16 v36, v36, v41
	s_delay_alu instid0(VALU_DEP_1) | instskip(NEXT) | instid1(VALU_DEP_1)
	v_lshrrev_b32_e32 v39, 16, v36
	v_add_f16_e32 v36, v36, v39
	s_delay_alu instid0(VALU_DEP_1)
	v_add_f16_e32 v36, v36, v37
	global_store_b16 v[34:35], v36, off
.LBB252_59:
	s_or_b32 exec_lo, exec_lo, s5
	v_add_nc_u32_e32 v34, 40, v24
	s_delay_alu instid0(VALU_DEP_1) | instskip(SKIP_1) | instid1(VALU_DEP_2)
	v_cmp_gt_i32_e64 s5, s16, v34
	v_ashrrev_i32_e32 v35, 31, v34
	s_and_b32 s7, s5, s8
	s_delay_alu instid0(SALU_CYCLE_1)
	s_and_saveexec_b32 s6, s7
	s_cbranch_execz .LBB252_64
; %bb.60:
	v_cmp_ne_u32_e32 vcc_lo, 1, v60
	v_lshlrev_b64 v[36:37], 1, v[34:35]
	s_cbranch_vccnz .LBB252_62
; %bb.61:
	s_delay_alu instid0(VALU_DEP_1) | instskip(NEXT) | instid1(VALU_DEP_2)
	v_add_co_u32 v75, vcc_lo, v73, v36
	v_add_co_ci_u32_e32 v76, vcc_lo, v74, v37, vcc_lo
	flat_load_u16 v39, v[75:76]
	s_waitcnt vmcnt(0) lgkmcnt(0)
	v_mul_f16_e32 v39, v42, v39
	s_branch .LBB252_63
.LBB252_62:
	v_mov_b32_e32 v39, 0
.LBB252_63:
	v_pk_max_f16 v41, v20, v20
	v_pk_max_f16 v70, v10, v10
	v_pk_max_f16 v75, v21, v21
	v_pk_max_f16 v76, v11, v11
	v_add_co_u32 v36, vcc_lo, v71, v36
	s_delay_alu instid0(VALU_DEP_4) | instskip(SKIP_1) | instid1(VALU_DEP_4)
	v_pk_min_f16 v41, v70, v41
	v_add_co_ci_u32_e32 v37, vcc_lo, v72, v37, vcc_lo
	v_pk_min_f16 v70, v76, v75
	s_delay_alu instid0(VALU_DEP_3) | instskip(NEXT) | instid1(VALU_DEP_1)
	v_pk_add_f16 v38, v38, v41
	v_pk_add_f16 v38, v38, v70
	s_delay_alu instid0(VALU_DEP_1) | instskip(NEXT) | instid1(VALU_DEP_1)
	v_lshrrev_b32_e32 v41, 16, v38
	v_add_f16_e32 v38, v38, v41
	s_delay_alu instid0(VALU_DEP_1)
	v_add_f16_e32 v38, v38, v39
	global_store_b16 v[36:37], v38, off
.LBB252_64:
	s_or_b32 exec_lo, exec_lo, s6
	v_add_nc_u32_e32 v36, 48, v24
	s_delay_alu instid0(VALU_DEP_1) | instskip(SKIP_1) | instid1(VALU_DEP_2)
	v_cmp_gt_i32_e64 s6, s16, v36
	v_ashrrev_i32_e32 v37, 31, v36
	s_and_b32 s13, s6, s8
	s_delay_alu instid0(SALU_CYCLE_1)
	s_and_saveexec_b32 s7, s13
	s_cbranch_execz .LBB252_69
; %bb.65:
	v_cmp_ne_u32_e32 vcc_lo, 1, v60
	v_lshlrev_b64 v[38:39], 1, v[36:37]
	s_cbranch_vccnz .LBB252_67
; %bb.66:
	s_delay_alu instid0(VALU_DEP_1) | instskip(NEXT) | instid1(VALU_DEP_2)
	v_add_co_u32 v75, vcc_lo, v73, v38
	v_add_co_ci_u32_e32 v76, vcc_lo, v74, v39, vcc_lo
	flat_load_u16 v41, v[75:76]
	s_waitcnt vmcnt(0) lgkmcnt(0)
	v_mul_f16_e32 v41, v42, v41
	s_branch .LBB252_68
.LBB252_67:
	v_mov_b32_e32 v41, 0
.LBB252_68:
	v_pk_max_f16 v70, v20, v20
	v_pk_max_f16 v75, v4, v4
	v_pk_max_f16 v76, v21, v21
	v_pk_max_f16 v77, v5, v5
	v_add_co_u32 v38, vcc_lo, v71, v38
	s_delay_alu instid0(VALU_DEP_4) | instskip(SKIP_1) | instid1(VALU_DEP_4)
	v_pk_min_f16 v70, v75, v70
	v_add_co_ci_u32_e32 v39, vcc_lo, v72, v39, vcc_lo
	v_pk_min_f16 v75, v77, v76
	s_delay_alu instid0(VALU_DEP_3) | instskip(NEXT) | instid1(VALU_DEP_1)
	v_pk_add_f16 v40, v40, v70
	v_pk_add_f16 v40, v40, v75
	s_delay_alu instid0(VALU_DEP_1) | instskip(NEXT) | instid1(VALU_DEP_1)
	v_lshrrev_b32_e32 v70, 16, v40
	v_add_f16_e32 v40, v40, v70
	s_delay_alu instid0(VALU_DEP_1)
	v_add_f16_e32 v40, v40, v41
	global_store_b16 v[38:39], v40, off
.LBB252_69:
	s_or_b32 exec_lo, exec_lo, s7
	v_add_nc_u32_e32 v38, 56, v24
	s_delay_alu instid0(VALU_DEP_1) | instskip(SKIP_1) | instid1(VALU_DEP_2)
	v_cmp_gt_i32_e64 s7, s16, v38
	v_ashrrev_i32_e32 v39, 31, v38
	s_and_b32 s13, s7, s8
	s_delay_alu instid0(SALU_CYCLE_1)
	s_and_saveexec_b32 s8, s13
	s_cbranch_execz .LBB252_74
; %bb.70:
	v_cmp_ne_u32_e32 vcc_lo, 1, v60
	v_lshlrev_b64 v[40:41], 1, v[38:39]
	s_cbranch_vccnz .LBB252_72
; %bb.71:
	s_delay_alu instid0(VALU_DEP_1) | instskip(NEXT) | instid1(VALU_DEP_2)
	v_add_co_u32 v73, vcc_lo, v73, v40
	v_add_co_ci_u32_e32 v74, vcc_lo, v74, v41, vcc_lo
	flat_load_u16 v70, v[73:74]
	s_waitcnt vmcnt(0) lgkmcnt(0)
	v_mul_f16_e32 v70, v42, v70
	s_branch .LBB252_73
.LBB252_72:
	v_mov_b32_e32 v70, 0
.LBB252_73:
	v_pk_max_f16 v20, v20, v20
	v_pk_max_f16 v73, v6, v6
	;; [unrolled: 1-line block ×4, first 2 shown]
	s_delay_alu instid0(VALU_DEP_3) | instskip(NEXT) | instid1(VALU_DEP_2)
	v_pk_min_f16 v20, v73, v20
	v_pk_min_f16 v21, v74, v21
	s_delay_alu instid0(VALU_DEP_2) | instskip(NEXT) | instid1(VALU_DEP_1)
	v_pk_add_f16 v20, v69, v20
	v_pk_add_f16 v20, v20, v21
	s_delay_alu instid0(VALU_DEP_1) | instskip(NEXT) | instid1(VALU_DEP_1)
	v_lshrrev_b32_e32 v21, 16, v20
	v_add_f16_e32 v20, v20, v21
	s_delay_alu instid0(VALU_DEP_1)
	v_add_f16_e32 v69, v20, v70
	v_add_co_u32 v20, vcc_lo, v71, v40
	v_add_co_ci_u32_e32 v21, vcc_lo, v72, v41, vcc_lo
	global_store_b16 v[20:21], v69, off
.LBB252_74:
	s_or_b32 exec_lo, exec_lo, s8
	v_add_nc_u32_e32 v69, 32, v67
	s_delay_alu instid0(VALU_DEP_1) | instskip(SKIP_2) | instid1(VALU_DEP_3)
	v_mad_i64_i32 v[20:21], null, v69, s15, 0
	v_mad_i64_i32 v[40:41], null, v69, s14, 0
	v_cmp_gt_i32_e64 s8, s17, v69
	v_lshlrev_b64 v[20:21], 1, v[20:21]
	s_delay_alu instid0(VALU_DEP_2) | instskip(NEXT) | instid1(VALU_DEP_3)
	s_and_b32 s16, s0, s8
	v_lshlrev_b64 v[40:41], 1, v[40:41]
	s_delay_alu instid0(VALU_DEP_2) | instskip(NEXT) | instid1(VALU_DEP_3)
	v_add_co_u32 v69, vcc_lo, s10, v20
	v_add_co_ci_u32_e32 v70, vcc_lo, s11, v21, vcc_lo
	s_delay_alu instid0(VALU_DEP_3) | instskip(NEXT) | instid1(VALU_DEP_4)
	v_add_co_u32 v40, vcc_lo, s9, v40
	v_add_co_ci_u32_e32 v41, vcc_lo, s12, v41, vcc_lo
	s_and_saveexec_b32 s13, s16
	s_cbranch_execnz .LBB252_82
; %bb.75:
	s_or_b32 exec_lo, exec_lo, s13
	s_and_b32 s16, s1, s8
	s_delay_alu instid0(SALU_CYCLE_1)
	s_and_saveexec_b32 s13, s16
	s_cbranch_execnz .LBB252_86
.LBB252_76:
	s_or_b32 exec_lo, exec_lo, s13
	s_and_b32 s16, s2, s8
	s_delay_alu instid0(SALU_CYCLE_1)
	s_and_saveexec_b32 s13, s16
	s_cbranch_execnz .LBB252_90
.LBB252_77:
	s_or_b32 exec_lo, exec_lo, s13
	s_and_b32 s16, s3, s8
	s_delay_alu instid0(SALU_CYCLE_1)
	s_and_saveexec_b32 s13, s16
	s_cbranch_execnz .LBB252_94
.LBB252_78:
	s_or_b32 exec_lo, exec_lo, s13
	s_and_b32 s16, s4, s8
	s_delay_alu instid0(SALU_CYCLE_1)
	s_and_saveexec_b32 s13, s16
	s_cbranch_execnz .LBB252_98
.LBB252_79:
	s_or_b32 exec_lo, exec_lo, s13
	s_and_b32 s16, s5, s8
	s_delay_alu instid0(SALU_CYCLE_1)
	s_and_saveexec_b32 s13, s16
	s_cbranch_execnz .LBB252_102
.LBB252_80:
	s_or_b32 exec_lo, exec_lo, s13
	s_and_b32 s16, s6, s8
	s_delay_alu instid0(SALU_CYCLE_1)
	s_and_saveexec_b32 s13, s16
	s_cbranch_execnz .LBB252_106
.LBB252_81:
	s_or_b32 exec_lo, exec_lo, s13
	s_and_b32 s13, s7, s8
	s_delay_alu instid0(SALU_CYCLE_1)
	s_and_saveexec_b32 s8, s13
	s_cbranch_execnz .LBB252_110
	s_branch .LBB252_114
.LBB252_82:
	v_cmp_ne_u32_e32 vcc_lo, 1, v60
	v_lshlrev_b64 v[20:21], 1, v[24:25]
	s_cbranch_vccnz .LBB252_84
; %bb.83:
	s_delay_alu instid0(VALU_DEP_1) | instskip(NEXT) | instid1(VALU_DEP_2)
	v_add_co_u32 v71, vcc_lo, v69, v20
	v_add_co_ci_u32_e32 v72, vcc_lo, v70, v21, vcc_lo
	flat_load_u16 v71, v[71:72]
	s_waitcnt vmcnt(0) lgkmcnt(0)
	v_mul_f16_e32 v71, v42, v71
	s_branch .LBB252_85
.LBB252_84:
	v_mov_b32_e32 v71, 0
.LBB252_85:
	v_pk_max_f16 v72, v22, v22
	v_pk_max_f16 v73, v16, v16
	;; [unrolled: 1-line block ×4, first 2 shown]
	v_add_co_u32 v20, vcc_lo, v40, v20
	s_delay_alu instid0(VALU_DEP_4) | instskip(SKIP_1) | instid1(VALU_DEP_4)
	v_pk_min_f16 v72, v73, v72
	v_add_co_ci_u32_e32 v21, vcc_lo, v41, v21, vcc_lo
	v_pk_min_f16 v73, v75, v74
	s_delay_alu instid0(VALU_DEP_3) | instskip(NEXT) | instid1(VALU_DEP_1)
	v_pk_add_f16 v68, v68, v72
	v_pk_add_f16 v68, v68, v73
	s_delay_alu instid0(VALU_DEP_1) | instskip(NEXT) | instid1(VALU_DEP_1)
	v_lshrrev_b32_e32 v72, 16, v68
	v_add_f16_e32 v68, v68, v72
	s_delay_alu instid0(VALU_DEP_1) | instskip(SKIP_3) | instid1(SALU_CYCLE_1)
	v_add_f16_e32 v68, v68, v71
	global_store_b16 v[20:21], v68, off
	s_or_b32 exec_lo, exec_lo, s13
	s_and_b32 s16, s1, s8
	s_and_saveexec_b32 s13, s16
	s_cbranch_execz .LBB252_76
.LBB252_86:
	v_cmp_ne_u32_e32 vcc_lo, 1, v60
	v_lshlrev_b64 v[20:21], 1, v[26:27]
	s_cbranch_vccnz .LBB252_88
; %bb.87:
	s_delay_alu instid0(VALU_DEP_1) | instskip(NEXT) | instid1(VALU_DEP_2)
	v_add_co_u32 v71, vcc_lo, v69, v20
	v_add_co_ci_u32_e32 v72, vcc_lo, v70, v21, vcc_lo
	flat_load_u16 v68, v[71:72]
	s_waitcnt vmcnt(0) lgkmcnt(0)
	v_mul_f16_e32 v68, v42, v68
	s_branch .LBB252_89
.LBB252_88:
	v_mov_b32_e32 v68, 0
.LBB252_89:
	v_pk_max_f16 v71, v22, v22
	v_pk_max_f16 v72, v18, v18
	;; [unrolled: 1-line block ×4, first 2 shown]
	v_add_co_u32 v20, vcc_lo, v40, v20
	s_delay_alu instid0(VALU_DEP_4) | instskip(SKIP_1) | instid1(VALU_DEP_4)
	v_pk_min_f16 v71, v72, v71
	v_add_co_ci_u32_e32 v21, vcc_lo, v41, v21, vcc_lo
	v_pk_min_f16 v72, v74, v73
	s_delay_alu instid0(VALU_DEP_3) | instskip(NEXT) | instid1(VALU_DEP_1)
	v_pk_add_f16 v66, v66, v71
	v_pk_add_f16 v66, v66, v72
	s_delay_alu instid0(VALU_DEP_1) | instskip(NEXT) | instid1(VALU_DEP_1)
	v_lshrrev_b32_e32 v71, 16, v66
	v_add_f16_e32 v66, v66, v71
	s_delay_alu instid0(VALU_DEP_1) | instskip(SKIP_3) | instid1(SALU_CYCLE_1)
	v_add_f16_e32 v66, v66, v68
	global_store_b16 v[20:21], v66, off
	s_or_b32 exec_lo, exec_lo, s13
	s_and_b32 s16, s2, s8
	s_and_saveexec_b32 s13, s16
	s_cbranch_execz .LBB252_77
.LBB252_90:
	v_cmp_ne_u32_e32 vcc_lo, 1, v60
	v_lshlrev_b64 v[20:21], 1, v[28:29]
	s_cbranch_vccnz .LBB252_92
; %bb.91:
	s_delay_alu instid0(VALU_DEP_1) | instskip(NEXT) | instid1(VALU_DEP_2)
	v_add_co_u32 v71, vcc_lo, v69, v20
	v_add_co_ci_u32_e32 v72, vcc_lo, v70, v21, vcc_lo
	flat_load_u16 v66, v[71:72]
	s_waitcnt vmcnt(0) lgkmcnt(0)
	v_mul_f16_e32 v66, v42, v66
	s_branch .LBB252_93
.LBB252_92:
	v_mov_b32_e32 v66, 0
.LBB252_93:
	v_pk_max_f16 v68, v22, v22
	v_pk_max_f16 v71, v12, v12
	v_pk_max_f16 v72, v23, v23
	v_pk_max_f16 v73, v13, v13
	v_add_co_u32 v20, vcc_lo, v40, v20
	s_delay_alu instid0(VALU_DEP_4) | instskip(SKIP_1) | instid1(VALU_DEP_4)
	v_pk_min_f16 v68, v71, v68
	v_add_co_ci_u32_e32 v21, vcc_lo, v41, v21, vcc_lo
	v_pk_min_f16 v71, v73, v72
	s_delay_alu instid0(VALU_DEP_3) | instskip(NEXT) | instid1(VALU_DEP_1)
	v_pk_add_f16 v65, v65, v68
	v_pk_add_f16 v65, v65, v71
	s_delay_alu instid0(VALU_DEP_1) | instskip(NEXT) | instid1(VALU_DEP_1)
	v_lshrrev_b32_e32 v68, 16, v65
	v_add_f16_e32 v65, v65, v68
	s_delay_alu instid0(VALU_DEP_1) | instskip(SKIP_3) | instid1(SALU_CYCLE_1)
	v_add_f16_e32 v65, v65, v66
	global_store_b16 v[20:21], v65, off
	s_or_b32 exec_lo, exec_lo, s13
	s_and_b32 s16, s3, s8
	s_and_saveexec_b32 s13, s16
	s_cbranch_execz .LBB252_78
.LBB252_94:
	v_cmp_ne_u32_e32 vcc_lo, 1, v60
	v_lshlrev_b64 v[20:21], 1, v[30:31]
	s_cbranch_vccnz .LBB252_96
; %bb.95:
	s_delay_alu instid0(VALU_DEP_1) | instskip(NEXT) | instid1(VALU_DEP_2)
	v_add_co_u32 v65, vcc_lo, v69, v20
	v_add_co_ci_u32_e32 v66, vcc_lo, v70, v21, vcc_lo
	flat_load_u16 v65, v[65:66]
	s_waitcnt vmcnt(0) lgkmcnt(0)
	v_mul_f16_e32 v65, v42, v65
	s_branch .LBB252_97
.LBB252_96:
	v_mov_b32_e32 v65, 0
.LBB252_97:
	v_pk_max_f16 v66, v22, v22
	v_pk_max_f16 v68, v14, v14
	;; [unrolled: 1-line block ×4, first 2 shown]
	v_add_co_u32 v20, vcc_lo, v40, v20
	s_delay_alu instid0(VALU_DEP_4) | instskip(SKIP_1) | instid1(VALU_DEP_4)
	v_pk_min_f16 v66, v68, v66
	v_add_co_ci_u32_e32 v21, vcc_lo, v41, v21, vcc_lo
	v_pk_min_f16 v68, v72, v71
	s_delay_alu instid0(VALU_DEP_3) | instskip(NEXT) | instid1(VALU_DEP_1)
	v_pk_add_f16 v64, v64, v66
	v_pk_add_f16 v64, v64, v68
	s_delay_alu instid0(VALU_DEP_1) | instskip(NEXT) | instid1(VALU_DEP_1)
	v_lshrrev_b32_e32 v66, 16, v64
	v_add_f16_e32 v64, v64, v66
	s_delay_alu instid0(VALU_DEP_1) | instskip(SKIP_3) | instid1(SALU_CYCLE_1)
	v_add_f16_e32 v64, v64, v65
	global_store_b16 v[20:21], v64, off
	s_or_b32 exec_lo, exec_lo, s13
	s_and_b32 s16, s4, s8
	s_and_saveexec_b32 s13, s16
	s_cbranch_execz .LBB252_79
.LBB252_98:
	v_cmp_ne_u32_e32 vcc_lo, 1, v60
	v_lshlrev_b64 v[20:21], 1, v[32:33]
	s_cbranch_vccnz .LBB252_100
; %bb.99:
	s_delay_alu instid0(VALU_DEP_1) | instskip(NEXT) | instid1(VALU_DEP_2)
	v_add_co_u32 v64, vcc_lo, v69, v20
	v_add_co_ci_u32_e32 v65, vcc_lo, v70, v21, vcc_lo
	flat_load_u16 v64, v[64:65]
	s_waitcnt vmcnt(0) lgkmcnt(0)
	v_mul_f16_e32 v64, v42, v64
	s_branch .LBB252_101
.LBB252_100:
	v_mov_b32_e32 v64, 0
.LBB252_101:
	v_pk_max_f16 v65, v22, v22
	v_pk_max_f16 v66, v8, v8
	;; [unrolled: 1-line block ×4, first 2 shown]
	v_add_co_u32 v20, vcc_lo, v40, v20
	s_delay_alu instid0(VALU_DEP_4) | instskip(SKIP_1) | instid1(VALU_DEP_4)
	v_pk_min_f16 v65, v66, v65
	v_add_co_ci_u32_e32 v21, vcc_lo, v41, v21, vcc_lo
	v_pk_min_f16 v66, v71, v68
	s_delay_alu instid0(VALU_DEP_3) | instskip(NEXT) | instid1(VALU_DEP_1)
	v_pk_add_f16 v63, v63, v65
	v_pk_add_f16 v63, v63, v66
	s_delay_alu instid0(VALU_DEP_1) | instskip(NEXT) | instid1(VALU_DEP_1)
	v_lshrrev_b32_e32 v65, 16, v63
	v_add_f16_e32 v63, v63, v65
	s_delay_alu instid0(VALU_DEP_1) | instskip(SKIP_3) | instid1(SALU_CYCLE_1)
	v_add_f16_e32 v63, v63, v64
	global_store_b16 v[20:21], v63, off
	s_or_b32 exec_lo, exec_lo, s13
	s_and_b32 s16, s5, s8
	s_and_saveexec_b32 s13, s16
	s_cbranch_execz .LBB252_80
.LBB252_102:
	v_cmp_ne_u32_e32 vcc_lo, 1, v60
	v_lshlrev_b64 v[20:21], 1, v[34:35]
	s_cbranch_vccnz .LBB252_104
; %bb.103:
	s_delay_alu instid0(VALU_DEP_1) | instskip(NEXT) | instid1(VALU_DEP_2)
	v_add_co_u32 v63, vcc_lo, v69, v20
	v_add_co_ci_u32_e32 v64, vcc_lo, v70, v21, vcc_lo
	flat_load_u16 v63, v[63:64]
	s_waitcnt vmcnt(0) lgkmcnt(0)
	v_mul_f16_e32 v63, v42, v63
	s_branch .LBB252_105
.LBB252_104:
	v_mov_b32_e32 v63, 0
.LBB252_105:
	v_pk_max_f16 v64, v22, v22
	v_pk_max_f16 v65, v10, v10
	;; [unrolled: 1-line block ×4, first 2 shown]
	v_add_co_u32 v20, vcc_lo, v40, v20
	s_delay_alu instid0(VALU_DEP_4) | instskip(SKIP_1) | instid1(VALU_DEP_4)
	v_pk_min_f16 v64, v65, v64
	v_add_co_ci_u32_e32 v21, vcc_lo, v41, v21, vcc_lo
	v_pk_min_f16 v65, v68, v66
	s_delay_alu instid0(VALU_DEP_3) | instskip(NEXT) | instid1(VALU_DEP_1)
	v_pk_add_f16 v62, v62, v64
	v_pk_add_f16 v62, v62, v65
	s_delay_alu instid0(VALU_DEP_1) | instskip(NEXT) | instid1(VALU_DEP_1)
	v_lshrrev_b32_e32 v64, 16, v62
	v_add_f16_e32 v62, v62, v64
	s_delay_alu instid0(VALU_DEP_1) | instskip(SKIP_3) | instid1(SALU_CYCLE_1)
	v_add_f16_e32 v62, v62, v63
	global_store_b16 v[20:21], v62, off
	s_or_b32 exec_lo, exec_lo, s13
	s_and_b32 s16, s6, s8
	s_and_saveexec_b32 s13, s16
	s_cbranch_execz .LBB252_81
.LBB252_106:
	v_cmp_ne_u32_e32 vcc_lo, 1, v60
	v_lshlrev_b64 v[20:21], 1, v[36:37]
	s_cbranch_vccnz .LBB252_108
; %bb.107:
	s_delay_alu instid0(VALU_DEP_1) | instskip(NEXT) | instid1(VALU_DEP_2)
	v_add_co_u32 v62, vcc_lo, v69, v20
	v_add_co_ci_u32_e32 v63, vcc_lo, v70, v21, vcc_lo
	flat_load_u16 v62, v[62:63]
	s_waitcnt vmcnt(0) lgkmcnt(0)
	v_mul_f16_e32 v62, v42, v62
	s_branch .LBB252_109
.LBB252_108:
	v_mov_b32_e32 v62, 0
.LBB252_109:
	v_pk_max_f16 v63, v22, v22
	v_pk_max_f16 v64, v4, v4
	v_pk_max_f16 v65, v23, v23
	v_pk_max_f16 v66, v5, v5
	v_add_co_u32 v20, vcc_lo, v40, v20
	s_delay_alu instid0(VALU_DEP_4) | instskip(SKIP_1) | instid1(VALU_DEP_4)
	v_pk_min_f16 v63, v64, v63
	v_add_co_ci_u32_e32 v21, vcc_lo, v41, v21, vcc_lo
	v_pk_min_f16 v64, v66, v65
	s_delay_alu instid0(VALU_DEP_3) | instskip(NEXT) | instid1(VALU_DEP_1)
	v_pk_add_f16 v61, v61, v63
	v_pk_add_f16 v61, v61, v64
	s_delay_alu instid0(VALU_DEP_1) | instskip(NEXT) | instid1(VALU_DEP_1)
	v_lshrrev_b32_e32 v63, 16, v61
	v_add_f16_e32 v61, v61, v63
	s_delay_alu instid0(VALU_DEP_1) | instskip(SKIP_3) | instid1(SALU_CYCLE_1)
	v_add_f16_e32 v61, v61, v62
	global_store_b16 v[20:21], v61, off
	s_or_b32 exec_lo, exec_lo, s13
	s_and_b32 s13, s7, s8
	s_and_saveexec_b32 s8, s13
	s_cbranch_execz .LBB252_114
.LBB252_110:
	v_cmp_ne_u32_e32 vcc_lo, 1, v60
	v_lshlrev_b64 v[20:21], 1, v[38:39]
	s_cbranch_vccnz .LBB252_112
; %bb.111:
	s_delay_alu instid0(VALU_DEP_1) | instskip(NEXT) | instid1(VALU_DEP_2)
	v_add_co_u32 v61, vcc_lo, v69, v20
	v_add_co_ci_u32_e32 v62, vcc_lo, v70, v21, vcc_lo
	flat_load_u16 v61, v[61:62]
	s_waitcnt vmcnt(0) lgkmcnt(0)
	v_mul_f16_e32 v61, v42, v61
	s_branch .LBB252_113
.LBB252_112:
	v_mov_b32_e32 v61, 0
.LBB252_113:
	v_pk_max_f16 v22, v22, v22
	v_pk_max_f16 v62, v6, v6
	v_pk_max_f16 v23, v23, v23
	v_pk_max_f16 v63, v7, v7
	v_add_co_u32 v20, vcc_lo, v40, v20
	s_delay_alu instid0(VALU_DEP_4) | instskip(SKIP_1) | instid1(VALU_DEP_4)
	v_pk_min_f16 v22, v62, v22
	v_add_co_ci_u32_e32 v21, vcc_lo, v41, v21, vcc_lo
	v_pk_min_f16 v23, v63, v23
	s_delay_alu instid0(VALU_DEP_3) | instskip(NEXT) | instid1(VALU_DEP_1)
	v_pk_add_f16 v22, v59, v22
	v_pk_add_f16 v22, v22, v23
	s_delay_alu instid0(VALU_DEP_1) | instskip(NEXT) | instid1(VALU_DEP_1)
	v_lshrrev_b32_e32 v23, 16, v22
	v_add_f16_e32 v22, v22, v23
	s_delay_alu instid0(VALU_DEP_1)
	v_add_f16_e32 v22, v22, v61
	global_store_b16 v[20:21], v22, off
.LBB252_114:
	s_or_b32 exec_lo, exec_lo, s8
	v_add_nc_u32_e32 v40, 64, v67
	s_delay_alu instid0(VALU_DEP_1) | instskip(SKIP_2) | instid1(VALU_DEP_3)
	v_mad_i64_i32 v[20:21], null, v40, s15, 0
	v_mad_i64_i32 v[22:23], null, v40, s14, 0
	v_cmp_gt_i32_e64 s8, s17, v40
	v_lshlrev_b64 v[20:21], 1, v[20:21]
	s_delay_alu instid0(VALU_DEP_2) | instskip(NEXT) | instid1(VALU_DEP_3)
	s_and_b32 s16, s0, s8
	v_lshlrev_b64 v[22:23], 1, v[22:23]
	s_delay_alu instid0(VALU_DEP_2) | instskip(NEXT) | instid1(VALU_DEP_3)
	v_add_co_u32 v40, vcc_lo, s10, v20
	v_add_co_ci_u32_e32 v41, vcc_lo, s11, v21, vcc_lo
	s_delay_alu instid0(VALU_DEP_3) | instskip(NEXT) | instid1(VALU_DEP_4)
	v_add_co_u32 v22, vcc_lo, s9, v22
	v_add_co_ci_u32_e32 v23, vcc_lo, s12, v23, vcc_lo
	s_and_saveexec_b32 s13, s16
	s_cbranch_execnz .LBB252_122
; %bb.115:
	s_or_b32 exec_lo, exec_lo, s13
	s_and_b32 s16, s1, s8
	s_delay_alu instid0(SALU_CYCLE_1)
	s_and_saveexec_b32 s13, s16
	s_cbranch_execnz .LBB252_126
.LBB252_116:
	s_or_b32 exec_lo, exec_lo, s13
	s_and_b32 s16, s2, s8
	s_delay_alu instid0(SALU_CYCLE_1)
	s_and_saveexec_b32 s13, s16
	s_cbranch_execnz .LBB252_130
.LBB252_117:
	s_or_b32 exec_lo, exec_lo, s13
	s_and_b32 s16, s3, s8
	s_delay_alu instid0(SALU_CYCLE_1)
	s_and_saveexec_b32 s13, s16
	s_cbranch_execnz .LBB252_134
.LBB252_118:
	s_or_b32 exec_lo, exec_lo, s13
	s_and_b32 s16, s4, s8
	s_delay_alu instid0(SALU_CYCLE_1)
	s_and_saveexec_b32 s13, s16
	s_cbranch_execnz .LBB252_138
.LBB252_119:
	s_or_b32 exec_lo, exec_lo, s13
	s_and_b32 s16, s5, s8
	s_delay_alu instid0(SALU_CYCLE_1)
	s_and_saveexec_b32 s13, s16
	s_cbranch_execnz .LBB252_142
.LBB252_120:
	s_or_b32 exec_lo, exec_lo, s13
	s_and_b32 s16, s6, s8
	s_delay_alu instid0(SALU_CYCLE_1)
	s_and_saveexec_b32 s13, s16
	s_cbranch_execnz .LBB252_146
.LBB252_121:
	s_or_b32 exec_lo, exec_lo, s13
	s_and_b32 s13, s7, s8
	s_delay_alu instid0(SALU_CYCLE_1)
	s_and_saveexec_b32 s8, s13
	s_cbranch_execnz .LBB252_150
	s_branch .LBB252_154
.LBB252_122:
	v_cmp_ne_u32_e32 vcc_lo, 1, v60
	v_lshlrev_b64 v[20:21], 1, v[24:25]
	s_cbranch_vccnz .LBB252_124
; %bb.123:
	s_delay_alu instid0(VALU_DEP_1) | instskip(NEXT) | instid1(VALU_DEP_2)
	v_add_co_u32 v61, vcc_lo, v40, v20
	v_add_co_ci_u32_e32 v62, vcc_lo, v41, v21, vcc_lo
	flat_load_u16 v59, v[61:62]
	s_waitcnt vmcnt(0) lgkmcnt(0)
	v_mul_f16_e32 v59, v42, v59
	s_branch .LBB252_125
.LBB252_124:
	v_mov_b32_e32 v59, 0
.LBB252_125:
	v_pk_max_f16 v61, v0, v0
	v_pk_max_f16 v62, v16, v16
	;; [unrolled: 1-line block ×4, first 2 shown]
	v_add_co_u32 v20, vcc_lo, v22, v20
	s_delay_alu instid0(VALU_DEP_4) | instskip(SKIP_1) | instid1(VALU_DEP_4)
	v_pk_min_f16 v61, v62, v61
	v_add_co_ci_u32_e32 v21, vcc_lo, v23, v21, vcc_lo
	v_pk_min_f16 v62, v64, v63
	s_delay_alu instid0(VALU_DEP_3) | instskip(NEXT) | instid1(VALU_DEP_1)
	v_pk_add_f16 v58, v58, v61
	v_pk_add_f16 v58, v58, v62
	s_delay_alu instid0(VALU_DEP_1) | instskip(NEXT) | instid1(VALU_DEP_1)
	v_lshrrev_b32_e32 v61, 16, v58
	v_add_f16_e32 v58, v58, v61
	s_delay_alu instid0(VALU_DEP_1) | instskip(SKIP_3) | instid1(SALU_CYCLE_1)
	v_add_f16_e32 v58, v58, v59
	global_store_b16 v[20:21], v58, off
	s_or_b32 exec_lo, exec_lo, s13
	s_and_b32 s16, s1, s8
	s_and_saveexec_b32 s13, s16
	s_cbranch_execz .LBB252_116
.LBB252_126:
	v_cmp_ne_u32_e32 vcc_lo, 1, v60
	v_lshlrev_b64 v[20:21], 1, v[26:27]
	s_cbranch_vccnz .LBB252_128
; %bb.127:
	s_delay_alu instid0(VALU_DEP_1) | instskip(NEXT) | instid1(VALU_DEP_2)
	v_add_co_u32 v58, vcc_lo, v40, v20
	v_add_co_ci_u32_e32 v59, vcc_lo, v41, v21, vcc_lo
	flat_load_u16 v58, v[58:59]
	s_waitcnt vmcnt(0) lgkmcnt(0)
	v_mul_f16_e32 v58, v42, v58
	s_branch .LBB252_129
.LBB252_128:
	v_mov_b32_e32 v58, 0
.LBB252_129:
	v_pk_max_f16 v59, v0, v0
	v_pk_max_f16 v61, v18, v18
	;; [unrolled: 1-line block ×4, first 2 shown]
	v_add_co_u32 v20, vcc_lo, v22, v20
	s_delay_alu instid0(VALU_DEP_4) | instskip(SKIP_1) | instid1(VALU_DEP_4)
	v_pk_min_f16 v59, v61, v59
	v_add_co_ci_u32_e32 v21, vcc_lo, v23, v21, vcc_lo
	v_pk_min_f16 v61, v63, v62
	s_delay_alu instid0(VALU_DEP_3) | instskip(NEXT) | instid1(VALU_DEP_1)
	v_pk_add_f16 v57, v57, v59
	v_pk_add_f16 v57, v57, v61
	s_delay_alu instid0(VALU_DEP_1) | instskip(NEXT) | instid1(VALU_DEP_1)
	v_lshrrev_b32_e32 v59, 16, v57
	v_add_f16_e32 v57, v57, v59
	s_delay_alu instid0(VALU_DEP_1) | instskip(SKIP_3) | instid1(SALU_CYCLE_1)
	v_add_f16_e32 v57, v57, v58
	global_store_b16 v[20:21], v57, off
	s_or_b32 exec_lo, exec_lo, s13
	s_and_b32 s16, s2, s8
	s_and_saveexec_b32 s13, s16
	s_cbranch_execz .LBB252_117
.LBB252_130:
	v_cmp_ne_u32_e32 vcc_lo, 1, v60
	v_lshlrev_b64 v[20:21], 1, v[28:29]
	s_cbranch_vccnz .LBB252_132
; %bb.131:
	s_delay_alu instid0(VALU_DEP_1) | instskip(NEXT) | instid1(VALU_DEP_2)
	v_add_co_u32 v57, vcc_lo, v40, v20
	v_add_co_ci_u32_e32 v58, vcc_lo, v41, v21, vcc_lo
	flat_load_u16 v57, v[57:58]
	s_waitcnt vmcnt(0) lgkmcnt(0)
	v_mul_f16_e32 v57, v42, v57
	s_branch .LBB252_133
.LBB252_132:
	v_mov_b32_e32 v57, 0
.LBB252_133:
	v_pk_max_f16 v58, v0, v0
	v_pk_max_f16 v59, v12, v12
	;; [unrolled: 1-line block ×4, first 2 shown]
	v_add_co_u32 v20, vcc_lo, v22, v20
	s_delay_alu instid0(VALU_DEP_4) | instskip(SKIP_1) | instid1(VALU_DEP_4)
	v_pk_min_f16 v58, v59, v58
	v_add_co_ci_u32_e32 v21, vcc_lo, v23, v21, vcc_lo
	v_pk_min_f16 v59, v62, v61
	s_delay_alu instid0(VALU_DEP_3) | instskip(NEXT) | instid1(VALU_DEP_1)
	v_pk_add_f16 v56, v56, v58
	v_pk_add_f16 v56, v56, v59
	s_delay_alu instid0(VALU_DEP_1) | instskip(NEXT) | instid1(VALU_DEP_1)
	v_lshrrev_b32_e32 v58, 16, v56
	v_add_f16_e32 v56, v56, v58
	s_delay_alu instid0(VALU_DEP_1) | instskip(SKIP_3) | instid1(SALU_CYCLE_1)
	v_add_f16_e32 v56, v56, v57
	global_store_b16 v[20:21], v56, off
	s_or_b32 exec_lo, exec_lo, s13
	s_and_b32 s16, s3, s8
	s_and_saveexec_b32 s13, s16
	s_cbranch_execz .LBB252_118
.LBB252_134:
	v_cmp_ne_u32_e32 vcc_lo, 1, v60
	v_lshlrev_b64 v[20:21], 1, v[30:31]
	s_cbranch_vccnz .LBB252_136
; %bb.135:
	s_delay_alu instid0(VALU_DEP_1) | instskip(NEXT) | instid1(VALU_DEP_2)
	v_add_co_u32 v56, vcc_lo, v40, v20
	v_add_co_ci_u32_e32 v57, vcc_lo, v41, v21, vcc_lo
	flat_load_u16 v56, v[56:57]
	s_waitcnt vmcnt(0) lgkmcnt(0)
	v_mul_f16_e32 v56, v42, v56
	s_branch .LBB252_137
.LBB252_136:
	v_mov_b32_e32 v56, 0
.LBB252_137:
	v_pk_max_f16 v57, v0, v0
	v_pk_max_f16 v58, v14, v14
	;; [unrolled: 1-line block ×4, first 2 shown]
	v_add_co_u32 v20, vcc_lo, v22, v20
	s_delay_alu instid0(VALU_DEP_4) | instskip(SKIP_1) | instid1(VALU_DEP_4)
	v_pk_min_f16 v57, v58, v57
	v_add_co_ci_u32_e32 v21, vcc_lo, v23, v21, vcc_lo
	v_pk_min_f16 v58, v61, v59
	s_delay_alu instid0(VALU_DEP_3) | instskip(NEXT) | instid1(VALU_DEP_1)
	v_pk_add_f16 v55, v55, v57
	v_pk_add_f16 v55, v55, v58
	s_delay_alu instid0(VALU_DEP_1) | instskip(NEXT) | instid1(VALU_DEP_1)
	v_lshrrev_b32_e32 v57, 16, v55
	v_add_f16_e32 v55, v55, v57
	s_delay_alu instid0(VALU_DEP_1) | instskip(SKIP_3) | instid1(SALU_CYCLE_1)
	v_add_f16_e32 v55, v55, v56
	global_store_b16 v[20:21], v55, off
	s_or_b32 exec_lo, exec_lo, s13
	s_and_b32 s16, s4, s8
	s_and_saveexec_b32 s13, s16
	s_cbranch_execz .LBB252_119
.LBB252_138:
	v_cmp_ne_u32_e32 vcc_lo, 1, v60
	v_lshlrev_b64 v[20:21], 1, v[32:33]
	s_cbranch_vccnz .LBB252_140
; %bb.139:
	s_delay_alu instid0(VALU_DEP_1) | instskip(NEXT) | instid1(VALU_DEP_2)
	v_add_co_u32 v55, vcc_lo, v40, v20
	v_add_co_ci_u32_e32 v56, vcc_lo, v41, v21, vcc_lo
	flat_load_u16 v55, v[55:56]
	s_waitcnt vmcnt(0) lgkmcnt(0)
	v_mul_f16_e32 v55, v42, v55
	s_branch .LBB252_141
.LBB252_140:
	v_mov_b32_e32 v55, 0
.LBB252_141:
	v_pk_max_f16 v56, v0, v0
	v_pk_max_f16 v57, v8, v8
	;; [unrolled: 1-line block ×4, first 2 shown]
	v_add_co_u32 v20, vcc_lo, v22, v20
	s_delay_alu instid0(VALU_DEP_4) | instskip(SKIP_1) | instid1(VALU_DEP_4)
	v_pk_min_f16 v56, v57, v56
	v_add_co_ci_u32_e32 v21, vcc_lo, v23, v21, vcc_lo
	v_pk_min_f16 v57, v59, v58
	s_delay_alu instid0(VALU_DEP_3) | instskip(NEXT) | instid1(VALU_DEP_1)
	v_pk_add_f16 v54, v54, v56
	v_pk_add_f16 v54, v54, v57
	s_delay_alu instid0(VALU_DEP_1) | instskip(NEXT) | instid1(VALU_DEP_1)
	v_lshrrev_b32_e32 v56, 16, v54
	v_add_f16_e32 v54, v54, v56
	s_delay_alu instid0(VALU_DEP_1) | instskip(SKIP_3) | instid1(SALU_CYCLE_1)
	v_add_f16_e32 v54, v54, v55
	global_store_b16 v[20:21], v54, off
	s_or_b32 exec_lo, exec_lo, s13
	s_and_b32 s16, s5, s8
	s_and_saveexec_b32 s13, s16
	s_cbranch_execz .LBB252_120
.LBB252_142:
	v_cmp_ne_u32_e32 vcc_lo, 1, v60
	v_lshlrev_b64 v[20:21], 1, v[34:35]
	s_cbranch_vccnz .LBB252_144
; %bb.143:
	s_delay_alu instid0(VALU_DEP_1) | instskip(NEXT) | instid1(VALU_DEP_2)
	v_add_co_u32 v54, vcc_lo, v40, v20
	v_add_co_ci_u32_e32 v55, vcc_lo, v41, v21, vcc_lo
	flat_load_u16 v54, v[54:55]
	s_waitcnt vmcnt(0) lgkmcnt(0)
	v_mul_f16_e32 v54, v42, v54
	s_branch .LBB252_145
.LBB252_144:
	v_mov_b32_e32 v54, 0
.LBB252_145:
	v_pk_max_f16 v55, v0, v0
	v_pk_max_f16 v56, v10, v10
	;; [unrolled: 1-line block ×4, first 2 shown]
	v_add_co_u32 v20, vcc_lo, v22, v20
	s_delay_alu instid0(VALU_DEP_4) | instskip(SKIP_1) | instid1(VALU_DEP_4)
	v_pk_min_f16 v55, v56, v55
	v_add_co_ci_u32_e32 v21, vcc_lo, v23, v21, vcc_lo
	v_pk_min_f16 v56, v58, v57
	s_delay_alu instid0(VALU_DEP_3) | instskip(NEXT) | instid1(VALU_DEP_1)
	v_pk_add_f16 v53, v53, v55
	v_pk_add_f16 v53, v53, v56
	s_delay_alu instid0(VALU_DEP_1) | instskip(NEXT) | instid1(VALU_DEP_1)
	v_lshrrev_b32_e32 v55, 16, v53
	v_add_f16_e32 v53, v53, v55
	s_delay_alu instid0(VALU_DEP_1) | instskip(SKIP_3) | instid1(SALU_CYCLE_1)
	v_add_f16_e32 v53, v53, v54
	global_store_b16 v[20:21], v53, off
	s_or_b32 exec_lo, exec_lo, s13
	s_and_b32 s16, s6, s8
	s_and_saveexec_b32 s13, s16
	s_cbranch_execz .LBB252_121
.LBB252_146:
	v_cmp_ne_u32_e32 vcc_lo, 1, v60
	v_lshlrev_b64 v[20:21], 1, v[36:37]
	s_cbranch_vccnz .LBB252_148
; %bb.147:
	s_delay_alu instid0(VALU_DEP_1) | instskip(NEXT) | instid1(VALU_DEP_2)
	v_add_co_u32 v53, vcc_lo, v40, v20
	v_add_co_ci_u32_e32 v54, vcc_lo, v41, v21, vcc_lo
	flat_load_u16 v53, v[53:54]
	s_waitcnt vmcnt(0) lgkmcnt(0)
	v_mul_f16_e32 v53, v42, v53
	s_branch .LBB252_149
.LBB252_148:
	v_mov_b32_e32 v53, 0
.LBB252_149:
	v_pk_max_f16 v54, v0, v0
	v_pk_max_f16 v55, v4, v4
	;; [unrolled: 1-line block ×4, first 2 shown]
	v_add_co_u32 v20, vcc_lo, v22, v20
	s_delay_alu instid0(VALU_DEP_4) | instskip(SKIP_1) | instid1(VALU_DEP_4)
	v_pk_min_f16 v54, v55, v54
	v_add_co_ci_u32_e32 v21, vcc_lo, v23, v21, vcc_lo
	v_pk_min_f16 v55, v57, v56
	s_delay_alu instid0(VALU_DEP_3) | instskip(NEXT) | instid1(VALU_DEP_1)
	v_pk_add_f16 v52, v52, v54
	v_pk_add_f16 v52, v52, v55
	s_delay_alu instid0(VALU_DEP_1) | instskip(NEXT) | instid1(VALU_DEP_1)
	v_lshrrev_b32_e32 v54, 16, v52
	v_add_f16_e32 v52, v52, v54
	s_delay_alu instid0(VALU_DEP_1) | instskip(SKIP_3) | instid1(SALU_CYCLE_1)
	v_add_f16_e32 v52, v52, v53
	global_store_b16 v[20:21], v52, off
	s_or_b32 exec_lo, exec_lo, s13
	s_and_b32 s13, s7, s8
	s_and_saveexec_b32 s8, s13
	s_cbranch_execz .LBB252_154
.LBB252_150:
	v_cmp_ne_u32_e32 vcc_lo, 1, v60
	v_lshlrev_b64 v[20:21], 1, v[38:39]
	s_cbranch_vccnz .LBB252_152
; %bb.151:
	s_delay_alu instid0(VALU_DEP_1) | instskip(NEXT) | instid1(VALU_DEP_2)
	v_add_co_u32 v40, vcc_lo, v40, v20
	v_add_co_ci_u32_e32 v41, vcc_lo, v41, v21, vcc_lo
	flat_load_u16 v40, v[40:41]
	s_waitcnt vmcnt(0) lgkmcnt(0)
	v_mul_f16_e32 v40, v42, v40
	s_branch .LBB252_153
.LBB252_152:
	v_mov_b32_e32 v40, 0
.LBB252_153:
	v_pk_max_f16 v0, v0, v0
	v_pk_max_f16 v41, v6, v6
	;; [unrolled: 1-line block ×4, first 2 shown]
	s_delay_alu instid0(VALU_DEP_3) | instskip(NEXT) | instid1(VALU_DEP_2)
	v_pk_min_f16 v0, v41, v0
	v_pk_min_f16 v1, v52, v1
	s_delay_alu instid0(VALU_DEP_2) | instskip(NEXT) | instid1(VALU_DEP_1)
	v_pk_add_f16 v0, v51, v0
	v_pk_add_f16 v0, v0, v1
	s_delay_alu instid0(VALU_DEP_1) | instskip(NEXT) | instid1(VALU_DEP_1)
	v_lshrrev_b32_e32 v1, 16, v0
	v_add_f16_e32 v0, v0, v1
	s_delay_alu instid0(VALU_DEP_1)
	v_add_f16_e32 v40, v0, v40
	v_add_co_u32 v0, vcc_lo, v22, v20
	v_add_co_ci_u32_e32 v1, vcc_lo, v23, v21, vcc_lo
	global_store_b16 v[0:1], v40, off
.LBB252_154:
	s_or_b32 exec_lo, exec_lo, s8
	v_add_nc_u32_e32 v22, 0x60, v67
	s_delay_alu instid0(VALU_DEP_1) | instskip(SKIP_2) | instid1(VALU_DEP_3)
	v_mad_i64_i32 v[0:1], null, v22, s15, 0
	v_mad_i64_i32 v[20:21], null, v22, s14, 0
	v_cmp_gt_i32_e64 s8, s17, v22
	v_lshlrev_b64 v[0:1], 1, v[0:1]
	s_delay_alu instid0(VALU_DEP_3) | instskip(NEXT) | instid1(VALU_DEP_2)
	v_lshlrev_b64 v[20:21], 1, v[20:21]
	v_add_co_u32 v22, vcc_lo, s10, v0
	s_delay_alu instid0(VALU_DEP_3) | instskip(NEXT) | instid1(VALU_DEP_3)
	v_add_co_ci_u32_e32 v23, vcc_lo, s11, v1, vcc_lo
	v_add_co_u32 v20, vcc_lo, s9, v20
	s_delay_alu instid0(VALU_DEP_4) | instskip(SKIP_1) | instid1(SALU_CYCLE_1)
	v_add_co_ci_u32_e32 v21, vcc_lo, s12, v21, vcc_lo
	s_and_b32 s9, s0, s8
	s_and_saveexec_b32 s0, s9
	s_cbranch_execnz .LBB252_163
; %bb.155:
	s_or_b32 exec_lo, exec_lo, s0
	s_and_b32 s1, s1, s8
	s_delay_alu instid0(SALU_CYCLE_1)
	s_and_saveexec_b32 s0, s1
	s_cbranch_execnz .LBB252_167
.LBB252_156:
	s_or_b32 exec_lo, exec_lo, s0
	s_and_b32 s1, s2, s8
	s_delay_alu instid0(SALU_CYCLE_1)
	s_and_saveexec_b32 s0, s1
	s_cbranch_execnz .LBB252_171
.LBB252_157:
	s_or_b32 exec_lo, exec_lo, s0
	s_and_b32 s1, s3, s8
	s_delay_alu instid0(SALU_CYCLE_1)
	s_and_saveexec_b32 s0, s1
	s_cbranch_execnz .LBB252_175
.LBB252_158:
	s_or_b32 exec_lo, exec_lo, s0
	s_and_b32 s1, s4, s8
	s_delay_alu instid0(SALU_CYCLE_1)
	s_and_saveexec_b32 s0, s1
	s_cbranch_execnz .LBB252_179
.LBB252_159:
	s_or_b32 exec_lo, exec_lo, s0
	s_and_b32 s1, s5, s8
	s_delay_alu instid0(SALU_CYCLE_1)
	s_and_saveexec_b32 s0, s1
	s_cbranch_execnz .LBB252_183
.LBB252_160:
	s_or_b32 exec_lo, exec_lo, s0
	s_and_b32 s1, s6, s8
	s_delay_alu instid0(SALU_CYCLE_1)
	s_and_saveexec_b32 s0, s1
	s_cbranch_execnz .LBB252_187
.LBB252_161:
	s_or_b32 exec_lo, exec_lo, s0
	s_and_b32 s0, s7, s8
	s_delay_alu instid0(SALU_CYCLE_1)
	s_and_saveexec_b32 s1, s0
	s_cbranch_execnz .LBB252_191
.LBB252_162:
	s_nop 0
	s_sendmsg sendmsg(MSG_DEALLOC_VGPRS)
	s_endpgm
.LBB252_163:
	v_cmp_ne_u32_e32 vcc_lo, 1, v60
	v_lshlrev_b64 v[0:1], 1, v[24:25]
	s_cbranch_vccnz .LBB252_165
; %bb.164:
	s_delay_alu instid0(VALU_DEP_1) | instskip(NEXT) | instid1(VALU_DEP_2)
	v_add_co_u32 v24, vcc_lo, v22, v0
	v_add_co_ci_u32_e32 v25, vcc_lo, v23, v1, vcc_lo
	flat_load_u16 v24, v[24:25]
	s_waitcnt vmcnt(0) lgkmcnt(0)
	v_mul_f16_e32 v24, v42, v24
	s_branch .LBB252_166
.LBB252_165:
	v_mov_b32_e32 v24, 0
.LBB252_166:
	v_pk_max_f16 v25, v2, v2
	v_pk_max_f16 v16, v16, v16
	;; [unrolled: 1-line block ×4, first 2 shown]
	v_add_co_u32 v0, vcc_lo, v20, v0
	s_delay_alu instid0(VALU_DEP_4) | instskip(SKIP_1) | instid1(VALU_DEP_4)
	v_pk_min_f16 v16, v16, v25
	v_add_co_ci_u32_e32 v1, vcc_lo, v21, v1, vcc_lo
	v_pk_min_f16 v17, v17, v40
	s_delay_alu instid0(VALU_DEP_3) | instskip(NEXT) | instid1(VALU_DEP_1)
	v_pk_add_f16 v16, v50, v16
	v_pk_add_f16 v16, v16, v17
	s_delay_alu instid0(VALU_DEP_1) | instskip(NEXT) | instid1(VALU_DEP_1)
	v_lshrrev_b32_e32 v17, 16, v16
	v_add_f16_e32 v16, v16, v17
	s_delay_alu instid0(VALU_DEP_1) | instskip(SKIP_3) | instid1(SALU_CYCLE_1)
	v_add_f16_e32 v16, v16, v24
	global_store_b16 v[0:1], v16, off
	s_or_b32 exec_lo, exec_lo, s0
	s_and_b32 s1, s1, s8
	s_and_saveexec_b32 s0, s1
	s_cbranch_execz .LBB252_156
.LBB252_167:
	v_cmp_ne_u32_e32 vcc_lo, 1, v60
	v_lshlrev_b64 v[0:1], 1, v[26:27]
	s_cbranch_vccnz .LBB252_169
; %bb.168:
	s_delay_alu instid0(VALU_DEP_1) | instskip(NEXT) | instid1(VALU_DEP_2)
	v_add_co_u32 v16, vcc_lo, v22, v0
	v_add_co_ci_u32_e32 v17, vcc_lo, v23, v1, vcc_lo
	flat_load_u16 v16, v[16:17]
	s_waitcnt vmcnt(0) lgkmcnt(0)
	v_mul_f16_e32 v16, v42, v16
	s_branch .LBB252_170
.LBB252_169:
	v_mov_b32_e32 v16, 0
.LBB252_170:
	v_pk_max_f16 v17, v2, v2
	v_pk_max_f16 v18, v18, v18
	;; [unrolled: 1-line block ×4, first 2 shown]
	v_add_co_u32 v0, vcc_lo, v20, v0
	s_delay_alu instid0(VALU_DEP_4) | instskip(SKIP_1) | instid1(VALU_DEP_4)
	v_pk_min_f16 v17, v18, v17
	v_add_co_ci_u32_e32 v1, vcc_lo, v21, v1, vcc_lo
	v_pk_min_f16 v18, v19, v24
	s_delay_alu instid0(VALU_DEP_3) | instskip(NEXT) | instid1(VALU_DEP_1)
	v_pk_add_f16 v17, v49, v17
	v_pk_add_f16 v17, v17, v18
	s_delay_alu instid0(VALU_DEP_1) | instskip(NEXT) | instid1(VALU_DEP_1)
	v_lshrrev_b32_e32 v18, 16, v17
	v_add_f16_e32 v17, v17, v18
	s_delay_alu instid0(VALU_DEP_1) | instskip(SKIP_3) | instid1(SALU_CYCLE_1)
	v_add_f16_e32 v16, v17, v16
	global_store_b16 v[0:1], v16, off
	s_or_b32 exec_lo, exec_lo, s0
	s_and_b32 s1, s2, s8
	s_and_saveexec_b32 s0, s1
	s_cbranch_execz .LBB252_157
.LBB252_171:
	v_cmp_ne_u32_e32 vcc_lo, 1, v60
	v_lshlrev_b64 v[0:1], 1, v[28:29]
	s_cbranch_vccnz .LBB252_173
; %bb.172:
	s_delay_alu instid0(VALU_DEP_1) | instskip(NEXT) | instid1(VALU_DEP_2)
	v_add_co_u32 v16, vcc_lo, v22, v0
	v_add_co_ci_u32_e32 v17, vcc_lo, v23, v1, vcc_lo
	flat_load_u16 v16, v[16:17]
	s_waitcnt vmcnt(0) lgkmcnt(0)
	v_mul_f16_e32 v16, v42, v16
	s_branch .LBB252_174
.LBB252_173:
	v_mov_b32_e32 v16, 0
.LBB252_174:
	v_pk_max_f16 v17, v2, v2
	v_pk_max_f16 v12, v12, v12
	;; [unrolled: 1-line block ×4, first 2 shown]
	v_add_co_u32 v0, vcc_lo, v20, v0
	s_delay_alu instid0(VALU_DEP_4) | instskip(SKIP_1) | instid1(VALU_DEP_4)
	v_pk_min_f16 v12, v12, v17
	v_add_co_ci_u32_e32 v1, vcc_lo, v21, v1, vcc_lo
	v_pk_min_f16 v13, v13, v18
	s_delay_alu instid0(VALU_DEP_3) | instskip(NEXT) | instid1(VALU_DEP_1)
	v_pk_add_f16 v12, v48, v12
	v_pk_add_f16 v12, v12, v13
	s_delay_alu instid0(VALU_DEP_1) | instskip(NEXT) | instid1(VALU_DEP_1)
	v_lshrrev_b32_e32 v13, 16, v12
	v_add_f16_e32 v12, v12, v13
	s_delay_alu instid0(VALU_DEP_1) | instskip(SKIP_3) | instid1(SALU_CYCLE_1)
	v_add_f16_e32 v12, v12, v16
	global_store_b16 v[0:1], v12, off
	s_or_b32 exec_lo, exec_lo, s0
	s_and_b32 s1, s3, s8
	s_and_saveexec_b32 s0, s1
	s_cbranch_execz .LBB252_158
.LBB252_175:
	v_cmp_ne_u32_e32 vcc_lo, 1, v60
	v_lshlrev_b64 v[0:1], 1, v[30:31]
	s_cbranch_vccnz .LBB252_177
; %bb.176:
	s_delay_alu instid0(VALU_DEP_1) | instskip(NEXT) | instid1(VALU_DEP_2)
	v_add_co_u32 v12, vcc_lo, v22, v0
	v_add_co_ci_u32_e32 v13, vcc_lo, v23, v1, vcc_lo
	flat_load_u16 v12, v[12:13]
	s_waitcnt vmcnt(0) lgkmcnt(0)
	v_mul_f16_e32 v12, v42, v12
	s_branch .LBB252_178
.LBB252_177:
	v_mov_b32_e32 v12, 0
.LBB252_178:
	v_pk_max_f16 v13, v2, v2
	v_pk_max_f16 v14, v14, v14
	;; [unrolled: 1-line block ×4, first 2 shown]
	v_add_co_u32 v0, vcc_lo, v20, v0
	s_delay_alu instid0(VALU_DEP_4) | instskip(SKIP_1) | instid1(VALU_DEP_4)
	v_pk_min_f16 v13, v14, v13
	v_add_co_ci_u32_e32 v1, vcc_lo, v21, v1, vcc_lo
	v_pk_min_f16 v14, v15, v16
	s_delay_alu instid0(VALU_DEP_3) | instskip(NEXT) | instid1(VALU_DEP_1)
	v_pk_add_f16 v13, v47, v13
	v_pk_add_f16 v13, v13, v14
	s_delay_alu instid0(VALU_DEP_1) | instskip(NEXT) | instid1(VALU_DEP_1)
	v_lshrrev_b32_e32 v14, 16, v13
	v_add_f16_e32 v13, v13, v14
	s_delay_alu instid0(VALU_DEP_1) | instskip(SKIP_3) | instid1(SALU_CYCLE_1)
	v_add_f16_e32 v12, v13, v12
	global_store_b16 v[0:1], v12, off
	s_or_b32 exec_lo, exec_lo, s0
	s_and_b32 s1, s4, s8
	s_and_saveexec_b32 s0, s1
	s_cbranch_execz .LBB252_159
.LBB252_179:
	v_cmp_ne_u32_e32 vcc_lo, 1, v60
	v_lshlrev_b64 v[0:1], 1, v[32:33]
	s_cbranch_vccnz .LBB252_181
; %bb.180:
	s_delay_alu instid0(VALU_DEP_1) | instskip(NEXT) | instid1(VALU_DEP_2)
	v_add_co_u32 v12, vcc_lo, v22, v0
	v_add_co_ci_u32_e32 v13, vcc_lo, v23, v1, vcc_lo
	flat_load_u16 v12, v[12:13]
	s_waitcnt vmcnt(0) lgkmcnt(0)
	v_mul_f16_e32 v12, v42, v12
	s_branch .LBB252_182
.LBB252_181:
	v_mov_b32_e32 v12, 0
.LBB252_182:
	v_pk_max_f16 v13, v2, v2
	v_pk_max_f16 v8, v8, v8
	;; [unrolled: 1-line block ×4, first 2 shown]
	v_add_co_u32 v0, vcc_lo, v20, v0
	s_delay_alu instid0(VALU_DEP_4) | instskip(SKIP_1) | instid1(VALU_DEP_4)
	v_pk_min_f16 v8, v8, v13
	v_add_co_ci_u32_e32 v1, vcc_lo, v21, v1, vcc_lo
	v_pk_min_f16 v9, v9, v14
	s_delay_alu instid0(VALU_DEP_3) | instskip(NEXT) | instid1(VALU_DEP_1)
	v_pk_add_f16 v8, v46, v8
	v_pk_add_f16 v8, v8, v9
	s_delay_alu instid0(VALU_DEP_1) | instskip(NEXT) | instid1(VALU_DEP_1)
	v_lshrrev_b32_e32 v9, 16, v8
	v_add_f16_e32 v8, v8, v9
	s_delay_alu instid0(VALU_DEP_1) | instskip(SKIP_3) | instid1(SALU_CYCLE_1)
	v_add_f16_e32 v8, v8, v12
	global_store_b16 v[0:1], v8, off
	s_or_b32 exec_lo, exec_lo, s0
	s_and_b32 s1, s5, s8
	s_and_saveexec_b32 s0, s1
	s_cbranch_execz .LBB252_160
.LBB252_183:
	v_cmp_ne_u32_e32 vcc_lo, 1, v60
	v_lshlrev_b64 v[0:1], 1, v[34:35]
	s_cbranch_vccnz .LBB252_185
; %bb.184:
	s_delay_alu instid0(VALU_DEP_1) | instskip(NEXT) | instid1(VALU_DEP_2)
	v_add_co_u32 v8, vcc_lo, v22, v0
	v_add_co_ci_u32_e32 v9, vcc_lo, v23, v1, vcc_lo
	flat_load_u16 v8, v[8:9]
	s_waitcnt vmcnt(0) lgkmcnt(0)
	v_mul_f16_e32 v8, v42, v8
	s_branch .LBB252_186
.LBB252_185:
	v_mov_b32_e32 v8, 0
.LBB252_186:
	v_pk_max_f16 v9, v2, v2
	v_pk_max_f16 v10, v10, v10
	;; [unrolled: 1-line block ×4, first 2 shown]
	v_add_co_u32 v0, vcc_lo, v20, v0
	s_delay_alu instid0(VALU_DEP_4) | instskip(SKIP_1) | instid1(VALU_DEP_4)
	v_pk_min_f16 v9, v10, v9
	v_add_co_ci_u32_e32 v1, vcc_lo, v21, v1, vcc_lo
	v_pk_min_f16 v10, v11, v12
	s_delay_alu instid0(VALU_DEP_3) | instskip(NEXT) | instid1(VALU_DEP_1)
	v_pk_add_f16 v9, v45, v9
	v_pk_add_f16 v9, v9, v10
	s_delay_alu instid0(VALU_DEP_1) | instskip(NEXT) | instid1(VALU_DEP_1)
	v_lshrrev_b32_e32 v10, 16, v9
	v_add_f16_e32 v9, v9, v10
	s_delay_alu instid0(VALU_DEP_1) | instskip(SKIP_3) | instid1(SALU_CYCLE_1)
	v_add_f16_e32 v8, v9, v8
	global_store_b16 v[0:1], v8, off
	s_or_b32 exec_lo, exec_lo, s0
	s_and_b32 s1, s6, s8
	s_and_saveexec_b32 s0, s1
	s_cbranch_execz .LBB252_161
.LBB252_187:
	v_cmp_ne_u32_e32 vcc_lo, 1, v60
	v_lshlrev_b64 v[0:1], 1, v[36:37]
	s_cbranch_vccnz .LBB252_189
; %bb.188:
	s_delay_alu instid0(VALU_DEP_1) | instskip(NEXT) | instid1(VALU_DEP_2)
	v_add_co_u32 v8, vcc_lo, v22, v0
	v_add_co_ci_u32_e32 v9, vcc_lo, v23, v1, vcc_lo
	flat_load_u16 v8, v[8:9]
	s_waitcnt vmcnt(0) lgkmcnt(0)
	v_mul_f16_e32 v8, v42, v8
	s_branch .LBB252_190
.LBB252_189:
	v_mov_b32_e32 v8, 0
.LBB252_190:
	v_pk_max_f16 v9, v2, v2
	v_pk_max_f16 v4, v4, v4
	;; [unrolled: 1-line block ×4, first 2 shown]
	v_add_co_u32 v0, vcc_lo, v20, v0
	s_delay_alu instid0(VALU_DEP_4) | instskip(SKIP_1) | instid1(VALU_DEP_4)
	v_pk_min_f16 v4, v4, v9
	v_add_co_ci_u32_e32 v1, vcc_lo, v21, v1, vcc_lo
	v_pk_min_f16 v5, v5, v10
	s_delay_alu instid0(VALU_DEP_3) | instskip(NEXT) | instid1(VALU_DEP_1)
	v_pk_add_f16 v4, v44, v4
	v_pk_add_f16 v4, v4, v5
	s_delay_alu instid0(VALU_DEP_1) | instskip(NEXT) | instid1(VALU_DEP_1)
	v_lshrrev_b32_e32 v5, 16, v4
	v_add_f16_e32 v4, v4, v5
	s_delay_alu instid0(VALU_DEP_1) | instskip(SKIP_3) | instid1(SALU_CYCLE_1)
	v_add_f16_e32 v4, v4, v8
	global_store_b16 v[0:1], v4, off
	s_or_b32 exec_lo, exec_lo, s0
	s_and_b32 s0, s7, s8
	s_and_saveexec_b32 s1, s0
	s_cbranch_execz .LBB252_162
.LBB252_191:
	v_cmp_ne_u32_e32 vcc_lo, 1, v60
	v_lshlrev_b64 v[0:1], 1, v[38:39]
	s_cbranch_vccnz .LBB252_193
; %bb.192:
	s_delay_alu instid0(VALU_DEP_1) | instskip(NEXT) | instid1(VALU_DEP_2)
	v_add_co_u32 v4, vcc_lo, v22, v0
	v_add_co_ci_u32_e32 v5, vcc_lo, v23, v1, vcc_lo
	flat_load_u16 v4, v[4:5]
	s_waitcnt vmcnt(0) lgkmcnt(0)
	v_mul_f16_e32 v4, v42, v4
	s_branch .LBB252_194
.LBB252_193:
	v_mov_b32_e32 v4, 0
.LBB252_194:
	v_pk_max_f16 v2, v2, v2
	v_pk_max_f16 v5, v6, v6
	;; [unrolled: 1-line block ×4, first 2 shown]
	v_add_co_u32 v0, vcc_lo, v20, v0
	s_delay_alu instid0(VALU_DEP_4) | instskip(SKIP_1) | instid1(VALU_DEP_4)
	v_pk_min_f16 v2, v5, v2
	v_add_co_ci_u32_e32 v1, vcc_lo, v21, v1, vcc_lo
	v_pk_min_f16 v3, v6, v3
	s_delay_alu instid0(VALU_DEP_3) | instskip(NEXT) | instid1(VALU_DEP_1)
	v_pk_add_f16 v2, v43, v2
	v_pk_add_f16 v2, v2, v3
	s_delay_alu instid0(VALU_DEP_1) | instskip(NEXT) | instid1(VALU_DEP_1)
	v_lshrrev_b32_e32 v3, 16, v2
	v_add_f16_e32 v2, v2, v3
	s_delay_alu instid0(VALU_DEP_1)
	v_add_f16_e32 v2, v2, v4
	global_store_b16 v[0:1], v2, off
	s_nop 0
	s_sendmsg sendmsg(MSG_DEALLOC_VGPRS)
	s_endpgm
	.section	.rodata,"a",@progbits
	.p2align	6, 0x0
	.amdhsa_kernel _ZN12_GLOBAL__N_120geam_min_plus_kernelIDF16_Dv2_DF16_S1_Li8ELi32ELi64ELi128ELi4ELi4ELi64ELi64ELi4ELc84ELc84ELb0ELb1ELb0EPKDF16_KS3_KPDF16_EEviiiT16_PT17_ilS9_ilS7_S9_ilPT18_ili26rocblas_geam_ex_operation_
		.amdhsa_group_segment_fixed_size 3072
		.amdhsa_private_segment_fixed_size 0
		.amdhsa_kernarg_size 136
		.amdhsa_user_sgpr_count 14
		.amdhsa_user_sgpr_dispatch_ptr 0
		.amdhsa_user_sgpr_queue_ptr 0
		.amdhsa_user_sgpr_kernarg_segment_ptr 1
		.amdhsa_user_sgpr_dispatch_id 0
		.amdhsa_user_sgpr_private_segment_size 0
		.amdhsa_wavefront_size32 1
		.amdhsa_uses_dynamic_stack 0
		.amdhsa_enable_private_segment 0
		.amdhsa_system_sgpr_workgroup_id_x 1
		.amdhsa_system_sgpr_workgroup_id_y 0
		.amdhsa_system_sgpr_workgroup_id_z 1
		.amdhsa_system_sgpr_workgroup_info 0
		.amdhsa_system_vgpr_workitem_id 1
		.amdhsa_next_free_vgpr 122
		.amdhsa_next_free_sgpr 26
		.amdhsa_reserve_vcc 1
		.amdhsa_float_round_mode_32 0
		.amdhsa_float_round_mode_16_64 0
		.amdhsa_float_denorm_mode_32 3
		.amdhsa_float_denorm_mode_16_64 3
		.amdhsa_dx10_clamp 1
		.amdhsa_ieee_mode 1
		.amdhsa_fp16_overflow 0
		.amdhsa_workgroup_processor_mode 1
		.amdhsa_memory_ordered 1
		.amdhsa_forward_progress 0
		.amdhsa_shared_vgpr_count 0
		.amdhsa_exception_fp_ieee_invalid_op 0
		.amdhsa_exception_fp_denorm_src 0
		.amdhsa_exception_fp_ieee_div_zero 0
		.amdhsa_exception_fp_ieee_overflow 0
		.amdhsa_exception_fp_ieee_underflow 0
		.amdhsa_exception_fp_ieee_inexact 0
		.amdhsa_exception_int_div_zero 0
	.end_amdhsa_kernel
	.section	.text._ZN12_GLOBAL__N_120geam_min_plus_kernelIDF16_Dv2_DF16_S1_Li8ELi32ELi64ELi128ELi4ELi4ELi64ELi64ELi4ELc84ELc84ELb0ELb1ELb0EPKDF16_KS3_KPDF16_EEviiiT16_PT17_ilS9_ilS7_S9_ilPT18_ili26rocblas_geam_ex_operation_,"axG",@progbits,_ZN12_GLOBAL__N_120geam_min_plus_kernelIDF16_Dv2_DF16_S1_Li8ELi32ELi64ELi128ELi4ELi4ELi64ELi64ELi4ELc84ELc84ELb0ELb1ELb0EPKDF16_KS3_KPDF16_EEviiiT16_PT17_ilS9_ilS7_S9_ilPT18_ili26rocblas_geam_ex_operation_,comdat
.Lfunc_end252:
	.size	_ZN12_GLOBAL__N_120geam_min_plus_kernelIDF16_Dv2_DF16_S1_Li8ELi32ELi64ELi128ELi4ELi4ELi64ELi64ELi4ELc84ELc84ELb0ELb1ELb0EPKDF16_KS3_KPDF16_EEviiiT16_PT17_ilS9_ilS7_S9_ilPT18_ili26rocblas_geam_ex_operation_, .Lfunc_end252-_ZN12_GLOBAL__N_120geam_min_plus_kernelIDF16_Dv2_DF16_S1_Li8ELi32ELi64ELi128ELi4ELi4ELi64ELi64ELi4ELc84ELc84ELb0ELb1ELb0EPKDF16_KS3_KPDF16_EEviiiT16_PT17_ilS9_ilS7_S9_ilPT18_ili26rocblas_geam_ex_operation_
                                        ; -- End function
	.section	.AMDGPU.csdata,"",@progbits
; Kernel info:
; codeLenInByte = 12992
; NumSgprs: 28
; NumVgprs: 122
; ScratchSize: 0
; MemoryBound: 0
; FloatMode: 240
; IeeeMode: 1
; LDSByteSize: 3072 bytes/workgroup (compile time only)
; SGPRBlocks: 3
; VGPRBlocks: 15
; NumSGPRsForWavesPerEU: 28
; NumVGPRsForWavesPerEU: 122
; Occupancy: 10
; WaveLimiterHint : 1
; COMPUTE_PGM_RSRC2:SCRATCH_EN: 0
; COMPUTE_PGM_RSRC2:USER_SGPR: 14
; COMPUTE_PGM_RSRC2:TRAP_HANDLER: 0
; COMPUTE_PGM_RSRC2:TGID_X_EN: 1
; COMPUTE_PGM_RSRC2:TGID_Y_EN: 0
; COMPUTE_PGM_RSRC2:TGID_Z_EN: 1
; COMPUTE_PGM_RSRC2:TIDIG_COMP_CNT: 1
	.section	.text._ZN12_GLOBAL__N_120geam_min_plus_kernelIDF16_Dv2_DF16_S1_Li8ELi32ELi64ELi128ELi4ELi4ELi64ELi64ELi4ELc84ELc84ELb1ELb1ELb0EDF16_KPKDF16_KPDF16_EEviiiT16_PT17_ilS9_ilS7_S9_ilPT18_ili26rocblas_geam_ex_operation_,"axG",@progbits,_ZN12_GLOBAL__N_120geam_min_plus_kernelIDF16_Dv2_DF16_S1_Li8ELi32ELi64ELi128ELi4ELi4ELi64ELi64ELi4ELc84ELc84ELb1ELb1ELb0EDF16_KPKDF16_KPDF16_EEviiiT16_PT17_ilS9_ilS7_S9_ilPT18_ili26rocblas_geam_ex_operation_,comdat
	.globl	_ZN12_GLOBAL__N_120geam_min_plus_kernelIDF16_Dv2_DF16_S1_Li8ELi32ELi64ELi128ELi4ELi4ELi64ELi64ELi4ELc84ELc84ELb1ELb1ELb0EDF16_KPKDF16_KPDF16_EEviiiT16_PT17_ilS9_ilS7_S9_ilPT18_ili26rocblas_geam_ex_operation_ ; -- Begin function _ZN12_GLOBAL__N_120geam_min_plus_kernelIDF16_Dv2_DF16_S1_Li8ELi32ELi64ELi128ELi4ELi4ELi64ELi64ELi4ELc84ELc84ELb1ELb1ELb0EDF16_KPKDF16_KPDF16_EEviiiT16_PT17_ilS9_ilS7_S9_ilPT18_ili26rocblas_geam_ex_operation_
	.p2align	8
	.type	_ZN12_GLOBAL__N_120geam_min_plus_kernelIDF16_Dv2_DF16_S1_Li8ELi32ELi64ELi128ELi4ELi4ELi64ELi64ELi4ELc84ELc84ELb1ELb1ELb0EDF16_KPKDF16_KPDF16_EEviiiT16_PT17_ilS9_ilS7_S9_ilPT18_ili26rocblas_geam_ex_operation_,@function
_ZN12_GLOBAL__N_120geam_min_plus_kernelIDF16_Dv2_DF16_S1_Li8ELi32ELi64ELi128ELi4ELi4ELi64ELi64ELi4ELc84ELc84ELb1ELb1ELb0EDF16_KPKDF16_KPDF16_EEviiiT16_PT17_ilS9_ilS7_S9_ilPT18_ili26rocblas_geam_ex_operation_: ; @_ZN12_GLOBAL__N_120geam_min_plus_kernelIDF16_Dv2_DF16_S1_Li8ELi32ELi64ELi128ELi4ELi4ELi64ELi64ELi4ELc84ELc84ELb1ELb1ELb0EDF16_KPKDF16_KPDF16_EEviiiT16_PT17_ilS9_ilS7_S9_ilPT18_ili26rocblas_geam_ex_operation_
; %bb.0:
	s_clause 0x1
	s_load_b128 s[16:19], s[0:1], 0x0
	s_load_b128 s[4:7], s[0:1], 0x20
	s_mov_b32 s2, s15
	s_mov_b32 s3, 0
	s_waitcnt lgkmcnt(0)
	v_cmp_eq_f16_e64 s10, s19, 0
	s_delay_alu instid0(VALU_DEP_1)
	s_and_b32 vcc_lo, exec_lo, s10
	s_cbranch_vccnz .LBB253_3
; %bb.1:
	s_load_b64 s[8:9], s[0:1], 0x10
	s_lshl_b64 s[12:13], s[2:3], 3
	s_waitcnt lgkmcnt(0)
	s_add_u32 s8, s8, s12
	s_addc_u32 s9, s9, s13
	s_lshl_b64 s[4:5], s[4:5], 1
	s_load_b64 s[8:9], s[8:9], 0x0
	s_waitcnt lgkmcnt(0)
	s_add_u32 s8, s8, s4
	s_addc_u32 s9, s9, s5
	s_and_not1_b32 vcc_lo, exec_lo, s10
	s_cbranch_vccnz .LBB253_4
.LBB253_2:
	s_mov_b64 s[12:13], 0
	s_and_not1_b32 vcc_lo, exec_lo, s3
	s_cbranch_vccz .LBB253_5
	s_branch .LBB253_6
.LBB253_3:
	s_mov_b64 s[8:9], 0
	s_and_not1_b32 vcc_lo, exec_lo, s10
	s_cbranch_vccz .LBB253_2
.LBB253_4:
	s_mov_b32 s3, -1
                                        ; implicit-def: $sgpr12_sgpr13
.LBB253_5:
	s_mov_b32 s3, 0
	s_load_b64 s[10:11], s[0:1], 0x38
	s_lshl_b64 s[4:5], s[2:3], 3
	s_delay_alu instid0(SALU_CYCLE_1) | instskip(SKIP_4) | instid1(SALU_CYCLE_1)
	s_add_u32 s4, s6, s4
	s_addc_u32 s5, s7, s5
	s_load_b64 s[4:5], s[4:5], 0x0
	s_waitcnt lgkmcnt(0)
	s_lshl_b64 s[6:7], s[10:11], 1
	s_add_u32 s12, s4, s6
	s_addc_u32 s13, s5, s7
.LBB253_6:
	s_clause 0x1
	s_load_b32 s19, s[0:1], 0x40
	s_load_b128 s[4:7], s[0:1], 0x58
	s_waitcnt lgkmcnt(0)
	v_cmp_eq_f16_e64 s10, s19, 0
	v_cmp_neq_f16_e64 s20, s19, 0
	s_delay_alu instid0(VALU_DEP_2)
	s_and_b32 vcc_lo, exec_lo, s10
	s_cbranch_vccnz .LBB253_8
; %bb.7:
	s_load_b64 s[10:11], s[0:1], 0x48
	s_lshl_b64 s[22:23], s[2:3], 3
	s_waitcnt lgkmcnt(0)
	s_add_u32 s10, s10, s22
	s_addc_u32 s11, s11, s23
	s_lshl_b64 s[4:5], s[4:5], 1
	s_load_b64 s[10:11], s[10:11], 0x0
	s_waitcnt lgkmcnt(0)
	s_add_u32 s10, s10, s4
	s_addc_u32 s11, s11, s5
	s_branch .LBB253_9
.LBB253_8:
	s_mov_b64 s[10:11], 0
.LBB253_9:
	s_lshl_b64 s[2:3], s[2:3], 3
	v_dual_mov_b32 v9, 0 :: v_dual_and_b32 v30, 0x3ff, v0
	s_add_u32 s4, s6, s2
	s_addc_u32 s5, s7, s3
	s_add_i32 s2, s16, -1
	v_bfe_u32 v31, v0, 10, 10
	s_ashr_i32 s3, s2, 31
	s_load_b32 s24, s[0:1], 0x18
	s_lshr_b32 s3, s3, 26
	v_and_b32_e32 v32, 3, v30
	s_add_i32 s2, s2, s3
	v_lshl_add_u32 v0, v31, 3, v30
	s_ashr_i32 s2, s2, 6
	v_mov_b32_e32 v8, 0
	s_add_i32 s15, s2, 1
	s_not_b32 s2, s2
	v_cvt_f32_u32_e32 v1, s15
	v_lshrrev_b32_e32 v7, 2, v0
	v_lshlrev_b32_e32 v2, 1, v32
	s_delay_alu instid0(VALU_DEP_3) | instskip(SKIP_2) | instid1(VALU_DEP_1)
	v_rcp_iflag_f32_e32 v1, v1
	s_waitcnt_depctr 0xfff
	v_mul_f32_e32 v1, 0x4f7ffffe, v1
	v_cvt_u32_f32_e32 v1, v1
	s_delay_alu instid0(VALU_DEP_1) | instskip(NEXT) | instid1(VALU_DEP_1)
	v_readfirstlane_b32 s3, v1
	s_mul_i32 s2, s2, s3
	s_delay_alu instid0(SALU_CYCLE_1) | instskip(NEXT) | instid1(SALU_CYCLE_1)
	s_mul_hi_u32 s2, s3, s2
	s_add_i32 s3, s3, s2
	s_delay_alu instid0(SALU_CYCLE_1) | instskip(NEXT) | instid1(SALU_CYCLE_1)
	s_mul_hi_u32 s2, s14, s3
	s_mul_i32 s3, s2, s15
	s_add_i32 s6, s2, 1
	s_sub_i32 s3, s14, s3
	s_delay_alu instid0(SALU_CYCLE_1)
	s_sub_i32 s7, s3, s15
	s_cmp_ge_u32 s3, s15
	s_cselect_b32 s2, s6, s2
	s_cselect_b32 s3, s7, s3
	s_add_i32 s6, s2, 1
	s_cmp_ge_u32 s3, s15
	s_cselect_b32 s3, s6, s2
	s_load_b64 s[6:7], s[4:5], 0x0
	s_mul_i32 s2, s3, s15
	s_delay_alu instid0(SALU_CYCLE_1) | instskip(NEXT) | instid1(SALU_CYCLE_1)
	s_sub_i32 s2, s14, s2
	s_lshl_b32 s5, s2, 6
	v_cmp_gt_i32_e64 s2, s18, v32
	v_add_nc_u32_e32 v3, s5, v7
	s_delay_alu instid0(VALU_DEP_1)
	v_cmp_le_i32_e32 vcc_lo, s16, v3
	s_xor_b32 s22, vcc_lo, -1
	s_delay_alu instid0(VALU_DEP_3) | instid1(SALU_CYCLE_1)
	s_and_b32 s4, s2, s22
	s_delay_alu instid0(SALU_CYCLE_1)
	s_and_saveexec_b32 s2, s4
	s_cbranch_execz .LBB253_11
; %bb.10:
	s_waitcnt lgkmcnt(0)
	v_mad_i64_i32 v[4:5], null, v3, s24, 0
	s_delay_alu instid0(VALU_DEP_1) | instskip(NEXT) | instid1(VALU_DEP_1)
	v_lshlrev_b64 v[4:5], 1, v[4:5]
	v_add_co_u32 v1, vcc_lo, s8, v4
	s_delay_alu instid0(VALU_DEP_2) | instskip(NEXT) | instid1(VALU_DEP_2)
	v_add_co_ci_u32_e32 v5, vcc_lo, s9, v5, vcc_lo
	v_add_co_u32 v4, vcc_lo, v1, v2
	s_delay_alu instid0(VALU_DEP_2)
	v_add_co_ci_u32_e32 v5, vcc_lo, 0, v5, vcc_lo
	flat_load_u16 v9, v[4:5]
.LBB253_11:
	s_or_b32 exec_lo, exec_lo, s2
	s_load_b32 s14, s[0:1], 0x30
	v_lshrrev_b32_e32 v33, 6, v0
	v_and_b32_e32 v10, 63, v0
	s_lshl_b32 s21, s3, 7
	s_delay_alu instid0(VALU_DEP_2) | instskip(NEXT) | instid1(VALU_DEP_2)
	v_cmp_le_i32_e64 s3, s18, v33
	v_or_b32_e32 v0, s21, v10
	s_delay_alu instid0(VALU_DEP_1) | instskip(SKIP_4) | instid1(VALU_DEP_1)
	v_cmp_le_i32_e32 vcc_lo, s17, v0
	v_ashrrev_i32_e32 v1, 31, v0
	s_waitcnt lgkmcnt(0)
	v_mad_i64_i32 v[4:5], null, s14, v33, 0
	s_ashr_i32 s15, s14, 31
	v_lshlrev_b64 v[5:6], 1, v[4:5]
	s_delay_alu instid0(VALU_DEP_1) | instskip(NEXT) | instid1(VALU_DEP_1)
	v_add_co_u32 v5, s2, s12, v5
	v_add_co_ci_u32_e64 v6, s2, s13, v6, s2
	s_or_b32 s2, vcc_lo, s3
	s_delay_alu instid0(SALU_CYCLE_1) | instskip(NEXT) | instid1(SALU_CYCLE_1)
	s_xor_b32 s2, s2, -1
	s_and_saveexec_b32 s4, s2
	s_cbranch_execz .LBB253_13
; %bb.12:
	v_lshlrev_b64 v[11:12], 1, v[0:1]
	s_delay_alu instid0(VALU_DEP_1) | instskip(NEXT) | instid1(VALU_DEP_1)
	v_add_co_u32 v11, s2, v5, v11
	v_add_co_ci_u32_e64 v12, s2, v6, v12, s2
	flat_load_u16 v8, v[11:12]
.LBB253_13:
	s_or_b32 exec_lo, exec_lo, s4
	v_or_b32_e32 v4, 64, v0
	v_mov_b32_e32 v11, 0
	s_delay_alu instid0(VALU_DEP_2) | instskip(SKIP_1) | instid1(VALU_DEP_2)
	v_cmp_le_i32_e64 s2, s17, v4
	v_mov_b32_e32 v4, 0
	s_or_b32 s3, s2, s3
	s_delay_alu instid0(SALU_CYCLE_1) | instskip(NEXT) | instid1(SALU_CYCLE_1)
	s_xor_b32 s3, s3, -1
	s_and_saveexec_b32 s4, s3
	s_cbranch_execz .LBB253_15
; %bb.14:
	v_lshlrev_b64 v[11:12], 1, v[0:1]
	s_delay_alu instid0(VALU_DEP_1) | instskip(NEXT) | instid1(VALU_DEP_1)
	v_add_co_u32 v5, s3, v5, v11
	v_add_co_ci_u32_e64 v6, s3, v6, v12, s3
	flat_load_u16 v11, v[5:6] offset:128
.LBB253_15:
	s_or_b32 exec_lo, exec_lo, s4
	v_or_b32_e32 v5, 4, v32
	s_delay_alu instid0(VALU_DEP_1) | instskip(NEXT) | instid1(VALU_DEP_1)
	v_cmp_gt_i32_e64 s3, s18, v5
	s_and_b32 s3, s3, s22
	s_delay_alu instid0(SALU_CYCLE_1)
	s_and_saveexec_b32 s4, s3
	s_cbranch_execz .LBB253_17
; %bb.16:
	v_mad_i64_i32 v[4:5], null, v3, s24, 0
	s_delay_alu instid0(VALU_DEP_1) | instskip(NEXT) | instid1(VALU_DEP_1)
	v_lshlrev_b64 v[4:5], 1, v[4:5]
	v_add_co_u32 v4, s3, s8, v4
	s_delay_alu instid0(VALU_DEP_1) | instskip(NEXT) | instid1(VALU_DEP_2)
	v_add_co_ci_u32_e64 v5, s3, s9, v5, s3
	v_add_co_u32 v4, s3, v4, v2
	s_delay_alu instid0(VALU_DEP_1)
	v_add_co_ci_u32_e64 v5, s3, 0, v5, s3
	flat_load_u16 v4, v[4:5] offset:8
.LBB253_17:
	s_or_b32 exec_lo, exec_lo, s4
	v_add_nc_u32_e32 v14, 4, v33
	s_delay_alu instid0(VALU_DEP_1) | instskip(NEXT) | instid1(VALU_DEP_1)
	v_mad_i64_i32 v[5:6], null, s14, v14, 0
	v_lshlrev_b64 v[12:13], 1, v[5:6]
	v_mov_b32_e32 v5, 0
	v_cmp_le_i32_e64 s3, s18, v14
	v_mov_b32_e32 v6, 0
	s_delay_alu instid0(VALU_DEP_4) | instskip(NEXT) | instid1(VALU_DEP_1)
	v_add_co_u32 v12, s4, s12, v12
	v_add_co_ci_u32_e64 v13, s4, s13, v13, s4
	s_delay_alu instid0(VALU_DEP_4) | instskip(NEXT) | instid1(SALU_CYCLE_1)
	s_or_b32 s4, vcc_lo, s3
	s_xor_b32 s4, s4, -1
	s_delay_alu instid0(SALU_CYCLE_1)
	s_and_saveexec_b32 s23, s4
	s_cbranch_execz .LBB253_19
; %bb.18:
	v_lshlrev_b64 v[14:15], 1, v[0:1]
	s_delay_alu instid0(VALU_DEP_1) | instskip(NEXT) | instid1(VALU_DEP_1)
	v_add_co_u32 v14, s4, v12, v14
	v_add_co_ci_u32_e64 v15, s4, v13, v15, s4
	flat_load_u16 v6, v[14:15]
.LBB253_19:
	s_or_b32 exec_lo, exec_lo, s23
	s_or_b32 s3, s2, s3
	s_delay_alu instid0(SALU_CYCLE_1) | instskip(NEXT) | instid1(SALU_CYCLE_1)
	s_xor_b32 s3, s3, -1
	s_and_saveexec_b32 s4, s3
	s_cbranch_execz .LBB253_21
; %bb.20:
	v_lshlrev_b64 v[14:15], 1, v[0:1]
	s_delay_alu instid0(VALU_DEP_1) | instskip(NEXT) | instid1(VALU_DEP_1)
	v_add_co_u32 v12, s3, v12, v14
	v_add_co_ci_u32_e64 v13, s3, v13, v15, s3
	flat_load_u16 v5, v[12:13] offset:128
.LBB253_21:
	s_or_b32 exec_lo, exec_lo, s4
	v_lshlrev_b32_e32 v12, 1, v33
	v_lshlrev_b32_e32 v35, 3, v30
	v_lshlrev_b32_e32 v34, 3, v31
	v_lshl_or_b32 v7, v7, 3, v2
	s_mov_b32 s23, 0
	v_lshl_add_u32 v36, v10, 3, v12
	v_add_nc_u32_e32 v28, 0x800, v35
	s_cmp_lt_i32 s18, 9
	s_waitcnt vmcnt(0) lgkmcnt(0)
	ds_store_b16 v36, v8
	ds_store_b16 v7, v9 offset:2048
	ds_store_b16 v36, v11 offset:512
	s_waitcnt lgkmcnt(0)
	s_barrier
	buffer_gl0_inv
	ds_load_2addr_b64 v[8:11], v34 offset1:32
	ds_load_2addr_b64 v[12:15], v28 offset0:48 offset1:56
	ds_load_2addr_b64 v[16:19], v34 offset0:64 offset1:96
	ds_load_2addr_b64 v[20:23], v28 offset1:8
	ds_load_2addr_b64 v[24:27], v28 offset0:16 offset1:24
	ds_load_2addr_b64 v[37:40], v28 offset0:32 offset1:40
	ds_store_b16 v36, v6 offset:1024
	ds_store_b16 v7, v4 offset:2560
	;; [unrolled: 1-line block ×3, first 2 shown]
	s_waitcnt lgkmcnt(0)
	s_barrier
	buffer_gl0_inv
	v_pk_max_f16 v8, v8, v8
	v_pk_max_f16 v10, v10, v10
	;; [unrolled: 1-line block ×8, first 2 shown]
	v_pk_min_f16 v48, v24, v8
	v_pk_min_f16 v49, v24, v10
	;; [unrolled: 1-line block ×3, first 2 shown]
	v_pk_max_f16 v20, v20, v20
	v_pk_max_f16 v22, v22, v22
	v_pk_add_f16 v51, v48, 0
	v_pk_min_f16 v48, v26, v8
	v_pk_add_f16 v52, v49, 0
	v_pk_min_f16 v49, v26, v10
	v_pk_min_f16 v28, v14, v8
	v_pk_add_f16 v53, v50, 0
	v_pk_add_f16 v54, v48, 0
	v_pk_min_f16 v48, v37, v8
	v_pk_min_f16 v50, v26, v16
	v_pk_add_f16 v59, v49, 0
	v_pk_min_f16 v49, v37, v10
	v_pk_max_f16 v39, v39, v39
	v_pk_add_f16 v61, v48, 0
	v_pk_min_f16 v48, v37, v16
	v_pk_min_f16 v37, v37, v18
	v_pk_max_f16 v12, v12, v12
	v_pk_max_f16 v9, v9, v9
	;; [unrolled: 1-line block ×3, first 2 shown]
	v_pk_min_f16 v29, v14, v10
	v_pk_min_f16 v41, v14, v16
	;; [unrolled: 1-line block ×7, first 2 shown]
	v_pk_add_f16 v28, v28, 0
	v_pk_min_f16 v46, v22, v10
	v_pk_min_f16 v47, v22, v16
	;; [unrolled: 1-line block ×5, first 2 shown]
	v_pk_add_f16 v60, v50, 0
	v_pk_add_f16 v62, v49, 0
	v_pk_min_f16 v49, v39, v8
	v_pk_min_f16 v50, v39, v10
	v_pk_add_f16 v71, v37, 0
	v_pk_min_f16 v37, v39, v16
	v_pk_min_f16 v39, v39, v18
	;; [unrolled: 1-line block ×6, first 2 shown]
	v_pk_max_f16 v11, v11, v11
	v_pk_min_f16 v14, v14, v18
	v_pk_min_f16 v18, v15, v9
	v_pk_add_f16 v29, v29, 0
	v_pk_add_f16 v74, v37, 0
	v_pk_max_f16 v17, v17, v17
	v_pk_min_f16 v37, v15, v11
	v_pk_max_f16 v21, v21, v21
	v_pk_add_f16 v68, v28, v18
	v_pk_max_f16 v18, v19, v19
	v_pk_add_f16 v42, v42, 0
	v_pk_add_f16 v20, v20, 0
	;; [unrolled: 1-line block ×3, first 2 shown]
	v_pk_min_f16 v19, v21, v9
	v_pk_min_f16 v28, v21, v11
	v_pk_min_f16 v29, v21, v17
	v_pk_min_f16 v21, v21, v18
	v_pk_max_f16 v23, v23, v23
	v_pk_add_f16 v45, v45, 0
	v_pk_add_f16 v46, v46, 0
	;; [unrolled: 1-line block ×7, first 2 shown]
	v_pk_min_f16 v19, v23, v9
	v_pk_min_f16 v20, v23, v11
	;; [unrolled: 1-line block ×4, first 2 shown]
	v_pk_max_f16 v25, v25, v25
	v_pk_add_f16 v41, v41, 0
	v_pk_add_f16 v24, v24, 0
	;; [unrolled: 1-line block ×4, first 2 shown]
	v_pk_min_f16 v39, v15, v17
	v_pk_add_f16 v69, v45, v19
	v_pk_add_f16 v66, v46, v20
	;; [unrolled: 1-line block ×4, first 2 shown]
	v_pk_min_f16 v19, v25, v9
	v_pk_min_f16 v20, v25, v11
	;; [unrolled: 1-line block ×4, first 2 shown]
	v_pk_max_f16 v23, v27, v27
	v_pk_add_f16 v26, v26, 0
	v_pk_add_f16 v73, v50, 0
	;; [unrolled: 1-line block ×7, first 2 shown]
	v_pk_min_f16 v19, v23, v9
	v_pk_min_f16 v20, v23, v11
	;; [unrolled: 1-line block ×4, first 2 shown]
	v_pk_max_f16 v23, v38, v38
	v_pk_add_f16 v39, v54, v19
	v_pk_add_f16 v63, v59, v20
	;; [unrolled: 1-line block ×4, first 2 shown]
	v_pk_min_f16 v19, v23, v9
	v_pk_min_f16 v20, v23, v11
	;; [unrolled: 1-line block ×4, first 2 shown]
	v_pk_max_f16 v23, v40, v40
	v_pk_max_f16 v13, v13, v13
	v_pk_add_f16 v43, v43, 0
	v_pk_add_f16 v44, v44, 0
	;; [unrolled: 1-line block ×11, first 2 shown]
	v_pk_min_f16 v19, v23, v9
	v_pk_min_f16 v20, v23, v11
	v_pk_min_f16 v21, v23, v17
	v_pk_min_f16 v22, v23, v18
	v_pk_min_f16 v9, v13, v9
	v_pk_min_f16 v11, v13, v11
	v_pk_min_f16 v17, v13, v17
	v_pk_min_f16 v13, v13, v18
	v_pk_min_f16 v15, v15, v18
	v_pk_add_f16 v67, v43, v28
	v_pk_add_f16 v57, v44, v29
	;; [unrolled: 1-line block ×11, first 2 shown]
	s_cbranch_scc1 .LBB253_36
; %bb.22:
	v_mad_i64_i32 v[4:5], null, s24, v3, 0
	v_add_nc_u32_e32 v6, 8, v33
	v_lshlrev_b64 v[0:1], 1, v[0:1]
	v_add_nc_u32_e32 v59, 0x800, v7
	v_add_nc_u32_e32 v65, 0x800, v35
	;; [unrolled: 1-line block ×3, first 2 shown]
	v_mad_i64_i32 v[8:9], null, v6, s14, 0
	v_lshlrev_b64 v[3:4], 1, v[4:5]
	v_add_nc_u32_e32 v5, 12, v33
	v_or_b32_e32 v72, 0x400, v36
	v_lshl_add_u32 v73, v30, 3, 0xa00
	v_lshl_add_u32 v74, v31, 3, 0x400
	v_add_co_u32 v6, s3, v3, v2
	s_delay_alu instid0(VALU_DEP_1) | instskip(SKIP_4) | instid1(VALU_DEP_1)
	v_add_co_ci_u32_e64 v4, s3, 0, v4, s3
	v_add_co_u32 v75, s3, s12, v0
	v_mad_i64_i32 v[2:3], null, v5, s14, 0
	v_add_co_ci_u32_e64 v76, s3, s13, v1, s3
	v_add_co_u32 v0, s3, v6, s8
	v_add_co_ci_u32_e64 v1, s3, s9, v4, s3
	v_lshlrev_b64 v[24:25], 1, v[8:9]
	s_delay_alu instid0(VALU_DEP_3) | instskip(SKIP_1) | instid1(VALU_DEP_4)
	v_add_co_u32 v28, s3, v0, 16
	v_lshlrev_b64 v[26:27], 1, v[2:3]
	v_add_co_ci_u32_e64 v29, s3, 0, v1, s3
	s_add_i32 s12, s18, -8
	s_lshl_b64 s[8:9], s[14:15], 4
	s_branch .LBB253_24
.LBB253_23:                             ;   in Loop: Header=BB253_24 Depth=1
	s_or_b32 exec_lo, exec_lo, s4
	v_pk_add_f16 v48, v48, v81
	v_pk_add_f16 v41, v41, v82
	;; [unrolled: 1-line block ×26, first 2 shown]
	ds_load_2addr_b64 v[37:40], v65 offset0:48 offset1:56
	ds_load_2addr_b64 v[41:44], v34 offset1:32
	v_pk_add_f16 v9, v47, v9
	ds_load_2addr_b64 v[45:48], v34 offset0:64 offset1:96
	v_pk_add_f16 v2, v68, v2
	v_pk_add_f16 v10, v64, v10
	;; [unrolled: 1-line block ×6, first 2 shown]
	ds_load_2addr_b64 v[49:52], v65 offset1:8
	v_pk_add_f16 v53, v53, v89
	v_pk_add_f16 v61, v61, v92
	;; [unrolled: 1-line block ×9, first 2 shown]
	s_waitcnt lgkmcnt(3)
	v_pk_max_f16 v39, v39, v39
	s_waitcnt lgkmcnt(2)
	v_pk_max_f16 v41, v41, v41
	v_pk_max_f16 v43, v43, v43
	s_waitcnt lgkmcnt(1)
	v_pk_max_f16 v45, v45, v45
	v_pk_add_f16 v86, v6, v105
	v_pk_add_f16 v53, v53, v3
	v_pk_add_f16 v62, v62, v5
	v_pk_add_f16 v13, v61, v13
	v_pk_add_f16 v21, v60, v21
	v_pk_add_f16 v60, v69, v1
	v_pk_add_f16 v61, v70, v7
	v_pk_min_f16 v5, v39, v41
	v_pk_min_f16 v6, v39, v43
	;; [unrolled: 1-line block ×3, first 2 shown]
	ds_load_2addr_b64 v[1:4], v65 offset0:16 offset1:24
	s_waitcnt lgkmcnt(1)
	v_pk_max_f16 v8, v49, v49
	v_pk_max_f16 v47, v47, v47
	v_pk_add_f16 v14, v14, v109
	v_pk_add_f16 v18, v18, v110
	;; [unrolled: 1-line block ×7, first 2 shown]
	v_pk_min_f16 v5, v8, v41
	v_pk_min_f16 v6, v8, v43
	v_pk_min_f16 v7, v8, v45
	v_pk_min_f16 v8, v8, v47
	v_pk_max_f16 v51, v51, v51
	v_pk_add_f16 v14, v14, v5
	v_pk_add_f16 v18, v18, v6
	;; [unrolled: 1-line block ×4, first 2 shown]
	ds_load_2addr_b64 v[5:8], v65 offset0:32 offset1:40
	v_pk_add_f16 v17, v66, v17
	v_pk_min_f16 v66, v51, v45
	s_waitcnt lgkmcnt(1)
	v_pk_max_f16 v1, v1, v1
	v_pk_add_f16 v11, v63, v11
	v_pk_min_f16 v63, v51, v41
	v_pk_max_f16 v3, v3, v3
	v_pk_add_f16 v79, v82, v66
	v_pk_min_f16 v66, v1, v41
	v_pk_add_f16 v10, v10, v118
	v_pk_add_f16 v56, v56, v100
	;; [unrolled: 1-line block ×5, first 2 shown]
	v_pk_min_f16 v64, v51, v43
	v_pk_add_f16 v63, v80, v63
	v_pk_min_f16 v67, v1, v43
	v_pk_min_f16 v68, v1, v45
	;; [unrolled: 1-line block ×3, first 2 shown]
	v_pk_add_f16 v80, v84, v66
	v_pk_min_f16 v66, v3, v43
	s_waitcnt lgkmcnt(0)
	v_pk_max_f16 v5, v5, v5
	v_pk_add_f16 v57, v57, v102
	v_pk_add_f16 v58, v58, v103
	;; [unrolled: 1-line block ×5, first 2 shown]
	v_pk_min_f16 v9, v3, v41
	v_pk_min_f16 v67, v3, v45
	;; [unrolled: 1-line block ×3, first 2 shown]
	v_pk_add_f16 v81, v56, v66
	v_pk_min_f16 v56, v5, v41
	v_pk_min_f16 v51, v51, v47
	v_pk_max_f16 v7, v7, v7
	v_pk_add_f16 v3, v57, v3
	v_pk_min_f16 v57, v5, v43
	v_pk_add_f16 v82, v58, v56
	v_pk_min_f16 v56, v5, v45
	v_pk_max_f16 v37, v37, v37
	v_pk_add_f16 v51, v83, v51
	v_pk_add_f16 v83, v86, v57
	v_pk_min_f16 v57, v7, v41
	v_pk_min_f16 v58, v7, v43
	v_pk_add_f16 v53, v53, v56
	v_pk_min_f16 v56, v7, v45
	v_pk_min_f16 v7, v7, v47
	;; [unrolled: 1-line block ×5, first 2 shown]
	v_pk_max_f16 v40, v40, v40
	v_pk_add_f16 v7, v17, v7
	v_pk_add_f16 v17, v19, v41
	;; [unrolled: 1-line block ×3, first 2 shown]
	v_pk_max_f16 v43, v44, v44
	v_pk_add_f16 v21, v23, v45
	v_pk_min_f16 v23, v37, v47
	v_pk_max_f16 v42, v42, v42
	v_pk_min_f16 v37, v39, v47
	v_pk_max_f16 v84, v46, v46
	v_pk_min_f16 v41, v40, v43
	v_pk_add_f16 v55, v55, v119
	v_pk_add_f16 v9, v85, v9
	;; [unrolled: 1-line block ×3, first 2 shown]
	v_pk_min_f16 v39, v40, v42
	v_pk_add_f16 v85, v61, v37
	v_pk_min_f16 v37, v40, v84
	v_pk_max_f16 v44, v50, v50
	v_pk_add_f16 v58, v12, v41
	v_pk_max_f16 v12, v48, v48
	v_pk_add_f16 v54, v54, v101
	v_pk_add_f16 v55, v55, v68
	;; [unrolled: 1-line block ×4, first 2 shown]
	v_pk_min_f16 v16, v44, v42
	v_pk_min_f16 v37, v44, v43
	v_pk_min_f16 v39, v44, v84
	v_pk_min_f16 v41, v44, v12
	v_pk_max_f16 v44, v52, v52
	v_pk_add_f16 v54, v54, v67
	v_pk_add_f16 v70, v14, v16
	;; [unrolled: 1-line block ×3, first 2 shown]
	v_pk_max_f16 v2, v2, v2
	v_pk_min_f16 v14, v44, v42
	v_pk_min_f16 v16, v44, v43
	;; [unrolled: 1-line block ×3, first 2 shown]
	v_pk_add_f16 v15, v15, v56
	v_pk_max_f16 v4, v4, v4
	v_pk_add_f16 v69, v63, v14
	v_pk_add_f16 v66, v64, v16
	v_pk_add_f16 v56, v79, v18
	v_pk_min_f16 v14, v2, v42
	v_pk_min_f16 v16, v2, v43
	;; [unrolled: 1-line block ×5, first 2 shown]
	v_pk_max_f16 v6, v6, v6
	v_pk_add_f16 v64, v10, v16
	v_pk_min_f16 v10, v4, v84
	v_pk_add_f16 v47, v1, v2
	v_pk_min_f16 v1, v4, v42
	v_pk_min_f16 v2, v4, v43
	;; [unrolled: 1-line block ×3, first 2 shown]
	v_pk_add_f16 v5, v62, v5
	v_pk_add_f16 v11, v11, v57
	;; [unrolled: 1-line block ×6, first 2 shown]
	v_pk_min_f16 v1, v6, v42
	v_pk_min_f16 v2, v6, v43
	;; [unrolled: 1-line block ×4, first 2 shown]
	v_pk_max_f16 v6, v8, v8
	v_pk_add_f16 v37, v82, v1
	v_pk_add_f16 v62, v83, v2
	;; [unrolled: 1-line block ×4, first 2 shown]
	v_pk_min_f16 v1, v6, v42
	v_pk_min_f16 v2, v6, v43
	;; [unrolled: 1-line block ×4, first 2 shown]
	v_pk_max_f16 v5, v38, v38
	v_pk_add_f16 v23, v60, v23
	v_pk_min_f16 v20, v44, v12
	v_pk_add_f16 v38, v11, v1
	v_pk_add_f16 v61, v13, v2
	;; [unrolled: 1-line block ×4, first 2 shown]
	v_pk_min_f16 v1, v5, v42
	v_pk_min_f16 v2, v5, v43
	;; [unrolled: 1-line block ×5, first 2 shown]
	v_add_co_u32 v75, s3, v75, s8
	s_delay_alu instid0(VALU_DEP_1)
	v_add_co_ci_u32_e64 v76, s3, s9, v76, s3
	v_add_co_u32 v28, s3, v28, 16
	v_pk_add_f16 v49, v22, v41
	v_pk_add_f16 v48, v51, v20
	;; [unrolled: 1-line block ×10, first 2 shown]
	v_add_co_ci_u32_e64 v29, s3, 0, v29, s3
	s_add_i32 s23, s23, 8
	s_waitcnt vmcnt(0)
	ds_store_b16 v71, v77
	ds_store_b16 v72, v78
	ds_store_b16 v72, v0 offset:512
	s_cmp_ge_i32 s23, s12
	s_waitcnt lgkmcnt(0)
	s_barrier
	buffer_gl0_inv
	s_cbranch_scc1 .LBB253_36
.LBB253_24:                             ; =>This Inner Loop Header: Depth=1
	v_dual_mov_b32 v78, 0 :: v_dual_add_nc_u32 v77, s23, v32
	s_delay_alu instid0(VALU_DEP_1) | instskip(NEXT) | instid1(VALU_DEP_1)
	v_add_nc_u32_e32 v0, 8, v77
	v_cmp_gt_i32_e64 s3, s18, v0
	s_delay_alu instid0(VALU_DEP_1) | instskip(NEXT) | instid1(SALU_CYCLE_1)
	s_and_b32 s4, s3, s22
	s_and_saveexec_b32 s3, s4
	s_cbranch_execz .LBB253_26
; %bb.25:                               ;   in Loop: Header=BB253_24 Depth=1
	flat_load_u16 v78, v[28:29]
.LBB253_26:                             ;   in Loop: Header=BB253_24 Depth=1
	s_or_b32 exec_lo, exec_lo, s3
	v_dual_mov_b32 v80, 0 :: v_dual_add_nc_u32 v79, s23, v33
	s_delay_alu instid0(VALU_DEP_1) | instskip(NEXT) | instid1(VALU_DEP_1)
	v_dual_mov_b32 v81, 0 :: v_dual_add_nc_u32 v0, 8, v79
	v_cmp_le_i32_e64 s3, s18, v0
	s_delay_alu instid0(VALU_DEP_1) | instskip(NEXT) | instid1(SALU_CYCLE_1)
	s_or_b32 s4, vcc_lo, s3
	s_xor_b32 s4, s4, -1
	s_delay_alu instid0(SALU_CYCLE_1)
	s_and_saveexec_b32 s13, s4
	s_cbranch_execz .LBB253_28
; %bb.27:                               ;   in Loop: Header=BB253_24 Depth=1
	v_add_co_u32 v0, s4, v75, v24
	s_delay_alu instid0(VALU_DEP_1)
	v_add_co_ci_u32_e64 v1, s4, v76, v25, s4
	flat_load_u16 v81, v[0:1]
.LBB253_28:                             ;   in Loop: Header=BB253_24 Depth=1
	s_or_b32 exec_lo, exec_lo, s13
	s_or_b32 s3, s2, s3
	s_delay_alu instid0(SALU_CYCLE_1) | instskip(NEXT) | instid1(SALU_CYCLE_1)
	s_xor_b32 s3, s3, -1
	s_and_saveexec_b32 s4, s3
	s_cbranch_execz .LBB253_30
; %bb.29:                               ;   in Loop: Header=BB253_24 Depth=1
	v_add_co_u32 v0, s3, v75, v24
	s_delay_alu instid0(VALU_DEP_1)
	v_add_co_ci_u32_e64 v1, s3, v76, v25, s3
	flat_load_u16 v80, v[0:1] offset:128
.LBB253_30:                             ;   in Loop: Header=BB253_24 Depth=1
	s_or_b32 exec_lo, exec_lo, s4
	ds_load_2addr_b64 v[0:3], v73 offset0:48 offset1:56
	ds_load_2addr_b64 v[12:15], v74 offset0:64 offset1:96
	ds_load_2addr_b64 v[20:23], v74 offset1:32
	ds_load_2addr_b64 v[16:19], v73 offset1:8
	ds_load_2addr_b64 v[8:11], v73 offset0:16 offset1:24
	ds_load_2addr_b64 v[4:7], v73 offset0:32 offset1:40
	v_add_nc_u32_e32 v77, 12, v77
	s_waitcnt vmcnt(0) lgkmcnt(6)
	ds_store_b16 v59, v78
	ds_store_b16 v36, v81
	ds_store_b16 v36, v80 offset:512
	v_mov_b32_e32 v78, 0
	s_waitcnt lgkmcnt(0)
	s_barrier
	v_cmp_gt_i32_e64 s3, s18, v77
	v_mov_b32_e32 v77, 0
	buffer_gl0_inv
	s_and_b32 s4, s3, s22
	s_delay_alu instid0(SALU_CYCLE_1)
	s_and_saveexec_b32 s3, s4
	s_cbranch_execz .LBB253_32
; %bb.31:                               ;   in Loop: Header=BB253_24 Depth=1
	flat_load_u16 v77, v[28:29] offset:8
.LBB253_32:                             ;   in Loop: Header=BB253_24 Depth=1
	s_or_b32 exec_lo, exec_lo, s3
	v_add_nc_u32_e32 v79, 12, v79
	s_delay_alu instid0(VALU_DEP_1) | instskip(NEXT) | instid1(VALU_DEP_1)
	v_cmp_le_i32_e64 s3, s18, v79
	s_or_b32 s4, vcc_lo, s3
	s_delay_alu instid0(SALU_CYCLE_1) | instskip(NEXT) | instid1(SALU_CYCLE_1)
	s_xor_b32 s4, s4, -1
	s_and_saveexec_b32 s13, s4
	s_cbranch_execz .LBB253_34
; %bb.33:                               ;   in Loop: Header=BB253_24 Depth=1
	v_add_co_u32 v78, s4, v75, v26
	s_delay_alu instid0(VALU_DEP_1)
	v_add_co_ci_u32_e64 v79, s4, v76, v27, s4
	flat_load_u16 v78, v[78:79]
.LBB253_34:                             ;   in Loop: Header=BB253_24 Depth=1
	s_or_b32 exec_lo, exec_lo, s13
	v_pk_max_f16 v99, v2, v2
	v_pk_max_f16 v95, v20, v20
	;; [unrolled: 1-line block ×12, first 2 shown]
	v_pk_min_f16 v2, v99, v95
	v_pk_min_f16 v12, v99, v96
	;; [unrolled: 1-line block ×25, first 2 shown]
	v_pk_max_f16 v0, v3, v3
	v_pk_max_f16 v21, v21, v21
	;; [unrolled: 1-line block ×9, first 2 shown]
	v_pk_min_f16 v109, v3, v21
	v_pk_min_f16 v110, v3, v23
	;; [unrolled: 1-line block ×4, first 2 shown]
	v_pk_max_f16 v3, v9, v9
	v_pk_max_f16 v7, v7, v7
	;; [unrolled: 1-line block ×3, first 2 shown]
	v_pk_min_f16 v22, v22, v100
	v_pk_min_f16 v81, v81, v100
	;; [unrolled: 1-line block ×35, first 2 shown]
	v_mov_b32_e32 v0, 0
	s_or_b32 s3, s2, s3
	s_delay_alu instid0(SALU_CYCLE_1) | instskip(NEXT) | instid1(SALU_CYCLE_1)
	s_xor_b32 s3, s3, -1
	s_and_saveexec_b32 s4, s3
	s_cbranch_execz .LBB253_23
; %bb.35:                               ;   in Loop: Header=BB253_24 Depth=1
	v_add_co_u32 v120, s3, v75, v26
	s_delay_alu instid0(VALU_DEP_1)
	v_add_co_ci_u32_e64 v121, s3, v76, v27, s3
	flat_load_u16 v0, v[120:121] offset:128
	s_branch .LBB253_23
.LBB253_36:
	s_clause 0x2
	s_load_b32 s12, s[0:1], 0x50
	s_load_b32 s9, s[0:1], 0x68
	s_load_b64 s[2:3], s[0:1], 0x70
	v_add_nc_u32_e32 v65, s21, v31
	v_add_nc_u32_e32 v8, 0x800, v35
	ds_load_2addr_b64 v[0:3], v34 offset0:192 offset1:224
	ds_load_2addr_b64 v[20:23], v34 offset0:128 offset1:160
	v_add_nc_u32_e32 v24, s5, v30
	ds_load_2addr_b64 v[4:7], v8 offset0:112 offset1:120
	ds_load_2addr_b64 v[16:19], v8 offset0:64 offset1:72
	;; [unrolled: 1-line block ×4, first 2 shown]
	v_cmp_gt_i32_e64 s8, s17, v65
	v_cmp_gt_i32_e64 s0, s16, v24
	v_cndmask_b32_e64 v59, 0, 1, s20
	s_waitcnt lgkmcnt(0)
	v_mad_i64_i32 v[25:26], null, v65, s12, 0
	v_mad_i64_i32 v[27:28], null, v65, s9, 0
	s_lshl_b64 s[2:3], s[2:3], 1
	s_delay_alu instid0(SALU_CYCLE_1) | instskip(SKIP_1) | instid1(VALU_DEP_2)
	s_add_u32 s13, s6, s2
	s_addc_u32 s14, s7, s3
	v_lshlrev_b64 v[29:30], 1, v[25:26]
	v_ashrrev_i32_e32 v25, 31, v24
	s_delay_alu instid0(VALU_DEP_3) | instskip(SKIP_1) | instid1(VALU_DEP_3)
	v_lshlrev_b64 v[26:27], 1, v[27:28]
	s_and_b32 s2, s0, s8
	v_add_co_u32 v73, vcc_lo, s10, v29
	s_delay_alu instid0(VALU_DEP_4) | instskip(NEXT) | instid1(VALU_DEP_3)
	v_add_co_ci_u32_e32 v74, vcc_lo, s11, v30, vcc_lo
	v_add_co_u32 v71, vcc_lo, s13, v26
	s_delay_alu instid0(VALU_DEP_4)
	v_add_co_ci_u32_e32 v72, vcc_lo, s14, v27, vcc_lo
	s_and_saveexec_b32 s1, s2
	s_cbranch_execz .LBB253_41
; %bb.37:
	v_lshlrev_b64 v[26:27], 1, v[24:25]
	s_and_not1_b32 vcc_lo, exec_lo, s20
	s_cbranch_vccnz .LBB253_39
; %bb.38:
	s_delay_alu instid0(VALU_DEP_1) | instskip(NEXT) | instid1(VALU_DEP_2)
	v_add_co_u32 v28, vcc_lo, v73, v26
	v_add_co_ci_u32_e32 v29, vcc_lo, v74, v27, vcc_lo
	flat_load_u16 v28, v[28:29]
	s_waitcnt vmcnt(0) lgkmcnt(0)
	v_mul_f16_e32 v28, s19, v28
	s_branch .LBB253_40
.LBB253_39:
	v_mov_b32_e32 v28, 0
.LBB253_40:
	v_pk_max_f16 v29, v20, v20
	v_pk_max_f16 v30, v16, v16
	;; [unrolled: 1-line block ×4, first 2 shown]
	v_add_co_u32 v26, vcc_lo, v71, v26
	s_delay_alu instid0(VALU_DEP_4) | instskip(SKIP_1) | instid1(VALU_DEP_4)
	v_pk_min_f16 v29, v30, v29
	v_add_co_ci_u32_e32 v27, vcc_lo, v72, v27, vcc_lo
	v_pk_min_f16 v30, v32, v31
	s_delay_alu instid0(VALU_DEP_3) | instskip(NEXT) | instid1(VALU_DEP_1)
	v_pk_add_f16 v29, v70, v29
	v_pk_add_f16 v29, v29, v30
	s_delay_alu instid0(VALU_DEP_1) | instskip(NEXT) | instid1(VALU_DEP_1)
	v_lshrrev_b32_e32 v30, 16, v29
	v_add_f16_e32 v29, v29, v30
	s_delay_alu instid0(VALU_DEP_1)
	v_add_f16_e32 v28, v29, v28
	global_store_b16 v[26:27], v28, off
.LBB253_41:
	s_or_b32 exec_lo, exec_lo, s1
	v_add_nc_u32_e32 v26, 8, v24
	s_delay_alu instid0(VALU_DEP_1) | instskip(SKIP_1) | instid1(VALU_DEP_2)
	v_cmp_gt_i32_e64 s1, s16, v26
	v_ashrrev_i32_e32 v27, 31, v26
	s_and_b32 s3, s1, s8
	s_delay_alu instid0(SALU_CYCLE_1)
	s_and_saveexec_b32 s2, s3
	s_cbranch_execz .LBB253_46
; %bb.42:
	v_cmp_ne_u32_e32 vcc_lo, 1, v59
	v_lshlrev_b64 v[28:29], 1, v[26:27]
	s_cbranch_vccnz .LBB253_44
; %bb.43:
	s_delay_alu instid0(VALU_DEP_1) | instskip(NEXT) | instid1(VALU_DEP_2)
	v_add_co_u32 v30, vcc_lo, v73, v28
	v_add_co_ci_u32_e32 v31, vcc_lo, v74, v29, vcc_lo
	flat_load_u16 v30, v[30:31]
	s_waitcnt vmcnt(0) lgkmcnt(0)
	v_mul_f16_e32 v30, s19, v30
	s_branch .LBB253_45
.LBB253_44:
	v_mov_b32_e32 v30, 0
.LBB253_45:
	v_pk_max_f16 v31, v20, v20
	v_pk_max_f16 v32, v18, v18
	v_pk_max_f16 v33, v21, v21
	v_pk_max_f16 v34, v19, v19
	v_add_co_u32 v28, vcc_lo, v71, v28
	s_delay_alu instid0(VALU_DEP_4) | instskip(SKIP_1) | instid1(VALU_DEP_4)
	v_pk_min_f16 v31, v32, v31
	v_add_co_ci_u32_e32 v29, vcc_lo, v72, v29, vcc_lo
	v_pk_min_f16 v32, v34, v33
	s_delay_alu instid0(VALU_DEP_3) | instskip(NEXT) | instid1(VALU_DEP_1)
	v_pk_add_f16 v31, v69, v31
	v_pk_add_f16 v31, v31, v32
	s_delay_alu instid0(VALU_DEP_1) | instskip(NEXT) | instid1(VALU_DEP_1)
	v_lshrrev_b32_e32 v32, 16, v31
	v_add_f16_e32 v31, v31, v32
	s_delay_alu instid0(VALU_DEP_1)
	v_add_f16_e32 v30, v31, v30
	global_store_b16 v[28:29], v30, off
.LBB253_46:
	s_or_b32 exec_lo, exec_lo, s2
	v_add_nc_u32_e32 v28, 16, v24
	s_delay_alu instid0(VALU_DEP_1) | instskip(SKIP_1) | instid1(VALU_DEP_2)
	v_cmp_gt_i32_e64 s2, s16, v28
	v_ashrrev_i32_e32 v29, 31, v28
	s_and_b32 s4, s2, s8
	s_delay_alu instid0(SALU_CYCLE_1)
	s_and_saveexec_b32 s3, s4
	s_cbranch_execz .LBB253_51
; %bb.47:
	v_cmp_ne_u32_e32 vcc_lo, 1, v59
	v_lshlrev_b64 v[30:31], 1, v[28:29]
	s_cbranch_vccnz .LBB253_49
; %bb.48:
	s_delay_alu instid0(VALU_DEP_1) | instskip(NEXT) | instid1(VALU_DEP_2)
	v_add_co_u32 v32, vcc_lo, v73, v30
	v_add_co_ci_u32_e32 v33, vcc_lo, v74, v31, vcc_lo
	flat_load_u16 v32, v[32:33]
	s_waitcnt vmcnt(0) lgkmcnt(0)
	v_mul_f16_e32 v32, s19, v32
	s_branch .LBB253_50
.LBB253_49:
	v_mov_b32_e32 v32, 0
.LBB253_50:
	v_pk_max_f16 v33, v20, v20
	v_pk_max_f16 v34, v12, v12
	v_pk_max_f16 v35, v21, v21
	v_pk_max_f16 v36, v13, v13
	v_add_co_u32 v30, vcc_lo, v71, v30
	s_delay_alu instid0(VALU_DEP_4) | instskip(SKIP_1) | instid1(VALU_DEP_4)
	v_pk_min_f16 v33, v34, v33
	v_add_co_ci_u32_e32 v31, vcc_lo, v72, v31, vcc_lo
	v_pk_min_f16 v34, v36, v35
	s_delay_alu instid0(VALU_DEP_3) | instskip(NEXT) | instid1(VALU_DEP_1)
	v_pk_add_f16 v33, v41, v33
	v_pk_add_f16 v33, v33, v34
	s_delay_alu instid0(VALU_DEP_1) | instskip(NEXT) | instid1(VALU_DEP_1)
	v_lshrrev_b32_e32 v34, 16, v33
	v_add_f16_e32 v33, v33, v34
	s_delay_alu instid0(VALU_DEP_1)
	v_add_f16_e32 v32, v33, v32
	global_store_b16 v[30:31], v32, off
.LBB253_51:
	;; [unrolled: 43-line block ×6, first 2 shown]
	s_or_b32 exec_lo, exec_lo, s7
	v_add_nc_u32_e32 v38, 56, v24
	s_delay_alu instid0(VALU_DEP_1) | instskip(SKIP_1) | instid1(VALU_DEP_2)
	v_cmp_gt_i32_e64 s7, s16, v38
	v_ashrrev_i32_e32 v39, 31, v38
	s_and_b32 s15, s7, s8
	s_delay_alu instid0(SALU_CYCLE_1)
	s_and_saveexec_b32 s8, s15
	s_cbranch_execz .LBB253_76
; %bb.72:
	v_cmp_ne_u32_e32 vcc_lo, 1, v59
	v_lshlrev_b64 v[40:41], 1, v[38:39]
	s_cbranch_vccnz .LBB253_74
; %bb.73:
	s_delay_alu instid0(VALU_DEP_1) | instskip(NEXT) | instid1(VALU_DEP_2)
	v_add_co_u32 v69, vcc_lo, v73, v40
	v_add_co_ci_u32_e32 v70, vcc_lo, v74, v41, vcc_lo
	flat_load_u16 v69, v[69:70]
	s_waitcnt vmcnt(0) lgkmcnt(0)
	v_mul_f16_e32 v69, s19, v69
	s_branch .LBB253_75
.LBB253_74:
	v_mov_b32_e32 v69, 0
.LBB253_75:
	v_pk_max_f16 v20, v20, v20
	v_pk_max_f16 v70, v6, v6
	;; [unrolled: 1-line block ×4, first 2 shown]
	s_delay_alu instid0(VALU_DEP_3) | instskip(NEXT) | instid1(VALU_DEP_2)
	v_pk_min_f16 v20, v70, v20
	v_pk_min_f16 v21, v73, v21
	s_delay_alu instid0(VALU_DEP_2) | instskip(NEXT) | instid1(VALU_DEP_1)
	v_pk_add_f16 v20, v68, v20
	v_pk_add_f16 v20, v20, v21
	s_delay_alu instid0(VALU_DEP_1) | instskip(NEXT) | instid1(VALU_DEP_1)
	v_lshrrev_b32_e32 v21, 16, v20
	v_add_f16_e32 v20, v20, v21
	s_delay_alu instid0(VALU_DEP_1)
	v_add_f16_e32 v68, v20, v69
	v_add_co_u32 v20, vcc_lo, v71, v40
	v_add_co_ci_u32_e32 v21, vcc_lo, v72, v41, vcc_lo
	global_store_b16 v[20:21], v68, off
.LBB253_76:
	s_or_b32 exec_lo, exec_lo, s8
	v_add_nc_u32_e32 v68, 32, v65
	s_delay_alu instid0(VALU_DEP_1) | instskip(SKIP_2) | instid1(VALU_DEP_3)
	v_mad_i64_i32 v[20:21], null, v68, s12, 0
	v_mad_i64_i32 v[40:41], null, v68, s9, 0
	v_cmp_gt_i32_e64 s8, s17, v68
	v_lshlrev_b64 v[20:21], 1, v[20:21]
	s_delay_alu instid0(VALU_DEP_2) | instskip(NEXT) | instid1(VALU_DEP_3)
	s_and_b32 s16, s0, s8
	v_lshlrev_b64 v[40:41], 1, v[40:41]
	s_delay_alu instid0(VALU_DEP_2) | instskip(NEXT) | instid1(VALU_DEP_3)
	v_add_co_u32 v68, vcc_lo, s10, v20
	v_add_co_ci_u32_e32 v69, vcc_lo, s11, v21, vcc_lo
	s_delay_alu instid0(VALU_DEP_3) | instskip(NEXT) | instid1(VALU_DEP_4)
	v_add_co_u32 v40, vcc_lo, s13, v40
	v_add_co_ci_u32_e32 v41, vcc_lo, s14, v41, vcc_lo
	s_and_saveexec_b32 s15, s16
	s_cbranch_execnz .LBB253_84
; %bb.77:
	s_or_b32 exec_lo, exec_lo, s15
	s_and_b32 s16, s1, s8
	s_delay_alu instid0(SALU_CYCLE_1)
	s_and_saveexec_b32 s15, s16
	s_cbranch_execnz .LBB253_88
.LBB253_78:
	s_or_b32 exec_lo, exec_lo, s15
	s_and_b32 s16, s2, s8
	s_delay_alu instid0(SALU_CYCLE_1)
	s_and_saveexec_b32 s15, s16
	s_cbranch_execnz .LBB253_92
.LBB253_79:
	s_or_b32 exec_lo, exec_lo, s15
	s_and_b32 s16, s3, s8
	s_delay_alu instid0(SALU_CYCLE_1)
	s_and_saveexec_b32 s15, s16
	s_cbranch_execnz .LBB253_96
.LBB253_80:
	s_or_b32 exec_lo, exec_lo, s15
	s_and_b32 s16, s4, s8
	s_delay_alu instid0(SALU_CYCLE_1)
	s_and_saveexec_b32 s15, s16
	s_cbranch_execnz .LBB253_100
.LBB253_81:
	s_or_b32 exec_lo, exec_lo, s15
	s_and_b32 s16, s5, s8
	s_delay_alu instid0(SALU_CYCLE_1)
	s_and_saveexec_b32 s15, s16
	s_cbranch_execnz .LBB253_104
.LBB253_82:
	s_or_b32 exec_lo, exec_lo, s15
	s_and_b32 s16, s6, s8
	s_delay_alu instid0(SALU_CYCLE_1)
	s_and_saveexec_b32 s15, s16
	s_cbranch_execnz .LBB253_108
.LBB253_83:
	s_or_b32 exec_lo, exec_lo, s15
	s_and_b32 s15, s7, s8
	s_delay_alu instid0(SALU_CYCLE_1)
	s_and_saveexec_b32 s8, s15
	s_cbranch_execnz .LBB253_112
	s_branch .LBB253_116
.LBB253_84:
	v_cmp_ne_u32_e32 vcc_lo, 1, v59
	v_lshlrev_b64 v[20:21], 1, v[24:25]
	s_cbranch_vccnz .LBB253_86
; %bb.85:
	s_delay_alu instid0(VALU_DEP_1) | instskip(NEXT) | instid1(VALU_DEP_2)
	v_add_co_u32 v70, vcc_lo, v68, v20
	v_add_co_ci_u32_e32 v71, vcc_lo, v69, v21, vcc_lo
	flat_load_u16 v70, v[70:71]
	s_waitcnt vmcnt(0) lgkmcnt(0)
	v_mul_f16_e32 v70, s19, v70
	s_branch .LBB253_87
.LBB253_86:
	v_mov_b32_e32 v70, 0
.LBB253_87:
	v_pk_max_f16 v71, v22, v22
	v_pk_max_f16 v72, v16, v16
	;; [unrolled: 1-line block ×4, first 2 shown]
	v_add_co_u32 v20, vcc_lo, v40, v20
	s_delay_alu instid0(VALU_DEP_4) | instskip(SKIP_1) | instid1(VALU_DEP_4)
	v_pk_min_f16 v71, v72, v71
	v_add_co_ci_u32_e32 v21, vcc_lo, v41, v21, vcc_lo
	v_pk_min_f16 v72, v74, v73
	s_delay_alu instid0(VALU_DEP_3) | instskip(NEXT) | instid1(VALU_DEP_1)
	v_pk_add_f16 v67, v67, v71
	v_pk_add_f16 v67, v67, v72
	s_delay_alu instid0(VALU_DEP_1) | instskip(NEXT) | instid1(VALU_DEP_1)
	v_lshrrev_b32_e32 v71, 16, v67
	v_add_f16_e32 v67, v67, v71
	s_delay_alu instid0(VALU_DEP_1) | instskip(SKIP_3) | instid1(SALU_CYCLE_1)
	v_add_f16_e32 v67, v67, v70
	global_store_b16 v[20:21], v67, off
	s_or_b32 exec_lo, exec_lo, s15
	s_and_b32 s16, s1, s8
	s_and_saveexec_b32 s15, s16
	s_cbranch_execz .LBB253_78
.LBB253_88:
	v_cmp_ne_u32_e32 vcc_lo, 1, v59
	v_lshlrev_b64 v[20:21], 1, v[26:27]
	s_cbranch_vccnz .LBB253_90
; %bb.89:
	s_delay_alu instid0(VALU_DEP_1) | instskip(NEXT) | instid1(VALU_DEP_2)
	v_add_co_u32 v70, vcc_lo, v68, v20
	v_add_co_ci_u32_e32 v71, vcc_lo, v69, v21, vcc_lo
	flat_load_u16 v67, v[70:71]
	s_waitcnt vmcnt(0) lgkmcnt(0)
	v_mul_f16_e32 v67, s19, v67
	s_branch .LBB253_91
.LBB253_90:
	v_mov_b32_e32 v67, 0
.LBB253_91:
	v_pk_max_f16 v70, v22, v22
	v_pk_max_f16 v71, v18, v18
	;; [unrolled: 1-line block ×4, first 2 shown]
	v_add_co_u32 v20, vcc_lo, v40, v20
	s_delay_alu instid0(VALU_DEP_4) | instskip(SKIP_1) | instid1(VALU_DEP_4)
	v_pk_min_f16 v70, v71, v70
	v_add_co_ci_u32_e32 v21, vcc_lo, v41, v21, vcc_lo
	v_pk_min_f16 v71, v73, v72
	s_delay_alu instid0(VALU_DEP_3) | instskip(NEXT) | instid1(VALU_DEP_1)
	v_pk_add_f16 v66, v66, v70
	v_pk_add_f16 v66, v66, v71
	s_delay_alu instid0(VALU_DEP_1) | instskip(NEXT) | instid1(VALU_DEP_1)
	v_lshrrev_b32_e32 v70, 16, v66
	v_add_f16_e32 v66, v66, v70
	s_delay_alu instid0(VALU_DEP_1) | instskip(SKIP_3) | instid1(SALU_CYCLE_1)
	v_add_f16_e32 v66, v66, v67
	global_store_b16 v[20:21], v66, off
	s_or_b32 exec_lo, exec_lo, s15
	s_and_b32 s16, s2, s8
	s_and_saveexec_b32 s15, s16
	s_cbranch_execz .LBB253_79
.LBB253_92:
	v_cmp_ne_u32_e32 vcc_lo, 1, v59
	v_lshlrev_b64 v[20:21], 1, v[28:29]
	s_cbranch_vccnz .LBB253_94
; %bb.93:
	s_delay_alu instid0(VALU_DEP_1) | instskip(NEXT) | instid1(VALU_DEP_2)
	v_add_co_u32 v66, vcc_lo, v68, v20
	v_add_co_ci_u32_e32 v67, vcc_lo, v69, v21, vcc_lo
	flat_load_u16 v66, v[66:67]
	s_waitcnt vmcnt(0) lgkmcnt(0)
	v_mul_f16_e32 v66, s19, v66
	s_branch .LBB253_95
.LBB253_94:
	v_mov_b32_e32 v66, 0
.LBB253_95:
	v_pk_max_f16 v67, v22, v22
	v_pk_max_f16 v70, v12, v12
	;; [unrolled: 1-line block ×4, first 2 shown]
	v_add_co_u32 v20, vcc_lo, v40, v20
	s_delay_alu instid0(VALU_DEP_4) | instskip(SKIP_1) | instid1(VALU_DEP_4)
	v_pk_min_f16 v67, v70, v67
	v_add_co_ci_u32_e32 v21, vcc_lo, v41, v21, vcc_lo
	v_pk_min_f16 v70, v72, v71
	s_delay_alu instid0(VALU_DEP_3) | instskip(NEXT) | instid1(VALU_DEP_1)
	v_pk_add_f16 v64, v64, v67
	v_pk_add_f16 v64, v64, v70
	s_delay_alu instid0(VALU_DEP_1) | instskip(NEXT) | instid1(VALU_DEP_1)
	v_lshrrev_b32_e32 v67, 16, v64
	v_add_f16_e32 v64, v64, v67
	s_delay_alu instid0(VALU_DEP_1) | instskip(SKIP_3) | instid1(SALU_CYCLE_1)
	v_add_f16_e32 v64, v64, v66
	global_store_b16 v[20:21], v64, off
	s_or_b32 exec_lo, exec_lo, s15
	s_and_b32 s16, s3, s8
	s_and_saveexec_b32 s15, s16
	s_cbranch_execz .LBB253_80
.LBB253_96:
	v_cmp_ne_u32_e32 vcc_lo, 1, v59
	v_lshlrev_b64 v[20:21], 1, v[30:31]
	s_cbranch_vccnz .LBB253_98
; %bb.97:
	s_delay_alu instid0(VALU_DEP_1) | instskip(NEXT) | instid1(VALU_DEP_2)
	v_add_co_u32 v66, vcc_lo, v68, v20
	v_add_co_ci_u32_e32 v67, vcc_lo, v69, v21, vcc_lo
	flat_load_u16 v64, v[66:67]
	s_waitcnt vmcnt(0) lgkmcnt(0)
	v_mul_f16_e32 v64, s19, v64
	s_branch .LBB253_99
.LBB253_98:
	v_mov_b32_e32 v64, 0
.LBB253_99:
	v_pk_max_f16 v66, v22, v22
	v_pk_max_f16 v67, v14, v14
	;; [unrolled: 1-line block ×4, first 2 shown]
	v_add_co_u32 v20, vcc_lo, v40, v20
	s_delay_alu instid0(VALU_DEP_4) | instskip(SKIP_1) | instid1(VALU_DEP_4)
	v_pk_min_f16 v66, v67, v66
	v_add_co_ci_u32_e32 v21, vcc_lo, v41, v21, vcc_lo
	v_pk_min_f16 v67, v71, v70
	s_delay_alu instid0(VALU_DEP_3) | instskip(NEXT) | instid1(VALU_DEP_1)
	v_pk_add_f16 v63, v63, v66
	v_pk_add_f16 v63, v63, v67
	s_delay_alu instid0(VALU_DEP_1) | instskip(NEXT) | instid1(VALU_DEP_1)
	v_lshrrev_b32_e32 v66, 16, v63
	v_add_f16_e32 v63, v63, v66
	s_delay_alu instid0(VALU_DEP_1) | instskip(SKIP_3) | instid1(SALU_CYCLE_1)
	v_add_f16_e32 v63, v63, v64
	global_store_b16 v[20:21], v63, off
	s_or_b32 exec_lo, exec_lo, s15
	s_and_b32 s16, s4, s8
	s_and_saveexec_b32 s15, s16
	s_cbranch_execz .LBB253_81
.LBB253_100:
	v_cmp_ne_u32_e32 vcc_lo, 1, v59
	v_lshlrev_b64 v[20:21], 1, v[32:33]
	s_cbranch_vccnz .LBB253_102
; %bb.101:
	s_delay_alu instid0(VALU_DEP_1) | instskip(NEXT) | instid1(VALU_DEP_2)
	v_add_co_u32 v63, vcc_lo, v68, v20
	v_add_co_ci_u32_e32 v64, vcc_lo, v69, v21, vcc_lo
	flat_load_u16 v63, v[63:64]
	s_waitcnt vmcnt(0) lgkmcnt(0)
	v_mul_f16_e32 v63, s19, v63
	s_branch .LBB253_103
.LBB253_102:
	v_mov_b32_e32 v63, 0
.LBB253_103:
	v_pk_max_f16 v64, v22, v22
	v_pk_max_f16 v66, v8, v8
	;; [unrolled: 1-line block ×4, first 2 shown]
	v_add_co_u32 v20, vcc_lo, v40, v20
	s_delay_alu instid0(VALU_DEP_4) | instskip(SKIP_1) | instid1(VALU_DEP_4)
	v_pk_min_f16 v64, v66, v64
	v_add_co_ci_u32_e32 v21, vcc_lo, v41, v21, vcc_lo
	v_pk_min_f16 v66, v70, v67
	s_delay_alu instid0(VALU_DEP_3) | instskip(NEXT) | instid1(VALU_DEP_1)
	v_pk_add_f16 v62, v62, v64
	v_pk_add_f16 v62, v62, v66
	s_delay_alu instid0(VALU_DEP_1) | instskip(NEXT) | instid1(VALU_DEP_1)
	v_lshrrev_b32_e32 v64, 16, v62
	v_add_f16_e32 v62, v62, v64
	s_delay_alu instid0(VALU_DEP_1) | instskip(SKIP_3) | instid1(SALU_CYCLE_1)
	v_add_f16_e32 v62, v62, v63
	global_store_b16 v[20:21], v62, off
	s_or_b32 exec_lo, exec_lo, s15
	s_and_b32 s16, s5, s8
	s_and_saveexec_b32 s15, s16
	s_cbranch_execz .LBB253_82
.LBB253_104:
	v_cmp_ne_u32_e32 vcc_lo, 1, v59
	v_lshlrev_b64 v[20:21], 1, v[34:35]
	s_cbranch_vccnz .LBB253_106
; %bb.105:
	s_delay_alu instid0(VALU_DEP_1) | instskip(NEXT) | instid1(VALU_DEP_2)
	v_add_co_u32 v62, vcc_lo, v68, v20
	v_add_co_ci_u32_e32 v63, vcc_lo, v69, v21, vcc_lo
	flat_load_u16 v62, v[62:63]
	s_waitcnt vmcnt(0) lgkmcnt(0)
	v_mul_f16_e32 v62, s19, v62
	s_branch .LBB253_107
.LBB253_106:
	v_mov_b32_e32 v62, 0
.LBB253_107:
	v_pk_max_f16 v63, v22, v22
	v_pk_max_f16 v64, v10, v10
	;; [unrolled: 1-line block ×4, first 2 shown]
	v_add_co_u32 v20, vcc_lo, v40, v20
	s_delay_alu instid0(VALU_DEP_4) | instskip(SKIP_1) | instid1(VALU_DEP_4)
	v_pk_min_f16 v63, v64, v63
	v_add_co_ci_u32_e32 v21, vcc_lo, v41, v21, vcc_lo
	v_pk_min_f16 v64, v67, v66
	s_delay_alu instid0(VALU_DEP_3) | instskip(NEXT) | instid1(VALU_DEP_1)
	v_pk_add_f16 v61, v61, v63
	v_pk_add_f16 v61, v61, v64
	s_delay_alu instid0(VALU_DEP_1) | instskip(NEXT) | instid1(VALU_DEP_1)
	v_lshrrev_b32_e32 v63, 16, v61
	v_add_f16_e32 v61, v61, v63
	s_delay_alu instid0(VALU_DEP_1) | instskip(SKIP_3) | instid1(SALU_CYCLE_1)
	v_add_f16_e32 v61, v61, v62
	global_store_b16 v[20:21], v61, off
	s_or_b32 exec_lo, exec_lo, s15
	s_and_b32 s16, s6, s8
	s_and_saveexec_b32 s15, s16
	s_cbranch_execz .LBB253_83
.LBB253_108:
	v_cmp_ne_u32_e32 vcc_lo, 1, v59
	v_lshlrev_b64 v[20:21], 1, v[36:37]
	s_cbranch_vccnz .LBB253_110
; %bb.109:
	s_delay_alu instid0(VALU_DEP_1) | instskip(NEXT) | instid1(VALU_DEP_2)
	v_add_co_u32 v61, vcc_lo, v68, v20
	v_add_co_ci_u32_e32 v62, vcc_lo, v69, v21, vcc_lo
	flat_load_u16 v61, v[61:62]
	s_waitcnt vmcnt(0) lgkmcnt(0)
	v_mul_f16_e32 v61, s19, v61
	s_branch .LBB253_111
.LBB253_110:
	v_mov_b32_e32 v61, 0
.LBB253_111:
	v_pk_max_f16 v62, v22, v22
	v_pk_max_f16 v63, v4, v4
	;; [unrolled: 1-line block ×4, first 2 shown]
	v_add_co_u32 v20, vcc_lo, v40, v20
	s_delay_alu instid0(VALU_DEP_4) | instskip(SKIP_1) | instid1(VALU_DEP_4)
	v_pk_min_f16 v62, v63, v62
	v_add_co_ci_u32_e32 v21, vcc_lo, v41, v21, vcc_lo
	v_pk_min_f16 v63, v66, v64
	s_delay_alu instid0(VALU_DEP_3) | instskip(NEXT) | instid1(VALU_DEP_1)
	v_pk_add_f16 v60, v60, v62
	v_pk_add_f16 v60, v60, v63
	s_delay_alu instid0(VALU_DEP_1) | instskip(NEXT) | instid1(VALU_DEP_1)
	v_lshrrev_b32_e32 v62, 16, v60
	v_add_f16_e32 v60, v60, v62
	s_delay_alu instid0(VALU_DEP_1) | instskip(SKIP_3) | instid1(SALU_CYCLE_1)
	v_add_f16_e32 v60, v60, v61
	global_store_b16 v[20:21], v60, off
	s_or_b32 exec_lo, exec_lo, s15
	s_and_b32 s15, s7, s8
	s_and_saveexec_b32 s8, s15
	s_cbranch_execz .LBB253_116
.LBB253_112:
	v_cmp_ne_u32_e32 vcc_lo, 1, v59
	v_lshlrev_b64 v[20:21], 1, v[38:39]
	s_cbranch_vccnz .LBB253_114
; %bb.113:
	s_delay_alu instid0(VALU_DEP_1) | instskip(NEXT) | instid1(VALU_DEP_2)
	v_add_co_u32 v60, vcc_lo, v68, v20
	v_add_co_ci_u32_e32 v61, vcc_lo, v69, v21, vcc_lo
	flat_load_u16 v60, v[60:61]
	s_waitcnt vmcnt(0) lgkmcnt(0)
	v_mul_f16_e32 v60, s19, v60
	s_branch .LBB253_115
.LBB253_114:
	v_mov_b32_e32 v60, 0
.LBB253_115:
	v_pk_max_f16 v22, v22, v22
	v_pk_max_f16 v61, v6, v6
	;; [unrolled: 1-line block ×4, first 2 shown]
	v_add_co_u32 v20, vcc_lo, v40, v20
	s_delay_alu instid0(VALU_DEP_4) | instskip(SKIP_1) | instid1(VALU_DEP_4)
	v_pk_min_f16 v22, v61, v22
	v_add_co_ci_u32_e32 v21, vcc_lo, v41, v21, vcc_lo
	v_pk_min_f16 v23, v62, v23
	s_delay_alu instid0(VALU_DEP_3) | instskip(NEXT) | instid1(VALU_DEP_1)
	v_pk_add_f16 v22, v58, v22
	v_pk_add_f16 v22, v22, v23
	s_delay_alu instid0(VALU_DEP_1) | instskip(NEXT) | instid1(VALU_DEP_1)
	v_lshrrev_b32_e32 v23, 16, v22
	v_add_f16_e32 v22, v22, v23
	s_delay_alu instid0(VALU_DEP_1)
	v_add_f16_e32 v22, v22, v60
	global_store_b16 v[20:21], v22, off
.LBB253_116:
	s_or_b32 exec_lo, exec_lo, s8
	v_add_nc_u32_e32 v40, 64, v65
	s_delay_alu instid0(VALU_DEP_1) | instskip(SKIP_2) | instid1(VALU_DEP_3)
	v_mad_i64_i32 v[20:21], null, v40, s12, 0
	v_mad_i64_i32 v[22:23], null, v40, s9, 0
	v_cmp_gt_i32_e64 s8, s17, v40
	v_lshlrev_b64 v[20:21], 1, v[20:21]
	s_delay_alu instid0(VALU_DEP_2) | instskip(NEXT) | instid1(VALU_DEP_3)
	s_and_b32 s16, s0, s8
	v_lshlrev_b64 v[22:23], 1, v[22:23]
	s_delay_alu instid0(VALU_DEP_2) | instskip(NEXT) | instid1(VALU_DEP_3)
	v_add_co_u32 v40, vcc_lo, s10, v20
	v_add_co_ci_u32_e32 v41, vcc_lo, s11, v21, vcc_lo
	s_delay_alu instid0(VALU_DEP_3) | instskip(NEXT) | instid1(VALU_DEP_4)
	v_add_co_u32 v22, vcc_lo, s13, v22
	v_add_co_ci_u32_e32 v23, vcc_lo, s14, v23, vcc_lo
	s_and_saveexec_b32 s15, s16
	s_cbranch_execnz .LBB253_124
; %bb.117:
	s_or_b32 exec_lo, exec_lo, s15
	s_and_b32 s16, s1, s8
	s_delay_alu instid0(SALU_CYCLE_1)
	s_and_saveexec_b32 s15, s16
	s_cbranch_execnz .LBB253_128
.LBB253_118:
	s_or_b32 exec_lo, exec_lo, s15
	s_and_b32 s16, s2, s8
	s_delay_alu instid0(SALU_CYCLE_1)
	s_and_saveexec_b32 s15, s16
	s_cbranch_execnz .LBB253_132
.LBB253_119:
	s_or_b32 exec_lo, exec_lo, s15
	s_and_b32 s16, s3, s8
	s_delay_alu instid0(SALU_CYCLE_1)
	s_and_saveexec_b32 s15, s16
	s_cbranch_execnz .LBB253_136
.LBB253_120:
	s_or_b32 exec_lo, exec_lo, s15
	s_and_b32 s16, s4, s8
	s_delay_alu instid0(SALU_CYCLE_1)
	s_and_saveexec_b32 s15, s16
	s_cbranch_execnz .LBB253_140
.LBB253_121:
	s_or_b32 exec_lo, exec_lo, s15
	s_and_b32 s16, s5, s8
	s_delay_alu instid0(SALU_CYCLE_1)
	s_and_saveexec_b32 s15, s16
	s_cbranch_execnz .LBB253_144
.LBB253_122:
	s_or_b32 exec_lo, exec_lo, s15
	s_and_b32 s16, s6, s8
	s_delay_alu instid0(SALU_CYCLE_1)
	s_and_saveexec_b32 s15, s16
	s_cbranch_execnz .LBB253_148
.LBB253_123:
	s_or_b32 exec_lo, exec_lo, s15
	s_and_b32 s15, s7, s8
	s_delay_alu instid0(SALU_CYCLE_1)
	s_and_saveexec_b32 s8, s15
	s_cbranch_execnz .LBB253_152
	s_branch .LBB253_156
.LBB253_124:
	v_cmp_ne_u32_e32 vcc_lo, 1, v59
	v_lshlrev_b64 v[20:21], 1, v[24:25]
	s_cbranch_vccnz .LBB253_126
; %bb.125:
	s_delay_alu instid0(VALU_DEP_1) | instskip(NEXT) | instid1(VALU_DEP_2)
	v_add_co_u32 v60, vcc_lo, v40, v20
	v_add_co_ci_u32_e32 v61, vcc_lo, v41, v21, vcc_lo
	flat_load_u16 v58, v[60:61]
	s_waitcnt vmcnt(0) lgkmcnt(0)
	v_mul_f16_e32 v58, s19, v58
	s_branch .LBB253_127
.LBB253_126:
	v_mov_b32_e32 v58, 0
.LBB253_127:
	v_pk_max_f16 v60, v0, v0
	v_pk_max_f16 v61, v16, v16
	;; [unrolled: 1-line block ×4, first 2 shown]
	v_add_co_u32 v20, vcc_lo, v22, v20
	s_delay_alu instid0(VALU_DEP_4) | instskip(SKIP_1) | instid1(VALU_DEP_4)
	v_pk_min_f16 v60, v61, v60
	v_add_co_ci_u32_e32 v21, vcc_lo, v23, v21, vcc_lo
	v_pk_min_f16 v61, v63, v62
	s_delay_alu instid0(VALU_DEP_3) | instskip(NEXT) | instid1(VALU_DEP_1)
	v_pk_add_f16 v57, v57, v60
	v_pk_add_f16 v57, v57, v61
	s_delay_alu instid0(VALU_DEP_1) | instskip(NEXT) | instid1(VALU_DEP_1)
	v_lshrrev_b32_e32 v60, 16, v57
	v_add_f16_e32 v57, v57, v60
	s_delay_alu instid0(VALU_DEP_1) | instskip(SKIP_3) | instid1(SALU_CYCLE_1)
	v_add_f16_e32 v57, v57, v58
	global_store_b16 v[20:21], v57, off
	s_or_b32 exec_lo, exec_lo, s15
	s_and_b32 s16, s1, s8
	s_and_saveexec_b32 s15, s16
	s_cbranch_execz .LBB253_118
.LBB253_128:
	v_cmp_ne_u32_e32 vcc_lo, 1, v59
	v_lshlrev_b64 v[20:21], 1, v[26:27]
	s_cbranch_vccnz .LBB253_130
; %bb.129:
	s_delay_alu instid0(VALU_DEP_1) | instskip(NEXT) | instid1(VALU_DEP_2)
	v_add_co_u32 v57, vcc_lo, v40, v20
	v_add_co_ci_u32_e32 v58, vcc_lo, v41, v21, vcc_lo
	flat_load_u16 v57, v[57:58]
	s_waitcnt vmcnt(0) lgkmcnt(0)
	v_mul_f16_e32 v57, s19, v57
	s_branch .LBB253_131
.LBB253_130:
	v_mov_b32_e32 v57, 0
.LBB253_131:
	v_pk_max_f16 v58, v0, v0
	v_pk_max_f16 v60, v18, v18
	;; [unrolled: 1-line block ×4, first 2 shown]
	v_add_co_u32 v20, vcc_lo, v22, v20
	s_delay_alu instid0(VALU_DEP_4) | instskip(SKIP_1) | instid1(VALU_DEP_4)
	v_pk_min_f16 v58, v60, v58
	v_add_co_ci_u32_e32 v21, vcc_lo, v23, v21, vcc_lo
	v_pk_min_f16 v60, v62, v61
	s_delay_alu instid0(VALU_DEP_3) | instskip(NEXT) | instid1(VALU_DEP_1)
	v_pk_add_f16 v56, v56, v58
	v_pk_add_f16 v56, v56, v60
	s_delay_alu instid0(VALU_DEP_1) | instskip(NEXT) | instid1(VALU_DEP_1)
	v_lshrrev_b32_e32 v58, 16, v56
	v_add_f16_e32 v56, v56, v58
	s_delay_alu instid0(VALU_DEP_1) | instskip(SKIP_3) | instid1(SALU_CYCLE_1)
	v_add_f16_e32 v56, v56, v57
	global_store_b16 v[20:21], v56, off
	s_or_b32 exec_lo, exec_lo, s15
	s_and_b32 s16, s2, s8
	s_and_saveexec_b32 s15, s16
	s_cbranch_execz .LBB253_119
.LBB253_132:
	v_cmp_ne_u32_e32 vcc_lo, 1, v59
	v_lshlrev_b64 v[20:21], 1, v[28:29]
	s_cbranch_vccnz .LBB253_134
; %bb.133:
	s_delay_alu instid0(VALU_DEP_1) | instskip(NEXT) | instid1(VALU_DEP_2)
	v_add_co_u32 v56, vcc_lo, v40, v20
	v_add_co_ci_u32_e32 v57, vcc_lo, v41, v21, vcc_lo
	flat_load_u16 v56, v[56:57]
	s_waitcnt vmcnt(0) lgkmcnt(0)
	v_mul_f16_e32 v56, s19, v56
	s_branch .LBB253_135
.LBB253_134:
	v_mov_b32_e32 v56, 0
.LBB253_135:
	v_pk_max_f16 v57, v0, v0
	v_pk_max_f16 v58, v12, v12
	v_pk_max_f16 v60, v1, v1
	v_pk_max_f16 v61, v13, v13
	v_add_co_u32 v20, vcc_lo, v22, v20
	s_delay_alu instid0(VALU_DEP_4) | instskip(SKIP_1) | instid1(VALU_DEP_4)
	v_pk_min_f16 v57, v58, v57
	v_add_co_ci_u32_e32 v21, vcc_lo, v23, v21, vcc_lo
	v_pk_min_f16 v58, v61, v60
	s_delay_alu instid0(VALU_DEP_3) | instskip(NEXT) | instid1(VALU_DEP_1)
	v_pk_add_f16 v55, v55, v57
	v_pk_add_f16 v55, v55, v58
	s_delay_alu instid0(VALU_DEP_1) | instskip(NEXT) | instid1(VALU_DEP_1)
	v_lshrrev_b32_e32 v57, 16, v55
	v_add_f16_e32 v55, v55, v57
	s_delay_alu instid0(VALU_DEP_1) | instskip(SKIP_3) | instid1(SALU_CYCLE_1)
	v_add_f16_e32 v55, v55, v56
	global_store_b16 v[20:21], v55, off
	s_or_b32 exec_lo, exec_lo, s15
	s_and_b32 s16, s3, s8
	s_and_saveexec_b32 s15, s16
	s_cbranch_execz .LBB253_120
.LBB253_136:
	v_cmp_ne_u32_e32 vcc_lo, 1, v59
	v_lshlrev_b64 v[20:21], 1, v[30:31]
	s_cbranch_vccnz .LBB253_138
; %bb.137:
	s_delay_alu instid0(VALU_DEP_1) | instskip(NEXT) | instid1(VALU_DEP_2)
	v_add_co_u32 v55, vcc_lo, v40, v20
	v_add_co_ci_u32_e32 v56, vcc_lo, v41, v21, vcc_lo
	flat_load_u16 v55, v[55:56]
	s_waitcnt vmcnt(0) lgkmcnt(0)
	v_mul_f16_e32 v55, s19, v55
	s_branch .LBB253_139
.LBB253_138:
	v_mov_b32_e32 v55, 0
.LBB253_139:
	v_pk_max_f16 v56, v0, v0
	v_pk_max_f16 v57, v14, v14
	;; [unrolled: 1-line block ×4, first 2 shown]
	v_add_co_u32 v20, vcc_lo, v22, v20
	s_delay_alu instid0(VALU_DEP_4) | instskip(SKIP_1) | instid1(VALU_DEP_4)
	v_pk_min_f16 v56, v57, v56
	v_add_co_ci_u32_e32 v21, vcc_lo, v23, v21, vcc_lo
	v_pk_min_f16 v57, v60, v58
	s_delay_alu instid0(VALU_DEP_3) | instskip(NEXT) | instid1(VALU_DEP_1)
	v_pk_add_f16 v54, v54, v56
	v_pk_add_f16 v54, v54, v57
	s_delay_alu instid0(VALU_DEP_1) | instskip(NEXT) | instid1(VALU_DEP_1)
	v_lshrrev_b32_e32 v56, 16, v54
	v_add_f16_e32 v54, v54, v56
	s_delay_alu instid0(VALU_DEP_1) | instskip(SKIP_3) | instid1(SALU_CYCLE_1)
	v_add_f16_e32 v54, v54, v55
	global_store_b16 v[20:21], v54, off
	s_or_b32 exec_lo, exec_lo, s15
	s_and_b32 s16, s4, s8
	s_and_saveexec_b32 s15, s16
	s_cbranch_execz .LBB253_121
.LBB253_140:
	v_cmp_ne_u32_e32 vcc_lo, 1, v59
	v_lshlrev_b64 v[20:21], 1, v[32:33]
	s_cbranch_vccnz .LBB253_142
; %bb.141:
	s_delay_alu instid0(VALU_DEP_1) | instskip(NEXT) | instid1(VALU_DEP_2)
	v_add_co_u32 v54, vcc_lo, v40, v20
	v_add_co_ci_u32_e32 v55, vcc_lo, v41, v21, vcc_lo
	flat_load_u16 v54, v[54:55]
	s_waitcnt vmcnt(0) lgkmcnt(0)
	v_mul_f16_e32 v54, s19, v54
	s_branch .LBB253_143
.LBB253_142:
	v_mov_b32_e32 v54, 0
.LBB253_143:
	v_pk_max_f16 v55, v0, v0
	v_pk_max_f16 v56, v8, v8
	;; [unrolled: 1-line block ×4, first 2 shown]
	v_add_co_u32 v20, vcc_lo, v22, v20
	s_delay_alu instid0(VALU_DEP_4) | instskip(SKIP_1) | instid1(VALU_DEP_4)
	v_pk_min_f16 v55, v56, v55
	v_add_co_ci_u32_e32 v21, vcc_lo, v23, v21, vcc_lo
	v_pk_min_f16 v56, v58, v57
	s_delay_alu instid0(VALU_DEP_3) | instskip(NEXT) | instid1(VALU_DEP_1)
	v_pk_add_f16 v53, v53, v55
	v_pk_add_f16 v53, v53, v56
	s_delay_alu instid0(VALU_DEP_1) | instskip(NEXT) | instid1(VALU_DEP_1)
	v_lshrrev_b32_e32 v55, 16, v53
	v_add_f16_e32 v53, v53, v55
	s_delay_alu instid0(VALU_DEP_1) | instskip(SKIP_3) | instid1(SALU_CYCLE_1)
	v_add_f16_e32 v53, v53, v54
	global_store_b16 v[20:21], v53, off
	s_or_b32 exec_lo, exec_lo, s15
	s_and_b32 s16, s5, s8
	s_and_saveexec_b32 s15, s16
	s_cbranch_execz .LBB253_122
.LBB253_144:
	v_cmp_ne_u32_e32 vcc_lo, 1, v59
	v_lshlrev_b64 v[20:21], 1, v[34:35]
	s_cbranch_vccnz .LBB253_146
; %bb.145:
	s_delay_alu instid0(VALU_DEP_1) | instskip(NEXT) | instid1(VALU_DEP_2)
	v_add_co_u32 v53, vcc_lo, v40, v20
	v_add_co_ci_u32_e32 v54, vcc_lo, v41, v21, vcc_lo
	flat_load_u16 v53, v[53:54]
	s_waitcnt vmcnt(0) lgkmcnt(0)
	v_mul_f16_e32 v53, s19, v53
	s_branch .LBB253_147
.LBB253_146:
	v_mov_b32_e32 v53, 0
.LBB253_147:
	v_pk_max_f16 v54, v0, v0
	v_pk_max_f16 v55, v10, v10
	;; [unrolled: 1-line block ×4, first 2 shown]
	v_add_co_u32 v20, vcc_lo, v22, v20
	s_delay_alu instid0(VALU_DEP_4) | instskip(SKIP_1) | instid1(VALU_DEP_4)
	v_pk_min_f16 v54, v55, v54
	v_add_co_ci_u32_e32 v21, vcc_lo, v23, v21, vcc_lo
	v_pk_min_f16 v55, v57, v56
	s_delay_alu instid0(VALU_DEP_3) | instskip(NEXT) | instid1(VALU_DEP_1)
	v_pk_add_f16 v52, v52, v54
	v_pk_add_f16 v52, v52, v55
	s_delay_alu instid0(VALU_DEP_1) | instskip(NEXT) | instid1(VALU_DEP_1)
	v_lshrrev_b32_e32 v54, 16, v52
	v_add_f16_e32 v52, v52, v54
	s_delay_alu instid0(VALU_DEP_1) | instskip(SKIP_3) | instid1(SALU_CYCLE_1)
	v_add_f16_e32 v52, v52, v53
	global_store_b16 v[20:21], v52, off
	s_or_b32 exec_lo, exec_lo, s15
	s_and_b32 s16, s6, s8
	s_and_saveexec_b32 s15, s16
	s_cbranch_execz .LBB253_123
.LBB253_148:
	v_cmp_ne_u32_e32 vcc_lo, 1, v59
	v_lshlrev_b64 v[20:21], 1, v[36:37]
	s_cbranch_vccnz .LBB253_150
; %bb.149:
	s_delay_alu instid0(VALU_DEP_1) | instskip(NEXT) | instid1(VALU_DEP_2)
	v_add_co_u32 v52, vcc_lo, v40, v20
	v_add_co_ci_u32_e32 v53, vcc_lo, v41, v21, vcc_lo
	flat_load_u16 v52, v[52:53]
	s_waitcnt vmcnt(0) lgkmcnt(0)
	v_mul_f16_e32 v52, s19, v52
	s_branch .LBB253_151
.LBB253_150:
	v_mov_b32_e32 v52, 0
.LBB253_151:
	v_pk_max_f16 v53, v0, v0
	v_pk_max_f16 v54, v4, v4
	;; [unrolled: 1-line block ×4, first 2 shown]
	v_add_co_u32 v20, vcc_lo, v22, v20
	s_delay_alu instid0(VALU_DEP_4) | instskip(SKIP_1) | instid1(VALU_DEP_4)
	v_pk_min_f16 v53, v54, v53
	v_add_co_ci_u32_e32 v21, vcc_lo, v23, v21, vcc_lo
	v_pk_min_f16 v54, v56, v55
	s_delay_alu instid0(VALU_DEP_3) | instskip(NEXT) | instid1(VALU_DEP_1)
	v_pk_add_f16 v51, v51, v53
	v_pk_add_f16 v51, v51, v54
	s_delay_alu instid0(VALU_DEP_1) | instskip(NEXT) | instid1(VALU_DEP_1)
	v_lshrrev_b32_e32 v53, 16, v51
	v_add_f16_e32 v51, v51, v53
	s_delay_alu instid0(VALU_DEP_1) | instskip(SKIP_3) | instid1(SALU_CYCLE_1)
	v_add_f16_e32 v51, v51, v52
	global_store_b16 v[20:21], v51, off
	s_or_b32 exec_lo, exec_lo, s15
	s_and_b32 s15, s7, s8
	s_and_saveexec_b32 s8, s15
	s_cbranch_execz .LBB253_156
.LBB253_152:
	v_cmp_ne_u32_e32 vcc_lo, 1, v59
	v_lshlrev_b64 v[20:21], 1, v[38:39]
	s_cbranch_vccnz .LBB253_154
; %bb.153:
	s_delay_alu instid0(VALU_DEP_1) | instskip(NEXT) | instid1(VALU_DEP_2)
	v_add_co_u32 v40, vcc_lo, v40, v20
	v_add_co_ci_u32_e32 v41, vcc_lo, v41, v21, vcc_lo
	flat_load_u16 v40, v[40:41]
	s_waitcnt vmcnt(0) lgkmcnt(0)
	v_mul_f16_e32 v40, s19, v40
	s_branch .LBB253_155
.LBB253_154:
	v_mov_b32_e32 v40, 0
.LBB253_155:
	v_pk_max_f16 v0, v0, v0
	v_pk_max_f16 v41, v6, v6
	;; [unrolled: 1-line block ×4, first 2 shown]
	s_delay_alu instid0(VALU_DEP_3) | instskip(NEXT) | instid1(VALU_DEP_2)
	v_pk_min_f16 v0, v41, v0
	v_pk_min_f16 v1, v51, v1
	s_delay_alu instid0(VALU_DEP_2) | instskip(NEXT) | instid1(VALU_DEP_1)
	v_pk_add_f16 v0, v50, v0
	v_pk_add_f16 v0, v0, v1
	s_delay_alu instid0(VALU_DEP_1) | instskip(NEXT) | instid1(VALU_DEP_1)
	v_lshrrev_b32_e32 v1, 16, v0
	v_add_f16_e32 v0, v0, v1
	s_delay_alu instid0(VALU_DEP_1)
	v_add_f16_e32 v40, v0, v40
	v_add_co_u32 v0, vcc_lo, v22, v20
	v_add_co_ci_u32_e32 v1, vcc_lo, v23, v21, vcc_lo
	global_store_b16 v[0:1], v40, off
.LBB253_156:
	s_or_b32 exec_lo, exec_lo, s8
	v_add_nc_u32_e32 v22, 0x60, v65
	s_delay_alu instid0(VALU_DEP_1) | instskip(SKIP_2) | instid1(VALU_DEP_3)
	v_mad_i64_i32 v[0:1], null, v22, s12, 0
	v_mad_i64_i32 v[20:21], null, v22, s9, 0
	v_cmp_gt_i32_e64 s8, s17, v22
	v_lshlrev_b64 v[0:1], 1, v[0:1]
	s_delay_alu instid0(VALU_DEP_2) | instskip(NEXT) | instid1(VALU_DEP_3)
	s_and_b32 s9, s0, s8
	v_lshlrev_b64 v[20:21], 1, v[20:21]
	s_delay_alu instid0(VALU_DEP_2) | instskip(NEXT) | instid1(VALU_DEP_3)
	v_add_co_u32 v22, vcc_lo, s10, v0
	v_add_co_ci_u32_e32 v23, vcc_lo, s11, v1, vcc_lo
	s_delay_alu instid0(VALU_DEP_3) | instskip(NEXT) | instid1(VALU_DEP_4)
	v_add_co_u32 v20, vcc_lo, s13, v20
	v_add_co_ci_u32_e32 v21, vcc_lo, s14, v21, vcc_lo
	s_and_saveexec_b32 s0, s9
	s_cbranch_execnz .LBB253_165
; %bb.157:
	s_or_b32 exec_lo, exec_lo, s0
	s_and_b32 s1, s1, s8
	s_delay_alu instid0(SALU_CYCLE_1)
	s_and_saveexec_b32 s0, s1
	s_cbranch_execnz .LBB253_169
.LBB253_158:
	s_or_b32 exec_lo, exec_lo, s0
	s_and_b32 s1, s2, s8
	s_delay_alu instid0(SALU_CYCLE_1)
	s_and_saveexec_b32 s0, s1
	s_cbranch_execnz .LBB253_173
.LBB253_159:
	s_or_b32 exec_lo, exec_lo, s0
	s_and_b32 s1, s3, s8
	s_delay_alu instid0(SALU_CYCLE_1)
	s_and_saveexec_b32 s0, s1
	s_cbranch_execnz .LBB253_177
.LBB253_160:
	s_or_b32 exec_lo, exec_lo, s0
	s_and_b32 s1, s4, s8
	s_delay_alu instid0(SALU_CYCLE_1)
	s_and_saveexec_b32 s0, s1
	s_cbranch_execnz .LBB253_181
.LBB253_161:
	s_or_b32 exec_lo, exec_lo, s0
	s_and_b32 s1, s5, s8
	s_delay_alu instid0(SALU_CYCLE_1)
	s_and_saveexec_b32 s0, s1
	s_cbranch_execnz .LBB253_185
.LBB253_162:
	s_or_b32 exec_lo, exec_lo, s0
	s_and_b32 s1, s6, s8
	s_delay_alu instid0(SALU_CYCLE_1)
	s_and_saveexec_b32 s0, s1
	s_cbranch_execnz .LBB253_189
.LBB253_163:
	s_or_b32 exec_lo, exec_lo, s0
	s_and_b32 s0, s7, s8
	s_delay_alu instid0(SALU_CYCLE_1)
	s_and_saveexec_b32 s1, s0
	s_cbranch_execnz .LBB253_193
.LBB253_164:
	s_nop 0
	s_sendmsg sendmsg(MSG_DEALLOC_VGPRS)
	s_endpgm
.LBB253_165:
	v_cmp_ne_u32_e32 vcc_lo, 1, v59
	v_lshlrev_b64 v[0:1], 1, v[24:25]
	s_cbranch_vccnz .LBB253_167
; %bb.166:
	s_delay_alu instid0(VALU_DEP_1) | instskip(NEXT) | instid1(VALU_DEP_2)
	v_add_co_u32 v24, vcc_lo, v22, v0
	v_add_co_ci_u32_e32 v25, vcc_lo, v23, v1, vcc_lo
	flat_load_u16 v24, v[24:25]
	s_waitcnt vmcnt(0) lgkmcnt(0)
	v_mul_f16_e32 v24, s19, v24
	s_branch .LBB253_168
.LBB253_167:
	v_mov_b32_e32 v24, 0
.LBB253_168:
	v_pk_max_f16 v25, v2, v2
	v_pk_max_f16 v16, v16, v16
	;; [unrolled: 1-line block ×4, first 2 shown]
	v_add_co_u32 v0, vcc_lo, v20, v0
	s_delay_alu instid0(VALU_DEP_4) | instskip(SKIP_1) | instid1(VALU_DEP_4)
	v_pk_min_f16 v16, v16, v25
	v_add_co_ci_u32_e32 v1, vcc_lo, v21, v1, vcc_lo
	v_pk_min_f16 v17, v17, v40
	s_delay_alu instid0(VALU_DEP_3) | instskip(NEXT) | instid1(VALU_DEP_1)
	v_pk_add_f16 v16, v49, v16
	v_pk_add_f16 v16, v16, v17
	s_delay_alu instid0(VALU_DEP_1) | instskip(NEXT) | instid1(VALU_DEP_1)
	v_lshrrev_b32_e32 v17, 16, v16
	v_add_f16_e32 v16, v16, v17
	s_delay_alu instid0(VALU_DEP_1) | instskip(SKIP_3) | instid1(SALU_CYCLE_1)
	v_add_f16_e32 v16, v16, v24
	global_store_b16 v[0:1], v16, off
	s_or_b32 exec_lo, exec_lo, s0
	s_and_b32 s1, s1, s8
	s_and_saveexec_b32 s0, s1
	s_cbranch_execz .LBB253_158
.LBB253_169:
	v_cmp_ne_u32_e32 vcc_lo, 1, v59
	v_lshlrev_b64 v[0:1], 1, v[26:27]
	s_cbranch_vccnz .LBB253_171
; %bb.170:
	s_delay_alu instid0(VALU_DEP_1) | instskip(NEXT) | instid1(VALU_DEP_2)
	v_add_co_u32 v16, vcc_lo, v22, v0
	v_add_co_ci_u32_e32 v17, vcc_lo, v23, v1, vcc_lo
	flat_load_u16 v16, v[16:17]
	s_waitcnt vmcnt(0) lgkmcnt(0)
	v_mul_f16_e32 v16, s19, v16
	s_branch .LBB253_172
.LBB253_171:
	v_mov_b32_e32 v16, 0
.LBB253_172:
	v_pk_max_f16 v17, v2, v2
	v_pk_max_f16 v18, v18, v18
	;; [unrolled: 1-line block ×4, first 2 shown]
	v_add_co_u32 v0, vcc_lo, v20, v0
	s_delay_alu instid0(VALU_DEP_4) | instskip(SKIP_1) | instid1(VALU_DEP_4)
	v_pk_min_f16 v17, v18, v17
	v_add_co_ci_u32_e32 v1, vcc_lo, v21, v1, vcc_lo
	v_pk_min_f16 v18, v19, v24
	s_delay_alu instid0(VALU_DEP_3) | instskip(NEXT) | instid1(VALU_DEP_1)
	v_pk_add_f16 v17, v48, v17
	v_pk_add_f16 v17, v17, v18
	s_delay_alu instid0(VALU_DEP_1) | instskip(NEXT) | instid1(VALU_DEP_1)
	v_lshrrev_b32_e32 v18, 16, v17
	v_add_f16_e32 v17, v17, v18
	s_delay_alu instid0(VALU_DEP_1) | instskip(SKIP_3) | instid1(SALU_CYCLE_1)
	v_add_f16_e32 v16, v17, v16
	global_store_b16 v[0:1], v16, off
	s_or_b32 exec_lo, exec_lo, s0
	s_and_b32 s1, s2, s8
	s_and_saveexec_b32 s0, s1
	s_cbranch_execz .LBB253_159
.LBB253_173:
	v_cmp_ne_u32_e32 vcc_lo, 1, v59
	v_lshlrev_b64 v[0:1], 1, v[28:29]
	s_cbranch_vccnz .LBB253_175
; %bb.174:
	s_delay_alu instid0(VALU_DEP_1) | instskip(NEXT) | instid1(VALU_DEP_2)
	v_add_co_u32 v16, vcc_lo, v22, v0
	v_add_co_ci_u32_e32 v17, vcc_lo, v23, v1, vcc_lo
	flat_load_u16 v16, v[16:17]
	s_waitcnt vmcnt(0) lgkmcnt(0)
	v_mul_f16_e32 v16, s19, v16
	s_branch .LBB253_176
.LBB253_175:
	v_mov_b32_e32 v16, 0
.LBB253_176:
	v_pk_max_f16 v17, v2, v2
	v_pk_max_f16 v12, v12, v12
	;; [unrolled: 1-line block ×4, first 2 shown]
	v_add_co_u32 v0, vcc_lo, v20, v0
	s_delay_alu instid0(VALU_DEP_4) | instskip(SKIP_1) | instid1(VALU_DEP_4)
	v_pk_min_f16 v12, v12, v17
	v_add_co_ci_u32_e32 v1, vcc_lo, v21, v1, vcc_lo
	v_pk_min_f16 v13, v13, v18
	s_delay_alu instid0(VALU_DEP_3) | instskip(NEXT) | instid1(VALU_DEP_1)
	v_pk_add_f16 v12, v47, v12
	v_pk_add_f16 v12, v12, v13
	s_delay_alu instid0(VALU_DEP_1) | instskip(NEXT) | instid1(VALU_DEP_1)
	v_lshrrev_b32_e32 v13, 16, v12
	v_add_f16_e32 v12, v12, v13
	s_delay_alu instid0(VALU_DEP_1) | instskip(SKIP_3) | instid1(SALU_CYCLE_1)
	v_add_f16_e32 v12, v12, v16
	global_store_b16 v[0:1], v12, off
	s_or_b32 exec_lo, exec_lo, s0
	s_and_b32 s1, s3, s8
	s_and_saveexec_b32 s0, s1
	s_cbranch_execz .LBB253_160
.LBB253_177:
	v_cmp_ne_u32_e32 vcc_lo, 1, v59
	v_lshlrev_b64 v[0:1], 1, v[30:31]
	s_cbranch_vccnz .LBB253_179
; %bb.178:
	s_delay_alu instid0(VALU_DEP_1) | instskip(NEXT) | instid1(VALU_DEP_2)
	v_add_co_u32 v12, vcc_lo, v22, v0
	v_add_co_ci_u32_e32 v13, vcc_lo, v23, v1, vcc_lo
	flat_load_u16 v12, v[12:13]
	s_waitcnt vmcnt(0) lgkmcnt(0)
	v_mul_f16_e32 v12, s19, v12
	s_branch .LBB253_180
.LBB253_179:
	v_mov_b32_e32 v12, 0
.LBB253_180:
	v_pk_max_f16 v13, v2, v2
	v_pk_max_f16 v14, v14, v14
	;; [unrolled: 1-line block ×4, first 2 shown]
	v_add_co_u32 v0, vcc_lo, v20, v0
	s_delay_alu instid0(VALU_DEP_4) | instskip(SKIP_1) | instid1(VALU_DEP_4)
	v_pk_min_f16 v13, v14, v13
	v_add_co_ci_u32_e32 v1, vcc_lo, v21, v1, vcc_lo
	v_pk_min_f16 v14, v15, v16
	s_delay_alu instid0(VALU_DEP_3) | instskip(NEXT) | instid1(VALU_DEP_1)
	v_pk_add_f16 v13, v46, v13
	v_pk_add_f16 v13, v13, v14
	s_delay_alu instid0(VALU_DEP_1) | instskip(NEXT) | instid1(VALU_DEP_1)
	v_lshrrev_b32_e32 v14, 16, v13
	v_add_f16_e32 v13, v13, v14
	s_delay_alu instid0(VALU_DEP_1) | instskip(SKIP_3) | instid1(SALU_CYCLE_1)
	v_add_f16_e32 v12, v13, v12
	global_store_b16 v[0:1], v12, off
	s_or_b32 exec_lo, exec_lo, s0
	s_and_b32 s1, s4, s8
	s_and_saveexec_b32 s0, s1
	s_cbranch_execz .LBB253_161
.LBB253_181:
	v_cmp_ne_u32_e32 vcc_lo, 1, v59
	v_lshlrev_b64 v[0:1], 1, v[32:33]
	s_cbranch_vccnz .LBB253_183
; %bb.182:
	s_delay_alu instid0(VALU_DEP_1) | instskip(NEXT) | instid1(VALU_DEP_2)
	v_add_co_u32 v12, vcc_lo, v22, v0
	v_add_co_ci_u32_e32 v13, vcc_lo, v23, v1, vcc_lo
	flat_load_u16 v12, v[12:13]
	s_waitcnt vmcnt(0) lgkmcnt(0)
	v_mul_f16_e32 v12, s19, v12
	s_branch .LBB253_184
.LBB253_183:
	v_mov_b32_e32 v12, 0
.LBB253_184:
	v_pk_max_f16 v13, v2, v2
	v_pk_max_f16 v8, v8, v8
	;; [unrolled: 1-line block ×4, first 2 shown]
	v_add_co_u32 v0, vcc_lo, v20, v0
	s_delay_alu instid0(VALU_DEP_4) | instskip(SKIP_1) | instid1(VALU_DEP_4)
	v_pk_min_f16 v8, v8, v13
	v_add_co_ci_u32_e32 v1, vcc_lo, v21, v1, vcc_lo
	v_pk_min_f16 v9, v9, v14
	s_delay_alu instid0(VALU_DEP_3) | instskip(NEXT) | instid1(VALU_DEP_1)
	v_pk_add_f16 v8, v45, v8
	v_pk_add_f16 v8, v8, v9
	s_delay_alu instid0(VALU_DEP_1) | instskip(NEXT) | instid1(VALU_DEP_1)
	v_lshrrev_b32_e32 v9, 16, v8
	v_add_f16_e32 v8, v8, v9
	s_delay_alu instid0(VALU_DEP_1) | instskip(SKIP_3) | instid1(SALU_CYCLE_1)
	v_add_f16_e32 v8, v8, v12
	global_store_b16 v[0:1], v8, off
	s_or_b32 exec_lo, exec_lo, s0
	s_and_b32 s1, s5, s8
	s_and_saveexec_b32 s0, s1
	s_cbranch_execz .LBB253_162
.LBB253_185:
	v_cmp_ne_u32_e32 vcc_lo, 1, v59
	v_lshlrev_b64 v[0:1], 1, v[34:35]
	s_cbranch_vccnz .LBB253_187
; %bb.186:
	s_delay_alu instid0(VALU_DEP_1) | instskip(NEXT) | instid1(VALU_DEP_2)
	v_add_co_u32 v8, vcc_lo, v22, v0
	v_add_co_ci_u32_e32 v9, vcc_lo, v23, v1, vcc_lo
	flat_load_u16 v8, v[8:9]
	s_waitcnt vmcnt(0) lgkmcnt(0)
	v_mul_f16_e32 v8, s19, v8
	s_branch .LBB253_188
.LBB253_187:
	v_mov_b32_e32 v8, 0
.LBB253_188:
	v_pk_max_f16 v9, v2, v2
	v_pk_max_f16 v10, v10, v10
	v_pk_max_f16 v12, v3, v3
	v_pk_max_f16 v11, v11, v11
	v_add_co_u32 v0, vcc_lo, v20, v0
	s_delay_alu instid0(VALU_DEP_4) | instskip(SKIP_1) | instid1(VALU_DEP_4)
	v_pk_min_f16 v9, v10, v9
	v_add_co_ci_u32_e32 v1, vcc_lo, v21, v1, vcc_lo
	v_pk_min_f16 v10, v11, v12
	s_delay_alu instid0(VALU_DEP_3) | instskip(NEXT) | instid1(VALU_DEP_1)
	v_pk_add_f16 v9, v44, v9
	v_pk_add_f16 v9, v9, v10
	s_delay_alu instid0(VALU_DEP_1) | instskip(NEXT) | instid1(VALU_DEP_1)
	v_lshrrev_b32_e32 v10, 16, v9
	v_add_f16_e32 v9, v9, v10
	s_delay_alu instid0(VALU_DEP_1) | instskip(SKIP_3) | instid1(SALU_CYCLE_1)
	v_add_f16_e32 v8, v9, v8
	global_store_b16 v[0:1], v8, off
	s_or_b32 exec_lo, exec_lo, s0
	s_and_b32 s1, s6, s8
	s_and_saveexec_b32 s0, s1
	s_cbranch_execz .LBB253_163
.LBB253_189:
	v_cmp_ne_u32_e32 vcc_lo, 1, v59
	v_lshlrev_b64 v[0:1], 1, v[36:37]
	s_cbranch_vccnz .LBB253_191
; %bb.190:
	s_delay_alu instid0(VALU_DEP_1) | instskip(NEXT) | instid1(VALU_DEP_2)
	v_add_co_u32 v8, vcc_lo, v22, v0
	v_add_co_ci_u32_e32 v9, vcc_lo, v23, v1, vcc_lo
	flat_load_u16 v8, v[8:9]
	s_waitcnt vmcnt(0) lgkmcnt(0)
	v_mul_f16_e32 v8, s19, v8
	s_branch .LBB253_192
.LBB253_191:
	v_mov_b32_e32 v8, 0
.LBB253_192:
	v_pk_max_f16 v9, v2, v2
	v_pk_max_f16 v4, v4, v4
	;; [unrolled: 1-line block ×4, first 2 shown]
	v_add_co_u32 v0, vcc_lo, v20, v0
	s_delay_alu instid0(VALU_DEP_4) | instskip(SKIP_1) | instid1(VALU_DEP_4)
	v_pk_min_f16 v4, v4, v9
	v_add_co_ci_u32_e32 v1, vcc_lo, v21, v1, vcc_lo
	v_pk_min_f16 v5, v5, v10
	s_delay_alu instid0(VALU_DEP_3) | instskip(NEXT) | instid1(VALU_DEP_1)
	v_pk_add_f16 v4, v43, v4
	v_pk_add_f16 v4, v4, v5
	s_delay_alu instid0(VALU_DEP_1) | instskip(NEXT) | instid1(VALU_DEP_1)
	v_lshrrev_b32_e32 v5, 16, v4
	v_add_f16_e32 v4, v4, v5
	s_delay_alu instid0(VALU_DEP_1) | instskip(SKIP_3) | instid1(SALU_CYCLE_1)
	v_add_f16_e32 v4, v4, v8
	global_store_b16 v[0:1], v4, off
	s_or_b32 exec_lo, exec_lo, s0
	s_and_b32 s0, s7, s8
	s_and_saveexec_b32 s1, s0
	s_cbranch_execz .LBB253_164
.LBB253_193:
	v_cmp_ne_u32_e32 vcc_lo, 1, v59
	v_lshlrev_b64 v[0:1], 1, v[38:39]
	s_cbranch_vccnz .LBB253_195
; %bb.194:
	s_delay_alu instid0(VALU_DEP_1) | instskip(NEXT) | instid1(VALU_DEP_2)
	v_add_co_u32 v4, vcc_lo, v22, v0
	v_add_co_ci_u32_e32 v5, vcc_lo, v23, v1, vcc_lo
	flat_load_u16 v4, v[4:5]
	s_waitcnt vmcnt(0) lgkmcnt(0)
	v_mul_f16_e32 v4, s19, v4
	s_branch .LBB253_196
.LBB253_195:
	v_mov_b32_e32 v4, 0
.LBB253_196:
	v_pk_max_f16 v2, v2, v2
	v_pk_max_f16 v5, v6, v6
	;; [unrolled: 1-line block ×4, first 2 shown]
	v_add_co_u32 v0, vcc_lo, v20, v0
	s_delay_alu instid0(VALU_DEP_4) | instskip(SKIP_1) | instid1(VALU_DEP_4)
	v_pk_min_f16 v2, v5, v2
	v_add_co_ci_u32_e32 v1, vcc_lo, v21, v1, vcc_lo
	v_pk_min_f16 v3, v6, v3
	s_delay_alu instid0(VALU_DEP_3) | instskip(NEXT) | instid1(VALU_DEP_1)
	v_pk_add_f16 v2, v42, v2
	v_pk_add_f16 v2, v2, v3
	s_delay_alu instid0(VALU_DEP_1) | instskip(NEXT) | instid1(VALU_DEP_1)
	v_lshrrev_b32_e32 v3, 16, v2
	v_add_f16_e32 v2, v2, v3
	s_delay_alu instid0(VALU_DEP_1)
	v_add_f16_e32 v2, v2, v4
	global_store_b16 v[0:1], v2, off
	s_nop 0
	s_sendmsg sendmsg(MSG_DEALLOC_VGPRS)
	s_endpgm
	.section	.rodata,"a",@progbits
	.p2align	6, 0x0
	.amdhsa_kernel _ZN12_GLOBAL__N_120geam_min_plus_kernelIDF16_Dv2_DF16_S1_Li8ELi32ELi64ELi128ELi4ELi4ELi64ELi64ELi4ELc84ELc84ELb1ELb1ELb0EDF16_KPKDF16_KPDF16_EEviiiT16_PT17_ilS9_ilS7_S9_ilPT18_ili26rocblas_geam_ex_operation_
		.amdhsa_group_segment_fixed_size 3072
		.amdhsa_private_segment_fixed_size 0
		.amdhsa_kernarg_size 128
		.amdhsa_user_sgpr_count 14
		.amdhsa_user_sgpr_dispatch_ptr 0
		.amdhsa_user_sgpr_queue_ptr 0
		.amdhsa_user_sgpr_kernarg_segment_ptr 1
		.amdhsa_user_sgpr_dispatch_id 0
		.amdhsa_user_sgpr_private_segment_size 0
		.amdhsa_wavefront_size32 1
		.amdhsa_uses_dynamic_stack 0
		.amdhsa_enable_private_segment 0
		.amdhsa_system_sgpr_workgroup_id_x 1
		.amdhsa_system_sgpr_workgroup_id_y 0
		.amdhsa_system_sgpr_workgroup_id_z 1
		.amdhsa_system_sgpr_workgroup_info 0
		.amdhsa_system_vgpr_workitem_id 1
		.amdhsa_next_free_vgpr 122
		.amdhsa_next_free_sgpr 25
		.amdhsa_reserve_vcc 1
		.amdhsa_float_round_mode_32 0
		.amdhsa_float_round_mode_16_64 0
		.amdhsa_float_denorm_mode_32 3
		.amdhsa_float_denorm_mode_16_64 3
		.amdhsa_dx10_clamp 1
		.amdhsa_ieee_mode 1
		.amdhsa_fp16_overflow 0
		.amdhsa_workgroup_processor_mode 1
		.amdhsa_memory_ordered 1
		.amdhsa_forward_progress 0
		.amdhsa_shared_vgpr_count 0
		.amdhsa_exception_fp_ieee_invalid_op 0
		.amdhsa_exception_fp_denorm_src 0
		.amdhsa_exception_fp_ieee_div_zero 0
		.amdhsa_exception_fp_ieee_overflow 0
		.amdhsa_exception_fp_ieee_underflow 0
		.amdhsa_exception_fp_ieee_inexact 0
		.amdhsa_exception_int_div_zero 0
	.end_amdhsa_kernel
	.section	.text._ZN12_GLOBAL__N_120geam_min_plus_kernelIDF16_Dv2_DF16_S1_Li8ELi32ELi64ELi128ELi4ELi4ELi64ELi64ELi4ELc84ELc84ELb1ELb1ELb0EDF16_KPKDF16_KPDF16_EEviiiT16_PT17_ilS9_ilS7_S9_ilPT18_ili26rocblas_geam_ex_operation_,"axG",@progbits,_ZN12_GLOBAL__N_120geam_min_plus_kernelIDF16_Dv2_DF16_S1_Li8ELi32ELi64ELi128ELi4ELi4ELi64ELi64ELi4ELc84ELc84ELb1ELb1ELb0EDF16_KPKDF16_KPDF16_EEviiiT16_PT17_ilS9_ilS7_S9_ilPT18_ili26rocblas_geam_ex_operation_,comdat
.Lfunc_end253:
	.size	_ZN12_GLOBAL__N_120geam_min_plus_kernelIDF16_Dv2_DF16_S1_Li8ELi32ELi64ELi128ELi4ELi4ELi64ELi64ELi4ELc84ELc84ELb1ELb1ELb0EDF16_KPKDF16_KPDF16_EEviiiT16_PT17_ilS9_ilS7_S9_ilPT18_ili26rocblas_geam_ex_operation_, .Lfunc_end253-_ZN12_GLOBAL__N_120geam_min_plus_kernelIDF16_Dv2_DF16_S1_Li8ELi32ELi64ELi128ELi4ELi4ELi64ELi64ELi4ELc84ELc84ELb1ELb1ELb0EDF16_KPKDF16_KPDF16_EEviiiT16_PT17_ilS9_ilS7_S9_ilPT18_ili26rocblas_geam_ex_operation_
                                        ; -- End function
	.section	.AMDGPU.csdata,"",@progbits
; Kernel info:
; codeLenInByte = 12776
; NumSgprs: 27
; NumVgprs: 122
; ScratchSize: 0
; MemoryBound: 0
; FloatMode: 240
; IeeeMode: 1
; LDSByteSize: 3072 bytes/workgroup (compile time only)
; SGPRBlocks: 3
; VGPRBlocks: 15
; NumSGPRsForWavesPerEU: 27
; NumVGPRsForWavesPerEU: 122
; Occupancy: 10
; WaveLimiterHint : 1
; COMPUTE_PGM_RSRC2:SCRATCH_EN: 0
; COMPUTE_PGM_RSRC2:USER_SGPR: 14
; COMPUTE_PGM_RSRC2:TRAP_HANDLER: 0
; COMPUTE_PGM_RSRC2:TGID_X_EN: 1
; COMPUTE_PGM_RSRC2:TGID_Y_EN: 0
; COMPUTE_PGM_RSRC2:TGID_Z_EN: 1
; COMPUTE_PGM_RSRC2:TIDIG_COMP_CNT: 1
	.section	.text._ZN12_GLOBAL__N_120geam_min_plus_kernelIDF16_Dv2_DF16_S1_Li8ELi32ELi64ELi128ELi4ELi4ELi64ELi64ELi4ELc84ELc84ELb0ELb1ELb0EDF16_KPKDF16_KPDF16_EEviiiT16_PT17_ilS9_ilS7_S9_ilPT18_ili26rocblas_geam_ex_operation_,"axG",@progbits,_ZN12_GLOBAL__N_120geam_min_plus_kernelIDF16_Dv2_DF16_S1_Li8ELi32ELi64ELi128ELi4ELi4ELi64ELi64ELi4ELc84ELc84ELb0ELb1ELb0EDF16_KPKDF16_KPDF16_EEviiiT16_PT17_ilS9_ilS7_S9_ilPT18_ili26rocblas_geam_ex_operation_,comdat
	.globl	_ZN12_GLOBAL__N_120geam_min_plus_kernelIDF16_Dv2_DF16_S1_Li8ELi32ELi64ELi128ELi4ELi4ELi64ELi64ELi4ELc84ELc84ELb0ELb1ELb0EDF16_KPKDF16_KPDF16_EEviiiT16_PT17_ilS9_ilS7_S9_ilPT18_ili26rocblas_geam_ex_operation_ ; -- Begin function _ZN12_GLOBAL__N_120geam_min_plus_kernelIDF16_Dv2_DF16_S1_Li8ELi32ELi64ELi128ELi4ELi4ELi64ELi64ELi4ELc84ELc84ELb0ELb1ELb0EDF16_KPKDF16_KPDF16_EEviiiT16_PT17_ilS9_ilS7_S9_ilPT18_ili26rocblas_geam_ex_operation_
	.p2align	8
	.type	_ZN12_GLOBAL__N_120geam_min_plus_kernelIDF16_Dv2_DF16_S1_Li8ELi32ELi64ELi128ELi4ELi4ELi64ELi64ELi4ELc84ELc84ELb0ELb1ELb0EDF16_KPKDF16_KPDF16_EEviiiT16_PT17_ilS9_ilS7_S9_ilPT18_ili26rocblas_geam_ex_operation_,@function
_ZN12_GLOBAL__N_120geam_min_plus_kernelIDF16_Dv2_DF16_S1_Li8ELi32ELi64ELi128ELi4ELi4ELi64ELi64ELi4ELc84ELc84ELb0ELb1ELb0EDF16_KPKDF16_KPDF16_EEviiiT16_PT17_ilS9_ilS7_S9_ilPT18_ili26rocblas_geam_ex_operation_: ; @_ZN12_GLOBAL__N_120geam_min_plus_kernelIDF16_Dv2_DF16_S1_Li8ELi32ELi64ELi128ELi4ELi4ELi64ELi64ELi4ELc84ELc84ELb0ELb1ELb0EDF16_KPKDF16_KPDF16_EEviiiT16_PT17_ilS9_ilS7_S9_ilPT18_ili26rocblas_geam_ex_operation_
; %bb.0:
	s_clause 0x1
	s_load_b128 s[16:19], s[0:1], 0x0
	s_load_b128 s[4:7], s[0:1], 0x20
	s_mov_b32 s2, s15
	s_mov_b32 s3, 0
	s_waitcnt lgkmcnt(0)
	v_cmp_eq_f16_e64 s8, s19, 0
	v_cmp_neq_f16_e64 s21, s19, 0
	s_delay_alu instid0(VALU_DEP_2)
	s_and_b32 vcc_lo, exec_lo, s8
	s_cbranch_vccnz .LBB254_3
; %bb.1:
	s_load_b64 s[10:11], s[0:1], 0x10
	s_lshl_b64 s[12:13], s[2:3], 3
	s_waitcnt lgkmcnt(0)
	s_add_u32 s10, s10, s12
	s_addc_u32 s11, s11, s13
	s_lshl_b64 s[4:5], s[4:5], 1
	s_load_b64 s[10:11], s[10:11], 0x0
	s_waitcnt lgkmcnt(0)
	s_add_u32 s12, s10, s4
	s_addc_u32 s13, s11, s5
	s_and_not1_b32 vcc_lo, exec_lo, s8
	s_cbranch_vccnz .LBB254_4
.LBB254_2:
	s_mov_b64 s[8:9], 0
	s_and_not1_b32 vcc_lo, exec_lo, s3
	s_cbranch_vccz .LBB254_5
	s_branch .LBB254_6
.LBB254_3:
	s_mov_b64 s[12:13], 0
	s_and_not1_b32 vcc_lo, exec_lo, s8
	s_cbranch_vccz .LBB254_2
.LBB254_4:
	s_mov_b32 s3, -1
                                        ; implicit-def: $sgpr8_sgpr9
.LBB254_5:
	s_mov_b32 s3, 0
	s_load_b64 s[8:9], s[0:1], 0x38
	s_lshl_b64 s[4:5], s[2:3], 3
	s_delay_alu instid0(SALU_CYCLE_1) | instskip(SKIP_4) | instid1(SALU_CYCLE_1)
	s_add_u32 s4, s6, s4
	s_addc_u32 s5, s7, s5
	s_load_b64 s[4:5], s[4:5], 0x0
	s_waitcnt lgkmcnt(0)
	s_lshl_b64 s[6:7], s[8:9], 1
	s_add_u32 s8, s4, s6
	s_addc_u32 s9, s5, s7
.LBB254_6:
	s_clause 0x1
	s_load_b32 s15, s[0:1], 0x40
	s_load_b128 s[4:7], s[0:1], 0x58
	s_waitcnt lgkmcnt(0)
	v_cmp_eq_f16_e64 s10, s15, 0
	v_cmp_neq_f16_e64 s20, s15, 0
	s_delay_alu instid0(VALU_DEP_2)
	s_and_b32 vcc_lo, exec_lo, s10
	s_cbranch_vccnz .LBB254_8
; %bb.7:
	s_load_b64 s[10:11], s[0:1], 0x48
	s_lshl_b64 s[22:23], s[2:3], 3
	s_waitcnt lgkmcnt(0)
	s_add_u32 s10, s10, s22
	s_addc_u32 s11, s11, s23
	s_lshl_b64 s[4:5], s[4:5], 1
	s_load_b64 s[10:11], s[10:11], 0x0
	s_waitcnt lgkmcnt(0)
	s_add_u32 s10, s10, s4
	s_addc_u32 s11, s11, s5
	s_branch .LBB254_9
.LBB254_8:
	s_mov_b64 s[10:11], 0
.LBB254_9:
	s_lshl_b64 s[2:3], s[2:3], 3
	v_dual_mov_b32 v9, 0 :: v_dual_and_b32 v28, 0x3ff, v0
	s_add_u32 s4, s6, s2
	s_addc_u32 s5, s7, s3
	s_add_i32 s2, s16, -1
	v_bfe_u32 v29, v0, 10, 10
	s_ashr_i32 s3, s2, 31
	s_load_b32 s27, s[0:1], 0x18
	s_lshr_b32 s3, s3, 26
	v_and_b32_e32 v30, 3, v28
	s_add_i32 s2, s2, s3
	v_lshl_add_u32 v0, v29, 3, v28
	s_ashr_i32 s2, s2, 6
	v_mov_b32_e32 v8, 0
	s_add_i32 s22, s2, 1
	s_not_b32 s2, s2
	v_cvt_f32_u32_e32 v1, s22
	v_lshrrev_b32_e32 v7, 2, v0
	v_lshlrev_b32_e32 v2, 1, v30
	s_delay_alu instid0(VALU_DEP_3) | instskip(SKIP_2) | instid1(VALU_DEP_1)
	v_rcp_iflag_f32_e32 v1, v1
	s_waitcnt_depctr 0xfff
	v_mul_f32_e32 v1, 0x4f7ffffe, v1
	v_cvt_u32_f32_e32 v1, v1
	s_delay_alu instid0(VALU_DEP_1) | instskip(NEXT) | instid1(VALU_DEP_1)
	v_readfirstlane_b32 s3, v1
	s_mul_i32 s2, s2, s3
	s_delay_alu instid0(SALU_CYCLE_1) | instskip(NEXT) | instid1(SALU_CYCLE_1)
	s_mul_hi_u32 s2, s3, s2
	s_add_i32 s3, s3, s2
	s_delay_alu instid0(SALU_CYCLE_1) | instskip(NEXT) | instid1(SALU_CYCLE_1)
	s_mul_hi_u32 s2, s14, s3
	s_mul_i32 s3, s2, s22
	s_add_i32 s6, s2, 1
	s_sub_i32 s3, s14, s3
	s_delay_alu instid0(SALU_CYCLE_1)
	s_sub_i32 s7, s3, s22
	s_cmp_ge_u32 s3, s22
	s_cselect_b32 s2, s6, s2
	s_cselect_b32 s3, s7, s3
	s_add_i32 s6, s2, 1
	s_cmp_ge_u32 s3, s22
	s_cselect_b32 s3, s6, s2
	s_load_b64 s[6:7], s[4:5], 0x0
	s_mul_i32 s2, s3, s22
	s_delay_alu instid0(SALU_CYCLE_1) | instskip(NEXT) | instid1(SALU_CYCLE_1)
	s_sub_i32 s2, s14, s2
	s_lshl_b32 s14, s2, 6
	v_cmp_gt_i32_e64 s2, s18, v30
	v_add_nc_u32_e32 v3, s14, v7
	s_delay_alu instid0(VALU_DEP_1) | instskip(NEXT) | instid1(VALU_DEP_3)
	v_cmp_gt_i32_e32 vcc_lo, s16, v3
	s_and_b32 s2, s2, vcc_lo
	s_delay_alu instid0(SALU_CYCLE_1) | instskip(NEXT) | instid1(SALU_CYCLE_1)
	s_and_b32 s2, s21, s2
	s_and_saveexec_b32 s4, s2
	s_cbranch_execz .LBB254_11
; %bb.10:
	s_waitcnt lgkmcnt(0)
	v_mad_i64_i32 v[4:5], null, v3, s27, 0
	s_delay_alu instid0(VALU_DEP_1) | instskip(NEXT) | instid1(VALU_DEP_1)
	v_lshlrev_b64 v[4:5], 1, v[4:5]
	v_add_co_u32 v1, s2, s12, v4
	s_delay_alu instid0(VALU_DEP_1) | instskip(NEXT) | instid1(VALU_DEP_2)
	v_add_co_ci_u32_e64 v5, s2, s13, v5, s2
	v_add_co_u32 v4, s2, v1, v2
	s_delay_alu instid0(VALU_DEP_1)
	v_add_co_ci_u32_e64 v5, s2, 0, v5, s2
	flat_load_u16 v1, v[4:5]
	s_waitcnt vmcnt(0) lgkmcnt(0)
	v_mul_f16_e32 v9, s19, v1
.LBB254_11:
	s_or_b32 exec_lo, exec_lo, s4
	s_load_b32 s23, s[0:1], 0x30
	v_lshrrev_b32_e32 v31, 6, v0
	s_add_i32 s24, s18, -1
	v_and_b32_e32 v10, 63, v0
	s_lshl_b32 s22, s3, 7
	s_xor_b32 s25, s21, -1
	v_min_i32_e32 v1, s24, v31
	v_cmp_le_i32_e64 s4, s18, v31
	v_or_b32_e32 v0, s22, v10
	s_delay_alu instid0(VALU_DEP_1) | instskip(NEXT) | instid1(VALU_DEP_1)
	v_cmp_le_i32_e64 s2, s17, v0
	s_or_b32 s5, s2, s4
	s_waitcnt lgkmcnt(0)
	v_mad_i64_i32 v[4:5], null, s23, v1, 0
	v_ashrrev_i32_e32 v1, 31, v0
	s_delay_alu instid0(VALU_DEP_2) | instskip(NEXT) | instid1(VALU_DEP_1)
	v_lshlrev_b64 v[5:6], 1, v[4:5]
	v_add_co_u32 v5, s3, s8, v5
	s_delay_alu instid0(VALU_DEP_1) | instskip(SKIP_1) | instid1(SALU_CYCLE_1)
	v_add_co_ci_u32_e64 v6, s3, s9, v6, s3
	s_or_b32 s3, s5, s25
	s_xor_b32 s3, s3, -1
	s_delay_alu instid0(SALU_CYCLE_1)
	s_and_saveexec_b32 s5, s3
	s_cbranch_execz .LBB254_13
; %bb.12:
	v_lshlrev_b64 v[11:12], 1, v[0:1]
	s_delay_alu instid0(VALU_DEP_1) | instskip(NEXT) | instid1(VALU_DEP_1)
	v_add_co_u32 v11, s3, v5, v11
	v_add_co_ci_u32_e64 v12, s3, v6, v12, s3
	flat_load_u16 v4, v[11:12]
	s_waitcnt vmcnt(0) lgkmcnt(0)
	v_mul_f16_e32 v8, s19, v4
.LBB254_13:
	s_or_b32 exec_lo, exec_lo, s5
	v_or_b32_e32 v4, 64, v0
	v_mov_b32_e32 v11, 0
	s_delay_alu instid0(VALU_DEP_2) | instskip(SKIP_1) | instid1(VALU_DEP_2)
	v_cmp_le_i32_e64 s3, s17, v4
	v_mov_b32_e32 v4, 0
	s_or_b32 s4, s3, s4
	s_delay_alu instid0(SALU_CYCLE_1) | instskip(NEXT) | instid1(SALU_CYCLE_1)
	s_or_b32 s4, s4, s25
	s_xor_b32 s4, s4, -1
	s_delay_alu instid0(SALU_CYCLE_1)
	s_and_saveexec_b32 s5, s4
	s_cbranch_execz .LBB254_15
; %bb.14:
	v_lshlrev_b64 v[11:12], 1, v[0:1]
	s_delay_alu instid0(VALU_DEP_1) | instskip(NEXT) | instid1(VALU_DEP_1)
	v_add_co_u32 v5, s4, v5, v11
	v_add_co_ci_u32_e64 v6, s4, v6, v12, s4
	flat_load_u16 v5, v[5:6] offset:128
	s_waitcnt vmcnt(0) lgkmcnt(0)
	v_mul_f16_e32 v11, s19, v5
.LBB254_15:
	s_or_b32 exec_lo, exec_lo, s5
	v_or_b32_e32 v5, 4, v30
	s_delay_alu instid0(VALU_DEP_1) | instskip(NEXT) | instid1(VALU_DEP_1)
	v_cmp_gt_i32_e64 s4, s18, v5
	s_and_b32 s4, s4, vcc_lo
	s_delay_alu instid0(SALU_CYCLE_1) | instskip(NEXT) | instid1(SALU_CYCLE_1)
	s_and_b32 s4, s21, s4
	s_and_saveexec_b32 s5, s4
	s_cbranch_execz .LBB254_17
; %bb.16:
	v_mad_i64_i32 v[4:5], null, v3, s27, 0
	s_delay_alu instid0(VALU_DEP_1) | instskip(NEXT) | instid1(VALU_DEP_1)
	v_lshlrev_b64 v[4:5], 1, v[4:5]
	v_add_co_u32 v4, s4, s12, v4
	s_delay_alu instid0(VALU_DEP_1) | instskip(NEXT) | instid1(VALU_DEP_2)
	v_add_co_ci_u32_e64 v5, s4, s13, v5, s4
	v_add_co_u32 v4, s4, v4, v2
	s_delay_alu instid0(VALU_DEP_1)
	v_add_co_ci_u32_e64 v5, s4, 0, v5, s4
	flat_load_u16 v4, v[4:5] offset:8
	s_waitcnt vmcnt(0) lgkmcnt(0)
	v_mul_f16_e32 v4, s19, v4
.LBB254_17:
	s_or_b32 exec_lo, exec_lo, s5
	v_add_nc_u32_e32 v12, 4, v31
	s_delay_alu instid0(VALU_DEP_1) | instskip(SKIP_1) | instid1(VALU_DEP_2)
	v_min_i32_e32 v13, s24, v12
	v_cmp_le_i32_e64 s4, s18, v12
	v_mad_i64_i32 v[5:6], null, s23, v13, 0
	s_delay_alu instid0(VALU_DEP_2) | instskip(NEXT) | instid1(VALU_DEP_1)
	s_or_b32 s26, s2, s4
	v_lshlrev_b64 v[12:13], 1, v[5:6]
	v_dual_mov_b32 v5, 0 :: v_dual_mov_b32 v6, 0
	s_delay_alu instid0(VALU_DEP_2) | instskip(NEXT) | instid1(VALU_DEP_1)
	v_add_co_u32 v12, s5, s8, v12
	v_add_co_ci_u32_e64 v13, s5, s9, v13, s5
	s_or_b32 s5, s26, s25
	s_delay_alu instid0(SALU_CYCLE_1) | instskip(NEXT) | instid1(SALU_CYCLE_1)
	s_xor_b32 s5, s5, -1
	s_and_saveexec_b32 s26, s5
	s_cbranch_execz .LBB254_19
; %bb.18:
	v_lshlrev_b64 v[14:15], 1, v[0:1]
	s_delay_alu instid0(VALU_DEP_1) | instskip(NEXT) | instid1(VALU_DEP_1)
	v_add_co_u32 v14, s5, v12, v14
	v_add_co_ci_u32_e64 v15, s5, v13, v15, s5
	flat_load_u16 v6, v[14:15]
	s_waitcnt vmcnt(0) lgkmcnt(0)
	v_mul_f16_e32 v6, s19, v6
.LBB254_19:
	s_or_b32 exec_lo, exec_lo, s26
	s_or_b32 s4, s3, s4
	s_delay_alu instid0(SALU_CYCLE_1) | instskip(NEXT) | instid1(SALU_CYCLE_1)
	s_or_b32 s4, s4, s25
	s_xor_b32 s4, s4, -1
	s_delay_alu instid0(SALU_CYCLE_1)
	s_and_saveexec_b32 s5, s4
	s_cbranch_execz .LBB254_21
; %bb.20:
	v_lshlrev_b64 v[14:15], 1, v[0:1]
	s_delay_alu instid0(VALU_DEP_1) | instskip(NEXT) | instid1(VALU_DEP_1)
	v_add_co_u32 v12, s4, v12, v14
	v_add_co_ci_u32_e64 v13, s4, v13, v15, s4
	flat_load_u16 v5, v[12:13] offset:128
	s_waitcnt vmcnt(0) lgkmcnt(0)
	v_mul_f16_e32 v5, s19, v5
.LBB254_21:
	s_or_b32 exec_lo, exec_lo, s5
	v_lshlrev_b32_e32 v12, 1, v31
	v_lshlrev_b32_e32 v33, 3, v28
	;; [unrolled: 1-line block ×3, first 2 shown]
	v_lshl_or_b32 v7, v7, 3, v2
	s_mov_b32 s26, 0
	v_lshl_add_u32 v34, v10, 3, v12
	v_add_nc_u32_e32 v35, 0x800, v33
	s_cmp_lt_i32 s18, 9
	ds_store_b16 v34, v8
	ds_store_b16 v7, v9 offset:2048
	ds_store_b16 v34, v11 offset:512
	s_waitcnt lgkmcnt(0)
	s_barrier
	buffer_gl0_inv
	ds_load_2addr_b64 v[8:11], v32 offset1:32
	ds_load_2addr_b64 v[12:15], v35 offset0:48 offset1:56
	ds_load_2addr_b64 v[16:19], v32 offset0:64 offset1:96
	ds_load_2addr_b64 v[20:23], v35 offset1:8
	ds_load_2addr_b64 v[24:27], v35 offset0:16 offset1:24
	ds_load_2addr_b64 v[35:38], v35 offset0:32 offset1:40
	ds_store_b16 v34, v6 offset:1024
	ds_store_b16 v7, v4 offset:2560
	ds_store_b16 v34, v5 offset:1536
	s_waitcnt lgkmcnt(0)
	s_barrier
	buffer_gl0_inv
	v_pk_max_f16 v8, v8, v8
	v_pk_max_f16 v10, v10, v10
	;; [unrolled: 1-line block ×8, first 2 shown]
	v_pk_min_f16 v48, v24, v8
	v_pk_min_f16 v49, v24, v10
	;; [unrolled: 1-line block ×3, first 2 shown]
	v_pk_max_f16 v20, v20, v20
	v_pk_max_f16 v22, v22, v22
	v_pk_add_f16 v51, v48, 0
	v_pk_min_f16 v48, v26, v8
	v_pk_add_f16 v52, v49, 0
	v_pk_min_f16 v49, v26, v10
	v_pk_min_f16 v39, v14, v8
	v_pk_add_f16 v53, v50, 0
	v_pk_add_f16 v54, v48, 0
	v_pk_min_f16 v48, v35, v8
	v_pk_min_f16 v50, v26, v16
	v_pk_add_f16 v59, v49, 0
	v_pk_min_f16 v49, v35, v10
	v_pk_max_f16 v37, v37, v37
	v_pk_add_f16 v61, v48, 0
	v_pk_min_f16 v48, v35, v16
	v_pk_min_f16 v35, v35, v18
	v_pk_max_f16 v12, v12, v12
	v_pk_max_f16 v9, v9, v9
	;; [unrolled: 1-line block ×3, first 2 shown]
	v_pk_min_f16 v40, v14, v10
	v_pk_min_f16 v41, v14, v16
	v_pk_min_f16 v42, v20, v8
	v_pk_min_f16 v43, v20, v10
	v_pk_min_f16 v44, v20, v16
	v_pk_min_f16 v20, v20, v18
	v_pk_min_f16 v45, v22, v8
	v_pk_add_f16 v39, v39, 0
	v_pk_min_f16 v46, v22, v10
	v_pk_min_f16 v47, v22, v16
	;; [unrolled: 1-line block ×5, first 2 shown]
	v_pk_add_f16 v60, v50, 0
	v_pk_add_f16 v62, v49, 0
	v_pk_min_f16 v49, v37, v8
	v_pk_min_f16 v50, v37, v10
	v_pk_add_f16 v69, v35, 0
	v_pk_min_f16 v35, v37, v16
	v_pk_min_f16 v37, v37, v18
	;; [unrolled: 1-line block ×6, first 2 shown]
	v_pk_max_f16 v11, v11, v11
	v_pk_min_f16 v14, v14, v18
	v_pk_max_f16 v17, v17, v17
	v_pk_min_f16 v18, v15, v9
	v_pk_add_f16 v40, v40, 0
	v_pk_add_f16 v41, v41, 0
	;; [unrolled: 1-line block ×4, first 2 shown]
	v_pk_min_f16 v35, v15, v11
	v_pk_min_f16 v37, v15, v17
	v_pk_max_f16 v21, v21, v21
	v_pk_add_f16 v68, v39, v18
	v_pk_max_f16 v18, v19, v19
	v_pk_add_f16 v42, v42, 0
	v_pk_add_f16 v20, v20, 0
	v_pk_add_f16 v71, v50, 0
	v_pk_add_f16 v58, v40, v35
	v_pk_add_f16 v50, v41, v37
	v_pk_min_f16 v19, v21, v9
	v_pk_min_f16 v35, v21, v11
	v_pk_min_f16 v37, v21, v17
	v_pk_min_f16 v21, v21, v18
	v_pk_max_f16 v23, v23, v23
	v_pk_add_f16 v45, v45, 0
	v_pk_add_f16 v46, v46, 0
	v_pk_add_f16 v47, v47, 0
	v_pk_add_f16 v22, v22, 0
	v_pk_add_f16 v70, v49, 0
	v_pk_add_f16 v41, v42, v19
	v_pk_add_f16 v49, v20, v21
	v_pk_min_f16 v19, v23, v9
	v_pk_min_f16 v20, v23, v11
	v_pk_min_f16 v21, v23, v17
	v_pk_min_f16 v23, v23, v18
	v_pk_max_f16 v25, v25, v25
	v_pk_add_f16 v44, v44, 0
	v_pk_add_f16 v24, v24, 0
	;; [unrolled: 12-line block ×4, first 2 shown]
	v_pk_add_f16 v63, v59, v20
	v_pk_add_f16 v54, v60, v21
	;; [unrolled: 1-line block ×3, first 2 shown]
	v_pk_min_f16 v19, v23, v9
	v_pk_min_f16 v20, v23, v11
	v_pk_min_f16 v21, v23, v17
	v_pk_min_f16 v22, v23, v18
	v_pk_max_f16 v23, v38, v38
	v_pk_max_f16 v13, v13, v13
	v_pk_add_f16 v8, v8, 0
	v_pk_add_f16 v10, v10, 0
	;; [unrolled: 1-line block ×9, first 2 shown]
	v_pk_min_f16 v19, v23, v9
	v_pk_min_f16 v20, v23, v11
	;; [unrolled: 1-line block ×9, first 2 shown]
	v_pk_add_f16 v38, v70, v19
	v_pk_add_f16 v61, v71, v20
	;; [unrolled: 1-line block ×9, first 2 shown]
	s_cbranch_scc1 .LBB254_36
; %bb.22:
	v_mad_i64_i32 v[4:5], null, s27, v3, 0
	v_lshlrev_b64 v[24:25], 1, v[0:1]
	v_add_nc_u32_e32 v59, 0x800, v7
	v_add_nc_u32_e32 v66, 0x800, v33
	;; [unrolled: 1-line block ×3, first 2 shown]
	v_or_b32_e32 v70, 0x400, v34
	v_lshl_add_u32 v71, v28, 3, 0xa00
	v_lshlrev_b64 v[3:4], 1, v[4:5]
	v_lshl_add_u32 v72, v29, 3, 0x400
	s_delay_alu instid0(VALU_DEP_2) | instskip(NEXT) | instid1(VALU_DEP_1)
	v_add_co_u32 v2, s4, v3, v2
	v_add_co_ci_u32_e64 v3, s4, 0, v4, s4
	s_delay_alu instid0(VALU_DEP_2) | instskip(NEXT) | instid1(VALU_DEP_1)
	v_add_co_u32 v2, s4, v2, s12
	v_add_co_ci_u32_e64 v3, s4, s13, v3, s4
	s_add_i32 s12, s18, -8
	s_delay_alu instid0(VALU_DEP_2) | instskip(NEXT) | instid1(VALU_DEP_1)
	v_add_co_u32 v26, s4, v2, 24
	v_add_co_ci_u32_e64 v27, s4, 0, v3, s4
	s_branch .LBB254_24
.LBB254_23:                             ;   in Loop: Header=BB254_24 Depth=1
	s_or_b32 exec_lo, exec_lo, s5
	v_pk_add_f16 v14, v41, v14
	v_pk_add_f16 v8, v39, v8
	;; [unrolled: 1-line block ×26, first 2 shown]
	ds_load_2addr_b64 v[37:40], v66 offset0:48 offset1:56
	ds_load_2addr_b64 v[41:44], v32 offset1:32
	v_pk_add_f16 v9, v47, v9
	ds_load_2addr_b64 v[45:48], v32 offset0:64 offset1:96
	v_pk_add_f16 v12, v58, v12
	v_pk_add_f16 v4, v35, v4
	;; [unrolled: 1-line block ×7, first 2 shown]
	ds_load_2addr_b64 v[49:52], v66 offset1:8
	v_pk_add_f16 v2, v68, v2
	v_pk_add_f16 v53, v53, v87
	;; [unrolled: 1-line block ×8, first 2 shown]
	s_waitcnt lgkmcnt(3)
	v_pk_max_f16 v39, v39, v39
	s_waitcnt lgkmcnt(2)
	v_pk_max_f16 v41, v41, v41
	v_pk_max_f16 v43, v43, v43
	s_waitcnt lgkmcnt(1)
	v_pk_max_f16 v45, v45, v45
	v_pk_add_f16 v82, v6, v103
	v_pk_add_f16 v53, v53, v3
	;; [unrolled: 1-line block ×7, first 2 shown]
	v_pk_min_f16 v5, v39, v41
	v_pk_min_f16 v6, v39, v43
	;; [unrolled: 1-line block ×3, first 2 shown]
	ds_load_2addr_b64 v[1:4], v66 offset0:16 offset1:24
	s_waitcnt lgkmcnt(1)
	v_pk_max_f16 v8, v49, v49
	v_pk_max_f16 v47, v47, v47
	v_pk_add_f16 v14, v14, v107
	v_pk_add_f16 v18, v18, v108
	;; [unrolled: 1-line block ×7, first 2 shown]
	v_pk_min_f16 v5, v8, v41
	v_pk_min_f16 v6, v8, v43
	;; [unrolled: 1-line block ×4, first 2 shown]
	v_pk_max_f16 v51, v51, v51
	v_pk_add_f16 v14, v14, v5
	v_pk_add_f16 v18, v18, v6
	;; [unrolled: 1-line block ×4, first 2 shown]
	ds_load_2addr_b64 v[5:8], v66 offset0:32 offset1:40
	v_pk_add_f16 v60, v60, v94
	v_pk_add_f16 v15, v58, v15
	v_pk_min_f16 v58, v51, v41
	s_waitcnt lgkmcnt(1)
	v_pk_max_f16 v1, v1, v1
	v_pk_add_f16 v19, v62, v19
	v_pk_add_f16 v21, v60, v21
	v_pk_min_f16 v60, v51, v43
	v_pk_add_f16 v62, v68, v58
	v_pk_min_f16 v58, v1, v41
	v_pk_max_f16 v3, v3, v3
	v_pk_add_f16 v36, v36, v86
	v_pk_add_f16 v35, v35, v98
	;; [unrolled: 1-line block ×3, first 2 shown]
	v_pk_min_f16 v61, v51, v45
	v_pk_add_f16 v60, v75, v60
	v_pk_add_f16 v75, v78, v58
	v_pk_min_f16 v58, v3, v43
	v_pk_add_f16 v10, v10, v116
	v_pk_add_f16 v36, v36, v101
	s_waitcnt lgkmcnt(0)
	v_pk_max_f16 v5, v5, v5
	v_pk_add_f16 v23, v63, v23
	v_pk_add_f16 v61, v76, v61
	v_pk_min_f16 v63, v1, v43
	v_pk_min_f16 v64, v1, v45
	v_pk_min_f16 v1, v1, v47
	v_pk_add_f16 v76, v35, v58
	v_pk_min_f16 v35, v5, v41
	v_pk_add_f16 v54, v54, v100
	v_pk_add_f16 v10, v10, v63
	;; [unrolled: 1-line block ×4, first 2 shown]
	v_pk_min_f16 v9, v3, v41
	v_pk_min_f16 v64, v3, v45
	;; [unrolled: 1-line block ×3, first 2 shown]
	v_pk_add_f16 v36, v36, v35
	v_pk_min_f16 v35, v5, v45
	v_pk_max_f16 v7, v7, v7
	v_pk_max_f16 v40, v40, v40
	v_pk_add_f16 v3, v54, v3
	v_pk_min_f16 v54, v5, v43
	v_pk_add_f16 v53, v53, v35
	v_pk_max_f16 v35, v37, v37
	v_pk_min_f16 v58, v7, v43
	v_pk_min_f16 v37, v7, v45
	v_pk_add_f16 v78, v82, v54
	v_pk_min_f16 v54, v7, v41
	v_pk_min_f16 v7, v7, v47
	v_pk_min_f16 v41, v35, v41
	v_pk_min_f16 v43, v35, v43
	v_pk_min_f16 v45, v35, v45
	v_pk_max_f16 v79, v46, v46
	v_pk_add_f16 v7, v17, v7
	v_pk_add_f16 v17, v19, v41
	;; [unrolled: 1-line block ×4, first 2 shown]
	v_pk_min_f16 v23, v35, v47
	v_pk_max_f16 v43, v44, v44
	v_pk_min_f16 v35, v39, v47
	v_pk_add_f16 v9, v80, v9
	v_pk_max_f16 v42, v42, v42
	v_pk_max_f16 v41, v50, v50
	v_pk_min_f16 v39, v40, v43
	v_pk_add_f16 v80, v57, v35
	v_pk_min_f16 v35, v40, v79
	v_pk_add_f16 v13, v13, v58
	v_pk_add_f16 v15, v15, v37
	v_pk_min_f16 v37, v40, v42
	v_pk_add_f16 v58, v12, v39
	v_pk_max_f16 v12, v48, v48
	v_pk_add_f16 v50, v16, v35
	v_pk_min_f16 v16, v41, v42
	v_pk_min_f16 v35, v41, v43
	v_pk_max_f16 v44, v52, v52
	v_pk_add_f16 v68, v49, v37
	v_pk_min_f16 v37, v41, v79
	v_pk_min_f16 v39, v41, v12
	v_pk_add_f16 v41, v14, v16
	v_pk_add_f16 v67, v18, v35
	v_pk_min_f16 v14, v44, v42
	v_pk_min_f16 v16, v44, v43
	;; [unrolled: 1-line block ×3, first 2 shown]
	v_pk_max_f16 v2, v2, v2
	v_pk_min_f16 v51, v51, v47
	v_pk_add_f16 v23, v56, v23
	v_pk_add_f16 v49, v22, v39
	;; [unrolled: 1-line block ×5, first 2 shown]
	v_pk_min_f16 v14, v2, v42
	v_pk_min_f16 v16, v2, v43
	;; [unrolled: 1-line block ×4, first 2 shown]
	v_pk_max_f16 v4, v4, v4
	v_pk_add_f16 v51, v77, v51
	v_pk_add_f16 v77, v81, v64
	v_pk_min_f16 v5, v5, v47
	v_pk_add_f16 v64, v10, v16
	v_pk_add_f16 v47, v1, v2
	v_pk_min_f16 v1, v4, v42
	v_pk_min_f16 v2, v4, v43
	;; [unrolled: 1-line block ×4, first 2 shown]
	v_pk_max_f16 v6, v6, v6
	v_pk_add_f16 v5, v55, v5
	v_pk_add_f16 v55, v63, v18
	;; [unrolled: 1-line block ×5, first 2 shown]
	v_pk_min_f16 v1, v6, v42
	v_pk_min_f16 v2, v6, v43
	v_pk_min_f16 v3, v6, v79
	v_pk_min_f16 v4, v6, v12
	v_pk_max_f16 v6, v8, v8
	v_pk_add_f16 v11, v11, v54
	v_pk_add_f16 v36, v36, v1
	;; [unrolled: 1-line block ×5, first 2 shown]
	v_pk_min_f16 v1, v6, v42
	v_pk_min_f16 v2, v6, v43
	;; [unrolled: 1-line block ×4, first 2 shown]
	v_pk_max_f16 v5, v38, v38
	v_pk_add_f16 v57, v20, v37
	v_pk_min_f16 v20, v44, v12
	v_pk_add_f16 v38, v11, v1
	v_pk_add_f16 v61, v13, v2
	;; [unrolled: 1-line block ×4, first 2 shown]
	v_pk_min_f16 v1, v5, v42
	v_pk_min_f16 v2, v5, v43
	;; [unrolled: 1-line block ×5, first 2 shown]
	v_add_co_u32 v26, s4, v26, 16
	v_pk_add_f16 v48, v51, v20
	v_pk_add_f16 v37, v75, v14
	;; [unrolled: 1-line block ×8, first 2 shown]
	v_add_co_ci_u32_e64 v27, s4, 0, v27, s4
	s_add_i32 s26, s26, 8
	ds_store_b16 v69, v73
	ds_store_b16 v70, v74
	ds_store_b16 v70, v0 offset:512
	s_cmp_ge_i32 s26, s12
	s_waitcnt lgkmcnt(0)
	s_barrier
	buffer_gl0_inv
	s_cbranch_scc1 .LBB254_36
.LBB254_24:                             ; =>This Inner Loop Header: Depth=1
	v_dual_mov_b32 v74, 0 :: v_dual_add_nc_u32 v73, s26, v30
	s_delay_alu instid0(VALU_DEP_1) | instskip(NEXT) | instid1(VALU_DEP_1)
	v_add_nc_u32_e32 v0, 8, v73
	v_cmp_gt_i32_e64 s4, s18, v0
	s_delay_alu instid0(VALU_DEP_1) | instskip(NEXT) | instid1(SALU_CYCLE_1)
	s_and_b32 s4, s4, vcc_lo
	s_and_b32 s4, s21, s4
	s_delay_alu instid0(SALU_CYCLE_1)
	s_and_saveexec_b32 s5, s4
	s_cbranch_execz .LBB254_26
; %bb.25:                               ;   in Loop: Header=BB254_24 Depth=1
	v_add_co_u32 v0, s4, -8, v26
	s_delay_alu instid0(VALU_DEP_1)
	v_add_co_ci_u32_e64 v1, s4, -1, v27, s4
	flat_load_u16 v0, v[0:1]
	s_waitcnt vmcnt(0) lgkmcnt(0)
	v_mul_f16_e32 v74, s19, v0
.LBB254_26:                             ;   in Loop: Header=BB254_24 Depth=1
	s_or_b32 exec_lo, exec_lo, s5
	v_dual_mov_b32 v76, 0 :: v_dual_add_nc_u32 v75, s26, v31
	s_delay_alu instid0(VALU_DEP_1) | instskip(NEXT) | instid1(VALU_DEP_1)
	v_dual_mov_b32 v77, 0 :: v_dual_add_nc_u32 v2, 8, v75
	v_min_i32_e32 v3, s24, v2
	v_cmp_le_i32_e64 s4, s18, v2
	s_delay_alu instid0(VALU_DEP_2) | instskip(NEXT) | instid1(VALU_DEP_2)
	v_mad_i64_i32 v[0:1], null, v3, s23, 0
	s_or_b32 s13, s2, s4
	s_delay_alu instid0(VALU_DEP_1) | instskip(NEXT) | instid1(VALU_DEP_1)
	v_lshlrev_b64 v[0:1], 1, v[0:1]
	v_add_co_u32 v0, s5, s8, v0
	s_delay_alu instid0(VALU_DEP_1) | instskip(SKIP_1) | instid1(SALU_CYCLE_1)
	v_add_co_ci_u32_e64 v1, s5, s9, v1, s5
	s_or_b32 s5, s13, s25
	s_xor_b32 s5, s5, -1
	s_delay_alu instid0(SALU_CYCLE_1)
	s_and_saveexec_b32 s13, s5
	s_cbranch_execz .LBB254_28
; %bb.27:                               ;   in Loop: Header=BB254_24 Depth=1
	v_add_co_u32 v2, s5, v0, v24
	s_delay_alu instid0(VALU_DEP_1)
	v_add_co_ci_u32_e64 v3, s5, v1, v25, s5
	flat_load_u16 v2, v[2:3]
	s_waitcnt vmcnt(0) lgkmcnt(0)
	v_mul_f16_e32 v77, s19, v2
.LBB254_28:                             ;   in Loop: Header=BB254_24 Depth=1
	s_or_b32 exec_lo, exec_lo, s13
	s_or_b32 s4, s3, s4
	s_delay_alu instid0(SALU_CYCLE_1) | instskip(NEXT) | instid1(SALU_CYCLE_1)
	s_or_b32 s4, s4, s25
	s_xor_b32 s4, s4, -1
	s_delay_alu instid0(SALU_CYCLE_1)
	s_and_saveexec_b32 s5, s4
	s_cbranch_execz .LBB254_30
; %bb.29:                               ;   in Loop: Header=BB254_24 Depth=1
	v_add_co_u32 v0, s4, v0, v24
	s_delay_alu instid0(VALU_DEP_1)
	v_add_co_ci_u32_e64 v1, s4, v1, v25, s4
	flat_load_u16 v0, v[0:1] offset:128
	s_waitcnt vmcnt(0) lgkmcnt(0)
	v_mul_f16_e32 v76, s19, v0
.LBB254_30:                             ;   in Loop: Header=BB254_24 Depth=1
	s_or_b32 exec_lo, exec_lo, s5
	ds_load_2addr_b64 v[0:3], v71 offset0:48 offset1:56
	ds_load_2addr_b64 v[12:15], v72 offset0:64 offset1:96
	ds_load_2addr_b64 v[20:23], v72 offset1:32
	ds_load_2addr_b64 v[16:19], v71 offset1:8
	ds_load_2addr_b64 v[8:11], v71 offset0:16 offset1:24
	ds_load_2addr_b64 v[4:7], v71 offset0:32 offset1:40
	v_add_nc_u32_e32 v73, 12, v73
	ds_store_b16 v59, v74
	ds_store_b16 v34, v77
	ds_store_b16 v34, v76 offset:512
	v_mov_b32_e32 v74, 0
	s_waitcnt lgkmcnt(0)
	s_barrier
	v_cmp_gt_i32_e64 s4, s18, v73
	v_mov_b32_e32 v73, 0
	buffer_gl0_inv
	s_and_b32 s4, s4, vcc_lo
	s_delay_alu instid0(SALU_CYCLE_1) | instskip(NEXT) | instid1(SALU_CYCLE_1)
	s_and_b32 s5, s21, s4
	s_and_saveexec_b32 s4, s5
	s_cbranch_execz .LBB254_32
; %bb.31:                               ;   in Loop: Header=BB254_24 Depth=1
	flat_load_u16 v73, v[26:27]
	s_waitcnt vmcnt(0) lgkmcnt(0)
	v_mul_f16_e32 v73, s19, v73
.LBB254_32:                             ;   in Loop: Header=BB254_24 Depth=1
	s_or_b32 exec_lo, exec_lo, s4
	v_add_nc_u32_e32 v77, 12, v75
	s_delay_alu instid0(VALU_DEP_1) | instskip(SKIP_1) | instid1(VALU_DEP_2)
	v_min_i32_e32 v78, s24, v77
	v_cmp_le_i32_e64 s4, s18, v77
	v_mad_i64_i32 v[75:76], null, v78, s23, 0
	s_delay_alu instid0(VALU_DEP_2) | instskip(NEXT) | instid1(VALU_DEP_1)
	s_or_b32 s13, s2, s4
	v_lshlrev_b64 v[75:76], 1, v[75:76]
	s_delay_alu instid0(VALU_DEP_1) | instskip(NEXT) | instid1(VALU_DEP_1)
	v_add_co_u32 v75, s5, s8, v75
	v_add_co_ci_u32_e64 v76, s5, s9, v76, s5
	s_or_b32 s5, s13, s25
	s_delay_alu instid0(SALU_CYCLE_1) | instskip(NEXT) | instid1(SALU_CYCLE_1)
	s_xor_b32 s5, s5, -1
	s_and_saveexec_b32 s13, s5
	s_cbranch_execz .LBB254_34
; %bb.33:                               ;   in Loop: Header=BB254_24 Depth=1
	v_add_co_u32 v77, s5, v75, v24
	s_delay_alu instid0(VALU_DEP_1)
	v_add_co_ci_u32_e64 v78, s5, v76, v25, s5
	flat_load_u16 v74, v[77:78]
	s_waitcnt vmcnt(0) lgkmcnt(0)
	v_mul_f16_e32 v74, s19, v74
.LBB254_34:                             ;   in Loop: Header=BB254_24 Depth=1
	s_or_b32 exec_lo, exec_lo, s13
	v_pk_max_f16 v97, v2, v2
	v_pk_max_f16 v93, v20, v20
	;; [unrolled: 1-line block ×12, first 2 shown]
	v_pk_min_f16 v2, v97, v93
	v_pk_min_f16 v12, v97, v94
	;; [unrolled: 1-line block ×25, first 2 shown]
	v_pk_max_f16 v0, v3, v3
	v_pk_max_f16 v21, v21, v21
	;; [unrolled: 1-line block ×9, first 2 shown]
	v_pk_min_f16 v107, v3, v21
	v_pk_min_f16 v108, v3, v23
	;; [unrolled: 1-line block ×4, first 2 shown]
	v_pk_max_f16 v3, v9, v9
	v_pk_max_f16 v7, v7, v7
	;; [unrolled: 1-line block ×3, first 2 shown]
	s_or_b32 s4, s3, s4
	v_pk_min_f16 v22, v22, v98
	v_pk_min_f16 v79, v79, v98
	;; [unrolled: 1-line block ×35, first 2 shown]
	v_mov_b32_e32 v0, 0
	s_or_b32 s4, s4, s25
	s_delay_alu instid0(SALU_CYCLE_1) | instskip(NEXT) | instid1(SALU_CYCLE_1)
	s_xor_b32 s4, s4, -1
	s_and_saveexec_b32 s5, s4
	s_cbranch_execz .LBB254_23
; %bb.35:                               ;   in Loop: Header=BB254_24 Depth=1
	v_add_co_u32 v75, s4, v75, v24
	s_delay_alu instid0(VALU_DEP_1)
	v_add_co_ci_u32_e64 v76, s4, v76, v25, s4
	flat_load_u16 v0, v[75:76] offset:128
	s_waitcnt vmcnt(0) lgkmcnt(0)
	v_mul_f16_e32 v0, s19, v0
	s_branch .LBB254_23
.LBB254_36:
	s_clause 0x2
	s_load_b32 s12, s[0:1], 0x50
	s_load_b32 s9, s[0:1], 0x68
	s_load_b64 s[2:3], s[0:1], 0x70
	v_add_nc_u32_e32 v66, s22, v29
	v_add_nc_u32_e32 v8, 0x800, v33
	;; [unrolled: 1-line block ×3, first 2 shown]
	ds_load_2addr_b64 v[0:3], v32 offset0:192 offset1:224
	ds_load_2addr_b64 v[20:23], v32 offset0:128 offset1:160
	;; [unrolled: 1-line block ×6, first 2 shown]
	v_cmp_gt_i32_e64 s8, s17, v66
	v_cmp_gt_i32_e64 s0, s16, v24
	v_cndmask_b32_e64 v59, 0, 1, s20
	s_waitcnt lgkmcnt(0)
	v_mad_i64_i32 v[25:26], null, v66, s12, 0
	v_mad_i64_i32 v[27:28], null, v66, s9, 0
	s_lshl_b64 s[2:3], s[2:3], 1
	s_delay_alu instid0(SALU_CYCLE_1) | instskip(SKIP_1) | instid1(VALU_DEP_2)
	s_add_u32 s13, s6, s2
	s_addc_u32 s14, s7, s3
	v_lshlrev_b64 v[29:30], 1, v[25:26]
	v_ashrrev_i32_e32 v25, 31, v24
	s_delay_alu instid0(VALU_DEP_3) | instskip(SKIP_1) | instid1(VALU_DEP_3)
	v_lshlrev_b64 v[26:27], 1, v[27:28]
	s_and_b32 s2, s0, s8
	v_add_co_u32 v71, vcc_lo, s10, v29
	s_delay_alu instid0(VALU_DEP_4) | instskip(NEXT) | instid1(VALU_DEP_3)
	v_add_co_ci_u32_e32 v72, vcc_lo, s11, v30, vcc_lo
	v_add_co_u32 v69, vcc_lo, s13, v26
	s_delay_alu instid0(VALU_DEP_4)
	v_add_co_ci_u32_e32 v70, vcc_lo, s14, v27, vcc_lo
	s_and_saveexec_b32 s1, s2
	s_cbranch_execz .LBB254_41
; %bb.37:
	v_lshlrev_b64 v[26:27], 1, v[24:25]
	s_and_not1_b32 vcc_lo, exec_lo, s20
	s_cbranch_vccnz .LBB254_39
; %bb.38:
	s_delay_alu instid0(VALU_DEP_1) | instskip(NEXT) | instid1(VALU_DEP_2)
	v_add_co_u32 v28, vcc_lo, v71, v26
	v_add_co_ci_u32_e32 v29, vcc_lo, v72, v27, vcc_lo
	flat_load_u16 v28, v[28:29]
	s_waitcnt vmcnt(0) lgkmcnt(0)
	v_mul_f16_e32 v28, s15, v28
	s_branch .LBB254_40
.LBB254_39:
	v_mov_b32_e32 v28, 0
.LBB254_40:
	v_pk_max_f16 v29, v20, v20
	v_pk_max_f16 v30, v16, v16
	;; [unrolled: 1-line block ×4, first 2 shown]
	v_add_co_u32 v26, vcc_lo, v69, v26
	s_delay_alu instid0(VALU_DEP_4) | instskip(SKIP_1) | instid1(VALU_DEP_4)
	v_pk_min_f16 v29, v30, v29
	v_add_co_ci_u32_e32 v27, vcc_lo, v70, v27, vcc_lo
	v_pk_min_f16 v30, v32, v31
	s_delay_alu instid0(VALU_DEP_3) | instskip(NEXT) | instid1(VALU_DEP_1)
	v_pk_add_f16 v29, v41, v29
	v_pk_add_f16 v29, v29, v30
	s_delay_alu instid0(VALU_DEP_1) | instskip(NEXT) | instid1(VALU_DEP_1)
	v_lshrrev_b32_e32 v30, 16, v29
	v_add_f16_e32 v29, v29, v30
	s_delay_alu instid0(VALU_DEP_1)
	v_add_f16_e32 v28, v29, v28
	global_store_b16 v[26:27], v28, off
.LBB254_41:
	s_or_b32 exec_lo, exec_lo, s1
	v_add_nc_u32_e32 v26, 8, v24
	s_delay_alu instid0(VALU_DEP_1) | instskip(SKIP_1) | instid1(VALU_DEP_2)
	v_cmp_gt_i32_e64 s1, s16, v26
	v_ashrrev_i32_e32 v27, 31, v26
	s_and_b32 s3, s1, s8
	s_delay_alu instid0(SALU_CYCLE_1)
	s_and_saveexec_b32 s2, s3
	s_cbranch_execz .LBB254_46
; %bb.42:
	v_cmp_ne_u32_e32 vcc_lo, 1, v59
	v_lshlrev_b64 v[28:29], 1, v[26:27]
	s_cbranch_vccnz .LBB254_44
; %bb.43:
	s_delay_alu instid0(VALU_DEP_1) | instskip(NEXT) | instid1(VALU_DEP_2)
	v_add_co_u32 v30, vcc_lo, v71, v28
	v_add_co_ci_u32_e32 v31, vcc_lo, v72, v29, vcc_lo
	flat_load_u16 v30, v[30:31]
	s_waitcnt vmcnt(0) lgkmcnt(0)
	v_mul_f16_e32 v30, s15, v30
	s_branch .LBB254_45
.LBB254_44:
	v_mov_b32_e32 v30, 0
.LBB254_45:
	v_pk_max_f16 v31, v20, v20
	v_pk_max_f16 v32, v18, v18
	v_pk_max_f16 v33, v21, v21
	v_pk_max_f16 v34, v19, v19
	v_add_co_u32 v28, vcc_lo, v69, v28
	s_delay_alu instid0(VALU_DEP_4) | instskip(SKIP_1) | instid1(VALU_DEP_4)
	v_pk_min_f16 v31, v32, v31
	v_add_co_ci_u32_e32 v29, vcc_lo, v70, v29, vcc_lo
	v_pk_min_f16 v32, v34, v33
	s_delay_alu instid0(VALU_DEP_3) | instskip(NEXT) | instid1(VALU_DEP_1)
	v_pk_add_f16 v31, v39, v31
	v_pk_add_f16 v31, v31, v32
	s_delay_alu instid0(VALU_DEP_1) | instskip(NEXT) | instid1(VALU_DEP_1)
	v_lshrrev_b32_e32 v32, 16, v31
	v_add_f16_e32 v31, v31, v32
	s_delay_alu instid0(VALU_DEP_1)
	v_add_f16_e32 v30, v31, v30
	global_store_b16 v[28:29], v30, off
.LBB254_46:
	s_or_b32 exec_lo, exec_lo, s2
	v_add_nc_u32_e32 v28, 16, v24
	s_delay_alu instid0(VALU_DEP_1) | instskip(SKIP_1) | instid1(VALU_DEP_2)
	v_cmp_gt_i32_e64 s2, s16, v28
	v_ashrrev_i32_e32 v29, 31, v28
	s_and_b32 s4, s2, s8
	s_delay_alu instid0(SALU_CYCLE_1)
	s_and_saveexec_b32 s3, s4
	s_cbranch_execz .LBB254_51
; %bb.47:
	v_cmp_ne_u32_e32 vcc_lo, 1, v59
	v_lshlrev_b64 v[30:31], 1, v[28:29]
	s_cbranch_vccnz .LBB254_49
; %bb.48:
	s_delay_alu instid0(VALU_DEP_1) | instskip(NEXT) | instid1(VALU_DEP_2)
	v_add_co_u32 v32, vcc_lo, v71, v30
	v_add_co_ci_u32_e32 v33, vcc_lo, v72, v31, vcc_lo
	flat_load_u16 v32, v[32:33]
	s_waitcnt vmcnt(0) lgkmcnt(0)
	v_mul_f16_e32 v32, s15, v32
	s_branch .LBB254_50
.LBB254_49:
	v_mov_b32_e32 v32, 0
.LBB254_50:
	v_pk_max_f16 v33, v20, v20
	v_pk_max_f16 v34, v12, v12
	v_pk_max_f16 v39, v21, v21
	v_pk_max_f16 v41, v13, v13
	v_add_co_u32 v30, vcc_lo, v69, v30
	s_delay_alu instid0(VALU_DEP_4) | instskip(SKIP_1) | instid1(VALU_DEP_4)
	v_pk_min_f16 v33, v34, v33
	v_add_co_ci_u32_e32 v31, vcc_lo, v70, v31, vcc_lo
	v_pk_min_f16 v34, v41, v39
	s_delay_alu instid0(VALU_DEP_3) | instskip(NEXT) | instid1(VALU_DEP_1)
	v_pk_add_f16 v33, v37, v33
	v_pk_add_f16 v33, v33, v34
	s_delay_alu instid0(VALU_DEP_1) | instskip(NEXT) | instid1(VALU_DEP_1)
	v_lshrrev_b32_e32 v34, 16, v33
	v_add_f16_e32 v33, v33, v34
	s_delay_alu instid0(VALU_DEP_1)
	v_add_f16_e32 v32, v33, v32
	global_store_b16 v[30:31], v32, off
.LBB254_51:
	;; [unrolled: 43-line block ×6, first 2 shown]
	s_or_b32 exec_lo, exec_lo, s7
	v_add_nc_u32_e32 v38, 56, v24
	s_delay_alu instid0(VALU_DEP_1) | instskip(SKIP_1) | instid1(VALU_DEP_2)
	v_cmp_gt_i32_e64 s7, s16, v38
	v_ashrrev_i32_e32 v39, 31, v38
	s_and_b32 s16, s7, s8
	s_delay_alu instid0(SALU_CYCLE_1)
	s_and_saveexec_b32 s8, s16
	s_cbranch_execz .LBB254_76
; %bb.72:
	v_cmp_ne_u32_e32 vcc_lo, 1, v59
	v_lshlrev_b64 v[40:41], 1, v[38:39]
	s_cbranch_vccnz .LBB254_74
; %bb.73:
	s_delay_alu instid0(VALU_DEP_1) | instskip(NEXT) | instid1(VALU_DEP_2)
	v_add_co_u32 v71, vcc_lo, v71, v40
	v_add_co_ci_u32_e32 v72, vcc_lo, v72, v41, vcc_lo
	flat_load_u16 v71, v[71:72]
	s_waitcnt vmcnt(0) lgkmcnt(0)
	v_mul_f16_e32 v71, s15, v71
	s_branch .LBB254_75
.LBB254_74:
	v_mov_b32_e32 v71, 0
.LBB254_75:
	v_pk_max_f16 v20, v20, v20
	v_pk_max_f16 v72, v6, v6
	;; [unrolled: 1-line block ×4, first 2 shown]
	s_delay_alu instid0(VALU_DEP_3) | instskip(NEXT) | instid1(VALU_DEP_2)
	v_pk_min_f16 v20, v72, v20
	v_pk_min_f16 v21, v73, v21
	s_delay_alu instid0(VALU_DEP_2) | instskip(NEXT) | instid1(VALU_DEP_1)
	v_pk_add_f16 v20, v68, v20
	v_pk_add_f16 v20, v20, v21
	s_delay_alu instid0(VALU_DEP_1) | instskip(NEXT) | instid1(VALU_DEP_1)
	v_lshrrev_b32_e32 v21, 16, v20
	v_add_f16_e32 v20, v20, v21
	s_delay_alu instid0(VALU_DEP_1)
	v_add_f16_e32 v68, v20, v71
	v_add_co_u32 v20, vcc_lo, v69, v40
	v_add_co_ci_u32_e32 v21, vcc_lo, v70, v41, vcc_lo
	global_store_b16 v[20:21], v68, off
.LBB254_76:
	s_or_b32 exec_lo, exec_lo, s8
	v_add_nc_u32_e32 v68, 32, v66
	s_delay_alu instid0(VALU_DEP_1) | instskip(SKIP_2) | instid1(VALU_DEP_3)
	v_mad_i64_i32 v[20:21], null, v68, s12, 0
	v_mad_i64_i32 v[40:41], null, v68, s9, 0
	v_cmp_gt_i32_e64 s8, s17, v68
	v_lshlrev_b64 v[20:21], 1, v[20:21]
	s_delay_alu instid0(VALU_DEP_2) | instskip(NEXT) | instid1(VALU_DEP_3)
	s_and_b32 s18, s0, s8
	v_lshlrev_b64 v[40:41], 1, v[40:41]
	s_delay_alu instid0(VALU_DEP_2) | instskip(NEXT) | instid1(VALU_DEP_3)
	v_add_co_u32 v68, vcc_lo, s10, v20
	v_add_co_ci_u32_e32 v69, vcc_lo, s11, v21, vcc_lo
	s_delay_alu instid0(VALU_DEP_3) | instskip(NEXT) | instid1(VALU_DEP_4)
	v_add_co_u32 v40, vcc_lo, s13, v40
	v_add_co_ci_u32_e32 v41, vcc_lo, s14, v41, vcc_lo
	s_and_saveexec_b32 s16, s18
	s_cbranch_execnz .LBB254_84
; %bb.77:
	s_or_b32 exec_lo, exec_lo, s16
	s_and_b32 s18, s1, s8
	s_delay_alu instid0(SALU_CYCLE_1)
	s_and_saveexec_b32 s16, s18
	s_cbranch_execnz .LBB254_88
.LBB254_78:
	s_or_b32 exec_lo, exec_lo, s16
	s_and_b32 s18, s2, s8
	s_delay_alu instid0(SALU_CYCLE_1)
	s_and_saveexec_b32 s16, s18
	s_cbranch_execnz .LBB254_92
.LBB254_79:
	s_or_b32 exec_lo, exec_lo, s16
	s_and_b32 s18, s3, s8
	s_delay_alu instid0(SALU_CYCLE_1)
	s_and_saveexec_b32 s16, s18
	s_cbranch_execnz .LBB254_96
.LBB254_80:
	s_or_b32 exec_lo, exec_lo, s16
	s_and_b32 s18, s4, s8
	s_delay_alu instid0(SALU_CYCLE_1)
	s_and_saveexec_b32 s16, s18
	s_cbranch_execnz .LBB254_100
.LBB254_81:
	s_or_b32 exec_lo, exec_lo, s16
	s_and_b32 s18, s5, s8
	s_delay_alu instid0(SALU_CYCLE_1)
	s_and_saveexec_b32 s16, s18
	s_cbranch_execnz .LBB254_104
.LBB254_82:
	s_or_b32 exec_lo, exec_lo, s16
	s_and_b32 s18, s6, s8
	s_delay_alu instid0(SALU_CYCLE_1)
	s_and_saveexec_b32 s16, s18
	s_cbranch_execnz .LBB254_108
.LBB254_83:
	s_or_b32 exec_lo, exec_lo, s16
	s_and_b32 s16, s7, s8
	s_delay_alu instid0(SALU_CYCLE_1)
	s_and_saveexec_b32 s8, s16
	s_cbranch_execnz .LBB254_112
	s_branch .LBB254_116
.LBB254_84:
	v_cmp_ne_u32_e32 vcc_lo, 1, v59
	v_lshlrev_b64 v[20:21], 1, v[24:25]
	s_cbranch_vccnz .LBB254_86
; %bb.85:
	s_delay_alu instid0(VALU_DEP_1) | instskip(NEXT) | instid1(VALU_DEP_2)
	v_add_co_u32 v70, vcc_lo, v68, v20
	v_add_co_ci_u32_e32 v71, vcc_lo, v69, v21, vcc_lo
	flat_load_u16 v70, v[70:71]
	s_waitcnt vmcnt(0) lgkmcnt(0)
	v_mul_f16_e32 v70, s15, v70
	s_branch .LBB254_87
.LBB254_86:
	v_mov_b32_e32 v70, 0
.LBB254_87:
	v_pk_max_f16 v71, v22, v22
	v_pk_max_f16 v72, v16, v16
	;; [unrolled: 1-line block ×4, first 2 shown]
	v_add_co_u32 v20, vcc_lo, v40, v20
	s_delay_alu instid0(VALU_DEP_4) | instskip(SKIP_1) | instid1(VALU_DEP_4)
	v_pk_min_f16 v71, v72, v71
	v_add_co_ci_u32_e32 v21, vcc_lo, v41, v21, vcc_lo
	v_pk_min_f16 v72, v74, v73
	s_delay_alu instid0(VALU_DEP_3) | instskip(NEXT) | instid1(VALU_DEP_1)
	v_pk_add_f16 v67, v67, v71
	v_pk_add_f16 v67, v67, v72
	s_delay_alu instid0(VALU_DEP_1) | instskip(NEXT) | instid1(VALU_DEP_1)
	v_lshrrev_b32_e32 v71, 16, v67
	v_add_f16_e32 v67, v67, v71
	s_delay_alu instid0(VALU_DEP_1) | instskip(SKIP_3) | instid1(SALU_CYCLE_1)
	v_add_f16_e32 v67, v67, v70
	global_store_b16 v[20:21], v67, off
	s_or_b32 exec_lo, exec_lo, s16
	s_and_b32 s18, s1, s8
	s_and_saveexec_b32 s16, s18
	s_cbranch_execz .LBB254_78
.LBB254_88:
	v_cmp_ne_u32_e32 vcc_lo, 1, v59
	v_lshlrev_b64 v[20:21], 1, v[26:27]
	s_cbranch_vccnz .LBB254_90
; %bb.89:
	s_delay_alu instid0(VALU_DEP_1) | instskip(NEXT) | instid1(VALU_DEP_2)
	v_add_co_u32 v70, vcc_lo, v68, v20
	v_add_co_ci_u32_e32 v71, vcc_lo, v69, v21, vcc_lo
	flat_load_u16 v67, v[70:71]
	s_waitcnt vmcnt(0) lgkmcnt(0)
	v_mul_f16_e32 v67, s15, v67
	s_branch .LBB254_91
.LBB254_90:
	v_mov_b32_e32 v67, 0
.LBB254_91:
	v_pk_max_f16 v70, v22, v22
	v_pk_max_f16 v71, v18, v18
	;; [unrolled: 1-line block ×4, first 2 shown]
	v_add_co_u32 v20, vcc_lo, v40, v20
	s_delay_alu instid0(VALU_DEP_4) | instskip(SKIP_1) | instid1(VALU_DEP_4)
	v_pk_min_f16 v70, v71, v70
	v_add_co_ci_u32_e32 v21, vcc_lo, v41, v21, vcc_lo
	v_pk_min_f16 v71, v73, v72
	s_delay_alu instid0(VALU_DEP_3) | instskip(NEXT) | instid1(VALU_DEP_1)
	v_pk_add_f16 v65, v65, v70
	v_pk_add_f16 v65, v65, v71
	s_delay_alu instid0(VALU_DEP_1) | instskip(NEXT) | instid1(VALU_DEP_1)
	v_lshrrev_b32_e32 v70, 16, v65
	v_add_f16_e32 v65, v65, v70
	s_delay_alu instid0(VALU_DEP_1) | instskip(SKIP_3) | instid1(SALU_CYCLE_1)
	v_add_f16_e32 v65, v65, v67
	global_store_b16 v[20:21], v65, off
	s_or_b32 exec_lo, exec_lo, s16
	s_and_b32 s18, s2, s8
	s_and_saveexec_b32 s16, s18
	s_cbranch_execz .LBB254_79
.LBB254_92:
	v_cmp_ne_u32_e32 vcc_lo, 1, v59
	v_lshlrev_b64 v[20:21], 1, v[28:29]
	s_cbranch_vccnz .LBB254_94
; %bb.93:
	s_delay_alu instid0(VALU_DEP_1) | instskip(NEXT) | instid1(VALU_DEP_2)
	v_add_co_u32 v70, vcc_lo, v68, v20
	v_add_co_ci_u32_e32 v71, vcc_lo, v69, v21, vcc_lo
	flat_load_u16 v65, v[70:71]
	s_waitcnt vmcnt(0) lgkmcnt(0)
	v_mul_f16_e32 v65, s15, v65
	s_branch .LBB254_95
.LBB254_94:
	v_mov_b32_e32 v65, 0
.LBB254_95:
	v_pk_max_f16 v67, v22, v22
	v_pk_max_f16 v70, v12, v12
	;; [unrolled: 1-line block ×4, first 2 shown]
	v_add_co_u32 v20, vcc_lo, v40, v20
	s_delay_alu instid0(VALU_DEP_4) | instskip(SKIP_1) | instid1(VALU_DEP_4)
	v_pk_min_f16 v67, v70, v67
	v_add_co_ci_u32_e32 v21, vcc_lo, v41, v21, vcc_lo
	v_pk_min_f16 v70, v72, v71
	s_delay_alu instid0(VALU_DEP_3) | instskip(NEXT) | instid1(VALU_DEP_1)
	v_pk_add_f16 v64, v64, v67
	v_pk_add_f16 v64, v64, v70
	s_delay_alu instid0(VALU_DEP_1) | instskip(NEXT) | instid1(VALU_DEP_1)
	v_lshrrev_b32_e32 v67, 16, v64
	v_add_f16_e32 v64, v64, v67
	s_delay_alu instid0(VALU_DEP_1) | instskip(SKIP_3) | instid1(SALU_CYCLE_1)
	v_add_f16_e32 v64, v64, v65
	global_store_b16 v[20:21], v64, off
	s_or_b32 exec_lo, exec_lo, s16
	s_and_b32 s18, s3, s8
	s_and_saveexec_b32 s16, s18
	s_cbranch_execz .LBB254_80
.LBB254_96:
	v_cmp_ne_u32_e32 vcc_lo, 1, v59
	v_lshlrev_b64 v[20:21], 1, v[30:31]
	s_cbranch_vccnz .LBB254_98
; %bb.97:
	s_delay_alu instid0(VALU_DEP_1) | instskip(NEXT) | instid1(VALU_DEP_2)
	v_add_co_u32 v64, vcc_lo, v68, v20
	v_add_co_ci_u32_e32 v65, vcc_lo, v69, v21, vcc_lo
	flat_load_u16 v64, v[64:65]
	s_waitcnt vmcnt(0) lgkmcnt(0)
	v_mul_f16_e32 v64, s15, v64
	s_branch .LBB254_99
.LBB254_98:
	v_mov_b32_e32 v64, 0
.LBB254_99:
	v_pk_max_f16 v65, v22, v22
	v_pk_max_f16 v67, v14, v14
	;; [unrolled: 1-line block ×4, first 2 shown]
	v_add_co_u32 v20, vcc_lo, v40, v20
	s_delay_alu instid0(VALU_DEP_4) | instskip(SKIP_1) | instid1(VALU_DEP_4)
	v_pk_min_f16 v65, v67, v65
	v_add_co_ci_u32_e32 v21, vcc_lo, v41, v21, vcc_lo
	v_pk_min_f16 v67, v71, v70
	s_delay_alu instid0(VALU_DEP_3) | instskip(NEXT) | instid1(VALU_DEP_1)
	v_pk_add_f16 v63, v63, v65
	v_pk_add_f16 v63, v63, v67
	s_delay_alu instid0(VALU_DEP_1) | instskip(NEXT) | instid1(VALU_DEP_1)
	v_lshrrev_b32_e32 v65, 16, v63
	v_add_f16_e32 v63, v63, v65
	s_delay_alu instid0(VALU_DEP_1) | instskip(SKIP_3) | instid1(SALU_CYCLE_1)
	v_add_f16_e32 v63, v63, v64
	global_store_b16 v[20:21], v63, off
	s_or_b32 exec_lo, exec_lo, s16
	s_and_b32 s18, s4, s8
	s_and_saveexec_b32 s16, s18
	s_cbranch_execz .LBB254_81
.LBB254_100:
	v_cmp_ne_u32_e32 vcc_lo, 1, v59
	v_lshlrev_b64 v[20:21], 1, v[32:33]
	s_cbranch_vccnz .LBB254_102
; %bb.101:
	s_delay_alu instid0(VALU_DEP_1) | instskip(NEXT) | instid1(VALU_DEP_2)
	v_add_co_u32 v63, vcc_lo, v68, v20
	v_add_co_ci_u32_e32 v64, vcc_lo, v69, v21, vcc_lo
	flat_load_u16 v63, v[63:64]
	s_waitcnt vmcnt(0) lgkmcnt(0)
	v_mul_f16_e32 v63, s15, v63
	s_branch .LBB254_103
.LBB254_102:
	v_mov_b32_e32 v63, 0
.LBB254_103:
	v_pk_max_f16 v64, v22, v22
	v_pk_max_f16 v65, v8, v8
	;; [unrolled: 1-line block ×4, first 2 shown]
	v_add_co_u32 v20, vcc_lo, v40, v20
	s_delay_alu instid0(VALU_DEP_4) | instskip(SKIP_1) | instid1(VALU_DEP_4)
	v_pk_min_f16 v64, v65, v64
	v_add_co_ci_u32_e32 v21, vcc_lo, v41, v21, vcc_lo
	v_pk_min_f16 v65, v70, v67
	s_delay_alu instid0(VALU_DEP_3) | instskip(NEXT) | instid1(VALU_DEP_1)
	v_pk_add_f16 v62, v62, v64
	v_pk_add_f16 v62, v62, v65
	s_delay_alu instid0(VALU_DEP_1) | instskip(NEXT) | instid1(VALU_DEP_1)
	v_lshrrev_b32_e32 v64, 16, v62
	v_add_f16_e32 v62, v62, v64
	s_delay_alu instid0(VALU_DEP_1) | instskip(SKIP_3) | instid1(SALU_CYCLE_1)
	v_add_f16_e32 v62, v62, v63
	global_store_b16 v[20:21], v62, off
	s_or_b32 exec_lo, exec_lo, s16
	s_and_b32 s18, s5, s8
	s_and_saveexec_b32 s16, s18
	s_cbranch_execz .LBB254_82
.LBB254_104:
	v_cmp_ne_u32_e32 vcc_lo, 1, v59
	v_lshlrev_b64 v[20:21], 1, v[34:35]
	s_cbranch_vccnz .LBB254_106
; %bb.105:
	s_delay_alu instid0(VALU_DEP_1) | instskip(NEXT) | instid1(VALU_DEP_2)
	v_add_co_u32 v62, vcc_lo, v68, v20
	v_add_co_ci_u32_e32 v63, vcc_lo, v69, v21, vcc_lo
	flat_load_u16 v62, v[62:63]
	s_waitcnt vmcnt(0) lgkmcnt(0)
	v_mul_f16_e32 v62, s15, v62
	s_branch .LBB254_107
.LBB254_106:
	v_mov_b32_e32 v62, 0
.LBB254_107:
	v_pk_max_f16 v63, v22, v22
	v_pk_max_f16 v64, v10, v10
	;; [unrolled: 1-line block ×4, first 2 shown]
	v_add_co_u32 v20, vcc_lo, v40, v20
	s_delay_alu instid0(VALU_DEP_4) | instskip(SKIP_1) | instid1(VALU_DEP_4)
	v_pk_min_f16 v63, v64, v63
	v_add_co_ci_u32_e32 v21, vcc_lo, v41, v21, vcc_lo
	v_pk_min_f16 v64, v67, v65
	s_delay_alu instid0(VALU_DEP_3) | instskip(NEXT) | instid1(VALU_DEP_1)
	v_pk_add_f16 v61, v61, v63
	v_pk_add_f16 v61, v61, v64
	s_delay_alu instid0(VALU_DEP_1) | instskip(NEXT) | instid1(VALU_DEP_1)
	v_lshrrev_b32_e32 v63, 16, v61
	v_add_f16_e32 v61, v61, v63
	s_delay_alu instid0(VALU_DEP_1) | instskip(SKIP_3) | instid1(SALU_CYCLE_1)
	v_add_f16_e32 v61, v61, v62
	global_store_b16 v[20:21], v61, off
	s_or_b32 exec_lo, exec_lo, s16
	s_and_b32 s18, s6, s8
	s_and_saveexec_b32 s16, s18
	s_cbranch_execz .LBB254_83
.LBB254_108:
	v_cmp_ne_u32_e32 vcc_lo, 1, v59
	v_lshlrev_b64 v[20:21], 1, v[36:37]
	s_cbranch_vccnz .LBB254_110
; %bb.109:
	s_delay_alu instid0(VALU_DEP_1) | instskip(NEXT) | instid1(VALU_DEP_2)
	v_add_co_u32 v61, vcc_lo, v68, v20
	v_add_co_ci_u32_e32 v62, vcc_lo, v69, v21, vcc_lo
	flat_load_u16 v61, v[61:62]
	s_waitcnt vmcnt(0) lgkmcnt(0)
	v_mul_f16_e32 v61, s15, v61
	s_branch .LBB254_111
.LBB254_110:
	v_mov_b32_e32 v61, 0
.LBB254_111:
	v_pk_max_f16 v62, v22, v22
	v_pk_max_f16 v63, v4, v4
	;; [unrolled: 1-line block ×4, first 2 shown]
	v_add_co_u32 v20, vcc_lo, v40, v20
	s_delay_alu instid0(VALU_DEP_4) | instskip(SKIP_1) | instid1(VALU_DEP_4)
	v_pk_min_f16 v62, v63, v62
	v_add_co_ci_u32_e32 v21, vcc_lo, v41, v21, vcc_lo
	v_pk_min_f16 v63, v65, v64
	s_delay_alu instid0(VALU_DEP_3) | instskip(NEXT) | instid1(VALU_DEP_1)
	v_pk_add_f16 v60, v60, v62
	v_pk_add_f16 v60, v60, v63
	s_delay_alu instid0(VALU_DEP_1) | instskip(NEXT) | instid1(VALU_DEP_1)
	v_lshrrev_b32_e32 v62, 16, v60
	v_add_f16_e32 v60, v60, v62
	s_delay_alu instid0(VALU_DEP_1) | instskip(SKIP_3) | instid1(SALU_CYCLE_1)
	v_add_f16_e32 v60, v60, v61
	global_store_b16 v[20:21], v60, off
	s_or_b32 exec_lo, exec_lo, s16
	s_and_b32 s16, s7, s8
	s_and_saveexec_b32 s8, s16
	s_cbranch_execz .LBB254_116
.LBB254_112:
	v_cmp_ne_u32_e32 vcc_lo, 1, v59
	v_lshlrev_b64 v[20:21], 1, v[38:39]
	s_cbranch_vccnz .LBB254_114
; %bb.113:
	s_delay_alu instid0(VALU_DEP_1) | instskip(NEXT) | instid1(VALU_DEP_2)
	v_add_co_u32 v60, vcc_lo, v68, v20
	v_add_co_ci_u32_e32 v61, vcc_lo, v69, v21, vcc_lo
	flat_load_u16 v60, v[60:61]
	s_waitcnt vmcnt(0) lgkmcnt(0)
	v_mul_f16_e32 v60, s15, v60
	s_branch .LBB254_115
.LBB254_114:
	v_mov_b32_e32 v60, 0
.LBB254_115:
	v_pk_max_f16 v22, v22, v22
	v_pk_max_f16 v61, v6, v6
	;; [unrolled: 1-line block ×4, first 2 shown]
	v_add_co_u32 v20, vcc_lo, v40, v20
	s_delay_alu instid0(VALU_DEP_4) | instskip(SKIP_1) | instid1(VALU_DEP_4)
	v_pk_min_f16 v22, v61, v22
	v_add_co_ci_u32_e32 v21, vcc_lo, v41, v21, vcc_lo
	v_pk_min_f16 v23, v62, v23
	s_delay_alu instid0(VALU_DEP_3) | instskip(NEXT) | instid1(VALU_DEP_1)
	v_pk_add_f16 v22, v58, v22
	v_pk_add_f16 v22, v22, v23
	s_delay_alu instid0(VALU_DEP_1) | instskip(NEXT) | instid1(VALU_DEP_1)
	v_lshrrev_b32_e32 v23, 16, v22
	v_add_f16_e32 v22, v22, v23
	s_delay_alu instid0(VALU_DEP_1)
	v_add_f16_e32 v22, v22, v60
	global_store_b16 v[20:21], v22, off
.LBB254_116:
	s_or_b32 exec_lo, exec_lo, s8
	v_add_nc_u32_e32 v40, 64, v66
	s_delay_alu instid0(VALU_DEP_1) | instskip(SKIP_2) | instid1(VALU_DEP_3)
	v_mad_i64_i32 v[20:21], null, v40, s12, 0
	v_mad_i64_i32 v[22:23], null, v40, s9, 0
	v_cmp_gt_i32_e64 s8, s17, v40
	v_lshlrev_b64 v[20:21], 1, v[20:21]
	s_delay_alu instid0(VALU_DEP_2) | instskip(NEXT) | instid1(VALU_DEP_3)
	s_and_b32 s18, s0, s8
	v_lshlrev_b64 v[22:23], 1, v[22:23]
	s_delay_alu instid0(VALU_DEP_2) | instskip(NEXT) | instid1(VALU_DEP_3)
	v_add_co_u32 v40, vcc_lo, s10, v20
	v_add_co_ci_u32_e32 v41, vcc_lo, s11, v21, vcc_lo
	s_delay_alu instid0(VALU_DEP_3) | instskip(NEXT) | instid1(VALU_DEP_4)
	v_add_co_u32 v22, vcc_lo, s13, v22
	v_add_co_ci_u32_e32 v23, vcc_lo, s14, v23, vcc_lo
	s_and_saveexec_b32 s16, s18
	s_cbranch_execnz .LBB254_124
; %bb.117:
	s_or_b32 exec_lo, exec_lo, s16
	s_and_b32 s18, s1, s8
	s_delay_alu instid0(SALU_CYCLE_1)
	s_and_saveexec_b32 s16, s18
	s_cbranch_execnz .LBB254_128
.LBB254_118:
	s_or_b32 exec_lo, exec_lo, s16
	s_and_b32 s18, s2, s8
	s_delay_alu instid0(SALU_CYCLE_1)
	s_and_saveexec_b32 s16, s18
	s_cbranch_execnz .LBB254_132
.LBB254_119:
	s_or_b32 exec_lo, exec_lo, s16
	s_and_b32 s18, s3, s8
	s_delay_alu instid0(SALU_CYCLE_1)
	s_and_saveexec_b32 s16, s18
	s_cbranch_execnz .LBB254_136
.LBB254_120:
	s_or_b32 exec_lo, exec_lo, s16
	s_and_b32 s18, s4, s8
	s_delay_alu instid0(SALU_CYCLE_1)
	s_and_saveexec_b32 s16, s18
	s_cbranch_execnz .LBB254_140
.LBB254_121:
	s_or_b32 exec_lo, exec_lo, s16
	s_and_b32 s18, s5, s8
	s_delay_alu instid0(SALU_CYCLE_1)
	s_and_saveexec_b32 s16, s18
	s_cbranch_execnz .LBB254_144
.LBB254_122:
	s_or_b32 exec_lo, exec_lo, s16
	s_and_b32 s18, s6, s8
	s_delay_alu instid0(SALU_CYCLE_1)
	s_and_saveexec_b32 s16, s18
	s_cbranch_execnz .LBB254_148
.LBB254_123:
	s_or_b32 exec_lo, exec_lo, s16
	s_and_b32 s16, s7, s8
	s_delay_alu instid0(SALU_CYCLE_1)
	s_and_saveexec_b32 s8, s16
	s_cbranch_execnz .LBB254_152
	s_branch .LBB254_156
.LBB254_124:
	v_cmp_ne_u32_e32 vcc_lo, 1, v59
	v_lshlrev_b64 v[20:21], 1, v[24:25]
	s_cbranch_vccnz .LBB254_126
; %bb.125:
	s_delay_alu instid0(VALU_DEP_1) | instskip(NEXT) | instid1(VALU_DEP_2)
	v_add_co_u32 v60, vcc_lo, v40, v20
	v_add_co_ci_u32_e32 v61, vcc_lo, v41, v21, vcc_lo
	flat_load_u16 v58, v[60:61]
	s_waitcnt vmcnt(0) lgkmcnt(0)
	v_mul_f16_e32 v58, s15, v58
	s_branch .LBB254_127
.LBB254_126:
	v_mov_b32_e32 v58, 0
.LBB254_127:
	v_pk_max_f16 v60, v0, v0
	v_pk_max_f16 v61, v16, v16
	;; [unrolled: 1-line block ×4, first 2 shown]
	v_add_co_u32 v20, vcc_lo, v22, v20
	s_delay_alu instid0(VALU_DEP_4) | instskip(SKIP_1) | instid1(VALU_DEP_4)
	v_pk_min_f16 v60, v61, v60
	v_add_co_ci_u32_e32 v21, vcc_lo, v23, v21, vcc_lo
	v_pk_min_f16 v61, v63, v62
	s_delay_alu instid0(VALU_DEP_3) | instskip(NEXT) | instid1(VALU_DEP_1)
	v_pk_add_f16 v57, v57, v60
	v_pk_add_f16 v57, v57, v61
	s_delay_alu instid0(VALU_DEP_1) | instskip(NEXT) | instid1(VALU_DEP_1)
	v_lshrrev_b32_e32 v60, 16, v57
	v_add_f16_e32 v57, v57, v60
	s_delay_alu instid0(VALU_DEP_1) | instskip(SKIP_3) | instid1(SALU_CYCLE_1)
	v_add_f16_e32 v57, v57, v58
	global_store_b16 v[20:21], v57, off
	s_or_b32 exec_lo, exec_lo, s16
	s_and_b32 s18, s1, s8
	s_and_saveexec_b32 s16, s18
	s_cbranch_execz .LBB254_118
.LBB254_128:
	v_cmp_ne_u32_e32 vcc_lo, 1, v59
	v_lshlrev_b64 v[20:21], 1, v[26:27]
	s_cbranch_vccnz .LBB254_130
; %bb.129:
	s_delay_alu instid0(VALU_DEP_1) | instskip(NEXT) | instid1(VALU_DEP_2)
	v_add_co_u32 v57, vcc_lo, v40, v20
	v_add_co_ci_u32_e32 v58, vcc_lo, v41, v21, vcc_lo
	flat_load_u16 v57, v[57:58]
	s_waitcnt vmcnt(0) lgkmcnt(0)
	v_mul_f16_e32 v57, s15, v57
	s_branch .LBB254_131
.LBB254_130:
	v_mov_b32_e32 v57, 0
.LBB254_131:
	v_pk_max_f16 v58, v0, v0
	v_pk_max_f16 v60, v18, v18
	;; [unrolled: 1-line block ×4, first 2 shown]
	v_add_co_u32 v20, vcc_lo, v22, v20
	s_delay_alu instid0(VALU_DEP_4) | instskip(SKIP_1) | instid1(VALU_DEP_4)
	v_pk_min_f16 v58, v60, v58
	v_add_co_ci_u32_e32 v21, vcc_lo, v23, v21, vcc_lo
	v_pk_min_f16 v60, v62, v61
	s_delay_alu instid0(VALU_DEP_3) | instskip(NEXT) | instid1(VALU_DEP_1)
	v_pk_add_f16 v56, v56, v58
	v_pk_add_f16 v56, v56, v60
	s_delay_alu instid0(VALU_DEP_1) | instskip(NEXT) | instid1(VALU_DEP_1)
	v_lshrrev_b32_e32 v58, 16, v56
	v_add_f16_e32 v56, v56, v58
	s_delay_alu instid0(VALU_DEP_1) | instskip(SKIP_3) | instid1(SALU_CYCLE_1)
	v_add_f16_e32 v56, v56, v57
	global_store_b16 v[20:21], v56, off
	s_or_b32 exec_lo, exec_lo, s16
	s_and_b32 s18, s2, s8
	s_and_saveexec_b32 s16, s18
	s_cbranch_execz .LBB254_119
.LBB254_132:
	v_cmp_ne_u32_e32 vcc_lo, 1, v59
	v_lshlrev_b64 v[20:21], 1, v[28:29]
	s_cbranch_vccnz .LBB254_134
; %bb.133:
	s_delay_alu instid0(VALU_DEP_1) | instskip(NEXT) | instid1(VALU_DEP_2)
	v_add_co_u32 v56, vcc_lo, v40, v20
	v_add_co_ci_u32_e32 v57, vcc_lo, v41, v21, vcc_lo
	flat_load_u16 v56, v[56:57]
	s_waitcnt vmcnt(0) lgkmcnt(0)
	v_mul_f16_e32 v56, s15, v56
	s_branch .LBB254_135
.LBB254_134:
	v_mov_b32_e32 v56, 0
.LBB254_135:
	v_pk_max_f16 v57, v0, v0
	v_pk_max_f16 v58, v12, v12
	;; [unrolled: 1-line block ×4, first 2 shown]
	v_add_co_u32 v20, vcc_lo, v22, v20
	s_delay_alu instid0(VALU_DEP_4) | instskip(SKIP_1) | instid1(VALU_DEP_4)
	v_pk_min_f16 v57, v58, v57
	v_add_co_ci_u32_e32 v21, vcc_lo, v23, v21, vcc_lo
	v_pk_min_f16 v58, v61, v60
	s_delay_alu instid0(VALU_DEP_3) | instskip(NEXT) | instid1(VALU_DEP_1)
	v_pk_add_f16 v55, v55, v57
	v_pk_add_f16 v55, v55, v58
	s_delay_alu instid0(VALU_DEP_1) | instskip(NEXT) | instid1(VALU_DEP_1)
	v_lshrrev_b32_e32 v57, 16, v55
	v_add_f16_e32 v55, v55, v57
	s_delay_alu instid0(VALU_DEP_1) | instskip(SKIP_3) | instid1(SALU_CYCLE_1)
	v_add_f16_e32 v55, v55, v56
	global_store_b16 v[20:21], v55, off
	s_or_b32 exec_lo, exec_lo, s16
	s_and_b32 s18, s3, s8
	s_and_saveexec_b32 s16, s18
	s_cbranch_execz .LBB254_120
.LBB254_136:
	v_cmp_ne_u32_e32 vcc_lo, 1, v59
	v_lshlrev_b64 v[20:21], 1, v[30:31]
	s_cbranch_vccnz .LBB254_138
; %bb.137:
	s_delay_alu instid0(VALU_DEP_1) | instskip(NEXT) | instid1(VALU_DEP_2)
	v_add_co_u32 v55, vcc_lo, v40, v20
	v_add_co_ci_u32_e32 v56, vcc_lo, v41, v21, vcc_lo
	flat_load_u16 v55, v[55:56]
	s_waitcnt vmcnt(0) lgkmcnt(0)
	v_mul_f16_e32 v55, s15, v55
	s_branch .LBB254_139
.LBB254_138:
	v_mov_b32_e32 v55, 0
.LBB254_139:
	v_pk_max_f16 v56, v0, v0
	v_pk_max_f16 v57, v14, v14
	;; [unrolled: 1-line block ×4, first 2 shown]
	v_add_co_u32 v20, vcc_lo, v22, v20
	s_delay_alu instid0(VALU_DEP_4) | instskip(SKIP_1) | instid1(VALU_DEP_4)
	v_pk_min_f16 v56, v57, v56
	v_add_co_ci_u32_e32 v21, vcc_lo, v23, v21, vcc_lo
	v_pk_min_f16 v57, v60, v58
	s_delay_alu instid0(VALU_DEP_3) | instskip(NEXT) | instid1(VALU_DEP_1)
	v_pk_add_f16 v54, v54, v56
	v_pk_add_f16 v54, v54, v57
	s_delay_alu instid0(VALU_DEP_1) | instskip(NEXT) | instid1(VALU_DEP_1)
	v_lshrrev_b32_e32 v56, 16, v54
	v_add_f16_e32 v54, v54, v56
	s_delay_alu instid0(VALU_DEP_1) | instskip(SKIP_3) | instid1(SALU_CYCLE_1)
	v_add_f16_e32 v54, v54, v55
	global_store_b16 v[20:21], v54, off
	s_or_b32 exec_lo, exec_lo, s16
	s_and_b32 s18, s4, s8
	s_and_saveexec_b32 s16, s18
	s_cbranch_execz .LBB254_121
.LBB254_140:
	v_cmp_ne_u32_e32 vcc_lo, 1, v59
	v_lshlrev_b64 v[20:21], 1, v[32:33]
	s_cbranch_vccnz .LBB254_142
; %bb.141:
	s_delay_alu instid0(VALU_DEP_1) | instskip(NEXT) | instid1(VALU_DEP_2)
	v_add_co_u32 v54, vcc_lo, v40, v20
	v_add_co_ci_u32_e32 v55, vcc_lo, v41, v21, vcc_lo
	flat_load_u16 v54, v[54:55]
	s_waitcnt vmcnt(0) lgkmcnt(0)
	v_mul_f16_e32 v54, s15, v54
	s_branch .LBB254_143
.LBB254_142:
	v_mov_b32_e32 v54, 0
.LBB254_143:
	v_pk_max_f16 v55, v0, v0
	v_pk_max_f16 v56, v8, v8
	;; [unrolled: 1-line block ×4, first 2 shown]
	v_add_co_u32 v20, vcc_lo, v22, v20
	s_delay_alu instid0(VALU_DEP_4) | instskip(SKIP_1) | instid1(VALU_DEP_4)
	v_pk_min_f16 v55, v56, v55
	v_add_co_ci_u32_e32 v21, vcc_lo, v23, v21, vcc_lo
	v_pk_min_f16 v56, v58, v57
	s_delay_alu instid0(VALU_DEP_3) | instskip(NEXT) | instid1(VALU_DEP_1)
	v_pk_add_f16 v53, v53, v55
	v_pk_add_f16 v53, v53, v56
	s_delay_alu instid0(VALU_DEP_1) | instskip(NEXT) | instid1(VALU_DEP_1)
	v_lshrrev_b32_e32 v55, 16, v53
	v_add_f16_e32 v53, v53, v55
	s_delay_alu instid0(VALU_DEP_1) | instskip(SKIP_3) | instid1(SALU_CYCLE_1)
	v_add_f16_e32 v53, v53, v54
	global_store_b16 v[20:21], v53, off
	s_or_b32 exec_lo, exec_lo, s16
	s_and_b32 s18, s5, s8
	s_and_saveexec_b32 s16, s18
	s_cbranch_execz .LBB254_122
.LBB254_144:
	v_cmp_ne_u32_e32 vcc_lo, 1, v59
	v_lshlrev_b64 v[20:21], 1, v[34:35]
	s_cbranch_vccnz .LBB254_146
; %bb.145:
	s_delay_alu instid0(VALU_DEP_1) | instskip(NEXT) | instid1(VALU_DEP_2)
	v_add_co_u32 v53, vcc_lo, v40, v20
	v_add_co_ci_u32_e32 v54, vcc_lo, v41, v21, vcc_lo
	flat_load_u16 v53, v[53:54]
	s_waitcnt vmcnt(0) lgkmcnt(0)
	v_mul_f16_e32 v53, s15, v53
	s_branch .LBB254_147
.LBB254_146:
	v_mov_b32_e32 v53, 0
.LBB254_147:
	v_pk_max_f16 v54, v0, v0
	v_pk_max_f16 v55, v10, v10
	;; [unrolled: 1-line block ×4, first 2 shown]
	v_add_co_u32 v20, vcc_lo, v22, v20
	s_delay_alu instid0(VALU_DEP_4) | instskip(SKIP_1) | instid1(VALU_DEP_4)
	v_pk_min_f16 v54, v55, v54
	v_add_co_ci_u32_e32 v21, vcc_lo, v23, v21, vcc_lo
	v_pk_min_f16 v55, v57, v56
	s_delay_alu instid0(VALU_DEP_3) | instskip(NEXT) | instid1(VALU_DEP_1)
	v_pk_add_f16 v52, v52, v54
	v_pk_add_f16 v52, v52, v55
	s_delay_alu instid0(VALU_DEP_1) | instskip(NEXT) | instid1(VALU_DEP_1)
	v_lshrrev_b32_e32 v54, 16, v52
	v_add_f16_e32 v52, v52, v54
	s_delay_alu instid0(VALU_DEP_1) | instskip(SKIP_3) | instid1(SALU_CYCLE_1)
	v_add_f16_e32 v52, v52, v53
	global_store_b16 v[20:21], v52, off
	s_or_b32 exec_lo, exec_lo, s16
	s_and_b32 s18, s6, s8
	s_and_saveexec_b32 s16, s18
	s_cbranch_execz .LBB254_123
.LBB254_148:
	v_cmp_ne_u32_e32 vcc_lo, 1, v59
	v_lshlrev_b64 v[20:21], 1, v[36:37]
	s_cbranch_vccnz .LBB254_150
; %bb.149:
	s_delay_alu instid0(VALU_DEP_1) | instskip(NEXT) | instid1(VALU_DEP_2)
	v_add_co_u32 v52, vcc_lo, v40, v20
	v_add_co_ci_u32_e32 v53, vcc_lo, v41, v21, vcc_lo
	flat_load_u16 v52, v[52:53]
	s_waitcnt vmcnt(0) lgkmcnt(0)
	v_mul_f16_e32 v52, s15, v52
	s_branch .LBB254_151
.LBB254_150:
	v_mov_b32_e32 v52, 0
.LBB254_151:
	v_pk_max_f16 v53, v0, v0
	v_pk_max_f16 v54, v4, v4
	;; [unrolled: 1-line block ×4, first 2 shown]
	v_add_co_u32 v20, vcc_lo, v22, v20
	s_delay_alu instid0(VALU_DEP_4) | instskip(SKIP_1) | instid1(VALU_DEP_4)
	v_pk_min_f16 v53, v54, v53
	v_add_co_ci_u32_e32 v21, vcc_lo, v23, v21, vcc_lo
	v_pk_min_f16 v54, v56, v55
	s_delay_alu instid0(VALU_DEP_3) | instskip(NEXT) | instid1(VALU_DEP_1)
	v_pk_add_f16 v51, v51, v53
	v_pk_add_f16 v51, v51, v54
	s_delay_alu instid0(VALU_DEP_1) | instskip(NEXT) | instid1(VALU_DEP_1)
	v_lshrrev_b32_e32 v53, 16, v51
	v_add_f16_e32 v51, v51, v53
	s_delay_alu instid0(VALU_DEP_1) | instskip(SKIP_3) | instid1(SALU_CYCLE_1)
	v_add_f16_e32 v51, v51, v52
	global_store_b16 v[20:21], v51, off
	s_or_b32 exec_lo, exec_lo, s16
	s_and_b32 s16, s7, s8
	s_and_saveexec_b32 s8, s16
	s_cbranch_execz .LBB254_156
.LBB254_152:
	v_cmp_ne_u32_e32 vcc_lo, 1, v59
	v_lshlrev_b64 v[20:21], 1, v[38:39]
	s_cbranch_vccnz .LBB254_154
; %bb.153:
	s_delay_alu instid0(VALU_DEP_1) | instskip(NEXT) | instid1(VALU_DEP_2)
	v_add_co_u32 v40, vcc_lo, v40, v20
	v_add_co_ci_u32_e32 v41, vcc_lo, v41, v21, vcc_lo
	flat_load_u16 v40, v[40:41]
	s_waitcnt vmcnt(0) lgkmcnt(0)
	v_mul_f16_e32 v40, s15, v40
	s_branch .LBB254_155
.LBB254_154:
	v_mov_b32_e32 v40, 0
.LBB254_155:
	v_pk_max_f16 v0, v0, v0
	v_pk_max_f16 v41, v6, v6
	;; [unrolled: 1-line block ×4, first 2 shown]
	s_delay_alu instid0(VALU_DEP_3) | instskip(NEXT) | instid1(VALU_DEP_2)
	v_pk_min_f16 v0, v41, v0
	v_pk_min_f16 v1, v51, v1
	s_delay_alu instid0(VALU_DEP_2) | instskip(NEXT) | instid1(VALU_DEP_1)
	v_pk_add_f16 v0, v50, v0
	v_pk_add_f16 v0, v0, v1
	s_delay_alu instid0(VALU_DEP_1) | instskip(NEXT) | instid1(VALU_DEP_1)
	v_lshrrev_b32_e32 v1, 16, v0
	v_add_f16_e32 v0, v0, v1
	s_delay_alu instid0(VALU_DEP_1)
	v_add_f16_e32 v40, v0, v40
	v_add_co_u32 v0, vcc_lo, v22, v20
	v_add_co_ci_u32_e32 v1, vcc_lo, v23, v21, vcc_lo
	global_store_b16 v[0:1], v40, off
.LBB254_156:
	s_or_b32 exec_lo, exec_lo, s8
	v_add_nc_u32_e32 v22, 0x60, v66
	s_delay_alu instid0(VALU_DEP_1) | instskip(SKIP_2) | instid1(VALU_DEP_3)
	v_mad_i64_i32 v[0:1], null, v22, s12, 0
	v_mad_i64_i32 v[20:21], null, v22, s9, 0
	v_cmp_gt_i32_e64 s8, s17, v22
	v_lshlrev_b64 v[0:1], 1, v[0:1]
	s_delay_alu instid0(VALU_DEP_2) | instskip(NEXT) | instid1(VALU_DEP_3)
	s_and_b32 s9, s0, s8
	v_lshlrev_b64 v[20:21], 1, v[20:21]
	s_delay_alu instid0(VALU_DEP_2) | instskip(NEXT) | instid1(VALU_DEP_3)
	v_add_co_u32 v22, vcc_lo, s10, v0
	v_add_co_ci_u32_e32 v23, vcc_lo, s11, v1, vcc_lo
	s_delay_alu instid0(VALU_DEP_3) | instskip(NEXT) | instid1(VALU_DEP_4)
	v_add_co_u32 v20, vcc_lo, s13, v20
	v_add_co_ci_u32_e32 v21, vcc_lo, s14, v21, vcc_lo
	s_and_saveexec_b32 s0, s9
	s_cbranch_execnz .LBB254_165
; %bb.157:
	s_or_b32 exec_lo, exec_lo, s0
	s_and_b32 s1, s1, s8
	s_delay_alu instid0(SALU_CYCLE_1)
	s_and_saveexec_b32 s0, s1
	s_cbranch_execnz .LBB254_169
.LBB254_158:
	s_or_b32 exec_lo, exec_lo, s0
	s_and_b32 s1, s2, s8
	s_delay_alu instid0(SALU_CYCLE_1)
	s_and_saveexec_b32 s0, s1
	s_cbranch_execnz .LBB254_173
.LBB254_159:
	s_or_b32 exec_lo, exec_lo, s0
	s_and_b32 s1, s3, s8
	s_delay_alu instid0(SALU_CYCLE_1)
	s_and_saveexec_b32 s0, s1
	s_cbranch_execnz .LBB254_177
.LBB254_160:
	s_or_b32 exec_lo, exec_lo, s0
	s_and_b32 s1, s4, s8
	s_delay_alu instid0(SALU_CYCLE_1)
	s_and_saveexec_b32 s0, s1
	s_cbranch_execnz .LBB254_181
.LBB254_161:
	s_or_b32 exec_lo, exec_lo, s0
	s_and_b32 s1, s5, s8
	s_delay_alu instid0(SALU_CYCLE_1)
	s_and_saveexec_b32 s0, s1
	s_cbranch_execnz .LBB254_185
.LBB254_162:
	s_or_b32 exec_lo, exec_lo, s0
	s_and_b32 s1, s6, s8
	s_delay_alu instid0(SALU_CYCLE_1)
	s_and_saveexec_b32 s0, s1
	s_cbranch_execnz .LBB254_189
.LBB254_163:
	s_or_b32 exec_lo, exec_lo, s0
	s_and_b32 s0, s7, s8
	s_delay_alu instid0(SALU_CYCLE_1)
	s_and_saveexec_b32 s1, s0
	s_cbranch_execnz .LBB254_193
.LBB254_164:
	s_nop 0
	s_sendmsg sendmsg(MSG_DEALLOC_VGPRS)
	s_endpgm
.LBB254_165:
	v_cmp_ne_u32_e32 vcc_lo, 1, v59
	v_lshlrev_b64 v[0:1], 1, v[24:25]
	s_cbranch_vccnz .LBB254_167
; %bb.166:
	s_delay_alu instid0(VALU_DEP_1) | instskip(NEXT) | instid1(VALU_DEP_2)
	v_add_co_u32 v24, vcc_lo, v22, v0
	v_add_co_ci_u32_e32 v25, vcc_lo, v23, v1, vcc_lo
	flat_load_u16 v24, v[24:25]
	s_waitcnt vmcnt(0) lgkmcnt(0)
	v_mul_f16_e32 v24, s15, v24
	s_branch .LBB254_168
.LBB254_167:
	v_mov_b32_e32 v24, 0
.LBB254_168:
	v_pk_max_f16 v25, v2, v2
	v_pk_max_f16 v16, v16, v16
	;; [unrolled: 1-line block ×4, first 2 shown]
	v_add_co_u32 v0, vcc_lo, v20, v0
	s_delay_alu instid0(VALU_DEP_4) | instskip(SKIP_1) | instid1(VALU_DEP_4)
	v_pk_min_f16 v16, v16, v25
	v_add_co_ci_u32_e32 v1, vcc_lo, v21, v1, vcc_lo
	v_pk_min_f16 v17, v17, v40
	s_delay_alu instid0(VALU_DEP_3) | instskip(NEXT) | instid1(VALU_DEP_1)
	v_pk_add_f16 v16, v49, v16
	v_pk_add_f16 v16, v16, v17
	s_delay_alu instid0(VALU_DEP_1) | instskip(NEXT) | instid1(VALU_DEP_1)
	v_lshrrev_b32_e32 v17, 16, v16
	v_add_f16_e32 v16, v16, v17
	s_delay_alu instid0(VALU_DEP_1) | instskip(SKIP_3) | instid1(SALU_CYCLE_1)
	v_add_f16_e32 v16, v16, v24
	global_store_b16 v[0:1], v16, off
	s_or_b32 exec_lo, exec_lo, s0
	s_and_b32 s1, s1, s8
	s_and_saveexec_b32 s0, s1
	s_cbranch_execz .LBB254_158
.LBB254_169:
	v_cmp_ne_u32_e32 vcc_lo, 1, v59
	v_lshlrev_b64 v[0:1], 1, v[26:27]
	s_cbranch_vccnz .LBB254_171
; %bb.170:
	s_delay_alu instid0(VALU_DEP_1) | instskip(NEXT) | instid1(VALU_DEP_2)
	v_add_co_u32 v16, vcc_lo, v22, v0
	v_add_co_ci_u32_e32 v17, vcc_lo, v23, v1, vcc_lo
	flat_load_u16 v16, v[16:17]
	s_waitcnt vmcnt(0) lgkmcnt(0)
	v_mul_f16_e32 v16, s15, v16
	s_branch .LBB254_172
.LBB254_171:
	v_mov_b32_e32 v16, 0
.LBB254_172:
	v_pk_max_f16 v17, v2, v2
	v_pk_max_f16 v18, v18, v18
	v_pk_max_f16 v24, v3, v3
	v_pk_max_f16 v19, v19, v19
	v_add_co_u32 v0, vcc_lo, v20, v0
	s_delay_alu instid0(VALU_DEP_4) | instskip(SKIP_1) | instid1(VALU_DEP_4)
	v_pk_min_f16 v17, v18, v17
	v_add_co_ci_u32_e32 v1, vcc_lo, v21, v1, vcc_lo
	v_pk_min_f16 v18, v19, v24
	s_delay_alu instid0(VALU_DEP_3) | instskip(NEXT) | instid1(VALU_DEP_1)
	v_pk_add_f16 v17, v48, v17
	v_pk_add_f16 v17, v17, v18
	s_delay_alu instid0(VALU_DEP_1) | instskip(NEXT) | instid1(VALU_DEP_1)
	v_lshrrev_b32_e32 v18, 16, v17
	v_add_f16_e32 v17, v17, v18
	s_delay_alu instid0(VALU_DEP_1) | instskip(SKIP_3) | instid1(SALU_CYCLE_1)
	v_add_f16_e32 v16, v17, v16
	global_store_b16 v[0:1], v16, off
	s_or_b32 exec_lo, exec_lo, s0
	s_and_b32 s1, s2, s8
	s_and_saveexec_b32 s0, s1
	s_cbranch_execz .LBB254_159
.LBB254_173:
	v_cmp_ne_u32_e32 vcc_lo, 1, v59
	v_lshlrev_b64 v[0:1], 1, v[28:29]
	s_cbranch_vccnz .LBB254_175
; %bb.174:
	s_delay_alu instid0(VALU_DEP_1) | instskip(NEXT) | instid1(VALU_DEP_2)
	v_add_co_u32 v16, vcc_lo, v22, v0
	v_add_co_ci_u32_e32 v17, vcc_lo, v23, v1, vcc_lo
	flat_load_u16 v16, v[16:17]
	s_waitcnt vmcnt(0) lgkmcnt(0)
	v_mul_f16_e32 v16, s15, v16
	s_branch .LBB254_176
.LBB254_175:
	v_mov_b32_e32 v16, 0
.LBB254_176:
	v_pk_max_f16 v17, v2, v2
	v_pk_max_f16 v12, v12, v12
	v_pk_max_f16 v18, v3, v3
	v_pk_max_f16 v13, v13, v13
	v_add_co_u32 v0, vcc_lo, v20, v0
	s_delay_alu instid0(VALU_DEP_4) | instskip(SKIP_1) | instid1(VALU_DEP_4)
	v_pk_min_f16 v12, v12, v17
	v_add_co_ci_u32_e32 v1, vcc_lo, v21, v1, vcc_lo
	v_pk_min_f16 v13, v13, v18
	s_delay_alu instid0(VALU_DEP_3) | instskip(NEXT) | instid1(VALU_DEP_1)
	v_pk_add_f16 v12, v47, v12
	v_pk_add_f16 v12, v12, v13
	s_delay_alu instid0(VALU_DEP_1) | instskip(NEXT) | instid1(VALU_DEP_1)
	v_lshrrev_b32_e32 v13, 16, v12
	v_add_f16_e32 v12, v12, v13
	s_delay_alu instid0(VALU_DEP_1) | instskip(SKIP_3) | instid1(SALU_CYCLE_1)
	v_add_f16_e32 v12, v12, v16
	global_store_b16 v[0:1], v12, off
	s_or_b32 exec_lo, exec_lo, s0
	s_and_b32 s1, s3, s8
	s_and_saveexec_b32 s0, s1
	s_cbranch_execz .LBB254_160
.LBB254_177:
	v_cmp_ne_u32_e32 vcc_lo, 1, v59
	v_lshlrev_b64 v[0:1], 1, v[30:31]
	s_cbranch_vccnz .LBB254_179
; %bb.178:
	s_delay_alu instid0(VALU_DEP_1) | instskip(NEXT) | instid1(VALU_DEP_2)
	v_add_co_u32 v12, vcc_lo, v22, v0
	v_add_co_ci_u32_e32 v13, vcc_lo, v23, v1, vcc_lo
	flat_load_u16 v12, v[12:13]
	s_waitcnt vmcnt(0) lgkmcnt(0)
	v_mul_f16_e32 v12, s15, v12
	s_branch .LBB254_180
.LBB254_179:
	v_mov_b32_e32 v12, 0
.LBB254_180:
	v_pk_max_f16 v13, v2, v2
	v_pk_max_f16 v14, v14, v14
	;; [unrolled: 1-line block ×4, first 2 shown]
	v_add_co_u32 v0, vcc_lo, v20, v0
	s_delay_alu instid0(VALU_DEP_4) | instskip(SKIP_1) | instid1(VALU_DEP_4)
	v_pk_min_f16 v13, v14, v13
	v_add_co_ci_u32_e32 v1, vcc_lo, v21, v1, vcc_lo
	v_pk_min_f16 v14, v15, v16
	s_delay_alu instid0(VALU_DEP_3) | instskip(NEXT) | instid1(VALU_DEP_1)
	v_pk_add_f16 v13, v46, v13
	v_pk_add_f16 v13, v13, v14
	s_delay_alu instid0(VALU_DEP_1) | instskip(NEXT) | instid1(VALU_DEP_1)
	v_lshrrev_b32_e32 v14, 16, v13
	v_add_f16_e32 v13, v13, v14
	s_delay_alu instid0(VALU_DEP_1) | instskip(SKIP_3) | instid1(SALU_CYCLE_1)
	v_add_f16_e32 v12, v13, v12
	global_store_b16 v[0:1], v12, off
	s_or_b32 exec_lo, exec_lo, s0
	s_and_b32 s1, s4, s8
	s_and_saveexec_b32 s0, s1
	s_cbranch_execz .LBB254_161
.LBB254_181:
	v_cmp_ne_u32_e32 vcc_lo, 1, v59
	v_lshlrev_b64 v[0:1], 1, v[32:33]
	s_cbranch_vccnz .LBB254_183
; %bb.182:
	s_delay_alu instid0(VALU_DEP_1) | instskip(NEXT) | instid1(VALU_DEP_2)
	v_add_co_u32 v12, vcc_lo, v22, v0
	v_add_co_ci_u32_e32 v13, vcc_lo, v23, v1, vcc_lo
	flat_load_u16 v12, v[12:13]
	s_waitcnt vmcnt(0) lgkmcnt(0)
	v_mul_f16_e32 v12, s15, v12
	s_branch .LBB254_184
.LBB254_183:
	v_mov_b32_e32 v12, 0
.LBB254_184:
	v_pk_max_f16 v13, v2, v2
	v_pk_max_f16 v8, v8, v8
	;; [unrolled: 1-line block ×4, first 2 shown]
	v_add_co_u32 v0, vcc_lo, v20, v0
	s_delay_alu instid0(VALU_DEP_4) | instskip(SKIP_1) | instid1(VALU_DEP_4)
	v_pk_min_f16 v8, v8, v13
	v_add_co_ci_u32_e32 v1, vcc_lo, v21, v1, vcc_lo
	v_pk_min_f16 v9, v9, v14
	s_delay_alu instid0(VALU_DEP_3) | instskip(NEXT) | instid1(VALU_DEP_1)
	v_pk_add_f16 v8, v45, v8
	v_pk_add_f16 v8, v8, v9
	s_delay_alu instid0(VALU_DEP_1) | instskip(NEXT) | instid1(VALU_DEP_1)
	v_lshrrev_b32_e32 v9, 16, v8
	v_add_f16_e32 v8, v8, v9
	s_delay_alu instid0(VALU_DEP_1) | instskip(SKIP_3) | instid1(SALU_CYCLE_1)
	v_add_f16_e32 v8, v8, v12
	global_store_b16 v[0:1], v8, off
	s_or_b32 exec_lo, exec_lo, s0
	s_and_b32 s1, s5, s8
	s_and_saveexec_b32 s0, s1
	s_cbranch_execz .LBB254_162
.LBB254_185:
	v_cmp_ne_u32_e32 vcc_lo, 1, v59
	v_lshlrev_b64 v[0:1], 1, v[34:35]
	s_cbranch_vccnz .LBB254_187
; %bb.186:
	s_delay_alu instid0(VALU_DEP_1) | instskip(NEXT) | instid1(VALU_DEP_2)
	v_add_co_u32 v8, vcc_lo, v22, v0
	v_add_co_ci_u32_e32 v9, vcc_lo, v23, v1, vcc_lo
	flat_load_u16 v8, v[8:9]
	s_waitcnt vmcnt(0) lgkmcnt(0)
	v_mul_f16_e32 v8, s15, v8
	s_branch .LBB254_188
.LBB254_187:
	v_mov_b32_e32 v8, 0
.LBB254_188:
	v_pk_max_f16 v9, v2, v2
	v_pk_max_f16 v10, v10, v10
	;; [unrolled: 1-line block ×4, first 2 shown]
	v_add_co_u32 v0, vcc_lo, v20, v0
	s_delay_alu instid0(VALU_DEP_4) | instskip(SKIP_1) | instid1(VALU_DEP_4)
	v_pk_min_f16 v9, v10, v9
	v_add_co_ci_u32_e32 v1, vcc_lo, v21, v1, vcc_lo
	v_pk_min_f16 v10, v11, v12
	s_delay_alu instid0(VALU_DEP_3) | instskip(NEXT) | instid1(VALU_DEP_1)
	v_pk_add_f16 v9, v44, v9
	v_pk_add_f16 v9, v9, v10
	s_delay_alu instid0(VALU_DEP_1) | instskip(NEXT) | instid1(VALU_DEP_1)
	v_lshrrev_b32_e32 v10, 16, v9
	v_add_f16_e32 v9, v9, v10
	s_delay_alu instid0(VALU_DEP_1) | instskip(SKIP_3) | instid1(SALU_CYCLE_1)
	v_add_f16_e32 v8, v9, v8
	global_store_b16 v[0:1], v8, off
	s_or_b32 exec_lo, exec_lo, s0
	s_and_b32 s1, s6, s8
	s_and_saveexec_b32 s0, s1
	s_cbranch_execz .LBB254_163
.LBB254_189:
	v_cmp_ne_u32_e32 vcc_lo, 1, v59
	v_lshlrev_b64 v[0:1], 1, v[36:37]
	s_cbranch_vccnz .LBB254_191
; %bb.190:
	s_delay_alu instid0(VALU_DEP_1) | instskip(NEXT) | instid1(VALU_DEP_2)
	v_add_co_u32 v8, vcc_lo, v22, v0
	v_add_co_ci_u32_e32 v9, vcc_lo, v23, v1, vcc_lo
	flat_load_u16 v8, v[8:9]
	s_waitcnt vmcnt(0) lgkmcnt(0)
	v_mul_f16_e32 v8, s15, v8
	s_branch .LBB254_192
.LBB254_191:
	v_mov_b32_e32 v8, 0
.LBB254_192:
	v_pk_max_f16 v9, v2, v2
	v_pk_max_f16 v4, v4, v4
	;; [unrolled: 1-line block ×4, first 2 shown]
	v_add_co_u32 v0, vcc_lo, v20, v0
	s_delay_alu instid0(VALU_DEP_4) | instskip(SKIP_1) | instid1(VALU_DEP_4)
	v_pk_min_f16 v4, v4, v9
	v_add_co_ci_u32_e32 v1, vcc_lo, v21, v1, vcc_lo
	v_pk_min_f16 v5, v5, v10
	s_delay_alu instid0(VALU_DEP_3) | instskip(NEXT) | instid1(VALU_DEP_1)
	v_pk_add_f16 v4, v43, v4
	v_pk_add_f16 v4, v4, v5
	s_delay_alu instid0(VALU_DEP_1) | instskip(NEXT) | instid1(VALU_DEP_1)
	v_lshrrev_b32_e32 v5, 16, v4
	v_add_f16_e32 v4, v4, v5
	s_delay_alu instid0(VALU_DEP_1) | instskip(SKIP_3) | instid1(SALU_CYCLE_1)
	v_add_f16_e32 v4, v4, v8
	global_store_b16 v[0:1], v4, off
	s_or_b32 exec_lo, exec_lo, s0
	s_and_b32 s0, s7, s8
	s_and_saveexec_b32 s1, s0
	s_cbranch_execz .LBB254_164
.LBB254_193:
	v_cmp_ne_u32_e32 vcc_lo, 1, v59
	v_lshlrev_b64 v[0:1], 1, v[38:39]
	s_cbranch_vccnz .LBB254_195
; %bb.194:
	s_delay_alu instid0(VALU_DEP_1) | instskip(NEXT) | instid1(VALU_DEP_2)
	v_add_co_u32 v4, vcc_lo, v22, v0
	v_add_co_ci_u32_e32 v5, vcc_lo, v23, v1, vcc_lo
	flat_load_u16 v4, v[4:5]
	s_waitcnt vmcnt(0) lgkmcnt(0)
	v_mul_f16_e32 v4, s15, v4
	s_branch .LBB254_196
.LBB254_195:
	v_mov_b32_e32 v4, 0
.LBB254_196:
	v_pk_max_f16 v2, v2, v2
	v_pk_max_f16 v5, v6, v6
	;; [unrolled: 1-line block ×4, first 2 shown]
	v_add_co_u32 v0, vcc_lo, v20, v0
	s_delay_alu instid0(VALU_DEP_4) | instskip(SKIP_1) | instid1(VALU_DEP_4)
	v_pk_min_f16 v2, v5, v2
	v_add_co_ci_u32_e32 v1, vcc_lo, v21, v1, vcc_lo
	v_pk_min_f16 v3, v6, v3
	s_delay_alu instid0(VALU_DEP_3) | instskip(NEXT) | instid1(VALU_DEP_1)
	v_pk_add_f16 v2, v42, v2
	v_pk_add_f16 v2, v2, v3
	s_delay_alu instid0(VALU_DEP_1) | instskip(NEXT) | instid1(VALU_DEP_1)
	v_lshrrev_b32_e32 v3, 16, v2
	v_add_f16_e32 v2, v2, v3
	s_delay_alu instid0(VALU_DEP_1)
	v_add_f16_e32 v2, v2, v4
	global_store_b16 v[0:1], v2, off
	s_nop 0
	s_sendmsg sendmsg(MSG_DEALLOC_VGPRS)
	s_endpgm
	.section	.rodata,"a",@progbits
	.p2align	6, 0x0
	.amdhsa_kernel _ZN12_GLOBAL__N_120geam_min_plus_kernelIDF16_Dv2_DF16_S1_Li8ELi32ELi64ELi128ELi4ELi4ELi64ELi64ELi4ELc84ELc84ELb0ELb1ELb0EDF16_KPKDF16_KPDF16_EEviiiT16_PT17_ilS9_ilS7_S9_ilPT18_ili26rocblas_geam_ex_operation_
		.amdhsa_group_segment_fixed_size 3072
		.amdhsa_private_segment_fixed_size 0
		.amdhsa_kernarg_size 128
		.amdhsa_user_sgpr_count 14
		.amdhsa_user_sgpr_dispatch_ptr 0
		.amdhsa_user_sgpr_queue_ptr 0
		.amdhsa_user_sgpr_kernarg_segment_ptr 1
		.amdhsa_user_sgpr_dispatch_id 0
		.amdhsa_user_sgpr_private_segment_size 0
		.amdhsa_wavefront_size32 1
		.amdhsa_uses_dynamic_stack 0
		.amdhsa_enable_private_segment 0
		.amdhsa_system_sgpr_workgroup_id_x 1
		.amdhsa_system_sgpr_workgroup_id_y 0
		.amdhsa_system_sgpr_workgroup_id_z 1
		.amdhsa_system_sgpr_workgroup_info 0
		.amdhsa_system_vgpr_workitem_id 1
		.amdhsa_next_free_vgpr 120
		.amdhsa_next_free_sgpr 28
		.amdhsa_reserve_vcc 1
		.amdhsa_float_round_mode_32 0
		.amdhsa_float_round_mode_16_64 0
		.amdhsa_float_denorm_mode_32 3
		.amdhsa_float_denorm_mode_16_64 3
		.amdhsa_dx10_clamp 1
		.amdhsa_ieee_mode 1
		.amdhsa_fp16_overflow 0
		.amdhsa_workgroup_processor_mode 1
		.amdhsa_memory_ordered 1
		.amdhsa_forward_progress 0
		.amdhsa_shared_vgpr_count 0
		.amdhsa_exception_fp_ieee_invalid_op 0
		.amdhsa_exception_fp_denorm_src 0
		.amdhsa_exception_fp_ieee_div_zero 0
		.amdhsa_exception_fp_ieee_overflow 0
		.amdhsa_exception_fp_ieee_underflow 0
		.amdhsa_exception_fp_ieee_inexact 0
		.amdhsa_exception_int_div_zero 0
	.end_amdhsa_kernel
	.section	.text._ZN12_GLOBAL__N_120geam_min_plus_kernelIDF16_Dv2_DF16_S1_Li8ELi32ELi64ELi128ELi4ELi4ELi64ELi64ELi4ELc84ELc84ELb0ELb1ELb0EDF16_KPKDF16_KPDF16_EEviiiT16_PT17_ilS9_ilS7_S9_ilPT18_ili26rocblas_geam_ex_operation_,"axG",@progbits,_ZN12_GLOBAL__N_120geam_min_plus_kernelIDF16_Dv2_DF16_S1_Li8ELi32ELi64ELi128ELi4ELi4ELi64ELi64ELi4ELc84ELc84ELb0ELb1ELb0EDF16_KPKDF16_KPDF16_EEviiiT16_PT17_ilS9_ilS7_S9_ilPT18_ili26rocblas_geam_ex_operation_,comdat
.Lfunc_end254:
	.size	_ZN12_GLOBAL__N_120geam_min_plus_kernelIDF16_Dv2_DF16_S1_Li8ELi32ELi64ELi128ELi4ELi4ELi64ELi64ELi4ELc84ELc84ELb0ELb1ELb0EDF16_KPKDF16_KPDF16_EEviiiT16_PT17_ilS9_ilS7_S9_ilPT18_ili26rocblas_geam_ex_operation_, .Lfunc_end254-_ZN12_GLOBAL__N_120geam_min_plus_kernelIDF16_Dv2_DF16_S1_Li8ELi32ELi64ELi128ELi4ELi4ELi64ELi64ELi4ELc84ELc84ELb0ELb1ELb0EDF16_KPKDF16_KPDF16_EEviiiT16_PT17_ilS9_ilS7_S9_ilPT18_ili26rocblas_geam_ex_operation_
                                        ; -- End function
	.section	.AMDGPU.csdata,"",@progbits
; Kernel info:
; codeLenInByte = 12980
; NumSgprs: 30
; NumVgprs: 120
; ScratchSize: 0
; MemoryBound: 0
; FloatMode: 240
; IeeeMode: 1
; LDSByteSize: 3072 bytes/workgroup (compile time only)
; SGPRBlocks: 3
; VGPRBlocks: 14
; NumSGPRsForWavesPerEU: 30
; NumVGPRsForWavesPerEU: 120
; Occupancy: 12
; WaveLimiterHint : 1
; COMPUTE_PGM_RSRC2:SCRATCH_EN: 0
; COMPUTE_PGM_RSRC2:USER_SGPR: 14
; COMPUTE_PGM_RSRC2:TRAP_HANDLER: 0
; COMPUTE_PGM_RSRC2:TGID_X_EN: 1
; COMPUTE_PGM_RSRC2:TGID_Y_EN: 0
; COMPUTE_PGM_RSRC2:TGID_Z_EN: 1
; COMPUTE_PGM_RSRC2:TIDIG_COMP_CNT: 1
	.section	.text._ZN12_GLOBAL__N_120geam_ex_scale_kernelILi32ELi32EDF16_DF16_PKDF16_PDF16_EEviiT2_T3_lilT4_lil,"axG",@progbits,_ZN12_GLOBAL__N_120geam_ex_scale_kernelILi32ELi32EDF16_DF16_PKDF16_PDF16_EEviiT2_T3_lilT4_lil,comdat
	.globl	_ZN12_GLOBAL__N_120geam_ex_scale_kernelILi32ELi32EDF16_DF16_PKDF16_PDF16_EEviiT2_T3_lilT4_lil ; -- Begin function _ZN12_GLOBAL__N_120geam_ex_scale_kernelILi32ELi32EDF16_DF16_PKDF16_PDF16_EEviiT2_T3_lilT4_lil
	.p2align	8
	.type	_ZN12_GLOBAL__N_120geam_ex_scale_kernelILi32ELi32EDF16_DF16_PKDF16_PDF16_EEviiT2_T3_lilT4_lil,@function
_ZN12_GLOBAL__N_120geam_ex_scale_kernelILi32ELi32EDF16_DF16_PKDF16_PDF16_EEviiT2_T3_lilT4_lil: ; @_ZN12_GLOBAL__N_120geam_ex_scale_kernelILi32ELi32EDF16_DF16_PKDF16_PDF16_EEviiT2_T3_lilT4_lil
; %bb.0:
	s_clause 0x2
	s_load_b128 s[8:11], s[0:1], 0x0
	s_load_b128 s[4:7], s[0:1], 0x28
	s_load_b64 s[12:13], s[0:1], 0x38
	s_waitcnt lgkmcnt(0)
	v_cmp_eq_f16_e64 s3, s10, 0
	s_delay_alu instid0(VALU_DEP_1)
	s_and_b32 vcc_lo, exec_lo, s3
	s_cbranch_vccnz .LBB255_2
; %bb.1:
	s_load_b128 s[16:19], s[0:1], 0x10
	s_mul_i32 s2, s15, s5
	s_mul_hi_u32 s5, s15, s4
	s_mul_i32 s4, s15, s4
	s_add_i32 s5, s5, s2
	s_delay_alu instid0(SALU_CYCLE_1) | instskip(SKIP_4) | instid1(SALU_CYCLE_1)
	s_lshl_b64 s[4:5], s[4:5], 1
	s_waitcnt lgkmcnt(0)
	s_add_u32 s2, s16, s4
	s_addc_u32 s11, s17, s5
	s_lshl_b64 s[4:5], s[18:19], 1
	s_add_u32 s4, s2, s4
	s_addc_u32 s5, s11, s5
	s_branch .LBB255_3
.LBB255_2:
	s_mov_b64 s[4:5], 0
.LBB255_3:
	s_add_i32 s2, s8, -1
	v_bfe_u32 v2, v0, 10, 10
	s_ashr_i32 s11, s2, 31
	s_delay_alu instid0(SALU_CYCLE_1) | instskip(NEXT) | instid1(SALU_CYCLE_1)
	s_lshr_b32 s11, s11, 27
	s_add_i32 s2, s2, s11
	s_delay_alu instid0(SALU_CYCLE_1) | instskip(NEXT) | instid1(SALU_CYCLE_1)
	s_ashr_i32 s2, s2, 5
	s_add_i32 s11, s2, 1
	s_not_b32 s2, s2
	v_cvt_f32_u32_e32 v1, s11
	s_delay_alu instid0(VALU_DEP_1) | instskip(SKIP_2) | instid1(VALU_DEP_1)
	v_rcp_iflag_f32_e32 v1, v1
	s_waitcnt_depctr 0xfff
	v_mul_f32_e32 v1, 0x4f7ffffe, v1
	v_cvt_u32_f32_e32 v1, v1
	s_delay_alu instid0(VALU_DEP_1) | instskip(SKIP_1) | instid1(VALU_DEP_2)
	v_readfirstlane_b32 s16, v1
	v_and_b32_e32 v1, 0x3ff, v0
	s_mul_i32 s2, s2, s16
	s_delay_alu instid0(SALU_CYCLE_1) | instskip(NEXT) | instid1(SALU_CYCLE_1)
	s_mul_hi_u32 s2, s16, s2
	s_add_i32 s16, s16, s2
	s_delay_alu instid0(SALU_CYCLE_1) | instskip(NEXT) | instid1(SALU_CYCLE_1)
	s_mul_hi_u32 s2, s14, s16
	s_mul_i32 s16, s2, s11
	s_add_i32 s17, s2, 1
	s_sub_i32 s16, s14, s16
	s_delay_alu instid0(SALU_CYCLE_1)
	s_sub_i32 s18, s16, s11
	s_cmp_ge_u32 s16, s11
	s_cselect_b32 s2, s17, s2
	s_cselect_b32 s16, s18, s16
	s_add_i32 s17, s2, 1
	s_cmp_ge_u32 s16, s11
	s_cselect_b32 s2, s17, s2
	s_delay_alu instid0(SALU_CYCLE_1) | instskip(SKIP_2) | instid1(SALU_CYCLE_1)
	s_mul_i32 s11, s2, s11
	v_lshl_add_u32 v2, s2, 5, v2
	s_sub_i32 s11, s14, s11
	v_lshl_add_u32 v0, s11, 5, v1
	s_delay_alu instid0(VALU_DEP_2) | instskip(NEXT) | instid1(VALU_DEP_2)
	v_cmp_gt_u32_e64 s2, s9, v2
	v_cmp_gt_u32_e32 vcc_lo, s8, v0
	s_mov_b32 s8, -1
	s_delay_alu instid0(VALU_DEP_2) | instskip(NEXT) | instid1(SALU_CYCLE_1)
	s_and_b32 s2, vcc_lo, s2
	s_and_saveexec_b32 s9, s2
	s_cbranch_execz .LBB255_9
; %bb.4:
	s_and_not1_b32 vcc_lo, exec_lo, s3
	s_cbranch_vccnz .LBB255_6
; %bb.5:
	v_mov_b32_e32 v1, 0
	s_mov_b32 s8, 0
.LBB255_6:
	s_delay_alu instid0(SALU_CYCLE_1) | instskip(NEXT) | instid1(VALU_DEP_1)
	v_cndmask_b32_e64 v3, 0, 1, s8
	v_cmp_ne_u32_e32 vcc_lo, 1, v3
	v_mov_b32_e32 v3, s8
	s_cbranch_vccnz .LBB255_8
; %bb.7:
	s_load_b32 s2, s[0:1], 0x20
	v_mov_b32_e32 v1, 0
	s_waitcnt lgkmcnt(0)
	s_delay_alu instid0(VALU_DEP_1)
	v_mad_u64_u32 v[3:4], null, v2, s2, v[0:1]
	s_ashr_i32 s2, s2, 31
	s_delay_alu instid0(VALU_DEP_1) | instid1(SALU_CYCLE_1)
	v_mad_u64_u32 v[5:6], null, v2, s2, v[4:5]
	s_delay_alu instid0(VALU_DEP_1) | instskip(NEXT) | instid1(VALU_DEP_1)
	v_mov_b32_e32 v4, v5
	v_lshlrev_b64 v[3:4], 1, v[3:4]
	s_delay_alu instid0(VALU_DEP_1) | instskip(NEXT) | instid1(VALU_DEP_2)
	v_add_co_u32 v3, vcc_lo, s4, v3
	v_add_co_ci_u32_e32 v4, vcc_lo, s5, v4, vcc_lo
	flat_load_u16 v3, v[3:4]
	s_waitcnt vmcnt(0) lgkmcnt(0)
	v_mul_f16_e32 v3, s10, v3
.LBB255_8:
	s_clause 0x1
	s_load_b64 s[2:3], s[0:1], 0x48
	s_load_b32 s4, s[0:1], 0x40
	v_lshlrev_b64 v[0:1], 1, v[0:1]
	s_waitcnt lgkmcnt(0)
	s_mul_i32 s1, s15, s3
	s_mul_hi_u32 s3, s15, s2
	s_mul_i32 s0, s15, s2
	s_add_i32 s1, s3, s1
	v_mad_u64_u32 v[4:5], null, v2, s4, 0
	s_lshl_b64 s[0:1], s[0:1], 1
	s_delay_alu instid0(SALU_CYCLE_1) | instskip(SKIP_2) | instid1(SALU_CYCLE_1)
	s_add_u32 s2, s6, s0
	s_addc_u32 s3, s7, s1
	s_lshl_b64 s[0:1], s[12:13], 1
	s_add_u32 s0, s2, s0
	s_addc_u32 s1, s3, s1
	s_ashr_i32 s2, s4, 31
	s_delay_alu instid0(SALU_CYCLE_1) | instskip(NEXT) | instid1(VALU_DEP_1)
	v_mad_u64_u32 v[6:7], null, v2, s2, v[5:6]
	v_mov_b32_e32 v5, v6
	s_delay_alu instid0(VALU_DEP_1) | instskip(NEXT) | instid1(VALU_DEP_1)
	v_lshlrev_b64 v[4:5], 1, v[4:5]
	v_add_co_u32 v2, vcc_lo, s0, v4
	s_delay_alu instid0(VALU_DEP_2) | instskip(NEXT) | instid1(VALU_DEP_2)
	v_add_co_ci_u32_e32 v4, vcc_lo, s1, v5, vcc_lo
	v_add_co_u32 v0, vcc_lo, v2, v0
	s_delay_alu instid0(VALU_DEP_2)
	v_add_co_ci_u32_e32 v1, vcc_lo, v4, v1, vcc_lo
	global_store_b16 v[0:1], v3, off
.LBB255_9:
	s_nop 0
	s_sendmsg sendmsg(MSG_DEALLOC_VGPRS)
	s_endpgm
	.section	.rodata,"a",@progbits
	.p2align	6, 0x0
	.amdhsa_kernel _ZN12_GLOBAL__N_120geam_ex_scale_kernelILi32ELi32EDF16_DF16_PKDF16_PDF16_EEviiT2_T3_lilT4_lil
		.amdhsa_group_segment_fixed_size 0
		.amdhsa_private_segment_fixed_size 0
		.amdhsa_kernarg_size 80
		.amdhsa_user_sgpr_count 14
		.amdhsa_user_sgpr_dispatch_ptr 0
		.amdhsa_user_sgpr_queue_ptr 0
		.amdhsa_user_sgpr_kernarg_segment_ptr 1
		.amdhsa_user_sgpr_dispatch_id 0
		.amdhsa_user_sgpr_private_segment_size 0
		.amdhsa_wavefront_size32 1
		.amdhsa_uses_dynamic_stack 0
		.amdhsa_enable_private_segment 0
		.amdhsa_system_sgpr_workgroup_id_x 1
		.amdhsa_system_sgpr_workgroup_id_y 0
		.amdhsa_system_sgpr_workgroup_id_z 1
		.amdhsa_system_sgpr_workgroup_info 0
		.amdhsa_system_vgpr_workitem_id 1
		.amdhsa_next_free_vgpr 8
		.amdhsa_next_free_sgpr 20
		.amdhsa_reserve_vcc 1
		.amdhsa_float_round_mode_32 0
		.amdhsa_float_round_mode_16_64 0
		.amdhsa_float_denorm_mode_32 3
		.amdhsa_float_denorm_mode_16_64 3
		.amdhsa_dx10_clamp 1
		.amdhsa_ieee_mode 1
		.amdhsa_fp16_overflow 0
		.amdhsa_workgroup_processor_mode 1
		.amdhsa_memory_ordered 1
		.amdhsa_forward_progress 0
		.amdhsa_shared_vgpr_count 0
		.amdhsa_exception_fp_ieee_invalid_op 0
		.amdhsa_exception_fp_denorm_src 0
		.amdhsa_exception_fp_ieee_div_zero 0
		.amdhsa_exception_fp_ieee_overflow 0
		.amdhsa_exception_fp_ieee_underflow 0
		.amdhsa_exception_fp_ieee_inexact 0
		.amdhsa_exception_int_div_zero 0
	.end_amdhsa_kernel
	.section	.text._ZN12_GLOBAL__N_120geam_ex_scale_kernelILi32ELi32EDF16_DF16_PKDF16_PDF16_EEviiT2_T3_lilT4_lil,"axG",@progbits,_ZN12_GLOBAL__N_120geam_ex_scale_kernelILi32ELi32EDF16_DF16_PKDF16_PDF16_EEviiT2_T3_lilT4_lil,comdat
.Lfunc_end255:
	.size	_ZN12_GLOBAL__N_120geam_ex_scale_kernelILi32ELi32EDF16_DF16_PKDF16_PDF16_EEviiT2_T3_lilT4_lil, .Lfunc_end255-_ZN12_GLOBAL__N_120geam_ex_scale_kernelILi32ELi32EDF16_DF16_PKDF16_PDF16_EEviiT2_T3_lilT4_lil
                                        ; -- End function
	.section	.AMDGPU.csdata,"",@progbits
; Kernel info:
; codeLenInByte = 636
; NumSgprs: 22
; NumVgprs: 8
; ScratchSize: 0
; MemoryBound: 0
; FloatMode: 240
; IeeeMode: 1
; LDSByteSize: 0 bytes/workgroup (compile time only)
; SGPRBlocks: 2
; VGPRBlocks: 0
; NumSGPRsForWavesPerEU: 22
; NumVGPRsForWavesPerEU: 8
; Occupancy: 16
; WaveLimiterHint : 0
; COMPUTE_PGM_RSRC2:SCRATCH_EN: 0
; COMPUTE_PGM_RSRC2:USER_SGPR: 14
; COMPUTE_PGM_RSRC2:TRAP_HANDLER: 0
; COMPUTE_PGM_RSRC2:TGID_X_EN: 1
; COMPUTE_PGM_RSRC2:TGID_Y_EN: 0
; COMPUTE_PGM_RSRC2:TGID_Z_EN: 1
; COMPUTE_PGM_RSRC2:TIDIG_COMP_CNT: 1
	.section	.text._ZN12_GLOBAL__N_120geam_ex_scale_kernelILi32ELi32EDF16_PKDF16_S2_PDF16_EEviiT2_T3_lilT4_lil,"axG",@progbits,_ZN12_GLOBAL__N_120geam_ex_scale_kernelILi32ELi32EDF16_PKDF16_S2_PDF16_EEviiT2_T3_lilT4_lil,comdat
	.globl	_ZN12_GLOBAL__N_120geam_ex_scale_kernelILi32ELi32EDF16_PKDF16_S2_PDF16_EEviiT2_T3_lilT4_lil ; -- Begin function _ZN12_GLOBAL__N_120geam_ex_scale_kernelILi32ELi32EDF16_PKDF16_S2_PDF16_EEviiT2_T3_lilT4_lil
	.p2align	8
	.type	_ZN12_GLOBAL__N_120geam_ex_scale_kernelILi32ELi32EDF16_PKDF16_S2_PDF16_EEviiT2_T3_lilT4_lil,@function
_ZN12_GLOBAL__N_120geam_ex_scale_kernelILi32ELi32EDF16_PKDF16_S2_PDF16_EEviiT2_T3_lilT4_lil: ; @_ZN12_GLOBAL__N_120geam_ex_scale_kernelILi32ELi32EDF16_PKDF16_S2_PDF16_EEviiT2_T3_lilT4_lil
; %bb.0:
	s_clause 0x1
	s_load_b128 s[8:11], s[0:1], 0x8
	s_load_b128 s[4:7], s[0:1], 0x28
	v_mov_b32_e32 v1, 0
	s_waitcnt lgkmcnt(0)
	global_load_u16 v2, v1, s[8:9]
	s_load_b64 s[8:9], s[0:1], 0x38
	s_waitcnt vmcnt(0)
	v_cmp_eq_f16_e64 s2, 0, v2
	s_delay_alu instid0(VALU_DEP_1)
	s_and_b32 vcc_lo, exec_lo, s2
	s_cbranch_vccnz .LBB256_2
; %bb.1:
	s_load_b64 s[12:13], s[0:1], 0x18
	s_mul_i32 s3, s15, s5
	s_mul_hi_u32 s5, s15, s4
	s_mul_i32 s4, s15, s4
	s_add_i32 s5, s5, s3
	s_delay_alu instid0(SALU_CYCLE_1) | instskip(NEXT) | instid1(SALU_CYCLE_1)
	s_lshl_b64 s[4:5], s[4:5], 1
	s_add_u32 s3, s10, s4
	s_addc_u32 s10, s11, s5
	s_waitcnt lgkmcnt(0)
	s_lshl_b64 s[4:5], s[12:13], 1
	s_delay_alu instid0(SALU_CYCLE_1)
	s_add_u32 s4, s3, s4
	s_addc_u32 s5, s10, s5
	s_branch .LBB256_3
.LBB256_2:
	s_mov_b64 s[4:5], 0
.LBB256_3:
	s_load_b64 s[10:11], s[0:1], 0x0
	v_bfe_u32 v3, v0, 10, 10
	s_waitcnt lgkmcnt(0)
	s_add_i32 s3, s10, -1
	s_delay_alu instid0(SALU_CYCLE_1) | instskip(NEXT) | instid1(SALU_CYCLE_1)
	s_ashr_i32 s12, s3, 31
	s_lshr_b32 s12, s12, 27
	s_delay_alu instid0(SALU_CYCLE_1) | instskip(NEXT) | instid1(SALU_CYCLE_1)
	s_add_i32 s3, s3, s12
	s_ashr_i32 s3, s3, 5
	s_delay_alu instid0(SALU_CYCLE_1) | instskip(SKIP_2) | instid1(VALU_DEP_1)
	s_add_i32 s12, s3, 1
	s_not_b32 s3, s3
	v_cvt_f32_u32_e32 v1, s12
	v_rcp_iflag_f32_e32 v1, v1
	s_waitcnt_depctr 0xfff
	v_mul_f32_e32 v1, 0x4f7ffffe, v1
	s_delay_alu instid0(VALU_DEP_1) | instskip(NEXT) | instid1(VALU_DEP_1)
	v_cvt_u32_f32_e32 v1, v1
	v_readfirstlane_b32 s13, v1
	v_and_b32_e32 v1, 0x3ff, v0
	s_delay_alu instid0(VALU_DEP_2) | instskip(NEXT) | instid1(SALU_CYCLE_1)
	s_mul_i32 s3, s3, s13
	s_mul_hi_u32 s3, s13, s3
	s_delay_alu instid0(SALU_CYCLE_1) | instskip(NEXT) | instid1(SALU_CYCLE_1)
	s_add_i32 s13, s13, s3
	s_mul_hi_u32 s3, s14, s13
	s_delay_alu instid0(SALU_CYCLE_1) | instskip(SKIP_2) | instid1(SALU_CYCLE_1)
	s_mul_i32 s13, s3, s12
	s_add_i32 s16, s3, 1
	s_sub_i32 s13, s14, s13
	s_sub_i32 s17, s13, s12
	s_cmp_ge_u32 s13, s12
	s_cselect_b32 s3, s16, s3
	s_cselect_b32 s13, s17, s13
	s_add_i32 s16, s3, 1
	s_cmp_ge_u32 s13, s12
	s_cselect_b32 s3, s16, s3
	s_delay_alu instid0(SALU_CYCLE_1) | instskip(SKIP_2) | instid1(SALU_CYCLE_1)
	s_mul_i32 s12, s3, s12
	v_lshl_add_u32 v3, s3, 5, v3
	s_sub_i32 s12, s14, s12
	v_lshl_add_u32 v0, s12, 5, v1
	s_delay_alu instid0(VALU_DEP_2) | instskip(NEXT) | instid1(VALU_DEP_2)
	v_cmp_gt_u32_e64 s3, s11, v3
	v_cmp_gt_u32_e32 vcc_lo, s10, v0
	s_mov_b32 s10, -1
	s_delay_alu instid0(VALU_DEP_2) | instskip(NEXT) | instid1(SALU_CYCLE_1)
	s_and_b32 s3, vcc_lo, s3
	s_and_saveexec_b32 s11, s3
	s_cbranch_execz .LBB256_9
; %bb.4:
	s_and_not1_b32 vcc_lo, exec_lo, s2
	s_cbranch_vccnz .LBB256_6
; %bb.5:
	v_mov_b32_e32 v1, 0
	s_mov_b32 s10, 0
.LBB256_6:
	s_delay_alu instid0(SALU_CYCLE_1) | instskip(NEXT) | instid1(VALU_DEP_1)
	v_cndmask_b32_e64 v4, 0, 1, s10
	v_cmp_ne_u32_e32 vcc_lo, 1, v4
	v_mov_b32_e32 v4, s10
	s_cbranch_vccnz .LBB256_8
; %bb.7:
	s_load_b32 s2, s[0:1], 0x20
	v_mov_b32_e32 v1, 0
	s_waitcnt lgkmcnt(0)
	s_delay_alu instid0(VALU_DEP_1)
	v_mad_u64_u32 v[4:5], null, v3, s2, v[0:1]
	s_ashr_i32 s2, s2, 31
	s_delay_alu instid0(VALU_DEP_1) | instid1(SALU_CYCLE_1)
	v_mad_u64_u32 v[6:7], null, v3, s2, v[5:6]
	s_delay_alu instid0(VALU_DEP_1) | instskip(NEXT) | instid1(VALU_DEP_1)
	v_mov_b32_e32 v5, v6
	v_lshlrev_b64 v[4:5], 1, v[4:5]
	s_delay_alu instid0(VALU_DEP_1) | instskip(NEXT) | instid1(VALU_DEP_2)
	v_add_co_u32 v4, vcc_lo, s4, v4
	v_add_co_ci_u32_e32 v5, vcc_lo, s5, v5, vcc_lo
	flat_load_u16 v4, v[4:5]
	s_waitcnt vmcnt(0) lgkmcnt(0)
	v_mul_f16_e32 v4, v2, v4
.LBB256_8:
	s_clause 0x1
	s_load_b64 s[2:3], s[0:1], 0x48
	s_load_b32 s4, s[0:1], 0x40
	v_lshlrev_b64 v[0:1], 1, v[0:1]
	s_waitcnt lgkmcnt(0)
	s_mul_i32 s1, s15, s3
	v_mad_u64_u32 v[5:6], null, v3, s4, 0
	s_mul_hi_u32 s3, s15, s2
	s_mul_i32 s0, s15, s2
	s_add_i32 s1, s3, s1
	s_delay_alu instid0(SALU_CYCLE_1) | instskip(NEXT) | instid1(SALU_CYCLE_1)
	s_lshl_b64 s[0:1], s[0:1], 1
	s_add_u32 s2, s6, s0
	s_addc_u32 s3, s7, s1
	s_lshl_b64 s[0:1], s[8:9], 1
	v_mov_b32_e32 v2, v6
	s_add_u32 s0, s2, s0
	s_addc_u32 s1, s3, s1
	s_ashr_i32 s2, s4, 31
	s_delay_alu instid0(VALU_DEP_1) | instid1(SALU_CYCLE_1)
	v_mad_u64_u32 v[6:7], null, v3, s2, v[2:3]
	s_delay_alu instid0(VALU_DEP_1) | instskip(NEXT) | instid1(VALU_DEP_1)
	v_lshlrev_b64 v[2:3], 1, v[5:6]
	v_add_co_u32 v2, vcc_lo, s0, v2
	s_delay_alu instid0(VALU_DEP_2) | instskip(NEXT) | instid1(VALU_DEP_2)
	v_add_co_ci_u32_e32 v3, vcc_lo, s1, v3, vcc_lo
	v_add_co_u32 v0, vcc_lo, v2, v0
	s_delay_alu instid0(VALU_DEP_2)
	v_add_co_ci_u32_e32 v1, vcc_lo, v3, v1, vcc_lo
	global_store_b16 v[0:1], v4, off
.LBB256_9:
	s_nop 0
	s_sendmsg sendmsg(MSG_DEALLOC_VGPRS)
	s_endpgm
	.section	.rodata,"a",@progbits
	.p2align	6, 0x0
	.amdhsa_kernel _ZN12_GLOBAL__N_120geam_ex_scale_kernelILi32ELi32EDF16_PKDF16_S2_PDF16_EEviiT2_T3_lilT4_lil
		.amdhsa_group_segment_fixed_size 0
		.amdhsa_private_segment_fixed_size 0
		.amdhsa_kernarg_size 80
		.amdhsa_user_sgpr_count 14
		.amdhsa_user_sgpr_dispatch_ptr 0
		.amdhsa_user_sgpr_queue_ptr 0
		.amdhsa_user_sgpr_kernarg_segment_ptr 1
		.amdhsa_user_sgpr_dispatch_id 0
		.amdhsa_user_sgpr_private_segment_size 0
		.amdhsa_wavefront_size32 1
		.amdhsa_uses_dynamic_stack 0
		.amdhsa_enable_private_segment 0
		.amdhsa_system_sgpr_workgroup_id_x 1
		.amdhsa_system_sgpr_workgroup_id_y 0
		.amdhsa_system_sgpr_workgroup_id_z 1
		.amdhsa_system_sgpr_workgroup_info 0
		.amdhsa_system_vgpr_workitem_id 1
		.amdhsa_next_free_vgpr 8
		.amdhsa_next_free_sgpr 18
		.amdhsa_reserve_vcc 1
		.amdhsa_float_round_mode_32 0
		.amdhsa_float_round_mode_16_64 0
		.amdhsa_float_denorm_mode_32 3
		.amdhsa_float_denorm_mode_16_64 3
		.amdhsa_dx10_clamp 1
		.amdhsa_ieee_mode 1
		.amdhsa_fp16_overflow 0
		.amdhsa_workgroup_processor_mode 1
		.amdhsa_memory_ordered 1
		.amdhsa_forward_progress 0
		.amdhsa_shared_vgpr_count 0
		.amdhsa_exception_fp_ieee_invalid_op 0
		.amdhsa_exception_fp_denorm_src 0
		.amdhsa_exception_fp_ieee_div_zero 0
		.amdhsa_exception_fp_ieee_overflow 0
		.amdhsa_exception_fp_ieee_underflow 0
		.amdhsa_exception_fp_ieee_inexact 0
		.amdhsa_exception_int_div_zero 0
	.end_amdhsa_kernel
	.section	.text._ZN12_GLOBAL__N_120geam_ex_scale_kernelILi32ELi32EDF16_PKDF16_S2_PDF16_EEviiT2_T3_lilT4_lil,"axG",@progbits,_ZN12_GLOBAL__N_120geam_ex_scale_kernelILi32ELi32EDF16_PKDF16_S2_PDF16_EEviiT2_T3_lilT4_lil,comdat
.Lfunc_end256:
	.size	_ZN12_GLOBAL__N_120geam_ex_scale_kernelILi32ELi32EDF16_PKDF16_S2_PDF16_EEviiT2_T3_lilT4_lil, .Lfunc_end256-_ZN12_GLOBAL__N_120geam_ex_scale_kernelILi32ELi32EDF16_PKDF16_S2_PDF16_EEviiT2_T3_lilT4_lil
                                        ; -- End function
	.section	.AMDGPU.csdata,"",@progbits
; Kernel info:
; codeLenInByte = 668
; NumSgprs: 20
; NumVgprs: 8
; ScratchSize: 0
; MemoryBound: 0
; FloatMode: 240
; IeeeMode: 1
; LDSByteSize: 0 bytes/workgroup (compile time only)
; SGPRBlocks: 2
; VGPRBlocks: 0
; NumSGPRsForWavesPerEU: 20
; NumVGPRsForWavesPerEU: 8
; Occupancy: 16
; WaveLimiterHint : 0
; COMPUTE_PGM_RSRC2:SCRATCH_EN: 0
; COMPUTE_PGM_RSRC2:USER_SGPR: 14
; COMPUTE_PGM_RSRC2:TRAP_HANDLER: 0
; COMPUTE_PGM_RSRC2:TGID_X_EN: 1
; COMPUTE_PGM_RSRC2:TGID_Y_EN: 0
; COMPUTE_PGM_RSRC2:TGID_Z_EN: 1
; COMPUTE_PGM_RSRC2:TIDIG_COMP_CNT: 1
	.section	.text._ZN12_GLOBAL__N_120geam_ex_round_kernelILi32ELi32EDF16_DF16_PKDF16_PDF16_EEviiT2_T3_lilT4_lil,"axG",@progbits,_ZN12_GLOBAL__N_120geam_ex_round_kernelILi32ELi32EDF16_DF16_PKDF16_PDF16_EEviiT2_T3_lilT4_lil,comdat
	.globl	_ZN12_GLOBAL__N_120geam_ex_round_kernelILi32ELi32EDF16_DF16_PKDF16_PDF16_EEviiT2_T3_lilT4_lil ; -- Begin function _ZN12_GLOBAL__N_120geam_ex_round_kernelILi32ELi32EDF16_DF16_PKDF16_PDF16_EEviiT2_T3_lilT4_lil
	.p2align	8
	.type	_ZN12_GLOBAL__N_120geam_ex_round_kernelILi32ELi32EDF16_DF16_PKDF16_PDF16_EEviiT2_T3_lilT4_lil,@function
_ZN12_GLOBAL__N_120geam_ex_round_kernelILi32ELi32EDF16_DF16_PKDF16_PDF16_EEviiT2_T3_lilT4_lil: ; @_ZN12_GLOBAL__N_120geam_ex_round_kernelILi32ELi32EDF16_DF16_PKDF16_PDF16_EEviiT2_T3_lilT4_lil
; %bb.0:
	s_clause 0x2
	s_load_b128 s[8:11], s[0:1], 0x0
	s_load_b128 s[4:7], s[0:1], 0x28
	s_load_b64 s[12:13], s[0:1], 0x38
	s_waitcnt lgkmcnt(0)
	v_cmp_eq_f16_e64 s3, s10, 0
	s_delay_alu instid0(VALU_DEP_1)
	s_and_b32 vcc_lo, exec_lo, s3
	s_cbranch_vccnz .LBB257_2
; %bb.1:
	s_load_b128 s[16:19], s[0:1], 0x10
	s_mul_i32 s2, s15, s5
	s_mul_hi_u32 s5, s15, s4
	s_mul_i32 s4, s15, s4
	s_add_i32 s5, s5, s2
	s_delay_alu instid0(SALU_CYCLE_1) | instskip(SKIP_4) | instid1(SALU_CYCLE_1)
	s_lshl_b64 s[4:5], s[4:5], 1
	s_waitcnt lgkmcnt(0)
	s_add_u32 s2, s16, s4
	s_addc_u32 s11, s17, s5
	s_lshl_b64 s[4:5], s[18:19], 1
	s_add_u32 s4, s2, s4
	s_addc_u32 s5, s11, s5
	s_branch .LBB257_3
.LBB257_2:
	s_mov_b64 s[4:5], 0
.LBB257_3:
	s_add_i32 s2, s8, -1
	v_bfe_u32 v2, v0, 10, 10
	s_ashr_i32 s11, s2, 31
	s_delay_alu instid0(SALU_CYCLE_1) | instskip(NEXT) | instid1(SALU_CYCLE_1)
	s_lshr_b32 s11, s11, 27
	s_add_i32 s2, s2, s11
	s_delay_alu instid0(SALU_CYCLE_1) | instskip(NEXT) | instid1(SALU_CYCLE_1)
	s_ashr_i32 s2, s2, 5
	s_add_i32 s11, s2, 1
	s_not_b32 s2, s2
	v_cvt_f32_u32_e32 v1, s11
	s_delay_alu instid0(VALU_DEP_1) | instskip(SKIP_2) | instid1(VALU_DEP_1)
	v_rcp_iflag_f32_e32 v1, v1
	s_waitcnt_depctr 0xfff
	v_mul_f32_e32 v1, 0x4f7ffffe, v1
	v_cvt_u32_f32_e32 v1, v1
	s_delay_alu instid0(VALU_DEP_1) | instskip(SKIP_1) | instid1(VALU_DEP_2)
	v_readfirstlane_b32 s16, v1
	v_and_b32_e32 v1, 0x3ff, v0
	s_mul_i32 s2, s2, s16
	s_delay_alu instid0(SALU_CYCLE_1) | instskip(NEXT) | instid1(SALU_CYCLE_1)
	s_mul_hi_u32 s2, s16, s2
	s_add_i32 s16, s16, s2
	s_delay_alu instid0(SALU_CYCLE_1) | instskip(NEXT) | instid1(SALU_CYCLE_1)
	s_mul_hi_u32 s2, s14, s16
	s_mul_i32 s16, s2, s11
	s_add_i32 s17, s2, 1
	s_sub_i32 s16, s14, s16
	s_delay_alu instid0(SALU_CYCLE_1)
	s_sub_i32 s18, s16, s11
	s_cmp_ge_u32 s16, s11
	s_cselect_b32 s2, s17, s2
	s_cselect_b32 s16, s18, s16
	s_add_i32 s17, s2, 1
	s_cmp_ge_u32 s16, s11
	s_cselect_b32 s2, s17, s2
	s_delay_alu instid0(SALU_CYCLE_1) | instskip(SKIP_2) | instid1(SALU_CYCLE_1)
	s_mul_i32 s11, s2, s11
	v_lshl_add_u32 v3, s2, 5, v2
	s_sub_i32 s11, s14, s11
	v_lshl_add_u32 v0, s11, 5, v1
	s_delay_alu instid0(VALU_DEP_2) | instskip(NEXT) | instid1(VALU_DEP_2)
	v_cmp_gt_u32_e64 s2, s9, v3
	v_cmp_gt_u32_e32 vcc_lo, s8, v0
	s_mov_b32 s8, -1
	s_delay_alu instid0(VALU_DEP_2) | instskip(NEXT) | instid1(SALU_CYCLE_1)
	s_and_b32 s2, vcc_lo, s2
	s_and_saveexec_b32 s9, s2
	s_cbranch_execz .LBB257_10
; %bb.4:
	s_and_not1_b32 vcc_lo, exec_lo, s3
	s_cbranch_vccnz .LBB257_6
; %bb.5:
	v_mov_b32_e32 v2, 0
	s_mov_b32 s8, 0
	s_delay_alu instid0(VALU_DEP_1)
	v_mov_b32_e32 v1, v2
	s_branch .LBB257_7
.LBB257_6:
                                        ; implicit-def: $vgpr1_vgpr2
.LBB257_7:
	v_cndmask_b32_e64 v4, 0, 1, s8
	s_delay_alu instid0(VALU_DEP_1)
	v_cmp_ne_u32_e32 vcc_lo, 1, v4
	v_mov_b32_e32 v4, s8
	s_cbranch_vccnz .LBB257_9
; %bb.8:
	s_load_b32 s2, s[0:1], 0x20
	v_mov_b32_e32 v2, 0
	s_delay_alu instid0(VALU_DEP_1) | instskip(SKIP_1) | instid1(VALU_DEP_1)
	v_mov_b32_e32 v1, v2
	s_waitcnt lgkmcnt(0)
	v_mad_u64_u32 v[4:5], null, v3, s2, v[0:1]
	s_ashr_i32 s2, s2, 31
	s_delay_alu instid0(VALU_DEP_1) | instid1(SALU_CYCLE_1)
	v_mad_u64_u32 v[6:7], null, v3, s2, v[5:6]
	s_delay_alu instid0(VALU_DEP_1) | instskip(NEXT) | instid1(VALU_DEP_1)
	v_mov_b32_e32 v5, v6
	v_lshlrev_b64 v[4:5], 1, v[4:5]
	s_delay_alu instid0(VALU_DEP_1) | instskip(NEXT) | instid1(VALU_DEP_2)
	v_add_co_u32 v4, vcc_lo, s4, v4
	v_add_co_ci_u32_e32 v5, vcc_lo, s5, v5, vcc_lo
	flat_load_u16 v4, v[4:5]
	s_waitcnt vmcnt(0) lgkmcnt(0)
	v_mul_f16_e32 v4, s10, v4
.LBB257_9:
	s_clause 0x1
	s_load_b64 s[2:3], s[0:1], 0x48
	s_load_b32 s4, s[0:1], 0x40
	v_lshlrev_b64 v[0:1], 1, v[0:1]
	s_waitcnt lgkmcnt(0)
	s_mul_i32 s1, s15, s3
	s_mul_hi_u32 s3, s15, s2
	s_mul_i32 s0, s15, s2
	s_add_i32 s1, s3, s1
	v_mul_lo_u32 v2, v2, s4
	s_lshl_b64 s[0:1], s[0:1], 1
	v_mad_u64_u32 v[5:6], null, v3, s4, 0
	s_add_u32 s2, s6, s0
	s_addc_u32 s3, s7, s1
	s_lshl_b64 s[0:1], s[12:13], 1
	s_delay_alu instid0(SALU_CYCLE_1) | instskip(SKIP_2) | instid1(SALU_CYCLE_1)
	s_add_u32 s0, s2, s0
	s_addc_u32 s1, s3, s1
	s_ashr_i32 s2, s4, 31
	v_mul_lo_u32 v3, v3, s2
	s_delay_alu instid0(VALU_DEP_1) | instskip(NEXT) | instid1(VALU_DEP_1)
	v_add3_u32 v6, v6, v3, v2
	v_lshlrev_b64 v[2:3], 1, v[5:6]
	s_delay_alu instid0(VALU_DEP_1) | instskip(NEXT) | instid1(VALU_DEP_2)
	v_add_co_u32 v2, vcc_lo, s0, v2
	v_add_co_ci_u32_e32 v3, vcc_lo, s1, v3, vcc_lo
	s_delay_alu instid0(VALU_DEP_2) | instskip(NEXT) | instid1(VALU_DEP_2)
	v_add_co_u32 v0, vcc_lo, v2, v0
	v_add_co_ci_u32_e32 v1, vcc_lo, v3, v1, vcc_lo
	v_cmp_nlt_f16_e32 vcc_lo, 0, v4
	v_cndmask_b32_e32 v2, 0, v4, vcc_lo
	global_store_b16 v[0:1], v2, off
.LBB257_10:
	s_nop 0
	s_sendmsg sendmsg(MSG_DEALLOC_VGPRS)
	s_endpgm
	.section	.rodata,"a",@progbits
	.p2align	6, 0x0
	.amdhsa_kernel _ZN12_GLOBAL__N_120geam_ex_round_kernelILi32ELi32EDF16_DF16_PKDF16_PDF16_EEviiT2_T3_lilT4_lil
		.amdhsa_group_segment_fixed_size 0
		.amdhsa_private_segment_fixed_size 0
		.amdhsa_kernarg_size 80
		.amdhsa_user_sgpr_count 14
		.amdhsa_user_sgpr_dispatch_ptr 0
		.amdhsa_user_sgpr_queue_ptr 0
		.amdhsa_user_sgpr_kernarg_segment_ptr 1
		.amdhsa_user_sgpr_dispatch_id 0
		.amdhsa_user_sgpr_private_segment_size 0
		.amdhsa_wavefront_size32 1
		.amdhsa_uses_dynamic_stack 0
		.amdhsa_enable_private_segment 0
		.amdhsa_system_sgpr_workgroup_id_x 1
		.amdhsa_system_sgpr_workgroup_id_y 0
		.amdhsa_system_sgpr_workgroup_id_z 1
		.amdhsa_system_sgpr_workgroup_info 0
		.amdhsa_system_vgpr_workitem_id 1
		.amdhsa_next_free_vgpr 8
		.amdhsa_next_free_sgpr 20
		.amdhsa_reserve_vcc 1
		.amdhsa_float_round_mode_32 0
		.amdhsa_float_round_mode_16_64 0
		.amdhsa_float_denorm_mode_32 3
		.amdhsa_float_denorm_mode_16_64 3
		.amdhsa_dx10_clamp 1
		.amdhsa_ieee_mode 1
		.amdhsa_fp16_overflow 0
		.amdhsa_workgroup_processor_mode 1
		.amdhsa_memory_ordered 1
		.amdhsa_forward_progress 0
		.amdhsa_shared_vgpr_count 0
		.amdhsa_exception_fp_ieee_invalid_op 0
		.amdhsa_exception_fp_denorm_src 0
		.amdhsa_exception_fp_ieee_div_zero 0
		.amdhsa_exception_fp_ieee_overflow 0
		.amdhsa_exception_fp_ieee_underflow 0
		.amdhsa_exception_fp_ieee_inexact 0
		.amdhsa_exception_int_div_zero 0
	.end_amdhsa_kernel
	.section	.text._ZN12_GLOBAL__N_120geam_ex_round_kernelILi32ELi32EDF16_DF16_PKDF16_PDF16_EEviiT2_T3_lilT4_lil,"axG",@progbits,_ZN12_GLOBAL__N_120geam_ex_round_kernelILi32ELi32EDF16_DF16_PKDF16_PDF16_EEviiT2_T3_lilT4_lil,comdat
.Lfunc_end257:
	.size	_ZN12_GLOBAL__N_120geam_ex_round_kernelILi32ELi32EDF16_DF16_PKDF16_PDF16_EEviiT2_T3_lilT4_lil, .Lfunc_end257-_ZN12_GLOBAL__N_120geam_ex_round_kernelILi32ELi32EDF16_DF16_PKDF16_PDF16_EEviiT2_T3_lilT4_lil
                                        ; -- End function
	.section	.AMDGPU.csdata,"",@progbits
; Kernel info:
; codeLenInByte = 668
; NumSgprs: 22
; NumVgprs: 8
; ScratchSize: 0
; MemoryBound: 0
; FloatMode: 240
; IeeeMode: 1
; LDSByteSize: 0 bytes/workgroup (compile time only)
; SGPRBlocks: 2
; VGPRBlocks: 0
; NumSGPRsForWavesPerEU: 22
; NumVGPRsForWavesPerEU: 8
; Occupancy: 16
; WaveLimiterHint : 0
; COMPUTE_PGM_RSRC2:SCRATCH_EN: 0
; COMPUTE_PGM_RSRC2:USER_SGPR: 14
; COMPUTE_PGM_RSRC2:TRAP_HANDLER: 0
; COMPUTE_PGM_RSRC2:TGID_X_EN: 1
; COMPUTE_PGM_RSRC2:TGID_Y_EN: 0
; COMPUTE_PGM_RSRC2:TGID_Z_EN: 1
; COMPUTE_PGM_RSRC2:TIDIG_COMP_CNT: 1
	.section	.text._ZN12_GLOBAL__N_120geam_min_plus_kernelIDF16_Dv2_DF16_S1_Li32ELi8ELi256ELi64ELi4ELi64ELi4ELi4ELi64ELc78ELc78ELb0ELb0ELb1EPKDF16_S2_DF16_EEviiiT16_PT17_ilS6_ilS4_S6_ilPT18_ili26rocblas_geam_ex_operation_,"axG",@progbits,_ZN12_GLOBAL__N_120geam_min_plus_kernelIDF16_Dv2_DF16_S1_Li32ELi8ELi256ELi64ELi4ELi64ELi4ELi4ELi64ELc78ELc78ELb0ELb0ELb1EPKDF16_S2_DF16_EEviiiT16_PT17_ilS6_ilS4_S6_ilPT18_ili26rocblas_geam_ex_operation_,comdat
	.globl	_ZN12_GLOBAL__N_120geam_min_plus_kernelIDF16_Dv2_DF16_S1_Li32ELi8ELi256ELi64ELi4ELi64ELi4ELi4ELi64ELc78ELc78ELb0ELb0ELb1EPKDF16_S2_DF16_EEviiiT16_PT17_ilS6_ilS4_S6_ilPT18_ili26rocblas_geam_ex_operation_ ; -- Begin function _ZN12_GLOBAL__N_120geam_min_plus_kernelIDF16_Dv2_DF16_S1_Li32ELi8ELi256ELi64ELi4ELi64ELi4ELi4ELi64ELc78ELc78ELb0ELb0ELb1EPKDF16_S2_DF16_EEviiiT16_PT17_ilS6_ilS4_S6_ilPT18_ili26rocblas_geam_ex_operation_
	.p2align	8
	.type	_ZN12_GLOBAL__N_120geam_min_plus_kernelIDF16_Dv2_DF16_S1_Li32ELi8ELi256ELi64ELi4ELi64ELi4ELi4ELi64ELc78ELc78ELb0ELb0ELb1EPKDF16_S2_DF16_EEviiiT16_PT17_ilS6_ilS4_S6_ilPT18_ili26rocblas_geam_ex_operation_,@function
_ZN12_GLOBAL__N_120geam_min_plus_kernelIDF16_Dv2_DF16_S1_Li32ELi8ELi256ELi64ELi4ELi64ELi4ELi4ELi64ELc78ELc78ELb0ELb0ELb1EPKDF16_S2_DF16_EEviiiT16_PT17_ilS6_ilS4_S6_ilPT18_ili26rocblas_geam_ex_operation_: ; @_ZN12_GLOBAL__N_120geam_min_plus_kernelIDF16_Dv2_DF16_S1_Li32ELi8ELi256ELi64ELi4ELi64ELi4ELi4ELi64ELc78ELc78ELb0ELb0ELb1EPKDF16_S2_DF16_EEviiiT16_PT17_ilS6_ilS4_S6_ilPT18_ili26rocblas_geam_ex_operation_
; %bb.0:
	s_clause 0x1
	s_load_b128 s[4:7], s[0:1], 0x10
	s_load_b128 s[8:11], s[0:1], 0x28
	s_mov_b32 s12, s15
	s_mov_b32 s13, 0
	v_mov_b32_e32 v1, 0
	s_lshl_b64 s[2:3], s[12:13], 1
	s_mov_b64 s[20:21], 0
	s_waitcnt lgkmcnt(0)
	s_add_u32 s4, s4, s2
	s_addc_u32 s5, s5, s3
	global_load_u16 v40, v1, s[4:5]
	s_clause 0x1
	s_load_b128 s[16:19], s[0:1], 0x40
	s_load_b64 s[22:23], s[0:1], 0x50
	s_waitcnt lgkmcnt(0)
	s_add_u32 s2, s18, s2
	s_addc_u32 s3, s19, s3
	s_mov_b64 s[18:19], 0
	s_waitcnt vmcnt(0)
	v_cmp_eq_f16_e32 vcc_lo, 0, v40
	v_cmp_neq_f16_e64 s4, 0, v40
	s_cbranch_vccnz .LBB258_2
; %bb.1:
	s_mul_i32 s5, s12, s9
	s_mul_hi_u32 s9, s12, s8
	s_mul_i32 s8, s12, s8
	s_add_i32 s9, s9, s5
	s_delay_alu instid0(SALU_CYCLE_1) | instskip(NEXT) | instid1(SALU_CYCLE_1)
	s_lshl_b64 s[8:9], s[8:9], 1
	s_add_u32 s18, s6, s8
	s_addc_u32 s19, s7, s9
.LBB258_2:
	global_load_u16 v48, v1, s[2:3]
	v_cndmask_b32_e64 v1, 0, 1, s4
	s_and_not1_b32 vcc_lo, exec_lo, s4
	s_delay_alu instid0(VALU_DEP_1)
	v_cmp_ne_u32_e64 s3, 1, v1
	s_cbranch_vccnz .LBB258_4
; %bb.3:
	s_mul_i32 s2, s12, s17
	s_mul_hi_u32 s5, s12, s16
	s_mul_i32 s6, s12, s16
	s_add_i32 s7, s5, s2
	s_delay_alu instid0(SALU_CYCLE_1) | instskip(NEXT) | instid1(SALU_CYCLE_1)
	s_lshl_b64 s[6:7], s[6:7], 1
	s_add_u32 s20, s10, s6
	s_addc_u32 s21, s11, s7
.LBB258_4:
	s_load_b128 s[8:11], s[0:1], 0x60
	s_waitcnt vmcnt(0)
	v_cmp_eq_f16_e32 vcc_lo, 0, v48
	s_and_b32 s2, exec_lo, vcc_lo
	s_delay_alu instid0(SALU_CYCLE_1)
	s_mov_b32 vcc_lo, s2
	s_cbranch_vccnz .LBB258_6
; %bb.5:
	s_waitcnt lgkmcnt(0)
	s_mul_i32 s5, s12, s9
	s_mul_hi_u32 s6, s12, s8
	s_delay_alu instid0(SALU_CYCLE_1) | instskip(SKIP_1) | instid1(SALU_CYCLE_1)
	s_add_i32 s7, s6, s5
	s_mul_i32 s6, s12, s8
	s_lshl_b64 s[6:7], s[6:7], 1
	s_delay_alu instid0(SALU_CYCLE_1)
	s_add_u32 s6, s22, s6
	s_addc_u32 s7, s23, s7
	s_branch .LBB258_7
.LBB258_6:
	s_mov_b64 s[6:7], 0
.LBB258_7:
	s_load_b32 s5, s[0:1], 0x0
	s_waitcnt lgkmcnt(0)
	s_load_b32 s8, s[0:1], 0x20
	v_and_b32_e32 v38, 0x3ff, v0
	v_bfe_u32 v39, v0, 10, 10
	s_delay_alu instid0(VALU_DEP_1) | instskip(NEXT) | instid1(VALU_DEP_1)
	v_lshl_add_u32 v4, v39, 5, v38
	v_lshrrev_b32_e32 v2, 6, v4
	v_and_b32_e32 v3, 63, v4
	s_add_i32 s5, s5, -1
	s_delay_alu instid0(SALU_CYCLE_1) | instskip(NEXT) | instid1(SALU_CYCLE_1)
	s_ashr_i32 s9, s5, 31
	s_lshr_b32 s9, s9, 24
	s_delay_alu instid0(SALU_CYCLE_1) | instskip(NEXT) | instid1(SALU_CYCLE_1)
	s_add_i32 s5, s5, s9
	s_ashr_i32 s5, s5, 8
	s_delay_alu instid0(SALU_CYCLE_1) | instskip(SKIP_2) | instid1(VALU_DEP_1)
	s_add_i32 s15, s5, 1
	s_not_b32 s5, s5
	v_cvt_f32_u32_e32 v1, s15
	v_rcp_iflag_f32_e32 v1, v1
	s_waitcnt_depctr 0xfff
	v_mul_f32_e32 v1, 0x4f7ffffe, v1
	s_delay_alu instid0(VALU_DEP_1) | instskip(NEXT) | instid1(VALU_DEP_1)
	v_cvt_u32_f32_e32 v1, v1
	v_readfirstlane_b32 s9, v1
	s_waitcnt lgkmcnt(0)
	v_mad_i64_i32 v[0:1], null, s8, v2, 0
	s_delay_alu instid0(VALU_DEP_2) | instskip(NEXT) | instid1(SALU_CYCLE_1)
	s_mul_i32 s5, s5, s9
	s_mul_hi_u32 s5, s9, s5
	s_delay_alu instid0(VALU_DEP_1) | instskip(SKIP_1) | instid1(SALU_CYCLE_1)
	v_lshlrev_b64 v[5:6], 1, v[0:1]
	s_add_i32 s9, s9, s5
	s_mul_hi_u32 s5, s14, s9
	s_ashr_i32 s9, s8, 31
	s_mul_i32 s13, s5, s15
	s_add_i32 s16, s5, 1
	s_sub_i32 s13, s14, s13
	v_add_co_u32 v5, vcc_lo, s18, v5
	s_sub_i32 s17, s13, s15
	s_cmp_ge_u32 s13, s15
	v_add_co_ci_u32_e32 v6, vcc_lo, s19, v6, vcc_lo
	s_cselect_b32 s5, s16, s5
	s_cselect_b32 s13, s17, s13
	s_add_i32 s16, s5, 1
	s_cmp_ge_u32 s13, s15
	s_cselect_b32 s13, s16, s5
	s_and_b32 vcc_lo, exec_lo, s3
	s_mul_i32 s16, s13, s15
	s_delay_alu instid0(SALU_CYCLE_1) | instskip(NEXT) | instid1(SALU_CYCLE_1)
	s_sub_i32 s5, s14, s16
	s_lshl_b32 s5, s5, 8
	s_delay_alu instid0(SALU_CYCLE_1) | instskip(NEXT) | instid1(VALU_DEP_1)
	v_or_b32_e32 v0, s5, v3
	v_ashrrev_i32_e32 v1, 31, v0
	s_cbranch_vccnz .LBB258_10
; %bb.8:
	s_delay_alu instid0(VALU_DEP_1) | instskip(NEXT) | instid1(VALU_DEP_1)
	v_lshlrev_b64 v[7:8], 1, v[0:1]
	v_add_co_u32 v7, vcc_lo, v5, v7
	s_delay_alu instid0(VALU_DEP_2)
	v_add_co_ci_u32_e32 v8, vcc_lo, v6, v8, vcc_lo
	s_clause 0x1
	flat_load_u16 v9, v[7:8]
	flat_load_u16 v7, v[7:8] offset:128
	s_waitcnt vmcnt(1) lgkmcnt(1)
	v_mul_f16_e32 v10, v40, v9
	s_waitcnt vmcnt(0) lgkmcnt(0)
	v_mul_f16_e32 v11, v40, v7
	s_and_b32 vcc_lo, exec_lo, s3
	s_cbranch_vccnz .LBB258_11
.LBB258_9:
	v_lshlrev_b64 v[7:8], 1, v[0:1]
	s_delay_alu instid0(VALU_DEP_1) | instskip(NEXT) | instid1(VALU_DEP_2)
	v_add_co_u32 v5, vcc_lo, v5, v7
	v_add_co_ci_u32_e32 v6, vcc_lo, v6, v8, vcc_lo
	s_clause 0x1
	flat_load_u16 v7, v[5:6] offset:256
	flat_load_u16 v5, v[5:6] offset:384
	s_waitcnt vmcnt(1) lgkmcnt(1)
	v_mul_f16_e32 v12, v40, v7
	s_waitcnt vmcnt(0) lgkmcnt(0)
	v_mul_f16_e32 v13, v40, v5
	s_branch .LBB258_12
.LBB258_10:
	v_dual_mov_b32 v10, 0 :: v_dual_mov_b32 v11, 0
	s_and_b32 vcc_lo, exec_lo, s3
	s_cbranch_vccz .LBB258_9
.LBB258_11:
	v_dual_mov_b32 v12, 0 :: v_dual_mov_b32 v13, 0
.LBB258_12:
	s_load_b32 s15, s[0:1], 0x38
	v_lshrrev_b32_e32 v9, 2, v4
	v_and_b32_e32 v4, 3, v38
	s_lshl_b32 s13, s13, 6
	s_and_b32 vcc_lo, exec_lo, s3
	s_delay_alu instid0(VALU_DEP_2) | instskip(NEXT) | instid1(VALU_DEP_2)
	v_add_nc_u32_e32 v5, s13, v9
	v_lshlrev_b32_e32 v4, 1, v4
	s_cbranch_vccnz .LBB258_14
; %bb.13:
	s_waitcnt lgkmcnt(0)
	s_delay_alu instid0(VALU_DEP_2) | instskip(NEXT) | instid1(VALU_DEP_1)
	v_mad_i64_i32 v[6:7], null, v5, s15, 0
	v_lshlrev_b64 v[6:7], 1, v[6:7]
	s_delay_alu instid0(VALU_DEP_1) | instskip(NEXT) | instid1(VALU_DEP_2)
	v_add_co_u32 v6, vcc_lo, s20, v6
	v_add_co_ci_u32_e32 v7, vcc_lo, s21, v7, vcc_lo
	s_delay_alu instid0(VALU_DEP_2) | instskip(NEXT) | instid1(VALU_DEP_2)
	v_add_co_u32 v6, vcc_lo, v6, v4
	v_add_co_ci_u32_e32 v7, vcc_lo, 0, v7, vcc_lo
	flat_load_u16 v6, v[6:7]
	s_waitcnt vmcnt(0) lgkmcnt(0)
	v_mul_f16_e32 v14, v40, v6
	s_branch .LBB258_15
.LBB258_14:
	v_mov_b32_e32 v14, 0
.LBB258_15:
	v_add_nc_u32_e32 v8, 4, v2
	s_delay_alu instid0(VALU_DEP_1) | instskip(NEXT) | instid1(VALU_DEP_1)
	v_mad_i64_i32 v[6:7], null, s8, v8, 0
	v_lshlrev_b64 v[6:7], 1, v[6:7]
	s_delay_alu instid0(VALU_DEP_1) | instskip(NEXT) | instid1(VALU_DEP_2)
	v_add_co_u32 v8, vcc_lo, s18, v6
	v_add_co_ci_u32_e32 v15, vcc_lo, s19, v7, vcc_lo
	s_and_b32 vcc_lo, exec_lo, s3
	s_cbranch_vccnz .LBB258_19
; %bb.16:
	v_lshlrev_b64 v[6:7], 1, v[0:1]
	s_delay_alu instid0(VALU_DEP_1) | instskip(NEXT) | instid1(VALU_DEP_2)
	v_add_co_u32 v6, vcc_lo, v8, v6
	v_add_co_ci_u32_e32 v7, vcc_lo, v15, v7, vcc_lo
	s_clause 0x1
	flat_load_u16 v16, v[6:7]
	flat_load_u16 v7, v[6:7] offset:128
	s_waitcnt vmcnt(1) lgkmcnt(0)
	v_mul_f16_e32 v6, v40, v16
	s_waitcnt vmcnt(0)
	v_mul_f16_e32 v7, v40, v7
	s_and_b32 vcc_lo, exec_lo, s3
	s_cbranch_vccnz .LBB258_20
.LBB258_17:
	v_lshlrev_b64 v[0:1], 1, v[0:1]
	s_delay_alu instid0(VALU_DEP_1) | instskip(NEXT) | instid1(VALU_DEP_2)
	v_add_co_u32 v0, vcc_lo, v8, v0
	v_add_co_ci_u32_e32 v1, vcc_lo, v15, v1, vcc_lo
	s_clause 0x1
	flat_load_u16 v8, v[0:1] offset:256
	flat_load_u16 v1, v[0:1] offset:384
	s_waitcnt vmcnt(1) lgkmcnt(0)
	v_mul_f16_e32 v0, v40, v8
	s_waitcnt vmcnt(0)
	v_mul_f16_e32 v1, v40, v1
	s_and_b32 vcc_lo, exec_lo, s3
	s_cbranch_vccnz .LBB258_21
.LBB258_18:
	s_waitcnt lgkmcnt(0)
	v_mad_i64_i32 v[15:16], null, v5, s15, 0
	s_delay_alu instid0(VALU_DEP_1) | instskip(NEXT) | instid1(VALU_DEP_1)
	v_lshlrev_b64 v[15:16], 1, v[15:16]
	v_add_co_u32 v8, vcc_lo, s20, v15
	s_delay_alu instid0(VALU_DEP_2) | instskip(NEXT) | instid1(VALU_DEP_2)
	v_add_co_ci_u32_e32 v16, vcc_lo, s21, v16, vcc_lo
	v_add_co_u32 v15, vcc_lo, v8, v4
	s_delay_alu instid0(VALU_DEP_2)
	v_add_co_ci_u32_e32 v16, vcc_lo, 0, v16, vcc_lo
	flat_load_u16 v8, v[15:16] offset:8
	s_waitcnt vmcnt(0) lgkmcnt(0)
	v_mul_f16_e32 v8, v40, v8
	s_branch .LBB258_22
.LBB258_19:
	v_dual_mov_b32 v6, 0 :: v_dual_mov_b32 v7, 0
	s_and_b32 vcc_lo, exec_lo, s3
	s_cbranch_vccz .LBB258_17
.LBB258_20:
	v_dual_mov_b32 v0, 0 :: v_dual_mov_b32 v1, 0
	s_and_b32 vcc_lo, exec_lo, s3
	s_cbranch_vccz .LBB258_18
.LBB258_21:
	v_mov_b32_e32 v8, 0
.LBB258_22:
	v_lshlrev_b32_e32 v15, 1, v2
	v_lshlrev_b32_e32 v41, 3, v39
	;; [unrolled: 1-line block ×3, first 2 shown]
	v_lshl_or_b32 v9, v9, 3, v4
	s_load_b32 s17, s[0:1], 0x8
	v_lshl_add_u32 v43, v3, 3, v15
	v_add_nc_u32_e32 v44, 0x1000, v41
	ds_store_b16 v43, v10
	ds_store_b16 v43, v11 offset:512
	ds_store_b16 v43, v12 offset:1024
	;; [unrolled: 1-line block ×4, first 2 shown]
	s_waitcnt lgkmcnt(0)
	s_barrier
	buffer_gl0_inv
	ds_load_2addr_b64 v[10:13], v42 offset1:32
	ds_load_2addr_b64 v[14:17], v44 offset1:8
	ds_load_2addr_b64 v[18:21], v42 offset0:64 offset1:96
	ds_load_2addr_b64 v[22:25], v42 offset0:128 offset1:160
	;; [unrolled: 1-line block ×5, first 2 shown]
	s_cmp_lt_i32 s17, 9
	s_waitcnt lgkmcnt(5)
	v_pk_add_f16 v45, v10, v14
	v_pk_add_f16 v46, v12, v14
	s_waitcnt lgkmcnt(4)
	v_pk_add_f16 v47, v18, v14
	v_pk_add_f16 v49, v20, v14
	;; [unrolled: 3-line block ×3, first 2 shown]
	v_pk_min_f16 v45, 0x7c00, v45 op_sel_hi:[0,1]
	v_pk_add_f16 v55, v12, v16
	v_pk_add_f16 v80, v23, v15
	v_pk_add_f16 v51, v24, v14
	s_waitcnt lgkmcnt(2)
	v_pk_add_f16 v60, v26, v16
	v_pk_min_f16 v116, v45, v76
	v_pk_min_f16 v45, 0x7c00, v46 op_sel_hi:[0,1]
	v_pk_min_f16 v46, 0x7c00, v47 op_sel_hi:[0,1]
	;; [unrolled: 1-line block ×4, first 2 shown]
	s_waitcnt lgkmcnt(1)
	v_pk_add_f16 v62, v10, v30
	v_pk_add_f16 v63, v12, v30
	;; [unrolled: 1-line block ×9, first 2 shown]
	v_pk_min_f16 v112, v49, v80
	v_pk_min_f16 v49, 0x7c00, v55 op_sel_hi:[0,1]
	v_pk_add_f16 v52, v26, v14
	v_pk_add_f16 v53, v28, v14
	;; [unrolled: 1-line block ×18, first 2 shown]
	v_pk_min_f16 v50, 0x7c00, v51 op_sel_hi:[0,1]
	v_pk_min_f16 v104, v49, v85
	v_pk_min_f16 v49, 0x7c00, v60 op_sel_hi:[0,1]
	v_pk_min_f16 v30, 0x7c00, v30 op_sel_hi:[0,1]
	v_pk_add_f16 v57, v20, v16
	v_pk_add_f16 v58, v22, v16
	v_pk_add_f16 v59, v24, v16
	v_pk_add_f16 v61, v28, v16
	v_pk_add_f16 v69, v10, v32
	v_pk_add_f16 v70, v12, v32
	v_pk_add_f16 v72, v20, v32
	v_pk_add_f16 v73, v22, v32
	v_pk_add_f16 v74, v24, v32
	v_pk_add_f16 v75, v26, v32
	v_pk_add_f16 v32, v28, v32
	v_pk_add_f16 v82, v27, v15
	v_pk_add_f16 v83, v29, v15
	v_pk_add_f16 v84, v11, v17
	v_pk_add_f16 v86, v19, v17
	v_pk_add_f16 v87, v21, v17
	v_pk_add_f16 v88, v23, v17
	v_pk_add_f16 v89, v25, v17
	v_pk_add_f16 v91, v29, v17
	v_pk_add_f16 v120, v19, v33
	ds_load_2addr_b64 v[14:17], v44 offset0:48 offset1:56
	v_pk_min_f16 v115, v45, v77
	v_pk_min_f16 v114, v46, v78
	;; [unrolled: 1-line block ×4, first 2 shown]
	v_pk_min_f16 v45, 0x7c00, v52 op_sel_hi:[0,1]
	v_pk_min_f16 v46, 0x7c00, v53 op_sel_hi:[0,1]
	;; [unrolled: 1-line block ×4, first 2 shown]
	v_pk_min_f16 v99, v49, v90
	v_pk_min_f16 v90, v30, v31
	v_pk_min_f16 v30, 0x7c00, v71 op_sel_hi:[0,1]
	v_pk_add_f16 v118, v11, v33
	v_pk_add_f16 v119, v13, v33
	;; [unrolled: 1-line block ×7, first 2 shown]
	s_waitcnt lgkmcnt(1)
	v_pk_add_f16 v125, v10, v34
	v_pk_add_f16 v126, v12, v34
	;; [unrolled: 1-line block ×3, first 2 shown]
	v_pk_min_f16 v107, v45, v82
	v_pk_min_f16 v106, v46, v83
	;; [unrolled: 1-line block ×4, first 2 shown]
	v_pk_min_f16 v45, 0x7c00, v57 op_sel_hi:[0,1]
	v_pk_min_f16 v46, 0x7c00, v58 op_sel_hi:[0,1]
	;; [unrolled: 1-line block ×4, first 2 shown]
	v_pk_min_f16 v86, v30, v120
	v_pk_min_f16 v30, 0x7c00, v32 op_sel_hi:[0,1]
	v_pk_add_f16 v127, v18, v34
	v_pk_add_f16 v128, v20, v34
	;; [unrolled: 1-line block ×9, first 2 shown]
	v_pk_min_f16 v102, v45, v87
	v_pk_min_f16 v101, v46, v88
	;; [unrolled: 1-line block ×3, first 2 shown]
	v_pk_min_f16 v45, 0x7c00, v62 op_sel_hi:[0,1]
	v_pk_min_f16 v46, 0x7c00, v63 op_sel_hi:[0,1]
	;; [unrolled: 1-line block ×3, first 2 shown]
	v_pk_min_f16 v85, v31, v121
	v_pk_min_f16 v31, 0x7c00, v125 op_sel_hi:[0,1]
	v_pk_min_f16 v32, 0x7c00, v126 op_sel_hi:[0,1]
	v_pk_min_f16 v81, v30, v33
	v_pk_min_f16 v30, 0x7c00, v129 op_sel_hi:[0,1]
	v_pk_add_f16 v132, v10, v36
	v_pk_add_f16 v134, v18, v36
	;; [unrolled: 1-line block ×11, first 2 shown]
	v_pk_min_f16 v50, 0x7c00, v61 op_sel_hi:[0,1]
	v_pk_min_f16 v97, v45, v92
	v_pk_min_f16 v96, v46, v93
	;; [unrolled: 1-line block ×3, first 2 shown]
	v_pk_min_f16 v45, 0x7c00, v67 op_sel_hi:[0,1]
	v_pk_min_f16 v46, 0x7c00, v68 op_sel_hi:[0,1]
	;; [unrolled: 1-line block ×3, first 2 shown]
	v_pk_min_f16 v80, v31, v138
	v_pk_min_f16 v79, v32, v139
	v_pk_min_f16 v31, 0x7c00, v130 op_sel_hi:[0,1]
	v_pk_min_f16 v32, 0x7c00, v131 op_sel_hi:[0,1]
	;; [unrolled: 1-line block ×3, first 2 shown]
	v_pk_min_f16 v76, v30, v142
	v_pk_min_f16 v30, 0x7c00, v133 op_sel_hi:[0,1]
	v_pk_add_f16 v44, v24, v36
	v_pk_add_f16 v36, v28, v36
	;; [unrolled: 1-line block ×7, first 2 shown]
	s_waitcnt lgkmcnt(0)
	v_pk_add_f16 v152, v10, v14
	v_pk_add_f16 v153, v12, v14
	v_pk_min_f16 v98, v50, v91
	v_pk_min_f16 v49, 0x7c00, v65 op_sel_hi:[0,1]
	v_pk_min_f16 v92, v45, v111
	v_pk_min_f16 v91, v46, v117
	;; [unrolled: 1-line block ×3, first 2 shown]
	v_pk_min_f16 v45, 0x7c00, v73 op_sel_hi:[0,1]
	v_pk_min_f16 v46, 0x7c00, v74 op_sel_hi:[0,1]
	;; [unrolled: 1-line block ×4, first 2 shown]
	v_pk_min_f16 v75, v31, v143
	v_pk_min_f16 v74, v32, v144
	;; [unrolled: 1-line block ×3, first 2 shown]
	v_pk_min_f16 v31, 0x7c00, v134 op_sel_hi:[0,1]
	v_pk_min_f16 v32, 0x7c00, v135 op_sel_hi:[0,1]
	;; [unrolled: 1-line block ×3, first 2 shown]
	v_pk_min_f16 v71, v30, v146
	v_pk_min_f16 v30, 0x7c00, v137 op_sel_hi:[0,1]
	v_pk_add_f16 v150, v25, v37
	v_pk_add_f16 v37, v29, v37
	;; [unrolled: 1-line block ×5, first 2 shown]
	v_pk_min_f16 v50, 0x7c00, v66 op_sel_hi:[0,1]
	v_pk_min_f16 v94, v49, v108
	v_pk_min_f16 v49, 0x7c00, v70 op_sel_hi:[0,1]
	v_pk_min_f16 v72, v34, v145
	;; [unrolled: 2-line block ×3, first 2 shown]
	v_pk_min_f16 v69, v32, v148
	v_pk_min_f16 v68, v33, v149
	v_pk_min_f16 v31, 0x7c00, v36 op_sel_hi:[0,1]
	v_pk_min_f16 v32, 0x7c00, v152 op_sel_hi:[0,1]
	;; [unrolled: 1-line block ×3, first 2 shown]
	v_pk_min_f16 v66, v30, v151
	v_pk_add_f16 v30, v22, v14
	v_pk_add_f16 v10, v10, v16
	v_pk_add_f16 v157, v20, v14
	v_pk_add_f16 v158, v19, v15
	v_pk_min_f16 v67, v34, v150
	v_pk_min_f16 v65, v31, v37
	v_pk_add_f16 v31, v24, v14
	v_pk_min_f16 v64, v32, v154
	v_pk_add_f16 v32, v26, v14
	v_pk_min_f16 v34, 0x7c00, v156 op_sel_hi:[0,1]
	v_pk_min_f16 v30, 0x7c00, v30 op_sel_hi:[0,1]
	v_pk_min_f16 v63, v33, v155
	v_pk_add_f16 v14, v28, v14
	v_pk_add_f16 v33, v23, v15
	;; [unrolled: 1-line block ×6, first 2 shown]
	v_pk_min_f16 v62, v34, v158
	v_pk_add_f16 v34, v25, v15
	v_pk_min_f16 v14, 0x7c00, v14 op_sel_hi:[0,1]
	v_pk_min_f16 v10, 0x7c00, v10 op_sel_hi:[0,1]
	v_pk_min_f16 v60, v30, v33
	v_pk_add_f16 v30, v27, v15
	v_pk_add_f16 v15, v29, v15
	;; [unrolled: 1-line block ×5, first 2 shown]
	v_pk_min_f16 v12, 0x7c00, v12 op_sel_hi:[0,1]
	v_pk_min_f16 v18, 0x7c00, v18 op_sel_hi:[0,1]
	v_pk_add_f16 v22, v22, v16
	v_pk_min_f16 v57, v14, v15
	v_pk_add_f16 v14, v24, v16
	v_pk_min_f16 v56, v10, v11
	v_pk_add_f16 v10, v26, v16
	v_pk_add_f16 v11, v28, v16
	;; [unrolled: 1-line block ×3, first 2 shown]
	v_pk_min_f16 v84, v45, v122
	v_pk_min_f16 v83, v46, v123
	v_pk_min_f16 v45, 0x7c00, v127 op_sel_hi:[0,1]
	v_pk_min_f16 v46, 0x7c00, v128 op_sel_hi:[0,1]
	;; [unrolled: 1-line block ×5, first 2 shown]
	v_pk_min_f16 v55, v12, v13
	v_pk_min_f16 v12, 0x7c00, v20 op_sel_hi:[0,1]
	v_pk_min_f16 v13, 0x7c00, v22 op_sel_hi:[0,1]
	;; [unrolled: 1-line block ×5, first 2 shown]
	v_pk_min_f16 v54, v18, v19
	v_pk_add_f16 v15, v23, v17
	v_pk_add_f16 v16, v25, v17
	;; [unrolled: 1-line block ×4, first 2 shown]
	v_pk_min_f16 v93, v50, v110
	v_pk_min_f16 v88, v49, v119
	;; [unrolled: 1-line block ×13, first 2 shown]
	ds_store_b16 v43, v6 offset:2048
	ds_store_b16 v43, v7 offset:2560
	;; [unrolled: 1-line block ×5, first 2 shown]
	s_waitcnt lgkmcnt(0)
	s_barrier
	buffer_gl0_inv
	s_cbranch_scc1 .LBB258_40
; %bb.23:
	v_mad_i64_i32 v[0:1], null, s15, v5, 0
	v_lshl_or_b32 v3, s14, 8, v3
	s_lshl_b32 s14, s16, 8
	v_add_nc_u32_e32 v5, 12, v2
	v_add_nc_u32_e32 v2, 8, v2
	;; [unrolled: 1-line block ×3, first 2 shown]
	v_subrev_nc_u32_e32 v3, s14, v3
	v_lshlrev_b64 v[0:1], 1, v[0:1]
	v_add_nc_u32_e32 v45, 0x1000, v41
	v_add_nc_u32_e32 v46, 0x800, v43
	;; [unrolled: 1-line block ×3, first 2 shown]
	v_lshl_add_u32 v87, v38, 3, 0x800
	v_lshl_add_u32 v108, v39, 3, 0x1200
	v_add_co_u32 v7, vcc_lo, v0, v4
	v_add_co_ci_u32_e32 v8, vcc_lo, 0, v1, vcc_lo
	v_ashrrev_i32_e32 v4, 31, v3
	s_delay_alu instid0(VALU_DEP_3)
	v_add_co_u32 v7, vcc_lo, v7, s20
	v_mad_i64_i32 v[0:1], null, v5, s8, 0
	v_mad_i64_i32 v[5:6], null, v2, s8, 0
	v_add_co_ci_u32_e32 v8, vcc_lo, s21, v8, vcc_lo
	v_lshlrev_b64 v[2:3], 1, v[3:4]
	v_add_co_u32 v32, vcc_lo, v7, 16
	s_delay_alu instid0(VALU_DEP_3) | instskip(SKIP_1) | instid1(VALU_DEP_4)
	v_add_co_ci_u32_e32 v33, vcc_lo, 0, v8, vcc_lo
	v_lshlrev_b64 v[34:35], 1, v[0:1]
	v_add_co_u32 v110, vcc_lo, s18, v2
	v_lshlrev_b64 v[36:37], 1, v[5:6]
	v_add_co_ci_u32_e32 v111, vcc_lo, s19, v3, vcc_lo
	s_add_i32 s15, s17, -8
	s_lshl_b64 s[8:9], s[8:9], 4
	s_mov_b32 s14, 0
	s_and_b32 s4, exec_lo, s4
	s_branch .LBB258_26
.LBB258_24:                             ;   in Loop: Header=BB258_26 Depth=1
	flat_load_u16 v0, v[32:33] offset:8
	s_waitcnt vmcnt(0) lgkmcnt(0)
	v_mul_f16_e32 v0, v40, v0
.LBB258_25:                             ;   in Loop: Header=BB258_26 Depth=1
	ds_load_2addr_b64 v[121:124], v42 offset1:32
	ds_load_2addr_b64 v[88:91], v45 offset1:8
	ds_load_2addr_b64 v[125:128], v42 offset0:64 offset1:96
	ds_load_2addr_b64 v[129:132], v42 offset0:128 offset1:160
	ds_load_2addr_b64 v[133:136], v42 offset0:192 offset1:224
	ds_load_2addr_b64 v[137:140], v45 offset0:16 offset1:24
	ds_load_2addr_b64 v[141:144], v45 offset0:32 offset1:40
	ds_load_2addr_b64 v[145:148], v45 offset0:48 offset1:56
	v_pk_max_f16 v11, v84, v84
	v_pk_max_f16 v15, v82, v82
	;; [unrolled: 1-line block ×13, first 2 shown]
	s_waitcnt lgkmcnt(6)
	v_pk_add_f16 v82, v121, v88
	v_pk_add_f16 v83, v123, v88
	s_waitcnt lgkmcnt(5)
	v_pk_add_f16 v84, v125, v88
	v_pk_add_f16 v85, v127, v88
	s_waitcnt lgkmcnt(4)
	v_pk_add_f16 v86, v129, v88
	v_pk_min_f16 v11, v11, v82
	v_pk_min_f16 v15, v15, v83
	;; [unrolled: 1-line block ×5, first 2 shown]
	v_pk_add_f16 v82, v121, v90
	v_pk_add_f16 v83, v123, v90
	;; [unrolled: 1-line block ×5, first 2 shown]
	v_pk_min_f16 v71, v71, v82
	v_pk_min_f16 v78, v78, v83
	;; [unrolled: 1-line block ×5, first 2 shown]
	v_pk_add_f16 v82, v131, v90
	s_waitcnt lgkmcnt(3)
	v_pk_add_f16 v83, v133, v90
	v_pk_add_f16 v84, v135, v90
	v_pk_max_f16 v72, v72, v72
	s_waitcnt lgkmcnt(2)
	v_pk_add_f16 v85, v121, v137
	v_pk_max_f16 v70, v70, v70
	v_pk_add_f16 v86, v123, v137
	v_pk_max_f16 v68, v68, v68
	v_pk_min_f16 v66, v66, v82
	v_pk_min_f16 v74, v74, v83
	v_pk_min_f16 v72, v72, v84
	v_pk_min_f16 v70, v70, v85
	v_pk_min_f16 v68, v68, v86
	v_pk_add_f16 v82, v125, v137
	v_pk_max_f16 v61, v61, v61
	v_pk_add_f16 v83, v127, v137
	v_pk_max_f16 v69, v69, v69
	v_pk_add_f16 v84, v129, v137
	v_pk_max_f16 v67, v67, v67
	v_pk_add_f16 v85, v131, v137
	v_pk_max_f16 v65, v65, v65
	v_pk_add_f16 v86, v133, v137
	v_pk_max_f16 v63, v63, v63
	v_pk_min_f16 v61, v61, v82
	v_pk_min_f16 v69, v69, v83
	v_pk_min_f16 v67, v67, v84
	v_pk_min_f16 v65, v65, v85
	v_pk_min_f16 v63, v63, v86
	v_pk_add_f16 v82, v135, v137
	v_pk_max_f16 v56, v56, v56
	v_pk_add_f16 v83, v121, v139
	v_pk_max_f16 v64, v64, v64
	v_pk_add_f16 v84, v123, v139
	v_pk_max_f16 v62, v62, v62
	;; [unrolled: 15-line block ×3, first 2 shown]
	v_pk_add_f16 v85, v135, v139
	v_pk_max_f16 v55, v55, v55
	s_waitcnt lgkmcnt(1)
	v_pk_add_f16 v86, v121, v141
	v_pk_max_f16 v53, v53, v53
	v_pk_min_f16 v51, v51, v82
	v_pk_min_f16 v59, v59, v83
	v_pk_min_f16 v57, v57, v84
	v_pk_min_f16 v55, v55, v85
	v_pk_min_f16 v53, v53, v86
	v_pk_add_f16 v82, v123, v141
	v_pk_max_f16 v29, v29, v29
	v_pk_add_f16 v83, v125, v141
	v_pk_max_f16 v54, v54, v54
	v_pk_add_f16 v84, v127, v141
	v_pk_max_f16 v52, v52, v52
	v_pk_add_f16 v85, v129, v141
	v_pk_max_f16 v50, v50, v50
	v_pk_add_f16 v86, v131, v141
	v_pk_max_f16 v31, v31, v31
	v_pk_min_f16 v29, v29, v82
	v_pk_min_f16 v54, v54, v83
	v_pk_min_f16 v52, v52, v84
	v_pk_min_f16 v50, v50, v85
	v_pk_min_f16 v31, v31, v86
	v_pk_add_f16 v82, v133, v141
	v_pk_max_f16 v24, v24, v24
	v_pk_add_f16 v83, v135, v141
	v_pk_max_f16 v49, v49, v49
	v_pk_add_f16 v84, v121, v143
	v_pk_max_f16 v30, v30, v30
	v_pk_add_f16 v85, v123, v143
	v_pk_max_f16 v28, v28, v28
	;; [unrolled: 15-line block ×3, first 2 shown]
	v_pk_add_f16 v86, v135, v143
	v_pk_max_f16 v21, v21, v21
	v_pk_min_f16 v18, v18, v82
	v_pk_min_f16 v27, v27, v83
	;; [unrolled: 1-line block ×5, first 2 shown]
	s_waitcnt lgkmcnt(0)
	v_pk_add_f16 v82, v121, v145
	v_pk_max_f16 v10, v10, v10
	v_pk_add_f16 v83, v123, v145
	v_pk_max_f16 v22, v22, v22
	v_pk_add_f16 v84, v125, v145
	v_pk_max_f16 v20, v20, v20
	v_pk_add_f16 v85, v127, v145
	v_pk_max_f16 v16, v16, v16
	v_pk_add_f16 v86, v129, v145
	v_pk_max_f16 v14, v14, v14
	v_pk_min_f16 v10, v10, v82
	v_pk_min_f16 v22, v22, v83
	;; [unrolled: 1-line block ×5, first 2 shown]
	v_pk_add_f16 v82, v131, v145
	v_pk_max_f16 v6, v6, v6
	v_pk_add_f16 v83, v133, v145
	v_pk_max_f16 v13, v13, v13
	;; [unrolled: 2-line block ×5, first 2 shown]
	v_pk_min_f16 v6, v6, v82
	v_pk_min_f16 v13, v13, v83
	;; [unrolled: 1-line block ×5, first 2 shown]
	v_pk_add_f16 v82, v125, v147
	v_pk_max_f16 v2, v2, v2
	v_pk_add_f16 v83, v127, v147
	v_pk_max_f16 v7, v7, v7
	;; [unrolled: 2-line block ×5, first 2 shown]
	v_pk_max_f16 v81, v81, v81
	v_pk_add_f16 v92, v131, v88
	v_pk_add_f16 v93, v133, v88
	;; [unrolled: 1-line block ×3, first 2 shown]
	v_pk_max_f16 v77, v77, v77
	v_pk_min_f16 v2, v2, v82
	v_pk_min_f16 v7, v7, v83
	;; [unrolled: 1-line block ×5, first 2 shown]
	v_pk_add_f16 v82, v135, v147
	v_pk_max_f16 v1, v1, v1
	v_pk_add_f16 v83, v122, v89
	v_pk_add_f16 v84, v124, v89
	;; [unrolled: 1-line block ×4, first 2 shown]
	v_pk_min_f16 v80, v80, v92
	v_pk_min_f16 v81, v81, v93
	;; [unrolled: 1-line block ×8, first 2 shown]
	v_pk_add_f16 v11, v130, v89
	v_pk_add_f16 v15, v132, v89
	v_pk_add_f16 v17, v134, v89
	v_pk_add_f16 v19, v136, v89
	v_pk_add_f16 v82, v122, v91
	v_pk_min_f16 v112, v79, v11
	v_pk_min_f16 v109, v80, v15
	v_pk_min_f16 v107, v81, v17
	v_pk_min_f16 v106, v77, v19
	v_pk_min_f16 v105, v71, v82
	v_pk_add_f16 v11, v124, v91
	v_pk_add_f16 v15, v126, v91
	v_pk_add_f16 v17, v128, v91
	v_pk_add_f16 v19, v130, v91
	v_pk_add_f16 v71, v132, v91
	v_pk_min_f16 v104, v78, v11
	v_pk_min_f16 v103, v76, v15
	v_pk_min_f16 v102, v75, v17
	v_pk_min_f16 v101, v73, v19
	v_pk_min_f16 v100, v66, v71
	;; [unrolled: 10-line block ×11, first 2 shown]
	v_pk_add_f16 v2, v128, v148
	v_pk_add_f16 v6, v130, v148
	;; [unrolled: 1-line block ×5, first 2 shown]
	v_add_co_u32 v32, vcc_lo, v32, 16
	v_add_co_ci_u32_e32 v33, vcc_lo, 0, v33, vcc_lo
	v_add_co_u32 v110, vcc_lo, v110, s8
	v_pk_min_f16 v53, v7, v2
	v_pk_min_f16 v52, v5, v6
	;; [unrolled: 1-line block ×5, first 2 shown]
	v_add_co_ci_u32_e32 v111, vcc_lo, s9, v111, vcc_lo
	s_add_i32 s14, s14, 8
	ds_store_b16 v46, v117
	ds_store_b16 v46, v118 offset:512
	ds_store_b16 v46, v119 offset:1024
	;; [unrolled: 1-line block ×3, first 2 shown]
	ds_store_b16 v47, v0
	s_cmp_ge_i32 s14, s15
	s_waitcnt lgkmcnt(0)
	s_barrier
	buffer_gl0_inv
	s_cbranch_scc1 .LBB258_40
.LBB258_26:                             ; =>This Inner Loop Header: Depth=1
	s_and_b32 vcc_lo, exec_lo, s3
	s_cbranch_vccnz .LBB258_30
; %bb.27:                               ;   in Loop: Header=BB258_26 Depth=1
	v_add_co_u32 v0, vcc_lo, v110, v36
	v_add_co_ci_u32_e32 v1, vcc_lo, v111, v37, vcc_lo
	s_clause 0x1
	flat_load_u16 v2, v[0:1]
	flat_load_u16 v0, v[0:1] offset:128
	s_waitcnt vmcnt(1) lgkmcnt(1)
	v_mul_f16_e32 v117, v40, v2
	s_waitcnt vmcnt(0) lgkmcnt(0)
	v_mul_f16_e32 v118, v40, v0
	s_and_b32 vcc_lo, exec_lo, s3
	s_cbranch_vccnz .LBB258_31
.LBB258_28:                             ;   in Loop: Header=BB258_26 Depth=1
	v_add_co_u32 v0, vcc_lo, v110, v36
	v_add_co_ci_u32_e32 v1, vcc_lo, v111, v37, vcc_lo
	s_clause 0x1
	flat_load_u16 v2, v[0:1] offset:256
	flat_load_u16 v0, v[0:1] offset:384
	s_waitcnt vmcnt(1) lgkmcnt(1)
	v_mul_f16_e32 v119, v40, v2
	s_waitcnt vmcnt(0) lgkmcnt(0)
	v_mul_f16_e32 v120, v40, v0
	s_and_b32 vcc_lo, exec_lo, s3
	s_cbranch_vccnz .LBB258_32
.LBB258_29:                             ;   in Loop: Header=BB258_26 Depth=1
	flat_load_u16 v0, v[32:33]
	s_waitcnt vmcnt(0) lgkmcnt(0)
	v_mul_f16_e32 v121, v40, v0
	s_branch .LBB258_33
.LBB258_30:                             ;   in Loop: Header=BB258_26 Depth=1
	v_dual_mov_b32 v117, 0 :: v_dual_mov_b32 v118, 0
	s_and_b32 vcc_lo, exec_lo, s3
	s_cbranch_vccz .LBB258_28
.LBB258_31:                             ;   in Loop: Header=BB258_26 Depth=1
	v_dual_mov_b32 v119, 0 :: v_dual_mov_b32 v120, 0
	s_and_b32 vcc_lo, exec_lo, s3
	s_cbranch_vccz .LBB258_29
.LBB258_32:                             ;   in Loop: Header=BB258_26 Depth=1
	v_mov_b32_e32 v121, 0
.LBB258_33:                             ;   in Loop: Header=BB258_26 Depth=1
	ds_load_2addr_b64 v[12:15], v87 offset1:32
	ds_load_2addr_b64 v[8:11], v87 offset0:64 offset1:96
	ds_load_2addr_b64 v[4:7], v87 offset0:128 offset1:160
	;; [unrolled: 1-line block ×3, first 2 shown]
	ds_load_2addr_b64 v[28:31], v108 offset1:8
	ds_load_2addr_b64 v[24:27], v108 offset0:16 offset1:24
	ds_load_2addr_b64 v[20:23], v108 offset0:32 offset1:40
	;; [unrolled: 1-line block ×3, first 2 shown]
	s_mov_b32 vcc_lo, s4
	ds_store_b16 v43, v117
	ds_store_b16 v43, v118 offset:512
	ds_store_b16 v43, v119 offset:1024
	;; [unrolled: 1-line block ×3, first 2 shown]
	ds_store_b16 v44, v121
	s_waitcnt lgkmcnt(0)
	s_barrier
	buffer_gl0_inv
	s_cbranch_vccz .LBB258_36
; %bb.34:                               ;   in Loop: Header=BB258_26 Depth=1
	v_add_co_u32 v117, vcc_lo, v110, v34
	v_add_co_ci_u32_e32 v118, vcc_lo, v111, v35, vcc_lo
	s_clause 0x1
	flat_load_u16 v119, v[117:118]
	flat_load_u16 v118, v[117:118] offset:128
	s_waitcnt vmcnt(1) lgkmcnt(1)
	v_mul_f16_e32 v117, v40, v119
	s_waitcnt vmcnt(0) lgkmcnt(0)
	v_mul_f16_e32 v118, v40, v118
	s_and_b32 vcc_lo, exec_lo, s3
	s_cbranch_vccnz .LBB258_37
.LBB258_35:                             ;   in Loop: Header=BB258_26 Depth=1
	v_add_co_u32 v119, vcc_lo, v110, v34
	v_add_co_ci_u32_e32 v120, vcc_lo, v111, v35, vcc_lo
	s_clause 0x1
	flat_load_u16 v121, v[119:120] offset:256
	flat_load_u16 v120, v[119:120] offset:384
	s_waitcnt vmcnt(1) lgkmcnt(1)
	v_mul_f16_e32 v119, v40, v121
	s_waitcnt vmcnt(0) lgkmcnt(0)
	v_mul_f16_e32 v120, v40, v120
	s_branch .LBB258_38
.LBB258_36:                             ;   in Loop: Header=BB258_26 Depth=1
	v_dual_mov_b32 v117, 0 :: v_dual_mov_b32 v118, 0
	s_and_b32 vcc_lo, exec_lo, s3
	s_cbranch_vccz .LBB258_35
.LBB258_37:                             ;   in Loop: Header=BB258_26 Depth=1
	v_dual_mov_b32 v119, 0 :: v_dual_mov_b32 v120, 0
.LBB258_38:                             ;   in Loop: Header=BB258_26 Depth=1
	v_pk_add_f16 v121, v12, v28
	v_pk_max_f16 v116, v116, v116
	v_pk_add_f16 v122, v14, v28
	v_pk_max_f16 v115, v115, v115
	v_pk_add_f16 v123, v8, v28
	v_pk_max_f16 v114, v114, v114
	v_pk_min_f16 v116, v116, v121
	v_pk_add_f16 v121, v10, v28
	v_pk_min_f16 v115, v115, v122
	v_pk_max_f16 v113, v113, v113
	v_pk_min_f16 v114, v114, v123
	v_pk_add_f16 v122, v4, v28
	v_pk_max_f16 v112, v112, v112
	v_pk_add_f16 v123, v6, v28
	v_pk_add_f16 v124, v0, v28
	;; [unrolled: 1-line block ×3, first 2 shown]
	v_pk_max_f16 v106, v106, v106
	v_pk_max_f16 v109, v109, v109
	v_pk_max_f16 v107, v107, v107
	v_pk_min_f16 v113, v113, v121
	v_pk_min_f16 v112, v112, v122
	;; [unrolled: 1-line block ×3, first 2 shown]
	v_pk_add_f16 v106, v12, v30
	v_pk_max_f16 v105, v105, v105
	v_pk_add_f16 v121, v14, v30
	v_pk_max_f16 v104, v104, v104
	v_pk_add_f16 v122, v8, v30
	v_pk_max_f16 v103, v103, v103
	v_pk_min_f16 v109, v109, v123
	v_pk_min_f16 v107, v107, v124
	v_pk_add_f16 v123, v10, v30
	v_pk_max_f16 v102, v102, v102
	v_pk_add_f16 v124, v4, v30
	v_pk_min_f16 v105, v105, v106
	v_pk_min_f16 v104, v104, v121
	;; [unrolled: 1-line block ×3, first 2 shown]
	v_pk_add_f16 v106, v6, v30
	v_pk_max_f16 v100, v100, v100
	v_pk_add_f16 v121, v0, v30
	v_pk_add_f16 v30, v2, v30
	v_pk_max_f16 v98, v98, v98
	v_pk_add_f16 v122, v12, v24
	v_pk_max_f16 v97, v97, v97
	v_pk_min_f16 v102, v102, v123
	v_pk_max_f16 v99, v99, v99
	v_pk_add_f16 v123, v14, v24
	v_pk_max_f16 v96, v96, v96
	v_pk_min_f16 v100, v100, v106
	v_pk_min_f16 v30, v98, v30
	;; [unrolled: 1-line block ×3, first 2 shown]
	v_pk_add_f16 v98, v8, v24
	v_pk_max_f16 v95, v95, v95
	v_pk_add_f16 v106, v10, v24
	v_pk_max_f16 v94, v94, v94
	;; [unrolled: 2-line block ×3, first 2 shown]
	v_pk_min_f16 v99, v99, v121
	v_pk_min_f16 v96, v96, v123
	v_pk_add_f16 v121, v4, v24
	v_pk_max_f16 v93, v93, v93
	v_pk_add_f16 v123, v0, v24
	v_pk_min_f16 v95, v95, v98
	v_pk_min_f16 v94, v94, v106
	;; [unrolled: 1-line block ×3, first 2 shown]
	v_pk_add_f16 v24, v2, v24
	v_pk_max_f16 v90, v90, v90
	v_pk_add_f16 v98, v12, v26
	v_pk_max_f16 v89, v89, v89
	;; [unrolled: 2-line block ×4, first 2 shown]
	v_pk_min_f16 v93, v93, v121
	v_pk_add_f16 v121, v8, v26
	v_pk_max_f16 v86, v86, v86
	v_pk_min_f16 v24, v90, v24
	v_pk_min_f16 v89, v89, v98
	;; [unrolled: 1-line block ×4, first 2 shown]
	v_pk_add_f16 v85, v4, v26
	v_pk_max_f16 v84, v84, v84
	v_pk_add_f16 v98, v6, v26
	v_pk_max_f16 v83, v83, v83
	;; [unrolled: 2-line block ×4, first 2 shown]
	v_pk_max_f16 v101, v101, v101
	v_pk_min_f16 v86, v86, v121
	v_pk_add_f16 v121, v12, v20
	v_pk_max_f16 v80, v80, v80
	v_pk_min_f16 v122, v84, v85
	v_pk_min_f16 v98, v83, v98
	;; [unrolled: 1-line block ×4, first 2 shown]
	v_pk_add_f16 v81, v8, v20
	v_pk_max_f16 v78, v78, v78
	v_pk_add_f16 v82, v10, v20
	v_pk_max_f16 v77, v77, v77
	;; [unrolled: 2-line block ×4, first 2 shown]
	v_pk_min_f16 v101, v101, v124
	v_pk_min_f16 v121, v80, v121
	v_pk_add_f16 v80, v14, v20
	v_pk_min_f16 v124, v78, v81
	v_pk_min_f16 v125, v77, v82
	;; [unrolled: 1-line block ×4, first 2 shown]
	v_pk_add_f16 v75, v0, v20
	v_pk_add_f16 v20, v2, v20
	v_pk_max_f16 v73, v73, v73
	v_pk_add_f16 v76, v12, v22
	v_pk_max_f16 v72, v72, v72
	v_pk_add_f16 v77, v14, v22
	v_pk_max_f16 v71, v71, v71
	v_pk_add_f16 v78, v8, v22
	v_pk_max_f16 v70, v70, v70
	v_pk_min_f16 v20, v73, v20
	v_pk_min_f16 v129, v72, v76
	;; [unrolled: 1-line block ×3, first 2 shown]
	v_pk_max_f16 v69, v69, v69
	v_pk_min_f16 v131, v70, v78
	v_pk_add_f16 v70, v10, v22
	v_pk_add_f16 v71, v4, v22
	;; [unrolled: 1-line block ×5, first 2 shown]
	v_pk_max_f16 v65, v65, v65
	v_pk_max_f16 v68, v68, v68
	;; [unrolled: 1-line block ×4, first 2 shown]
	v_pk_min_f16 v132, v69, v70
	v_pk_min_f16 v22, v65, v22
	v_pk_add_f16 v65, v12, v16
	v_pk_add_f16 v69, v4, v16
	v_pk_max_f16 v60, v60, v60
	v_pk_add_f16 v12, v12, v18
	v_pk_max_f16 v56, v56, v56
	v_pk_min_f16 v133, v68, v71
	v_pk_min_f16 v134, v67, v72
	;; [unrolled: 1-line block ×3, first 2 shown]
	v_pk_add_f16 v66, v14, v16
	v_pk_add_f16 v67, v8, v16
	;; [unrolled: 1-line block ×3, first 2 shown]
	v_pk_max_f16 v61, v61, v61
	v_pk_min_f16 v140, v60, v69
	v_pk_add_f16 v60, v6, v16
	v_pk_add_f16 v14, v14, v18
	v_pk_max_f16 v55, v55, v55
	v_pk_min_f16 v144, v56, v12
	v_pk_add_f16 v8, v8, v18
	v_pk_max_f16 v12, v54, v54
	v_pk_add_f16 v6, v6, v18
	v_pk_max_f16 v51, v51, v51
	v_pk_min_f16 v139, v61, v68
	v_pk_add_f16 v61, v0, v16
	v_pk_add_f16 v16, v2, v16
	v_pk_min_f16 v145, v55, v14
	v_pk_add_f16 v10, v10, v18
	v_pk_max_f16 v14, v53, v53
	v_pk_min_f16 v146, v12, v8
	v_pk_min_f16 v148, v51, v6
	v_pk_add_f16 v2, v2, v18
	v_pk_max_f16 v6, v49, v49
	v_pk_add_f16 v8, v13, v29
	v_pk_max_f16 v91, v91, v91
	v_pk_max_f16 v79, v79, v79
	v_pk_min_f16 v147, v14, v10
	v_pk_add_f16 v10, v15, v29
	v_pk_add_f16 v12, v9, v29
	v_pk_min_f16 v149, v6, v2
	v_pk_min_f16 v84, v116, v8
	v_pk_add_f16 v2, v5, v29
	v_pk_add_f16 v8, v1, v29
	v_pk_min_f16 v91, v91, v123
	v_pk_min_f16 v123, v79, v80
	v_pk_max_f16 v74, v74, v74
	v_pk_min_f16 v82, v115, v10
	v_pk_min_f16 v80, v114, v12
	v_pk_add_f16 v6, v7, v29
	v_pk_add_f16 v10, v3, v29
	;; [unrolled: 1-line block ×3, first 2 shown]
	v_pk_min_f16 v85, v112, v2
	v_pk_min_f16 v81, v107, v8
	v_pk_add_f16 v2, v15, v31
	v_pk_add_f16 v8, v11, v31
	v_pk_min_f16 v128, v74, v75
	v_pk_max_f16 v63, v63, v63
	v_pk_min_f16 v83, v109, v6
	v_pk_min_f16 v77, v28, v10
	;; [unrolled: 1-line block ×3, first 2 shown]
	v_pk_add_f16 v6, v9, v31
	v_pk_add_f16 v10, v5, v31
	;; [unrolled: 1-line block ×3, first 2 shown]
	v_pk_min_f16 v78, v104, v2
	v_pk_min_f16 v75, v102, v8
	v_pk_add_f16 v2, v1, v31
	v_pk_add_f16 v8, v13, v25
	v_pk_max_f16 v64, v64, v64
	v_pk_min_f16 v137, v63, v66
	v_pk_max_f16 v58, v58, v58
	v_pk_min_f16 v76, v103, v6
	v_pk_min_f16 v73, v101, v10
	;; [unrolled: 1-line block ×3, first 2 shown]
	v_pk_add_f16 v6, v3, v31
	v_pk_add_f16 v10, v15, v25
	;; [unrolled: 1-line block ×3, first 2 shown]
	v_pk_min_f16 v74, v99, v2
	v_pk_min_f16 v70, v97, v8
	v_pk_add_f16 v2, v11, v25
	v_pk_add_f16 v8, v7, v25
	v_pk_max_f16 v62, v62, v62
	v_pk_min_f16 v136, v64, v65
	v_pk_max_f16 v59, v59, v59
	v_pk_min_f16 v142, v58, v61
	v_pk_min_f16 v72, v30, v6
	;; [unrolled: 1-line block ×4, first 2 shown]
	v_pk_add_f16 v6, v5, v25
	v_pk_add_f16 v10, v1, v25
	v_pk_add_f16 v12, v3, v25
	v_pk_min_f16 v69, v94, v2
	v_pk_min_f16 v65, v92, v8
	v_pk_add_f16 v2, v13, v27
	v_pk_add_f16 v8, v9, v27
	v_pk_min_f16 v138, v62, v67
	v_pk_min_f16 v141, v59, v60
	;; [unrolled: 1-line block ×5, first 2 shown]
	v_pk_add_f16 v6, v15, v27
	v_pk_add_f16 v10, v11, v27
	;; [unrolled: 1-line block ×3, first 2 shown]
	v_pk_min_f16 v64, v89, v2
	v_pk_min_f16 v60, v86, v8
	v_pk_add_f16 v2, v7, v27
	v_pk_add_f16 v8, v3, v27
	v_pk_max_f16 v57, v57, v57
	v_pk_add_f16 v0, v0, v18
	v_pk_max_f16 v50, v50, v50
	v_pk_min_f16 v62, v88, v6
	v_pk_min_f16 v58, v90, v10
	;; [unrolled: 1-line block ×3, first 2 shown]
	v_pk_add_f16 v6, v1, v27
	v_pk_add_f16 v10, v13, v21
	;; [unrolled: 1-line block ×3, first 2 shown]
	v_pk_min_f16 v59, v98, v2
	v_pk_min_f16 v55, v26, v8
	v_pk_add_f16 v2, v9, v21
	v_pk_add_f16 v8, v5, v21
	v_pk_min_f16 v143, v57, v16
	v_pk_min_f16 v0, v50, v0
	v_pk_add_f16 v14, v11, v29
	v_pk_min_f16 v57, v106, v6
	v_pk_min_f16 v53, v121, v10
	;; [unrolled: 1-line block ×3, first 2 shown]
	v_pk_add_f16 v6, v11, v21
	v_pk_add_f16 v10, v7, v21
	v_pk_add_f16 v12, v1, v21
	v_pk_min_f16 v54, v124, v2
	v_pk_min_f16 v50, v126, v8
	v_pk_add_f16 v2, v3, v21
	v_pk_add_f16 v8, v15, v23
	v_pk_max_f16 v16, v52, v52
	v_pk_min_f16 v52, v125, v6
	v_pk_min_f16 v31, v127, v10
	;; [unrolled: 1-line block ×3, first 2 shown]
	v_pk_add_f16 v6, v13, v23
	v_pk_add_f16 v10, v9, v23
	v_pk_add_f16 v12, v11, v23
	v_pk_min_f16 v49, v20, v2
	v_pk_min_f16 v28, v130, v8
	v_pk_add_f16 v2, v5, v23
	v_pk_add_f16 v8, v1, v23
	;; [unrolled: 1-line block ×3, first 2 shown]
	v_pk_min_f16 v30, v129, v6
	v_pk_min_f16 v26, v131, v10
	;; [unrolled: 1-line block ×3, first 2 shown]
	v_pk_add_f16 v6, v7, v23
	v_pk_add_f16 v10, v3, v23
	;; [unrolled: 1-line block ×3, first 2 shown]
	v_pk_min_f16 v27, v133, v2
	v_pk_min_f16 v23, v135, v8
	v_pk_add_f16 v2, v15, v17
	v_pk_add_f16 v8, v11, v17
	v_pk_min_f16 v4, v16, v4
	v_pk_min_f16 v25, v134, v6
	;; [unrolled: 1-line block ×4, first 2 shown]
	v_pk_add_f16 v6, v9, v17
	v_pk_add_f16 v12, v5, v17
	v_pk_add_f16 v86, v7, v17
	v_pk_min_f16 v22, v137, v2
	v_pk_min_f16 v16, v139, v8
	v_pk_add_f16 v2, v1, v17
	v_pk_add_f16 v8, v3, v17
	;; [unrolled: 1-line block ×4, first 2 shown]
	v_pk_min_f16 v79, v113, v14
	v_pk_min_f16 v20, v138, v6
	;; [unrolled: 1-line block ×4, first 2 shown]
	v_pk_add_f16 v86, v9, v19
	v_pk_min_f16 v12, v143, v8
	v_pk_min_f16 v9, v144, v17
	;; [unrolled: 1-line block ×3, first 2 shown]
	v_pk_add_f16 v11, v11, v19
	v_pk_add_f16 v5, v5, v19
	;; [unrolled: 1-line block ×5, first 2 shown]
	v_pk_min_f16 v13, v142, v2
	v_pk_min_f16 v2, v146, v86
	;; [unrolled: 1-line block ×7, first 2 shown]
	s_and_b32 vcc_lo, exec_lo, s3
	s_cbranch_vccz .LBB258_24
; %bb.39:                               ;   in Loop: Header=BB258_26 Depth=1
	v_mov_b32_e32 v0, 0
	s_branch .LBB258_25
.LBB258_40:
	s_load_b32 s8, s[0:1], 0x58
	v_dual_mov_b32 v34, 0 :: v_dual_add_nc_u32 v87, s13, v39
	ds_load_b64 v[28:29], v42 offset:2048
	ds_load_b64 v[46:47], v41 offset:4608
	v_add_nc_u32_e32 v44, s5, v38
	v_cmp_neq_f16_e64 s3, 0, v48
	v_mov_b32_e32 v32, 0
	s_delay_alu instid0(VALU_DEP_3) | instskip(NEXT) | instid1(VALU_DEP_3)
	v_ashrrev_i32_e32 v45, 31, v44
	s_and_b32 vcc_lo, exec_lo, s3
	s_delay_alu instid0(VALU_DEP_1) | instskip(SKIP_2) | instid1(VALU_DEP_1)
	v_lshlrev_b64 v[30:31], 1, v[44:45]
	s_waitcnt lgkmcnt(0)
	v_mad_i64_i32 v[0:1], null, v87, s8, 0
	v_lshlrev_b64 v[0:1], 1, v[0:1]
	s_delay_alu instid0(VALU_DEP_1) | instskip(NEXT) | instid1(VALU_DEP_1)
	v_add_co_u32 v108, s4, s6, v0
	v_add_co_ci_u32_e64 v110, s4, s7, v1, s4
	s_cbranch_vccz .LBB258_42
; %bb.41:
	s_delay_alu instid0(VALU_DEP_2) | instskip(NEXT) | instid1(VALU_DEP_2)
	v_add_co_u32 v0, vcc_lo, v108, v30
	v_add_co_ci_u32_e32 v1, vcc_lo, v110, v31, vcc_lo
	flat_load_u16 v0, v[0:1]
	s_waitcnt vmcnt(0) lgkmcnt(0)
	v_mul_f16_e32 v32, v48, v0
.LBB258_42:
	s_clause 0x1
	s_load_b32 s4, s[0:1], 0x70
	s_load_b64 s[14:15], s[0:1], 0x78
	v_add_nc_u32_e32 v0, 0x800, v42
	v_add_nc_u32_e32 v12, 0x1000, v41
	v_pk_add_f16 v33, v28, v46
	v_pk_max_f16 v36, v116, v116
	ds_load_b64 v[24:25], v42 offset:3840
	ds_load_b64 v[26:27], v41 offset:5056
	ds_load_2addr_b64 v[8:11], v0 offset0:32 offset1:64
	ds_load_2addr_b64 v[4:7], v0 offset0:96 offset1:128
	;; [unrolled: 1-line block ×6, first 2 shown]
	v_pk_add_f16 v39, v29, v47
	v_pk_min_f16 v33, v36, v33
	v_add_nc_u32_e32 v35, 32, v44
	v_cndmask_b32_e64 v40, 0, 1, s3
	s_delay_alu instid0(VALU_DEP_3) | instskip(NEXT) | instid1(VALU_DEP_3)
	v_pk_min_f16 v33, v33, v39
	v_ashrrev_i32_e32 v36, 31, v35
	s_delay_alu instid0(VALU_DEP_3) | instskip(NEXT) | instid1(VALU_DEP_3)
	v_cmp_ne_u32_e64 s0, 1, v40
	v_lshrrev_b32_e32 v39, 16, v33
	s_waitcnt lgkmcnt(0)
	v_mad_i64_i32 v[37:38], null, v87, s4, 0
	s_mul_i32 s1, s12, s15
	s_mul_hi_u32 s5, s12, s14
	s_mul_i32 s12, s12, s14
	s_add_i32 s13, s5, s1
	v_min3_f16 v39, v32, v33, v39
	s_lshl_b64 s[12:13], s[12:13], 1
	s_delay_alu instid0(VALU_DEP_2) | instskip(SKIP_3) | instid1(VALU_DEP_2)
	v_lshlrev_b64 v[37:38], 1, v[37:38]
	s_add_u32 s1, s10, s12
	s_addc_u32 s5, s11, s13
	v_lshlrev_b64 v[32:33], 1, v[35:36]
	v_add_co_u32 v111, vcc_lo, s1, v37
	s_delay_alu instid0(VALU_DEP_3) | instskip(NEXT) | instid1(VALU_DEP_2)
	v_add_co_ci_u32_e32 v116, vcc_lo, s5, v38, vcc_lo
	v_add_co_u32 v37, vcc_lo, v111, v30
	s_delay_alu instid0(VALU_DEP_2)
	v_add_co_ci_u32_e32 v38, vcc_lo, v116, v31, vcc_lo
	s_and_not1_b32 vcc_lo, exec_lo, s3
	global_store_b16 v[37:38], v39, off
	s_cbranch_vccnz .LBB258_44
; %bb.43:
	v_add_co_u32 v34, vcc_lo, v108, v32
	v_add_co_ci_u32_e32 v35, vcc_lo, v110, v33, vcc_lo
	flat_load_u16 v34, v[34:35]
	s_waitcnt vmcnt(0) lgkmcnt(0)
	v_mul_f16_e32 v34, v48, v34
.LBB258_44:
	v_pk_add_f16 v35, v8, v46
	v_pk_max_f16 v36, v115, v115
	v_pk_add_f16 v37, v9, v47
	v_add_co_u32 v38, vcc_lo, v111, v32
	v_add_co_ci_u32_e32 v39, vcc_lo, v116, v33, vcc_lo
	s_delay_alu instid0(VALU_DEP_4) | instskip(SKIP_2) | instid1(VALU_DEP_2)
	v_pk_min_f16 v36, v36, v35
	v_add_nc_u32_e32 v35, 64, v44
	s_and_b32 vcc_lo, exec_lo, s0
	v_pk_min_f16 v40, v36, v37
	s_delay_alu instid0(VALU_DEP_2) | instskip(SKIP_1) | instid1(VALU_DEP_3)
	v_ashrrev_i32_e32 v36, 31, v35
	v_mov_b32_e32 v37, 0
	v_lshrrev_b32_e32 v41, 16, v40
	s_delay_alu instid0(VALU_DEP_1) | instskip(NEXT) | instid1(VALU_DEP_4)
	v_min3_f16 v40, v34, v40, v41
	v_lshlrev_b64 v[34:35], 1, v[35:36]
	v_mov_b32_e32 v36, 0
	global_store_b16 v[38:39], v40, off
	s_cbranch_vccnz .LBB258_46
; %bb.45:
	v_add_co_u32 v38, vcc_lo, v108, v34
	v_add_co_ci_u32_e32 v39, vcc_lo, v110, v35, vcc_lo
	flat_load_u16 v36, v[38:39]
	s_waitcnt vmcnt(0) lgkmcnt(0)
	v_mul_f16_e32 v36, v48, v36
.LBB258_46:
	v_pk_add_f16 v38, v10, v46
	v_pk_max_f16 v39, v114, v114
	v_pk_add_f16 v40, v11, v47
	v_add_co_u32 v42, vcc_lo, v111, v34
	v_add_co_ci_u32_e32 v43, vcc_lo, v116, v35, vcc_lo
	s_delay_alu instid0(VALU_DEP_4) | instskip(SKIP_2) | instid1(VALU_DEP_2)
	v_pk_min_f16 v39, v39, v38
	v_add_nc_u32_e32 v38, 0x60, v44
	s_and_b32 vcc_lo, exec_lo, s0
	v_pk_min_f16 v40, v39, v40
	s_delay_alu instid0(VALU_DEP_2) | instskip(NEXT) | instid1(VALU_DEP_2)
	v_ashrrev_i32_e32 v39, 31, v38
	v_lshrrev_b32_e32 v41, 16, v40
	s_delay_alu instid0(VALU_DEP_1) | instskip(NEXT) | instid1(VALU_DEP_3)
	v_min3_f16 v36, v36, v40, v41
	v_lshlrev_b64 v[40:41], 1, v[38:39]
	global_store_b16 v[42:43], v36, off
	s_cbranch_vccnz .LBB258_48
; %bb.47:
	v_add_co_u32 v36, vcc_lo, v108, v40
	v_add_co_ci_u32_e32 v37, vcc_lo, v110, v41, vcc_lo
	flat_load_u16 v36, v[36:37]
	s_waitcnt vmcnt(0) lgkmcnt(0)
	v_mul_f16_e32 v37, v48, v36
.LBB258_48:
	v_pk_add_f16 v36, v4, v46
	v_pk_max_f16 v38, v113, v113
	v_pk_add_f16 v39, v5, v47
	v_add_co_u32 v113, vcc_lo, v111, v40
	v_add_co_ci_u32_e32 v114, vcc_lo, v116, v41, vcc_lo
	s_delay_alu instid0(VALU_DEP_4) | instskip(SKIP_2) | instid1(VALU_DEP_2)
	v_pk_min_f16 v36, v38, v36
	v_add_nc_u32_e32 v38, 0x80, v44
	s_and_b32 vcc_lo, exec_lo, s0
	v_pk_min_f16 v42, v36, v39
	v_mov_b32_e32 v36, 0
	s_delay_alu instid0(VALU_DEP_2) | instskip(NEXT) | instid1(VALU_DEP_1)
	v_lshrrev_b32_e32 v43, 16, v42
	v_min3_f16 v45, v37, v42, v43
	v_mov_b32_e32 v37, 0
	v_ashrrev_i32_e32 v39, 31, v38
	global_store_b16 v[113:114], v45, off
	v_lshlrev_b64 v[42:43], 1, v[38:39]
	s_cbranch_vccnz .LBB258_50
; %bb.49:
	s_delay_alu instid0(VALU_DEP_1) | instskip(NEXT) | instid1(VALU_DEP_2)
	v_add_co_u32 v37, vcc_lo, v108, v42
	v_add_co_ci_u32_e32 v38, vcc_lo, v110, v43, vcc_lo
	flat_load_u16 v37, v[37:38]
	s_waitcnt vmcnt(0) lgkmcnt(0)
	v_mul_f16_e32 v37, v48, v37
.LBB258_50:
	v_pk_add_f16 v38, v6, v46
	v_pk_max_f16 v39, v112, v112
	v_pk_add_f16 v45, v7, v47
	s_delay_alu instid0(VALU_DEP_4) | instskip(SKIP_1) | instid1(VALU_DEP_4)
	v_add_co_u32 v112, vcc_lo, v111, v42
	v_add_co_ci_u32_e32 v113, vcc_lo, v116, v43, vcc_lo
	v_pk_min_f16 v39, v39, v38
	v_add_nc_u32_e32 v38, 0xa0, v44
	s_and_b32 vcc_lo, exec_lo, s0
	s_delay_alu instid0(VALU_DEP_2) | instskip(NEXT) | instid1(VALU_DEP_2)
	v_pk_min_f16 v45, v39, v45
	v_ashrrev_i32_e32 v39, 31, v38
	s_delay_alu instid0(VALU_DEP_2) | instskip(NEXT) | instid1(VALU_DEP_2)
	v_lshrrev_b32_e32 v114, 16, v45
	v_lshlrev_b64 v[38:39], 1, v[38:39]
	s_delay_alu instid0(VALU_DEP_2)
	v_min3_f16 v37, v37, v45, v114
	global_store_b16 v[112:113], v37, off
	s_cbranch_vccnz .LBB258_52
; %bb.51:
	v_add_co_u32 v36, vcc_lo, v108, v38
	v_add_co_ci_u32_e32 v37, vcc_lo, v110, v39, vcc_lo
	flat_load_u16 v36, v[36:37]
	s_waitcnt vmcnt(0) lgkmcnt(0)
	v_mul_f16_e32 v36, v48, v36
.LBB258_52:
	v_pk_add_f16 v37, v0, v46
	v_pk_max_f16 v45, v109, v109
	v_pk_add_f16 v109, v1, v47
	v_add_nc_u32_e32 v112, 0xc0, v44
	v_add_co_u32 v114, vcc_lo, v111, v38
	s_delay_alu instid0(VALU_DEP_4) | instskip(SKIP_2) | instid1(VALU_DEP_2)
	v_pk_min_f16 v37, v45, v37
	v_add_co_ci_u32_e32 v115, vcc_lo, v116, v39, vcc_lo
	s_and_b32 vcc_lo, exec_lo, s0
	v_pk_min_f16 v37, v37, v109
	v_mov_b32_e32 v109, 0
	v_ashrrev_i32_e32 v113, 31, v112
	s_delay_alu instid0(VALU_DEP_3) | instskip(NEXT) | instid1(VALU_DEP_1)
	v_lshrrev_b32_e32 v45, 16, v37
	v_min3_f16 v117, v36, v37, v45
	s_delay_alu instid0(VALU_DEP_3)
	v_lshlrev_b64 v[36:37], 1, v[112:113]
	v_mov_b32_e32 v45, 0
	global_store_b16 v[114:115], v117, off
	s_cbranch_vccnz .LBB258_54
; %bb.53:
	v_add_co_u32 v112, vcc_lo, v108, v36
	v_add_co_ci_u32_e32 v113, vcc_lo, v110, v37, vcc_lo
	flat_load_u16 v45, v[112:113]
	s_waitcnt vmcnt(0) lgkmcnt(0)
	v_mul_f16_e32 v45, v48, v45
.LBB258_54:
	v_pk_add_f16 v112, v2, v46
	v_pk_max_f16 v107, v107, v107
	v_pk_add_f16 v113, v3, v47
	v_add_co_u32 v114, vcc_lo, v111, v36
	v_add_co_ci_u32_e32 v115, vcc_lo, v116, v37, vcc_lo
	s_delay_alu instid0(VALU_DEP_4) | instskip(SKIP_2) | instid1(VALU_DEP_2)
	v_pk_min_f16 v107, v107, v112
	v_add_nc_u32_e32 v112, 0xe0, v44
	s_and_b32 vcc_lo, exec_lo, s0
	v_pk_min_f16 v44, v107, v113
	s_delay_alu instid0(VALU_DEP_2) | instskip(NEXT) | instid1(VALU_DEP_2)
	v_ashrrev_i32_e32 v113, 31, v112
	v_lshrrev_b32_e32 v107, 16, v44
	s_delay_alu instid0(VALU_DEP_1) | instskip(NEXT) | instid1(VALU_DEP_3)
	v_min3_f16 v107, v45, v44, v107
	v_lshlrev_b64 v[44:45], 1, v[112:113]
	global_store_b16 v[114:115], v107, off
	s_cbranch_vccnz .LBB258_56
; %bb.55:
	v_add_co_u32 v107, vcc_lo, v108, v44
	v_add_co_ci_u32_e32 v108, vcc_lo, v110, v45, vcc_lo
	flat_load_u16 v107, v[107:108]
	s_waitcnt vmcnt(0) lgkmcnt(0)
	v_mul_f16_e32 v109, v48, v107
.LBB258_56:
	v_add_nc_u32_e32 v108, 8, v87
	v_pk_add_f16 v46, v24, v46
	v_pk_max_f16 v110, v106, v106
	v_pk_add_f16 v47, v25, v47
	s_delay_alu instid0(VALU_DEP_4) | instskip(NEXT) | instid1(VALU_DEP_3)
	v_mad_i64_i32 v[106:107], null, v108, s8, 0
	v_pk_min_f16 v46, v110, v46
	v_add_co_u32 v110, vcc_lo, v111, v44
	v_add_co_ci_u32_e32 v111, vcc_lo, v116, v45, vcc_lo
	s_delay_alu instid0(VALU_DEP_3) | instskip(SKIP_2) | instid1(VALU_DEP_3)
	v_pk_min_f16 v112, v46, v47
	v_lshlrev_b64 v[46:47], 1, v[106:107]
	v_mov_b32_e32 v107, 0
	v_lshrrev_b32_e32 v106, 16, v112
	s_delay_alu instid0(VALU_DEP_3) | instskip(NEXT) | instid1(VALU_DEP_4)
	v_add_co_u32 v46, vcc_lo, s6, v46
	v_add_co_ci_u32_e32 v47, vcc_lo, s7, v47, vcc_lo
	s_delay_alu instid0(VALU_DEP_3)
	v_min3_f16 v106, v109, v112, v106
	v_mov_b32_e32 v109, 0
	s_and_b32 vcc_lo, exec_lo, s0
	global_store_b16 v[110:111], v106, off
	s_cbranch_vccnz .LBB258_58
; %bb.57:
	v_add_co_u32 v109, vcc_lo, v46, v30
	v_add_co_ci_u32_e32 v110, vcc_lo, v47, v31, vcc_lo
	flat_load_u16 v106, v[109:110]
	s_waitcnt vmcnt(0) lgkmcnt(0)
	v_mul_f16_e32 v109, v48, v106
.LBB258_58:
	v_pk_add_f16 v110, v28, v20
	v_pk_max_f16 v111, v105, v105
	v_mad_i64_i32 v[105:106], null, v108, s4, 0
	v_pk_add_f16 v108, v29, v21
	s_delay_alu instid0(VALU_DEP_3) | instskip(NEXT) | instid1(VALU_DEP_3)
	v_pk_min_f16 v110, v111, v110
	v_lshlrev_b64 v[105:106], 1, v[105:106]
	s_delay_alu instid0(VALU_DEP_2) | instskip(NEXT) | instid1(VALU_DEP_2)
	v_pk_min_f16 v108, v110, v108
	v_add_co_u32 v105, vcc_lo, s1, v105
	s_delay_alu instid0(VALU_DEP_2) | instskip(NEXT) | instid1(VALU_DEP_4)
	v_lshrrev_b32_e32 v110, 16, v108
	v_add_co_ci_u32_e32 v106, vcc_lo, s5, v106, vcc_lo
	s_delay_alu instid0(VALU_DEP_2) | instskip(NEXT) | instid1(VALU_DEP_4)
	v_min3_f16 v110, v109, v108, v110
	v_add_co_u32 v108, vcc_lo, v105, v30
	s_delay_alu instid0(VALU_DEP_3)
	v_add_co_ci_u32_e32 v109, vcc_lo, v106, v31, vcc_lo
	s_and_b32 vcc_lo, exec_lo, s0
	global_store_b16 v[108:109], v110, off
	s_cbranch_vccnz .LBB258_60
; %bb.59:
	v_add_co_u32 v107, vcc_lo, v46, v32
	v_add_co_ci_u32_e32 v108, vcc_lo, v47, v33, vcc_lo
	flat_load_u16 v107, v[107:108]
	s_waitcnt vmcnt(0) lgkmcnt(0)
	v_mul_f16_e32 v107, v48, v107
.LBB258_60:
	v_pk_add_f16 v108, v8, v20
	v_pk_max_f16 v104, v104, v104
	v_pk_add_f16 v109, v9, v21
	s_delay_alu instid0(VALU_DEP_2) | instskip(SKIP_1) | instid1(VALU_DEP_2)
	v_pk_min_f16 v104, v104, v108
	v_add_co_u32 v108, vcc_lo, v105, v32
	v_pk_min_f16 v104, v104, v109
	v_add_co_ci_u32_e32 v109, vcc_lo, v106, v33, vcc_lo
	s_and_b32 vcc_lo, exec_lo, s0
	s_delay_alu instid0(VALU_DEP_2) | instskip(NEXT) | instid1(VALU_DEP_1)
	v_lshrrev_b32_e32 v110, 16, v104
	v_min3_f16 v110, v107, v104, v110
	v_dual_mov_b32 v104, 0 :: v_dual_mov_b32 v107, 0
	global_store_b16 v[108:109], v110, off
	s_cbranch_vccnz .LBB258_62
; %bb.61:
	v_add_co_u32 v107, vcc_lo, v46, v34
	v_add_co_ci_u32_e32 v108, vcc_lo, v47, v35, vcc_lo
	flat_load_u16 v107, v[107:108]
	s_waitcnt vmcnt(0) lgkmcnt(0)
	v_mul_f16_e32 v107, v48, v107
.LBB258_62:
	v_pk_add_f16 v108, v10, v20
	v_pk_max_f16 v103, v103, v103
	v_pk_add_f16 v109, v11, v21
	s_delay_alu instid0(VALU_DEP_2) | instskip(NEXT) | instid1(VALU_DEP_1)
	v_pk_min_f16 v103, v103, v108
	v_pk_min_f16 v103, v103, v109
	s_delay_alu instid0(VALU_DEP_1) | instskip(NEXT) | instid1(VALU_DEP_1)
	v_lshrrev_b32_e32 v108, 16, v103
	v_min3_f16 v103, v107, v103, v108
	v_add_co_u32 v107, vcc_lo, v105, v34
	v_add_co_ci_u32_e32 v108, vcc_lo, v106, v35, vcc_lo
	s_and_b32 vcc_lo, exec_lo, s0
	global_store_b16 v[107:108], v103, off
	s_cbranch_vccnz .LBB258_64
; %bb.63:
	v_add_co_u32 v103, vcc_lo, v46, v40
	v_add_co_ci_u32_e32 v104, vcc_lo, v47, v41, vcc_lo
	flat_load_u16 v103, v[103:104]
	s_waitcnt vmcnt(0) lgkmcnt(0)
	v_mul_f16_e32 v104, v48, v103
.LBB258_64:
	v_pk_add_f16 v103, v4, v20
	v_pk_max_f16 v102, v102, v102
	v_pk_add_f16 v107, v5, v21
	s_delay_alu instid0(VALU_DEP_2) | instskip(NEXT) | instid1(VALU_DEP_1)
	v_pk_min_f16 v102, v102, v103
	v_pk_min_f16 v102, v102, v107
	v_add_co_u32 v107, vcc_lo, v105, v40
	v_add_co_ci_u32_e32 v108, vcc_lo, v106, v41, vcc_lo
	s_delay_alu instid0(VALU_DEP_3) | instskip(SKIP_1) | instid1(VALU_DEP_1)
	v_lshrrev_b32_e32 v103, 16, v102
	s_and_b32 vcc_lo, exec_lo, s0
	v_min3_f16 v104, v104, v102, v103
	v_dual_mov_b32 v102, 0 :: v_dual_mov_b32 v103, 0
	global_store_b16 v[107:108], v104, off
	s_cbranch_vccnz .LBB258_66
; %bb.65:
	v_add_co_u32 v103, vcc_lo, v46, v42
	v_add_co_ci_u32_e32 v104, vcc_lo, v47, v43, vcc_lo
	flat_load_u16 v103, v[103:104]
	s_waitcnt vmcnt(0) lgkmcnt(0)
	v_mul_f16_e32 v103, v48, v103
.LBB258_66:
	v_pk_add_f16 v104, v6, v20
	v_pk_max_f16 v101, v101, v101
	v_pk_add_f16 v107, v7, v21
	s_delay_alu instid0(VALU_DEP_2) | instskip(NEXT) | instid1(VALU_DEP_1)
	v_pk_min_f16 v101, v101, v104
	v_pk_min_f16 v101, v101, v107
	s_delay_alu instid0(VALU_DEP_1) | instskip(NEXT) | instid1(VALU_DEP_1)
	v_lshrrev_b32_e32 v104, 16, v101
	v_min3_f16 v101, v103, v101, v104
	v_add_co_u32 v103, vcc_lo, v105, v42
	v_add_co_ci_u32_e32 v104, vcc_lo, v106, v43, vcc_lo
	s_and_b32 vcc_lo, exec_lo, s0
	global_store_b16 v[103:104], v101, off
	s_cbranch_vccnz .LBB258_68
; %bb.67:
	v_add_co_u32 v101, vcc_lo, v46, v38
	v_add_co_ci_u32_e32 v102, vcc_lo, v47, v39, vcc_lo
	flat_load_u16 v101, v[101:102]
	s_waitcnt vmcnt(0) lgkmcnt(0)
	v_mul_f16_e32 v102, v48, v101
.LBB258_68:
	v_pk_add_f16 v101, v0, v20
	v_pk_max_f16 v100, v100, v100
	v_pk_add_f16 v103, v1, v21
	s_delay_alu instid0(VALU_DEP_2) | instskip(NEXT) | instid1(VALU_DEP_1)
	v_pk_min_f16 v100, v100, v101
	v_pk_min_f16 v100, v100, v103
	v_add_co_u32 v103, vcc_lo, v105, v38
	v_add_co_ci_u32_e32 v104, vcc_lo, v106, v39, vcc_lo
	s_delay_alu instid0(VALU_DEP_3) | instskip(SKIP_1) | instid1(VALU_DEP_1)
	v_lshrrev_b32_e32 v101, 16, v100
	s_and_b32 vcc_lo, exec_lo, s0
	v_min3_f16 v102, v102, v100, v101
	v_dual_mov_b32 v100, 0 :: v_dual_mov_b32 v101, 0
	global_store_b16 v[103:104], v102, off
	s_cbranch_vccnz .LBB258_70
; %bb.69:
	v_add_co_u32 v101, vcc_lo, v46, v36
	v_add_co_ci_u32_e32 v102, vcc_lo, v47, v37, vcc_lo
	flat_load_u16 v101, v[101:102]
	s_waitcnt vmcnt(0) lgkmcnt(0)
	v_mul_f16_e32 v101, v48, v101
.LBB258_70:
	v_pk_add_f16 v102, v2, v20
	v_pk_max_f16 v99, v99, v99
	v_pk_add_f16 v103, v3, v21
	s_delay_alu instid0(VALU_DEP_2) | instskip(NEXT) | instid1(VALU_DEP_1)
	v_pk_min_f16 v99, v99, v102
	v_pk_min_f16 v99, v99, v103
	s_delay_alu instid0(VALU_DEP_1) | instskip(NEXT) | instid1(VALU_DEP_1)
	v_lshrrev_b32_e32 v102, 16, v99
	v_min3_f16 v99, v101, v99, v102
	v_add_co_u32 v101, vcc_lo, v105, v36
	v_add_co_ci_u32_e32 v102, vcc_lo, v106, v37, vcc_lo
	s_and_b32 vcc_lo, exec_lo, s0
	global_store_b16 v[101:102], v99, off
	s_cbranch_vccnz .LBB258_72
; %bb.71:
	v_add_co_u32 v46, vcc_lo, v46, v44
	v_add_co_ci_u32_e32 v47, vcc_lo, v47, v45, vcc_lo
	flat_load_u16 v46, v[46:47]
	s_waitcnt vmcnt(0) lgkmcnt(0)
	v_mul_f16_e32 v100, v48, v46
.LBB258_72:
	v_add_nc_u32_e32 v46, 16, v87
	v_pk_add_f16 v20, v24, v20
	v_pk_max_f16 v47, v98, v98
	v_pk_add_f16 v21, v25, v21
	v_add_co_u32 v101, vcc_lo, v105, v44
	v_mad_i64_i32 v[98:99], null, v46, s8, 0
	s_delay_alu instid0(VALU_DEP_4) | instskip(SKIP_1) | instid1(VALU_DEP_2)
	v_pk_min_f16 v20, v47, v20
	v_add_co_ci_u32_e32 v102, vcc_lo, v106, v45, vcc_lo
	v_pk_min_f16 v47, v20, v21
	s_delay_alu instid0(VALU_DEP_4) | instskip(SKIP_1) | instid1(VALU_DEP_3)
	v_lshlrev_b64 v[20:21], 1, v[98:99]
	v_mov_b32_e32 v99, 0
	v_lshrrev_b32_e32 v98, 16, v47
	s_delay_alu instid0(VALU_DEP_3) | instskip(NEXT) | instid1(VALU_DEP_4)
	v_add_co_u32 v20, vcc_lo, s6, v20
	v_add_co_ci_u32_e32 v21, vcc_lo, s7, v21, vcc_lo
	s_delay_alu instid0(VALU_DEP_3)
	v_min3_f16 v47, v100, v47, v98
	v_mov_b32_e32 v98, 0
	s_and_b32 vcc_lo, exec_lo, s0
	global_store_b16 v[101:102], v47, off
	s_cbranch_vccnz .LBB258_74
; %bb.73:
	v_add_co_u32 v99, vcc_lo, v20, v30
	v_add_co_ci_u32_e32 v100, vcc_lo, v21, v31, vcc_lo
	flat_load_u16 v47, v[99:100]
	s_waitcnt vmcnt(0) lgkmcnt(0)
	v_mul_f16_e32 v99, v48, v47
.LBB258_74:
	v_pk_add_f16 v47, v28, v22
	v_pk_max_f16 v97, v97, v97
	v_mad_i64_i32 v[100:101], null, v46, s4, 0
	v_pk_add_f16 v46, v29, v23
	s_delay_alu instid0(VALU_DEP_3) | instskip(NEXT) | instid1(VALU_DEP_1)
	v_pk_min_f16 v47, v97, v47
	v_pk_min_f16 v97, v47, v46
	s_delay_alu instid0(VALU_DEP_4) | instskip(NEXT) | instid1(VALU_DEP_2)
	v_lshlrev_b64 v[46:47], 1, v[100:101]
	v_lshrrev_b32_e32 v100, 16, v97
	s_delay_alu instid0(VALU_DEP_2) | instskip(NEXT) | instid1(VALU_DEP_3)
	v_add_co_u32 v46, vcc_lo, s1, v46
	v_add_co_ci_u32_e32 v47, vcc_lo, s5, v47, vcc_lo
	s_delay_alu instid0(VALU_DEP_3) | instskip(NEXT) | instid1(VALU_DEP_3)
	v_min3_f16 v97, v99, v97, v100
	v_add_co_u32 v99, vcc_lo, v46, v30
	s_delay_alu instid0(VALU_DEP_3)
	v_add_co_ci_u32_e32 v100, vcc_lo, v47, v31, vcc_lo
	s_and_b32 vcc_lo, exec_lo, s0
	global_store_b16 v[99:100], v97, off
	s_cbranch_vccnz .LBB258_76
; %bb.75:
	v_add_co_u32 v97, vcc_lo, v20, v32
	v_add_co_ci_u32_e32 v98, vcc_lo, v21, v33, vcc_lo
	flat_load_u16 v97, v[97:98]
	s_waitcnt vmcnt(0) lgkmcnt(0)
	v_mul_f16_e32 v98, v48, v97
.LBB258_76:
	v_pk_add_f16 v97, v8, v22
	v_pk_max_f16 v96, v96, v96
	v_pk_add_f16 v99, v9, v23
	s_delay_alu instid0(VALU_DEP_2) | instskip(NEXT) | instid1(VALU_DEP_1)
	v_pk_min_f16 v96, v96, v97
	v_pk_min_f16 v96, v96, v99
	v_add_co_u32 v99, vcc_lo, v46, v32
	v_add_co_ci_u32_e32 v100, vcc_lo, v47, v33, vcc_lo
	s_delay_alu instid0(VALU_DEP_3) | instskip(SKIP_1) | instid1(VALU_DEP_1)
	v_lshrrev_b32_e32 v97, 16, v96
	s_and_b32 vcc_lo, exec_lo, s0
	v_min3_f16 v98, v98, v96, v97
	v_dual_mov_b32 v96, 0 :: v_dual_mov_b32 v97, 0
	global_store_b16 v[99:100], v98, off
	s_cbranch_vccnz .LBB258_78
; %bb.77:
	v_add_co_u32 v97, vcc_lo, v20, v34
	v_add_co_ci_u32_e32 v98, vcc_lo, v21, v35, vcc_lo
	flat_load_u16 v97, v[97:98]
	s_waitcnt vmcnt(0) lgkmcnt(0)
	v_mul_f16_e32 v97, v48, v97
.LBB258_78:
	v_pk_add_f16 v98, v10, v22
	v_pk_max_f16 v95, v95, v95
	v_pk_add_f16 v99, v11, v23
	s_delay_alu instid0(VALU_DEP_2) | instskip(NEXT) | instid1(VALU_DEP_1)
	v_pk_min_f16 v95, v95, v98
	v_pk_min_f16 v95, v95, v99
	s_delay_alu instid0(VALU_DEP_1) | instskip(NEXT) | instid1(VALU_DEP_1)
	v_lshrrev_b32_e32 v98, 16, v95
	v_min3_f16 v95, v97, v95, v98
	v_add_co_u32 v97, vcc_lo, v46, v34
	v_add_co_ci_u32_e32 v98, vcc_lo, v47, v35, vcc_lo
	s_and_b32 vcc_lo, exec_lo, s0
	global_store_b16 v[97:98], v95, off
	s_cbranch_vccnz .LBB258_80
; %bb.79:
	v_add_co_u32 v95, vcc_lo, v20, v40
	v_add_co_ci_u32_e32 v96, vcc_lo, v21, v41, vcc_lo
	flat_load_u16 v95, v[95:96]
	s_waitcnt vmcnt(0) lgkmcnt(0)
	v_mul_f16_e32 v96, v48, v95
.LBB258_80:
	v_pk_add_f16 v95, v4, v22
	v_pk_max_f16 v94, v94, v94
	v_pk_add_f16 v97, v5, v23
	s_delay_alu instid0(VALU_DEP_2) | instskip(NEXT) | instid1(VALU_DEP_1)
	v_pk_min_f16 v94, v94, v95
	v_pk_min_f16 v94, v94, v97
	v_add_co_u32 v97, vcc_lo, v46, v40
	v_add_co_ci_u32_e32 v98, vcc_lo, v47, v41, vcc_lo
	s_delay_alu instid0(VALU_DEP_3) | instskip(SKIP_1) | instid1(VALU_DEP_1)
	v_lshrrev_b32_e32 v95, 16, v94
	s_and_b32 vcc_lo, exec_lo, s0
	v_min3_f16 v96, v96, v94, v95
	v_dual_mov_b32 v94, 0 :: v_dual_mov_b32 v95, 0
	global_store_b16 v[97:98], v96, off
	s_cbranch_vccnz .LBB258_82
; %bb.81:
	v_add_co_u32 v95, vcc_lo, v20, v42
	v_add_co_ci_u32_e32 v96, vcc_lo, v21, v43, vcc_lo
	flat_load_u16 v95, v[95:96]
	s_waitcnt vmcnt(0) lgkmcnt(0)
	v_mul_f16_e32 v95, v48, v95
.LBB258_82:
	v_pk_add_f16 v96, v6, v22
	v_pk_max_f16 v93, v93, v93
	v_pk_add_f16 v97, v7, v23
	s_delay_alu instid0(VALU_DEP_2) | instskip(NEXT) | instid1(VALU_DEP_1)
	v_pk_min_f16 v93, v93, v96
	v_pk_min_f16 v93, v93, v97
	s_delay_alu instid0(VALU_DEP_1) | instskip(NEXT) | instid1(VALU_DEP_1)
	v_lshrrev_b32_e32 v96, 16, v93
	v_min3_f16 v93, v95, v93, v96
	v_add_co_u32 v95, vcc_lo, v46, v42
	v_add_co_ci_u32_e32 v96, vcc_lo, v47, v43, vcc_lo
	s_and_b32 vcc_lo, exec_lo, s0
	global_store_b16 v[95:96], v93, off
	s_cbranch_vccnz .LBB258_84
; %bb.83:
	v_add_co_u32 v93, vcc_lo, v20, v38
	v_add_co_ci_u32_e32 v94, vcc_lo, v21, v39, vcc_lo
	flat_load_u16 v93, v[93:94]
	s_waitcnt vmcnt(0) lgkmcnt(0)
	v_mul_f16_e32 v94, v48, v93
.LBB258_84:
	v_pk_add_f16 v93, v0, v22
	v_pk_max_f16 v92, v92, v92
	v_pk_add_f16 v95, v1, v23
	s_delay_alu instid0(VALU_DEP_2) | instskip(NEXT) | instid1(VALU_DEP_1)
	v_pk_min_f16 v92, v92, v93
	v_pk_min_f16 v92, v92, v95
	v_add_co_u32 v95, vcc_lo, v46, v38
	v_add_co_ci_u32_e32 v96, vcc_lo, v47, v39, vcc_lo
	s_delay_alu instid0(VALU_DEP_3) | instskip(SKIP_1) | instid1(VALU_DEP_1)
	v_lshrrev_b32_e32 v93, 16, v92
	s_and_b32 vcc_lo, exec_lo, s0
	v_min3_f16 v94, v94, v92, v93
	v_dual_mov_b32 v92, 0 :: v_dual_mov_b32 v93, 0
	global_store_b16 v[95:96], v94, off
	s_cbranch_vccnz .LBB258_86
; %bb.85:
	v_add_co_u32 v93, vcc_lo, v20, v36
	v_add_co_ci_u32_e32 v94, vcc_lo, v21, v37, vcc_lo
	flat_load_u16 v93, v[93:94]
	s_waitcnt vmcnt(0) lgkmcnt(0)
	v_mul_f16_e32 v93, v48, v93
.LBB258_86:
	v_pk_add_f16 v94, v2, v22
	v_pk_max_f16 v91, v91, v91
	v_pk_add_f16 v95, v3, v23
	s_delay_alu instid0(VALU_DEP_2) | instskip(NEXT) | instid1(VALU_DEP_1)
	v_pk_min_f16 v91, v91, v94
	v_pk_min_f16 v91, v91, v95
	s_delay_alu instid0(VALU_DEP_1) | instskip(NEXT) | instid1(VALU_DEP_1)
	v_lshrrev_b32_e32 v94, 16, v91
	v_min3_f16 v91, v93, v91, v94
	v_add_co_u32 v93, vcc_lo, v46, v36
	v_add_co_ci_u32_e32 v94, vcc_lo, v47, v37, vcc_lo
	s_and_b32 vcc_lo, exec_lo, s0
	global_store_b16 v[93:94], v91, off
	s_cbranch_vccnz .LBB258_88
; %bb.87:
	v_add_co_u32 v20, vcc_lo, v20, v44
	v_add_co_ci_u32_e32 v21, vcc_lo, v21, v45, vcc_lo
	flat_load_u16 v20, v[20:21]
	s_waitcnt vmcnt(0) lgkmcnt(0)
	v_mul_f16_e32 v92, v48, v20
.LBB258_88:
	v_pk_add_f16 v22, v24, v22
	v_pk_max_f16 v90, v90, v90
	v_pk_add_f16 v23, v25, v23
	v_add_nc_u32_e32 v91, 24, v87
	s_delay_alu instid0(VALU_DEP_3) | instskip(NEXT) | instid1(VALU_DEP_1)
	v_pk_min_f16 v22, v90, v22
	v_pk_min_f16 v90, v22, v23
	v_add_co_u32 v22, vcc_lo, v46, v44
	v_add_co_ci_u32_e32 v23, vcc_lo, v47, v45, vcc_lo
	s_delay_alu instid0(VALU_DEP_3) | instskip(SKIP_1) | instid1(VALU_DEP_2)
	v_lshrrev_b32_e32 v46, 16, v90
	v_mov_b32_e32 v47, 0
	v_min3_f16 v90, v92, v90, v46
	v_mov_b32_e32 v46, 0
	v_mad_i64_i32 v[20:21], null, v91, s8, 0
	global_store_b16 v[22:23], v90, off
	v_lshlrev_b64 v[20:21], 1, v[20:21]
	s_delay_alu instid0(VALU_DEP_1) | instskip(NEXT) | instid1(VALU_DEP_2)
	v_add_co_u32 v20, vcc_lo, s6, v20
	v_add_co_ci_u32_e32 v21, vcc_lo, s7, v21, vcc_lo
	s_and_b32 vcc_lo, exec_lo, s0
	s_cbranch_vccnz .LBB258_90
; %bb.89:
	s_delay_alu instid0(VALU_DEP_2) | instskip(NEXT) | instid1(VALU_DEP_2)
	v_add_co_u32 v22, vcc_lo, v20, v30
	v_add_co_ci_u32_e32 v23, vcc_lo, v21, v31, vcc_lo
	flat_load_u16 v22, v[22:23]
	s_waitcnt vmcnt(0) lgkmcnt(0)
	v_mul_f16_e32 v47, v48, v22
.LBB258_90:
	v_pk_add_f16 v90, v28, v16
	v_pk_max_f16 v89, v89, v89
	v_mad_i64_i32 v[22:23], null, v91, s4, 0
	v_pk_add_f16 v91, v29, v17
	s_delay_alu instid0(VALU_DEP_3) | instskip(NEXT) | instid1(VALU_DEP_3)
	v_pk_min_f16 v89, v89, v90
	v_lshlrev_b64 v[22:23], 1, v[22:23]
	s_delay_alu instid0(VALU_DEP_2) | instskip(NEXT) | instid1(VALU_DEP_2)
	v_pk_min_f16 v89, v89, v91
	v_add_co_u32 v22, vcc_lo, s1, v22
	s_delay_alu instid0(VALU_DEP_2) | instskip(NEXT) | instid1(VALU_DEP_4)
	v_lshrrev_b32_e32 v90, 16, v89
	v_add_co_ci_u32_e32 v23, vcc_lo, s5, v23, vcc_lo
	s_delay_alu instid0(VALU_DEP_2) | instskip(NEXT) | instid1(VALU_DEP_4)
	v_min3_f16 v47, v47, v89, v90
	v_add_co_u32 v89, vcc_lo, v22, v30
	s_delay_alu instid0(VALU_DEP_3)
	v_add_co_ci_u32_e32 v90, vcc_lo, v23, v31, vcc_lo
	s_and_b32 vcc_lo, exec_lo, s0
	global_store_b16 v[89:90], v47, off
	s_cbranch_vccnz .LBB258_92
; %bb.91:
	v_add_co_u32 v46, vcc_lo, v20, v32
	v_add_co_ci_u32_e32 v47, vcc_lo, v21, v33, vcc_lo
	flat_load_u16 v46, v[46:47]
	s_waitcnt vmcnt(0) lgkmcnt(0)
	v_mul_f16_e32 v46, v48, v46
.LBB258_92:
	v_pk_add_f16 v47, v8, v16
	v_pk_max_f16 v88, v88, v88
	v_pk_add_f16 v89, v9, v17
	s_delay_alu instid0(VALU_DEP_2) | instskip(SKIP_1) | instid1(VALU_DEP_2)
	v_pk_min_f16 v47, v88, v47
	v_add_co_u32 v88, vcc_lo, v22, v32
	v_pk_min_f16 v47, v47, v89
	v_add_co_ci_u32_e32 v89, vcc_lo, v23, v33, vcc_lo
	s_and_b32 vcc_lo, exec_lo, s0
	s_delay_alu instid0(VALU_DEP_2) | instskip(NEXT) | instid1(VALU_DEP_1)
	v_lshrrev_b32_e32 v90, 16, v47
	v_min3_f16 v90, v46, v47, v90
	v_dual_mov_b32 v46, 0 :: v_dual_mov_b32 v47, 0
	global_store_b16 v[88:89], v90, off
	s_cbranch_vccnz .LBB258_94
; %bb.93:
	v_add_co_u32 v88, vcc_lo, v20, v34
	v_add_co_ci_u32_e32 v89, vcc_lo, v21, v35, vcc_lo
	flat_load_u16 v47, v[88:89]
	s_waitcnt vmcnt(0) lgkmcnt(0)
	v_mul_f16_e32 v47, v48, v47
.LBB258_94:
	v_pk_add_f16 v88, v10, v16
	v_pk_max_f16 v86, v86, v86
	v_pk_add_f16 v89, v11, v17
	s_delay_alu instid0(VALU_DEP_2) | instskip(NEXT) | instid1(VALU_DEP_1)
	v_pk_min_f16 v86, v86, v88
	v_pk_min_f16 v86, v86, v89
	s_delay_alu instid0(VALU_DEP_1) | instskip(NEXT) | instid1(VALU_DEP_1)
	v_lshrrev_b32_e32 v88, 16, v86
	v_min3_f16 v47, v47, v86, v88
	v_add_co_u32 v88, vcc_lo, v22, v34
	v_add_co_ci_u32_e32 v89, vcc_lo, v23, v35, vcc_lo
	s_and_b32 vcc_lo, exec_lo, s0
	global_store_b16 v[88:89], v47, off
	s_cbranch_vccnz .LBB258_96
; %bb.95:
	v_add_co_u32 v46, vcc_lo, v20, v40
	v_add_co_ci_u32_e32 v47, vcc_lo, v21, v41, vcc_lo
	flat_load_u16 v46, v[46:47]
	s_waitcnt vmcnt(0) lgkmcnt(0)
	v_mul_f16_e32 v46, v48, v46
.LBB258_96:
	v_pk_add_f16 v47, v4, v16
	v_pk_max_f16 v85, v85, v85
	v_pk_add_f16 v86, v5, v17
	s_delay_alu instid0(VALU_DEP_2) | instskip(SKIP_1) | instid1(VALU_DEP_2)
	v_pk_min_f16 v47, v85, v47
	v_add_co_u32 v85, vcc_lo, v22, v40
	v_pk_min_f16 v47, v47, v86
	v_add_co_ci_u32_e32 v86, vcc_lo, v23, v41, vcc_lo
	s_and_b32 vcc_lo, exec_lo, s0
	s_delay_alu instid0(VALU_DEP_2) | instskip(NEXT) | instid1(VALU_DEP_1)
	v_lshrrev_b32_e32 v88, 16, v47
	v_min3_f16 v88, v46, v47, v88
	v_dual_mov_b32 v46, 0 :: v_dual_mov_b32 v47, 0
	global_store_b16 v[85:86], v88, off
	s_cbranch_vccnz .LBB258_98
; %bb.97:
	v_add_co_u32 v85, vcc_lo, v20, v42
	v_add_co_ci_u32_e32 v86, vcc_lo, v21, v43, vcc_lo
	flat_load_u16 v47, v[85:86]
	s_waitcnt vmcnt(0) lgkmcnt(0)
	v_mul_f16_e32 v47, v48, v47
.LBB258_98:
	v_pk_add_f16 v85, v6, v16
	v_pk_max_f16 v84, v84, v84
	v_pk_add_f16 v86, v7, v17
	s_delay_alu instid0(VALU_DEP_2) | instskip(NEXT) | instid1(VALU_DEP_1)
	v_pk_min_f16 v84, v84, v85
	v_pk_min_f16 v84, v84, v86
	s_delay_alu instid0(VALU_DEP_1) | instskip(NEXT) | instid1(VALU_DEP_1)
	v_lshrrev_b32_e32 v85, 16, v84
	v_min3_f16 v47, v47, v84, v85
	v_add_co_u32 v84, vcc_lo, v22, v42
	v_add_co_ci_u32_e32 v85, vcc_lo, v23, v43, vcc_lo
	s_and_b32 vcc_lo, exec_lo, s0
	global_store_b16 v[84:85], v47, off
	s_cbranch_vccnz .LBB258_100
; %bb.99:
	v_add_co_u32 v46, vcc_lo, v20, v38
	v_add_co_ci_u32_e32 v47, vcc_lo, v21, v39, vcc_lo
	flat_load_u16 v46, v[46:47]
	s_waitcnt vmcnt(0) lgkmcnt(0)
	v_mul_f16_e32 v46, v48, v46
.LBB258_100:
	v_pk_add_f16 v47, v0, v16
	v_pk_max_f16 v83, v83, v83
	v_pk_add_f16 v84, v1, v17
	s_delay_alu instid0(VALU_DEP_2) | instskip(SKIP_1) | instid1(VALU_DEP_2)
	v_pk_min_f16 v47, v83, v47
	v_add_co_u32 v83, vcc_lo, v22, v38
	v_pk_min_f16 v47, v47, v84
	v_add_co_ci_u32_e32 v84, vcc_lo, v23, v39, vcc_lo
	s_and_b32 vcc_lo, exec_lo, s0
	s_delay_alu instid0(VALU_DEP_2) | instskip(NEXT) | instid1(VALU_DEP_1)
	v_lshrrev_b32_e32 v85, 16, v47
	v_min3_f16 v85, v46, v47, v85
	v_dual_mov_b32 v46, 0 :: v_dual_mov_b32 v47, 0
	global_store_b16 v[83:84], v85, off
	s_cbranch_vccnz .LBB258_102
; %bb.101:
	v_add_co_u32 v83, vcc_lo, v20, v36
	v_add_co_ci_u32_e32 v84, vcc_lo, v21, v37, vcc_lo
	flat_load_u16 v47, v[83:84]
	s_waitcnt vmcnt(0) lgkmcnt(0)
	v_mul_f16_e32 v47, v48, v47
.LBB258_102:
	v_pk_add_f16 v83, v2, v16
	v_pk_max_f16 v82, v82, v82
	v_pk_add_f16 v84, v3, v17
	s_delay_alu instid0(VALU_DEP_2) | instskip(NEXT) | instid1(VALU_DEP_1)
	v_pk_min_f16 v82, v82, v83
	v_pk_min_f16 v82, v82, v84
	s_delay_alu instid0(VALU_DEP_1) | instskip(NEXT) | instid1(VALU_DEP_1)
	v_lshrrev_b32_e32 v83, 16, v82
	v_min3_f16 v47, v47, v82, v83
	v_add_co_u32 v82, vcc_lo, v22, v36
	v_add_co_ci_u32_e32 v83, vcc_lo, v23, v37, vcc_lo
	s_and_b32 vcc_lo, exec_lo, s0
	global_store_b16 v[82:83], v47, off
	s_cbranch_vccnz .LBB258_104
; %bb.103:
	v_add_co_u32 v20, vcc_lo, v20, v44
	v_add_co_ci_u32_e32 v21, vcc_lo, v21, v45, vcc_lo
	flat_load_u16 v20, v[20:21]
	s_waitcnt vmcnt(0) lgkmcnt(0)
	v_mul_f16_e32 v46, v48, v20
.LBB258_104:
	v_add_nc_u32_e32 v20, 32, v87
	v_pk_add_f16 v16, v24, v16
	v_pk_max_f16 v21, v81, v81
	v_pk_add_f16 v17, v25, v17
	s_delay_alu instid0(VALU_DEP_4) | instskip(NEXT) | instid1(VALU_DEP_3)
	v_mad_i64_i32 v[81:82], null, v20, s8, 0
	v_pk_min_f16 v16, v21, v16
	s_delay_alu instid0(VALU_DEP_1) | instskip(NEXT) | instid1(VALU_DEP_3)
	v_pk_min_f16 v21, v16, v17
	v_lshlrev_b64 v[16:17], 1, v[81:82]
	v_add_co_u32 v81, vcc_lo, v22, v44
	v_add_co_ci_u32_e32 v82, vcc_lo, v23, v45, vcc_lo
	v_mov_b32_e32 v23, 0
	v_lshrrev_b32_e32 v22, 16, v21
	v_add_co_u32 v16, vcc_lo, s6, v16
	v_add_co_ci_u32_e32 v17, vcc_lo, s7, v17, vcc_lo
	s_delay_alu instid0(VALU_DEP_3)
	v_min3_f16 v21, v46, v21, v22
	v_mov_b32_e32 v22, 0
	s_and_b32 vcc_lo, exec_lo, s0
	global_store_b16 v[81:82], v21, off
	s_cbranch_vccnz .LBB258_106
; %bb.105:
	v_add_co_u32 v46, vcc_lo, v16, v30
	v_add_co_ci_u32_e32 v47, vcc_lo, v17, v31, vcc_lo
	flat_load_u16 v21, v[46:47]
	s_waitcnt vmcnt(0) lgkmcnt(0)
	v_mul_f16_e32 v23, v48, v21
.LBB258_106:
	v_pk_add_f16 v21, v28, v18
	v_pk_max_f16 v80, v80, v80
	v_mad_i64_i32 v[46:47], null, v20, s4, 0
	v_pk_add_f16 v20, v29, v19
	s_delay_alu instid0(VALU_DEP_3) | instskip(NEXT) | instid1(VALU_DEP_1)
	v_pk_min_f16 v21, v80, v21
	v_pk_min_f16 v80, v21, v20
	s_delay_alu instid0(VALU_DEP_4) | instskip(NEXT) | instid1(VALU_DEP_2)
	v_lshlrev_b64 v[20:21], 1, v[46:47]
	v_lshrrev_b32_e32 v46, 16, v80
	s_delay_alu instid0(VALU_DEP_2) | instskip(NEXT) | instid1(VALU_DEP_3)
	v_add_co_u32 v20, vcc_lo, s1, v20
	v_add_co_ci_u32_e32 v21, vcc_lo, s5, v21, vcc_lo
	s_delay_alu instid0(VALU_DEP_3) | instskip(NEXT) | instid1(VALU_DEP_3)
	v_min3_f16 v23, v23, v80, v46
	v_add_co_u32 v46, vcc_lo, v20, v30
	s_delay_alu instid0(VALU_DEP_3)
	v_add_co_ci_u32_e32 v47, vcc_lo, v21, v31, vcc_lo
	s_and_b32 vcc_lo, exec_lo, s0
	global_store_b16 v[46:47], v23, off
	s_cbranch_vccnz .LBB258_108
; %bb.107:
	v_add_co_u32 v22, vcc_lo, v16, v32
	v_add_co_ci_u32_e32 v23, vcc_lo, v17, v33, vcc_lo
	flat_load_u16 v22, v[22:23]
	s_waitcnt vmcnt(0) lgkmcnt(0)
	v_mul_f16_e32 v22, v48, v22
.LBB258_108:
	v_pk_add_f16 v23, v8, v18
	v_pk_max_f16 v46, v79, v79
	v_pk_add_f16 v47, v9, v19
	s_delay_alu instid0(VALU_DEP_2) | instskip(SKIP_1) | instid1(VALU_DEP_2)
	v_pk_min_f16 v23, v46, v23
	v_add_co_u32 v46, vcc_lo, v20, v32
	v_pk_min_f16 v23, v23, v47
	v_add_co_ci_u32_e32 v47, vcc_lo, v21, v33, vcc_lo
	s_and_b32 vcc_lo, exec_lo, s0
	s_delay_alu instid0(VALU_DEP_2) | instskip(NEXT) | instid1(VALU_DEP_1)
	v_lshrrev_b32_e32 v79, 16, v23
	v_min3_f16 v79, v22, v23, v79
	v_dual_mov_b32 v22, 0 :: v_dual_mov_b32 v23, 0
	global_store_b16 v[46:47], v79, off
	s_cbranch_vccnz .LBB258_110
; %bb.109:
	v_add_co_u32 v46, vcc_lo, v16, v34
	v_add_co_ci_u32_e32 v47, vcc_lo, v17, v35, vcc_lo
	flat_load_u16 v23, v[46:47]
	s_waitcnt vmcnt(0) lgkmcnt(0)
	v_mul_f16_e32 v23, v48, v23
.LBB258_110:
	v_pk_add_f16 v46, v10, v18
	v_pk_max_f16 v47, v78, v78
	v_pk_add_f16 v78, v11, v19
	s_delay_alu instid0(VALU_DEP_2) | instskip(NEXT) | instid1(VALU_DEP_1)
	v_pk_min_f16 v46, v47, v46
	v_pk_min_f16 v46, v46, v78
	s_delay_alu instid0(VALU_DEP_1) | instskip(NEXT) | instid1(VALU_DEP_1)
	v_lshrrev_b32_e32 v47, 16, v46
	v_min3_f16 v23, v23, v46, v47
	v_add_co_u32 v46, vcc_lo, v20, v34
	v_add_co_ci_u32_e32 v47, vcc_lo, v21, v35, vcc_lo
	s_and_b32 vcc_lo, exec_lo, s0
	global_store_b16 v[46:47], v23, off
	s_cbranch_vccnz .LBB258_112
; %bb.111:
	v_add_co_u32 v22, vcc_lo, v16, v40
	v_add_co_ci_u32_e32 v23, vcc_lo, v17, v41, vcc_lo
	flat_load_u16 v22, v[22:23]
	s_waitcnt vmcnt(0) lgkmcnt(0)
	v_mul_f16_e32 v22, v48, v22
.LBB258_112:
	v_pk_add_f16 v23, v4, v18
	v_pk_max_f16 v46, v77, v77
	v_pk_add_f16 v47, v5, v19
	s_delay_alu instid0(VALU_DEP_2) | instskip(SKIP_1) | instid1(VALU_DEP_2)
	v_pk_min_f16 v23, v46, v23
	v_add_co_u32 v46, vcc_lo, v20, v40
	v_pk_min_f16 v23, v23, v47
	v_add_co_ci_u32_e32 v47, vcc_lo, v21, v41, vcc_lo
	s_and_b32 vcc_lo, exec_lo, s0
	s_delay_alu instid0(VALU_DEP_2) | instskip(NEXT) | instid1(VALU_DEP_1)
	v_lshrrev_b32_e32 v77, 16, v23
	v_min3_f16 v77, v22, v23, v77
	v_dual_mov_b32 v22, 0 :: v_dual_mov_b32 v23, 0
	global_store_b16 v[46:47], v77, off
	s_cbranch_vccnz .LBB258_114
; %bb.113:
	v_add_co_u32 v46, vcc_lo, v16, v42
	v_add_co_ci_u32_e32 v47, vcc_lo, v17, v43, vcc_lo
	flat_load_u16 v23, v[46:47]
	s_waitcnt vmcnt(0) lgkmcnt(0)
	v_mul_f16_e32 v23, v48, v23
.LBB258_114:
	v_pk_add_f16 v46, v6, v18
	v_pk_max_f16 v47, v76, v76
	v_pk_add_f16 v76, v7, v19
	s_delay_alu instid0(VALU_DEP_2) | instskip(NEXT) | instid1(VALU_DEP_1)
	v_pk_min_f16 v46, v47, v46
	v_pk_min_f16 v46, v46, v76
	s_delay_alu instid0(VALU_DEP_1) | instskip(NEXT) | instid1(VALU_DEP_1)
	v_lshrrev_b32_e32 v47, 16, v46
	v_min3_f16 v23, v23, v46, v47
	v_add_co_u32 v46, vcc_lo, v20, v42
	;; [unrolled: 43-line block ×3, first 2 shown]
	v_add_co_ci_u32_e32 v47, vcc_lo, v21, v37, vcc_lo
	s_and_b32 vcc_lo, exec_lo, s0
	global_store_b16 v[46:47], v23, off
	s_cbranch_vccnz .LBB258_120
; %bb.119:
	v_add_co_u32 v16, vcc_lo, v16, v44
	v_add_co_ci_u32_e32 v17, vcc_lo, v17, v45, vcc_lo
	flat_load_u16 v16, v[16:17]
	s_waitcnt vmcnt(0) lgkmcnt(0)
	v_mul_f16_e32 v22, v48, v16
.LBB258_120:
	v_pk_add_f16 v18, v24, v18
	v_pk_max_f16 v46, v73, v73
	v_pk_add_f16 v19, v25, v19
	v_add_nc_u32_e32 v23, 40, v87
	s_delay_alu instid0(VALU_DEP_3) | instskip(NEXT) | instid1(VALU_DEP_1)
	v_pk_min_f16 v18, v46, v18
	v_pk_min_f16 v46, v18, v19
	v_add_co_u32 v18, vcc_lo, v20, v44
	v_add_co_ci_u32_e32 v19, vcc_lo, v21, v45, vcc_lo
	s_delay_alu instid0(VALU_DEP_3) | instskip(SKIP_1) | instid1(VALU_DEP_2)
	v_lshrrev_b32_e32 v20, 16, v46
	v_mov_b32_e32 v21, 0
	v_min3_f16 v22, v22, v46, v20
	v_mov_b32_e32 v20, 0
	v_mad_i64_i32 v[16:17], null, v23, s8, 0
	global_store_b16 v[18:19], v22, off
	v_lshlrev_b64 v[16:17], 1, v[16:17]
	s_delay_alu instid0(VALU_DEP_1) | instskip(NEXT) | instid1(VALU_DEP_2)
	v_add_co_u32 v16, vcc_lo, s6, v16
	v_add_co_ci_u32_e32 v17, vcc_lo, s7, v17, vcc_lo
	s_and_b32 vcc_lo, exec_lo, s0
	s_cbranch_vccnz .LBB258_122
; %bb.121:
	s_delay_alu instid0(VALU_DEP_2) | instskip(NEXT) | instid1(VALU_DEP_2)
	v_add_co_u32 v18, vcc_lo, v16, v30
	v_add_co_ci_u32_e32 v19, vcc_lo, v17, v31, vcc_lo
	flat_load_u16 v18, v[18:19]
	s_waitcnt vmcnt(0) lgkmcnt(0)
	v_mul_f16_e32 v21, v48, v18
.LBB258_122:
	v_pk_add_f16 v22, v28, v12
	v_pk_max_f16 v46, v72, v72
	v_mad_i64_i32 v[18:19], null, v23, s4, 0
	v_pk_add_f16 v23, v29, v13
	s_delay_alu instid0(VALU_DEP_3) | instskip(NEXT) | instid1(VALU_DEP_3)
	v_pk_min_f16 v22, v46, v22
	v_lshlrev_b64 v[18:19], 1, v[18:19]
	s_delay_alu instid0(VALU_DEP_2) | instskip(NEXT) | instid1(VALU_DEP_2)
	v_pk_min_f16 v22, v22, v23
	v_add_co_u32 v18, vcc_lo, s1, v18
	s_delay_alu instid0(VALU_DEP_2) | instskip(NEXT) | instid1(VALU_DEP_4)
	v_lshrrev_b32_e32 v23, 16, v22
	v_add_co_ci_u32_e32 v19, vcc_lo, s5, v19, vcc_lo
	s_delay_alu instid0(VALU_DEP_2) | instskip(NEXT) | instid1(VALU_DEP_4)
	v_min3_f16 v23, v21, v22, v23
	v_add_co_u32 v21, vcc_lo, v18, v30
	s_delay_alu instid0(VALU_DEP_3)
	v_add_co_ci_u32_e32 v22, vcc_lo, v19, v31, vcc_lo
	s_and_b32 vcc_lo, exec_lo, s0
	global_store_b16 v[21:22], v23, off
	s_cbranch_vccnz .LBB258_124
; %bb.123:
	v_add_co_u32 v20, vcc_lo, v16, v32
	v_add_co_ci_u32_e32 v21, vcc_lo, v17, v33, vcc_lo
	flat_load_u16 v20, v[20:21]
	s_waitcnt vmcnt(0) lgkmcnt(0)
	v_mul_f16_e32 v20, v48, v20
.LBB258_124:
	v_pk_add_f16 v21, v8, v12
	v_pk_max_f16 v22, v71, v71
	v_pk_add_f16 v23, v9, v13
	s_delay_alu instid0(VALU_DEP_2) | instskip(SKIP_1) | instid1(VALU_DEP_2)
	v_pk_min_f16 v21, v22, v21
	v_add_co_u32 v22, vcc_lo, v18, v32
	v_pk_min_f16 v21, v21, v23
	v_add_co_ci_u32_e32 v23, vcc_lo, v19, v33, vcc_lo
	s_and_b32 vcc_lo, exec_lo, s0
	s_delay_alu instid0(VALU_DEP_2) | instskip(NEXT) | instid1(VALU_DEP_1)
	v_lshrrev_b32_e32 v46, 16, v21
	v_min3_f16 v46, v20, v21, v46
	v_dual_mov_b32 v20, 0 :: v_dual_mov_b32 v21, 0
	global_store_b16 v[22:23], v46, off
	s_cbranch_vccnz .LBB258_126
; %bb.125:
	v_add_co_u32 v21, vcc_lo, v16, v34
	v_add_co_ci_u32_e32 v22, vcc_lo, v17, v35, vcc_lo
	flat_load_u16 v21, v[21:22]
	s_waitcnt vmcnt(0) lgkmcnt(0)
	v_mul_f16_e32 v21, v48, v21
.LBB258_126:
	v_pk_add_f16 v22, v10, v12
	v_pk_max_f16 v23, v70, v70
	v_pk_add_f16 v46, v11, v13
	s_delay_alu instid0(VALU_DEP_2) | instskip(NEXT) | instid1(VALU_DEP_1)
	v_pk_min_f16 v22, v23, v22
	v_pk_min_f16 v22, v22, v46
	s_delay_alu instid0(VALU_DEP_1) | instskip(NEXT) | instid1(VALU_DEP_1)
	v_lshrrev_b32_e32 v23, 16, v22
	v_min3_f16 v23, v21, v22, v23
	v_add_co_u32 v21, vcc_lo, v18, v34
	v_add_co_ci_u32_e32 v22, vcc_lo, v19, v35, vcc_lo
	s_and_b32 vcc_lo, exec_lo, s0
	global_store_b16 v[21:22], v23, off
	s_cbranch_vccnz .LBB258_128
; %bb.127:
	v_add_co_u32 v20, vcc_lo, v16, v40
	v_add_co_ci_u32_e32 v21, vcc_lo, v17, v41, vcc_lo
	flat_load_u16 v20, v[20:21]
	s_waitcnt vmcnt(0) lgkmcnt(0)
	v_mul_f16_e32 v20, v48, v20
.LBB258_128:
	v_pk_add_f16 v21, v4, v12
	v_pk_max_f16 v22, v69, v69
	v_pk_add_f16 v23, v5, v13
	s_delay_alu instid0(VALU_DEP_2) | instskip(SKIP_1) | instid1(VALU_DEP_2)
	v_pk_min_f16 v21, v22, v21
	v_add_co_u32 v22, vcc_lo, v18, v40
	v_pk_min_f16 v21, v21, v23
	v_add_co_ci_u32_e32 v23, vcc_lo, v19, v41, vcc_lo
	s_and_b32 vcc_lo, exec_lo, s0
	s_delay_alu instid0(VALU_DEP_2) | instskip(NEXT) | instid1(VALU_DEP_1)
	v_lshrrev_b32_e32 v46, 16, v21
	v_min3_f16 v46, v20, v21, v46
	v_dual_mov_b32 v20, 0 :: v_dual_mov_b32 v21, 0
	global_store_b16 v[22:23], v46, off
	s_cbranch_vccnz .LBB258_130
; %bb.129:
	v_add_co_u32 v21, vcc_lo, v16, v42
	v_add_co_ci_u32_e32 v22, vcc_lo, v17, v43, vcc_lo
	flat_load_u16 v21, v[21:22]
	s_waitcnt vmcnt(0) lgkmcnt(0)
	v_mul_f16_e32 v21, v48, v21
.LBB258_130:
	v_pk_add_f16 v22, v6, v12
	v_pk_max_f16 v23, v68, v68
	v_pk_add_f16 v46, v7, v13
	s_delay_alu instid0(VALU_DEP_2) | instskip(NEXT) | instid1(VALU_DEP_1)
	v_pk_min_f16 v22, v23, v22
	v_pk_min_f16 v22, v22, v46
	s_delay_alu instid0(VALU_DEP_1) | instskip(NEXT) | instid1(VALU_DEP_1)
	v_lshrrev_b32_e32 v23, 16, v22
	v_min3_f16 v23, v21, v22, v23
	v_add_co_u32 v21, vcc_lo, v18, v42
	v_add_co_ci_u32_e32 v22, vcc_lo, v19, v43, vcc_lo
	s_and_b32 vcc_lo, exec_lo, s0
	global_store_b16 v[21:22], v23, off
	s_cbranch_vccnz .LBB258_132
; %bb.131:
	v_add_co_u32 v20, vcc_lo, v16, v38
	v_add_co_ci_u32_e32 v21, vcc_lo, v17, v39, vcc_lo
	flat_load_u16 v20, v[20:21]
	s_waitcnt vmcnt(0) lgkmcnt(0)
	v_mul_f16_e32 v20, v48, v20
.LBB258_132:
	v_pk_add_f16 v21, v0, v12
	v_pk_max_f16 v22, v67, v67
	v_pk_add_f16 v23, v1, v13
	s_delay_alu instid0(VALU_DEP_2) | instskip(SKIP_1) | instid1(VALU_DEP_2)
	v_pk_min_f16 v21, v22, v21
	v_add_co_u32 v22, vcc_lo, v18, v38
	v_pk_min_f16 v21, v21, v23
	v_add_co_ci_u32_e32 v23, vcc_lo, v19, v39, vcc_lo
	s_and_b32 vcc_lo, exec_lo, s0
	s_delay_alu instid0(VALU_DEP_2) | instskip(NEXT) | instid1(VALU_DEP_1)
	v_lshrrev_b32_e32 v46, 16, v21
	v_min3_f16 v46, v20, v21, v46
	v_dual_mov_b32 v20, 0 :: v_dual_mov_b32 v21, 0
	global_store_b16 v[22:23], v46, off
	s_cbranch_vccnz .LBB258_134
; %bb.133:
	v_add_co_u32 v21, vcc_lo, v16, v36
	v_add_co_ci_u32_e32 v22, vcc_lo, v17, v37, vcc_lo
	flat_load_u16 v21, v[21:22]
	s_waitcnt vmcnt(0) lgkmcnt(0)
	v_mul_f16_e32 v21, v48, v21
.LBB258_134:
	v_pk_add_f16 v22, v2, v12
	v_pk_max_f16 v23, v66, v66
	v_pk_add_f16 v46, v3, v13
	s_delay_alu instid0(VALU_DEP_2) | instskip(NEXT) | instid1(VALU_DEP_1)
	v_pk_min_f16 v22, v23, v22
	v_pk_min_f16 v22, v22, v46
	s_delay_alu instid0(VALU_DEP_1) | instskip(NEXT) | instid1(VALU_DEP_1)
	v_lshrrev_b32_e32 v23, 16, v22
	v_min3_f16 v23, v21, v22, v23
	v_add_co_u32 v21, vcc_lo, v18, v36
	v_add_co_ci_u32_e32 v22, vcc_lo, v19, v37, vcc_lo
	s_and_b32 vcc_lo, exec_lo, s0
	global_store_b16 v[21:22], v23, off
	s_cbranch_vccnz .LBB258_136
; %bb.135:
	v_add_co_u32 v16, vcc_lo, v16, v44
	v_add_co_ci_u32_e32 v17, vcc_lo, v17, v45, vcc_lo
	flat_load_u16 v16, v[16:17]
	s_waitcnt vmcnt(0) lgkmcnt(0)
	v_mul_f16_e32 v20, v48, v16
.LBB258_136:
	v_add_nc_u32_e32 v16, 48, v87
	v_pk_add_f16 v12, v24, v12
	v_pk_max_f16 v17, v65, v65
	v_pk_add_f16 v13, v25, v13
	s_delay_alu instid0(VALU_DEP_4) | instskip(NEXT) | instid1(VALU_DEP_3)
	v_mad_i64_i32 v[21:22], null, v16, s8, 0
	v_pk_min_f16 v12, v17, v12
	s_delay_alu instid0(VALU_DEP_1) | instskip(NEXT) | instid1(VALU_DEP_3)
	v_pk_min_f16 v17, v12, v13
	v_lshlrev_b64 v[12:13], 1, v[21:22]
	v_add_co_u32 v21, vcc_lo, v18, v44
	v_add_co_ci_u32_e32 v22, vcc_lo, v19, v45, vcc_lo
	v_mov_b32_e32 v19, 0
	v_lshrrev_b32_e32 v18, 16, v17
	v_add_co_u32 v12, vcc_lo, s6, v12
	v_add_co_ci_u32_e32 v13, vcc_lo, s7, v13, vcc_lo
	s_delay_alu instid0(VALU_DEP_3)
	v_min3_f16 v17, v20, v17, v18
	v_mov_b32_e32 v18, 0
	s_and_b32 vcc_lo, exec_lo, s0
	global_store_b16 v[21:22], v17, off
	s_cbranch_vccnz .LBB258_138
; %bb.137:
	v_add_co_u32 v19, vcc_lo, v12, v30
	v_add_co_ci_u32_e32 v20, vcc_lo, v13, v31, vcc_lo
	flat_load_u16 v17, v[19:20]
	s_waitcnt vmcnt(0) lgkmcnt(0)
	v_mul_f16_e32 v19, v48, v17
.LBB258_138:
	v_pk_add_f16 v17, v28, v14
	v_pk_max_f16 v22, v64, v64
	v_mad_i64_i32 v[20:21], null, v16, s4, 0
	v_pk_add_f16 v16, v29, v15
	s_delay_alu instid0(VALU_DEP_3) | instskip(NEXT) | instid1(VALU_DEP_1)
	v_pk_min_f16 v17, v22, v17
	v_pk_min_f16 v22, v17, v16
	s_delay_alu instid0(VALU_DEP_4) | instskip(NEXT) | instid1(VALU_DEP_2)
	v_lshlrev_b64 v[16:17], 1, v[20:21]
	v_lshrrev_b32_e32 v20, 16, v22
	s_delay_alu instid0(VALU_DEP_2) | instskip(NEXT) | instid1(VALU_DEP_3)
	v_add_co_u32 v16, vcc_lo, s1, v16
	v_add_co_ci_u32_e32 v17, vcc_lo, s5, v17, vcc_lo
	s_delay_alu instid0(VALU_DEP_3) | instskip(NEXT) | instid1(VALU_DEP_3)
	v_min3_f16 v21, v19, v22, v20
	v_add_co_u32 v19, vcc_lo, v16, v30
	s_delay_alu instid0(VALU_DEP_3)
	v_add_co_ci_u32_e32 v20, vcc_lo, v17, v31, vcc_lo
	s_and_b32 vcc_lo, exec_lo, s0
	global_store_b16 v[19:20], v21, off
	s_cbranch_vccnz .LBB258_140
; %bb.139:
	v_add_co_u32 v18, vcc_lo, v12, v32
	v_add_co_ci_u32_e32 v19, vcc_lo, v13, v33, vcc_lo
	flat_load_u16 v18, v[18:19]
	s_waitcnt vmcnt(0) lgkmcnt(0)
	v_mul_f16_e32 v18, v48, v18
.LBB258_140:
	v_pk_add_f16 v19, v8, v14
	v_pk_max_f16 v20, v63, v63
	v_pk_add_f16 v21, v9, v15
	s_delay_alu instid0(VALU_DEP_2) | instskip(SKIP_1) | instid1(VALU_DEP_2)
	v_pk_min_f16 v19, v20, v19
	v_add_co_u32 v20, vcc_lo, v16, v32
	v_pk_min_f16 v19, v19, v21
	v_add_co_ci_u32_e32 v21, vcc_lo, v17, v33, vcc_lo
	s_and_b32 vcc_lo, exec_lo, s0
	s_delay_alu instid0(VALU_DEP_2) | instskip(NEXT) | instid1(VALU_DEP_1)
	v_lshrrev_b32_e32 v22, 16, v19
	v_min3_f16 v22, v18, v19, v22
	v_dual_mov_b32 v18, 0 :: v_dual_mov_b32 v19, 0
	global_store_b16 v[20:21], v22, off
	s_cbranch_vccnz .LBB258_142
; %bb.141:
	v_add_co_u32 v19, vcc_lo, v12, v34
	v_add_co_ci_u32_e32 v20, vcc_lo, v13, v35, vcc_lo
	flat_load_u16 v19, v[19:20]
	s_waitcnt vmcnt(0) lgkmcnt(0)
	v_mul_f16_e32 v19, v48, v19
.LBB258_142:
	v_pk_add_f16 v20, v10, v14
	v_pk_max_f16 v21, v62, v62
	v_pk_add_f16 v22, v11, v15
	s_delay_alu instid0(VALU_DEP_2) | instskip(NEXT) | instid1(VALU_DEP_1)
	v_pk_min_f16 v20, v21, v20
	v_pk_min_f16 v20, v20, v22
	s_delay_alu instid0(VALU_DEP_1) | instskip(NEXT) | instid1(VALU_DEP_1)
	v_lshrrev_b32_e32 v21, 16, v20
	v_min3_f16 v21, v19, v20, v21
	v_add_co_u32 v19, vcc_lo, v16, v34
	v_add_co_ci_u32_e32 v20, vcc_lo, v17, v35, vcc_lo
	s_and_b32 vcc_lo, exec_lo, s0
	global_store_b16 v[19:20], v21, off
	s_cbranch_vccnz .LBB258_144
; %bb.143:
	v_add_co_u32 v18, vcc_lo, v12, v40
	v_add_co_ci_u32_e32 v19, vcc_lo, v13, v41, vcc_lo
	flat_load_u16 v18, v[18:19]
	s_waitcnt vmcnt(0) lgkmcnt(0)
	v_mul_f16_e32 v18, v48, v18
.LBB258_144:
	v_pk_add_f16 v19, v4, v14
	v_pk_max_f16 v20, v61, v61
	v_pk_add_f16 v21, v5, v15
	s_delay_alu instid0(VALU_DEP_2) | instskip(SKIP_1) | instid1(VALU_DEP_2)
	v_pk_min_f16 v19, v20, v19
	v_add_co_u32 v20, vcc_lo, v16, v40
	v_pk_min_f16 v19, v19, v21
	v_add_co_ci_u32_e32 v21, vcc_lo, v17, v41, vcc_lo
	s_and_b32 vcc_lo, exec_lo, s0
	s_delay_alu instid0(VALU_DEP_2) | instskip(NEXT) | instid1(VALU_DEP_1)
	v_lshrrev_b32_e32 v22, 16, v19
	v_min3_f16 v22, v18, v19, v22
	v_dual_mov_b32 v18, 0 :: v_dual_mov_b32 v19, 0
	global_store_b16 v[20:21], v22, off
	s_cbranch_vccnz .LBB258_146
; %bb.145:
	v_add_co_u32 v19, vcc_lo, v12, v42
	v_add_co_ci_u32_e32 v20, vcc_lo, v13, v43, vcc_lo
	flat_load_u16 v19, v[19:20]
	s_waitcnt vmcnt(0) lgkmcnt(0)
	v_mul_f16_e32 v19, v48, v19
.LBB258_146:
	v_pk_add_f16 v20, v6, v14
	v_pk_max_f16 v21, v60, v60
	v_pk_add_f16 v22, v7, v15
	s_delay_alu instid0(VALU_DEP_2) | instskip(NEXT) | instid1(VALU_DEP_1)
	v_pk_min_f16 v20, v21, v20
	v_pk_min_f16 v20, v20, v22
	s_delay_alu instid0(VALU_DEP_1) | instskip(NEXT) | instid1(VALU_DEP_1)
	v_lshrrev_b32_e32 v21, 16, v20
	v_min3_f16 v21, v19, v20, v21
	v_add_co_u32 v19, vcc_lo, v16, v42
	;; [unrolled: 43-line block ×3, first 2 shown]
	v_add_co_ci_u32_e32 v20, vcc_lo, v17, v37, vcc_lo
	s_and_b32 vcc_lo, exec_lo, s0
	global_store_b16 v[19:20], v21, off
	s_cbranch_vccnz .LBB258_152
; %bb.151:
	v_add_co_u32 v12, vcc_lo, v12, v44
	v_add_co_ci_u32_e32 v13, vcc_lo, v13, v45, vcc_lo
	flat_load_u16 v12, v[12:13]
	s_waitcnt vmcnt(0) lgkmcnt(0)
	v_mul_f16_e32 v18, v48, v12
.LBB258_152:
	v_pk_add_f16 v14, v24, v14
	v_pk_max_f16 v20, v57, v57
	v_pk_add_f16 v15, v25, v15
	v_add_nc_u32_e32 v19, 56, v87
	s_delay_alu instid0(VALU_DEP_3) | instskip(NEXT) | instid1(VALU_DEP_1)
	v_pk_min_f16 v14, v20, v14
	v_pk_min_f16 v20, v14, v15
	v_add_co_u32 v14, vcc_lo, v16, v44
	v_add_co_ci_u32_e32 v15, vcc_lo, v17, v45, vcc_lo
	s_delay_alu instid0(VALU_DEP_3) | instskip(SKIP_1) | instid1(VALU_DEP_2)
	v_lshrrev_b32_e32 v16, 16, v20
	v_mov_b32_e32 v17, 0
	v_min3_f16 v18, v18, v20, v16
	v_mov_b32_e32 v16, 0
	v_mad_i64_i32 v[12:13], null, v19, s8, 0
	global_store_b16 v[14:15], v18, off
	v_lshlrev_b64 v[12:13], 1, v[12:13]
	s_delay_alu instid0(VALU_DEP_1) | instskip(NEXT) | instid1(VALU_DEP_2)
	v_add_co_u32 v12, vcc_lo, s6, v12
	v_add_co_ci_u32_e32 v13, vcc_lo, s7, v13, vcc_lo
	s_and_b32 vcc_lo, exec_lo, s0
	s_cbranch_vccnz .LBB258_154
; %bb.153:
	s_delay_alu instid0(VALU_DEP_2) | instskip(NEXT) | instid1(VALU_DEP_2)
	v_add_co_u32 v14, vcc_lo, v12, v30
	v_add_co_ci_u32_e32 v15, vcc_lo, v13, v31, vcc_lo
	flat_load_u16 v14, v[14:15]
	s_waitcnt vmcnt(0) lgkmcnt(0)
	v_mul_f16_e32 v17, v48, v14
.LBB258_154:
	v_pk_add_f16 v18, v28, v26
	v_pk_max_f16 v20, v56, v56
	v_mad_i64_i32 v[14:15], null, v19, s4, 0
	v_pk_add_f16 v19, v29, v27
	s_delay_alu instid0(VALU_DEP_3) | instskip(NEXT) | instid1(VALU_DEP_3)
	v_pk_min_f16 v18, v20, v18
	v_lshlrev_b64 v[14:15], 1, v[14:15]
	s_delay_alu instid0(VALU_DEP_2) | instskip(NEXT) | instid1(VALU_DEP_2)
	v_pk_min_f16 v18, v18, v19
	v_add_co_u32 v14, vcc_lo, s1, v14
	s_delay_alu instid0(VALU_DEP_2) | instskip(NEXT) | instid1(VALU_DEP_4)
	v_lshrrev_b32_e32 v19, 16, v18
	v_add_co_ci_u32_e32 v15, vcc_lo, s5, v15, vcc_lo
	s_delay_alu instid0(VALU_DEP_2) | instskip(NEXT) | instid1(VALU_DEP_4)
	v_min3_f16 v19, v17, v18, v19
	v_add_co_u32 v17, vcc_lo, v14, v30
	s_delay_alu instid0(VALU_DEP_3)
	v_add_co_ci_u32_e32 v18, vcc_lo, v15, v31, vcc_lo
	s_and_b32 vcc_lo, exec_lo, s0
	global_store_b16 v[17:18], v19, off
	s_cbranch_vccnz .LBB258_156
; %bb.155:
	v_add_co_u32 v16, vcc_lo, v12, v32
	v_add_co_ci_u32_e32 v17, vcc_lo, v13, v33, vcc_lo
	flat_load_u16 v16, v[16:17]
	s_waitcnt vmcnt(0) lgkmcnt(0)
	v_mul_f16_e32 v16, v48, v16
.LBB258_156:
	v_pk_add_f16 v8, v8, v26
	v_pk_max_f16 v17, v55, v55
	v_pk_add_f16 v9, v9, v27
	s_delay_alu instid0(VALU_DEP_2) | instskip(SKIP_2) | instid1(VALU_DEP_3)
	v_pk_min_f16 v8, v17, v8
	v_add_co_u32 v17, vcc_lo, v14, v32
	v_add_co_ci_u32_e32 v18, vcc_lo, v15, v33, vcc_lo
	v_pk_min_f16 v8, v8, v9
	s_and_b32 vcc_lo, exec_lo, s0
	s_delay_alu instid0(VALU_DEP_1) | instskip(NEXT) | instid1(VALU_DEP_1)
	v_lshrrev_b32_e32 v9, 16, v8
	v_min3_f16 v16, v16, v8, v9
	v_dual_mov_b32 v8, 0 :: v_dual_mov_b32 v9, 0
	global_store_b16 v[17:18], v16, off
	s_cbranch_vccnz .LBB258_158
; %bb.157:
	v_add_co_u32 v16, vcc_lo, v12, v34
	v_add_co_ci_u32_e32 v17, vcc_lo, v13, v35, vcc_lo
	flat_load_u16 v9, v[16:17]
	s_waitcnt vmcnt(0) lgkmcnt(0)
	v_mul_f16_e32 v9, v48, v9
.LBB258_158:
	v_pk_add_f16 v10, v10, v26
	v_pk_max_f16 v16, v54, v54
	v_pk_add_f16 v11, v11, v27
	s_delay_alu instid0(VALU_DEP_2) | instskip(NEXT) | instid1(VALU_DEP_1)
	v_pk_min_f16 v10, v16, v10
	v_pk_min_f16 v10, v10, v11
	s_delay_alu instid0(VALU_DEP_1) | instskip(NEXT) | instid1(VALU_DEP_1)
	v_lshrrev_b32_e32 v11, 16, v10
	v_min3_f16 v11, v9, v10, v11
	v_add_co_u32 v9, vcc_lo, v14, v34
	v_add_co_ci_u32_e32 v10, vcc_lo, v15, v35, vcc_lo
	s_and_b32 vcc_lo, exec_lo, s0
	global_store_b16 v[9:10], v11, off
	s_cbranch_vccnz .LBB258_160
; %bb.159:
	v_add_co_u32 v8, vcc_lo, v12, v40
	v_add_co_ci_u32_e32 v9, vcc_lo, v13, v41, vcc_lo
	flat_load_u16 v8, v[8:9]
	s_waitcnt vmcnt(0) lgkmcnt(0)
	v_mul_f16_e32 v8, v48, v8
.LBB258_160:
	v_pk_add_f16 v4, v4, v26
	v_pk_max_f16 v9, v53, v53
	v_pk_add_f16 v5, v5, v27
	s_delay_alu instid0(VALU_DEP_2) | instskip(SKIP_2) | instid1(VALU_DEP_3)
	v_pk_min_f16 v4, v9, v4
	v_add_co_u32 v9, vcc_lo, v14, v40
	v_add_co_ci_u32_e32 v10, vcc_lo, v15, v41, vcc_lo
	v_pk_min_f16 v4, v4, v5
	s_and_b32 vcc_lo, exec_lo, s0
	s_delay_alu instid0(VALU_DEP_1) | instskip(NEXT) | instid1(VALU_DEP_1)
	v_lshrrev_b32_e32 v5, 16, v4
	v_min3_f16 v8, v8, v4, v5
	v_dual_mov_b32 v4, 0 :: v_dual_mov_b32 v5, 0
	global_store_b16 v[9:10], v8, off
	s_cbranch_vccnz .LBB258_162
; %bb.161:
	v_add_co_u32 v8, vcc_lo, v12, v42
	v_add_co_ci_u32_e32 v9, vcc_lo, v13, v43, vcc_lo
	flat_load_u16 v5, v[8:9]
	s_waitcnt vmcnt(0) lgkmcnt(0)
	v_mul_f16_e32 v5, v48, v5
.LBB258_162:
	v_pk_add_f16 v6, v6, v26
	v_pk_max_f16 v8, v52, v52
	v_pk_add_f16 v7, v7, v27
	s_delay_alu instid0(VALU_DEP_2) | instskip(NEXT) | instid1(VALU_DEP_1)
	v_pk_min_f16 v6, v8, v6
	v_pk_min_f16 v6, v6, v7
	s_delay_alu instid0(VALU_DEP_1) | instskip(NEXT) | instid1(VALU_DEP_1)
	v_lshrrev_b32_e32 v7, 16, v6
	v_min3_f16 v7, v5, v6, v7
	v_add_co_u32 v5, vcc_lo, v14, v42
	v_add_co_ci_u32_e32 v6, vcc_lo, v15, v43, vcc_lo
	s_and_b32 vcc_lo, exec_lo, s0
	global_store_b16 v[5:6], v7, off
	s_cbranch_vccnz .LBB258_164
; %bb.163:
	v_add_co_u32 v4, vcc_lo, v12, v38
	v_add_co_ci_u32_e32 v5, vcc_lo, v13, v39, vcc_lo
	flat_load_u16 v4, v[4:5]
	s_waitcnt vmcnt(0) lgkmcnt(0)
	v_mul_f16_e32 v4, v48, v4
.LBB258_164:
	v_pk_add_f16 v0, v0, v26
	v_pk_max_f16 v5, v51, v51
	v_pk_add_f16 v2, v2, v26
	v_pk_max_f16 v6, v50, v50
	v_pk_add_f16 v1, v1, v27
	v_pk_add_f16 v3, v3, v27
	v_pk_min_f16 v0, v5, v0
	s_delay_alu instid0(VALU_DEP_4) | instskip(NEXT) | instid1(VALU_DEP_2)
	v_pk_min_f16 v2, v6, v2
	v_pk_min_f16 v0, v0, v1
	s_delay_alu instid0(VALU_DEP_2) | instskip(NEXT) | instid1(VALU_DEP_2)
	v_pk_min_f16 v1, v2, v3
	v_lshrrev_b32_e32 v2, 16, v0
	s_delay_alu instid0(VALU_DEP_2) | instskip(NEXT) | instid1(VALU_DEP_2)
	v_lshrrev_b32_e32 v3, 16, v1
	v_min3_f16 v4, v4, v0, v2
	s_delay_alu instid0(VALU_DEP_2) | instskip(SKIP_2) | instid1(VALU_DEP_3)
	v_min_f16_e32 v0, v1, v3
	v_add_co_u32 v1, vcc_lo, v14, v38
	v_add_co_ci_u32_e32 v2, vcc_lo, v15, v39, vcc_lo
	v_max_f16_e32 v0, v0, v0
	s_mov_b32 vcc_lo, s2
	global_store_b16 v[1:2], v4, off
	s_cbranch_vccz .LBB258_167
; %bb.165:
	v_add_co_u32 v1, vcc_lo, v14, v36
	v_min_f16_e32 v3, 0, v0
	v_add_co_ci_u32_e32 v2, vcc_lo, v15, v37, vcc_lo
	s_mov_b32 s0, 0
	global_store_b16 v[1:2], v3, off
	s_cbranch_execz .LBB258_168
; %bb.166:
	v_mov_b32_e32 v0, s0
	s_branch .LBB258_169
.LBB258_167:
	s_mov_b32 s0, -1
.LBB258_168:
	v_add_co_u32 v1, vcc_lo, v12, v36
	v_add_co_ci_u32_e32 v2, vcc_lo, v13, v37, vcc_lo
	flat_load_u16 v1, v[1:2]
	s_waitcnt vmcnt(0) lgkmcnt(0)
	v_mul_f16_e32 v3, v48, v1
	v_add_co_u32 v1, vcc_lo, v14, v36
	v_add_co_ci_u32_e32 v2, vcc_lo, v15, v37, vcc_lo
	s_delay_alu instid0(VALU_DEP_3)
	v_min_f16_e32 v0, v3, v0
	v_add_co_u32 v3, vcc_lo, v12, v44
	v_add_co_ci_u32_e32 v4, vcc_lo, v13, v45, vcc_lo
	global_store_b16 v[1:2], v0, off
	flat_load_u16 v0, v[3:4]
	s_waitcnt vmcnt(0) lgkmcnt(0)
	v_mul_f16_e32 v0, v48, v0
.LBB258_169:
	v_pk_add_f16 v1, v24, v26
	v_pk_max_f16 v2, v49, v49
	v_pk_add_f16 v3, v25, v27
	s_delay_alu instid0(VALU_DEP_2) | instskip(NEXT) | instid1(VALU_DEP_1)
	v_pk_min_f16 v1, v2, v1
	v_pk_min_f16 v1, v1, v3
	s_delay_alu instid0(VALU_DEP_1) | instskip(NEXT) | instid1(VALU_DEP_1)
	v_lshrrev_b32_e32 v2, 16, v1
	v_min3_f16 v2, v0, v1, v2
	v_add_co_u32 v0, vcc_lo, v14, v44
	v_add_co_ci_u32_e32 v1, vcc_lo, v15, v45, vcc_lo
	global_store_b16 v[0:1], v2, off
	s_nop 0
	s_sendmsg sendmsg(MSG_DEALLOC_VGPRS)
	s_endpgm
	.section	.rodata,"a",@progbits
	.p2align	6, 0x0
	.amdhsa_kernel _ZN12_GLOBAL__N_120geam_min_plus_kernelIDF16_Dv2_DF16_S1_Li32ELi8ELi256ELi64ELi4ELi64ELi4ELi4ELi64ELc78ELc78ELb0ELb0ELb1EPKDF16_S2_DF16_EEviiiT16_PT17_ilS6_ilS4_S6_ilPT18_ili26rocblas_geam_ex_operation_
		.amdhsa_group_segment_fixed_size 5120
		.amdhsa_private_segment_fixed_size 0
		.amdhsa_kernarg_size 136
		.amdhsa_user_sgpr_count 14
		.amdhsa_user_sgpr_dispatch_ptr 0
		.amdhsa_user_sgpr_queue_ptr 0
		.amdhsa_user_sgpr_kernarg_segment_ptr 1
		.amdhsa_user_sgpr_dispatch_id 0
		.amdhsa_user_sgpr_private_segment_size 0
		.amdhsa_wavefront_size32 1
		.amdhsa_uses_dynamic_stack 0
		.amdhsa_enable_private_segment 0
		.amdhsa_system_sgpr_workgroup_id_x 1
		.amdhsa_system_sgpr_workgroup_id_y 0
		.amdhsa_system_sgpr_workgroup_id_z 1
		.amdhsa_system_sgpr_workgroup_info 0
		.amdhsa_system_vgpr_workitem_id 1
		.amdhsa_next_free_vgpr 160
		.amdhsa_next_free_sgpr 24
		.amdhsa_reserve_vcc 1
		.amdhsa_float_round_mode_32 0
		.amdhsa_float_round_mode_16_64 0
		.amdhsa_float_denorm_mode_32 3
		.amdhsa_float_denorm_mode_16_64 3
		.amdhsa_dx10_clamp 1
		.amdhsa_ieee_mode 1
		.amdhsa_fp16_overflow 0
		.amdhsa_workgroup_processor_mode 1
		.amdhsa_memory_ordered 1
		.amdhsa_forward_progress 0
		.amdhsa_shared_vgpr_count 0
		.amdhsa_exception_fp_ieee_invalid_op 0
		.amdhsa_exception_fp_denorm_src 0
		.amdhsa_exception_fp_ieee_div_zero 0
		.amdhsa_exception_fp_ieee_overflow 0
		.amdhsa_exception_fp_ieee_underflow 0
		.amdhsa_exception_fp_ieee_inexact 0
		.amdhsa_exception_int_div_zero 0
	.end_amdhsa_kernel
	.section	.text._ZN12_GLOBAL__N_120geam_min_plus_kernelIDF16_Dv2_DF16_S1_Li32ELi8ELi256ELi64ELi4ELi64ELi4ELi4ELi64ELc78ELc78ELb0ELb0ELb1EPKDF16_S2_DF16_EEviiiT16_PT17_ilS6_ilS4_S6_ilPT18_ili26rocblas_geam_ex_operation_,"axG",@progbits,_ZN12_GLOBAL__N_120geam_min_plus_kernelIDF16_Dv2_DF16_S1_Li32ELi8ELi256ELi64ELi4ELi64ELi4ELi4ELi64ELc78ELc78ELb0ELb0ELb1EPKDF16_S2_DF16_EEviiiT16_PT17_ilS6_ilS4_S6_ilPT18_ili26rocblas_geam_ex_operation_,comdat
.Lfunc_end258:
	.size	_ZN12_GLOBAL__N_120geam_min_plus_kernelIDF16_Dv2_DF16_S1_Li32ELi8ELi256ELi64ELi4ELi64ELi4ELi4ELi64ELc78ELc78ELb0ELb0ELb1EPKDF16_S2_DF16_EEviiiT16_PT17_ilS6_ilS4_S6_ilPT18_ili26rocblas_geam_ex_operation_, .Lfunc_end258-_ZN12_GLOBAL__N_120geam_min_plus_kernelIDF16_Dv2_DF16_S1_Li32ELi8ELi256ELi64ELi4ELi64ELi4ELi4ELi64ELc78ELc78ELb0ELb0ELb1EPKDF16_S2_DF16_EEviiiT16_PT17_ilS6_ilS4_S6_ilPT18_ili26rocblas_geam_ex_operation_
                                        ; -- End function
	.section	.AMDGPU.csdata,"",@progbits
; Kernel info:
; codeLenInByte = 18416
; NumSgprs: 26
; NumVgprs: 160
; ScratchSize: 0
; MemoryBound: 0
; FloatMode: 240
; IeeeMode: 1
; LDSByteSize: 5120 bytes/workgroup (compile time only)
; SGPRBlocks: 3
; VGPRBlocks: 19
; NumSGPRsForWavesPerEU: 26
; NumVGPRsForWavesPerEU: 160
; Occupancy: 9
; WaveLimiterHint : 1
; COMPUTE_PGM_RSRC2:SCRATCH_EN: 0
; COMPUTE_PGM_RSRC2:USER_SGPR: 14
; COMPUTE_PGM_RSRC2:TRAP_HANDLER: 0
; COMPUTE_PGM_RSRC2:TGID_X_EN: 1
; COMPUTE_PGM_RSRC2:TGID_Y_EN: 0
; COMPUTE_PGM_RSRC2:TGID_Z_EN: 1
; COMPUTE_PGM_RSRC2:TIDIG_COMP_CNT: 1
	.section	.text._ZN12_GLOBAL__N_120geam_min_plus_kernelIDF16_Dv2_DF16_S1_Li32ELi8ELi256ELi64ELi4ELi64ELi4ELi4ELi64ELc78ELc78ELb1ELb0ELb1EDF16_KDF16_DF16_EEviiiT16_PT17_ilS5_ilS3_S5_ilPT18_ili26rocblas_geam_ex_operation_,"axG",@progbits,_ZN12_GLOBAL__N_120geam_min_plus_kernelIDF16_Dv2_DF16_S1_Li32ELi8ELi256ELi64ELi4ELi64ELi4ELi4ELi64ELc78ELc78ELb1ELb0ELb1EDF16_KDF16_DF16_EEviiiT16_PT17_ilS5_ilS3_S5_ilPT18_ili26rocblas_geam_ex_operation_,comdat
	.globl	_ZN12_GLOBAL__N_120geam_min_plus_kernelIDF16_Dv2_DF16_S1_Li32ELi8ELi256ELi64ELi4ELi64ELi4ELi4ELi64ELc78ELc78ELb1ELb0ELb1EDF16_KDF16_DF16_EEviiiT16_PT17_ilS5_ilS3_S5_ilPT18_ili26rocblas_geam_ex_operation_ ; -- Begin function _ZN12_GLOBAL__N_120geam_min_plus_kernelIDF16_Dv2_DF16_S1_Li32ELi8ELi256ELi64ELi4ELi64ELi4ELi4ELi64ELc78ELc78ELb1ELb0ELb1EDF16_KDF16_DF16_EEviiiT16_PT17_ilS5_ilS3_S5_ilPT18_ili26rocblas_geam_ex_operation_
	.p2align	8
	.type	_ZN12_GLOBAL__N_120geam_min_plus_kernelIDF16_Dv2_DF16_S1_Li32ELi8ELi256ELi64ELi4ELi64ELi4ELi4ELi64ELc78ELc78ELb1ELb0ELb1EDF16_KDF16_DF16_EEviiiT16_PT17_ilS5_ilS3_S5_ilPT18_ili26rocblas_geam_ex_operation_,@function
_ZN12_GLOBAL__N_120geam_min_plus_kernelIDF16_Dv2_DF16_S1_Li32ELi8ELi256ELi64ELi4ELi64ELi4ELi4ELi64ELc78ELc78ELb1ELb0ELb1EDF16_KDF16_DF16_EEviiiT16_PT17_ilS5_ilS3_S5_ilPT18_ili26rocblas_geam_ex_operation_: ; @_ZN12_GLOBAL__N_120geam_min_plus_kernelIDF16_Dv2_DF16_S1_Li32ELi8ELi256ELi64ELi4ELi64ELi4ELi4ELi64ELc78ELc78ELb1ELb0ELb1EDF16_KDF16_DF16_EEviiiT16_PT17_ilS5_ilS3_S5_ilPT18_ili26rocblas_geam_ex_operation_
; %bb.0:
	s_clause 0x1
	s_load_b64 s[8:9], s[0:1], 0x8
	s_load_b128 s[4:7], s[0:1], 0x20
	s_waitcnt lgkmcnt(0)
	v_cmp_eq_f16_e64 s2, s9, 0
	s_delay_alu instid0(VALU_DEP_1)
	s_and_b32 vcc_lo, exec_lo, s2
	s_cbranch_vccnz .LBB259_3
; %bb.1:
	s_load_b64 s[10:11], s[0:1], 0x10
	s_mul_i32 s3, s15, s5
	s_mul_hi_u32 s5, s15, s4
	s_mul_i32 s4, s15, s4
	s_add_i32 s5, s5, s3
	s_delay_alu instid0(SALU_CYCLE_1)
	s_lshl_b64 s[4:5], s[4:5], 1
	s_waitcnt lgkmcnt(0)
	s_add_u32 s10, s10, s4
	s_addc_u32 s11, s11, s5
	s_and_not1_b32 vcc_lo, exec_lo, s2
	s_cbranch_vccnz .LBB259_4
.LBB259_2:
	s_mov_b32 s19, 0
	s_mov_b64 s[12:13], 0
	s_cbranch_execz .LBB259_5
	s_branch .LBB259_6
.LBB259_3:
	s_mov_b64 s[10:11], 0
	s_and_not1_b32 vcc_lo, exec_lo, s2
	s_cbranch_vccz .LBB259_2
.LBB259_4:
	s_mov_b32 s19, -1
                                        ; implicit-def: $sgpr12_sgpr13
.LBB259_5:
	s_load_b64 s[2:3], s[0:1], 0x38
	s_mov_b32 s19, 0
	s_waitcnt lgkmcnt(0)
	s_mul_i32 s3, s15, s3
	s_mul_hi_u32 s4, s15, s2
	s_mul_i32 s2, s15, s2
	s_add_i32 s3, s4, s3
	s_delay_alu instid0(SALU_CYCLE_1) | instskip(NEXT) | instid1(SALU_CYCLE_1)
	s_lshl_b64 s[2:3], s[2:3], 1
	s_add_u32 s12, s6, s2
	s_addc_u32 s13, s7, s3
.LBB259_6:
	s_clause 0x1
	s_load_b32 s18, s[0:1], 0x40
	s_load_b128 s[4:7], s[0:1], 0x58
	s_waitcnt lgkmcnt(0)
	v_cmp_eq_f16_e64 s2, s18, 0
	s_delay_alu instid0(VALU_DEP_1) | instskip(NEXT) | instid1(SALU_CYCLE_1)
	s_and_b32 s2, exec_lo, s2
	s_mov_b32 vcc_lo, s2
	s_cbranch_vccnz .LBB259_8
; %bb.7:
	s_load_b64 s[16:17], s[0:1], 0x48
	s_mul_i32 s3, s15, s5
	s_mul_hi_u32 s5, s15, s4
	s_delay_alu instid0(SALU_CYCLE_1) | instskip(SKIP_3) | instid1(SALU_CYCLE_1)
	s_add_i32 s3, s5, s3
	s_mul_i32 s5, s19, s4
	s_mul_i32 s4, s15, s4
	s_add_i32 s5, s3, s5
	s_lshl_b64 s[4:5], s[4:5], 1
	s_waitcnt lgkmcnt(0)
	s_add_u32 s4, s16, s4
	s_addc_u32 s5, s17, s5
	s_branch .LBB259_9
.LBB259_8:
	s_mov_b64 s[4:5], 0
.LBB259_9:
	s_clause 0x2
	s_load_b32 s3, s[0:1], 0x0
	s_load_b32 s16, s[0:1], 0x18
	;; [unrolled: 1-line block ×3, first 2 shown]
	v_and_b32_e32 v162, 0x3ff, v0
	v_bfe_u32 v163, v0, 10, 10
	s_delay_alu instid0(VALU_DEP_2) | instskip(NEXT) | instid1(VALU_DEP_2)
	v_lshlrev_b32_e32 v218, 3, v162
	v_lshl_add_u32 v2, v163, 5, v162
	v_lshlrev_b32_e32 v164, 3, v163
	s_delay_alu instid0(VALU_DEP_2) | instskip(SKIP_4) | instid1(SALU_CYCLE_1)
	v_lshrrev_b32_e32 v4, 6, v2
	v_lshrrev_b32_e32 v15, 2, v2
	v_and_b32_e32 v18, 63, v2
	s_waitcnt lgkmcnt(0)
	s_add_i32 s3, s3, -1
	s_ashr_i32 s17, s3, 31
	s_delay_alu instid0(SALU_CYCLE_1) | instskip(NEXT) | instid1(SALU_CYCLE_1)
	s_lshr_b32 s17, s17, 24
	s_add_i32 s3, s3, s17
	s_delay_alu instid0(SALU_CYCLE_1) | instskip(NEXT) | instid1(SALU_CYCLE_1)
	s_ashr_i32 s3, s3, 8
	s_add_i32 s17, s3, 1
	s_not_b32 s3, s3
	v_cvt_f32_u32_e32 v1, s17
	s_delay_alu instid0(VALU_DEP_1) | instskip(SKIP_2) | instid1(VALU_DEP_1)
	v_rcp_iflag_f32_e32 v1, v1
	s_waitcnt_depctr 0xfff
	v_mul_f32_e32 v1, 0x4f7ffffe, v1
	v_cvt_u32_f32_e32 v1, v1
	s_delay_alu instid0(VALU_DEP_1) | instskip(SKIP_1) | instid1(VALU_DEP_2)
	v_readfirstlane_b32 s20, v1
	v_mad_i64_i32 v[0:1], null, s16, v4, 0
	s_mul_i32 s3, s3, s20
	s_delay_alu instid0(SALU_CYCLE_1) | instskip(NEXT) | instid1(VALU_DEP_1)
	s_mul_hi_u32 s3, s20, s3
	v_lshlrev_b64 v[0:1], 1, v[0:1]
	s_add_i32 s20, s20, s3
	s_delay_alu instid0(SALU_CYCLE_1) | instskip(NEXT) | instid1(SALU_CYCLE_1)
	s_mul_hi_u32 s3, s14, s20
	s_mul_i32 s20, s3, s17
	s_add_i32 s21, s3, 1
	s_sub_i32 s20, s14, s20
	v_add_co_u32 v10, vcc_lo, s10, v0
	s_sub_i32 s22, s20, s17
	s_cmp_ge_u32 s20, s17
	v_add_co_ci_u32_e32 v11, vcc_lo, s11, v1, vcc_lo
	s_cselect_b32 s3, s21, s3
	s_cselect_b32 s20, s22, s20
	s_add_i32 s21, s3, 1
	s_cmp_ge_u32 s20, s17
	s_cselect_b32 s20, s21, s3
	s_delay_alu instid0(SALU_CYCLE_1) | instskip(SKIP_3) | instid1(SALU_CYCLE_1)
	s_lshl_b32 s3, s20, 6
	s_mul_i32 s20, s20, s17
	v_add_nc_u32_e32 v5, s3, v15
	s_sub_i32 s14, s14, s20
	s_lshl_b32 s14, s14, 8
	s_cmp_lt_i32 s8, 9
	s_delay_alu instid0(VALU_DEP_1) | instskip(SKIP_2) | instid1(VALU_DEP_2)
	v_mad_i64_i32 v[2:3], null, v5, s9, 0
	v_or_b32_e32 v8, s14, v18
	v_and_b32_e32 v5, 3, v162
	v_ashrrev_i32_e32 v9, 31, v8
	s_delay_alu instid0(VALU_DEP_4) | instskip(NEXT) | instid1(VALU_DEP_3)
	v_lshlrev_b64 v[2:3], 1, v[2:3]
	v_lshlrev_b32_e32 v5, 1, v5
	s_delay_alu instid0(VALU_DEP_3) | instskip(NEXT) | instid1(VALU_DEP_3)
	v_lshlrev_b64 v[0:1], 1, v[8:9]
	v_add_co_u32 v12, vcc_lo, s12, v2
	s_delay_alu instid0(VALU_DEP_4) | instskip(NEXT) | instid1(VALU_DEP_3)
	v_add_co_ci_u32_e32 v13, vcc_lo, s13, v3, vcc_lo
	v_add_co_u32 v8, vcc_lo, v10, v0
	s_delay_alu instid0(VALU_DEP_4) | instskip(NEXT) | instid1(VALU_DEP_4)
	v_add_co_ci_u32_e32 v9, vcc_lo, v11, v1, vcc_lo
	v_add_co_u32 v10, vcc_lo, v12, v5
	s_delay_alu instid0(VALU_DEP_4)
	v_add_co_ci_u32_e32 v11, vcc_lo, 0, v13, vcc_lo
	s_clause 0x3
	flat_load_u16 v19, v[8:9]
	flat_load_u16 v20, v[8:9] offset:128
	flat_load_u16 v21, v[8:9] offset:256
	;; [unrolled: 1-line block ×3, first 2 shown]
	flat_load_u16 v23, v[10:11]
	v_add_nc_u32_e32 v12, 4, v4
	v_lshl_or_b32 v15, v15, 3, v5
	s_delay_alu instid0(VALU_DEP_2) | instskip(NEXT) | instid1(VALU_DEP_1)
	v_mad_i64_i32 v[8:9], null, s16, v12, 0
	v_lshlrev_b64 v[8:9], 1, v[8:9]
	s_delay_alu instid0(VALU_DEP_1) | instskip(NEXT) | instid1(VALU_DEP_2)
	v_add_co_u32 v8, vcc_lo, s10, v8
	v_add_co_ci_u32_e32 v9, vcc_lo, s11, v9, vcc_lo
	s_delay_alu instid0(VALU_DEP_2) | instskip(NEXT) | instid1(VALU_DEP_2)
	v_add_co_u32 v8, vcc_lo, v8, v0
	v_add_co_ci_u32_e32 v9, vcc_lo, v9, v1, vcc_lo
	s_clause 0x3
	flat_load_u16 v12, v[8:9]
	flat_load_u16 v13, v[8:9] offset:128
	flat_load_u16 v14, v[8:9] offset:256
	flat_load_u16 v16, v[8:9] offset:384
	flat_load_u16 v17, v[10:11] offset:8
	v_lshlrev_b32_e32 v9, 1, v4
	v_add_nc_u32_e32 v11, 0x1000, v164
	s_delay_alu instid0(VALU_DEP_2)
	v_lshl_add_u32 v165, v18, 3, v9
	s_waitcnt vmcnt(9) lgkmcnt(9)
	ds_store_b16 v165, v19
	s_waitcnt vmcnt(8) lgkmcnt(9)
	ds_store_b16 v165, v20 offset:512
	s_waitcnt vmcnt(7) lgkmcnt(9)
	ds_store_b16 v165, v21 offset:1024
	;; [unrolled: 2-line block ×4, first 2 shown]
	s_waitcnt vmcnt(0) lgkmcnt(0)
	s_barrier
	buffer_gl0_inv
	ds_load_2addr_b64 v[18:21], v218 offset1:32
	ds_load_2addr_b64 v[22:25], v11 offset1:8
	ds_load_2addr_b64 v[26:29], v218 offset0:64 offset1:96
	ds_load_2addr_b64 v[30:33], v218 offset0:128 offset1:160
	;; [unrolled: 1-line block ×6, first 2 shown]
	ds_store_b16 v165, v12 offset:2048
	ds_store_b16 v165, v13 offset:2560
	;; [unrolled: 1-line block ×3, first 2 shown]
	s_waitcnt lgkmcnt(9)
	v_pk_add_f16 v11, v18, v22
	v_pk_add_f16 v50, v20, v22
	s_waitcnt lgkmcnt(8)
	v_pk_add_f16 v51, v26, v22
	v_pk_add_f16 v52, v28, v22
	;; [unrolled: 3-line block ×4, first 2 shown]
	v_pk_add_f16 v56, v18, v24
	v_pk_add_f16 v57, v20, v24
	;; [unrolled: 1-line block ×8, first 2 shown]
	s_waitcnt lgkmcnt(5)
	v_pk_add_f16 v63, v18, v38
	v_pk_add_f16 v64, v20, v38
	;; [unrolled: 1-line block ×24, first 2 shown]
	s_waitcnt lgkmcnt(4)
	v_pk_add_f16 v39, v18, v42
	v_pk_add_f16 v94, v20, v42
	;; [unrolled: 1-line block ×16, first 2 shown]
	s_waitcnt lgkmcnt(3)
	v_pk_add_f16 v133, v18, v46
	v_pk_add_f16 v134, v20, v46
	;; [unrolled: 1-line block ×72, first 2 shown]
	v_pk_min_f16 v11, 0x7c00, v11 op_sel_hi:[0,1]
	v_pk_min_f16 v37, 0x7c00, v50 op_sel_hi:[0,1]
	;; [unrolled: 1-line block ×64, first 2 shown]
	v_pk_min_f16 v155, v11, v77
	v_pk_min_f16 v34, v37, v78
	;; [unrolled: 1-line block ×64, first 2 shown]
	scratch_store_b32 off, v165, off offset:296 ; 4-byte Folded Spill
	ds_store_b16 v165, v16 offset:3584
	ds_store_b16 v15, v17 offset:4608
	s_waitcnt lgkmcnt(0)
	s_waitcnt_vscnt null, 0x0
	s_barrier
	buffer_gl0_inv
	s_cbranch_scc1 .LBB259_13
; %bb.10:
	v_dual_mov_b32 v17, v22 :: v_dual_add_nc_u32 v6, 0x1000, v15
	v_add_nc_u32_e32 v18, 12, v4
	v_add_co_u32 v20, vcc_lo, v2, v5
	s_clause 0x1
	scratch_store_b32 off, v6, off offset:300
	scratch_store_b32 off, v164, off offset:348
	v_add_nc_u32_e32 v6, 0x1000, v164
	v_add_co_ci_u32_e32 v21, vcc_lo, 0, v3, vcc_lo
	v_mad_i64_i32 v[2:3], null, v18, s16, 0
	scratch_store_b32 off, v6, off offset:304 ; 4-byte Folded Spill
	scratch_load_b32 v6, off, off offset:296 ; 4-byte Folded Reload
	v_dual_mov_b32 v16, v23 :: v_dual_add_nc_u32 v19, 8, v4
	v_add_co_u32 v18, vcc_lo, s10, v0
	s_ashr_i32 s17, s16, 31
	s_delay_alu instid0(VALU_DEP_2)
	v_mad_i64_i32 v[4:5], null, v19, s16, 0
	v_add_co_ci_u32_e32 v19, vcc_lo, s11, v1, vcc_lo
	v_lshlrev_b64 v[0:1], 1, v[2:3]
	v_add_co_u32 v20, vcc_lo, v20, s12
	v_add_co_ci_u32_e32 v21, vcc_lo, s13, v21, vcc_lo
	s_add_i32 s10, s8, -8
	s_lshl_b64 s[8:9], s[16:17], 4
	s_mov_b32 s11, 0
	s_waitcnt vmcnt(0)
	v_add_nc_u32_e32 v6, 0x800, v6
	scratch_store_b32 off, v6, off offset:308 ; 4-byte Folded Spill
	v_add_nc_u32_e32 v6, 0x1200, v15
	s_clause 0x1
	scratch_store_b32 off, v6, off offset:312
	scratch_store_b32 off, v162, off offset:340
	v_lshl_add_u32 v6, v162, 3, 0x800
	s_clause 0x1
	scratch_store_b32 off, v6, off offset:316
	scratch_store_b32 off, v163, off offset:344
	v_lshl_add_u32 v6, v163, 3, 0x1200
	scratch_store_b64 off, v[0:1], off offset:324 ; 8-byte Folded Spill
	v_lshlrev_b64 v[0:1], 1, v[4:5]
	v_add_co_u32 v4, vcc_lo, v20, 24
	scratch_store_b32 off, v6, off offset:320 ; 4-byte Folded Spill
	v_add_co_ci_u32_e32 v5, vcc_lo, 0, v21, vcc_lo
	scratch_store_b64 off, v[0:1], off offset:332 ; 8-byte Folded Spill
.LBB259_11:                             ; =>This Inner Loop Header: Depth=1
	s_clause 0x1
	scratch_load_b32 v0, off, off offset:316
	scratch_load_b32 v1, off, off offset:320
	v_pk_max_f16 v22, v143, v143
	v_pk_max_f16 v143, v147, v147
	;; [unrolled: 1-line block ×7, first 2 shown]
	v_mov_b32_e32 v6, v218
	v_pk_max_f16 v154, v154, v154
	v_pk_max_f16 v153, v153, v153
	;; [unrolled: 1-line block ×54, first 2 shown]
	s_add_i32 s11, s11, 8
	s_delay_alu instid0(SALU_CYCLE_1)
	s_cmp_ge_i32 s11, s10
	s_waitcnt vmcnt(1)
	ds_load_2addr_b64 v[187:190], v0 offset0:192 offset1:224
	s_waitcnt vmcnt(0)
	ds_load_2addr_b64 v[128:131], v1 offset0:48 offset1:56
	ds_load_2addr_b64 v[205:208], v0 offset1:32
	ds_load_2addr_b64 v[193:196], v0 offset0:128 offset1:160
	ds_load_2addr_b64 v[201:204], v0 offset0:64 offset1:96
	;; [unrolled: 1-line block ×4, first 2 shown]
	ds_load_2addr_b64 v[209:212], v1 offset1:8
	s_waitcnt lgkmcnt(6)
	v_pk_add_f16 v2, v189, v130
	s_waitcnt lgkmcnt(5)
	v_pk_add_f16 v0, v207, v130
	;; [unrolled: 2-line block ×3, first 2 shown]
	s_clause 0x1
	scratch_store_b32 off, v2, off offset:60
	scratch_store_b32 off, v0, off offset:108
	v_pk_add_f16 v2, v190, v131
	v_pk_add_f16 v0, v208, v131
	s_waitcnt lgkmcnt(1)
	v_pk_add_f16 v170, v201, v182
	s_waitcnt lgkmcnt(0)
	v_pk_add_f16 v225, v201, v211
	v_pk_add_f16 v227, v201, v209
	s_clause 0x1
	scratch_store_b32 off, v2, off
	scratch_store_b32 off, v0, off offset:24
	v_pk_add_f16 v2, v187, v130
	v_pk_add_f16 v0, v205, v130
	;; [unrolled: 1-line block ×5, first 2 shown]
	scratch_store_b32 off, v2, off offset:68 ; 4-byte Folded Spill
	v_pk_add_f16 v2, v188, v131
	scratch_store_b32 off, v0, off offset:116 ; 4-byte Folded Spill
	v_pk_add_f16 v0, v206, v131
	v_pk_add_f16 v165, v190, v212
	v_pk_add_f16 v197, v189, v209
	scratch_store_b32 off, v2, off offset:4 ; 4-byte Folded Spill
	v_pk_add_f16 v2, v195, v130
	scratch_store_b32 off, v0, off offset:28 ; 4-byte Folded Spill
	v_pk_add_f16 v0, v189, v128
	v_pk_add_f16 v175, v190, v210
	v_pk_add_f16 v164, v187, v182
	scratch_store_b32 off, v2, off offset:76 ; 4-byte Folded Spill
	v_pk_add_f16 v2, v196, v131
	scratch_store_b32 off, v0, off offset:124 ; 4-byte Folded Spill
	v_pk_add_f16 v0, v190, v129
	v_pk_add_f16 v166, v195, v182
	v_pk_add_f16 v169, v203, v182
	scratch_store_b32 off, v2, off offset:8 ; 4-byte Folded Spill
	v_pk_add_f16 v2, v193, v130
	scratch_store_b32 off, v0, off offset:32 ; 4-byte Folded Spill
	v_pk_add_f16 v0, v187, v128
	v_pk_add_f16 v172, v205, v182
	v_pk_add_f16 v174, v187, v180
	scratch_store_b32 off, v2, off offset:84 ; 4-byte Folded Spill
	v_pk_add_f16 v2, v194, v131
	scratch_store_b32 off, v0, off offset:132 ; 4-byte Folded Spill
	v_pk_add_f16 v0, v188, v129
	v_pk_add_f16 v176, v195, v180
	v_pk_add_f16 v178, v193, v180
	scratch_store_b32 off, v2, off offset:12 ; 4-byte Folded Spill
	v_pk_add_f16 v2, v203, v130
	scratch_store_b32 off, v0, off offset:36 ; 4-byte Folded Spill
	v_pk_add_f16 v0, v195, v128
	v_pk_add_f16 v179, v203, v180
	v_pk_add_f16 v185, v207, v180
	scratch_store_b32 off, v2, off offset:92 ; 4-byte Folded Spill
	v_pk_add_f16 v2, v204, v131
	scratch_store_b32 off, v0, off offset:140 ; 4-byte Folded Spill
	v_pk_add_f16 v0, v196, v129
	v_pk_add_f16 v186, v205, v180
	v_pk_add_f16 v21, v206, v181
	scratch_store_b32 off, v2, off offset:16 ; 4-byte Folded Spill
	v_pk_add_f16 v2, v201, v130
	scratch_store_b32 off, v0, off offset:40 ; 4-byte Folded Spill
	v_pk_add_f16 v0, v193, v128
	v_pk_add_f16 v130, v208, v181
	v_pk_add_f16 v192, v187, v211
	scratch_store_b32 off, v2, off offset:100 ; 4-byte Folded Spill
	v_pk_add_f16 v2, v202, v131
	scratch_store_b32 off, v0, off offset:148 ; 4-byte Folded Spill
	v_pk_add_f16 v0, v194, v129
	v_pk_add_f16 v131, v205, v160
	v_pk_add_f16 v167, v188, v212
	scratch_store_b32 off, v2, off offset:20 ; 4-byte Folded Spill
	v_pk_add_f16 v198, v187, v209
	scratch_store_b32 off, v0, off offset:44 ; 4-byte Folded Spill
	v_pk_add_f16 v0, v203, v128
	v_pk_add_f16 v177, v188, v210
	v_pk_add_f16 v200, v195, v211
	v_pk_add_f16 v199, v195, v209
	v_pk_add_f16 v224, v203, v211
	scratch_store_b32 off, v0, off offset:156 ; 4-byte Folded Spill
	v_pk_add_f16 v0, v204, v129
	v_pk_add_f16 v226, v203, v209
	v_pk_add_f16 v229, v205, v211
	v_pk_add_f16 v231, v205, v209
	v_pk_add_f16 v157, v207, v160
	scratch_store_b32 off, v0, off offset:48 ; 4-byte Folded Spill
	v_pk_add_f16 v0, v201, v128
	v_pk_add_f16 v168, v193, v182
	v_pk_add_f16 v171, v207, v182
	;; [unrolled: 6-line block ×3, first 2 shown]
	v_pk_add_f16 v230, v207, v209
	v_pk_min_f16 v20, v76, v20
	scratch_store_b32 off, v0, off offset:52 ; 4-byte Folded Spill
	v_pk_add_f16 v0, v207, v128
	v_pk_min_f16 v36, v36, v199
	v_pk_min_f16 v37, v37, v223
	;; [unrolled: 1-line block ×4, first 2 shown]
	scratch_store_b32 off, v0, off offset:172 ; 4-byte Folded Spill
	v_pk_add_f16 v0, v208, v129
	v_pk_min_f16 v34, v34, v230
	v_pk_min_f16 v37, v37, v184
	scratch_store_b32 off, v0, off offset:56 ; 4-byte Folded Spill
	v_pk_add_f16 v0, v205, v128
	scratch_store_b32 off, v0, off offset:180 ; 4-byte Folded Spill
	v_pk_add_f16 v0, v206, v129
	;; [unrolled: 2-line block ×18, first 2 shown]
	v_pk_add_f16 v163, v189, v182
	v_pk_add_f16 v182, v194, v212
	scratch_store_b32 off, v0, off offset:128 ; 4-byte Folded Spill
	v_pk_add_f16 v0, v189, v160
	v_pk_add_f16 v189, v202, v212
	scratch_store_b32 off, v0, off offset:252 ; 4-byte Folded Spill
	v_pk_add_f16 v0, v190, v161
	scratch_store_b32 off, v0, off offset:136 ; 4-byte Folded Spill
	v_pk_add_f16 v0, v187, v160
	v_pk_add_f16 v187, v204, v210
	scratch_store_b32 off, v0, off offset:260 ; 4-byte Folded Spill
	v_pk_add_f16 v0, v188, v161
	v_pk_min_f16 v38, v38, v187
	scratch_store_b32 off, v0, off offset:144 ; 4-byte Folded Spill
	v_pk_add_f16 v0, v195, v160
	v_pk_add_f16 v195, v206, v212
	scratch_store_b32 off, v0, off offset:268 ; 4-byte Folded Spill
	v_pk_add_f16 v0, v196, v161
	scratch_store_b32 off, v0, off offset:152 ; 4-byte Folded Spill
	v_pk_add_f16 v0, v193, v160
	v_pk_add_f16 v193, v208, v210
	scratch_store_b32 off, v0, off offset:276 ; 4-byte Folded Spill
	v_pk_add_f16 v0, v194, v161
	v_pk_min_f16 v34, v34, v193
	scratch_store_b32 off, v0, off offset:160 ; 4-byte Folded Spill
	v_pk_add_f16 v0, v204, v161
	scratch_store_b32 off, v0, off offset:168 ; 4-byte Folded Spill
	v_pk_add_f16 v0, v201, v160
	;; [unrolled: 2-line block ×13, first 2 shown]
	v_pk_add_f16 v183, v201, v180
	v_pk_add_f16 v180, v196, v210
	scratch_store_b32 off, v0, off offset:256 ; 4-byte Folded Spill
	v_pk_add_f16 v0, v190, v181
	v_pk_add_f16 v190, v202, v210
	v_pk_min_f16 v36, v36, v180
	scratch_store_b32 off, v0, off offset:264 ; 4-byte Folded Spill
	v_pk_add_f16 v0, v188, v181
	v_pk_add_f16 v188, v204, v212
	v_pk_min_f16 v39, v39, v190
	scratch_store_b32 off, v0, off offset:272 ; 4-byte Folded Spill
	v_pk_add_f16 v0, v196, v181
	scratch_store_b32 off, v0, off offset:280 ; 4-byte Folded Spill
	v_pk_add_f16 v0, v194, v181
	v_pk_add_f16 v194, v208, v212
	scratch_store_b32 off, v0, off offset:284 ; 4-byte Folded Spill
	v_pk_add_f16 v0, v204, v181
	v_pk_add_f16 v181, v196, v212
	;; [unrolled: 1-line block ×3, first 2 shown]
	scratch_store_b32 off, v0, off offset:292 ; 4-byte Folded Spill
	scratch_load_b64 v[0:1], off, off offset:332 ; 8-byte Folded Reload
	s_waitcnt vmcnt(0)
	v_add_co_u32 v201, vcc_lo, v18, v0
	v_add_co_ci_u32_e32 v202, vcc_lo, v19, v1, vcc_lo
	s_clause 0x3
	flat_load_u16 v203, v[201:202] offset:384
	flat_load_u16 v204, v[201:202] offset:256
	;; [unrolled: 1-line block ×3, first 2 shown]
	flat_load_u16 v206, v[201:202]
	v_add_co_u32 v201, vcc_lo, -8, v4
	v_add_co_ci_u32_e32 v202, vcc_lo, -1, v5, vcc_lo
	flat_load_u16 v201, v[201:202]
	scratch_load_b32 v0, off, off offset:296 ; 4-byte Folded Reload
	v_mov_b32_e32 v1, v53
	s_waitcnt vmcnt(0) lgkmcnt(1)
	ds_store_b16 v0, v206
	ds_store_b16 v0, v205 offset:512
	ds_store_b16 v0, v204 offset:1024
	;; [unrolled: 1-line block ×3, first 2 shown]
	scratch_load_b32 v0, off, off offset:300 ; 4-byte Folded Reload
	s_waitcnt vmcnt(0) lgkmcnt(4)
	ds_store_b16 v0, v201
	s_waitcnt lgkmcnt(0)
	s_waitcnt_vscnt null, 0x0
	s_barrier
	buffer_gl0_inv
	s_clause 0x1
	scratch_load_b32 v14, off, off offset:304
	scratch_load_b32 v54, off, off offset:60
	ds_load_2addr_b64 v[202:205], v218 offset1:32
	ds_load_2addr_b64 v[210:213], v218 offset0:64 offset1:96
	ds_load_2addr_b64 v[214:217], v218 offset0:128 offset1:160
	;; [unrolled: 1-line block ×3, first 2 shown]
	v_mov_b32_e32 v0, v57
	s_delay_alu instid0(VALU_DEP_1)
	v_pk_max_f16 v0, v0, v0
	s_waitcnt vmcnt(1)
	ds_load_2addr_b64 v[206:209], v14 offset1:8
	s_waitcnt vmcnt(0)
	v_pk_min_f16 v40, v40, v54
	scratch_load_b32 v54, off, off offset:68 ; 4-byte Folded Reload
	s_waitcnt lgkmcnt(0)
	v_pk_add_f16 v201, v202, v206
	v_pk_add_f16 v232, v204, v206
	;; [unrolled: 1-line block ×32, first 2 shown]
	ds_load_2addr_b64 v[206:209], v14 offset0:16 offset1:24
	v_pk_min_f16 v34, v34, v232
	v_pk_min_f16 v39, v39, v233
	;; [unrolled: 1-line block ×10, first 2 shown]
	s_waitcnt lgkmcnt(0)
	v_pk_add_f16 v2, v202, v206
	v_pk_add_f16 v3, v204, v206
	v_pk_add_f16 v9, v210, v206
	v_pk_add_f16 v10, v212, v206
	v_pk_add_f16 v48, v214, v206
	v_pk_add_f16 v49, v216, v206
	v_pk_add_f16 v24, v218, v206
	v_pk_add_f16 v25, v220, v206
	v_pk_add_f16 v50, v202, v208
	v_pk_add_f16 v51, v204, v208
	v_pk_add_f16 v26, v210, v208
	v_pk_add_f16 v52, v212, v208
	v_pk_add_f16 v27, v214, v208
	v_pk_add_f16 v28, v216, v208
	v_pk_add_f16 v53, v218, v208
	v_pk_add_f16 v29, v220, v208
	v_pk_add_f16 v30, v203, v207
	v_pk_add_f16 v15, v205, v207
	v_pk_add_f16 v12, v211, v207
	v_pk_add_f16 v31, v213, v207
	v_pk_add_f16 v56, v215, v207
	v_pk_add_f16 v57, v217, v207
	v_pk_add_f16 v33, v219, v207
	v_pk_add_f16 v35, v221, v207
	v_pk_add_f16 v58, v203, v209
	v_pk_add_f16 v44, v205, v209
	v_pk_add_f16 v8, v211, v209
	v_pk_add_f16 v7, v213, v209
	v_pk_add_f16 v98, v215, v209
	v_pk_add_f16 v61, v217, v209
	v_pk_add_f16 v62, v219, v209
	v_pk_add_f16 v63, v221, v209
	ds_load_2addr_b64 v[206:209], v14 offset0:32 offset1:40
	s_waitcnt lgkmcnt(0)
	v_pk_add_f16 v116, v202, v206
	v_pk_add_f16 v117, v204, v206
	;; [unrolled: 1-line block ×32, first 2 shown]
	ds_load_2addr_b64 v[206:209], v14 offset0:48 offset1:56
	v_pk_max_f16 v14, v148, v148
	v_pk_max_f16 v148, v1, v1
	s_waitcnt lgkmcnt(0)
	v_pk_add_f16 v1, v218, v206
	v_pk_add_f16 v112, v202, v206
	;; [unrolled: 1-line block ×32, first 2 shown]
	s_waitcnt vmcnt(0)
	v_pk_min_f16 v41, v41, v54
	scratch_load_b32 v54, off, off offset:76 ; 4-byte Folded Reload
	s_waitcnt vmcnt(0)
	v_pk_min_f16 v22, v22, v54
	scratch_load_b32 v54, off, off offset:84 ; 4-byte Folded Reload
	;; [unrolled: 3-line block ×27, first 2 shown]
	s_waitcnt vmcnt(0)
	v_pk_min_f16 v76, v77, v54
	scratch_load_b32 v54, off, off          ; 4-byte Folded Reload
	v_pk_min_f16 v77, v78, v157
	v_pk_min_f16 v78, v79, v131
	;; [unrolled: 1-line block ×56, first 2 shown]
	s_delay_alu instid0(VALU_DEP_2) | instskip(NEXT) | instid1(VALU_DEP_2)
	v_pk_min_f16 v94, v3, v15
	v_pk_min_f16 v93, v9, v12
	s_waitcnt vmcnt(0)
	v_pk_min_f16 v40, v40, v54
	scratch_load_b32 v54, off, off offset:4 ; 4-byte Folded Reload
	v_pk_min_f16 v40, v40, v208
	s_waitcnt vmcnt(0)
	v_pk_min_f16 v41, v41, v54
	scratch_load_b32 v54, off, off offset:8 ; 4-byte Folded Reload
	v_pk_min_f16 v41, v41, v218
	v_mov_b32_e32 v218, v6
	s_waitcnt vmcnt(0)
	v_pk_min_f16 v22, v22, v54
	scratch_load_b32 v54, off, off offset:12 ; 4-byte Folded Reload
	v_pk_min_f16 v22, v22, v216
	s_waitcnt vmcnt(0)
	v_pk_min_f16 v23, v23, v54
	scratch_load_b32 v54, off, off offset:16 ; 4-byte Folded Reload
	v_pk_min_f16 v23, v23, v214
	s_waitcnt vmcnt(0)
	v_pk_min_f16 v131, v142, v54
	scratch_load_b32 v54, off, off offset:20 ; 4-byte Folded Reload
	s_waitcnt vmcnt(0)
	v_pk_min_f16 v142, v143, v54
	scratch_load_b32 v54, off, off offset:24 ; 4-byte Folded Reload
	;; [unrolled: 3-line block ×3, first 2 shown]
	v_pk_min_f16 v14, v14, v204
	s_waitcnt vmcnt(0)
	v_pk_min_f16 v143, v154, v54
	scratch_load_b32 v54, off, off offset:32 ; 4-byte Folded Reload
	s_waitcnt vmcnt(0)
	v_pk_min_f16 v153, v153, v54
	scratch_load_b32 v54, off, off offset:36 ; 4-byte Folded Reload
	;; [unrolled: 3-line block ×3, first 2 shown]
	v_pk_min_f16 v1, v152, v1
	s_delay_alu instid0(VALU_DEP_1) | instskip(SKIP_4) | instid1(VALU_DEP_1)
	v_pk_min_f16 v152, v1, v220
	s_waitcnt vmcnt(0)
	v_pk_min_f16 v151, v151, v54
	scratch_load_b32 v54, off, off offset:44 ; 4-byte Folded Reload
	v_pk_min_f16 v46, v151, v46
	v_pk_min_f16 v151, v46, v43
	s_waitcnt vmcnt(0)
	v_pk_min_f16 v150, v150, v54
	scratch_load_b32 v54, off, off offset:48 ; 4-byte Folded Reload
	v_pk_min_f16 v45, v150, v45
	s_delay_alu instid0(VALU_DEP_1) | instskip(SKIP_4) | instid1(VALU_DEP_1)
	v_pk_min_f16 v150, v45, v42
	s_waitcnt vmcnt(0)
	v_pk_min_f16 v149, v149, v54
	scratch_load_b32 v54, off, off offset:52 ; 4-byte Folded Reload
	v_pk_min_f16 v109, v149, v109
	v_pk_min_f16 v149, v109, v107
	s_waitcnt vmcnt(0)
	v_pk_min_f16 v148, v148, v54
	scratch_load_b32 v54, off, off offset:56 ; 4-byte Folded Reload
	v_pk_min_f16 v108, v148, v108
	v_pk_min_f16 v148, v14, v205
	s_waitcnt vmcnt(0)
	v_pk_min_f16 v147, v147, v54
	scratch_load_b32 v54, off, off offset:64 ; 4-byte Folded Reload
	s_waitcnt vmcnt(0)
	v_pk_min_f16 v146, v146, v54
	scratch_load_b32 v54, off, off offset:72 ; 4-byte Folded Reload
	s_waitcnt vmcnt(0)
	v_pk_min_f16 v11, v11, v54
	scratch_load_b32 v54, off, off offset:80 ; 4-byte Folded Reload
	v_pk_min_f16 v11, v11, v32
	v_pk_min_f16 v32, v146, v112
	;; [unrolled: 1-line block ×3, first 2 shown]
	s_delay_alu instid0(VALU_DEP_3) | instskip(NEXT) | instid1(VALU_DEP_3)
	v_pk_min_f16 v11, v11, v115
	v_pk_min_f16 v55, v32, v110
	s_delay_alu instid0(VALU_DEP_3)
	v_pk_min_f16 v153, v112, v207
	s_waitcnt vmcnt(0)
	v_pk_min_f16 v0, v0, v54
	scratch_load_b32 v54, off, off offset:88 ; 4-byte Folded Reload
	v_pk_min_f16 v0, v0, v66
	v_pk_min_f16 v66, v147, v113
	v_pk_min_f16 v113, v143, v202
	v_pk_min_f16 v143, v22, v217
	s_waitcnt vmcnt(0)
	v_pk_min_f16 v17, v17, v54
	scratch_load_b32 v54, off, off offset:96 ; 4-byte Folded Reload
	v_pk_min_f16 v17, v17, v127
	s_delay_alu instid0(VALU_DEP_1)
	v_pk_min_f16 v17, v17, v13
	s_waitcnt vmcnt(0)
	v_pk_min_f16 v145, v145, v54
	scratch_load_b32 v54, off, off offset:104 ; 4-byte Folded Reload
	s_waitcnt vmcnt(0)
	v_pk_min_f16 v144, v144, v54
	scratch_load_b32 v54, off, off offset:112 ; 4-byte Folded Reload
	;; [unrolled: 3-line block ×3, first 2 shown]
	v_pk_min_f16 v16, v16, v124
	s_delay_alu instid0(VALU_DEP_1) | instskip(SKIP_4) | instid1(VALU_DEP_1)
	v_pk_min_f16 v16, v16, v69
	s_waitcnt vmcnt(0)
	v_pk_min_f16 v70, v70, v54
	scratch_load_b32 v54, off, off offset:128 ; 4-byte Folded Reload
	v_pk_min_f16 v65, v70, v65
	v_pk_min_f16 v70, v65, v139
	s_waitcnt vmcnt(0)
	v_pk_min_f16 v71, v71, v54
	scratch_load_b32 v54, off, off offset:136 ; 4-byte Folded Reload
	v_pk_min_f16 v71, v71, v123
	s_delay_alu instid0(VALU_DEP_1) | instskip(SKIP_4) | instid1(VALU_DEP_1)
	v_pk_min_f16 v71, v71, v138
	s_waitcnt vmcnt(0)
	v_pk_min_f16 v72, v72, v54
	scratch_load_b32 v54, off, off offset:144 ; 4-byte Folded Reload
	v_pk_min_f16 v72, v72, v122
	v_pk_min_f16 v72, v72, v137
	s_waitcnt vmcnt(0)
	v_pk_min_f16 v73, v73, v54
	scratch_load_b32 v54, off, off offset:152 ; 4-byte Folded Reload
	v_pk_min_f16 v73, v73, v121
	s_delay_alu instid0(VALU_DEP_1)
	v_pk_min_f16 v73, v73, v136
	s_waitcnt vmcnt(0)
	v_pk_min_f16 v74, v74, v54
	scratch_load_b32 v54, off, off offset:160 ; 4-byte Folded Reload
	v_pk_min_f16 v74, v74, v120
	v_pk_min_f16 v120, v131, v212
	s_delay_alu instid0(VALU_DEP_2) | instskip(NEXT) | instid1(VALU_DEP_2)
	v_pk_min_f16 v74, v74, v68
	v_pk_min_f16 v146, v120, v213
	s_waitcnt vmcnt(0)
	v_pk_min_f16 v75, v75, v54
	scratch_load_b32 v54, off, off offset:168 ; 4-byte Folded Reload
	v_pk_min_f16 v64, v75, v64
	s_delay_alu instid0(VALU_DEP_1)
	v_pk_min_f16 v75, v64, v135
	s_waitcnt vmcnt(0)
	v_pk_min_f16 v154, v20, v54
	scratch_load_b32 v20, off, off offset:176 ; 4-byte Folded Reload
	v_pk_min_f16 v54, v66, v111
	s_waitcnt vmcnt(0)
	v_pk_min_f16 v76, v76, v20
	scratch_load_b32 v20, off, off offset:184 ; 4-byte Folded Reload
	v_pk_min_f16 v76, v76, v118
	v_pk_min_f16 v118, v145, v126
	;; [unrolled: 1-line block ×3, first 2 shown]
	s_delay_alu instid0(VALU_DEP_2)
	v_pk_min_f16 v59, v118, v141
	s_waitcnt vmcnt(0)
	v_pk_min_f16 v77, v77, v20
	scratch_load_b32 v20, off, off offset:188 ; 4-byte Folded Reload
	v_pk_min_f16 v77, v77, v117
	v_pk_min_f16 v117, v144, v125
	;; [unrolled: 1-line block ×3, first 2 shown]
	s_delay_alu instid0(VALU_DEP_2)
	v_pk_min_f16 v60, v117, v140
	s_waitcnt vmcnt(0)
	v_pk_min_f16 v78, v78, v20
	scratch_load_b32 v20, off, off offset:200 ; 4-byte Folded Reload
	v_pk_min_f16 v78, v78, v116
	v_pk_min_f16 v116, v154, v119
	;; [unrolled: 1-line block ×5, first 2 shown]
	s_delay_alu instid0(VALU_DEP_3)
	v_pk_min_f16 v147, v119, v211
	s_waitcnt vmcnt(0)
	v_pk_min_f16 v79, v79, v20
	scratch_load_b32 v20, off, off offset:208 ; 4-byte Folded Reload
	v_pk_min_f16 v29, v79, v29
	v_pk_min_f16 v79, v78, v67
	;; [unrolled: 1-line block ×5, first 2 shown]
	s_waitcnt vmcnt(0)
	v_pk_min_f16 v80, v80, v20
	scratch_load_b32 v20, off, off offset:216 ; 4-byte Folded Reload
	v_pk_min_f16 v53, v80, v53
	v_pk_min_f16 v80, v29, v63
	s_waitcnt vmcnt(0)
	v_pk_min_f16 v81, v81, v20
	scratch_load_b32 v20, off, off offset:224 ; 4-byte Folded Reload
	v_pk_min_f16 v28, v81, v28
	v_pk_min_f16 v81, v53, v62
	;; [unrolled: 1-line block ×3, first 2 shown]
	s_waitcnt vmcnt(0)
	v_pk_min_f16 v82, v82, v20
	scratch_load_b32 v20, off, off offset:232 ; 4-byte Folded Reload
	v_pk_min_f16 v27, v82, v27
	v_pk_min_f16 v82, v28, v61
	s_waitcnt vmcnt(0)
	v_pk_min_f16 v83, v83, v20
	scratch_load_b32 v20, off, off offset:240 ; 4-byte Folded Reload
	v_pk_min_f16 v52, v83, v52
	v_pk_min_f16 v83, v27, v98
	s_waitcnt vmcnt(0)
	v_pk_min_f16 v84, v84, v20
	scratch_load_b32 v20, off, off offset:248 ; 4-byte Folded Reload
	v_pk_min_f16 v26, v84, v26
	v_pk_min_f16 v84, v52, v7
	s_waitcnt vmcnt(0)
	v_pk_min_f16 v85, v85, v20
	scratch_load_b32 v20, off, off offset:256 ; 4-byte Folded Reload
	v_pk_min_f16 v51, v85, v51
	v_pk_min_f16 v85, v26, v8
	s_waitcnt vmcnt(0)
	v_pk_min_f16 v86, v86, v20
	scratch_load_b32 v20, off, off offset:264 ; 4-byte Folded Reload
	v_pk_min_f16 v50, v86, v50
	v_pk_min_f16 v86, v51, v44
	s_waitcnt vmcnt(0)
	v_pk_min_f16 v87, v87, v20
	scratch_load_b32 v20, off, off offset:272 ; 4-byte Folded Reload
	v_pk_min_f16 v25, v87, v25
	v_pk_min_f16 v87, v50, v58
	s_waitcnt vmcnt(0)
	v_pk_min_f16 v88, v88, v20
	scratch_load_b32 v20, off, off offset:280 ; 4-byte Folded Reload
	v_pk_min_f16 v24, v88, v24
	v_pk_min_f16 v88, v25, v35
	s_waitcnt vmcnt(0)
	v_pk_min_f16 v89, v89, v20
	scratch_load_b32 v20, off, off offset:284 ; 4-byte Folded Reload
	v_pk_min_f16 v49, v89, v49
	v_pk_min_f16 v89, v24, v33
	s_waitcnt vmcnt(0)
	v_pk_min_f16 v90, v90, v20
	scratch_load_b32 v20, off, off offset:292 ; 4-byte Folded Reload
	v_pk_min_f16 v48, v90, v48
	v_pk_min_f16 v90, v49, v57
	v_pk_min_f16 v57, v0, v114
	s_waitcnt vmcnt(0)
	v_pk_min_f16 v91, v91, v20
	scratch_load_b64 v[20:21], off, off offset:324 ; 8-byte Folded Reload
	v_pk_min_f16 v10, v91, v10
	v_pk_min_f16 v91, v48, v56
	s_delay_alu instid0(VALU_DEP_2)
	v_pk_min_f16 v92, v10, v31
	s_waitcnt vmcnt(0)
	v_add_co_u32 v20, vcc_lo, v18, v20
	v_add_co_ci_u32_e32 v21, vcc_lo, v19, v21, vcc_lo
	s_clause 0x3
	flat_load_u16 v130, v[20:21] offset:384
	flat_load_u16 v156, v[20:21] offset:256
	;; [unrolled: 1-line block ×3, first 2 shown]
	flat_load_u16 v20, v[20:21]
	flat_load_u16 v0, v[4:5]
	scratch_load_b32 v1, off, off offset:308 ; 4-byte Folded Reload
	v_pk_min_f16 v21, v106, v201
	v_add_co_u32 v18, vcc_lo, v18, s8
	v_add_co_ci_u32_e32 v19, vcc_lo, s9, v19, vcc_lo
	v_add_co_u32 v4, vcc_lo, v4, 16
	s_delay_alu instid0(VALU_DEP_4)
	v_pk_min_f16 v155, v21, v247
	v_pk_min_f16 v106, v105, v253
	;; [unrolled: 1-line block ×12, first 2 shown]
	v_add_co_ci_u32_e32 v5, vcc_lo, 0, v5, vcc_lo
	s_waitcnt vmcnt(0) lgkmcnt(1)
	ds_store_b16 v1, v20
	ds_store_b16 v1, v157 offset:512
	ds_store_b16 v1, v156 offset:1024
	;; [unrolled: 1-line block ×3, first 2 shown]
	scratch_load_b32 v1, off, off offset:312 ; 4-byte Folded Reload
	s_waitcnt vmcnt(0) lgkmcnt(4)
	ds_store_b16 v1, v0
	s_waitcnt lgkmcnt(0)
	s_barrier
	buffer_gl0_inv
	s_cbranch_scc0 .LBB259_11
; %bb.12:
	s_clause 0x2
	scratch_load_b32 v162, off, off offset:340
	scratch_load_b32 v163, off, off offset:344
	;; [unrolled: 1-line block ×3, first 2 shown]
	s_branch .LBB259_14
.LBB259_13:
	v_dual_mov_b32 v17, v22 :: v_dual_mov_b32 v16, v23
.LBB259_14:
	s_load_b32 s8, s[0:1], 0x50
	s_waitcnt vmcnt(1)
	v_add_nc_u32_e32 v44, s3, v163
	ds_load_b64 v[26:27], v218 offset:2048
	s_waitcnt vmcnt(0)
	ds_load_b64 v[46:47], v164 offset:4608
	v_add_nc_u32_e32 v50, s14, v162
	v_cmp_neq_f16_e64 s9, s18, 0
	v_dual_mov_b32 v61, v16 :: v_dual_mov_b32 v58, v17
	v_dual_mov_b32 v56, v11 :: v_dual_mov_b32 v33, 0
	s_delay_alu instid0(VALU_DEP_4) | instskip(SKIP_2) | instid1(VALU_DEP_2)
	v_ashrrev_i32_e32 v51, 31, v50
	v_mov_b32_e32 v30, 0
	s_and_b32 vcc_lo, exec_lo, s9
	v_lshlrev_b64 v[28:29], 1, v[50:51]
	s_waitcnt lgkmcnt(0)
	v_mad_i64_i32 v[0:1], null, v44, s8, 0
	s_delay_alu instid0(VALU_DEP_1) | instskip(NEXT) | instid1(VALU_DEP_1)
	v_lshlrev_b64 v[0:1], 1, v[0:1]
	v_add_co_u32 v107, s3, s4, v0
	s_delay_alu instid0(VALU_DEP_1)
	v_add_co_ci_u32_e64 v108, s3, s5, v1, s3
	s_cbranch_vccz .LBB259_16
; %bb.15:
	s_delay_alu instid0(VALU_DEP_2) | instskip(NEXT) | instid1(VALU_DEP_2)
	v_add_co_u32 v0, vcc_lo, v107, v28
	v_add_co_ci_u32_e32 v1, vcc_lo, v108, v29, vcc_lo
	flat_load_u16 v0, v[0:1]
	s_waitcnt vmcnt(0) lgkmcnt(0)
	v_mul_f16_e32 v30, s18, v0
.LBB259_16:
	s_clause 0x1
	s_load_b32 s3, s[0:1], 0x68
	s_load_b64 s[0:1], s[0:1], 0x70
	v_add_nc_u32_e32 v0, 0x800, v218
	v_pk_add_f16 v13, v26, v46
	v_pk_max_f16 v14, v155, v155
	v_add_nc_u32_e32 v12, 0x1000, v164
	ds_load_b64 v[48:49], v218 offset:3840
	ds_load_b64 v[24:25], v164 offset:5056
	ds_load_2addr_b64 v[8:11], v0 offset0:32 offset1:64
	ds_load_2addr_b64 v[4:7], v0 offset0:96 offset1:128
	;; [unrolled: 1-line block ×5, first 2 shown]
	v_pk_add_f16 v31, v27, v47
	v_pk_min_f16 v35, v14, v13
	ds_load_2addr_b64 v[12:15], v12 offset0:104 offset1:112
	v_add_nc_u32_e32 v40, 32, v50
	v_cndmask_b32_e64 v32, 0, 1, s9
	v_pk_min_f16 v31, v35, v31
	s_delay_alu instid0(VALU_DEP_3) | instskip(NEXT) | instid1(VALU_DEP_2)
	v_ashrrev_i32_e32 v41, 31, v40
	v_lshrrev_b32_e32 v35, 16, v31
	s_waitcnt lgkmcnt(0)
	v_mad_i64_i32 v[42:43], null, v44, s3, 0
	s_mul_i32 s1, s15, s1
	s_mul_hi_u32 s10, s15, s0
	s_mul_i32 s11, s19, s0
	s_add_i32 s1, s10, s1
	s_mul_i32 s0, s15, s0
	s_add_i32 s1, s1, s11
	s_delay_alu instid0(VALU_DEP_1)
	v_lshlrev_b64 v[42:43], 1, v[42:43]
	s_lshl_b64 s[10:11], s[0:1], 1
	v_min3_f16 v35, v30, v31, v35
	s_add_u32 s1, s6, s10
	s_addc_u32 s6, s7, s11
	v_lshlrev_b64 v[30:31], 1, v[40:41]
	v_add_co_u32 v109, vcc_lo, s1, v42
	v_add_co_ci_u32_e32 v110, vcc_lo, s6, v43, vcc_lo
	v_cmp_ne_u32_e64 s0, 1, v32
	s_delay_alu instid0(VALU_DEP_3) | instskip(NEXT) | instid1(VALU_DEP_3)
	v_add_co_u32 v42, vcc_lo, v109, v28
	v_add_co_ci_u32_e32 v43, vcc_lo, v110, v29, vcc_lo
	s_and_not1_b32 vcc_lo, exec_lo, s9
	global_store_b16 v[42:43], v35, off
	s_cbranch_vccnz .LBB259_18
; %bb.17:
	v_add_co_u32 v40, vcc_lo, v107, v30
	v_add_co_ci_u32_e32 v41, vcc_lo, v108, v31, vcc_lo
	flat_load_u16 v32, v[40:41]
	s_waitcnt vmcnt(0) lgkmcnt(0)
	v_mul_f16_e32 v33, s18, v32
.LBB259_18:
	v_pk_add_f16 v32, v8, v46
	v_pk_max_f16 v34, v34, v34
	v_pk_add_f16 v35, v9, v47
	v_add_nc_u32_e32 v40, 64, v50
	v_add_co_u32 v111, vcc_lo, v109, v30
	s_delay_alu instid0(VALU_DEP_4) | instskip(SKIP_1) | instid1(VALU_DEP_4)
	v_pk_min_f16 v32, v34, v32
	v_add_co_ci_u32_e32 v112, vcc_lo, v110, v31, vcc_lo
	v_ashrrev_i32_e32 v41, 31, v40
	v_mov_b32_e32 v42, 0
	s_delay_alu instid0(VALU_DEP_4) | instskip(SKIP_1) | instid1(VALU_DEP_3)
	v_pk_min_f16 v32, v32, v35
	s_and_b32 vcc_lo, exec_lo, s0
	v_lshlrev_b64 v[51:52], 1, v[40:41]
	v_mov_b32_e32 v40, 0
	s_delay_alu instid0(VALU_DEP_3) | instskip(NEXT) | instid1(VALU_DEP_1)
	v_lshrrev_b32_e32 v34, 16, v32
	v_min3_f16 v32, v33, v32, v34
	global_store_b16 v[111:112], v32, off
	s_cbranch_vccnz .LBB259_20
; %bb.19:
	v_add_co_u32 v40, vcc_lo, v107, v51
	v_add_co_ci_u32_e32 v41, vcc_lo, v108, v52, vcc_lo
	flat_load_u16 v32, v[40:41]
	s_waitcnt vmcnt(0) lgkmcnt(0)
	v_mul_f16_e32 v40, s18, v32
.LBB259_20:
	v_pk_add_f16 v32, v10, v46
	v_pk_max_f16 v33, v39, v39
	v_pk_add_f16 v34, v11, v47
	v_add_nc_u32_e32 v111, 0x60, v50
	v_add_co_u32 v113, vcc_lo, v109, v51
	s_delay_alu instid0(VALU_DEP_4) | instskip(SKIP_1) | instid1(VALU_DEP_4)
	v_pk_min_f16 v32, v33, v32
	v_add_co_ci_u32_e32 v114, vcc_lo, v110, v52, vcc_lo
	v_ashrrev_i32_e32 v112, 31, v111
	s_and_b32 vcc_lo, exec_lo, s0
	s_delay_alu instid0(VALU_DEP_3) | instskip(NEXT) | instid1(VALU_DEP_1)
	v_pk_min_f16 v32, v32, v34
	v_lshrrev_b32_e32 v33, 16, v32
	s_delay_alu instid0(VALU_DEP_1)
	v_min3_f16 v32, v40, v32, v33
	v_lshlrev_b64 v[40:41], 1, v[111:112]
	global_store_b16 v[113:114], v32, off
	s_cbranch_vccnz .LBB259_22
; %bb.21:
	v_add_co_u32 v42, vcc_lo, v107, v40
	v_add_co_ci_u32_e32 v43, vcc_lo, v108, v41, vcc_lo
	flat_load_u16 v32, v[42:43]
	s_waitcnt vmcnt(0) lgkmcnt(0)
	v_mul_f16_e32 v42, s18, v32
.LBB259_22:
	v_pk_add_f16 v32, v4, v46
	v_pk_max_f16 v33, v38, v38
	v_pk_add_f16 v34, v5, v47
	v_dual_mov_b32 v45, 0 :: v_dual_add_nc_u32 v38, 0x80, v50
	v_add_co_u32 v111, vcc_lo, v109, v40
	s_delay_alu instid0(VALU_DEP_4) | instskip(NEXT) | instid1(VALU_DEP_3)
	v_pk_min_f16 v32, v33, v32
	v_ashrrev_i32_e32 v39, 31, v38
	v_add_co_ci_u32_e32 v112, vcc_lo, v110, v41, vcc_lo
	s_and_b32 vcc_lo, exec_lo, s0
	s_delay_alu instid0(VALU_DEP_3) | instskip(NEXT) | instid1(VALU_DEP_1)
	v_pk_min_f16 v32, v32, v34
	v_lshrrev_b32_e32 v33, 16, v32
	s_delay_alu instid0(VALU_DEP_1)
	v_min3_f16 v32, v42, v32, v33
	v_lshlrev_b64 v[42:43], 1, v[38:39]
	v_mov_b32_e32 v38, 0
	global_store_b16 v[111:112], v32, off
	s_cbranch_vccnz .LBB259_24
; %bb.23:
	v_add_co_u32 v38, vcc_lo, v107, v42
	v_add_co_ci_u32_e32 v39, vcc_lo, v108, v43, vcc_lo
	flat_load_u16 v32, v[38:39]
	s_waitcnt vmcnt(0) lgkmcnt(0)
	v_mul_f16_e32 v38, s18, v32
.LBB259_24:
	v_pk_add_f16 v32, v6, v46
	v_pk_max_f16 v33, v37, v37
	v_pk_add_f16 v34, v7, v47
	v_add_nc_u32_e32 v111, 0xa0, v50
	v_add_co_u32 v113, vcc_lo, v109, v42
	s_delay_alu instid0(VALU_DEP_4) | instskip(SKIP_1) | instid1(VALU_DEP_4)
	v_pk_min_f16 v32, v33, v32
	v_add_co_ci_u32_e32 v114, vcc_lo, v110, v43, vcc_lo
	v_ashrrev_i32_e32 v112, 31, v111
	s_and_b32 vcc_lo, exec_lo, s0
	s_delay_alu instid0(VALU_DEP_3) | instskip(NEXT) | instid1(VALU_DEP_1)
	v_pk_min_f16 v32, v32, v34
	v_lshrrev_b32_e32 v33, 16, v32
	s_delay_alu instid0(VALU_DEP_1)
	v_min3_f16 v32, v38, v32, v33
	v_lshlrev_b64 v[38:39], 1, v[111:112]
	global_store_b16 v[113:114], v32, off
	s_cbranch_vccnz .LBB259_26
; %bb.25:
	v_add_co_u32 v111, vcc_lo, v107, v38
	v_add_co_ci_u32_e32 v112, vcc_lo, v108, v39, vcc_lo
	flat_load_u16 v32, v[111:112]
	s_waitcnt vmcnt(0) lgkmcnt(0)
	v_mul_f16_e32 v45, s18, v32
.LBB259_26:
	v_pk_add_f16 v32, v0, v46
	v_pk_max_f16 v33, v36, v36
	v_pk_add_f16 v34, v1, v47
	v_dual_mov_b32 v111, 0 :: v_dual_add_nc_u32 v36, 0xc0, v50
	v_add_co_u32 v112, vcc_lo, v109, v38
	s_delay_alu instid0(VALU_DEP_4) | instskip(NEXT) | instid1(VALU_DEP_3)
	v_pk_min_f16 v32, v33, v32
	v_ashrrev_i32_e32 v37, 31, v36
	v_add_co_ci_u32_e32 v113, vcc_lo, v110, v39, vcc_lo
	s_and_b32 vcc_lo, exec_lo, s0
	s_delay_alu instid0(VALU_DEP_3) | instskip(NEXT) | instid1(VALU_DEP_3)
	v_pk_min_f16 v32, v32, v34
	v_lshlrev_b64 v[36:37], 1, v[36:37]
	s_delay_alu instid0(VALU_DEP_2) | instskip(NEXT) | instid1(VALU_DEP_1)
	v_lshrrev_b32_e32 v33, 16, v32
	v_min3_f16 v32, v45, v32, v33
	v_mov_b32_e32 v45, 0
	global_store_b16 v[112:113], v32, off
	s_cbranch_vccnz .LBB259_28
; %bb.27:
	v_add_co_u32 v112, vcc_lo, v107, v36
	v_add_co_ci_u32_e32 v113, vcc_lo, v108, v37, vcc_lo
	flat_load_u16 v32, v[112:113]
	s_waitcnt vmcnt(0) lgkmcnt(0)
	v_mul_f16_e32 v45, s18, v32
.LBB259_28:
	v_pk_add_f16 v32, v2, v46
	v_pk_max_f16 v33, v106, v106
	v_pk_add_f16 v34, v3, v47
	v_add_nc_u32_e32 v112, 0xe0, v50
	v_add_co_u32 v114, vcc_lo, v109, v36
	s_delay_alu instid0(VALU_DEP_4) | instskip(SKIP_1) | instid1(VALU_DEP_4)
	v_pk_min_f16 v32, v33, v32
	v_add_co_ci_u32_e32 v115, vcc_lo, v110, v37, vcc_lo
	v_ashrrev_i32_e32 v113, 31, v112
	s_and_b32 vcc_lo, exec_lo, s0
	s_delay_alu instid0(VALU_DEP_3) | instskip(NEXT) | instid1(VALU_DEP_2)
	v_pk_min_f16 v32, v32, v34
	v_lshlrev_b64 v[34:35], 1, v[112:113]
	s_delay_alu instid0(VALU_DEP_2) | instskip(NEXT) | instid1(VALU_DEP_1)
	v_lshrrev_b32_e32 v33, 16, v32
	v_min3_f16 v32, v45, v32, v33
	global_store_b16 v[114:115], v32, off
	s_cbranch_vccnz .LBB259_30
; %bb.29:
	v_add_co_u32 v106, vcc_lo, v107, v34
	v_add_co_ci_u32_e32 v107, vcc_lo, v108, v35, vcc_lo
	flat_load_u16 v32, v[106:107]
	s_waitcnt vmcnt(0) lgkmcnt(0)
	v_mul_f16_e32 v111, s18, v32
.LBB259_30:
	v_add_nc_u32_e32 v107, 8, v44
	v_pk_add_f16 v32, v48, v46
	v_pk_max_f16 v33, v105, v105
	v_pk_add_f16 v45, v49, v47
	v_add_co_u32 v109, vcc_lo, v109, v34
	v_mad_i64_i32 v[105:106], null, v107, s8, 0
	s_delay_alu instid0(VALU_DEP_4) | instskip(SKIP_2) | instid1(VALU_DEP_3)
	v_pk_min_f16 v32, v33, v32
	v_add_co_ci_u32_e32 v110, vcc_lo, v110, v35, vcc_lo
	v_mov_b32_e32 v108, 0
	v_pk_min_f16 v32, v32, v45
	v_lshlrev_b64 v[46:47], 1, v[105:106]
	v_mov_b32_e32 v106, 0
	s_delay_alu instid0(VALU_DEP_3) | instskip(NEXT) | instid1(VALU_DEP_3)
	v_lshrrev_b32_e32 v33, 16, v32
	v_add_co_u32 v46, vcc_lo, s4, v46
	s_delay_alu instid0(VALU_DEP_4) | instskip(NEXT) | instid1(VALU_DEP_3)
	v_add_co_ci_u32_e32 v47, vcc_lo, s5, v47, vcc_lo
	v_min3_f16 v32, v111, v32, v33
	s_and_b32 vcc_lo, exec_lo, s0
	global_store_b16 v[109:110], v32, off
	s_cbranch_vccnz .LBB259_32
; %bb.31:
	v_add_co_u32 v108, vcc_lo, v46, v28
	v_add_co_ci_u32_e32 v109, vcc_lo, v47, v29, vcc_lo
	flat_load_u16 v32, v[108:109]
	s_waitcnt vmcnt(0) lgkmcnt(0)
	v_mul_f16_e32 v108, s18, v32
.LBB259_32:
	v_pk_max_f16 v33, v104, v104
	v_mad_i64_i32 v[104:105], null, v107, s3, 0
	v_pk_add_f16 v32, v26, v20
	v_pk_add_f16 v45, v27, v21
	s_delay_alu instid0(VALU_DEP_2) | instskip(NEXT) | instid1(VALU_DEP_4)
	v_pk_min_f16 v32, v33, v32
	v_lshlrev_b64 v[104:105], 1, v[104:105]
	s_delay_alu instid0(VALU_DEP_2) | instskip(NEXT) | instid1(VALU_DEP_2)
	v_pk_min_f16 v32, v32, v45
	v_add_co_u32 v104, vcc_lo, s1, v104
	s_delay_alu instid0(VALU_DEP_3) | instskip(NEXT) | instid1(VALU_DEP_3)
	v_add_co_ci_u32_e32 v105, vcc_lo, s6, v105, vcc_lo
	v_lshrrev_b32_e32 v33, 16, v32
	s_delay_alu instid0(VALU_DEP_3) | instskip(NEXT) | instid1(VALU_DEP_2)
	v_add_co_u32 v107, vcc_lo, v104, v28
	v_min3_f16 v32, v108, v32, v33
	s_delay_alu instid0(VALU_DEP_4)
	v_add_co_ci_u32_e32 v108, vcc_lo, v105, v29, vcc_lo
	s_and_b32 vcc_lo, exec_lo, s0
	global_store_b16 v[107:108], v32, off
	s_cbranch_vccnz .LBB259_34
; %bb.33:
	v_add_co_u32 v106, vcc_lo, v46, v30
	v_add_co_ci_u32_e32 v107, vcc_lo, v47, v31, vcc_lo
	flat_load_u16 v32, v[106:107]
	s_waitcnt vmcnt(0) lgkmcnt(0)
	v_mul_f16_e32 v106, s18, v32
.LBB259_34:
	v_pk_add_f16 v32, v8, v20
	v_pk_max_f16 v33, v103, v103
	v_pk_add_f16 v45, v9, v21
	v_add_co_u32 v107, vcc_lo, v104, v30
	v_add_co_ci_u32_e32 v108, vcc_lo, v105, v31, vcc_lo
	s_delay_alu instid0(VALU_DEP_4) | instskip(SKIP_2) | instid1(VALU_DEP_2)
	v_pk_min_f16 v32, v33, v32
	v_mov_b32_e32 v103, 0
	s_and_b32 vcc_lo, exec_lo, s0
	v_pk_min_f16 v32, v32, v45
	s_delay_alu instid0(VALU_DEP_1) | instskip(NEXT) | instid1(VALU_DEP_1)
	v_lshrrev_b32_e32 v33, 16, v32
	v_min3_f16 v32, v106, v32, v33
	v_mov_b32_e32 v106, 0
	global_store_b16 v[107:108], v32, off
	s_cbranch_vccnz .LBB259_36
; %bb.35:
	v_add_co_u32 v106, vcc_lo, v46, v51
	v_add_co_ci_u32_e32 v107, vcc_lo, v47, v52, vcc_lo
	flat_load_u16 v32, v[106:107]
	s_waitcnt vmcnt(0) lgkmcnt(0)
	v_mul_f16_e32 v106, s18, v32
.LBB259_36:
	v_pk_add_f16 v32, v10, v20
	v_pk_max_f16 v33, v102, v102
	v_pk_add_f16 v45, v11, v21
	s_delay_alu instid0(VALU_DEP_2) | instskip(NEXT) | instid1(VALU_DEP_1)
	v_pk_min_f16 v32, v33, v32
	v_pk_min_f16 v32, v32, v45
	s_delay_alu instid0(VALU_DEP_1) | instskip(NEXT) | instid1(VALU_DEP_1)
	v_lshrrev_b32_e32 v33, 16, v32
	v_min3_f16 v32, v106, v32, v33
	v_add_co_u32 v106, vcc_lo, v104, v51
	v_add_co_ci_u32_e32 v107, vcc_lo, v105, v52, vcc_lo
	s_and_b32 vcc_lo, exec_lo, s0
	global_store_b16 v[106:107], v32, off
	s_cbranch_vccnz .LBB259_38
; %bb.37:
	v_add_co_u32 v102, vcc_lo, v46, v40
	v_add_co_ci_u32_e32 v103, vcc_lo, v47, v41, vcc_lo
	flat_load_u16 v32, v[102:103]
	s_waitcnt vmcnt(0) lgkmcnt(0)
	v_mul_f16_e32 v103, s18, v32
.LBB259_38:
	v_pk_add_f16 v32, v4, v20
	v_pk_max_f16 v33, v101, v101
	v_pk_add_f16 v45, v5, v21
	v_add_co_u32 v106, vcc_lo, v104, v40
	v_add_co_ci_u32_e32 v107, vcc_lo, v105, v41, vcc_lo
	s_delay_alu instid0(VALU_DEP_4) | instskip(SKIP_2) | instid1(VALU_DEP_2)
	v_pk_min_f16 v32, v33, v32
	v_dual_mov_b32 v101, 0 :: v_dual_mov_b32 v102, 0
	s_and_b32 vcc_lo, exec_lo, s0
	v_pk_min_f16 v32, v32, v45
	s_delay_alu instid0(VALU_DEP_1) | instskip(NEXT) | instid1(VALU_DEP_1)
	v_lshrrev_b32_e32 v33, 16, v32
	v_min3_f16 v32, v103, v32, v33
	global_store_b16 v[106:107], v32, off
	s_cbranch_vccnz .LBB259_40
; %bb.39:
	v_add_co_u32 v102, vcc_lo, v46, v42
	v_add_co_ci_u32_e32 v103, vcc_lo, v47, v43, vcc_lo
	flat_load_u16 v32, v[102:103]
	s_waitcnt vmcnt(0) lgkmcnt(0)
	v_mul_f16_e32 v102, s18, v32
.LBB259_40:
	v_pk_add_f16 v32, v6, v20
	v_pk_max_f16 v33, v100, v100
	v_pk_add_f16 v45, v7, v21
	s_delay_alu instid0(VALU_DEP_2) | instskip(NEXT) | instid1(VALU_DEP_1)
	v_pk_min_f16 v32, v33, v32
	v_pk_min_f16 v32, v32, v45
	s_delay_alu instid0(VALU_DEP_1) | instskip(NEXT) | instid1(VALU_DEP_1)
	v_lshrrev_b32_e32 v33, 16, v32
	v_min3_f16 v32, v102, v32, v33
	v_add_co_u32 v102, vcc_lo, v104, v42
	v_add_co_ci_u32_e32 v103, vcc_lo, v105, v43, vcc_lo
	s_and_b32 vcc_lo, exec_lo, s0
	global_store_b16 v[102:103], v32, off
	s_cbranch_vccnz .LBB259_42
; %bb.41:
	v_add_co_u32 v100, vcc_lo, v46, v38
	v_add_co_ci_u32_e32 v101, vcc_lo, v47, v39, vcc_lo
	flat_load_u16 v32, v[100:101]
	s_waitcnt vmcnt(0) lgkmcnt(0)
	v_mul_f16_e32 v101, s18, v32
.LBB259_42:
	v_pk_add_f16 v32, v0, v20
	v_pk_max_f16 v33, v99, v99
	v_pk_add_f16 v45, v1, v21
	v_add_co_u32 v102, vcc_lo, v104, v38
	v_add_co_ci_u32_e32 v103, vcc_lo, v105, v39, vcc_lo
	s_delay_alu instid0(VALU_DEP_4) | instskip(SKIP_2) | instid1(VALU_DEP_2)
	v_pk_min_f16 v32, v33, v32
	v_dual_mov_b32 v99, 0 :: v_dual_mov_b32 v100, 0
	s_and_b32 vcc_lo, exec_lo, s0
	v_pk_min_f16 v32, v32, v45
	s_delay_alu instid0(VALU_DEP_1) | instskip(NEXT) | instid1(VALU_DEP_1)
	v_lshrrev_b32_e32 v33, 16, v32
	v_min3_f16 v32, v101, v32, v33
	global_store_b16 v[102:103], v32, off
	s_cbranch_vccnz .LBB259_44
; %bb.43:
	v_add_co_u32 v100, vcc_lo, v46, v36
	v_add_co_ci_u32_e32 v101, vcc_lo, v47, v37, vcc_lo
	flat_load_u16 v32, v[100:101]
	s_waitcnt vmcnt(0) lgkmcnt(0)
	v_mul_f16_e32 v100, s18, v32
.LBB259_44:
	v_pk_add_f16 v32, v2, v20
	v_pk_max_f16 v33, v97, v97
	v_pk_add_f16 v45, v3, v21
	s_delay_alu instid0(VALU_DEP_2) | instskip(NEXT) | instid1(VALU_DEP_1)
	v_pk_min_f16 v32, v33, v32
	v_pk_min_f16 v32, v32, v45
	s_delay_alu instid0(VALU_DEP_1) | instskip(NEXT) | instid1(VALU_DEP_1)
	v_lshrrev_b32_e32 v33, 16, v32
	v_min3_f16 v32, v100, v32, v33
	v_add_co_u32 v100, vcc_lo, v104, v36
	v_add_co_ci_u32_e32 v101, vcc_lo, v105, v37, vcc_lo
	s_and_b32 vcc_lo, exec_lo, s0
	global_store_b16 v[100:101], v32, off
	s_cbranch_vccnz .LBB259_46
; %bb.45:
	v_add_co_u32 v46, vcc_lo, v46, v34
	v_add_co_ci_u32_e32 v47, vcc_lo, v47, v35, vcc_lo
	flat_load_u16 v32, v[46:47]
	s_waitcnt vmcnt(0) lgkmcnt(0)
	v_mul_f16_e32 v99, s18, v32
.LBB259_46:
	v_add_nc_u32_e32 v46, 16, v44
	v_pk_add_f16 v20, v48, v20
	v_pk_max_f16 v32, v96, v96
	v_pk_add_f16 v21, v49, v21
	v_add_co_u32 v100, vcc_lo, v104, v34
	v_mad_i64_i32 v[96:97], null, v46, s8, 0
	s_delay_alu instid0(VALU_DEP_4) | instskip(SKIP_1) | instid1(VALU_DEP_2)
	v_pk_min_f16 v20, v32, v20
	v_add_co_ci_u32_e32 v101, vcc_lo, v105, v35, vcc_lo
	v_pk_min_f16 v32, v20, v21
	s_delay_alu instid0(VALU_DEP_4) | instskip(SKIP_1) | instid1(VALU_DEP_3)
	v_lshlrev_b64 v[20:21], 1, v[96:97]
	v_dual_mov_b32 v97, 0 :: v_dual_mov_b32 v96, 0
	v_lshrrev_b32_e32 v33, 16, v32
	s_delay_alu instid0(VALU_DEP_3) | instskip(NEXT) | instid1(VALU_DEP_4)
	v_add_co_u32 v20, vcc_lo, s4, v20
	v_add_co_ci_u32_e32 v21, vcc_lo, s5, v21, vcc_lo
	s_delay_alu instid0(VALU_DEP_3)
	v_min3_f16 v32, v99, v32, v33
	s_and_b32 vcc_lo, exec_lo, s0
	global_store_b16 v[100:101], v32, off
	s_cbranch_vccnz .LBB259_48
; %bb.47:
	v_add_co_u32 v99, vcc_lo, v20, v28
	v_add_co_ci_u32_e32 v100, vcc_lo, v21, v29, vcc_lo
	flat_load_u16 v32, v[99:100]
	s_waitcnt vmcnt(0) lgkmcnt(0)
	v_mul_f16_e32 v97, s18, v32
.LBB259_48:
	v_mad_i64_i32 v[99:100], null, v46, s3, 0
	v_pk_add_f16 v32, v26, v22
	v_pk_max_f16 v33, v95, v95
	v_pk_add_f16 v45, v27, v23
	s_delay_alu instid0(VALU_DEP_2) | instskip(SKIP_1) | instid1(VALU_DEP_2)
	v_pk_min_f16 v32, v33, v32
	v_lshlrev_b64 v[46:47], 1, v[99:100]
	v_pk_min_f16 v32, v32, v45
	s_delay_alu instid0(VALU_DEP_2) | instskip(NEXT) | instid1(VALU_DEP_3)
	v_add_co_u32 v46, vcc_lo, s1, v46
	v_add_co_ci_u32_e32 v47, vcc_lo, s6, v47, vcc_lo
	s_delay_alu instid0(VALU_DEP_3) | instskip(NEXT) | instid1(VALU_DEP_3)
	v_lshrrev_b32_e32 v33, 16, v32
	v_add_co_u32 v99, vcc_lo, v46, v28
	s_delay_alu instid0(VALU_DEP_3) | instskip(NEXT) | instid1(VALU_DEP_3)
	v_add_co_ci_u32_e32 v100, vcc_lo, v47, v29, vcc_lo
	v_min3_f16 v32, v97, v32, v33
	s_and_b32 vcc_lo, exec_lo, s0
	global_store_b16 v[99:100], v32, off
	s_cbranch_vccnz .LBB259_50
; %bb.49:
	v_add_co_u32 v95, vcc_lo, v20, v30
	v_add_co_ci_u32_e32 v96, vcc_lo, v21, v31, vcc_lo
	flat_load_u16 v32, v[95:96]
	s_waitcnt vmcnt(0) lgkmcnt(0)
	v_mul_f16_e32 v96, s18, v32
.LBB259_50:
	v_pk_add_f16 v32, v8, v22
	v_pk_max_f16 v33, v94, v94
	v_pk_add_f16 v45, v9, v23
	v_add_co_u32 v99, vcc_lo, v46, v30
	v_add_co_ci_u32_e32 v100, vcc_lo, v47, v31, vcc_lo
	s_delay_alu instid0(VALU_DEP_4) | instskip(SKIP_2) | instid1(VALU_DEP_2)
	v_pk_min_f16 v32, v33, v32
	v_dual_mov_b32 v94, 0 :: v_dual_mov_b32 v95, 0
	s_and_b32 vcc_lo, exec_lo, s0
	v_pk_min_f16 v32, v32, v45
	s_delay_alu instid0(VALU_DEP_1) | instskip(NEXT) | instid1(VALU_DEP_1)
	v_lshrrev_b32_e32 v33, 16, v32
	v_min3_f16 v32, v96, v32, v33
	global_store_b16 v[99:100], v32, off
	s_cbranch_vccnz .LBB259_52
; %bb.51:
	v_add_co_u32 v95, vcc_lo, v20, v51
	v_add_co_ci_u32_e32 v96, vcc_lo, v21, v52, vcc_lo
	flat_load_u16 v32, v[95:96]
	s_waitcnt vmcnt(0) lgkmcnt(0)
	v_mul_f16_e32 v95, s18, v32
.LBB259_52:
	v_pk_add_f16 v32, v10, v22
	v_pk_max_f16 v33, v93, v93
	v_pk_add_f16 v45, v11, v23
	s_delay_alu instid0(VALU_DEP_2) | instskip(NEXT) | instid1(VALU_DEP_1)
	v_pk_min_f16 v32, v33, v32
	v_pk_min_f16 v32, v32, v45
	s_delay_alu instid0(VALU_DEP_1) | instskip(NEXT) | instid1(VALU_DEP_1)
	v_lshrrev_b32_e32 v33, 16, v32
	v_min3_f16 v32, v95, v32, v33
	v_add_co_u32 v95, vcc_lo, v46, v51
	v_add_co_ci_u32_e32 v96, vcc_lo, v47, v52, vcc_lo
	s_and_b32 vcc_lo, exec_lo, s0
	global_store_b16 v[95:96], v32, off
	s_cbranch_vccnz .LBB259_54
; %bb.53:
	v_add_co_u32 v93, vcc_lo, v20, v40
	v_add_co_ci_u32_e32 v94, vcc_lo, v21, v41, vcc_lo
	flat_load_u16 v32, v[93:94]
	s_waitcnt vmcnt(0) lgkmcnt(0)
	v_mul_f16_e32 v94, s18, v32
.LBB259_54:
	v_pk_add_f16 v32, v4, v22
	v_pk_max_f16 v33, v92, v92
	v_pk_add_f16 v45, v5, v23
	v_add_co_u32 v95, vcc_lo, v46, v40
	v_add_co_ci_u32_e32 v96, vcc_lo, v47, v41, vcc_lo
	s_delay_alu instid0(VALU_DEP_4) | instskip(SKIP_2) | instid1(VALU_DEP_2)
	v_pk_min_f16 v32, v33, v32
	v_dual_mov_b32 v92, 0 :: v_dual_mov_b32 v93, 0
	s_and_b32 vcc_lo, exec_lo, s0
	v_pk_min_f16 v32, v32, v45
	s_delay_alu instid0(VALU_DEP_1) | instskip(NEXT) | instid1(VALU_DEP_1)
	v_lshrrev_b32_e32 v33, 16, v32
	v_min3_f16 v32, v94, v32, v33
	global_store_b16 v[95:96], v32, off
	s_cbranch_vccnz .LBB259_56
; %bb.55:
	v_add_co_u32 v93, vcc_lo, v20, v42
	v_add_co_ci_u32_e32 v94, vcc_lo, v21, v43, vcc_lo
	flat_load_u16 v32, v[93:94]
	s_waitcnt vmcnt(0) lgkmcnt(0)
	v_mul_f16_e32 v93, s18, v32
.LBB259_56:
	v_pk_add_f16 v32, v6, v22
	v_pk_max_f16 v33, v91, v91
	v_pk_add_f16 v45, v7, v23
	s_delay_alu instid0(VALU_DEP_2) | instskip(NEXT) | instid1(VALU_DEP_1)
	v_pk_min_f16 v32, v33, v32
	v_pk_min_f16 v32, v32, v45
	s_delay_alu instid0(VALU_DEP_1) | instskip(NEXT) | instid1(VALU_DEP_1)
	v_lshrrev_b32_e32 v33, 16, v32
	v_min3_f16 v32, v93, v32, v33
	v_add_co_u32 v93, vcc_lo, v46, v42
	v_add_co_ci_u32_e32 v94, vcc_lo, v47, v43, vcc_lo
	s_and_b32 vcc_lo, exec_lo, s0
	global_store_b16 v[93:94], v32, off
	s_cbranch_vccnz .LBB259_58
; %bb.57:
	v_add_co_u32 v91, vcc_lo, v20, v38
	v_add_co_ci_u32_e32 v92, vcc_lo, v21, v39, vcc_lo
	flat_load_u16 v32, v[91:92]
	s_waitcnt vmcnt(0) lgkmcnt(0)
	v_mul_f16_e32 v92, s18, v32
.LBB259_58:
	v_pk_add_f16 v32, v0, v22
	v_pk_max_f16 v33, v90, v90
	v_pk_add_f16 v45, v1, v23
	v_add_co_u32 v93, vcc_lo, v46, v38
	v_add_co_ci_u32_e32 v94, vcc_lo, v47, v39, vcc_lo
	s_delay_alu instid0(VALU_DEP_4) | instskip(SKIP_2) | instid1(VALU_DEP_2)
	v_pk_min_f16 v32, v33, v32
	v_dual_mov_b32 v90, 0 :: v_dual_mov_b32 v91, 0
	s_and_b32 vcc_lo, exec_lo, s0
	v_pk_min_f16 v32, v32, v45
	s_delay_alu instid0(VALU_DEP_1) | instskip(NEXT) | instid1(VALU_DEP_1)
	v_lshrrev_b32_e32 v33, 16, v32
	v_min3_f16 v32, v92, v32, v33
	global_store_b16 v[93:94], v32, off
	s_cbranch_vccnz .LBB259_60
; %bb.59:
	v_add_co_u32 v91, vcc_lo, v20, v36
	v_add_co_ci_u32_e32 v92, vcc_lo, v21, v37, vcc_lo
	flat_load_u16 v32, v[91:92]
	s_waitcnt vmcnt(0) lgkmcnt(0)
	v_mul_f16_e32 v91, s18, v32
.LBB259_60:
	v_pk_add_f16 v32, v2, v22
	v_pk_max_f16 v33, v89, v89
	v_pk_add_f16 v45, v3, v23
	s_delay_alu instid0(VALU_DEP_2) | instskip(NEXT) | instid1(VALU_DEP_1)
	v_pk_min_f16 v32, v33, v32
	v_pk_min_f16 v32, v32, v45
	s_delay_alu instid0(VALU_DEP_1) | instskip(NEXT) | instid1(VALU_DEP_1)
	v_lshrrev_b32_e32 v33, 16, v32
	v_min3_f16 v32, v91, v32, v33
	v_add_co_u32 v91, vcc_lo, v46, v36
	v_add_co_ci_u32_e32 v92, vcc_lo, v47, v37, vcc_lo
	s_and_b32 vcc_lo, exec_lo, s0
	global_store_b16 v[91:92], v32, off
	s_cbranch_vccnz .LBB259_62
; %bb.61:
	v_add_co_u32 v20, vcc_lo, v20, v34
	v_add_co_ci_u32_e32 v21, vcc_lo, v21, v35, vcc_lo
	flat_load_u16 v20, v[20:21]
	s_waitcnt vmcnt(0) lgkmcnt(0)
	v_mul_f16_e32 v90, s18, v20
.LBB259_62:
	v_pk_add_f16 v22, v48, v22
	v_pk_max_f16 v32, v88, v88
	v_add_nc_u32_e32 v89, 24, v44
	v_pk_add_f16 v23, v49, v23
	s_delay_alu instid0(VALU_DEP_3) | instskip(NEXT) | instid1(VALU_DEP_1)
	v_pk_min_f16 v22, v32, v22
	v_pk_min_f16 v32, v22, v23
	v_add_co_u32 v22, vcc_lo, v46, v34
	v_mov_b32_e32 v46, 0
	v_mad_i64_i32 v[20:21], null, v89, s8, 0
	s_delay_alu instid0(VALU_DEP_4) | instskip(SKIP_2) | instid1(VALU_DEP_3)
	v_lshrrev_b32_e32 v33, 16, v32
	v_add_co_ci_u32_e32 v23, vcc_lo, v47, v35, vcc_lo
	v_mov_b32_e32 v47, 0
	v_min3_f16 v32, v90, v32, v33
	v_lshlrev_b64 v[20:21], 1, v[20:21]
	global_store_b16 v[22:23], v32, off
	v_add_co_u32 v20, vcc_lo, s4, v20
	v_add_co_ci_u32_e32 v21, vcc_lo, s5, v21, vcc_lo
	s_and_b32 vcc_lo, exec_lo, s0
	s_cbranch_vccnz .LBB259_64
; %bb.63:
	s_delay_alu instid0(VALU_DEP_2) | instskip(NEXT) | instid1(VALU_DEP_2)
	v_add_co_u32 v22, vcc_lo, v20, v28
	v_add_co_ci_u32_e32 v23, vcc_lo, v21, v29, vcc_lo
	flat_load_u16 v22, v[22:23]
	s_waitcnt vmcnt(0) lgkmcnt(0)
	v_mul_f16_e32 v47, s18, v22
.LBB259_64:
	v_mad_i64_i32 v[22:23], null, v89, s3, 0
	v_pk_add_f16 v32, v26, v16
	v_pk_max_f16 v33, v87, v87
	v_pk_add_f16 v45, v27, v17
	s_delay_alu instid0(VALU_DEP_2) | instskip(SKIP_1) | instid1(VALU_DEP_2)
	v_pk_min_f16 v32, v33, v32
	v_lshlrev_b64 v[22:23], 1, v[22:23]
	v_pk_min_f16 v32, v32, v45
	s_delay_alu instid0(VALU_DEP_2) | instskip(NEXT) | instid1(VALU_DEP_3)
	v_add_co_u32 v22, vcc_lo, s1, v22
	v_add_co_ci_u32_e32 v23, vcc_lo, s6, v23, vcc_lo
	s_delay_alu instid0(VALU_DEP_3) | instskip(NEXT) | instid1(VALU_DEP_3)
	v_lshrrev_b32_e32 v33, 16, v32
	v_add_co_u32 v87, vcc_lo, v22, v28
	s_delay_alu instid0(VALU_DEP_3) | instskip(NEXT) | instid1(VALU_DEP_3)
	v_add_co_ci_u32_e32 v88, vcc_lo, v23, v29, vcc_lo
	v_min3_f16 v32, v47, v32, v33
	s_and_b32 vcc_lo, exec_lo, s0
	global_store_b16 v[87:88], v32, off
	s_cbranch_vccnz .LBB259_66
; %bb.65:
	v_add_co_u32 v46, vcc_lo, v20, v30
	v_add_co_ci_u32_e32 v47, vcc_lo, v21, v31, vcc_lo
	flat_load_u16 v32, v[46:47]
	s_waitcnt vmcnt(0) lgkmcnt(0)
	v_mul_f16_e32 v46, s18, v32
.LBB259_66:
	v_pk_add_f16 v32, v8, v16
	v_pk_max_f16 v33, v86, v86
	v_pk_add_f16 v45, v9, v17
	v_add_co_u32 v86, vcc_lo, v22, v30
	v_add_co_ci_u32_e32 v87, vcc_lo, v23, v31, vcc_lo
	s_delay_alu instid0(VALU_DEP_4) | instskip(SKIP_2) | instid1(VALU_DEP_2)
	v_pk_min_f16 v32, v33, v32
	s_and_b32 vcc_lo, exec_lo, s0
	v_mov_b32_e32 v47, 0
	v_pk_min_f16 v32, v32, v45
	s_delay_alu instid0(VALU_DEP_1) | instskip(NEXT) | instid1(VALU_DEP_1)
	v_lshrrev_b32_e32 v33, 16, v32
	v_min3_f16 v32, v46, v32, v33
	v_mov_b32_e32 v46, 0
	global_store_b16 v[86:87], v32, off
	s_cbranch_vccnz .LBB259_68
; %bb.67:
	v_add_co_u32 v86, vcc_lo, v20, v51
	v_add_co_ci_u32_e32 v87, vcc_lo, v21, v52, vcc_lo
	flat_load_u16 v32, v[86:87]
	s_waitcnt vmcnt(0) lgkmcnt(0)
	v_mul_f16_e32 v47, s18, v32
.LBB259_68:
	v_pk_add_f16 v32, v10, v16
	v_pk_max_f16 v33, v85, v85
	v_pk_add_f16 v45, v11, v17
	v_add_co_u32 v85, vcc_lo, v22, v51
	v_add_co_ci_u32_e32 v86, vcc_lo, v23, v52, vcc_lo
	s_delay_alu instid0(VALU_DEP_4) | instskip(SKIP_1) | instid1(VALU_DEP_1)
	v_pk_min_f16 v32, v33, v32
	s_and_b32 vcc_lo, exec_lo, s0
	v_pk_min_f16 v32, v32, v45
	s_delay_alu instid0(VALU_DEP_1) | instskip(NEXT) | instid1(VALU_DEP_1)
	v_lshrrev_b32_e32 v33, 16, v32
	v_min3_f16 v32, v47, v32, v33
	global_store_b16 v[85:86], v32, off
	s_cbranch_vccnz .LBB259_70
; %bb.69:
	v_add_co_u32 v46, vcc_lo, v20, v40
	v_add_co_ci_u32_e32 v47, vcc_lo, v21, v41, vcc_lo
	flat_load_u16 v32, v[46:47]
	s_waitcnt vmcnt(0) lgkmcnt(0)
	v_mul_f16_e32 v46, s18, v32
.LBB259_70:
	v_pk_add_f16 v32, v4, v16
	v_pk_max_f16 v33, v84, v84
	v_pk_add_f16 v45, v5, v17
	v_add_co_u32 v84, vcc_lo, v22, v40
	v_add_co_ci_u32_e32 v85, vcc_lo, v23, v41, vcc_lo
	s_delay_alu instid0(VALU_DEP_4) | instskip(SKIP_2) | instid1(VALU_DEP_2)
	v_pk_min_f16 v32, v33, v32
	s_and_b32 vcc_lo, exec_lo, s0
	v_mov_b32_e32 v47, 0
	v_pk_min_f16 v32, v32, v45
	s_delay_alu instid0(VALU_DEP_1) | instskip(NEXT) | instid1(VALU_DEP_1)
	v_lshrrev_b32_e32 v33, 16, v32
	v_min3_f16 v32, v46, v32, v33
	v_mov_b32_e32 v46, 0
	global_store_b16 v[84:85], v32, off
	s_cbranch_vccnz .LBB259_72
; %bb.71:
	v_add_co_u32 v84, vcc_lo, v20, v42
	v_add_co_ci_u32_e32 v85, vcc_lo, v21, v43, vcc_lo
	flat_load_u16 v32, v[84:85]
	s_waitcnt vmcnt(0) lgkmcnt(0)
	v_mul_f16_e32 v47, s18, v32
.LBB259_72:
	v_pk_add_f16 v32, v6, v16
	v_pk_max_f16 v33, v83, v83
	v_pk_add_f16 v45, v7, v17
	v_add_co_u32 v83, vcc_lo, v22, v42
	v_add_co_ci_u32_e32 v84, vcc_lo, v23, v43, vcc_lo
	s_delay_alu instid0(VALU_DEP_4) | instskip(SKIP_1) | instid1(VALU_DEP_1)
	v_pk_min_f16 v32, v33, v32
	s_and_b32 vcc_lo, exec_lo, s0
	v_pk_min_f16 v32, v32, v45
	s_delay_alu instid0(VALU_DEP_1) | instskip(NEXT) | instid1(VALU_DEP_1)
	v_lshrrev_b32_e32 v33, 16, v32
	v_min3_f16 v32, v47, v32, v33
	;; [unrolled: 44-line block ×3, first 2 shown]
	global_store_b16 v[81:82], v32, off
	s_cbranch_vccnz .LBB259_78
; %bb.77:
	v_add_co_u32 v20, vcc_lo, v20, v34
	v_add_co_ci_u32_e32 v21, vcc_lo, v21, v35, vcc_lo
	flat_load_u16 v20, v[20:21]
	s_waitcnt vmcnt(0) lgkmcnt(0)
	v_mul_f16_e32 v46, s18, v20
.LBB259_78:
	v_add_nc_u32_e32 v20, 32, v44
	v_pk_add_f16 v16, v48, v16
	v_pk_max_f16 v21, v80, v80
	v_pk_add_f16 v17, v49, v17
	s_delay_alu instid0(VALU_DEP_4) | instskip(NEXT) | instid1(VALU_DEP_3)
	v_mad_i64_i32 v[80:81], null, v20, s8, 0
	v_pk_min_f16 v16, v21, v16
	s_delay_alu instid0(VALU_DEP_1) | instskip(NEXT) | instid1(VALU_DEP_3)
	v_pk_min_f16 v21, v16, v17
	v_lshlrev_b64 v[16:17], 1, v[80:81]
	v_add_co_u32 v80, vcc_lo, v22, v34
	v_add_co_ci_u32_e32 v81, vcc_lo, v23, v35, vcc_lo
	v_mov_b32_e32 v23, 0
	v_lshrrev_b32_e32 v22, 16, v21
	v_add_co_u32 v16, vcc_lo, s4, v16
	v_add_co_ci_u32_e32 v17, vcc_lo, s5, v17, vcc_lo
	s_delay_alu instid0(VALU_DEP_3)
	v_min3_f16 v21, v46, v21, v22
	v_mov_b32_e32 v22, 0
	s_and_b32 vcc_lo, exec_lo, s0
	global_store_b16 v[80:81], v21, off
	s_cbranch_vccnz .LBB259_80
; %bb.79:
	v_add_co_u32 v46, vcc_lo, v16, v28
	v_add_co_ci_u32_e32 v47, vcc_lo, v17, v29, vcc_lo
	flat_load_u16 v21, v[46:47]
	s_waitcnt vmcnt(0) lgkmcnt(0)
	v_mul_f16_e32 v23, s18, v21
.LBB259_80:
	v_pk_add_f16 v21, v26, v18
	v_pk_max_f16 v32, v79, v79
	v_mad_i64_i32 v[46:47], null, v20, s3, 0
	v_pk_add_f16 v20, v27, v19
	s_delay_alu instid0(VALU_DEP_3) | instskip(NEXT) | instid1(VALU_DEP_1)
	v_pk_min_f16 v21, v32, v21
	v_pk_min_f16 v32, v21, v20
	s_delay_alu instid0(VALU_DEP_4) | instskip(NEXT) | instid1(VALU_DEP_2)
	v_lshlrev_b64 v[20:21], 1, v[46:47]
	v_lshrrev_b32_e32 v33, 16, v32
	s_delay_alu instid0(VALU_DEP_2) | instskip(NEXT) | instid1(VALU_DEP_3)
	v_add_co_u32 v20, vcc_lo, s1, v20
	v_add_co_ci_u32_e32 v21, vcc_lo, s6, v21, vcc_lo
	s_delay_alu instid0(VALU_DEP_3) | instskip(NEXT) | instid1(VALU_DEP_3)
	v_min3_f16 v23, v23, v32, v33
	v_add_co_u32 v46, vcc_lo, v20, v28
	s_delay_alu instid0(VALU_DEP_3)
	v_add_co_ci_u32_e32 v47, vcc_lo, v21, v29, vcc_lo
	s_and_b32 vcc_lo, exec_lo, s0
	global_store_b16 v[46:47], v23, off
	s_cbranch_vccnz .LBB259_82
; %bb.81:
	v_add_co_u32 v22, vcc_lo, v16, v30
	v_add_co_ci_u32_e32 v23, vcc_lo, v17, v31, vcc_lo
	flat_load_u16 v22, v[22:23]
	s_waitcnt vmcnt(0) lgkmcnt(0)
	v_mul_f16_e32 v22, s18, v22
.LBB259_82:
	v_pk_add_f16 v23, v8, v18
	v_pk_max_f16 v32, v78, v78
	v_pk_add_f16 v33, v9, v19
	v_add_co_u32 v46, vcc_lo, v20, v30
	v_add_co_ci_u32_e32 v47, vcc_lo, v21, v31, vcc_lo
	s_delay_alu instid0(VALU_DEP_4) | instskip(SKIP_1) | instid1(VALU_DEP_1)
	v_pk_min_f16 v23, v32, v23
	s_and_b32 vcc_lo, exec_lo, s0
	v_pk_min_f16 v23, v23, v33
	s_delay_alu instid0(VALU_DEP_1) | instskip(NEXT) | instid1(VALU_DEP_1)
	v_lshrrev_b32_e32 v32, 16, v23
	v_min3_f16 v32, v22, v23, v32
	v_dual_mov_b32 v22, 0 :: v_dual_mov_b32 v23, 0
	global_store_b16 v[46:47], v32, off
	s_cbranch_vccnz .LBB259_84
; %bb.83:
	v_add_co_u32 v46, vcc_lo, v16, v51
	v_add_co_ci_u32_e32 v47, vcc_lo, v17, v52, vcc_lo
	flat_load_u16 v23, v[46:47]
	s_waitcnt vmcnt(0) lgkmcnt(0)
	v_mul_f16_e32 v23, s18, v23
.LBB259_84:
	v_pk_add_f16 v32, v10, v18
	v_pk_max_f16 v33, v77, v77
	v_pk_add_f16 v45, v11, v19
	v_add_co_u32 v46, vcc_lo, v20, v51
	v_add_co_ci_u32_e32 v47, vcc_lo, v21, v52, vcc_lo
	s_delay_alu instid0(VALU_DEP_4) | instskip(SKIP_1) | instid1(VALU_DEP_1)
	v_pk_min_f16 v32, v33, v32
	s_and_b32 vcc_lo, exec_lo, s0
	v_pk_min_f16 v32, v32, v45
	s_delay_alu instid0(VALU_DEP_1) | instskip(NEXT) | instid1(VALU_DEP_1)
	v_lshrrev_b32_e32 v33, 16, v32
	v_min3_f16 v23, v23, v32, v33
	global_store_b16 v[46:47], v23, off
	s_cbranch_vccnz .LBB259_86
; %bb.85:
	v_add_co_u32 v22, vcc_lo, v16, v40
	v_add_co_ci_u32_e32 v23, vcc_lo, v17, v41, vcc_lo
	flat_load_u16 v22, v[22:23]
	s_waitcnt vmcnt(0) lgkmcnt(0)
	v_mul_f16_e32 v22, s18, v22
.LBB259_86:
	v_pk_add_f16 v23, v4, v18
	v_pk_max_f16 v32, v76, v76
	v_pk_add_f16 v33, v5, v19
	v_add_co_u32 v46, vcc_lo, v20, v40
	v_add_co_ci_u32_e32 v47, vcc_lo, v21, v41, vcc_lo
	s_delay_alu instid0(VALU_DEP_4) | instskip(SKIP_1) | instid1(VALU_DEP_1)
	v_pk_min_f16 v23, v32, v23
	s_and_b32 vcc_lo, exec_lo, s0
	v_pk_min_f16 v23, v23, v33
	s_delay_alu instid0(VALU_DEP_1) | instskip(NEXT) | instid1(VALU_DEP_1)
	v_lshrrev_b32_e32 v32, 16, v23
	v_min3_f16 v32, v22, v23, v32
	v_dual_mov_b32 v22, 0 :: v_dual_mov_b32 v23, 0
	global_store_b16 v[46:47], v32, off
	s_cbranch_vccnz .LBB259_88
; %bb.87:
	v_add_co_u32 v46, vcc_lo, v16, v42
	v_add_co_ci_u32_e32 v47, vcc_lo, v17, v43, vcc_lo
	flat_load_u16 v23, v[46:47]
	s_waitcnt vmcnt(0) lgkmcnt(0)
	v_mul_f16_e32 v23, s18, v23
.LBB259_88:
	v_pk_add_f16 v32, v6, v18
	v_pk_max_f16 v33, v75, v75
	v_pk_add_f16 v45, v7, v19
	v_add_co_u32 v46, vcc_lo, v20, v42
	v_add_co_ci_u32_e32 v47, vcc_lo, v21, v43, vcc_lo
	s_delay_alu instid0(VALU_DEP_4) | instskip(SKIP_1) | instid1(VALU_DEP_1)
	v_pk_min_f16 v32, v33, v32
	s_and_b32 vcc_lo, exec_lo, s0
	v_pk_min_f16 v32, v32, v45
	s_delay_alu instid0(VALU_DEP_1) | instskip(NEXT) | instid1(VALU_DEP_1)
	v_lshrrev_b32_e32 v33, 16, v32
	v_min3_f16 v23, v23, v32, v33
	;; [unrolled: 43-line block ×3, first 2 shown]
	global_store_b16 v[46:47], v23, off
	s_cbranch_vccnz .LBB259_94
; %bb.93:
	v_add_co_u32 v16, vcc_lo, v16, v34
	v_add_co_ci_u32_e32 v17, vcc_lo, v17, v35, vcc_lo
	flat_load_u16 v16, v[16:17]
	s_waitcnt vmcnt(0) lgkmcnt(0)
	v_mul_f16_e32 v22, s18, v16
.LBB259_94:
	v_pk_add_f16 v18, v48, v18
	v_pk_max_f16 v32, v72, v72
	v_pk_add_f16 v19, v49, v19
	v_add_nc_u32_e32 v23, 40, v44
	s_delay_alu instid0(VALU_DEP_3) | instskip(NEXT) | instid1(VALU_DEP_1)
	v_pk_min_f16 v18, v32, v18
	v_pk_min_f16 v32, v18, v19
	v_add_co_u32 v18, vcc_lo, v20, v34
	v_add_co_ci_u32_e32 v19, vcc_lo, v21, v35, vcc_lo
	s_delay_alu instid0(VALU_DEP_3) | instskip(SKIP_1) | instid1(VALU_DEP_2)
	v_lshrrev_b32_e32 v20, 16, v32
	v_mov_b32_e32 v21, 0
	v_min3_f16 v22, v22, v32, v20
	v_mov_b32_e32 v20, 0
	v_mad_i64_i32 v[16:17], null, v23, s8, 0
	global_store_b16 v[18:19], v22, off
	v_lshlrev_b64 v[16:17], 1, v[16:17]
	s_delay_alu instid0(VALU_DEP_1) | instskip(NEXT) | instid1(VALU_DEP_2)
	v_add_co_u32 v16, vcc_lo, s4, v16
	v_add_co_ci_u32_e32 v17, vcc_lo, s5, v17, vcc_lo
	s_and_b32 vcc_lo, exec_lo, s0
	s_cbranch_vccnz .LBB259_96
; %bb.95:
	s_delay_alu instid0(VALU_DEP_2) | instskip(NEXT) | instid1(VALU_DEP_2)
	v_add_co_u32 v18, vcc_lo, v16, v28
	v_add_co_ci_u32_e32 v19, vcc_lo, v17, v29, vcc_lo
	flat_load_u16 v18, v[18:19]
	s_waitcnt vmcnt(0) lgkmcnt(0)
	v_mul_f16_e32 v21, s18, v18
.LBB259_96:
	v_pk_add_f16 v22, v26, v12
	v_pk_max_f16 v32, v71, v71
	v_mad_i64_i32 v[18:19], null, v23, s3, 0
	v_pk_add_f16 v23, v27, v13
	s_delay_alu instid0(VALU_DEP_3) | instskip(NEXT) | instid1(VALU_DEP_3)
	v_pk_min_f16 v22, v32, v22
	v_lshlrev_b64 v[18:19], 1, v[18:19]
	s_delay_alu instid0(VALU_DEP_2) | instskip(NEXT) | instid1(VALU_DEP_2)
	v_pk_min_f16 v22, v22, v23
	v_add_co_u32 v18, vcc_lo, s1, v18
	s_delay_alu instid0(VALU_DEP_2) | instskip(NEXT) | instid1(VALU_DEP_4)
	v_lshrrev_b32_e32 v23, 16, v22
	v_add_co_ci_u32_e32 v19, vcc_lo, s6, v19, vcc_lo
	s_delay_alu instid0(VALU_DEP_2) | instskip(NEXT) | instid1(VALU_DEP_4)
	v_min3_f16 v23, v21, v22, v23
	v_add_co_u32 v21, vcc_lo, v18, v28
	s_delay_alu instid0(VALU_DEP_3)
	v_add_co_ci_u32_e32 v22, vcc_lo, v19, v29, vcc_lo
	s_and_b32 vcc_lo, exec_lo, s0
	global_store_b16 v[21:22], v23, off
	s_cbranch_vccnz .LBB259_98
; %bb.97:
	v_add_co_u32 v20, vcc_lo, v16, v30
	v_add_co_ci_u32_e32 v21, vcc_lo, v17, v31, vcc_lo
	flat_load_u16 v20, v[20:21]
	s_waitcnt vmcnt(0) lgkmcnt(0)
	v_mul_f16_e32 v20, s18, v20
.LBB259_98:
	v_pk_add_f16 v21, v8, v12
	v_pk_max_f16 v22, v70, v70
	v_pk_add_f16 v23, v9, v13
	s_delay_alu instid0(VALU_DEP_2) | instskip(SKIP_1) | instid1(VALU_DEP_2)
	v_pk_min_f16 v21, v22, v21
	v_add_co_u32 v22, vcc_lo, v18, v30
	v_pk_min_f16 v21, v21, v23
	v_add_co_ci_u32_e32 v23, vcc_lo, v19, v31, vcc_lo
	s_and_b32 vcc_lo, exec_lo, s0
	s_delay_alu instid0(VALU_DEP_2) | instskip(NEXT) | instid1(VALU_DEP_1)
	v_lshrrev_b32_e32 v32, 16, v21
	v_min3_f16 v32, v20, v21, v32
	v_dual_mov_b32 v20, 0 :: v_dual_mov_b32 v21, 0
	global_store_b16 v[22:23], v32, off
	s_cbranch_vccnz .LBB259_100
; %bb.99:
	v_add_co_u32 v21, vcc_lo, v16, v51
	v_add_co_ci_u32_e32 v22, vcc_lo, v17, v52, vcc_lo
	flat_load_u16 v21, v[21:22]
	s_waitcnt vmcnt(0) lgkmcnt(0)
	v_mul_f16_e32 v21, s18, v21
.LBB259_100:
	v_pk_add_f16 v22, v10, v12
	v_pk_max_f16 v23, v61, v61
	v_pk_add_f16 v32, v11, v13
	s_delay_alu instid0(VALU_DEP_2) | instskip(NEXT) | instid1(VALU_DEP_1)
	v_pk_min_f16 v22, v23, v22
	v_pk_min_f16 v22, v22, v32
	s_delay_alu instid0(VALU_DEP_1) | instskip(NEXT) | instid1(VALU_DEP_1)
	v_lshrrev_b32_e32 v23, 16, v22
	v_min3_f16 v23, v21, v22, v23
	v_add_co_u32 v21, vcc_lo, v18, v51
	v_add_co_ci_u32_e32 v22, vcc_lo, v19, v52, vcc_lo
	s_and_b32 vcc_lo, exec_lo, s0
	global_store_b16 v[21:22], v23, off
	s_cbranch_vccnz .LBB259_102
; %bb.101:
	v_add_co_u32 v20, vcc_lo, v16, v40
	v_add_co_ci_u32_e32 v21, vcc_lo, v17, v41, vcc_lo
	flat_load_u16 v20, v[20:21]
	s_waitcnt vmcnt(0) lgkmcnt(0)
	v_mul_f16_e32 v20, s18, v20
.LBB259_102:
	v_pk_add_f16 v21, v4, v12
	v_pk_max_f16 v22, v60, v60
	v_pk_add_f16 v23, v5, v13
	s_delay_alu instid0(VALU_DEP_2) | instskip(SKIP_1) | instid1(VALU_DEP_2)
	v_pk_min_f16 v21, v22, v21
	v_add_co_u32 v22, vcc_lo, v18, v40
	v_pk_min_f16 v21, v21, v23
	v_add_co_ci_u32_e32 v23, vcc_lo, v19, v41, vcc_lo
	s_and_b32 vcc_lo, exec_lo, s0
	s_delay_alu instid0(VALU_DEP_2) | instskip(NEXT) | instid1(VALU_DEP_1)
	v_lshrrev_b32_e32 v32, 16, v21
	v_min3_f16 v32, v20, v21, v32
	v_dual_mov_b32 v20, 0 :: v_dual_mov_b32 v21, 0
	global_store_b16 v[22:23], v32, off
	s_cbranch_vccnz .LBB259_104
; %bb.103:
	v_add_co_u32 v21, vcc_lo, v16, v42
	v_add_co_ci_u32_e32 v22, vcc_lo, v17, v43, vcc_lo
	flat_load_u16 v21, v[21:22]
	s_waitcnt vmcnt(0) lgkmcnt(0)
	v_mul_f16_e32 v21, s18, v21
.LBB259_104:
	v_pk_add_f16 v22, v6, v12
	v_pk_max_f16 v23, v59, v59
	v_pk_add_f16 v32, v7, v13
	s_delay_alu instid0(VALU_DEP_2) | instskip(NEXT) | instid1(VALU_DEP_1)
	v_pk_min_f16 v22, v23, v22
	v_pk_min_f16 v22, v22, v32
	s_delay_alu instid0(VALU_DEP_1) | instskip(NEXT) | instid1(VALU_DEP_1)
	v_lshrrev_b32_e32 v23, 16, v22
	v_min3_f16 v23, v21, v22, v23
	v_add_co_u32 v21, vcc_lo, v18, v42
	;; [unrolled: 43-line block ×3, first 2 shown]
	v_add_co_ci_u32_e32 v22, vcc_lo, v19, v37, vcc_lo
	s_and_b32 vcc_lo, exec_lo, s0
	global_store_b16 v[21:22], v23, off
	s_cbranch_vccnz .LBB259_110
; %bb.109:
	v_add_co_u32 v16, vcc_lo, v16, v34
	v_add_co_ci_u32_e32 v17, vcc_lo, v17, v35, vcc_lo
	flat_load_u16 v16, v[16:17]
	s_waitcnt vmcnt(0) lgkmcnt(0)
	v_mul_f16_e32 v20, s18, v16
.LBB259_110:
	v_add_nc_u32_e32 v16, 48, v44
	v_pk_add_f16 v12, v48, v12
	v_pk_max_f16 v17, v56, v56
	v_pk_add_f16 v13, v49, v13
	s_delay_alu instid0(VALU_DEP_4) | instskip(NEXT) | instid1(VALU_DEP_3)
	v_mad_i64_i32 v[21:22], null, v16, s8, 0
	v_pk_min_f16 v12, v17, v12
	s_delay_alu instid0(VALU_DEP_1) | instskip(NEXT) | instid1(VALU_DEP_3)
	v_pk_min_f16 v17, v12, v13
	v_lshlrev_b64 v[12:13], 1, v[21:22]
	v_add_co_u32 v21, vcc_lo, v18, v34
	v_add_co_ci_u32_e32 v22, vcc_lo, v19, v35, vcc_lo
	v_mov_b32_e32 v19, 0
	v_lshrrev_b32_e32 v18, 16, v17
	v_add_co_u32 v12, vcc_lo, s4, v12
	v_add_co_ci_u32_e32 v13, vcc_lo, s5, v13, vcc_lo
	s_delay_alu instid0(VALU_DEP_3)
	v_min3_f16 v17, v20, v17, v18
	v_mov_b32_e32 v18, 0
	s_and_b32 vcc_lo, exec_lo, s0
	global_store_b16 v[21:22], v17, off
	s_cbranch_vccnz .LBB259_112
; %bb.111:
	v_add_co_u32 v19, vcc_lo, v12, v28
	v_add_co_ci_u32_e32 v20, vcc_lo, v13, v29, vcc_lo
	flat_load_u16 v17, v[19:20]
	s_waitcnt vmcnt(0) lgkmcnt(0)
	v_mul_f16_e32 v19, s18, v17
.LBB259_112:
	v_pk_add_f16 v17, v26, v14
	v_pk_max_f16 v22, v55, v55
	v_mad_i64_i32 v[20:21], null, v16, s3, 0
	v_pk_add_f16 v16, v27, v15
	s_delay_alu instid0(VALU_DEP_3) | instskip(NEXT) | instid1(VALU_DEP_1)
	v_pk_min_f16 v17, v22, v17
	v_pk_min_f16 v22, v17, v16
	s_delay_alu instid0(VALU_DEP_4) | instskip(NEXT) | instid1(VALU_DEP_2)
	v_lshlrev_b64 v[16:17], 1, v[20:21]
	v_lshrrev_b32_e32 v20, 16, v22
	s_delay_alu instid0(VALU_DEP_2) | instskip(NEXT) | instid1(VALU_DEP_3)
	v_add_co_u32 v16, vcc_lo, s1, v16
	v_add_co_ci_u32_e32 v17, vcc_lo, s6, v17, vcc_lo
	s_delay_alu instid0(VALU_DEP_3) | instskip(NEXT) | instid1(VALU_DEP_3)
	v_min3_f16 v21, v19, v22, v20
	v_add_co_u32 v19, vcc_lo, v16, v28
	s_delay_alu instid0(VALU_DEP_3)
	v_add_co_ci_u32_e32 v20, vcc_lo, v17, v29, vcc_lo
	s_and_b32 vcc_lo, exec_lo, s0
	global_store_b16 v[19:20], v21, off
	s_cbranch_vccnz .LBB259_114
; %bb.113:
	v_add_co_u32 v18, vcc_lo, v12, v30
	v_add_co_ci_u32_e32 v19, vcc_lo, v13, v31, vcc_lo
	flat_load_u16 v18, v[18:19]
	s_waitcnt vmcnt(0) lgkmcnt(0)
	v_mul_f16_e32 v18, s18, v18
.LBB259_114:
	v_pk_add_f16 v19, v8, v14
	v_pk_max_f16 v20, v54, v54
	v_pk_add_f16 v21, v9, v15
	s_delay_alu instid0(VALU_DEP_2) | instskip(SKIP_1) | instid1(VALU_DEP_2)
	v_pk_min_f16 v19, v20, v19
	v_add_co_u32 v20, vcc_lo, v16, v30
	v_pk_min_f16 v19, v19, v21
	v_add_co_ci_u32_e32 v21, vcc_lo, v17, v31, vcc_lo
	s_and_b32 vcc_lo, exec_lo, s0
	s_delay_alu instid0(VALU_DEP_2) | instskip(NEXT) | instid1(VALU_DEP_1)
	v_lshrrev_b32_e32 v22, 16, v19
	v_min3_f16 v22, v18, v19, v22
	v_dual_mov_b32 v18, 0 :: v_dual_mov_b32 v19, 0
	global_store_b16 v[20:21], v22, off
	s_cbranch_vccnz .LBB259_116
; %bb.115:
	v_add_co_u32 v19, vcc_lo, v12, v51
	v_add_co_ci_u32_e32 v20, vcc_lo, v13, v52, vcc_lo
	flat_load_u16 v19, v[19:20]
	s_waitcnt vmcnt(0) lgkmcnt(0)
	v_mul_f16_e32 v19, s18, v19
.LBB259_116:
	v_pk_add_f16 v20, v10, v14
	v_pk_max_f16 v21, v53, v53
	v_pk_add_f16 v22, v11, v15
	s_delay_alu instid0(VALU_DEP_2) | instskip(NEXT) | instid1(VALU_DEP_1)
	v_pk_min_f16 v20, v21, v20
	v_pk_min_f16 v20, v20, v22
	s_delay_alu instid0(VALU_DEP_1) | instskip(NEXT) | instid1(VALU_DEP_1)
	v_lshrrev_b32_e32 v21, 16, v20
	v_min3_f16 v21, v19, v20, v21
	v_add_co_u32 v19, vcc_lo, v16, v51
	v_add_co_ci_u32_e32 v20, vcc_lo, v17, v52, vcc_lo
	s_and_b32 vcc_lo, exec_lo, s0
	global_store_b16 v[19:20], v21, off
	s_cbranch_vccnz .LBB259_118
; %bb.117:
	v_add_co_u32 v18, vcc_lo, v12, v40
	v_add_co_ci_u32_e32 v19, vcc_lo, v13, v41, vcc_lo
	flat_load_u16 v18, v[18:19]
	s_waitcnt vmcnt(0) lgkmcnt(0)
	v_mul_f16_e32 v18, s18, v18
.LBB259_118:
	v_pk_add_f16 v19, v4, v14
	v_pk_max_f16 v20, v149, v149
	v_pk_add_f16 v21, v5, v15
	s_delay_alu instid0(VALU_DEP_2) | instskip(SKIP_1) | instid1(VALU_DEP_2)
	v_pk_min_f16 v19, v20, v19
	v_add_co_u32 v20, vcc_lo, v16, v40
	v_pk_min_f16 v19, v19, v21
	v_add_co_ci_u32_e32 v21, vcc_lo, v17, v41, vcc_lo
	s_and_b32 vcc_lo, exec_lo, s0
	s_delay_alu instid0(VALU_DEP_2) | instskip(NEXT) | instid1(VALU_DEP_1)
	v_lshrrev_b32_e32 v22, 16, v19
	v_min3_f16 v22, v18, v19, v22
	v_dual_mov_b32 v18, 0 :: v_dual_mov_b32 v19, 0
	global_store_b16 v[20:21], v22, off
	s_cbranch_vccnz .LBB259_120
; %bb.119:
	v_add_co_u32 v19, vcc_lo, v12, v42
	v_add_co_ci_u32_e32 v20, vcc_lo, v13, v43, vcc_lo
	flat_load_u16 v19, v[19:20]
	s_waitcnt vmcnt(0) lgkmcnt(0)
	v_mul_f16_e32 v19, s18, v19
.LBB259_120:
	v_pk_add_f16 v20, v6, v14
	v_pk_max_f16 v21, v150, v150
	v_pk_add_f16 v22, v7, v15
	s_delay_alu instid0(VALU_DEP_2) | instskip(NEXT) | instid1(VALU_DEP_1)
	v_pk_min_f16 v20, v21, v20
	v_pk_min_f16 v20, v20, v22
	s_delay_alu instid0(VALU_DEP_1) | instskip(NEXT) | instid1(VALU_DEP_1)
	v_lshrrev_b32_e32 v21, 16, v20
	v_min3_f16 v21, v19, v20, v21
	v_add_co_u32 v19, vcc_lo, v16, v42
	;; [unrolled: 43-line block ×3, first 2 shown]
	v_add_co_ci_u32_e32 v20, vcc_lo, v17, v37, vcc_lo
	s_and_b32 vcc_lo, exec_lo, s0
	global_store_b16 v[19:20], v21, off
	s_cbranch_vccnz .LBB259_126
; %bb.125:
	v_add_co_u32 v12, vcc_lo, v12, v34
	v_add_co_ci_u32_e32 v13, vcc_lo, v13, v35, vcc_lo
	flat_load_u16 v12, v[12:13]
	s_waitcnt vmcnt(0) lgkmcnt(0)
	v_mul_f16_e32 v18, s18, v12
.LBB259_126:
	v_pk_add_f16 v14, v48, v14
	v_pk_max_f16 v20, v153, v153
	v_pk_add_f16 v15, v49, v15
	v_add_nc_u32_e32 v19, 56, v44
	s_delay_alu instid0(VALU_DEP_3) | instskip(NEXT) | instid1(VALU_DEP_1)
	v_pk_min_f16 v14, v20, v14
	v_pk_min_f16 v20, v14, v15
	v_add_co_u32 v14, vcc_lo, v16, v34
	v_add_co_ci_u32_e32 v15, vcc_lo, v17, v35, vcc_lo
	s_delay_alu instid0(VALU_DEP_3) | instskip(SKIP_1) | instid1(VALU_DEP_2)
	v_lshrrev_b32_e32 v16, 16, v20
	v_mov_b32_e32 v17, 0
	v_min3_f16 v18, v18, v20, v16
	v_mov_b32_e32 v16, 0
	v_mad_i64_i32 v[12:13], null, v19, s8, 0
	global_store_b16 v[14:15], v18, off
	v_lshlrev_b64 v[12:13], 1, v[12:13]
	s_delay_alu instid0(VALU_DEP_1) | instskip(NEXT) | instid1(VALU_DEP_2)
	v_add_co_u32 v12, vcc_lo, s4, v12
	v_add_co_ci_u32_e32 v13, vcc_lo, s5, v13, vcc_lo
	s_and_b32 vcc_lo, exec_lo, s0
	s_cbranch_vccnz .LBB259_128
; %bb.127:
	s_delay_alu instid0(VALU_DEP_2) | instskip(NEXT) | instid1(VALU_DEP_2)
	v_add_co_u32 v14, vcc_lo, v12, v28
	v_add_co_ci_u32_e32 v15, vcc_lo, v13, v29, vcc_lo
	flat_load_u16 v14, v[14:15]
	s_waitcnt vmcnt(0) lgkmcnt(0)
	v_mul_f16_e32 v17, s18, v14
.LBB259_128:
	v_pk_add_f16 v18, v26, v24
	v_pk_max_f16 v20, v154, v154
	v_mad_i64_i32 v[14:15], null, v19, s3, 0
	v_pk_add_f16 v19, v27, v25
	s_delay_alu instid0(VALU_DEP_3) | instskip(NEXT) | instid1(VALU_DEP_3)
	v_pk_min_f16 v18, v20, v18
	v_lshlrev_b64 v[14:15], 1, v[14:15]
	s_delay_alu instid0(VALU_DEP_2) | instskip(NEXT) | instid1(VALU_DEP_2)
	v_pk_min_f16 v18, v18, v19
	v_add_co_u32 v14, vcc_lo, s1, v14
	s_delay_alu instid0(VALU_DEP_2) | instskip(NEXT) | instid1(VALU_DEP_4)
	v_lshrrev_b32_e32 v19, 16, v18
	v_add_co_ci_u32_e32 v15, vcc_lo, s6, v15, vcc_lo
	s_delay_alu instid0(VALU_DEP_2) | instskip(NEXT) | instid1(VALU_DEP_4)
	v_min3_f16 v19, v17, v18, v19
	v_add_co_u32 v17, vcc_lo, v14, v28
	s_delay_alu instid0(VALU_DEP_3)
	v_add_co_ci_u32_e32 v18, vcc_lo, v15, v29, vcc_lo
	s_and_b32 vcc_lo, exec_lo, s0
	global_store_b16 v[17:18], v19, off
	s_cbranch_vccnz .LBB259_130
; %bb.129:
	v_add_co_u32 v16, vcc_lo, v12, v30
	v_add_co_ci_u32_e32 v17, vcc_lo, v13, v31, vcc_lo
	flat_load_u16 v16, v[16:17]
	s_waitcnt vmcnt(0) lgkmcnt(0)
	v_mul_f16_e32 v16, s18, v16
.LBB259_130:
	v_pk_add_f16 v8, v8, v24
	v_pk_max_f16 v17, v148, v148
	v_pk_add_f16 v9, v9, v25
	s_delay_alu instid0(VALU_DEP_2) | instskip(SKIP_2) | instid1(VALU_DEP_3)
	v_pk_min_f16 v8, v17, v8
	v_add_co_u32 v17, vcc_lo, v14, v30
	v_add_co_ci_u32_e32 v18, vcc_lo, v15, v31, vcc_lo
	v_pk_min_f16 v8, v8, v9
	s_and_b32 vcc_lo, exec_lo, s0
	s_delay_alu instid0(VALU_DEP_1) | instskip(NEXT) | instid1(VALU_DEP_1)
	v_lshrrev_b32_e32 v9, 16, v8
	v_min3_f16 v16, v16, v8, v9
	v_dual_mov_b32 v8, 0 :: v_dual_mov_b32 v9, 0
	global_store_b16 v[17:18], v16, off
	s_cbranch_vccnz .LBB259_132
; %bb.131:
	v_add_co_u32 v16, vcc_lo, v12, v51
	v_add_co_ci_u32_e32 v17, vcc_lo, v13, v52, vcc_lo
	flat_load_u16 v9, v[16:17]
	s_waitcnt vmcnt(0) lgkmcnt(0)
	v_mul_f16_e32 v9, s18, v9
.LBB259_132:
	v_pk_add_f16 v10, v10, v24
	v_pk_max_f16 v16, v147, v147
	v_pk_add_f16 v11, v11, v25
	s_delay_alu instid0(VALU_DEP_2) | instskip(NEXT) | instid1(VALU_DEP_1)
	v_pk_min_f16 v10, v16, v10
	v_pk_min_f16 v10, v10, v11
	s_delay_alu instid0(VALU_DEP_1) | instskip(NEXT) | instid1(VALU_DEP_1)
	v_lshrrev_b32_e32 v11, 16, v10
	v_min3_f16 v11, v9, v10, v11
	v_add_co_u32 v9, vcc_lo, v14, v51
	v_add_co_ci_u32_e32 v10, vcc_lo, v15, v52, vcc_lo
	s_and_b32 vcc_lo, exec_lo, s0
	global_store_b16 v[9:10], v11, off
	s_cbranch_vccnz .LBB259_134
; %bb.133:
	v_add_co_u32 v8, vcc_lo, v12, v40
	v_add_co_ci_u32_e32 v9, vcc_lo, v13, v41, vcc_lo
	flat_load_u16 v8, v[8:9]
	s_waitcnt vmcnt(0) lgkmcnt(0)
	v_mul_f16_e32 v8, s18, v8
.LBB259_134:
	v_pk_add_f16 v4, v4, v24
	v_pk_max_f16 v9, v146, v146
	v_pk_add_f16 v5, v5, v25
	s_delay_alu instid0(VALU_DEP_2) | instskip(SKIP_2) | instid1(VALU_DEP_3)
	v_pk_min_f16 v4, v9, v4
	v_add_co_u32 v9, vcc_lo, v14, v40
	v_add_co_ci_u32_e32 v10, vcc_lo, v15, v41, vcc_lo
	v_pk_min_f16 v4, v4, v5
	s_and_b32 vcc_lo, exec_lo, s0
	s_delay_alu instid0(VALU_DEP_1) | instskip(NEXT) | instid1(VALU_DEP_1)
	v_lshrrev_b32_e32 v5, 16, v4
	v_min3_f16 v8, v8, v4, v5
	v_dual_mov_b32 v4, 0 :: v_dual_mov_b32 v5, 0
	global_store_b16 v[9:10], v8, off
	s_cbranch_vccnz .LBB259_136
; %bb.135:
	v_add_co_u32 v8, vcc_lo, v12, v42
	v_add_co_ci_u32_e32 v9, vcc_lo, v13, v43, vcc_lo
	flat_load_u16 v5, v[8:9]
	s_waitcnt vmcnt(0) lgkmcnt(0)
	v_mul_f16_e32 v5, s18, v5
.LBB259_136:
	v_pk_add_f16 v6, v6, v24
	v_pk_max_f16 v8, v145, v145
	v_pk_add_f16 v7, v7, v25
	s_delay_alu instid0(VALU_DEP_2) | instskip(NEXT) | instid1(VALU_DEP_1)
	v_pk_min_f16 v6, v8, v6
	v_pk_min_f16 v6, v6, v7
	s_delay_alu instid0(VALU_DEP_1) | instskip(NEXT) | instid1(VALU_DEP_1)
	v_lshrrev_b32_e32 v7, 16, v6
	v_min3_f16 v7, v5, v6, v7
	v_add_co_u32 v5, vcc_lo, v14, v42
	v_add_co_ci_u32_e32 v6, vcc_lo, v15, v43, vcc_lo
	s_and_b32 vcc_lo, exec_lo, s0
	global_store_b16 v[5:6], v7, off
	s_cbranch_vccnz .LBB259_138
; %bb.137:
	v_add_co_u32 v4, vcc_lo, v12, v38
	v_add_co_ci_u32_e32 v5, vcc_lo, v13, v39, vcc_lo
	flat_load_u16 v4, v[4:5]
	s_waitcnt vmcnt(0) lgkmcnt(0)
	v_mul_f16_e32 v4, s18, v4
.LBB259_138:
	v_pk_add_f16 v0, v0, v24
	v_pk_max_f16 v5, v143, v143
	v_pk_add_f16 v2, v2, v24
	v_pk_max_f16 v6, v144, v144
	v_pk_add_f16 v1, v1, v25
	v_pk_add_f16 v3, v3, v25
	v_pk_min_f16 v0, v5, v0
	s_delay_alu instid0(VALU_DEP_4) | instskip(NEXT) | instid1(VALU_DEP_2)
	v_pk_min_f16 v2, v6, v2
	v_pk_min_f16 v0, v0, v1
	s_delay_alu instid0(VALU_DEP_2) | instskip(NEXT) | instid1(VALU_DEP_2)
	v_pk_min_f16 v1, v2, v3
	v_lshrrev_b32_e32 v2, 16, v0
	s_delay_alu instid0(VALU_DEP_2) | instskip(NEXT) | instid1(VALU_DEP_2)
	v_lshrrev_b32_e32 v3, 16, v1
	v_min3_f16 v4, v4, v0, v2
	s_delay_alu instid0(VALU_DEP_2) | instskip(SKIP_2) | instid1(VALU_DEP_3)
	v_min_f16_e32 v0, v1, v3
	v_add_co_u32 v1, vcc_lo, v14, v38
	v_add_co_ci_u32_e32 v2, vcc_lo, v15, v39, vcc_lo
	v_max_f16_e32 v0, v0, v0
	s_mov_b32 vcc_lo, s2
	global_store_b16 v[1:2], v4, off
	s_cbranch_vccz .LBB259_141
; %bb.139:
	v_add_co_u32 v1, vcc_lo, v14, v36
	v_min_f16_e32 v3, 0, v0
	v_add_co_ci_u32_e32 v2, vcc_lo, v15, v37, vcc_lo
	s_mov_b32 s0, 0
	global_store_b16 v[1:2], v3, off
	s_cbranch_execz .LBB259_142
; %bb.140:
	v_mov_b32_e32 v0, s0
	s_branch .LBB259_143
.LBB259_141:
	s_mov_b32 s0, -1
.LBB259_142:
	v_add_co_u32 v1, vcc_lo, v12, v36
	v_add_co_ci_u32_e32 v2, vcc_lo, v13, v37, vcc_lo
	flat_load_u16 v1, v[1:2]
	s_waitcnt vmcnt(0) lgkmcnt(0)
	v_mul_f16_e32 v3, s18, v1
	v_add_co_u32 v1, vcc_lo, v14, v36
	v_add_co_ci_u32_e32 v2, vcc_lo, v15, v37, vcc_lo
	s_delay_alu instid0(VALU_DEP_3)
	v_min_f16_e32 v0, v3, v0
	v_add_co_u32 v3, vcc_lo, v12, v34
	v_add_co_ci_u32_e32 v4, vcc_lo, v13, v35, vcc_lo
	global_store_b16 v[1:2], v0, off
	flat_load_u16 v0, v[3:4]
	s_waitcnt vmcnt(0) lgkmcnt(0)
	v_mul_f16_e32 v0, s18, v0
.LBB259_143:
	v_pk_add_f16 v1, v48, v24
	v_pk_max_f16 v2, v142, v142
	v_pk_add_f16 v3, v49, v25
	s_delay_alu instid0(VALU_DEP_2) | instskip(NEXT) | instid1(VALU_DEP_1)
	v_pk_min_f16 v1, v2, v1
	v_pk_min_f16 v1, v1, v3
	s_delay_alu instid0(VALU_DEP_1) | instskip(NEXT) | instid1(VALU_DEP_1)
	v_lshrrev_b32_e32 v2, 16, v1
	v_min3_f16 v2, v0, v1, v2
	v_add_co_u32 v0, vcc_lo, v14, v34
	v_add_co_ci_u32_e32 v1, vcc_lo, v15, v35, vcc_lo
	global_store_b16 v[0:1], v2, off
	s_nop 0
	s_sendmsg sendmsg(MSG_DEALLOC_VGPRS)
	s_endpgm
	.section	.rodata,"a",@progbits
	.p2align	6, 0x0
	.amdhsa_kernel _ZN12_GLOBAL__N_120geam_min_plus_kernelIDF16_Dv2_DF16_S1_Li32ELi8ELi256ELi64ELi4ELi64ELi4ELi4ELi64ELc78ELc78ELb1ELb0ELb1EDF16_KDF16_DF16_EEviiiT16_PT17_ilS5_ilS3_S5_ilPT18_ili26rocblas_geam_ex_operation_
		.amdhsa_group_segment_fixed_size 5120
		.amdhsa_private_segment_fixed_size 356
		.amdhsa_kernarg_size 128
		.amdhsa_user_sgpr_count 14
		.amdhsa_user_sgpr_dispatch_ptr 0
		.amdhsa_user_sgpr_queue_ptr 0
		.amdhsa_user_sgpr_kernarg_segment_ptr 1
		.amdhsa_user_sgpr_dispatch_id 0
		.amdhsa_user_sgpr_private_segment_size 0
		.amdhsa_wavefront_size32 1
		.amdhsa_uses_dynamic_stack 0
		.amdhsa_enable_private_segment 1
		.amdhsa_system_sgpr_workgroup_id_x 1
		.amdhsa_system_sgpr_workgroup_id_y 0
		.amdhsa_system_sgpr_workgroup_id_z 1
		.amdhsa_system_sgpr_workgroup_info 0
		.amdhsa_system_vgpr_workitem_id 1
		.amdhsa_next_free_vgpr 256
		.amdhsa_next_free_sgpr 23
		.amdhsa_reserve_vcc 1
		.amdhsa_float_round_mode_32 0
		.amdhsa_float_round_mode_16_64 0
		.amdhsa_float_denorm_mode_32 3
		.amdhsa_float_denorm_mode_16_64 3
		.amdhsa_dx10_clamp 1
		.amdhsa_ieee_mode 1
		.amdhsa_fp16_overflow 0
		.amdhsa_workgroup_processor_mode 1
		.amdhsa_memory_ordered 1
		.amdhsa_forward_progress 0
		.amdhsa_shared_vgpr_count 0
		.amdhsa_exception_fp_ieee_invalid_op 0
		.amdhsa_exception_fp_denorm_src 0
		.amdhsa_exception_fp_ieee_div_zero 0
		.amdhsa_exception_fp_ieee_overflow 0
		.amdhsa_exception_fp_ieee_underflow 0
		.amdhsa_exception_fp_ieee_inexact 0
		.amdhsa_exception_int_div_zero 0
	.end_amdhsa_kernel
	.section	.text._ZN12_GLOBAL__N_120geam_min_plus_kernelIDF16_Dv2_DF16_S1_Li32ELi8ELi256ELi64ELi4ELi64ELi4ELi4ELi64ELc78ELc78ELb1ELb0ELb1EDF16_KDF16_DF16_EEviiiT16_PT17_ilS5_ilS3_S5_ilPT18_ili26rocblas_geam_ex_operation_,"axG",@progbits,_ZN12_GLOBAL__N_120geam_min_plus_kernelIDF16_Dv2_DF16_S1_Li32ELi8ELi256ELi64ELi4ELi64ELi4ELi4ELi64ELc78ELc78ELb1ELb0ELb1EDF16_KDF16_DF16_EEviiiT16_PT17_ilS5_ilS3_S5_ilPT18_ili26rocblas_geam_ex_operation_,comdat
.Lfunc_end259:
	.size	_ZN12_GLOBAL__N_120geam_min_plus_kernelIDF16_Dv2_DF16_S1_Li32ELi8ELi256ELi64ELi4ELi64ELi4ELi4ELi64ELc78ELc78ELb1ELb0ELb1EDF16_KDF16_DF16_EEviiiT16_PT17_ilS5_ilS3_S5_ilPT18_ili26rocblas_geam_ex_operation_, .Lfunc_end259-_ZN12_GLOBAL__N_120geam_min_plus_kernelIDF16_Dv2_DF16_S1_Li32ELi8ELi256ELi64ELi4ELi64ELi4ELi4ELi64ELc78ELc78ELb1ELb0ELb1EDF16_KDF16_DF16_EEviiiT16_PT17_ilS5_ilS3_S5_ilPT18_ili26rocblas_geam_ex_operation_
                                        ; -- End function
	.section	.AMDGPU.csdata,"",@progbits
; Kernel info:
; codeLenInByte = 19176
; NumSgprs: 25
; NumVgprs: 256
; ScratchSize: 356
; MemoryBound: 0
; FloatMode: 240
; IeeeMode: 1
; LDSByteSize: 5120 bytes/workgroup (compile time only)
; SGPRBlocks: 3
; VGPRBlocks: 31
; NumSGPRsForWavesPerEU: 25
; NumVGPRsForWavesPerEU: 256
; Occupancy: 5
; WaveLimiterHint : 1
; COMPUTE_PGM_RSRC2:SCRATCH_EN: 1
; COMPUTE_PGM_RSRC2:USER_SGPR: 14
; COMPUTE_PGM_RSRC2:TRAP_HANDLER: 0
; COMPUTE_PGM_RSRC2:TGID_X_EN: 1
; COMPUTE_PGM_RSRC2:TGID_Y_EN: 0
; COMPUTE_PGM_RSRC2:TGID_Z_EN: 1
; COMPUTE_PGM_RSRC2:TIDIG_COMP_CNT: 1
	.section	.text._ZN12_GLOBAL__N_120geam_min_plus_kernelIDF16_Dv2_DF16_S1_Li32ELi8ELi256ELi64ELi4ELi64ELi4ELi4ELi64ELc78ELc78ELb0ELb0ELb1EDF16_KDF16_DF16_EEviiiT16_PT17_ilS5_ilS3_S5_ilPT18_ili26rocblas_geam_ex_operation_,"axG",@progbits,_ZN12_GLOBAL__N_120geam_min_plus_kernelIDF16_Dv2_DF16_S1_Li32ELi8ELi256ELi64ELi4ELi64ELi4ELi4ELi64ELc78ELc78ELb0ELb0ELb1EDF16_KDF16_DF16_EEviiiT16_PT17_ilS5_ilS3_S5_ilPT18_ili26rocblas_geam_ex_operation_,comdat
	.globl	_ZN12_GLOBAL__N_120geam_min_plus_kernelIDF16_Dv2_DF16_S1_Li32ELi8ELi256ELi64ELi4ELi64ELi4ELi4ELi64ELc78ELc78ELb0ELb0ELb1EDF16_KDF16_DF16_EEviiiT16_PT17_ilS5_ilS3_S5_ilPT18_ili26rocblas_geam_ex_operation_ ; -- Begin function _ZN12_GLOBAL__N_120geam_min_plus_kernelIDF16_Dv2_DF16_S1_Li32ELi8ELi256ELi64ELi4ELi64ELi4ELi4ELi64ELc78ELc78ELb0ELb0ELb1EDF16_KDF16_DF16_EEviiiT16_PT17_ilS5_ilS3_S5_ilPT18_ili26rocblas_geam_ex_operation_
	.p2align	8
	.type	_ZN12_GLOBAL__N_120geam_min_plus_kernelIDF16_Dv2_DF16_S1_Li32ELi8ELi256ELi64ELi4ELi64ELi4ELi4ELi64ELc78ELc78ELb0ELb0ELb1EDF16_KDF16_DF16_EEviiiT16_PT17_ilS5_ilS3_S5_ilPT18_ili26rocblas_geam_ex_operation_,@function
_ZN12_GLOBAL__N_120geam_min_plus_kernelIDF16_Dv2_DF16_S1_Li32ELi8ELi256ELi64ELi4ELi64ELi4ELi4ELi64ELc78ELc78ELb0ELb0ELb1EDF16_KDF16_DF16_EEviiiT16_PT17_ilS5_ilS3_S5_ilPT18_ili26rocblas_geam_ex_operation_: ; @_ZN12_GLOBAL__N_120geam_min_plus_kernelIDF16_Dv2_DF16_S1_Li32ELi8ELi256ELi64ELi4ELi64ELi4ELi4ELi64ELc78ELc78ELb0ELb0ELb1EDF16_KDF16_DF16_EEviiiT16_PT17_ilS5_ilS3_S5_ilPT18_ili26rocblas_geam_ex_operation_
; %bb.0:
	s_clause 0x1
	s_load_b64 s[10:11], s[0:1], 0x8
	s_load_b128 s[4:7], s[0:1], 0x20
	s_waitcnt lgkmcnt(0)
	v_cmp_eq_f16_e64 s2, s11, 0
	s_delay_alu instid0(VALU_DEP_1)
	s_and_b32 vcc_lo, exec_lo, s2
	s_cbranch_vccnz .LBB260_3
; %bb.1:
	s_load_b64 s[8:9], s[0:1], 0x10
	s_mul_i32 s3, s15, s5
	s_mul_hi_u32 s5, s15, s4
	s_mul_i32 s4, s15, s4
	s_add_i32 s5, s5, s3
	s_delay_alu instid0(SALU_CYCLE_1)
	s_lshl_b64 s[4:5], s[4:5], 1
	s_waitcnt lgkmcnt(0)
	s_add_u32 s12, s8, s4
	s_addc_u32 s13, s9, s5
	s_and_not1_b32 vcc_lo, exec_lo, s2
	s_cbranch_vccnz .LBB260_4
.LBB260_2:
	s_mov_b32 s19, 0
	s_mov_b64 s[16:17], 0
	s_cbranch_execz .LBB260_5
	s_branch .LBB260_6
.LBB260_3:
	s_mov_b64 s[12:13], 0
	s_and_not1_b32 vcc_lo, exec_lo, s2
	s_cbranch_vccz .LBB260_2
.LBB260_4:
	s_mov_b32 s19, -1
                                        ; implicit-def: $sgpr16_sgpr17
.LBB260_5:
	s_load_b64 s[2:3], s[0:1], 0x38
	s_mov_b32 s19, 0
	s_waitcnt lgkmcnt(0)
	s_mul_i32 s3, s15, s3
	s_mul_hi_u32 s4, s15, s2
	s_mul_i32 s2, s15, s2
	s_add_i32 s3, s4, s3
	s_delay_alu instid0(SALU_CYCLE_1) | instskip(NEXT) | instid1(SALU_CYCLE_1)
	s_lshl_b64 s[2:3], s[2:3], 1
	s_add_u32 s16, s6, s2
	s_addc_u32 s17, s7, s3
.LBB260_6:
	s_clause 0x1
	s_load_b32 s18, s[0:1], 0x40
	s_load_b128 s[4:7], s[0:1], 0x58
	v_cmp_neq_f16_e64 s22, s11, 0
	s_waitcnt lgkmcnt(0)
	v_cmp_eq_f16_e64 s2, s18, 0
	s_delay_alu instid0(VALU_DEP_1) | instskip(NEXT) | instid1(SALU_CYCLE_1)
	s_and_b32 s2, exec_lo, s2
	s_mov_b32 vcc_lo, s2
	s_cbranch_vccnz .LBB260_8
; %bb.7:
	s_load_b64 s[8:9], s[0:1], 0x48
	s_mul_i32 s3, s15, s5
	s_mul_hi_u32 s5, s15, s4
	s_delay_alu instid0(SALU_CYCLE_1) | instskip(SKIP_3) | instid1(SALU_CYCLE_1)
	s_add_i32 s3, s5, s3
	s_mul_i32 s5, s19, s4
	s_mul_i32 s4, s15, s4
	s_add_i32 s5, s3, s5
	s_lshl_b64 s[4:5], s[4:5], 1
	s_waitcnt lgkmcnt(0)
	s_add_u32 s8, s8, s4
	s_addc_u32 s9, s9, s5
	s_branch .LBB260_9
.LBB260_8:
	s_mov_b64 s[8:9], 0
.LBB260_9:
	s_clause 0x1
	s_load_b32 s3, s[0:1], 0x0
	s_load_b32 s4, s[0:1], 0x18
	v_and_b32_e32 v38, 0x3ff, v0
	v_bfe_u32 v39, v0, 10, 10
	v_cndmask_b32_e64 v3, 0, 1, s22
	s_delay_alu instid0(VALU_DEP_2) | instskip(NEXT) | instid1(VALU_DEP_1)
	v_lshl_add_u32 v6, v39, 5, v38
	v_lshrrev_b32_e32 v8, 6, v6
	v_and_b32_e32 v9, 63, v6
	s_waitcnt lgkmcnt(0)
	s_add_i32 s3, s3, -1
	s_delay_alu instid0(SALU_CYCLE_1) | instskip(NEXT) | instid1(SALU_CYCLE_1)
	s_ashr_i32 s5, s3, 31
	s_lshr_b32 s5, s5, 24
	s_delay_alu instid0(SALU_CYCLE_1) | instskip(NEXT) | instid1(SALU_CYCLE_1)
	s_add_i32 s3, s3, s5
	s_ashr_i32 s3, s3, 8
	s_delay_alu instid0(SALU_CYCLE_1) | instskip(SKIP_2) | instid1(VALU_DEP_1)
	s_add_i32 s20, s3, 1
	s_not_b32 s3, s3
	v_cvt_f32_u32_e32 v1, s20
	v_rcp_iflag_f32_e32 v1, v1
	s_waitcnt_depctr 0xfff
	v_mul_f32_e32 v1, 0x4f7ffffe, v1
	s_delay_alu instid0(VALU_DEP_1) | instskip(NEXT) | instid1(VALU_DEP_1)
	v_cvt_u32_f32_e32 v1, v1
	v_readfirstlane_b32 s5, v1
	v_mad_i64_i32 v[0:1], null, s4, v8, 0
	s_delay_alu instid0(VALU_DEP_2) | instskip(NEXT) | instid1(SALU_CYCLE_1)
	s_mul_i32 s3, s3, s5
	s_mul_hi_u32 s3, s5, s3
	s_delay_alu instid0(VALU_DEP_1) | instskip(SKIP_1) | instid1(SALU_CYCLE_1)
	v_lshlrev_b64 v[1:2], 1, v[0:1]
	s_add_i32 s5, s5, s3
	s_mul_hi_u32 s3, s14, s5
	s_ashr_i32 s5, s4, 31
	s_mul_i32 s21, s3, s20
	s_add_i32 s23, s3, 1
	s_sub_i32 s21, s14, s21
	v_add_co_u32 v4, vcc_lo, s12, v1
	s_sub_i32 s24, s21, s20
	s_cmp_ge_u32 s21, s20
	v_add_co_ci_u32_e32 v5, vcc_lo, s13, v2, vcc_lo
	s_cselect_b32 s3, s23, s3
	s_cselect_b32 s21, s24, s21
	s_add_i32 s23, s3, 1
	s_cmp_ge_u32 s21, s20
	s_cselect_b32 s21, s23, s3
	s_and_not1_b32 vcc_lo, exec_lo, s22
	s_mul_i32 s23, s21, s20
	s_delay_alu instid0(SALU_CYCLE_1) | instskip(NEXT) | instid1(SALU_CYCLE_1)
	s_sub_i32 s3, s14, s23
	s_lshl_b32 s20, s3, 8
	v_cmp_ne_u32_e64 s3, 1, v3
	v_or_b32_e32 v0, s20, v9
	s_delay_alu instid0(VALU_DEP_1)
	v_ashrrev_i32_e32 v1, 31, v0
	s_cbranch_vccnz .LBB260_12
; %bb.10:
	s_delay_alu instid0(VALU_DEP_1) | instskip(NEXT) | instid1(VALU_DEP_1)
	v_lshlrev_b64 v[2:3], 1, v[0:1]
	v_add_co_u32 v2, vcc_lo, v4, v2
	s_delay_alu instid0(VALU_DEP_2)
	v_add_co_ci_u32_e32 v3, vcc_lo, v5, v3, vcc_lo
	s_clause 0x1
	flat_load_u16 v7, v[2:3]
	flat_load_u16 v3, v[2:3] offset:128
	s_waitcnt vmcnt(1) lgkmcnt(1)
	v_mul_f16_e32 v2, s11, v7
	s_waitcnt vmcnt(0) lgkmcnt(0)
	v_mul_f16_e32 v3, s11, v3
	s_and_b32 vcc_lo, exec_lo, s3
	s_cbranch_vccnz .LBB260_13
.LBB260_11:
	v_lshlrev_b64 v[10:11], 1, v[0:1]
	s_delay_alu instid0(VALU_DEP_1) | instskip(NEXT) | instid1(VALU_DEP_2)
	v_add_co_u32 v4, vcc_lo, v4, v10
	v_add_co_ci_u32_e32 v5, vcc_lo, v5, v11, vcc_lo
	s_clause 0x1
	flat_load_u16 v7, v[4:5] offset:256
	flat_load_u16 v5, v[4:5] offset:384
	s_waitcnt vmcnt(1) lgkmcnt(1)
	v_mul_f16_e32 v4, s11, v7
	s_waitcnt vmcnt(0) lgkmcnt(0)
	v_mul_f16_e32 v5, s11, v5
	s_branch .LBB260_14
.LBB260_12:
	v_dual_mov_b32 v2, 0 :: v_dual_mov_b32 v3, 0
	s_and_b32 vcc_lo, exec_lo, s3
	s_cbranch_vccz .LBB260_11
.LBB260_13:
	v_dual_mov_b32 v4, 0 :: v_dual_mov_b32 v5, 0
.LBB260_14:
	s_load_b32 s24, s[0:1], 0x30
	v_lshrrev_b32_e32 v6, 2, v6
	v_and_b32_e32 v7, 3, v38
	s_lshl_b32 s21, s21, 6
	s_and_b32 vcc_lo, exec_lo, s3
	s_delay_alu instid0(VALU_DEP_2) | instskip(NEXT) | instid1(VALU_DEP_2)
	v_add_nc_u32_e32 v11, s21, v6
	v_lshlrev_b32_e32 v10, 1, v7
	s_cbranch_vccnz .LBB260_16
; %bb.15:
	s_waitcnt lgkmcnt(0)
	s_delay_alu instid0(VALU_DEP_2) | instskip(NEXT) | instid1(VALU_DEP_1)
	v_mad_i64_i32 v[12:13], null, v11, s24, 0
	v_lshlrev_b64 v[12:13], 1, v[12:13]
	s_delay_alu instid0(VALU_DEP_1) | instskip(NEXT) | instid1(VALU_DEP_2)
	v_add_co_u32 v7, vcc_lo, s16, v12
	v_add_co_ci_u32_e32 v13, vcc_lo, s17, v13, vcc_lo
	s_delay_alu instid0(VALU_DEP_2) | instskip(NEXT) | instid1(VALU_DEP_2)
	v_add_co_u32 v12, vcc_lo, v7, v10
	v_add_co_ci_u32_e32 v13, vcc_lo, 0, v13, vcc_lo
	flat_load_u16 v7, v[12:13]
	s_waitcnt vmcnt(0) lgkmcnt(0)
	v_mul_f16_e32 v7, s11, v7
	s_branch .LBB260_17
.LBB260_16:
	v_mov_b32_e32 v7, 0
.LBB260_17:
	v_add_nc_u32_e32 v14, 4, v8
	s_delay_alu instid0(VALU_DEP_1) | instskip(NEXT) | instid1(VALU_DEP_1)
	v_mad_i64_i32 v[12:13], null, s4, v14, 0
	v_lshlrev_b64 v[12:13], 1, v[12:13]
	s_delay_alu instid0(VALU_DEP_1) | instskip(NEXT) | instid1(VALU_DEP_2)
	v_add_co_u32 v14, vcc_lo, s12, v12
	v_add_co_ci_u32_e32 v15, vcc_lo, s13, v13, vcc_lo
	s_and_b32 vcc_lo, exec_lo, s3
	s_cbranch_vccnz .LBB260_21
; %bb.18:
	v_lshlrev_b64 v[12:13], 1, v[0:1]
	s_delay_alu instid0(VALU_DEP_1) | instskip(NEXT) | instid1(VALU_DEP_2)
	v_add_co_u32 v12, vcc_lo, v14, v12
	v_add_co_ci_u32_e32 v13, vcc_lo, v15, v13, vcc_lo
	s_clause 0x1
	flat_load_u16 v16, v[12:13]
	flat_load_u16 v13, v[12:13] offset:128
	s_waitcnt vmcnt(1) lgkmcnt(0)
	v_mul_f16_e32 v12, s11, v16
	s_waitcnt vmcnt(0)
	v_mul_f16_e32 v13, s11, v13
	s_and_b32 vcc_lo, exec_lo, s3
	s_cbranch_vccnz .LBB260_22
.LBB260_19:
	v_lshlrev_b64 v[0:1], 1, v[0:1]
	s_delay_alu instid0(VALU_DEP_1) | instskip(NEXT) | instid1(VALU_DEP_2)
	v_add_co_u32 v0, vcc_lo, v14, v0
	v_add_co_ci_u32_e32 v1, vcc_lo, v15, v1, vcc_lo
	s_clause 0x1
	flat_load_u16 v14, v[0:1] offset:256
	flat_load_u16 v0, v[0:1] offset:384
	s_waitcnt vmcnt(1) lgkmcnt(0)
	v_mul_f16_e32 v14, s11, v14
	s_waitcnt vmcnt(0)
	v_mul_f16_e32 v15, s11, v0
	s_and_b32 vcc_lo, exec_lo, s3
	s_cbranch_vccnz .LBB260_23
.LBB260_20:
	s_waitcnt lgkmcnt(0)
	v_mad_i64_i32 v[0:1], null, v11, s24, 0
	s_delay_alu instid0(VALU_DEP_1) | instskip(NEXT) | instid1(VALU_DEP_1)
	v_lshlrev_b64 v[0:1], 1, v[0:1]
	v_add_co_u32 v0, vcc_lo, s16, v0
	s_delay_alu instid0(VALU_DEP_2) | instskip(NEXT) | instid1(VALU_DEP_2)
	v_add_co_ci_u32_e32 v1, vcc_lo, s17, v1, vcc_lo
	v_add_co_u32 v0, vcc_lo, v0, v10
	s_delay_alu instid0(VALU_DEP_2)
	v_add_co_ci_u32_e32 v1, vcc_lo, 0, v1, vcc_lo
	flat_load_u16 v0, v[0:1] offset:8
	s_waitcnt vmcnt(0) lgkmcnt(0)
	v_mul_f16_e32 v16, s11, v0
	s_branch .LBB260_24
.LBB260_21:
	v_dual_mov_b32 v12, 0 :: v_dual_mov_b32 v13, 0
	s_and_b32 vcc_lo, exec_lo, s3
	s_cbranch_vccz .LBB260_19
.LBB260_22:
	v_dual_mov_b32 v14, 0 :: v_dual_mov_b32 v15, 0
	s_and_b32 vcc_lo, exec_lo, s3
	s_cbranch_vccz .LBB260_20
.LBB260_23:
	v_mov_b32_e32 v16, 0
.LBB260_24:
	v_lshlrev_b32_e32 v0, 1, v8
	v_lshlrev_b32_e32 v40, 3, v39
	;; [unrolled: 1-line block ×3, first 2 shown]
	v_lshl_or_b32 v17, v6, 3, v10
	s_cmp_lt_i32 s10, 9
	v_lshl_add_u32 v42, v9, 3, v0
	v_add_nc_u32_e32 v43, 0x1000, v40
	ds_store_b16 v42, v2
	ds_store_b16 v42, v3 offset:512
	ds_store_b16 v42, v4 offset:1024
	;; [unrolled: 1-line block ×4, first 2 shown]
	s_waitcnt lgkmcnt(0)
	s_barrier
	buffer_gl0_inv
	ds_load_2addr_b64 v[18:21], v41 offset1:32
	ds_load_2addr_b64 v[22:25], v43 offset1:8
	ds_load_2addr_b64 v[26:29], v41 offset0:64 offset1:96
	ds_load_2addr_b64 v[4:7], v41 offset0:128 offset1:160
	;; [unrolled: 1-line block ×5, first 2 shown]
	s_waitcnt lgkmcnt(5)
	v_pk_add_f16 v45, v20, v22
	v_pk_add_f16 v75, v21, v23
	s_waitcnt lgkmcnt(3)
	v_pk_add_f16 v49, v6, v22
	v_pk_add_f16 v44, v18, v22
	s_waitcnt lgkmcnt(2)
	v_pk_add_f16 v51, v2, v22
	v_pk_min_f16 v45, 0x7c00, v45 op_sel_hi:[0,1]
	v_pk_add_f16 v79, v7, v23
	v_pk_add_f16 v46, v26, v22
	;; [unrolled: 1-line block ×4, first 2 shown]
	v_pk_min_f16 v113, v45, v75
	v_pk_min_f16 v45, 0x7c00, v49 op_sel_hi:[0,1]
	v_pk_add_f16 v81, v3, v23
	v_pk_min_f16 v44, 0x7c00, v44 op_sel_hi:[0,1]
	v_pk_add_f16 v50, v0, v22
	v_pk_add_f16 v59, v2, v24
	v_pk_min_f16 v107, v45, v79
	v_pk_min_f16 v45, 0x7c00, v51 op_sel_hi:[0,1]
	s_waitcnt lgkmcnt(1)
	v_pk_add_f16 v60, v18, v30
	v_pk_add_f16 v61, v20, v30
	;; [unrolled: 1-line block ×10, first 2 shown]
	v_pk_min_f16 v114, v44, v74
	v_pk_min_f16 v44, 0x7c00, v46 op_sel_hi:[0,1]
	v_pk_min_f16 v105, v45, v81
	v_pk_min_f16 v45, 0x7c00, v55 op_sel_hi:[0,1]
	v_pk_add_f16 v47, v28, v22
	v_pk_add_f16 v54, v26, v24
	;; [unrolled: 1-line block ×13, first 2 shown]
	v_pk_min_f16 v112, v44, v76
	v_pk_min_f16 v44, 0x7c00, v50 op_sel_hi:[0,1]
	v_pk_min_f16 v101, v45, v85
	v_pk_min_f16 v45, 0x7c00, v59 op_sel_hi:[0,1]
	v_pk_min_f16 v30, 0x7c00, v30 op_sel_hi:[0,1]
	v_pk_add_f16 v52, v18, v24
	v_pk_add_f16 v56, v4, v24
	;; [unrolled: 1-line block ×7, first 2 shown]
	v_pk_min_f16 v46, 0x7c00, v47 op_sel_hi:[0,1]
	v_pk_min_f16 v106, v44, v80
	v_pk_min_f16 v44, 0x7c00, v54 op_sel_hi:[0,1]
	v_pk_min_f16 v97, v45, v89
	v_pk_min_f16 v89, v30, v31
	v_pk_min_f16 v30, 0x7c00, v69 op_sel_hi:[0,1]
	v_pk_add_f16 v57, v6, v24
	v_pk_add_f16 v67, v18, v32
	;; [unrolled: 1-line block ×10, first 2 shown]
	s_waitcnt lgkmcnt(0)
	v_pk_add_f16 v123, v18, v34
	v_pk_min_f16 v111, v46, v77
	v_pk_min_f16 v46, 0x7c00, v52 op_sel_hi:[0,1]
	v_pk_min_f16 v102, v44, v84
	v_pk_min_f16 v44, 0x7c00, v56 op_sel_hi:[0,1]
	v_pk_min_f16 v31, 0x7c00, v70 op_sel_hi:[0,1]
	v_pk_min_f16 v85, v30, v118
	v_pk_min_f16 v30, 0x7c00, v73 op_sel_hi:[0,1]
	v_pk_add_f16 v48, v4, v22
	v_pk_add_f16 v53, v20, v24
	;; [unrolled: 1-line block ×14, first 2 shown]
	ds_load_2addr_b64 v[22:25], v43 offset0:48 offset1:56
	v_pk_add_f16 v136, v19, v35
	v_pk_min_f16 v104, v46, v82
	v_pk_min_f16 v46, 0x7c00, v57 op_sel_hi:[0,1]
	v_pk_min_f16 v100, v44, v86
	v_pk_min_f16 v44, 0x7c00, v60 op_sel_hi:[0,1]
	;; [unrolled: 2-line block ×4, first 2 shown]
	v_pk_add_f16 v124, v20, v34
	v_pk_add_f16 v128, v6, v34
	;; [unrolled: 1-line block ×5, first 2 shown]
	v_pk_min_f16 v99, v46, v87
	v_pk_min_f16 v45, 0x7c00, v61 op_sel_hi:[0,1]
	v_pk_min_f16 v46, 0x7c00, v62 op_sel_hi:[0,1]
	v_pk_min_f16 v96, v44, v90
	v_pk_min_f16 v44, 0x7c00, v64 op_sel_hi:[0,1]
	v_pk_min_f16 v80, v31, v33
	;; [unrolled: 2-line block ×3, first 2 shown]
	v_pk_min_f16 v30, 0x7c00, v127 op_sel_hi:[0,1]
	v_pk_add_f16 v125, v26, v34
	v_pk_add_f16 v129, v0, v34
	;; [unrolled: 1-line block ×8, first 2 shown]
	v_pk_min_f16 v47, 0x7c00, v48 op_sel_hi:[0,1]
	v_pk_min_f16 v95, v45, v91
	v_pk_min_f16 v94, v46, v92
	v_pk_min_f16 v45, 0x7c00, v65 op_sel_hi:[0,1]
	v_pk_min_f16 v92, v44, v108
	v_pk_min_f16 v44, 0x7c00, v66 op_sel_hi:[0,1]
	v_pk_min_f16 v32, 0x7c00, v124 op_sel_hi:[0,1]
	v_pk_min_f16 v76, v31, v139
	v_pk_min_f16 v31, 0x7c00, v128 op_sel_hi:[0,1]
	v_pk_min_f16 v75, v30, v140
	v_pk_min_f16 v30, 0x7c00, v130 op_sel_hi:[0,1]
	v_pk_add_f16 v133, v28, v36
	v_pk_add_f16 v134, v4, v36
	;; [unrolled: 1-line block ×9, first 2 shown]
	v_pk_min_f16 v110, v47, v78
	v_pk_min_f16 v91, v45, v109
	v_pk_min_f16 v45, 0x7c00, v68 op_sel_hi:[0,1]
	v_pk_min_f16 v90, v44, v115
	v_pk_min_f16 v44, 0x7c00, v71 op_sel_hi:[0,1]
	;; [unrolled: 2-line block ×3, first 2 shown]
	v_pk_min_f16 v33, 0x7c00, v34 op_sel_hi:[0,1]
	v_pk_min_f16 v74, v31, v141
	v_pk_min_f16 v31, 0x7c00, v131 op_sel_hi:[0,1]
	v_pk_min_f16 v71, v30, v143
	v_pk_min_f16 v30, 0x7c00, v132 op_sel_hi:[0,1]
	v_pk_add_f16 v36, v2, v36
	v_pk_add_f16 v146, v29, v37
	;; [unrolled: 1-line block ×5, first 2 shown]
	s_waitcnt lgkmcnt(0)
	v_pk_add_f16 v150, v18, v22
	v_pk_add_f16 v151, v20, v22
	v_pk_min_f16 v47, 0x7c00, v53 op_sel_hi:[0,1]
	v_pk_min_f16 v87, v45, v117
	v_pk_min_f16 v45, 0x7c00, v72 op_sel_hi:[0,1]
	v_pk_min_f16 v73, v32, v142
	v_pk_min_f16 v72, v33, v35
	v_pk_min_f16 v32, 0x7c00, v133 op_sel_hi:[0,1]
	v_pk_min_f16 v33, 0x7c00, v134 op_sel_hi:[0,1]
	v_pk_min_f16 v70, v31, v144
	v_pk_min_f16 v31, 0x7c00, v43 op_sel_hi:[0,1]
	v_pk_min_f16 v69, v30, v145
	v_pk_min_f16 v30, 0x7c00, v135 op_sel_hi:[0,1]
	v_pk_add_f16 v37, v3, v37
	v_pk_add_f16 v18, v18, v24
	;; [unrolled: 1-line block ×5, first 2 shown]
	v_pk_min_f16 v103, v47, v83
	v_pk_min_f16 v47, 0x7c00, v58 op_sel_hi:[0,1]
	v_pk_min_f16 v46, 0x7c00, v67 op_sel_hi:[0,1]
	v_pk_min_f16 v68, v32, v146
	v_pk_min_f16 v67, v33, v147
	;; [unrolled: 1-line block ×3, first 2 shown]
	v_pk_min_f16 v31, 0x7c00, v36 op_sel_hi:[0,1]
	v_pk_min_f16 v32, 0x7c00, v150 op_sel_hi:[0,1]
	;; [unrolled: 1-line block ×3, first 2 shown]
	v_pk_min_f16 v65, v30, v149
	v_pk_add_f16 v30, v4, v22
	v_pk_add_f16 v20, v20, v24
	;; [unrolled: 1-line block ×7, first 2 shown]
	v_pk_min_f16 v98, v47, v88
	v_pk_min_f16 v47, 0x7c00, v63 op_sel_hi:[0,1]
	v_pk_min_f16 v64, v31, v37
	v_pk_add_f16 v31, v6, v22
	v_pk_min_f16 v63, v32, v152
	v_pk_add_f16 v32, v0, v22
	v_pk_min_f16 v34, 0x7c00, v154 op_sel_hi:[0,1]
	v_pk_min_f16 v30, 0x7c00, v30 op_sel_hi:[0,1]
	v_pk_min_f16 v62, v33, v153
	v_pk_add_f16 v22, v2, v22
	v_pk_add_f16 v33, v5, v23
	v_pk_min_f16 v18, 0x7c00, v18 op_sel_hi:[0,1]
	v_pk_add_f16 v4, v4, v24
	v_pk_add_f16 v6, v6, v24
	;; [unrolled: 1-line block ×8, first 2 shown]
	v_pk_min_f16 v83, v44, v120
	v_pk_min_f16 v44, 0x7c00, v125 op_sel_hi:[0,1]
	v_pk_min_f16 v35, 0x7c00, v155 op_sel_hi:[0,1]
	;; [unrolled: 1-line block ×4, first 2 shown]
	v_pk_min_f16 v61, v34, v156
	v_pk_add_f16 v34, v7, v23
	v_pk_min_f16 v22, 0x7c00, v22 op_sel_hi:[0,1]
	v_pk_min_f16 v59, v30, v33
	v_pk_add_f16 v30, v1, v23
	v_pk_add_f16 v23, v3, v23
	v_pk_min_f16 v20, 0x7c00, v20 op_sel_hi:[0,1]
	v_pk_min_f16 v26, 0x7c00, v26 op_sel_hi:[0,1]
	v_pk_min_f16 v55, v18, v19
	v_pk_min_f16 v18, 0x7c00, v28 op_sel_hi:[0,1]
	v_pk_min_f16 v4, 0x7c00, v4 op_sel_hi:[0,1]
	;; [unrolled: 1-line block ×5, first 2 shown]
	v_pk_add_f16 v5, v5, v25
	v_pk_add_f16 v7, v7, v25
	;; [unrolled: 1-line block ×4, first 2 shown]
	v_pk_min_f16 v93, v47, v93
	v_pk_min_f16 v88, v46, v116
	;; [unrolled: 1-line block ×15, first 2 shown]
	ds_store_b16 v42, v12 offset:2048
	ds_store_b16 v42, v13 offset:2560
	;; [unrolled: 1-line block ×5, first 2 shown]
	s_waitcnt lgkmcnt(0)
	s_barrier
	buffer_gl0_inv
	s_cbranch_scc1 .LBB260_42
; %bb.25:
	v_mad_i64_i32 v[0:1], null, s24, v11, 0
	v_lshl_or_b32 v2, s14, 8, v9
	s_lshl_b32 s14, s23, 8
	v_add_nc_u32_e32 v3, 12, v8
	v_add_nc_u32_e32 v8, 8, v8
	;; [unrolled: 1-line block ×3, first 2 shown]
	v_subrev_nc_u32_e32 v2, s14, v2
	v_lshlrev_b64 v[0:1], 1, v[0:1]
	v_add_nc_u32_e32 v44, 0x1000, v40
	v_mad_i64_i32 v[4:5], null, v8, s4, 0
	v_add_nc_u32_e32 v45, 0x800, v42
	v_add_nc_u32_e32 v46, 0x1200, v17
	v_add_co_u32 v6, vcc_lo, v0, v10
	v_add_co_ci_u32_e32 v7, vcc_lo, 0, v1, vcc_lo
	v_mad_i64_i32 v[0:1], null, v3, s4, 0
	v_ashrrev_i32_e32 v3, 31, v2
	s_delay_alu instid0(VALU_DEP_4) | instskip(NEXT) | instid1(VALU_DEP_4)
	v_add_co_u32 v6, vcc_lo, v6, s16
	v_add_co_ci_u32_e32 v7, vcc_lo, s17, v7, vcc_lo
	s_delay_alu instid0(VALU_DEP_3) | instskip(NEXT) | instid1(VALU_DEP_3)
	v_lshlrev_b64 v[2:3], 1, v[2:3]
	v_add_co_u32 v32, vcc_lo, v6, 16
	s_delay_alu instid0(VALU_DEP_3) | instskip(SKIP_1) | instid1(VALU_DEP_4)
	v_add_co_ci_u32_e32 v33, vcc_lo, 0, v7, vcc_lo
	v_lshlrev_b64 v[34:35], 1, v[0:1]
	v_add_co_u32 v108, vcc_lo, s12, v2
	v_lshlrev_b64 v[36:37], 1, v[4:5]
	v_lshl_add_u32 v47, v38, 3, 0x800
	v_lshl_add_u32 v86, v39, 3, 0x1200
	v_add_co_ci_u32_e32 v109, vcc_lo, s13, v3, vcc_lo
	s_add_i32 s10, s10, -8
	s_lshl_b64 s[12:13], s[4:5], 4
	s_mov_b32 s5, 0
	s_and_b32 s4, exec_lo, s22
	s_branch .LBB260_28
.LBB260_26:                             ;   in Loop: Header=BB260_28 Depth=1
	flat_load_u16 v0, v[32:33] offset:8
	s_waitcnt vmcnt(0) lgkmcnt(0)
	v_mul_f16_e32 v0, s11, v0
.LBB260_27:                             ;   in Loop: Header=BB260_28 Depth=1
	ds_load_2addr_b64 v[119:122], v41 offset1:32
	ds_load_2addr_b64 v[87:90], v44 offset1:8
	ds_load_2addr_b64 v[123:126], v41 offset0:64 offset1:96
	ds_load_2addr_b64 v[127:130], v41 offset0:128 offset1:160
	ds_load_2addr_b64 v[131:134], v41 offset0:192 offset1:224
	ds_load_2addr_b64 v[135:138], v44 offset0:16 offset1:24
	ds_load_2addr_b64 v[139:142], v44 offset0:32 offset1:40
	ds_load_2addr_b64 v[143:146], v44 offset0:48 offset1:56
	v_pk_max_f16 v11, v83, v83
	v_pk_max_f16 v15, v81, v81
	v_pk_max_f16 v17, v79, v79
	v_pk_max_f16 v19, v78, v78
	v_pk_max_f16 v78, v84, v84
	v_pk_max_f16 v79, v82, v82
	v_pk_max_f16 v70, v70, v70
	v_pk_max_f16 v77, v77, v77
	v_pk_max_f16 v75, v75, v75
	v_pk_max_f16 v74, v74, v74
	v_pk_max_f16 v72, v72, v72
	v_pk_max_f16 v65, v65, v65
	v_pk_max_f16 v73, v73, v73
	s_waitcnt lgkmcnt(6)
	v_pk_add_f16 v81, v119, v87
	v_pk_add_f16 v82, v121, v87
	s_waitcnt lgkmcnt(5)
	v_pk_add_f16 v83, v123, v87
	v_pk_add_f16 v84, v125, v87
	s_waitcnt lgkmcnt(4)
	v_pk_add_f16 v85, v127, v87
	v_pk_min_f16 v11, v11, v81
	v_pk_min_f16 v15, v15, v82
	;; [unrolled: 1-line block ×5, first 2 shown]
	v_pk_add_f16 v81, v119, v89
	v_pk_add_f16 v82, v121, v89
	;; [unrolled: 1-line block ×5, first 2 shown]
	v_pk_min_f16 v70, v70, v81
	v_pk_min_f16 v77, v77, v82
	;; [unrolled: 1-line block ×5, first 2 shown]
	v_pk_add_f16 v81, v129, v89
	s_waitcnt lgkmcnt(3)
	v_pk_add_f16 v82, v131, v89
	v_pk_add_f16 v83, v133, v89
	v_pk_max_f16 v71, v71, v71
	s_waitcnt lgkmcnt(2)
	v_pk_add_f16 v84, v119, v135
	v_pk_max_f16 v69, v69, v69
	v_pk_add_f16 v85, v121, v135
	v_pk_max_f16 v67, v67, v67
	v_pk_min_f16 v65, v65, v81
	v_pk_min_f16 v73, v73, v82
	v_pk_min_f16 v71, v71, v83
	v_pk_min_f16 v69, v69, v84
	v_pk_min_f16 v67, v67, v85
	v_pk_add_f16 v81, v123, v135
	v_pk_max_f16 v60, v60, v60
	v_pk_add_f16 v82, v125, v135
	v_pk_max_f16 v68, v68, v68
	v_pk_add_f16 v83, v127, v135
	v_pk_max_f16 v66, v66, v66
	v_pk_add_f16 v84, v129, v135
	v_pk_max_f16 v64, v64, v64
	v_pk_add_f16 v85, v131, v135
	v_pk_max_f16 v62, v62, v62
	v_pk_min_f16 v60, v60, v81
	v_pk_min_f16 v68, v68, v82
	v_pk_min_f16 v66, v66, v83
	v_pk_min_f16 v64, v64, v84
	v_pk_min_f16 v62, v62, v85
	v_pk_add_f16 v81, v133, v135
	v_pk_max_f16 v55, v55, v55
	v_pk_add_f16 v82, v119, v137
	v_pk_max_f16 v63, v63, v63
	v_pk_add_f16 v83, v121, v137
	v_pk_max_f16 v61, v61, v61
	;; [unrolled: 15-line block ×3, first 2 shown]
	v_pk_add_f16 v84, v133, v137
	v_pk_max_f16 v54, v54, v54
	s_waitcnt lgkmcnt(1)
	v_pk_add_f16 v85, v119, v139
	v_pk_max_f16 v52, v52, v52
	v_pk_min_f16 v50, v50, v81
	v_pk_min_f16 v58, v58, v82
	v_pk_min_f16 v56, v56, v83
	v_pk_min_f16 v54, v54, v84
	v_pk_min_f16 v52, v52, v85
	v_pk_add_f16 v81, v121, v139
	v_pk_max_f16 v29, v29, v29
	v_pk_add_f16 v82, v123, v139
	v_pk_max_f16 v53, v53, v53
	v_pk_add_f16 v83, v125, v139
	v_pk_max_f16 v51, v51, v51
	v_pk_add_f16 v84, v127, v139
	v_pk_max_f16 v49, v49, v49
	v_pk_add_f16 v85, v129, v139
	v_pk_max_f16 v31, v31, v31
	v_pk_min_f16 v29, v29, v81
	v_pk_min_f16 v53, v53, v82
	v_pk_min_f16 v51, v51, v83
	v_pk_min_f16 v49, v49, v84
	v_pk_min_f16 v31, v31, v85
	v_pk_add_f16 v81, v131, v139
	v_pk_max_f16 v24, v24, v24
	v_pk_add_f16 v82, v133, v139
	v_pk_max_f16 v48, v48, v48
	v_pk_add_f16 v83, v119, v141
	v_pk_max_f16 v30, v30, v30
	v_pk_add_f16 v84, v121, v141
	v_pk_max_f16 v28, v28, v28
	;; [unrolled: 15-line block ×3, first 2 shown]
	v_pk_add_f16 v85, v133, v141
	v_pk_max_f16 v21, v21, v21
	v_pk_min_f16 v18, v18, v81
	v_pk_min_f16 v27, v27, v82
	;; [unrolled: 1-line block ×5, first 2 shown]
	s_waitcnt lgkmcnt(0)
	v_pk_add_f16 v81, v119, v143
	v_pk_max_f16 v10, v10, v10
	v_pk_add_f16 v82, v121, v143
	v_pk_max_f16 v22, v22, v22
	;; [unrolled: 2-line block ×5, first 2 shown]
	v_pk_min_f16 v10, v10, v81
	v_pk_min_f16 v22, v22, v82
	;; [unrolled: 1-line block ×5, first 2 shown]
	v_pk_add_f16 v81, v129, v143
	v_pk_max_f16 v6, v6, v6
	v_pk_add_f16 v82, v131, v143
	v_pk_max_f16 v13, v13, v13
	;; [unrolled: 2-line block ×5, first 2 shown]
	v_pk_min_f16 v6, v6, v81
	v_pk_min_f16 v13, v13, v82
	v_pk_min_f16 v12, v12, v83
	v_pk_min_f16 v9, v9, v84
	v_pk_min_f16 v8, v8, v85
	v_pk_add_f16 v81, v123, v145
	v_pk_max_f16 v2, v2, v2
	v_pk_add_f16 v82, v125, v145
	v_pk_max_f16 v7, v7, v7
	;; [unrolled: 2-line block ×5, first 2 shown]
	v_pk_max_f16 v80, v80, v80
	v_pk_add_f16 v91, v129, v87
	v_pk_add_f16 v92, v131, v87
	;; [unrolled: 1-line block ×3, first 2 shown]
	v_pk_max_f16 v76, v76, v76
	v_pk_min_f16 v2, v2, v81
	v_pk_min_f16 v7, v7, v82
	v_pk_min_f16 v5, v5, v83
	v_pk_min_f16 v4, v4, v84
	v_pk_min_f16 v3, v3, v85
	v_pk_add_f16 v81, v133, v145
	v_pk_max_f16 v1, v1, v1
	v_pk_add_f16 v82, v120, v88
	v_pk_add_f16 v83, v122, v88
	;; [unrolled: 1-line block ×4, first 2 shown]
	v_pk_min_f16 v79, v79, v91
	v_pk_min_f16 v80, v80, v92
	v_pk_min_f16 v76, v76, v87
	v_pk_min_f16 v1, v1, v81
	v_pk_min_f16 v114, v11, v82
	v_pk_min_f16 v113, v15, v83
	v_pk_min_f16 v112, v17, v84
	v_pk_min_f16 v111, v19, v85
	v_pk_add_f16 v11, v128, v88
	v_pk_add_f16 v15, v130, v88
	v_pk_add_f16 v17, v132, v88
	v_pk_add_f16 v19, v134, v88
	v_pk_add_f16 v81, v120, v90
	v_pk_min_f16 v110, v78, v11
	v_pk_min_f16 v107, v79, v15
	v_pk_min_f16 v106, v80, v17
	v_pk_min_f16 v105, v76, v19
	v_pk_min_f16 v104, v70, v81
	v_pk_add_f16 v11, v122, v90
	v_pk_add_f16 v15, v124, v90
	v_pk_add_f16 v17, v126, v90
	v_pk_add_f16 v19, v128, v90
	v_pk_add_f16 v70, v130, v90
	v_pk_min_f16 v103, v77, v11
	v_pk_min_f16 v102, v75, v15
	v_pk_min_f16 v101, v74, v17
	v_pk_min_f16 v100, v72, v19
	v_pk_min_f16 v99, v65, v70
	;; [unrolled: 10-line block ×11, first 2 shown]
	v_pk_add_f16 v2, v126, v146
	v_pk_add_f16 v6, v128, v146
	;; [unrolled: 1-line block ×5, first 2 shown]
	v_add_co_u32 v32, vcc_lo, v32, 16
	v_add_co_ci_u32_e32 v33, vcc_lo, 0, v33, vcc_lo
	v_add_co_u32 v108, vcc_lo, v108, s12
	v_pk_min_f16 v52, v7, v2
	v_pk_min_f16 v51, v5, v6
	;; [unrolled: 1-line block ×5, first 2 shown]
	v_add_co_ci_u32_e32 v109, vcc_lo, s13, v109, vcc_lo
	s_add_i32 s5, s5, 8
	ds_store_b16 v45, v115
	ds_store_b16 v45, v116 offset:512
	ds_store_b16 v45, v117 offset:1024
	ds_store_b16 v45, v118 offset:1536
	ds_store_b16 v46, v0
	s_cmp_ge_i32 s5, s10
	s_waitcnt lgkmcnt(0)
	s_barrier
	buffer_gl0_inv
	s_cbranch_scc1 .LBB260_42
.LBB260_28:                             ; =>This Inner Loop Header: Depth=1
	s_and_b32 vcc_lo, exec_lo, s3
	s_cbranch_vccnz .LBB260_32
; %bb.29:                               ;   in Loop: Header=BB260_28 Depth=1
	v_add_co_u32 v0, vcc_lo, v108, v36
	v_add_co_ci_u32_e32 v1, vcc_lo, v109, v37, vcc_lo
	s_clause 0x1
	flat_load_u16 v2, v[0:1]
	flat_load_u16 v0, v[0:1] offset:128
	s_waitcnt vmcnt(1) lgkmcnt(1)
	v_mul_f16_e32 v115, s11, v2
	s_waitcnt vmcnt(0) lgkmcnt(0)
	v_mul_f16_e32 v116, s11, v0
	s_and_b32 vcc_lo, exec_lo, s3
	s_cbranch_vccnz .LBB260_33
.LBB260_30:                             ;   in Loop: Header=BB260_28 Depth=1
	v_add_co_u32 v0, vcc_lo, v108, v36
	v_add_co_ci_u32_e32 v1, vcc_lo, v109, v37, vcc_lo
	s_clause 0x1
	flat_load_u16 v2, v[0:1] offset:256
	flat_load_u16 v0, v[0:1] offset:384
	s_waitcnt vmcnt(1) lgkmcnt(1)
	v_mul_f16_e32 v117, s11, v2
	s_waitcnt vmcnt(0) lgkmcnt(0)
	v_mul_f16_e32 v118, s11, v0
	s_and_b32 vcc_lo, exec_lo, s3
	s_cbranch_vccnz .LBB260_34
.LBB260_31:                             ;   in Loop: Header=BB260_28 Depth=1
	flat_load_u16 v0, v[32:33]
	s_waitcnt vmcnt(0) lgkmcnt(0)
	v_mul_f16_e32 v119, s11, v0
	s_branch .LBB260_35
.LBB260_32:                             ;   in Loop: Header=BB260_28 Depth=1
	v_dual_mov_b32 v115, 0 :: v_dual_mov_b32 v116, 0
	s_and_b32 vcc_lo, exec_lo, s3
	s_cbranch_vccz .LBB260_30
.LBB260_33:                             ;   in Loop: Header=BB260_28 Depth=1
	v_dual_mov_b32 v117, 0 :: v_dual_mov_b32 v118, 0
	s_and_b32 vcc_lo, exec_lo, s3
	s_cbranch_vccz .LBB260_31
.LBB260_34:                             ;   in Loop: Header=BB260_28 Depth=1
	v_mov_b32_e32 v119, 0
.LBB260_35:                             ;   in Loop: Header=BB260_28 Depth=1
	ds_load_2addr_b64 v[12:15], v47 offset1:32
	ds_load_2addr_b64 v[8:11], v47 offset0:64 offset1:96
	ds_load_2addr_b64 v[4:7], v47 offset0:128 offset1:160
	ds_load_2addr_b64 v[0:3], v47 offset0:192 offset1:224
	ds_load_2addr_b64 v[28:31], v86 offset1:8
	ds_load_2addr_b64 v[24:27], v86 offset0:16 offset1:24
	ds_load_2addr_b64 v[20:23], v86 offset0:32 offset1:40
	;; [unrolled: 1-line block ×3, first 2 shown]
	s_mov_b32 vcc_lo, s4
	ds_store_b16 v42, v115
	ds_store_b16 v42, v116 offset:512
	ds_store_b16 v42, v117 offset:1024
	;; [unrolled: 1-line block ×3, first 2 shown]
	ds_store_b16 v43, v119
	s_waitcnt lgkmcnt(0)
	s_barrier
	buffer_gl0_inv
	s_cbranch_vccz .LBB260_38
; %bb.36:                               ;   in Loop: Header=BB260_28 Depth=1
	v_add_co_u32 v115, vcc_lo, v108, v34
	v_add_co_ci_u32_e32 v116, vcc_lo, v109, v35, vcc_lo
	s_clause 0x1
	flat_load_u16 v117, v[115:116]
	flat_load_u16 v116, v[115:116] offset:128
	s_waitcnt vmcnt(1) lgkmcnt(1)
	v_mul_f16_e32 v115, s11, v117
	s_waitcnt vmcnt(0) lgkmcnt(0)
	v_mul_f16_e32 v116, s11, v116
	s_and_b32 vcc_lo, exec_lo, s3
	s_cbranch_vccnz .LBB260_39
.LBB260_37:                             ;   in Loop: Header=BB260_28 Depth=1
	v_add_co_u32 v117, vcc_lo, v108, v34
	v_add_co_ci_u32_e32 v118, vcc_lo, v109, v35, vcc_lo
	s_clause 0x1
	flat_load_u16 v119, v[117:118] offset:256
	flat_load_u16 v118, v[117:118] offset:384
	s_waitcnt vmcnt(1) lgkmcnt(1)
	v_mul_f16_e32 v117, s11, v119
	s_waitcnt vmcnt(0) lgkmcnt(0)
	v_mul_f16_e32 v118, s11, v118
	s_branch .LBB260_40
.LBB260_38:                             ;   in Loop: Header=BB260_28 Depth=1
	v_dual_mov_b32 v115, 0 :: v_dual_mov_b32 v116, 0
	s_and_b32 vcc_lo, exec_lo, s3
	s_cbranch_vccz .LBB260_37
.LBB260_39:                             ;   in Loop: Header=BB260_28 Depth=1
	v_dual_mov_b32 v117, 0 :: v_dual_mov_b32 v118, 0
.LBB260_40:                             ;   in Loop: Header=BB260_28 Depth=1
	v_pk_add_f16 v119, v12, v28
	v_pk_max_f16 v114, v114, v114
	v_pk_add_f16 v120, v14, v28
	v_pk_max_f16 v113, v113, v113
	;; [unrolled: 2-line block ×3, first 2 shown]
	v_pk_min_f16 v114, v114, v119
	v_pk_add_f16 v119, v10, v28
	v_pk_min_f16 v113, v113, v120
	v_pk_max_f16 v111, v111, v111
	v_pk_min_f16 v112, v112, v121
	v_pk_add_f16 v120, v4, v28
	v_pk_max_f16 v110, v110, v110
	v_pk_add_f16 v121, v6, v28
	v_pk_add_f16 v122, v0, v28
	;; [unrolled: 1-line block ×3, first 2 shown]
	v_pk_max_f16 v105, v105, v105
	v_pk_max_f16 v107, v107, v107
	;; [unrolled: 1-line block ×3, first 2 shown]
	v_pk_min_f16 v111, v111, v119
	v_pk_min_f16 v110, v110, v120
	;; [unrolled: 1-line block ×3, first 2 shown]
	v_pk_add_f16 v105, v12, v30
	v_pk_max_f16 v104, v104, v104
	v_pk_add_f16 v119, v14, v30
	v_pk_max_f16 v103, v103, v103
	;; [unrolled: 2-line block ×3, first 2 shown]
	v_pk_min_f16 v107, v107, v121
	v_pk_min_f16 v106, v106, v122
	v_pk_add_f16 v121, v10, v30
	v_pk_max_f16 v101, v101, v101
	v_pk_add_f16 v122, v4, v30
	v_pk_min_f16 v104, v104, v105
	v_pk_min_f16 v103, v103, v119
	;; [unrolled: 1-line block ×3, first 2 shown]
	v_pk_add_f16 v105, v6, v30
	v_pk_max_f16 v99, v99, v99
	v_pk_add_f16 v119, v0, v30
	v_pk_add_f16 v30, v2, v30
	v_pk_max_f16 v97, v97, v97
	v_pk_add_f16 v120, v12, v24
	v_pk_max_f16 v96, v96, v96
	v_pk_min_f16 v101, v101, v121
	v_pk_max_f16 v98, v98, v98
	v_pk_add_f16 v121, v14, v24
	v_pk_max_f16 v95, v95, v95
	v_pk_min_f16 v99, v99, v105
	v_pk_min_f16 v30, v97, v30
	;; [unrolled: 1-line block ×3, first 2 shown]
	v_pk_add_f16 v97, v8, v24
	v_pk_max_f16 v94, v94, v94
	v_pk_add_f16 v105, v10, v24
	v_pk_max_f16 v93, v93, v93
	v_pk_add_f16 v120, v6, v24
	v_pk_max_f16 v91, v91, v91
	v_pk_min_f16 v98, v98, v119
	v_pk_min_f16 v95, v95, v121
	v_pk_add_f16 v119, v4, v24
	v_pk_max_f16 v92, v92, v92
	v_pk_add_f16 v121, v0, v24
	v_pk_min_f16 v94, v94, v97
	v_pk_min_f16 v93, v93, v105
	;; [unrolled: 1-line block ×3, first 2 shown]
	v_pk_add_f16 v24, v2, v24
	v_pk_max_f16 v89, v89, v89
	v_pk_add_f16 v97, v12, v26
	v_pk_max_f16 v88, v88, v88
	;; [unrolled: 2-line block ×4, first 2 shown]
	v_pk_min_f16 v92, v92, v119
	v_pk_add_f16 v119, v8, v26
	v_pk_max_f16 v85, v85, v85
	v_pk_min_f16 v24, v89, v24
	v_pk_min_f16 v88, v88, v97
	;; [unrolled: 1-line block ×4, first 2 shown]
	v_pk_add_f16 v84, v4, v26
	v_pk_max_f16 v83, v83, v83
	v_pk_add_f16 v97, v6, v26
	v_pk_max_f16 v82, v82, v82
	;; [unrolled: 2-line block ×4, first 2 shown]
	v_pk_max_f16 v100, v100, v100
	v_pk_min_f16 v85, v85, v119
	v_pk_add_f16 v119, v12, v20
	v_pk_max_f16 v79, v79, v79
	v_pk_min_f16 v120, v83, v84
	v_pk_min_f16 v97, v82, v97
	;; [unrolled: 1-line block ×4, first 2 shown]
	v_pk_add_f16 v80, v8, v20
	v_pk_max_f16 v77, v77, v77
	v_pk_add_f16 v81, v10, v20
	v_pk_max_f16 v76, v76, v76
	;; [unrolled: 2-line block ×4, first 2 shown]
	v_pk_min_f16 v100, v100, v122
	v_pk_min_f16 v119, v79, v119
	v_pk_add_f16 v79, v14, v20
	v_pk_min_f16 v122, v77, v80
	v_pk_min_f16 v123, v76, v81
	v_pk_min_f16 v124, v75, v82
	v_pk_min_f16 v125, v74, v83
	v_pk_add_f16 v74, v0, v20
	v_pk_add_f16 v20, v2, v20
	v_pk_max_f16 v72, v72, v72
	v_pk_add_f16 v75, v12, v22
	v_pk_max_f16 v71, v71, v71
	;; [unrolled: 2-line block ×4, first 2 shown]
	v_pk_min_f16 v20, v72, v20
	v_pk_min_f16 v127, v71, v75
	;; [unrolled: 1-line block ×3, first 2 shown]
	v_pk_max_f16 v68, v68, v68
	v_pk_min_f16 v129, v69, v77
	v_pk_add_f16 v69, v10, v22
	v_pk_add_f16 v70, v4, v22
	;; [unrolled: 1-line block ×5, first 2 shown]
	v_pk_max_f16 v64, v64, v64
	v_pk_max_f16 v67, v67, v67
	v_pk_max_f16 v66, v66, v66
	v_pk_max_f16 v65, v65, v65
	v_pk_min_f16 v130, v68, v69
	v_pk_min_f16 v22, v64, v22
	v_pk_add_f16 v64, v12, v16
	v_pk_add_f16 v68, v4, v16
	v_pk_max_f16 v59, v59, v59
	v_pk_add_f16 v12, v12, v18
	v_pk_max_f16 v55, v55, v55
	v_pk_min_f16 v131, v67, v70
	v_pk_min_f16 v132, v66, v71
	;; [unrolled: 1-line block ×3, first 2 shown]
	v_pk_add_f16 v65, v14, v16
	v_pk_add_f16 v66, v8, v16
	;; [unrolled: 1-line block ×3, first 2 shown]
	v_pk_max_f16 v60, v60, v60
	v_pk_min_f16 v138, v59, v68
	v_pk_add_f16 v59, v6, v16
	v_pk_add_f16 v14, v14, v18
	v_pk_max_f16 v54, v54, v54
	v_pk_min_f16 v142, v55, v12
	v_pk_add_f16 v8, v8, v18
	v_pk_max_f16 v12, v53, v53
	v_pk_add_f16 v6, v6, v18
	v_pk_max_f16 v50, v50, v50
	v_pk_min_f16 v137, v60, v67
	v_pk_add_f16 v60, v0, v16
	v_pk_add_f16 v16, v2, v16
	v_pk_min_f16 v143, v54, v14
	v_pk_add_f16 v10, v10, v18
	v_pk_max_f16 v14, v52, v52
	v_pk_min_f16 v144, v12, v8
	v_pk_min_f16 v146, v50, v6
	v_pk_add_f16 v2, v2, v18
	v_pk_max_f16 v6, v48, v48
	v_pk_add_f16 v8, v13, v29
	v_pk_max_f16 v90, v90, v90
	v_pk_max_f16 v78, v78, v78
	v_pk_min_f16 v145, v14, v10
	v_pk_add_f16 v10, v15, v29
	v_pk_add_f16 v12, v9, v29
	v_pk_min_f16 v147, v6, v2
	v_pk_min_f16 v83, v114, v8
	v_pk_add_f16 v2, v5, v29
	v_pk_add_f16 v8, v1, v29
	v_pk_min_f16 v90, v90, v121
	v_pk_min_f16 v121, v78, v79
	v_pk_max_f16 v73, v73, v73
	v_pk_min_f16 v81, v113, v10
	v_pk_min_f16 v79, v112, v12
	v_pk_add_f16 v6, v7, v29
	v_pk_add_f16 v10, v3, v29
	;; [unrolled: 1-line block ×3, first 2 shown]
	v_pk_min_f16 v84, v110, v2
	v_pk_min_f16 v80, v106, v8
	v_pk_add_f16 v2, v15, v31
	v_pk_add_f16 v8, v11, v31
	v_pk_min_f16 v126, v73, v74
	v_pk_max_f16 v62, v62, v62
	v_pk_min_f16 v82, v107, v6
	v_pk_min_f16 v76, v28, v10
	;; [unrolled: 1-line block ×3, first 2 shown]
	v_pk_add_f16 v6, v9, v31
	v_pk_add_f16 v10, v5, v31
	;; [unrolled: 1-line block ×3, first 2 shown]
	v_pk_min_f16 v77, v103, v2
	v_pk_min_f16 v74, v101, v8
	v_pk_add_f16 v2, v1, v31
	v_pk_add_f16 v8, v13, v25
	v_pk_max_f16 v63, v63, v63
	v_pk_min_f16 v135, v62, v65
	v_pk_max_f16 v57, v57, v57
	v_pk_min_f16 v75, v102, v6
	v_pk_min_f16 v72, v100, v10
	v_pk_min_f16 v65, v99, v12
	v_pk_add_f16 v6, v3, v31
	v_pk_add_f16 v10, v15, v25
	;; [unrolled: 1-line block ×3, first 2 shown]
	v_pk_min_f16 v73, v98, v2
	v_pk_min_f16 v69, v96, v8
	v_pk_add_f16 v2, v11, v25
	v_pk_add_f16 v8, v7, v25
	v_pk_max_f16 v61, v61, v61
	v_pk_min_f16 v134, v63, v64
	v_pk_max_f16 v58, v58, v58
	v_pk_min_f16 v140, v57, v60
	v_pk_min_f16 v71, v30, v6
	;; [unrolled: 1-line block ×4, first 2 shown]
	v_pk_add_f16 v6, v5, v25
	v_pk_add_f16 v10, v1, v25
	;; [unrolled: 1-line block ×3, first 2 shown]
	v_pk_min_f16 v68, v93, v2
	v_pk_min_f16 v64, v91, v8
	v_pk_add_f16 v2, v13, v27
	v_pk_add_f16 v8, v9, v27
	v_pk_min_f16 v136, v61, v66
	v_pk_min_f16 v139, v58, v59
	;; [unrolled: 1-line block ×5, first 2 shown]
	v_pk_add_f16 v6, v15, v27
	v_pk_add_f16 v10, v11, v27
	;; [unrolled: 1-line block ×3, first 2 shown]
	v_pk_min_f16 v63, v88, v2
	v_pk_min_f16 v59, v85, v8
	v_pk_add_f16 v2, v7, v27
	v_pk_add_f16 v8, v3, v27
	v_pk_max_f16 v56, v56, v56
	v_pk_add_f16 v0, v0, v18
	v_pk_max_f16 v49, v49, v49
	v_pk_min_f16 v61, v87, v6
	v_pk_min_f16 v57, v89, v10
	;; [unrolled: 1-line block ×3, first 2 shown]
	v_pk_add_f16 v6, v1, v27
	v_pk_add_f16 v10, v13, v21
	;; [unrolled: 1-line block ×3, first 2 shown]
	v_pk_min_f16 v58, v97, v2
	v_pk_min_f16 v54, v26, v8
	v_pk_add_f16 v2, v9, v21
	v_pk_add_f16 v8, v5, v21
	v_pk_min_f16 v141, v56, v16
	v_pk_min_f16 v0, v49, v0
	v_pk_add_f16 v14, v11, v29
	v_pk_min_f16 v56, v105, v6
	v_pk_min_f16 v52, v119, v10
	;; [unrolled: 1-line block ×3, first 2 shown]
	v_pk_add_f16 v6, v11, v21
	v_pk_add_f16 v10, v7, v21
	;; [unrolled: 1-line block ×3, first 2 shown]
	v_pk_min_f16 v53, v122, v2
	v_pk_min_f16 v49, v124, v8
	v_pk_add_f16 v2, v3, v21
	v_pk_add_f16 v8, v15, v23
	v_pk_max_f16 v16, v51, v51
	v_pk_min_f16 v51, v123, v6
	v_pk_min_f16 v31, v125, v10
	;; [unrolled: 1-line block ×3, first 2 shown]
	v_pk_add_f16 v6, v13, v23
	v_pk_add_f16 v10, v9, v23
	;; [unrolled: 1-line block ×3, first 2 shown]
	v_pk_min_f16 v48, v20, v2
	v_pk_min_f16 v28, v128, v8
	v_pk_add_f16 v2, v5, v23
	v_pk_add_f16 v8, v1, v23
	;; [unrolled: 1-line block ×3, first 2 shown]
	v_pk_min_f16 v30, v127, v6
	v_pk_min_f16 v26, v129, v10
	;; [unrolled: 1-line block ×3, first 2 shown]
	v_pk_add_f16 v6, v7, v23
	v_pk_add_f16 v10, v3, v23
	;; [unrolled: 1-line block ×3, first 2 shown]
	v_pk_min_f16 v27, v131, v2
	v_pk_min_f16 v23, v133, v8
	v_pk_add_f16 v2, v15, v17
	v_pk_add_f16 v8, v11, v17
	v_pk_min_f16 v4, v16, v4
	v_pk_min_f16 v25, v132, v6
	;; [unrolled: 1-line block ×4, first 2 shown]
	v_pk_add_f16 v6, v9, v17
	v_pk_add_f16 v12, v5, v17
	v_pk_add_f16 v85, v7, v17
	v_pk_min_f16 v22, v135, v2
	v_pk_min_f16 v16, v137, v8
	v_pk_add_f16 v2, v1, v17
	v_pk_add_f16 v8, v3, v17
	;; [unrolled: 1-line block ×4, first 2 shown]
	v_pk_min_f16 v78, v111, v14
	v_pk_min_f16 v20, v136, v6
	;; [unrolled: 1-line block ×4, first 2 shown]
	v_pk_add_f16 v85, v9, v19
	v_pk_min_f16 v12, v141, v8
	v_pk_min_f16 v9, v142, v17
	;; [unrolled: 1-line block ×3, first 2 shown]
	v_pk_add_f16 v11, v11, v19
	v_pk_add_f16 v5, v5, v19
	v_pk_add_f16 v15, v7, v19
	v_pk_add_f16 v1, v1, v19
	v_pk_add_f16 v17, v3, v19
	v_pk_min_f16 v13, v140, v2
	v_pk_min_f16 v2, v144, v85
	;; [unrolled: 1-line block ×7, first 2 shown]
	s_and_b32 vcc_lo, exec_lo, s3
	s_cbranch_vccz .LBB260_26
; %bb.41:                               ;   in Loop: Header=BB260_28 Depth=1
	v_mov_b32_e32 v0, 0
	s_branch .LBB260_27
.LBB260_42:
	s_load_b32 s4, s[0:1], 0x50
	v_add_nc_u32_e32 v86, s21, v39
	ds_load_b64 v[28:29], v41 offset:2048
	ds_load_b64 v[46:47], v40 offset:4608
	v_add_nc_u32_e32 v44, s20, v38
	v_cmp_neq_f16_e64 s10, s18, 0
	v_mov_b32_e32 v34, 0
	v_mov_b32_e32 v32, 0
	s_delay_alu instid0(VALU_DEP_4) | instskip(NEXT) | instid1(VALU_DEP_4)
	v_ashrrev_i32_e32 v45, 31, v44
	s_and_b32 vcc_lo, exec_lo, s10
	s_delay_alu instid0(VALU_DEP_1) | instskip(SKIP_2) | instid1(VALU_DEP_1)
	v_lshlrev_b64 v[30:31], 1, v[44:45]
	s_waitcnt lgkmcnt(0)
	v_mad_i64_i32 v[0:1], null, v86, s4, 0
	v_lshlrev_b64 v[0:1], 1, v[0:1]
	s_delay_alu instid0(VALU_DEP_1) | instskip(NEXT) | instid1(VALU_DEP_1)
	v_add_co_u32 v108, s3, s8, v0
	v_add_co_ci_u32_e64 v109, s3, s9, v1, s3
	s_cbranch_vccz .LBB260_44
; %bb.43:
	s_delay_alu instid0(VALU_DEP_2) | instskip(NEXT) | instid1(VALU_DEP_2)
	v_add_co_u32 v0, vcc_lo, v108, v30
	v_add_co_ci_u32_e32 v1, vcc_lo, v109, v31, vcc_lo
	flat_load_u16 v0, v[0:1]
	s_waitcnt vmcnt(0) lgkmcnt(0)
	v_mul_f16_e32 v32, s18, v0
.LBB260_44:
	s_clause 0x1
	s_load_b32 s3, s[0:1], 0x68
	s_load_b64 s[0:1], s[0:1], 0x70
	v_add_nc_u32_e32 v0, 0x800, v41
	v_pk_add_f16 v13, v28, v46
	v_pk_max_f16 v14, v114, v114
	v_add_nc_u32_e32 v12, 0x1000, v40
	ds_load_b64 v[24:25], v41 offset:3840
	ds_load_b64 v[26:27], v40 offset:5056
	ds_load_2addr_b64 v[8:11], v0 offset0:32 offset1:64
	ds_load_2addr_b64 v[4:7], v0 offset0:96 offset1:128
	;; [unrolled: 1-line block ×5, first 2 shown]
	v_pk_add_f16 v33, v29, v47
	v_pk_min_f16 v40, v14, v13
	ds_load_2addr_b64 v[12:15], v12 offset0:104 offset1:112
	v_add_nc_u32_e32 v35, 32, v44
	v_cndmask_b32_e64 v39, 0, 1, s10
	v_pk_min_f16 v33, v40, v33
	s_delay_alu instid0(VALU_DEP_3) | instskip(NEXT) | instid1(VALU_DEP_2)
	v_ashrrev_i32_e32 v36, 31, v35
	v_lshrrev_b32_e32 v40, 16, v33
	s_waitcnt lgkmcnt(0)
	v_mad_i64_i32 v[37:38], null, v86, s3, 0
	s_mul_i32 s1, s15, s1
	s_mul_hi_u32 s5, s15, s0
	s_mul_i32 s11, s19, s0
	s_add_i32 s1, s5, s1
	s_mul_i32 s0, s15, s0
	s_add_i32 s1, s1, s11
	s_delay_alu instid0(VALU_DEP_1)
	v_lshlrev_b64 v[37:38], 1, v[37:38]
	s_lshl_b64 s[12:13], s[0:1], 1
	v_min3_f16 v40, v32, v33, v40
	s_add_u32 s1, s6, s12
	s_addc_u32 s5, s7, s13
	v_lshlrev_b64 v[32:33], 1, v[35:36]
	v_add_co_u32 v114, vcc_lo, s1, v37
	v_add_co_ci_u32_e32 v115, vcc_lo, s5, v38, vcc_lo
	v_cmp_ne_u32_e64 s0, 1, v39
	s_delay_alu instid0(VALU_DEP_3) | instskip(NEXT) | instid1(VALU_DEP_3)
	v_add_co_u32 v37, vcc_lo, v114, v30
	v_add_co_ci_u32_e32 v38, vcc_lo, v115, v31, vcc_lo
	s_and_not1_b32 vcc_lo, exec_lo, s10
	global_store_b16 v[37:38], v40, off
	s_cbranch_vccnz .LBB260_46
; %bb.45:
	v_add_co_u32 v34, vcc_lo, v108, v32
	v_add_co_ci_u32_e32 v35, vcc_lo, v109, v33, vcc_lo
	flat_load_u16 v34, v[34:35]
	s_waitcnt vmcnt(0) lgkmcnt(0)
	v_mul_f16_e32 v34, s18, v34
.LBB260_46:
	v_pk_add_f16 v35, v8, v46
	v_pk_max_f16 v36, v113, v113
	v_pk_add_f16 v37, v9, v47
	v_add_co_u32 v38, vcc_lo, v114, v32
	v_add_co_ci_u32_e32 v39, vcc_lo, v115, v33, vcc_lo
	s_delay_alu instid0(VALU_DEP_4) | instskip(SKIP_2) | instid1(VALU_DEP_2)
	v_pk_min_f16 v36, v36, v35
	v_add_nc_u32_e32 v35, 64, v44
	s_and_b32 vcc_lo, exec_lo, s0
	v_pk_min_f16 v40, v36, v37
	s_delay_alu instid0(VALU_DEP_2) | instskip(SKIP_1) | instid1(VALU_DEP_3)
	v_ashrrev_i32_e32 v36, 31, v35
	v_mov_b32_e32 v37, 0
	v_lshrrev_b32_e32 v41, 16, v40
	s_delay_alu instid0(VALU_DEP_1) | instskip(NEXT) | instid1(VALU_DEP_4)
	v_min3_f16 v40, v34, v40, v41
	v_lshlrev_b64 v[34:35], 1, v[35:36]
	v_mov_b32_e32 v36, 0
	global_store_b16 v[38:39], v40, off
	s_cbranch_vccnz .LBB260_48
; %bb.47:
	v_add_co_u32 v38, vcc_lo, v108, v34
	v_add_co_ci_u32_e32 v39, vcc_lo, v109, v35, vcc_lo
	flat_load_u16 v36, v[38:39]
	s_waitcnt vmcnt(0) lgkmcnt(0)
	v_mul_f16_e32 v36, s18, v36
.LBB260_48:
	v_pk_add_f16 v38, v10, v46
	v_pk_max_f16 v39, v112, v112
	v_pk_add_f16 v40, v11, v47
	v_add_co_u32 v42, vcc_lo, v114, v34
	v_add_co_ci_u32_e32 v43, vcc_lo, v115, v35, vcc_lo
	s_delay_alu instid0(VALU_DEP_4) | instskip(SKIP_2) | instid1(VALU_DEP_2)
	v_pk_min_f16 v39, v39, v38
	v_add_nc_u32_e32 v38, 0x60, v44
	s_and_b32 vcc_lo, exec_lo, s0
	v_pk_min_f16 v40, v39, v40
	s_delay_alu instid0(VALU_DEP_2) | instskip(NEXT) | instid1(VALU_DEP_2)
	v_ashrrev_i32_e32 v39, 31, v38
	v_lshrrev_b32_e32 v41, 16, v40
	s_delay_alu instid0(VALU_DEP_1) | instskip(NEXT) | instid1(VALU_DEP_3)
	v_min3_f16 v36, v36, v40, v41
	v_lshlrev_b64 v[40:41], 1, v[38:39]
	global_store_b16 v[42:43], v36, off
	s_cbranch_vccnz .LBB260_50
; %bb.49:
	v_add_co_u32 v36, vcc_lo, v108, v40
	v_add_co_ci_u32_e32 v37, vcc_lo, v109, v41, vcc_lo
	flat_load_u16 v36, v[36:37]
	s_waitcnt vmcnt(0) lgkmcnt(0)
	v_mul_f16_e32 v37, s18, v36
.LBB260_50:
	v_pk_add_f16 v36, v4, v46
	v_pk_max_f16 v38, v111, v111
	v_pk_add_f16 v39, v5, v47
	v_add_co_u32 v111, vcc_lo, v114, v40
	v_add_co_ci_u32_e32 v112, vcc_lo, v115, v41, vcc_lo
	s_delay_alu instid0(VALU_DEP_4) | instskip(SKIP_2) | instid1(VALU_DEP_2)
	v_pk_min_f16 v36, v38, v36
	v_add_nc_u32_e32 v38, 0x80, v44
	s_and_b32 vcc_lo, exec_lo, s0
	v_pk_min_f16 v42, v36, v39
	v_mov_b32_e32 v36, 0
	s_delay_alu instid0(VALU_DEP_2) | instskip(NEXT) | instid1(VALU_DEP_1)
	v_lshrrev_b32_e32 v43, 16, v42
	v_min3_f16 v45, v37, v42, v43
	v_mov_b32_e32 v37, 0
	v_ashrrev_i32_e32 v39, 31, v38
	global_store_b16 v[111:112], v45, off
	v_lshlrev_b64 v[42:43], 1, v[38:39]
	s_cbranch_vccnz .LBB260_52
; %bb.51:
	s_delay_alu instid0(VALU_DEP_1) | instskip(NEXT) | instid1(VALU_DEP_2)
	v_add_co_u32 v37, vcc_lo, v108, v42
	v_add_co_ci_u32_e32 v38, vcc_lo, v109, v43, vcc_lo
	flat_load_u16 v37, v[37:38]
	s_waitcnt vmcnt(0) lgkmcnt(0)
	v_mul_f16_e32 v37, s18, v37
.LBB260_52:
	v_pk_add_f16 v38, v6, v46
	v_pk_max_f16 v39, v110, v110
	v_pk_add_f16 v45, v7, v47
	s_delay_alu instid0(VALU_DEP_4) | instskip(SKIP_1) | instid1(VALU_DEP_4)
	v_add_co_u32 v110, vcc_lo, v114, v42
	v_add_co_ci_u32_e32 v111, vcc_lo, v115, v43, vcc_lo
	v_pk_min_f16 v39, v39, v38
	v_add_nc_u32_e32 v38, 0xa0, v44
	s_and_b32 vcc_lo, exec_lo, s0
	s_delay_alu instid0(VALU_DEP_2) | instskip(NEXT) | instid1(VALU_DEP_2)
	v_pk_min_f16 v45, v39, v45
	v_ashrrev_i32_e32 v39, 31, v38
	s_delay_alu instid0(VALU_DEP_2) | instskip(NEXT) | instid1(VALU_DEP_2)
	v_lshrrev_b32_e32 v112, 16, v45
	v_lshlrev_b64 v[38:39], 1, v[38:39]
	s_delay_alu instid0(VALU_DEP_2)
	v_min3_f16 v37, v37, v45, v112
	global_store_b16 v[110:111], v37, off
	s_cbranch_vccnz .LBB260_54
; %bb.53:
	v_add_co_u32 v36, vcc_lo, v108, v38
	v_add_co_ci_u32_e32 v37, vcc_lo, v109, v39, vcc_lo
	flat_load_u16 v36, v[36:37]
	s_waitcnt vmcnt(0) lgkmcnt(0)
	v_mul_f16_e32 v36, s18, v36
.LBB260_54:
	v_pk_add_f16 v37, v0, v46
	v_pk_max_f16 v45, v107, v107
	v_pk_add_f16 v107, v1, v47
	v_add_nc_u32_e32 v110, 0xc0, v44
	v_add_co_u32 v112, vcc_lo, v114, v38
	s_delay_alu instid0(VALU_DEP_4) | instskip(SKIP_2) | instid1(VALU_DEP_2)
	v_pk_min_f16 v37, v45, v37
	v_add_co_ci_u32_e32 v113, vcc_lo, v115, v39, vcc_lo
	s_and_b32 vcc_lo, exec_lo, s0
	v_pk_min_f16 v37, v37, v107
	v_mov_b32_e32 v107, 0
	v_ashrrev_i32_e32 v111, 31, v110
	s_delay_alu instid0(VALU_DEP_3) | instskip(NEXT) | instid1(VALU_DEP_1)
	v_lshrrev_b32_e32 v45, 16, v37
	v_min3_f16 v116, v36, v37, v45
	s_delay_alu instid0(VALU_DEP_3)
	v_lshlrev_b64 v[36:37], 1, v[110:111]
	v_mov_b32_e32 v45, 0
	global_store_b16 v[112:113], v116, off
	s_cbranch_vccnz .LBB260_56
; %bb.55:
	v_add_co_u32 v110, vcc_lo, v108, v36
	v_add_co_ci_u32_e32 v111, vcc_lo, v109, v37, vcc_lo
	flat_load_u16 v45, v[110:111]
	s_waitcnt vmcnt(0) lgkmcnt(0)
	v_mul_f16_e32 v45, s18, v45
.LBB260_56:
	v_pk_add_f16 v110, v2, v46
	v_pk_max_f16 v106, v106, v106
	v_pk_add_f16 v111, v3, v47
	v_add_co_u32 v112, vcc_lo, v114, v36
	v_add_co_ci_u32_e32 v113, vcc_lo, v115, v37, vcc_lo
	s_delay_alu instid0(VALU_DEP_4) | instskip(SKIP_2) | instid1(VALU_DEP_2)
	v_pk_min_f16 v106, v106, v110
	v_add_nc_u32_e32 v110, 0xe0, v44
	s_and_b32 vcc_lo, exec_lo, s0
	v_pk_min_f16 v44, v106, v111
	s_delay_alu instid0(VALU_DEP_2) | instskip(NEXT) | instid1(VALU_DEP_2)
	v_ashrrev_i32_e32 v111, 31, v110
	v_lshrrev_b32_e32 v106, 16, v44
	s_delay_alu instid0(VALU_DEP_1) | instskip(NEXT) | instid1(VALU_DEP_3)
	v_min3_f16 v106, v45, v44, v106
	v_lshlrev_b64 v[44:45], 1, v[110:111]
	global_store_b16 v[112:113], v106, off
	s_cbranch_vccnz .LBB260_58
; %bb.57:
	v_add_co_u32 v106, vcc_lo, v108, v44
	v_add_co_ci_u32_e32 v107, vcc_lo, v109, v45, vcc_lo
	flat_load_u16 v106, v[106:107]
	s_waitcnt vmcnt(0) lgkmcnt(0)
	v_mul_f16_e32 v107, s18, v106
.LBB260_58:
	v_add_nc_u32_e32 v108, 8, v86
	v_pk_add_f16 v46, v24, v46
	v_pk_max_f16 v109, v105, v105
	v_pk_add_f16 v47, v25, v47
	s_delay_alu instid0(VALU_DEP_4) | instskip(NEXT) | instid1(VALU_DEP_3)
	v_mad_i64_i32 v[105:106], null, v108, s4, 0
	v_pk_min_f16 v46, v109, v46
	v_add_co_u32 v109, vcc_lo, v114, v44
	v_add_co_ci_u32_e32 v110, vcc_lo, v115, v45, vcc_lo
	s_delay_alu instid0(VALU_DEP_3) | instskip(SKIP_2) | instid1(VALU_DEP_3)
	v_pk_min_f16 v111, v46, v47
	v_lshlrev_b64 v[46:47], 1, v[105:106]
	v_mov_b32_e32 v106, 0
	v_lshrrev_b32_e32 v105, 16, v111
	s_delay_alu instid0(VALU_DEP_3) | instskip(NEXT) | instid1(VALU_DEP_4)
	v_add_co_u32 v46, vcc_lo, s8, v46
	v_add_co_ci_u32_e32 v47, vcc_lo, s9, v47, vcc_lo
	s_delay_alu instid0(VALU_DEP_3)
	v_min3_f16 v105, v107, v111, v105
	v_mov_b32_e32 v107, 0
	s_and_b32 vcc_lo, exec_lo, s0
	global_store_b16 v[109:110], v105, off
	s_cbranch_vccnz .LBB260_60
; %bb.59:
	v_add_co_u32 v109, vcc_lo, v46, v30
	v_add_co_ci_u32_e32 v110, vcc_lo, v47, v31, vcc_lo
	flat_load_u16 v105, v[109:110]
	s_waitcnt vmcnt(0) lgkmcnt(0)
	v_mul_f16_e32 v107, s18, v105
.LBB260_60:
	v_pk_add_f16 v109, v28, v20
	v_pk_max_f16 v110, v104, v104
	v_mad_i64_i32 v[104:105], null, v108, s3, 0
	v_pk_add_f16 v108, v29, v21
	s_delay_alu instid0(VALU_DEP_3) | instskip(NEXT) | instid1(VALU_DEP_3)
	v_pk_min_f16 v109, v110, v109
	v_lshlrev_b64 v[104:105], 1, v[104:105]
	s_delay_alu instid0(VALU_DEP_2) | instskip(NEXT) | instid1(VALU_DEP_2)
	v_pk_min_f16 v108, v109, v108
	v_add_co_u32 v104, vcc_lo, s1, v104
	s_delay_alu instid0(VALU_DEP_2) | instskip(NEXT) | instid1(VALU_DEP_4)
	v_lshrrev_b32_e32 v109, 16, v108
	v_add_co_ci_u32_e32 v105, vcc_lo, s5, v105, vcc_lo
	s_delay_alu instid0(VALU_DEP_2) | instskip(NEXT) | instid1(VALU_DEP_4)
	v_min3_f16 v109, v107, v108, v109
	v_add_co_u32 v107, vcc_lo, v104, v30
	s_delay_alu instid0(VALU_DEP_3)
	v_add_co_ci_u32_e32 v108, vcc_lo, v105, v31, vcc_lo
	s_and_b32 vcc_lo, exec_lo, s0
	global_store_b16 v[107:108], v109, off
	s_cbranch_vccnz .LBB260_62
; %bb.61:
	v_add_co_u32 v106, vcc_lo, v46, v32
	v_add_co_ci_u32_e32 v107, vcc_lo, v47, v33, vcc_lo
	flat_load_u16 v106, v[106:107]
	s_waitcnt vmcnt(0) lgkmcnt(0)
	v_mul_f16_e32 v106, s18, v106
.LBB260_62:
	v_pk_add_f16 v107, v8, v20
	v_pk_max_f16 v103, v103, v103
	v_pk_add_f16 v108, v9, v21
	s_delay_alu instid0(VALU_DEP_2) | instskip(SKIP_1) | instid1(VALU_DEP_2)
	v_pk_min_f16 v103, v103, v107
	v_add_co_u32 v107, vcc_lo, v104, v32
	v_pk_min_f16 v103, v103, v108
	v_add_co_ci_u32_e32 v108, vcc_lo, v105, v33, vcc_lo
	s_and_b32 vcc_lo, exec_lo, s0
	s_delay_alu instid0(VALU_DEP_2) | instskip(NEXT) | instid1(VALU_DEP_1)
	v_lshrrev_b32_e32 v109, 16, v103
	v_min3_f16 v109, v106, v103, v109
	v_dual_mov_b32 v103, 0 :: v_dual_mov_b32 v106, 0
	global_store_b16 v[107:108], v109, off
	s_cbranch_vccnz .LBB260_64
; %bb.63:
	v_add_co_u32 v106, vcc_lo, v46, v34
	v_add_co_ci_u32_e32 v107, vcc_lo, v47, v35, vcc_lo
	flat_load_u16 v106, v[106:107]
	s_waitcnt vmcnt(0) lgkmcnt(0)
	v_mul_f16_e32 v106, s18, v106
.LBB260_64:
	v_pk_add_f16 v107, v10, v20
	v_pk_max_f16 v102, v102, v102
	v_pk_add_f16 v108, v11, v21
	s_delay_alu instid0(VALU_DEP_2) | instskip(NEXT) | instid1(VALU_DEP_1)
	v_pk_min_f16 v102, v102, v107
	v_pk_min_f16 v102, v102, v108
	s_delay_alu instid0(VALU_DEP_1) | instskip(NEXT) | instid1(VALU_DEP_1)
	v_lshrrev_b32_e32 v107, 16, v102
	v_min3_f16 v102, v106, v102, v107
	v_add_co_u32 v106, vcc_lo, v104, v34
	v_add_co_ci_u32_e32 v107, vcc_lo, v105, v35, vcc_lo
	s_and_b32 vcc_lo, exec_lo, s0
	global_store_b16 v[106:107], v102, off
	s_cbranch_vccnz .LBB260_66
; %bb.65:
	v_add_co_u32 v102, vcc_lo, v46, v40
	v_add_co_ci_u32_e32 v103, vcc_lo, v47, v41, vcc_lo
	flat_load_u16 v102, v[102:103]
	s_waitcnt vmcnt(0) lgkmcnt(0)
	v_mul_f16_e32 v103, s18, v102
.LBB260_66:
	v_pk_add_f16 v102, v4, v20
	v_pk_max_f16 v101, v101, v101
	v_pk_add_f16 v106, v5, v21
	s_delay_alu instid0(VALU_DEP_2) | instskip(NEXT) | instid1(VALU_DEP_1)
	v_pk_min_f16 v101, v101, v102
	v_pk_min_f16 v101, v101, v106
	v_add_co_u32 v106, vcc_lo, v104, v40
	v_add_co_ci_u32_e32 v107, vcc_lo, v105, v41, vcc_lo
	s_delay_alu instid0(VALU_DEP_3) | instskip(SKIP_1) | instid1(VALU_DEP_1)
	v_lshrrev_b32_e32 v102, 16, v101
	s_and_b32 vcc_lo, exec_lo, s0
	v_min3_f16 v103, v103, v101, v102
	v_dual_mov_b32 v101, 0 :: v_dual_mov_b32 v102, 0
	global_store_b16 v[106:107], v103, off
	s_cbranch_vccnz .LBB260_68
; %bb.67:
	v_add_co_u32 v102, vcc_lo, v46, v42
	v_add_co_ci_u32_e32 v103, vcc_lo, v47, v43, vcc_lo
	flat_load_u16 v102, v[102:103]
	s_waitcnt vmcnt(0) lgkmcnt(0)
	v_mul_f16_e32 v102, s18, v102
.LBB260_68:
	v_pk_add_f16 v103, v6, v20
	v_pk_max_f16 v100, v100, v100
	v_pk_add_f16 v106, v7, v21
	s_delay_alu instid0(VALU_DEP_2) | instskip(NEXT) | instid1(VALU_DEP_1)
	v_pk_min_f16 v100, v100, v103
	v_pk_min_f16 v100, v100, v106
	s_delay_alu instid0(VALU_DEP_1) | instskip(NEXT) | instid1(VALU_DEP_1)
	v_lshrrev_b32_e32 v103, 16, v100
	v_min3_f16 v100, v102, v100, v103
	v_add_co_u32 v102, vcc_lo, v104, v42
	v_add_co_ci_u32_e32 v103, vcc_lo, v105, v43, vcc_lo
	s_and_b32 vcc_lo, exec_lo, s0
	global_store_b16 v[102:103], v100, off
	s_cbranch_vccnz .LBB260_70
; %bb.69:
	v_add_co_u32 v100, vcc_lo, v46, v38
	v_add_co_ci_u32_e32 v101, vcc_lo, v47, v39, vcc_lo
	flat_load_u16 v100, v[100:101]
	s_waitcnt vmcnt(0) lgkmcnt(0)
	v_mul_f16_e32 v101, s18, v100
.LBB260_70:
	v_pk_add_f16 v100, v0, v20
	v_pk_max_f16 v99, v99, v99
	v_pk_add_f16 v102, v1, v21
	s_delay_alu instid0(VALU_DEP_2) | instskip(NEXT) | instid1(VALU_DEP_1)
	v_pk_min_f16 v99, v99, v100
	v_pk_min_f16 v99, v99, v102
	v_add_co_u32 v102, vcc_lo, v104, v38
	v_add_co_ci_u32_e32 v103, vcc_lo, v105, v39, vcc_lo
	s_delay_alu instid0(VALU_DEP_3) | instskip(SKIP_1) | instid1(VALU_DEP_1)
	v_lshrrev_b32_e32 v100, 16, v99
	s_and_b32 vcc_lo, exec_lo, s0
	v_min3_f16 v101, v101, v99, v100
	v_dual_mov_b32 v99, 0 :: v_dual_mov_b32 v100, 0
	global_store_b16 v[102:103], v101, off
	s_cbranch_vccnz .LBB260_72
; %bb.71:
	v_add_co_u32 v100, vcc_lo, v46, v36
	v_add_co_ci_u32_e32 v101, vcc_lo, v47, v37, vcc_lo
	flat_load_u16 v100, v[100:101]
	s_waitcnt vmcnt(0) lgkmcnt(0)
	v_mul_f16_e32 v100, s18, v100
.LBB260_72:
	v_pk_add_f16 v101, v2, v20
	v_pk_max_f16 v98, v98, v98
	v_pk_add_f16 v102, v3, v21
	s_delay_alu instid0(VALU_DEP_2) | instskip(NEXT) | instid1(VALU_DEP_1)
	v_pk_min_f16 v98, v98, v101
	v_pk_min_f16 v98, v98, v102
	s_delay_alu instid0(VALU_DEP_1) | instskip(NEXT) | instid1(VALU_DEP_1)
	v_lshrrev_b32_e32 v101, 16, v98
	v_min3_f16 v98, v100, v98, v101
	v_add_co_u32 v100, vcc_lo, v104, v36
	v_add_co_ci_u32_e32 v101, vcc_lo, v105, v37, vcc_lo
	s_and_b32 vcc_lo, exec_lo, s0
	global_store_b16 v[100:101], v98, off
	s_cbranch_vccnz .LBB260_74
; %bb.73:
	v_add_co_u32 v46, vcc_lo, v46, v44
	v_add_co_ci_u32_e32 v47, vcc_lo, v47, v45, vcc_lo
	flat_load_u16 v46, v[46:47]
	s_waitcnt vmcnt(0) lgkmcnt(0)
	v_mul_f16_e32 v99, s18, v46
.LBB260_74:
	v_add_nc_u32_e32 v46, 16, v86
	v_pk_add_f16 v20, v24, v20
	v_pk_max_f16 v47, v97, v97
	v_pk_add_f16 v21, v25, v21
	v_add_co_u32 v100, vcc_lo, v104, v44
	v_mad_i64_i32 v[97:98], null, v46, s4, 0
	s_delay_alu instid0(VALU_DEP_4) | instskip(SKIP_1) | instid1(VALU_DEP_2)
	v_pk_min_f16 v20, v47, v20
	v_add_co_ci_u32_e32 v101, vcc_lo, v105, v45, vcc_lo
	v_pk_min_f16 v47, v20, v21
	s_delay_alu instid0(VALU_DEP_4) | instskip(SKIP_1) | instid1(VALU_DEP_3)
	v_lshlrev_b64 v[20:21], 1, v[97:98]
	v_mov_b32_e32 v98, 0
	v_lshrrev_b32_e32 v97, 16, v47
	s_delay_alu instid0(VALU_DEP_3) | instskip(NEXT) | instid1(VALU_DEP_4)
	v_add_co_u32 v20, vcc_lo, s8, v20
	v_add_co_ci_u32_e32 v21, vcc_lo, s9, v21, vcc_lo
	s_delay_alu instid0(VALU_DEP_3)
	v_min3_f16 v47, v99, v47, v97
	v_mov_b32_e32 v97, 0
	s_and_b32 vcc_lo, exec_lo, s0
	global_store_b16 v[100:101], v47, off
	s_cbranch_vccnz .LBB260_76
; %bb.75:
	v_add_co_u32 v98, vcc_lo, v20, v30
	v_add_co_ci_u32_e32 v99, vcc_lo, v21, v31, vcc_lo
	flat_load_u16 v47, v[98:99]
	s_waitcnt vmcnt(0) lgkmcnt(0)
	v_mul_f16_e32 v98, s18, v47
.LBB260_76:
	v_pk_add_f16 v47, v28, v22
	v_pk_max_f16 v96, v96, v96
	v_mad_i64_i32 v[99:100], null, v46, s3, 0
	v_pk_add_f16 v46, v29, v23
	s_delay_alu instid0(VALU_DEP_3) | instskip(NEXT) | instid1(VALU_DEP_1)
	v_pk_min_f16 v47, v96, v47
	v_pk_min_f16 v96, v47, v46
	s_delay_alu instid0(VALU_DEP_4) | instskip(NEXT) | instid1(VALU_DEP_2)
	v_lshlrev_b64 v[46:47], 1, v[99:100]
	v_lshrrev_b32_e32 v99, 16, v96
	s_delay_alu instid0(VALU_DEP_2) | instskip(NEXT) | instid1(VALU_DEP_3)
	v_add_co_u32 v46, vcc_lo, s1, v46
	v_add_co_ci_u32_e32 v47, vcc_lo, s5, v47, vcc_lo
	s_delay_alu instid0(VALU_DEP_3) | instskip(NEXT) | instid1(VALU_DEP_3)
	v_min3_f16 v96, v98, v96, v99
	v_add_co_u32 v98, vcc_lo, v46, v30
	s_delay_alu instid0(VALU_DEP_3)
	v_add_co_ci_u32_e32 v99, vcc_lo, v47, v31, vcc_lo
	s_and_b32 vcc_lo, exec_lo, s0
	global_store_b16 v[98:99], v96, off
	s_cbranch_vccnz .LBB260_78
; %bb.77:
	v_add_co_u32 v96, vcc_lo, v20, v32
	v_add_co_ci_u32_e32 v97, vcc_lo, v21, v33, vcc_lo
	flat_load_u16 v96, v[96:97]
	s_waitcnt vmcnt(0) lgkmcnt(0)
	v_mul_f16_e32 v97, s18, v96
.LBB260_78:
	v_pk_add_f16 v96, v8, v22
	v_pk_max_f16 v95, v95, v95
	v_pk_add_f16 v98, v9, v23
	s_delay_alu instid0(VALU_DEP_2) | instskip(NEXT) | instid1(VALU_DEP_1)
	v_pk_min_f16 v95, v95, v96
	v_pk_min_f16 v95, v95, v98
	v_add_co_u32 v98, vcc_lo, v46, v32
	v_add_co_ci_u32_e32 v99, vcc_lo, v47, v33, vcc_lo
	s_delay_alu instid0(VALU_DEP_3) | instskip(SKIP_1) | instid1(VALU_DEP_1)
	v_lshrrev_b32_e32 v96, 16, v95
	s_and_b32 vcc_lo, exec_lo, s0
	v_min3_f16 v97, v97, v95, v96
	v_dual_mov_b32 v95, 0 :: v_dual_mov_b32 v96, 0
	global_store_b16 v[98:99], v97, off
	s_cbranch_vccnz .LBB260_80
; %bb.79:
	v_add_co_u32 v96, vcc_lo, v20, v34
	v_add_co_ci_u32_e32 v97, vcc_lo, v21, v35, vcc_lo
	flat_load_u16 v96, v[96:97]
	s_waitcnt vmcnt(0) lgkmcnt(0)
	v_mul_f16_e32 v96, s18, v96
.LBB260_80:
	v_pk_add_f16 v97, v10, v22
	v_pk_max_f16 v94, v94, v94
	v_pk_add_f16 v98, v11, v23
	s_delay_alu instid0(VALU_DEP_2) | instskip(NEXT) | instid1(VALU_DEP_1)
	v_pk_min_f16 v94, v94, v97
	v_pk_min_f16 v94, v94, v98
	s_delay_alu instid0(VALU_DEP_1) | instskip(NEXT) | instid1(VALU_DEP_1)
	v_lshrrev_b32_e32 v97, 16, v94
	v_min3_f16 v94, v96, v94, v97
	v_add_co_u32 v96, vcc_lo, v46, v34
	v_add_co_ci_u32_e32 v97, vcc_lo, v47, v35, vcc_lo
	s_and_b32 vcc_lo, exec_lo, s0
	global_store_b16 v[96:97], v94, off
	s_cbranch_vccnz .LBB260_82
; %bb.81:
	v_add_co_u32 v94, vcc_lo, v20, v40
	v_add_co_ci_u32_e32 v95, vcc_lo, v21, v41, vcc_lo
	flat_load_u16 v94, v[94:95]
	s_waitcnt vmcnt(0) lgkmcnt(0)
	v_mul_f16_e32 v95, s18, v94
.LBB260_82:
	v_pk_add_f16 v94, v4, v22
	v_pk_max_f16 v93, v93, v93
	v_pk_add_f16 v96, v5, v23
	s_delay_alu instid0(VALU_DEP_2) | instskip(NEXT) | instid1(VALU_DEP_1)
	v_pk_min_f16 v93, v93, v94
	v_pk_min_f16 v93, v93, v96
	v_add_co_u32 v96, vcc_lo, v46, v40
	v_add_co_ci_u32_e32 v97, vcc_lo, v47, v41, vcc_lo
	s_delay_alu instid0(VALU_DEP_3) | instskip(SKIP_1) | instid1(VALU_DEP_1)
	v_lshrrev_b32_e32 v94, 16, v93
	s_and_b32 vcc_lo, exec_lo, s0
	v_min3_f16 v95, v95, v93, v94
	v_dual_mov_b32 v93, 0 :: v_dual_mov_b32 v94, 0
	global_store_b16 v[96:97], v95, off
	s_cbranch_vccnz .LBB260_84
; %bb.83:
	v_add_co_u32 v94, vcc_lo, v20, v42
	v_add_co_ci_u32_e32 v95, vcc_lo, v21, v43, vcc_lo
	flat_load_u16 v94, v[94:95]
	s_waitcnt vmcnt(0) lgkmcnt(0)
	v_mul_f16_e32 v94, s18, v94
.LBB260_84:
	v_pk_add_f16 v95, v6, v22
	v_pk_max_f16 v92, v92, v92
	v_pk_add_f16 v96, v7, v23
	s_delay_alu instid0(VALU_DEP_2) | instskip(NEXT) | instid1(VALU_DEP_1)
	v_pk_min_f16 v92, v92, v95
	v_pk_min_f16 v92, v92, v96
	s_delay_alu instid0(VALU_DEP_1) | instskip(NEXT) | instid1(VALU_DEP_1)
	v_lshrrev_b32_e32 v95, 16, v92
	v_min3_f16 v92, v94, v92, v95
	v_add_co_u32 v94, vcc_lo, v46, v42
	;; [unrolled: 43-line block ×3, first 2 shown]
	v_add_co_ci_u32_e32 v93, vcc_lo, v47, v37, vcc_lo
	s_and_b32 vcc_lo, exec_lo, s0
	global_store_b16 v[92:93], v90, off
	s_cbranch_vccnz .LBB260_90
; %bb.89:
	v_add_co_u32 v20, vcc_lo, v20, v44
	v_add_co_ci_u32_e32 v21, vcc_lo, v21, v45, vcc_lo
	flat_load_u16 v20, v[20:21]
	s_waitcnt vmcnt(0) lgkmcnt(0)
	v_mul_f16_e32 v91, s18, v20
.LBB260_90:
	v_pk_add_f16 v22, v24, v22
	v_pk_max_f16 v89, v89, v89
	v_pk_add_f16 v23, v25, v23
	v_add_nc_u32_e32 v90, 24, v86
	s_delay_alu instid0(VALU_DEP_3) | instskip(NEXT) | instid1(VALU_DEP_1)
	v_pk_min_f16 v22, v89, v22
	v_pk_min_f16 v89, v22, v23
	v_add_co_u32 v22, vcc_lo, v46, v44
	v_add_co_ci_u32_e32 v23, vcc_lo, v47, v45, vcc_lo
	v_mov_b32_e32 v47, 0
	v_mad_i64_i32 v[20:21], null, v90, s4, 0
	v_lshrrev_b32_e32 v46, 16, v89
	s_delay_alu instid0(VALU_DEP_1) | instskip(NEXT) | instid1(VALU_DEP_3)
	v_min3_f16 v89, v91, v89, v46
	v_lshlrev_b64 v[20:21], 1, v[20:21]
	v_mov_b32_e32 v46, 0
	global_store_b16 v[22:23], v89, off
	v_add_co_u32 v20, vcc_lo, s8, v20
	v_add_co_ci_u32_e32 v21, vcc_lo, s9, v21, vcc_lo
	s_and_b32 vcc_lo, exec_lo, s0
	s_cbranch_vccnz .LBB260_92
; %bb.91:
	s_delay_alu instid0(VALU_DEP_2) | instskip(NEXT) | instid1(VALU_DEP_2)
	v_add_co_u32 v22, vcc_lo, v20, v30
	v_add_co_ci_u32_e32 v23, vcc_lo, v21, v31, vcc_lo
	flat_load_u16 v22, v[22:23]
	s_waitcnt vmcnt(0) lgkmcnt(0)
	v_mul_f16_e32 v47, s18, v22
.LBB260_92:
	v_pk_add_f16 v89, v28, v16
	v_pk_max_f16 v88, v88, v88
	v_mad_i64_i32 v[22:23], null, v90, s3, 0
	v_pk_add_f16 v90, v29, v17
	s_delay_alu instid0(VALU_DEP_3) | instskip(NEXT) | instid1(VALU_DEP_3)
	v_pk_min_f16 v88, v88, v89
	v_lshlrev_b64 v[22:23], 1, v[22:23]
	s_delay_alu instid0(VALU_DEP_2) | instskip(NEXT) | instid1(VALU_DEP_2)
	v_pk_min_f16 v88, v88, v90
	v_add_co_u32 v22, vcc_lo, s1, v22
	s_delay_alu instid0(VALU_DEP_2) | instskip(NEXT) | instid1(VALU_DEP_4)
	v_lshrrev_b32_e32 v89, 16, v88
	v_add_co_ci_u32_e32 v23, vcc_lo, s5, v23, vcc_lo
	s_delay_alu instid0(VALU_DEP_2) | instskip(NEXT) | instid1(VALU_DEP_4)
	v_min3_f16 v47, v47, v88, v89
	v_add_co_u32 v88, vcc_lo, v22, v30
	s_delay_alu instid0(VALU_DEP_3)
	v_add_co_ci_u32_e32 v89, vcc_lo, v23, v31, vcc_lo
	s_and_b32 vcc_lo, exec_lo, s0
	global_store_b16 v[88:89], v47, off
	s_cbranch_vccnz .LBB260_94
; %bb.93:
	v_add_co_u32 v46, vcc_lo, v20, v32
	v_add_co_ci_u32_e32 v47, vcc_lo, v21, v33, vcc_lo
	flat_load_u16 v46, v[46:47]
	s_waitcnt vmcnt(0) lgkmcnt(0)
	v_mul_f16_e32 v46, s18, v46
.LBB260_94:
	v_pk_add_f16 v47, v8, v16
	v_pk_max_f16 v87, v87, v87
	v_pk_add_f16 v88, v9, v17
	s_delay_alu instid0(VALU_DEP_2) | instskip(SKIP_1) | instid1(VALU_DEP_2)
	v_pk_min_f16 v47, v87, v47
	v_add_co_u32 v87, vcc_lo, v22, v32
	v_pk_min_f16 v47, v47, v88
	v_add_co_ci_u32_e32 v88, vcc_lo, v23, v33, vcc_lo
	s_and_b32 vcc_lo, exec_lo, s0
	s_delay_alu instid0(VALU_DEP_2) | instskip(NEXT) | instid1(VALU_DEP_1)
	v_lshrrev_b32_e32 v89, 16, v47
	v_min3_f16 v89, v46, v47, v89
	v_dual_mov_b32 v46, 0 :: v_dual_mov_b32 v47, 0
	global_store_b16 v[87:88], v89, off
	s_cbranch_vccnz .LBB260_96
; %bb.95:
	v_add_co_u32 v87, vcc_lo, v20, v34
	v_add_co_ci_u32_e32 v88, vcc_lo, v21, v35, vcc_lo
	flat_load_u16 v47, v[87:88]
	s_waitcnt vmcnt(0) lgkmcnt(0)
	v_mul_f16_e32 v47, s18, v47
.LBB260_96:
	v_pk_add_f16 v87, v10, v16
	v_pk_max_f16 v85, v85, v85
	v_pk_add_f16 v88, v11, v17
	s_delay_alu instid0(VALU_DEP_2) | instskip(NEXT) | instid1(VALU_DEP_1)
	v_pk_min_f16 v85, v85, v87
	v_pk_min_f16 v85, v85, v88
	s_delay_alu instid0(VALU_DEP_1) | instskip(NEXT) | instid1(VALU_DEP_1)
	v_lshrrev_b32_e32 v87, 16, v85
	v_min3_f16 v47, v47, v85, v87
	v_add_co_u32 v87, vcc_lo, v22, v34
	v_add_co_ci_u32_e32 v88, vcc_lo, v23, v35, vcc_lo
	s_and_b32 vcc_lo, exec_lo, s0
	global_store_b16 v[87:88], v47, off
	s_cbranch_vccnz .LBB260_98
; %bb.97:
	v_add_co_u32 v46, vcc_lo, v20, v40
	v_add_co_ci_u32_e32 v47, vcc_lo, v21, v41, vcc_lo
	flat_load_u16 v46, v[46:47]
	s_waitcnt vmcnt(0) lgkmcnt(0)
	v_mul_f16_e32 v46, s18, v46
.LBB260_98:
	v_pk_add_f16 v47, v4, v16
	v_pk_max_f16 v84, v84, v84
	v_pk_add_f16 v85, v5, v17
	s_delay_alu instid0(VALU_DEP_2) | instskip(SKIP_1) | instid1(VALU_DEP_2)
	v_pk_min_f16 v47, v84, v47
	v_add_co_u32 v84, vcc_lo, v22, v40
	v_pk_min_f16 v47, v47, v85
	v_add_co_ci_u32_e32 v85, vcc_lo, v23, v41, vcc_lo
	s_and_b32 vcc_lo, exec_lo, s0
	s_delay_alu instid0(VALU_DEP_2) | instskip(NEXT) | instid1(VALU_DEP_1)
	v_lshrrev_b32_e32 v87, 16, v47
	v_min3_f16 v87, v46, v47, v87
	v_dual_mov_b32 v46, 0 :: v_dual_mov_b32 v47, 0
	global_store_b16 v[84:85], v87, off
	s_cbranch_vccnz .LBB260_100
; %bb.99:
	v_add_co_u32 v84, vcc_lo, v20, v42
	v_add_co_ci_u32_e32 v85, vcc_lo, v21, v43, vcc_lo
	flat_load_u16 v47, v[84:85]
	s_waitcnt vmcnt(0) lgkmcnt(0)
	v_mul_f16_e32 v47, s18, v47
.LBB260_100:
	v_pk_add_f16 v84, v6, v16
	v_pk_max_f16 v83, v83, v83
	v_pk_add_f16 v85, v7, v17
	s_delay_alu instid0(VALU_DEP_2) | instskip(NEXT) | instid1(VALU_DEP_1)
	v_pk_min_f16 v83, v83, v84
	v_pk_min_f16 v83, v83, v85
	s_delay_alu instid0(VALU_DEP_1) | instskip(NEXT) | instid1(VALU_DEP_1)
	v_lshrrev_b32_e32 v84, 16, v83
	v_min3_f16 v47, v47, v83, v84
	v_add_co_u32 v83, vcc_lo, v22, v42
	;; [unrolled: 43-line block ×3, first 2 shown]
	v_add_co_ci_u32_e32 v82, vcc_lo, v23, v37, vcc_lo
	s_and_b32 vcc_lo, exec_lo, s0
	global_store_b16 v[81:82], v47, off
	s_cbranch_vccnz .LBB260_106
; %bb.105:
	v_add_co_u32 v20, vcc_lo, v20, v44
	v_add_co_ci_u32_e32 v21, vcc_lo, v21, v45, vcc_lo
	flat_load_u16 v20, v[20:21]
	s_waitcnt vmcnt(0) lgkmcnt(0)
	v_mul_f16_e32 v46, s18, v20
.LBB260_106:
	v_add_nc_u32_e32 v20, 32, v86
	v_pk_add_f16 v16, v24, v16
	v_pk_max_f16 v21, v80, v80
	v_pk_add_f16 v17, v25, v17
	s_delay_alu instid0(VALU_DEP_4) | instskip(NEXT) | instid1(VALU_DEP_3)
	v_mad_i64_i32 v[80:81], null, v20, s4, 0
	v_pk_min_f16 v16, v21, v16
	s_delay_alu instid0(VALU_DEP_1) | instskip(NEXT) | instid1(VALU_DEP_3)
	v_pk_min_f16 v21, v16, v17
	v_lshlrev_b64 v[16:17], 1, v[80:81]
	v_add_co_u32 v80, vcc_lo, v22, v44
	v_add_co_ci_u32_e32 v81, vcc_lo, v23, v45, vcc_lo
	v_mov_b32_e32 v23, 0
	v_lshrrev_b32_e32 v22, 16, v21
	v_add_co_u32 v16, vcc_lo, s8, v16
	v_add_co_ci_u32_e32 v17, vcc_lo, s9, v17, vcc_lo
	s_delay_alu instid0(VALU_DEP_3)
	v_min3_f16 v21, v46, v21, v22
	v_mov_b32_e32 v22, 0
	s_and_b32 vcc_lo, exec_lo, s0
	global_store_b16 v[80:81], v21, off
	s_cbranch_vccnz .LBB260_108
; %bb.107:
	v_add_co_u32 v46, vcc_lo, v16, v30
	v_add_co_ci_u32_e32 v47, vcc_lo, v17, v31, vcc_lo
	flat_load_u16 v21, v[46:47]
	s_waitcnt vmcnt(0) lgkmcnt(0)
	v_mul_f16_e32 v23, s18, v21
.LBB260_108:
	v_pk_add_f16 v21, v28, v18
	v_pk_max_f16 v79, v79, v79
	v_mad_i64_i32 v[46:47], null, v20, s3, 0
	v_pk_add_f16 v20, v29, v19
	s_delay_alu instid0(VALU_DEP_3) | instskip(NEXT) | instid1(VALU_DEP_1)
	v_pk_min_f16 v21, v79, v21
	v_pk_min_f16 v79, v21, v20
	s_delay_alu instid0(VALU_DEP_4) | instskip(NEXT) | instid1(VALU_DEP_2)
	v_lshlrev_b64 v[20:21], 1, v[46:47]
	v_lshrrev_b32_e32 v46, 16, v79
	s_delay_alu instid0(VALU_DEP_2) | instskip(NEXT) | instid1(VALU_DEP_3)
	v_add_co_u32 v20, vcc_lo, s1, v20
	v_add_co_ci_u32_e32 v21, vcc_lo, s5, v21, vcc_lo
	s_delay_alu instid0(VALU_DEP_3) | instskip(NEXT) | instid1(VALU_DEP_3)
	v_min3_f16 v23, v23, v79, v46
	v_add_co_u32 v46, vcc_lo, v20, v30
	s_delay_alu instid0(VALU_DEP_3)
	v_add_co_ci_u32_e32 v47, vcc_lo, v21, v31, vcc_lo
	s_and_b32 vcc_lo, exec_lo, s0
	global_store_b16 v[46:47], v23, off
	s_cbranch_vccnz .LBB260_110
; %bb.109:
	v_add_co_u32 v22, vcc_lo, v16, v32
	v_add_co_ci_u32_e32 v23, vcc_lo, v17, v33, vcc_lo
	flat_load_u16 v22, v[22:23]
	s_waitcnt vmcnt(0) lgkmcnt(0)
	v_mul_f16_e32 v22, s18, v22
.LBB260_110:
	v_pk_add_f16 v23, v8, v18
	v_pk_max_f16 v46, v78, v78
	v_pk_add_f16 v47, v9, v19
	s_delay_alu instid0(VALU_DEP_2) | instskip(SKIP_1) | instid1(VALU_DEP_2)
	v_pk_min_f16 v23, v46, v23
	v_add_co_u32 v46, vcc_lo, v20, v32
	v_pk_min_f16 v23, v23, v47
	v_add_co_ci_u32_e32 v47, vcc_lo, v21, v33, vcc_lo
	s_and_b32 vcc_lo, exec_lo, s0
	s_delay_alu instid0(VALU_DEP_2) | instskip(NEXT) | instid1(VALU_DEP_1)
	v_lshrrev_b32_e32 v78, 16, v23
	v_min3_f16 v78, v22, v23, v78
	v_dual_mov_b32 v22, 0 :: v_dual_mov_b32 v23, 0
	global_store_b16 v[46:47], v78, off
	s_cbranch_vccnz .LBB260_112
; %bb.111:
	v_add_co_u32 v46, vcc_lo, v16, v34
	v_add_co_ci_u32_e32 v47, vcc_lo, v17, v35, vcc_lo
	flat_load_u16 v23, v[46:47]
	s_waitcnt vmcnt(0) lgkmcnt(0)
	v_mul_f16_e32 v23, s18, v23
.LBB260_112:
	v_pk_add_f16 v46, v10, v18
	v_pk_max_f16 v47, v77, v77
	v_pk_add_f16 v77, v11, v19
	s_delay_alu instid0(VALU_DEP_2) | instskip(NEXT) | instid1(VALU_DEP_1)
	v_pk_min_f16 v46, v47, v46
	v_pk_min_f16 v46, v46, v77
	s_delay_alu instid0(VALU_DEP_1) | instskip(NEXT) | instid1(VALU_DEP_1)
	v_lshrrev_b32_e32 v47, 16, v46
	v_min3_f16 v23, v23, v46, v47
	v_add_co_u32 v46, vcc_lo, v20, v34
	v_add_co_ci_u32_e32 v47, vcc_lo, v21, v35, vcc_lo
	s_and_b32 vcc_lo, exec_lo, s0
	global_store_b16 v[46:47], v23, off
	s_cbranch_vccnz .LBB260_114
; %bb.113:
	v_add_co_u32 v22, vcc_lo, v16, v40
	v_add_co_ci_u32_e32 v23, vcc_lo, v17, v41, vcc_lo
	flat_load_u16 v22, v[22:23]
	s_waitcnt vmcnt(0) lgkmcnt(0)
	v_mul_f16_e32 v22, s18, v22
.LBB260_114:
	v_pk_add_f16 v23, v4, v18
	v_pk_max_f16 v46, v76, v76
	v_pk_add_f16 v47, v5, v19
	s_delay_alu instid0(VALU_DEP_2) | instskip(SKIP_1) | instid1(VALU_DEP_2)
	v_pk_min_f16 v23, v46, v23
	v_add_co_u32 v46, vcc_lo, v20, v40
	v_pk_min_f16 v23, v23, v47
	v_add_co_ci_u32_e32 v47, vcc_lo, v21, v41, vcc_lo
	s_and_b32 vcc_lo, exec_lo, s0
	s_delay_alu instid0(VALU_DEP_2) | instskip(NEXT) | instid1(VALU_DEP_1)
	v_lshrrev_b32_e32 v76, 16, v23
	v_min3_f16 v76, v22, v23, v76
	v_dual_mov_b32 v22, 0 :: v_dual_mov_b32 v23, 0
	global_store_b16 v[46:47], v76, off
	s_cbranch_vccnz .LBB260_116
; %bb.115:
	v_add_co_u32 v46, vcc_lo, v16, v42
	v_add_co_ci_u32_e32 v47, vcc_lo, v17, v43, vcc_lo
	flat_load_u16 v23, v[46:47]
	s_waitcnt vmcnt(0) lgkmcnt(0)
	v_mul_f16_e32 v23, s18, v23
.LBB260_116:
	v_pk_add_f16 v46, v6, v18
	v_pk_max_f16 v47, v75, v75
	v_pk_add_f16 v75, v7, v19
	s_delay_alu instid0(VALU_DEP_2) | instskip(NEXT) | instid1(VALU_DEP_1)
	v_pk_min_f16 v46, v47, v46
	v_pk_min_f16 v46, v46, v75
	s_delay_alu instid0(VALU_DEP_1) | instskip(NEXT) | instid1(VALU_DEP_1)
	v_lshrrev_b32_e32 v47, 16, v46
	v_min3_f16 v23, v23, v46, v47
	v_add_co_u32 v46, vcc_lo, v20, v42
	;; [unrolled: 43-line block ×3, first 2 shown]
	v_add_co_ci_u32_e32 v47, vcc_lo, v21, v37, vcc_lo
	s_and_b32 vcc_lo, exec_lo, s0
	global_store_b16 v[46:47], v23, off
	s_cbranch_vccnz .LBB260_122
; %bb.121:
	v_add_co_u32 v16, vcc_lo, v16, v44
	v_add_co_ci_u32_e32 v17, vcc_lo, v17, v45, vcc_lo
	flat_load_u16 v16, v[16:17]
	s_waitcnt vmcnt(0) lgkmcnt(0)
	v_mul_f16_e32 v22, s18, v16
.LBB260_122:
	v_pk_add_f16 v18, v24, v18
	v_pk_max_f16 v46, v72, v72
	v_pk_add_f16 v19, v25, v19
	v_add_nc_u32_e32 v23, 40, v86
	s_delay_alu instid0(VALU_DEP_3) | instskip(NEXT) | instid1(VALU_DEP_1)
	v_pk_min_f16 v18, v46, v18
	v_pk_min_f16 v46, v18, v19
	v_add_co_u32 v18, vcc_lo, v20, v44
	v_add_co_ci_u32_e32 v19, vcc_lo, v21, v45, vcc_lo
	s_delay_alu instid0(VALU_DEP_3) | instskip(SKIP_1) | instid1(VALU_DEP_2)
	v_lshrrev_b32_e32 v20, 16, v46
	v_mov_b32_e32 v21, 0
	v_min3_f16 v22, v22, v46, v20
	v_mov_b32_e32 v20, 0
	v_mad_i64_i32 v[16:17], null, v23, s4, 0
	global_store_b16 v[18:19], v22, off
	v_lshlrev_b64 v[16:17], 1, v[16:17]
	s_delay_alu instid0(VALU_DEP_1) | instskip(NEXT) | instid1(VALU_DEP_2)
	v_add_co_u32 v16, vcc_lo, s8, v16
	v_add_co_ci_u32_e32 v17, vcc_lo, s9, v17, vcc_lo
	s_and_b32 vcc_lo, exec_lo, s0
	s_cbranch_vccnz .LBB260_124
; %bb.123:
	s_delay_alu instid0(VALU_DEP_2) | instskip(NEXT) | instid1(VALU_DEP_2)
	v_add_co_u32 v18, vcc_lo, v16, v30
	v_add_co_ci_u32_e32 v19, vcc_lo, v17, v31, vcc_lo
	flat_load_u16 v18, v[18:19]
	s_waitcnt vmcnt(0) lgkmcnt(0)
	v_mul_f16_e32 v21, s18, v18
.LBB260_124:
	v_pk_add_f16 v22, v28, v12
	v_pk_max_f16 v46, v71, v71
	v_mad_i64_i32 v[18:19], null, v23, s3, 0
	v_pk_add_f16 v23, v29, v13
	s_delay_alu instid0(VALU_DEP_3) | instskip(NEXT) | instid1(VALU_DEP_3)
	v_pk_min_f16 v22, v46, v22
	v_lshlrev_b64 v[18:19], 1, v[18:19]
	s_delay_alu instid0(VALU_DEP_2) | instskip(NEXT) | instid1(VALU_DEP_2)
	v_pk_min_f16 v22, v22, v23
	v_add_co_u32 v18, vcc_lo, s1, v18
	s_delay_alu instid0(VALU_DEP_2) | instskip(NEXT) | instid1(VALU_DEP_4)
	v_lshrrev_b32_e32 v23, 16, v22
	v_add_co_ci_u32_e32 v19, vcc_lo, s5, v19, vcc_lo
	s_delay_alu instid0(VALU_DEP_2) | instskip(NEXT) | instid1(VALU_DEP_4)
	v_min3_f16 v23, v21, v22, v23
	v_add_co_u32 v21, vcc_lo, v18, v30
	s_delay_alu instid0(VALU_DEP_3)
	v_add_co_ci_u32_e32 v22, vcc_lo, v19, v31, vcc_lo
	s_and_b32 vcc_lo, exec_lo, s0
	global_store_b16 v[21:22], v23, off
	s_cbranch_vccnz .LBB260_126
; %bb.125:
	v_add_co_u32 v20, vcc_lo, v16, v32
	v_add_co_ci_u32_e32 v21, vcc_lo, v17, v33, vcc_lo
	flat_load_u16 v20, v[20:21]
	s_waitcnt vmcnt(0) lgkmcnt(0)
	v_mul_f16_e32 v20, s18, v20
.LBB260_126:
	v_pk_add_f16 v21, v8, v12
	v_pk_max_f16 v22, v70, v70
	v_pk_add_f16 v23, v9, v13
	s_delay_alu instid0(VALU_DEP_2) | instskip(SKIP_1) | instid1(VALU_DEP_2)
	v_pk_min_f16 v21, v22, v21
	v_add_co_u32 v22, vcc_lo, v18, v32
	v_pk_min_f16 v21, v21, v23
	v_add_co_ci_u32_e32 v23, vcc_lo, v19, v33, vcc_lo
	s_and_b32 vcc_lo, exec_lo, s0
	s_delay_alu instid0(VALU_DEP_2) | instskip(NEXT) | instid1(VALU_DEP_1)
	v_lshrrev_b32_e32 v46, 16, v21
	v_min3_f16 v46, v20, v21, v46
	v_dual_mov_b32 v20, 0 :: v_dual_mov_b32 v21, 0
	global_store_b16 v[22:23], v46, off
	s_cbranch_vccnz .LBB260_128
; %bb.127:
	v_add_co_u32 v21, vcc_lo, v16, v34
	v_add_co_ci_u32_e32 v22, vcc_lo, v17, v35, vcc_lo
	flat_load_u16 v21, v[21:22]
	s_waitcnt vmcnt(0) lgkmcnt(0)
	v_mul_f16_e32 v21, s18, v21
.LBB260_128:
	v_pk_add_f16 v22, v10, v12
	v_pk_max_f16 v23, v69, v69
	v_pk_add_f16 v46, v11, v13
	s_delay_alu instid0(VALU_DEP_2) | instskip(NEXT) | instid1(VALU_DEP_1)
	v_pk_min_f16 v22, v23, v22
	v_pk_min_f16 v22, v22, v46
	s_delay_alu instid0(VALU_DEP_1) | instskip(NEXT) | instid1(VALU_DEP_1)
	v_lshrrev_b32_e32 v23, 16, v22
	v_min3_f16 v23, v21, v22, v23
	v_add_co_u32 v21, vcc_lo, v18, v34
	v_add_co_ci_u32_e32 v22, vcc_lo, v19, v35, vcc_lo
	s_and_b32 vcc_lo, exec_lo, s0
	global_store_b16 v[21:22], v23, off
	s_cbranch_vccnz .LBB260_130
; %bb.129:
	v_add_co_u32 v20, vcc_lo, v16, v40
	v_add_co_ci_u32_e32 v21, vcc_lo, v17, v41, vcc_lo
	flat_load_u16 v20, v[20:21]
	s_waitcnt vmcnt(0) lgkmcnt(0)
	v_mul_f16_e32 v20, s18, v20
.LBB260_130:
	v_pk_add_f16 v21, v4, v12
	v_pk_max_f16 v22, v68, v68
	v_pk_add_f16 v23, v5, v13
	s_delay_alu instid0(VALU_DEP_2) | instskip(SKIP_1) | instid1(VALU_DEP_2)
	v_pk_min_f16 v21, v22, v21
	v_add_co_u32 v22, vcc_lo, v18, v40
	v_pk_min_f16 v21, v21, v23
	v_add_co_ci_u32_e32 v23, vcc_lo, v19, v41, vcc_lo
	s_and_b32 vcc_lo, exec_lo, s0
	s_delay_alu instid0(VALU_DEP_2) | instskip(NEXT) | instid1(VALU_DEP_1)
	v_lshrrev_b32_e32 v46, 16, v21
	v_min3_f16 v46, v20, v21, v46
	v_dual_mov_b32 v20, 0 :: v_dual_mov_b32 v21, 0
	global_store_b16 v[22:23], v46, off
	s_cbranch_vccnz .LBB260_132
; %bb.131:
	v_add_co_u32 v21, vcc_lo, v16, v42
	v_add_co_ci_u32_e32 v22, vcc_lo, v17, v43, vcc_lo
	flat_load_u16 v21, v[21:22]
	s_waitcnt vmcnt(0) lgkmcnt(0)
	v_mul_f16_e32 v21, s18, v21
.LBB260_132:
	v_pk_add_f16 v22, v6, v12
	v_pk_max_f16 v23, v67, v67
	v_pk_add_f16 v46, v7, v13
	s_delay_alu instid0(VALU_DEP_2) | instskip(NEXT) | instid1(VALU_DEP_1)
	v_pk_min_f16 v22, v23, v22
	v_pk_min_f16 v22, v22, v46
	s_delay_alu instid0(VALU_DEP_1) | instskip(NEXT) | instid1(VALU_DEP_1)
	v_lshrrev_b32_e32 v23, 16, v22
	v_min3_f16 v23, v21, v22, v23
	v_add_co_u32 v21, vcc_lo, v18, v42
	;; [unrolled: 43-line block ×3, first 2 shown]
	v_add_co_ci_u32_e32 v22, vcc_lo, v19, v37, vcc_lo
	s_and_b32 vcc_lo, exec_lo, s0
	global_store_b16 v[21:22], v23, off
	s_cbranch_vccnz .LBB260_138
; %bb.137:
	v_add_co_u32 v16, vcc_lo, v16, v44
	v_add_co_ci_u32_e32 v17, vcc_lo, v17, v45, vcc_lo
	flat_load_u16 v16, v[16:17]
	s_waitcnt vmcnt(0) lgkmcnt(0)
	v_mul_f16_e32 v20, s18, v16
.LBB260_138:
	v_add_nc_u32_e32 v16, 48, v86
	v_pk_add_f16 v12, v24, v12
	v_pk_max_f16 v17, v64, v64
	v_pk_add_f16 v13, v25, v13
	s_delay_alu instid0(VALU_DEP_4) | instskip(NEXT) | instid1(VALU_DEP_3)
	v_mad_i64_i32 v[21:22], null, v16, s4, 0
	v_pk_min_f16 v12, v17, v12
	s_delay_alu instid0(VALU_DEP_1) | instskip(NEXT) | instid1(VALU_DEP_3)
	v_pk_min_f16 v17, v12, v13
	v_lshlrev_b64 v[12:13], 1, v[21:22]
	v_add_co_u32 v21, vcc_lo, v18, v44
	v_add_co_ci_u32_e32 v22, vcc_lo, v19, v45, vcc_lo
	v_mov_b32_e32 v19, 0
	v_lshrrev_b32_e32 v18, 16, v17
	v_add_co_u32 v12, vcc_lo, s8, v12
	v_add_co_ci_u32_e32 v13, vcc_lo, s9, v13, vcc_lo
	s_delay_alu instid0(VALU_DEP_3)
	v_min3_f16 v17, v20, v17, v18
	v_mov_b32_e32 v18, 0
	s_and_b32 vcc_lo, exec_lo, s0
	global_store_b16 v[21:22], v17, off
	s_cbranch_vccnz .LBB260_140
; %bb.139:
	v_add_co_u32 v19, vcc_lo, v12, v30
	v_add_co_ci_u32_e32 v20, vcc_lo, v13, v31, vcc_lo
	flat_load_u16 v17, v[19:20]
	s_waitcnt vmcnt(0) lgkmcnt(0)
	v_mul_f16_e32 v19, s18, v17
.LBB260_140:
	v_pk_add_f16 v17, v28, v14
	v_pk_max_f16 v22, v63, v63
	v_mad_i64_i32 v[20:21], null, v16, s3, 0
	v_pk_add_f16 v16, v29, v15
	s_delay_alu instid0(VALU_DEP_3) | instskip(NEXT) | instid1(VALU_DEP_1)
	v_pk_min_f16 v17, v22, v17
	v_pk_min_f16 v22, v17, v16
	s_delay_alu instid0(VALU_DEP_4) | instskip(NEXT) | instid1(VALU_DEP_2)
	v_lshlrev_b64 v[16:17], 1, v[20:21]
	v_lshrrev_b32_e32 v20, 16, v22
	s_delay_alu instid0(VALU_DEP_2) | instskip(NEXT) | instid1(VALU_DEP_3)
	v_add_co_u32 v16, vcc_lo, s1, v16
	v_add_co_ci_u32_e32 v17, vcc_lo, s5, v17, vcc_lo
	s_delay_alu instid0(VALU_DEP_3) | instskip(NEXT) | instid1(VALU_DEP_3)
	v_min3_f16 v21, v19, v22, v20
	v_add_co_u32 v19, vcc_lo, v16, v30
	s_delay_alu instid0(VALU_DEP_3)
	v_add_co_ci_u32_e32 v20, vcc_lo, v17, v31, vcc_lo
	s_and_b32 vcc_lo, exec_lo, s0
	global_store_b16 v[19:20], v21, off
	s_cbranch_vccnz .LBB260_142
; %bb.141:
	v_add_co_u32 v18, vcc_lo, v12, v32
	v_add_co_ci_u32_e32 v19, vcc_lo, v13, v33, vcc_lo
	flat_load_u16 v18, v[18:19]
	s_waitcnt vmcnt(0) lgkmcnt(0)
	v_mul_f16_e32 v18, s18, v18
.LBB260_142:
	v_pk_add_f16 v19, v8, v14
	v_pk_max_f16 v20, v62, v62
	v_pk_add_f16 v21, v9, v15
	s_delay_alu instid0(VALU_DEP_2) | instskip(SKIP_1) | instid1(VALU_DEP_2)
	v_pk_min_f16 v19, v20, v19
	v_add_co_u32 v20, vcc_lo, v16, v32
	v_pk_min_f16 v19, v19, v21
	v_add_co_ci_u32_e32 v21, vcc_lo, v17, v33, vcc_lo
	s_and_b32 vcc_lo, exec_lo, s0
	s_delay_alu instid0(VALU_DEP_2) | instskip(NEXT) | instid1(VALU_DEP_1)
	v_lshrrev_b32_e32 v22, 16, v19
	v_min3_f16 v22, v18, v19, v22
	v_dual_mov_b32 v18, 0 :: v_dual_mov_b32 v19, 0
	global_store_b16 v[20:21], v22, off
	s_cbranch_vccnz .LBB260_144
; %bb.143:
	v_add_co_u32 v19, vcc_lo, v12, v34
	v_add_co_ci_u32_e32 v20, vcc_lo, v13, v35, vcc_lo
	flat_load_u16 v19, v[19:20]
	s_waitcnt vmcnt(0) lgkmcnt(0)
	v_mul_f16_e32 v19, s18, v19
.LBB260_144:
	v_pk_add_f16 v20, v10, v14
	v_pk_max_f16 v21, v61, v61
	v_pk_add_f16 v22, v11, v15
	s_delay_alu instid0(VALU_DEP_2) | instskip(NEXT) | instid1(VALU_DEP_1)
	v_pk_min_f16 v20, v21, v20
	v_pk_min_f16 v20, v20, v22
	s_delay_alu instid0(VALU_DEP_1) | instskip(NEXT) | instid1(VALU_DEP_1)
	v_lshrrev_b32_e32 v21, 16, v20
	v_min3_f16 v21, v19, v20, v21
	v_add_co_u32 v19, vcc_lo, v16, v34
	v_add_co_ci_u32_e32 v20, vcc_lo, v17, v35, vcc_lo
	s_and_b32 vcc_lo, exec_lo, s0
	global_store_b16 v[19:20], v21, off
	s_cbranch_vccnz .LBB260_146
; %bb.145:
	v_add_co_u32 v18, vcc_lo, v12, v40
	v_add_co_ci_u32_e32 v19, vcc_lo, v13, v41, vcc_lo
	flat_load_u16 v18, v[18:19]
	s_waitcnt vmcnt(0) lgkmcnt(0)
	v_mul_f16_e32 v18, s18, v18
.LBB260_146:
	v_pk_add_f16 v19, v4, v14
	v_pk_max_f16 v20, v60, v60
	v_pk_add_f16 v21, v5, v15
	s_delay_alu instid0(VALU_DEP_2) | instskip(SKIP_1) | instid1(VALU_DEP_2)
	v_pk_min_f16 v19, v20, v19
	v_add_co_u32 v20, vcc_lo, v16, v40
	v_pk_min_f16 v19, v19, v21
	v_add_co_ci_u32_e32 v21, vcc_lo, v17, v41, vcc_lo
	s_and_b32 vcc_lo, exec_lo, s0
	s_delay_alu instid0(VALU_DEP_2) | instskip(NEXT) | instid1(VALU_DEP_1)
	v_lshrrev_b32_e32 v22, 16, v19
	v_min3_f16 v22, v18, v19, v22
	v_dual_mov_b32 v18, 0 :: v_dual_mov_b32 v19, 0
	global_store_b16 v[20:21], v22, off
	s_cbranch_vccnz .LBB260_148
; %bb.147:
	v_add_co_u32 v19, vcc_lo, v12, v42
	v_add_co_ci_u32_e32 v20, vcc_lo, v13, v43, vcc_lo
	flat_load_u16 v19, v[19:20]
	s_waitcnt vmcnt(0) lgkmcnt(0)
	v_mul_f16_e32 v19, s18, v19
.LBB260_148:
	v_pk_add_f16 v20, v6, v14
	v_pk_max_f16 v21, v59, v59
	v_pk_add_f16 v22, v7, v15
	s_delay_alu instid0(VALU_DEP_2) | instskip(NEXT) | instid1(VALU_DEP_1)
	v_pk_min_f16 v20, v21, v20
	v_pk_min_f16 v20, v20, v22
	s_delay_alu instid0(VALU_DEP_1) | instskip(NEXT) | instid1(VALU_DEP_1)
	v_lshrrev_b32_e32 v21, 16, v20
	v_min3_f16 v21, v19, v20, v21
	v_add_co_u32 v19, vcc_lo, v16, v42
	;; [unrolled: 43-line block ×3, first 2 shown]
	v_add_co_ci_u32_e32 v20, vcc_lo, v17, v37, vcc_lo
	s_and_b32 vcc_lo, exec_lo, s0
	global_store_b16 v[19:20], v21, off
	s_cbranch_vccnz .LBB260_154
; %bb.153:
	v_add_co_u32 v12, vcc_lo, v12, v44
	v_add_co_ci_u32_e32 v13, vcc_lo, v13, v45, vcc_lo
	flat_load_u16 v12, v[12:13]
	s_waitcnt vmcnt(0) lgkmcnt(0)
	v_mul_f16_e32 v18, s18, v12
.LBB260_154:
	v_pk_add_f16 v14, v24, v14
	v_pk_max_f16 v20, v56, v56
	v_pk_add_f16 v15, v25, v15
	v_add_nc_u32_e32 v19, 56, v86
	s_delay_alu instid0(VALU_DEP_3) | instskip(NEXT) | instid1(VALU_DEP_1)
	v_pk_min_f16 v14, v20, v14
	v_pk_min_f16 v20, v14, v15
	v_add_co_u32 v14, vcc_lo, v16, v44
	v_add_co_ci_u32_e32 v15, vcc_lo, v17, v45, vcc_lo
	s_delay_alu instid0(VALU_DEP_3) | instskip(SKIP_1) | instid1(VALU_DEP_2)
	v_lshrrev_b32_e32 v16, 16, v20
	v_mov_b32_e32 v17, 0
	v_min3_f16 v18, v18, v20, v16
	v_mov_b32_e32 v16, 0
	v_mad_i64_i32 v[12:13], null, v19, s4, 0
	global_store_b16 v[14:15], v18, off
	v_lshlrev_b64 v[12:13], 1, v[12:13]
	s_delay_alu instid0(VALU_DEP_1) | instskip(NEXT) | instid1(VALU_DEP_2)
	v_add_co_u32 v12, vcc_lo, s8, v12
	v_add_co_ci_u32_e32 v13, vcc_lo, s9, v13, vcc_lo
	s_and_b32 vcc_lo, exec_lo, s0
	s_cbranch_vccnz .LBB260_156
; %bb.155:
	s_delay_alu instid0(VALU_DEP_2) | instskip(NEXT) | instid1(VALU_DEP_2)
	v_add_co_u32 v14, vcc_lo, v12, v30
	v_add_co_ci_u32_e32 v15, vcc_lo, v13, v31, vcc_lo
	flat_load_u16 v14, v[14:15]
	s_waitcnt vmcnt(0) lgkmcnt(0)
	v_mul_f16_e32 v17, s18, v14
.LBB260_156:
	v_pk_add_f16 v18, v28, v26
	v_pk_max_f16 v20, v55, v55
	v_mad_i64_i32 v[14:15], null, v19, s3, 0
	v_pk_add_f16 v19, v29, v27
	s_delay_alu instid0(VALU_DEP_3) | instskip(NEXT) | instid1(VALU_DEP_3)
	v_pk_min_f16 v18, v20, v18
	v_lshlrev_b64 v[14:15], 1, v[14:15]
	s_delay_alu instid0(VALU_DEP_2) | instskip(NEXT) | instid1(VALU_DEP_2)
	v_pk_min_f16 v18, v18, v19
	v_add_co_u32 v14, vcc_lo, s1, v14
	s_delay_alu instid0(VALU_DEP_2) | instskip(NEXT) | instid1(VALU_DEP_4)
	v_lshrrev_b32_e32 v19, 16, v18
	v_add_co_ci_u32_e32 v15, vcc_lo, s5, v15, vcc_lo
	s_delay_alu instid0(VALU_DEP_2) | instskip(NEXT) | instid1(VALU_DEP_4)
	v_min3_f16 v19, v17, v18, v19
	v_add_co_u32 v17, vcc_lo, v14, v30
	s_delay_alu instid0(VALU_DEP_3)
	v_add_co_ci_u32_e32 v18, vcc_lo, v15, v31, vcc_lo
	s_and_b32 vcc_lo, exec_lo, s0
	global_store_b16 v[17:18], v19, off
	s_cbranch_vccnz .LBB260_158
; %bb.157:
	v_add_co_u32 v16, vcc_lo, v12, v32
	v_add_co_ci_u32_e32 v17, vcc_lo, v13, v33, vcc_lo
	flat_load_u16 v16, v[16:17]
	s_waitcnt vmcnt(0) lgkmcnt(0)
	v_mul_f16_e32 v16, s18, v16
.LBB260_158:
	v_pk_add_f16 v8, v8, v26
	v_pk_max_f16 v17, v54, v54
	v_pk_add_f16 v9, v9, v27
	s_delay_alu instid0(VALU_DEP_2) | instskip(SKIP_2) | instid1(VALU_DEP_3)
	v_pk_min_f16 v8, v17, v8
	v_add_co_u32 v17, vcc_lo, v14, v32
	v_add_co_ci_u32_e32 v18, vcc_lo, v15, v33, vcc_lo
	v_pk_min_f16 v8, v8, v9
	s_and_b32 vcc_lo, exec_lo, s0
	s_delay_alu instid0(VALU_DEP_1) | instskip(NEXT) | instid1(VALU_DEP_1)
	v_lshrrev_b32_e32 v9, 16, v8
	v_min3_f16 v16, v16, v8, v9
	v_dual_mov_b32 v8, 0 :: v_dual_mov_b32 v9, 0
	global_store_b16 v[17:18], v16, off
	s_cbranch_vccnz .LBB260_160
; %bb.159:
	v_add_co_u32 v16, vcc_lo, v12, v34
	v_add_co_ci_u32_e32 v17, vcc_lo, v13, v35, vcc_lo
	flat_load_u16 v9, v[16:17]
	s_waitcnt vmcnt(0) lgkmcnt(0)
	v_mul_f16_e32 v9, s18, v9
.LBB260_160:
	v_pk_add_f16 v10, v10, v26
	v_pk_max_f16 v16, v53, v53
	v_pk_add_f16 v11, v11, v27
	s_delay_alu instid0(VALU_DEP_2) | instskip(NEXT) | instid1(VALU_DEP_1)
	v_pk_min_f16 v10, v16, v10
	v_pk_min_f16 v10, v10, v11
	s_delay_alu instid0(VALU_DEP_1) | instskip(NEXT) | instid1(VALU_DEP_1)
	v_lshrrev_b32_e32 v11, 16, v10
	v_min3_f16 v11, v9, v10, v11
	v_add_co_u32 v9, vcc_lo, v14, v34
	v_add_co_ci_u32_e32 v10, vcc_lo, v15, v35, vcc_lo
	s_and_b32 vcc_lo, exec_lo, s0
	global_store_b16 v[9:10], v11, off
	s_cbranch_vccnz .LBB260_162
; %bb.161:
	v_add_co_u32 v8, vcc_lo, v12, v40
	v_add_co_ci_u32_e32 v9, vcc_lo, v13, v41, vcc_lo
	flat_load_u16 v8, v[8:9]
	s_waitcnt vmcnt(0) lgkmcnt(0)
	v_mul_f16_e32 v8, s18, v8
.LBB260_162:
	v_pk_add_f16 v4, v4, v26
	v_pk_max_f16 v9, v52, v52
	v_pk_add_f16 v5, v5, v27
	s_delay_alu instid0(VALU_DEP_2) | instskip(SKIP_2) | instid1(VALU_DEP_3)
	v_pk_min_f16 v4, v9, v4
	v_add_co_u32 v9, vcc_lo, v14, v40
	v_add_co_ci_u32_e32 v10, vcc_lo, v15, v41, vcc_lo
	v_pk_min_f16 v4, v4, v5
	s_and_b32 vcc_lo, exec_lo, s0
	s_delay_alu instid0(VALU_DEP_1) | instskip(NEXT) | instid1(VALU_DEP_1)
	v_lshrrev_b32_e32 v5, 16, v4
	v_min3_f16 v8, v8, v4, v5
	v_dual_mov_b32 v4, 0 :: v_dual_mov_b32 v5, 0
	global_store_b16 v[9:10], v8, off
	s_cbranch_vccnz .LBB260_164
; %bb.163:
	v_add_co_u32 v8, vcc_lo, v12, v42
	v_add_co_ci_u32_e32 v9, vcc_lo, v13, v43, vcc_lo
	flat_load_u16 v5, v[8:9]
	s_waitcnt vmcnt(0) lgkmcnt(0)
	v_mul_f16_e32 v5, s18, v5
.LBB260_164:
	v_pk_add_f16 v6, v6, v26
	v_pk_max_f16 v8, v51, v51
	v_pk_add_f16 v7, v7, v27
	s_delay_alu instid0(VALU_DEP_2) | instskip(NEXT) | instid1(VALU_DEP_1)
	v_pk_min_f16 v6, v8, v6
	v_pk_min_f16 v6, v6, v7
	s_delay_alu instid0(VALU_DEP_1) | instskip(NEXT) | instid1(VALU_DEP_1)
	v_lshrrev_b32_e32 v7, 16, v6
	v_min3_f16 v7, v5, v6, v7
	v_add_co_u32 v5, vcc_lo, v14, v42
	v_add_co_ci_u32_e32 v6, vcc_lo, v15, v43, vcc_lo
	s_and_b32 vcc_lo, exec_lo, s0
	global_store_b16 v[5:6], v7, off
	s_cbranch_vccnz .LBB260_166
; %bb.165:
	v_add_co_u32 v4, vcc_lo, v12, v38
	v_add_co_ci_u32_e32 v5, vcc_lo, v13, v39, vcc_lo
	flat_load_u16 v4, v[4:5]
	s_waitcnt vmcnt(0) lgkmcnt(0)
	v_mul_f16_e32 v4, s18, v4
.LBB260_166:
	v_pk_add_f16 v0, v0, v26
	v_pk_max_f16 v5, v50, v50
	v_pk_add_f16 v2, v2, v26
	v_pk_max_f16 v6, v49, v49
	v_pk_add_f16 v1, v1, v27
	v_pk_add_f16 v3, v3, v27
	v_pk_min_f16 v0, v5, v0
	s_delay_alu instid0(VALU_DEP_4) | instskip(NEXT) | instid1(VALU_DEP_2)
	v_pk_min_f16 v2, v6, v2
	v_pk_min_f16 v0, v0, v1
	s_delay_alu instid0(VALU_DEP_2) | instskip(NEXT) | instid1(VALU_DEP_2)
	v_pk_min_f16 v1, v2, v3
	v_lshrrev_b32_e32 v2, 16, v0
	s_delay_alu instid0(VALU_DEP_2) | instskip(NEXT) | instid1(VALU_DEP_2)
	v_lshrrev_b32_e32 v3, 16, v1
	v_min3_f16 v4, v4, v0, v2
	s_delay_alu instid0(VALU_DEP_2) | instskip(SKIP_2) | instid1(VALU_DEP_3)
	v_min_f16_e32 v0, v1, v3
	v_add_co_u32 v1, vcc_lo, v14, v38
	v_add_co_ci_u32_e32 v2, vcc_lo, v15, v39, vcc_lo
	v_max_f16_e32 v0, v0, v0
	s_mov_b32 vcc_lo, s2
	global_store_b16 v[1:2], v4, off
	s_cbranch_vccz .LBB260_169
; %bb.167:
	v_add_co_u32 v1, vcc_lo, v14, v36
	v_min_f16_e32 v3, 0, v0
	v_add_co_ci_u32_e32 v2, vcc_lo, v15, v37, vcc_lo
	s_mov_b32 s0, 0
	global_store_b16 v[1:2], v3, off
	s_cbranch_execz .LBB260_170
; %bb.168:
	v_mov_b32_e32 v0, s0
	s_branch .LBB260_171
.LBB260_169:
	s_mov_b32 s0, -1
.LBB260_170:
	v_add_co_u32 v1, vcc_lo, v12, v36
	v_add_co_ci_u32_e32 v2, vcc_lo, v13, v37, vcc_lo
	flat_load_u16 v1, v[1:2]
	s_waitcnt vmcnt(0) lgkmcnt(0)
	v_mul_f16_e32 v3, s18, v1
	v_add_co_u32 v1, vcc_lo, v14, v36
	v_add_co_ci_u32_e32 v2, vcc_lo, v15, v37, vcc_lo
	s_delay_alu instid0(VALU_DEP_3)
	v_min_f16_e32 v0, v3, v0
	v_add_co_u32 v3, vcc_lo, v12, v44
	v_add_co_ci_u32_e32 v4, vcc_lo, v13, v45, vcc_lo
	global_store_b16 v[1:2], v0, off
	flat_load_u16 v0, v[3:4]
	s_waitcnt vmcnt(0) lgkmcnt(0)
	v_mul_f16_e32 v0, s18, v0
.LBB260_171:
	v_pk_add_f16 v1, v24, v26
	v_pk_max_f16 v2, v48, v48
	v_pk_add_f16 v3, v25, v27
	s_delay_alu instid0(VALU_DEP_2) | instskip(NEXT) | instid1(VALU_DEP_1)
	v_pk_min_f16 v1, v2, v1
	v_pk_min_f16 v1, v1, v3
	s_delay_alu instid0(VALU_DEP_1) | instskip(NEXT) | instid1(VALU_DEP_1)
	v_lshrrev_b32_e32 v2, 16, v1
	v_min3_f16 v2, v0, v1, v2
	v_add_co_u32 v0, vcc_lo, v14, v44
	v_add_co_ci_u32_e32 v1, vcc_lo, v15, v45, vcc_lo
	global_store_b16 v[0:1], v2, off
	s_nop 0
	s_sendmsg sendmsg(MSG_DEALLOC_VGPRS)
	s_endpgm
	.section	.rodata,"a",@progbits
	.p2align	6, 0x0
	.amdhsa_kernel _ZN12_GLOBAL__N_120geam_min_plus_kernelIDF16_Dv2_DF16_S1_Li32ELi8ELi256ELi64ELi4ELi64ELi4ELi4ELi64ELc78ELc78ELb0ELb0ELb1EDF16_KDF16_DF16_EEviiiT16_PT17_ilS5_ilS3_S5_ilPT18_ili26rocblas_geam_ex_operation_
		.amdhsa_group_segment_fixed_size 5120
		.amdhsa_private_segment_fixed_size 0
		.amdhsa_kernarg_size 128
		.amdhsa_user_sgpr_count 14
		.amdhsa_user_sgpr_dispatch_ptr 0
		.amdhsa_user_sgpr_queue_ptr 0
		.amdhsa_user_sgpr_kernarg_segment_ptr 1
		.amdhsa_user_sgpr_dispatch_id 0
		.amdhsa_user_sgpr_private_segment_size 0
		.amdhsa_wavefront_size32 1
		.amdhsa_uses_dynamic_stack 0
		.amdhsa_enable_private_segment 0
		.amdhsa_system_sgpr_workgroup_id_x 1
		.amdhsa_system_sgpr_workgroup_id_y 0
		.amdhsa_system_sgpr_workgroup_id_z 1
		.amdhsa_system_sgpr_workgroup_info 0
		.amdhsa_system_vgpr_workitem_id 1
		.amdhsa_next_free_vgpr 158
		.amdhsa_next_free_sgpr 25
		.amdhsa_reserve_vcc 1
		.amdhsa_float_round_mode_32 0
		.amdhsa_float_round_mode_16_64 0
		.amdhsa_float_denorm_mode_32 3
		.amdhsa_float_denorm_mode_16_64 3
		.amdhsa_dx10_clamp 1
		.amdhsa_ieee_mode 1
		.amdhsa_fp16_overflow 0
		.amdhsa_workgroup_processor_mode 1
		.amdhsa_memory_ordered 1
		.amdhsa_forward_progress 0
		.amdhsa_shared_vgpr_count 0
		.amdhsa_exception_fp_ieee_invalid_op 0
		.amdhsa_exception_fp_denorm_src 0
		.amdhsa_exception_fp_ieee_div_zero 0
		.amdhsa_exception_fp_ieee_overflow 0
		.amdhsa_exception_fp_ieee_underflow 0
		.amdhsa_exception_fp_ieee_inexact 0
		.amdhsa_exception_int_div_zero 0
	.end_amdhsa_kernel
	.section	.text._ZN12_GLOBAL__N_120geam_min_plus_kernelIDF16_Dv2_DF16_S1_Li32ELi8ELi256ELi64ELi4ELi64ELi4ELi4ELi64ELc78ELc78ELb0ELb0ELb1EDF16_KDF16_DF16_EEviiiT16_PT17_ilS5_ilS3_S5_ilPT18_ili26rocblas_geam_ex_operation_,"axG",@progbits,_ZN12_GLOBAL__N_120geam_min_plus_kernelIDF16_Dv2_DF16_S1_Li32ELi8ELi256ELi64ELi4ELi64ELi4ELi4ELi64ELc78ELc78ELb0ELb0ELb1EDF16_KDF16_DF16_EEviiiT16_PT17_ilS5_ilS3_S5_ilPT18_ili26rocblas_geam_ex_operation_,comdat
.Lfunc_end260:
	.size	_ZN12_GLOBAL__N_120geam_min_plus_kernelIDF16_Dv2_DF16_S1_Li32ELi8ELi256ELi64ELi4ELi64ELi4ELi4ELi64ELc78ELc78ELb0ELb0ELb1EDF16_KDF16_DF16_EEviiiT16_PT17_ilS5_ilS3_S5_ilPT18_ili26rocblas_geam_ex_operation_, .Lfunc_end260-_ZN12_GLOBAL__N_120geam_min_plus_kernelIDF16_Dv2_DF16_S1_Li32ELi8ELi256ELi64ELi4ELi64ELi4ELi4ELi64ELc78ELc78ELb0ELb0ELb1EDF16_KDF16_DF16_EEviiiT16_PT17_ilS5_ilS3_S5_ilPT18_ili26rocblas_geam_ex_operation_
                                        ; -- End function
	.section	.AMDGPU.csdata,"",@progbits
; Kernel info:
; codeLenInByte = 18416
; NumSgprs: 27
; NumVgprs: 158
; ScratchSize: 0
; MemoryBound: 0
; FloatMode: 240
; IeeeMode: 1
; LDSByteSize: 5120 bytes/workgroup (compile time only)
; SGPRBlocks: 3
; VGPRBlocks: 19
; NumSGPRsForWavesPerEU: 27
; NumVGPRsForWavesPerEU: 158
; Occupancy: 9
; WaveLimiterHint : 1
; COMPUTE_PGM_RSRC2:SCRATCH_EN: 0
; COMPUTE_PGM_RSRC2:USER_SGPR: 14
; COMPUTE_PGM_RSRC2:TRAP_HANDLER: 0
; COMPUTE_PGM_RSRC2:TGID_X_EN: 1
; COMPUTE_PGM_RSRC2:TGID_Y_EN: 0
; COMPUTE_PGM_RSRC2:TGID_Z_EN: 1
; COMPUTE_PGM_RSRC2:TIDIG_COMP_CNT: 1
	.section	.text._ZN12_GLOBAL__N_120geam_min_plus_kernelIDF16_Dv2_DF16_S1_Li32ELi8ELi256ELi64ELi4ELi64ELi4ELi4ELi64ELc78ELc78ELb0ELb1ELb1EPKDF16_S2_DF16_EEviiiT16_PT17_ilS6_ilS4_S6_ilPT18_ili26rocblas_geam_ex_operation_,"axG",@progbits,_ZN12_GLOBAL__N_120geam_min_plus_kernelIDF16_Dv2_DF16_S1_Li32ELi8ELi256ELi64ELi4ELi64ELi4ELi4ELi64ELc78ELc78ELb0ELb1ELb1EPKDF16_S2_DF16_EEviiiT16_PT17_ilS6_ilS4_S6_ilPT18_ili26rocblas_geam_ex_operation_,comdat
	.globl	_ZN12_GLOBAL__N_120geam_min_plus_kernelIDF16_Dv2_DF16_S1_Li32ELi8ELi256ELi64ELi4ELi64ELi4ELi4ELi64ELc78ELc78ELb0ELb1ELb1EPKDF16_S2_DF16_EEviiiT16_PT17_ilS6_ilS4_S6_ilPT18_ili26rocblas_geam_ex_operation_ ; -- Begin function _ZN12_GLOBAL__N_120geam_min_plus_kernelIDF16_Dv2_DF16_S1_Li32ELi8ELi256ELi64ELi4ELi64ELi4ELi4ELi64ELc78ELc78ELb0ELb1ELb1EPKDF16_S2_DF16_EEviiiT16_PT17_ilS6_ilS4_S6_ilPT18_ili26rocblas_geam_ex_operation_
	.p2align	8
	.type	_ZN12_GLOBAL__N_120geam_min_plus_kernelIDF16_Dv2_DF16_S1_Li32ELi8ELi256ELi64ELi4ELi64ELi4ELi4ELi64ELc78ELc78ELb0ELb1ELb1EPKDF16_S2_DF16_EEviiiT16_PT17_ilS6_ilS4_S6_ilPT18_ili26rocblas_geam_ex_operation_,@function
_ZN12_GLOBAL__N_120geam_min_plus_kernelIDF16_Dv2_DF16_S1_Li32ELi8ELi256ELi64ELi4ELi64ELi4ELi4ELi64ELc78ELc78ELb0ELb1ELb1EPKDF16_S2_DF16_EEviiiT16_PT17_ilS6_ilS4_S6_ilPT18_ili26rocblas_geam_ex_operation_: ; @_ZN12_GLOBAL__N_120geam_min_plus_kernelIDF16_Dv2_DF16_S1_Li32ELi8ELi256ELi64ELi4ELi64ELi4ELi4ELi64ELc78ELc78ELb0ELb1ELb1EPKDF16_S2_DF16_EEviiiT16_PT17_ilS6_ilS4_S6_ilPT18_ili26rocblas_geam_ex_operation_
; %bb.0:
	s_clause 0x1
	s_load_b128 s[16:19], s[0:1], 0x10
	s_load_b128 s[4:7], s[0:1], 0x40
	s_mov_b32 s20, s15
	s_mov_b32 s21, 0
	v_mov_b32_e32 v1, 0
	s_lshl_b64 s[2:3], s[20:21], 1
	s_load_b128 s[8:11], s[0:1], 0x28
	s_mov_b64 s[24:25], 0
	s_mov_b64 s[22:23], 0
	s_waitcnt lgkmcnt(0)
	s_add_u32 s12, s16, s2
	s_addc_u32 s13, s17, s3
	s_add_u32 s2, s6, s2
	global_load_u16 v44, v1, s[12:13]
	s_addc_u32 s3, s7, s3
	global_load_u16 v48, v1, s[2:3]
	s_load_b64 s[12:13], s[0:1], 0x50
	s_waitcnt vmcnt(1)
	v_cmp_eq_f16_e32 vcc_lo, 0, v44
	v_cmp_neq_f16_e64 s2, 0, v44
	s_cbranch_vccnz .LBB261_2
; %bb.1:
	s_mul_i32 s3, s20, s9
	s_mul_hi_u32 s6, s20, s8
	s_delay_alu instid0(SALU_CYCLE_1) | instskip(SKIP_1) | instid1(SALU_CYCLE_1)
	s_add_i32 s7, s6, s3
	s_mul_i32 s6, s20, s8
	s_lshl_b64 s[6:7], s[6:7], 1
	s_delay_alu instid0(SALU_CYCLE_1)
	s_add_u32 s22, s18, s6
	s_addc_u32 s23, s19, s7
.LBB261_2:
	s_delay_alu instid0(VALU_DEP_1)
	s_and_not1_b32 vcc_lo, exec_lo, s2
	s_cbranch_vccnz .LBB261_4
; %bb.3:
	s_mul_i32 s2, s20, s5
	s_mul_hi_u32 s3, s20, s4
	s_delay_alu instid0(SALU_CYCLE_1) | instskip(SKIP_1) | instid1(SALU_CYCLE_1)
	s_add_i32 s3, s3, s2
	s_mul_i32 s2, s20, s4
	s_lshl_b64 s[2:3], s[2:3], 1
	s_delay_alu instid0(SALU_CYCLE_1)
	s_add_u32 s24, s10, s2
	s_addc_u32 s25, s11, s3
.LBB261_4:
	s_load_b128 s[8:11], s[0:1], 0x60
	s_waitcnt vmcnt(0)
	v_cmp_eq_f16_e32 vcc_lo, 0, v48
	v_cmp_neq_f16_e64 s2, 0, v48
	s_cbranch_vccnz .LBB261_6
; %bb.5:
	s_waitcnt lgkmcnt(0)
	s_mul_i32 s3, s20, s9
	s_mul_hi_u32 s4, s20, s8
	s_delay_alu instid0(SALU_CYCLE_1) | instskip(SKIP_1) | instid1(SALU_CYCLE_1)
	s_add_i32 s5, s4, s3
	s_mul_i32 s4, s20, s8
	s_lshl_b64 s[4:5], s[4:5], 1
	s_delay_alu instid0(SALU_CYCLE_1)
	s_add_u32 s12, s12, s4
	s_addc_u32 s13, s13, s5
	s_branch .LBB261_7
.LBB261_6:
	s_waitcnt lgkmcnt(0)
	s_mov_b64 s[12:13], 0
.LBB261_7:
	s_clause 0x1
	s_load_b128 s[16:19], s[0:1], 0x0
	s_load_b32 s15, s[0:1], 0x20
	v_and_b32_e32 v42, 0x3ff, v0
	v_bfe_u32 v43, v0, 10, 10
	s_delay_alu instid0(VALU_DEP_1) | instskip(NEXT) | instid1(VALU_DEP_1)
	v_lshl_add_u32 v5, v43, 5, v42
	v_lshrrev_b32_e32 v45, 6, v5
	v_and_b32_e32 v0, 63, v5
	s_waitcnt lgkmcnt(0)
	s_add_i32 s8, s16, -1
	s_delay_alu instid0(SALU_CYCLE_1) | instskip(NEXT) | instid1(SALU_CYCLE_1)
	s_ashr_i32 s3, s8, 31
	s_lshr_b32 s3, s3, 24
	s_delay_alu instid0(SALU_CYCLE_1) | instskip(NEXT) | instid1(SALU_CYCLE_1)
	s_add_i32 s3, s8, s3
	s_ashr_i32 s3, s3, 8
	s_delay_alu instid0(SALU_CYCLE_1) | instskip(SKIP_2) | instid1(VALU_DEP_1)
	s_add_i32 s4, s3, 1
	s_not_b32 s3, s3
	v_cvt_f32_u32_e32 v1, s4
	v_rcp_iflag_f32_e32 v1, v1
	s_waitcnt_depctr 0xfff
	v_mul_f32_e32 v1, 0x4f7ffffe, v1
	s_delay_alu instid0(VALU_DEP_1) | instskip(NEXT) | instid1(VALU_DEP_1)
	v_cvt_u32_f32_e32 v1, v1
	v_readfirstlane_b32 s5, v1
	s_delay_alu instid0(VALU_DEP_1) | instskip(NEXT) | instid1(SALU_CYCLE_1)
	s_mul_i32 s3, s3, s5
	s_mul_hi_u32 s3, s5, s3
	s_delay_alu instid0(SALU_CYCLE_1) | instskip(NEXT) | instid1(SALU_CYCLE_1)
	s_add_i32 s5, s5, s3
	s_mul_hi_u32 s3, s14, s5
	s_delay_alu instid0(SALU_CYCLE_1) | instskip(SKIP_2) | instid1(SALU_CYCLE_1)
	s_mul_i32 s5, s3, s4
	s_add_i32 s6, s3, 1
	s_sub_i32 s5, s14, s5
	s_sub_i32 s7, s5, s4
	s_cmp_ge_u32 s5, s4
	s_cselect_b32 s3, s6, s3
	s_cselect_b32 s5, s7, s5
	s_add_i32 s6, s3, 1
	s_cmp_ge_u32 s5, s4
	v_cmp_le_i32_e64 s7, s18, v45
	s_cselect_b32 s9, s6, s3
	s_add_i32 s21, s18, -1
	s_mul_i32 s3, s9, s4
	v_min_i32_e32 v3, s21, v45
	s_sub_i32 s3, s14, s3
	s_delay_alu instid0(SALU_CYCLE_1) | instskip(SKIP_1) | instid1(VALU_DEP_2)
	s_lshl_b32 s14, s3, 8
	v_cmp_eq_f16_e64 s3, 0, v44
	v_mad_i64_i32 v[1:2], null, s15, v3, 0
	v_or_b32_e32 v20, s14, v0
	s_delay_alu instid0(VALU_DEP_1) | instskip(NEXT) | instid1(VALU_DEP_3)
	v_cmp_le_i32_e32 vcc_lo, s16, v20
	v_lshlrev_b64 v[2:3], 1, v[1:2]
	v_ashrrev_i32_e32 v21, 31, v20
	s_or_b32 s5, vcc_lo, s7
	s_delay_alu instid0(VALU_DEP_2) | instskip(SKIP_1) | instid1(VALU_DEP_4)
	v_add_co_u32 v6, s4, s22, v2
	v_cndmask_b32_e64 v1, 0, 0x7c00, s5
	v_add_co_ci_u32_e64 v7, s4, s23, v3, s4
	s_or_b32 s4, s3, s5
	s_delay_alu instid0(SALU_CYCLE_1) | instskip(NEXT) | instid1(SALU_CYCLE_1)
	s_xor_b32 s4, s4, -1
	s_and_saveexec_b32 s5, s4
	s_cbranch_execz .LBB261_9
; %bb.8:
	v_lshlrev_b64 v[1:2], 1, v[20:21]
	s_delay_alu instid0(VALU_DEP_1) | instskip(NEXT) | instid1(VALU_DEP_1)
	v_add_co_u32 v1, s4, v6, v1
	v_add_co_ci_u32_e64 v2, s4, v7, v2, s4
	flat_load_u16 v1, v[1:2]
	s_waitcnt vmcnt(0) lgkmcnt(0)
	v_mul_f16_e32 v1, v44, v1
.LBB261_9:
	s_or_b32 exec_lo, exec_lo, s5
	v_or_b32_e32 v2, 64, v20
	s_delay_alu instid0(VALU_DEP_1) | instskip(SKIP_1) | instid1(VALU_DEP_2)
	v_cmp_le_i32_e64 s4, s16, v2
	v_min_i32_e32 v22, s8, v2
	s_or_b32 s5, s4, s7
	s_delay_alu instid0(VALU_DEP_1) | instskip(SKIP_2) | instid1(SALU_CYCLE_1)
	v_ashrrev_i32_e32 v23, 31, v22
	v_cndmask_b32_e64 v2, 0, 0x7c00, s5
	s_or_b32 s5, s3, s5
	s_xor_b32 s5, s5, -1
	s_delay_alu instid0(SALU_CYCLE_1)
	s_and_saveexec_b32 s6, s5
	s_cbranch_execz .LBB261_11
; %bb.10:
	v_lshlrev_b64 v[2:3], 1, v[22:23]
	s_delay_alu instid0(VALU_DEP_1) | instskip(NEXT) | instid1(VALU_DEP_1)
	v_add_co_u32 v2, s5, v6, v2
	v_add_co_ci_u32_e64 v3, s5, v7, v3, s5
	flat_load_u16 v2, v[2:3]
	s_waitcnt vmcnt(0) lgkmcnt(0)
	v_mul_f16_e32 v2, v44, v2
.LBB261_11:
	s_or_b32 exec_lo, exec_lo, s6
	v_or_b32_e32 v3, 0x80, v20
	s_delay_alu instid0(VALU_DEP_1) | instskip(SKIP_1) | instid1(VALU_DEP_2)
	v_cmp_le_i32_e64 s5, s16, v3
	v_min_i32_e32 v24, s8, v3
	s_or_b32 s6, s5, s7
	s_delay_alu instid0(VALU_DEP_1) | instskip(SKIP_2) | instid1(SALU_CYCLE_1)
	v_ashrrev_i32_e32 v25, 31, v24
	v_cndmask_b32_e64 v3, 0, 0x7c00, s6
	s_or_b32 s6, s3, s6
	s_xor_b32 s6, s6, -1
	s_delay_alu instid0(SALU_CYCLE_1)
	;; [unrolled: 23-line block ×3, first 2 shown]
	s_and_saveexec_b32 s8, s7
	s_cbranch_execz .LBB261_15
; %bb.14:
	v_lshlrev_b64 v[8:9], 1, v[26:27]
	s_delay_alu instid0(VALU_DEP_1) | instskip(NEXT) | instid1(VALU_DEP_1)
	v_add_co_u32 v6, s7, v6, v8
	v_add_co_ci_u32_e64 v7, s7, v7, v9, s7
	flat_load_u16 v4, v[6:7]
	s_waitcnt vmcnt(0) lgkmcnt(0)
	v_mul_f16_e32 v4, v44, v4
.LBB261_15:
	s_or_b32 exec_lo, exec_lo, s8
	v_lshrrev_b32_e32 v5, 2, v5
	s_load_b32 s26, s[0:1], 0x38
	s_lshl_b32 s19, s9, 6
	v_and_b32_e32 v47, 3, v42
	s_delay_alu instid0(VALU_DEP_2) | instskip(NEXT) | instid1(VALU_DEP_2)
	v_add_nc_u32_e32 v28, s19, v5
	v_cmp_le_i32_e64 s8, s18, v47
	s_delay_alu instid0(VALU_DEP_2) | instskip(NEXT) | instid1(VALU_DEP_1)
	v_cmp_le_i32_e64 s7, s17, v28
	s_or_b32 s8, s8, s7
	s_delay_alu instid0(SALU_CYCLE_1) | instskip(SKIP_1) | instid1(SALU_CYCLE_1)
	v_cndmask_b32_e64 v6, 0, 0x7c00, s8
	s_or_b32 s8, s3, s8
	s_xor_b32 s8, s8, -1
	s_delay_alu instid0(SALU_CYCLE_1)
	s_and_saveexec_b32 s9, s8
	s_cbranch_execz .LBB261_17
; %bb.16:
	s_waitcnt lgkmcnt(0)
	v_mad_i64_i32 v[6:7], null, v28, s26, 0
	v_min_u32_e32 v8, s21, v47
	s_delay_alu instid0(VALU_DEP_1) | instskip(NEXT) | instid1(VALU_DEP_3)
	v_lshlrev_b32_e32 v8, 1, v8
	v_lshlrev_b64 v[6:7], 1, v[6:7]
	s_delay_alu instid0(VALU_DEP_1) | instskip(NEXT) | instid1(VALU_DEP_1)
	v_add_co_u32 v6, s8, s24, v6
	v_add_co_ci_u32_e64 v7, s8, s25, v7, s8
	s_delay_alu instid0(VALU_DEP_2) | instskip(NEXT) | instid1(VALU_DEP_1)
	v_add_co_u32 v6, s8, v6, v8
	v_add_co_ci_u32_e64 v7, s8, 0, v7, s8
	flat_load_u16 v6, v[6:7]
	s_waitcnt vmcnt(0) lgkmcnt(0)
	v_mul_f16_e32 v6, v44, v6
.LBB261_17:
	s_or_b32 exec_lo, exec_lo, s9
	v_add_nc_u32_e32 v9, 4, v45
	s_delay_alu instid0(VALU_DEP_1) | instskip(SKIP_1) | instid1(VALU_DEP_2)
	v_min_i32_e32 v10, s21, v9
	v_cmp_le_i32_e64 s8, s18, v9
	v_mad_i64_i32 v[7:8], null, s15, v10, 0
	s_delay_alu instid0(VALU_DEP_1) | instskip(NEXT) | instid1(VALU_DEP_1)
	v_lshlrev_b64 v[7:8], 1, v[7:8]
	v_add_co_u32 v7, s9, s22, v7
	s_delay_alu instid0(VALU_DEP_1) | instskip(SKIP_1) | instid1(SALU_CYCLE_1)
	v_add_co_ci_u32_e64 v8, s9, s23, v8, s9
	s_or_b32 s9, vcc_lo, s8
	v_cndmask_b32_e64 v29, 0, 0x7c00, s9
	s_or_b32 s9, s3, s9
	s_delay_alu instid0(SALU_CYCLE_1) | instskip(NEXT) | instid1(SALU_CYCLE_1)
	s_xor_b32 s9, s9, -1
	s_and_saveexec_b32 s27, s9
	s_cbranch_execz .LBB261_19
; %bb.18:
	v_lshlrev_b64 v[9:10], 1, v[20:21]
	s_delay_alu instid0(VALU_DEP_1) | instskip(NEXT) | instid1(VALU_DEP_1)
	v_add_co_u32 v9, s9, v7, v9
	v_add_co_ci_u32_e64 v10, s9, v8, v10, s9
	flat_load_u16 v9, v[9:10]
	s_waitcnt vmcnt(0) lgkmcnt(0)
	v_mul_f16_e32 v29, v44, v9
.LBB261_19:
	s_or_b32 exec_lo, exec_lo, s27
	s_or_b32 s9, s4, s8
	s_delay_alu instid0(SALU_CYCLE_1) | instskip(SKIP_1) | instid1(SALU_CYCLE_1)
	v_cndmask_b32_e64 v30, 0, 0x7c00, s9
	s_or_b32 s9, s3, s9
	s_xor_b32 s9, s9, -1
	s_delay_alu instid0(SALU_CYCLE_1)
	s_and_saveexec_b32 s27, s9
	s_cbranch_execz .LBB261_21
; %bb.20:
	v_lshlrev_b64 v[9:10], 1, v[22:23]
	s_delay_alu instid0(VALU_DEP_1) | instskip(NEXT) | instid1(VALU_DEP_1)
	v_add_co_u32 v9, s9, v7, v9
	v_add_co_ci_u32_e64 v10, s9, v8, v10, s9
	flat_load_u16 v9, v[9:10]
	s_waitcnt vmcnt(0) lgkmcnt(0)
	v_mul_f16_e32 v30, v44, v9
.LBB261_21:
	s_or_b32 exec_lo, exec_lo, s27
	s_or_b32 s9, s5, s8
	s_delay_alu instid0(SALU_CYCLE_1) | instskip(SKIP_1) | instid1(SALU_CYCLE_1)
	v_cndmask_b32_e64 v31, 0, 0x7c00, s9
	s_or_b32 s9, s3, s9
	s_xor_b32 s9, s9, -1
	s_delay_alu instid0(SALU_CYCLE_1)
	;; [unrolled: 18-line block ×3, first 2 shown]
	s_and_saveexec_b32 s9, s8
	s_cbranch_execz .LBB261_25
; %bb.24:
	v_lshlrev_b64 v[9:10], 1, v[26:27]
	s_delay_alu instid0(VALU_DEP_1) | instskip(NEXT) | instid1(VALU_DEP_1)
	v_add_co_u32 v7, s8, v7, v9
	v_add_co_ci_u32_e64 v8, s8, v8, v10, s8
	flat_load_u16 v7, v[7:8]
	s_waitcnt vmcnt(0) lgkmcnt(0)
	v_mul_f16_e32 v32, v44, v7
.LBB261_25:
	s_or_b32 exec_lo, exec_lo, s9
	v_or_b32_e32 v7, 4, v47
	s_delay_alu instid0(VALU_DEP_1) | instskip(NEXT) | instid1(VALU_DEP_1)
	v_cmp_le_i32_e64 s8, s18, v7
	s_or_b32 s8, s8, s7
	s_delay_alu instid0(SALU_CYCLE_1) | instskip(SKIP_1) | instid1(SALU_CYCLE_1)
	v_cndmask_b32_e64 v33, 0, 0x7c00, s8
	s_or_b32 s8, s3, s8
	s_xor_b32 s8, s8, -1
	s_delay_alu instid0(SALU_CYCLE_1)
	s_and_saveexec_b32 s9, s8
	s_cbranch_execz .LBB261_27
; %bb.26:
	s_waitcnt lgkmcnt(0)
	v_mad_i64_i32 v[8:9], null, v28, s26, 0
	v_min_u32_e32 v10, s21, v7
	s_delay_alu instid0(VALU_DEP_2) | instskip(NEXT) | instid1(VALU_DEP_2)
	v_lshlrev_b64 v[7:8], 1, v[8:9]
	v_lshlrev_b32_e32 v9, 1, v10
	s_delay_alu instid0(VALU_DEP_2) | instskip(NEXT) | instid1(VALU_DEP_1)
	v_add_co_u32 v7, s8, s24, v7
	v_add_co_ci_u32_e64 v8, s8, s25, v8, s8
	s_delay_alu instid0(VALU_DEP_2) | instskip(NEXT) | instid1(VALU_DEP_1)
	v_add_co_u32 v7, s8, v7, v9
	v_add_co_ci_u32_e64 v8, s8, 0, v8, s8
	flat_load_u16 v7, v[7:8]
	s_waitcnt vmcnt(0) lgkmcnt(0)
	v_mul_f16_e32 v33, v44, v7
.LBB261_27:
	s_or_b32 exec_lo, exec_lo, s9
	v_lshlrev_b32_e32 v7, 1, v45
	v_lshlrev_b32_e32 v77, 3, v43
	;; [unrolled: 1-line block ×4, first 2 shown]
	s_cmp_lt_i32 s18, 9
	v_lshl_add_u32 v86, v0, 3, v7
	v_add_nc_u32_e32 v8, 0x1000, v77
	v_lshl_or_b32 v34, v5, 3, v36
	ds_store_b16 v86, v1
	ds_store_b16 v86, v2 offset:512
	ds_store_b16 v86, v3 offset:1024
	ds_store_b16 v86, v4 offset:1536
	ds_store_b16 v34, v6 offset:4096
	s_waitcnt lgkmcnt(0)
	s_barrier
	buffer_gl0_inv
	ds_load_2addr_b64 v[16:19], v46 offset1:32
	ds_load_2addr_b64 v[37:40], v8 offset1:8
	ds_load_2addr_b64 v[12:15], v46 offset0:64 offset1:96
	ds_load_2addr_b64 v[4:7], v46 offset0:128 offset1:160
	;; [unrolled: 1-line block ×6, first 2 shown]
	ds_store_b16 v86, v29 offset:2048
	ds_store_b16 v86, v30 offset:2560
	;; [unrolled: 1-line block ×5, first 2 shown]
	s_waitcnt lgkmcnt(0)
	s_barrier
	buffer_gl0_inv
	v_pk_add_f16 v35, v16, v37
	v_pk_add_f16 v41, v18, v37
	;; [unrolled: 1-line block ×10, first 2 shown]
	v_pk_min_f16 v115, 0x7c00, v84 op_sel_hi:[0,1]
	v_pk_add_f16 v84, v18, v53
	v_pk_min_f16 v117, 0x7c00, v85 op_sel_hi:[0,1]
	v_pk_add_f16 v85, v16, v55
	v_pk_min_f16 v118, 0x7c00, v87 op_sel_hi:[0,1]
	v_pk_min_f16 v119, 0x7c00, v88 op_sel_hi:[0,1]
	;; [unrolled: 1-line block ×3, first 2 shown]
	v_pk_add_f16 v84, v0, v53
	v_pk_add_f16 v87, v18, v55
	;; [unrolled: 1-line block ×3, first 2 shown]
	v_pk_min_f16 v122, 0x7c00, v85 op_sel_hi:[0,1]
	v_pk_add_f16 v85, v4, v55
	v_pk_min_f16 v121, 0x7c00, v84 op_sel_hi:[0,1]
	v_pk_add_f16 v84, v14, v55
	v_pk_min_f16 v123, 0x7c00, v87 op_sel_hi:[0,1]
	v_pk_min_f16 v124, 0x7c00, v88 op_sel_hi:[0,1]
	v_pk_add_f16 v87, v6, v55
	v_pk_add_f16 v88, v0, v55
	v_pk_min_f16 v125, 0x7c00, v84 op_sel_hi:[0,1]
	v_pk_min_f16 v126, 0x7c00, v85 op_sel_hi:[0,1]
	v_pk_add_f16 v84, v16, v8
	v_pk_add_f16 v85, v18, v8
	;; [unrolled: 1-line block ×5, first 2 shown]
	v_pk_min_f16 v35, 0x7c00, v35 op_sel_hi:[0,1]
	v_pk_add_f16 v62, v16, v39
	v_pk_add_f16 v63, v18, v39
	;; [unrolled: 1-line block ×24, first 2 shown]
	v_pk_min_f16 v120, 0x7c00, v89 op_sel_hi:[0,1]
	v_pk_add_f16 v53, v2, v53
	v_pk_add_f16 v55, v2, v55
	v_pk_min_f16 v127, 0x7c00, v87 op_sel_hi:[0,1]
	v_pk_min_f16 v128, 0x7c00, v88 op_sel_hi:[0,1]
	v_pk_add_f16 v87, v12, v8
	v_pk_add_f16 v88, v14, v8
	;; [unrolled: 1-line block ×3, first 2 shown]
	v_pk_min_f16 v129, 0x7c00, v84 op_sel_hi:[0,1]
	v_pk_min_f16 v130, 0x7c00, v85 op_sel_hi:[0,1]
	v_pk_add_f16 v84, v6, v8
	v_pk_add_f16 v85, v0, v8
	;; [unrolled: 1-line block ×12, first 2 shown]
	v_pk_min_f16 v41, 0x7c00, v41 op_sel_hi:[0,1]
	v_pk_min_f16 v59, 0x7c00, v59 op_sel_hi:[0,1]
	;; [unrolled: 1-line block ×3, first 2 shown]
	v_pk_add_f16 v84, v19, v38
	v_pk_min_f16 v114, v35, v10
	v_pk_add_f16 v10, v5, v38
	v_pk_min_f16 v60, 0x7c00, v60 op_sel_hi:[0,1]
	v_pk_min_f16 v37, 0x7c00, v37 op_sel_hi:[0,1]
	;; [unrolled: 1-line block ×5, first 2 shown]
	v_pk_add_f16 v85, v13, v38
	v_pk_add_f16 v87, v15, v38
	v_pk_min_f16 v113, v41, v84
	v_pk_add_f16 v35, v7, v38
	v_pk_add_f16 v41, v1, v38
	;; [unrolled: 1-line block ×3, first 2 shown]
	v_pk_min_f16 v110, v59, v10
	v_pk_add_f16 v10, v19, v40
	v_pk_min_f16 v64, 0x7c00, v64 op_sel_hi:[0,1]
	v_pk_min_f16 v65, 0x7c00, v65 op_sel_hi:[0,1]
	;; [unrolled: 1-line block ×4, first 2 shown]
	v_pk_min_f16 v109, v60, v35
	v_pk_min_f16 v107, v37, v38
	v_pk_add_f16 v35, v13, v40
	v_pk_add_f16 v37, v15, v40
	;; [unrolled: 1-line block ×3, first 2 shown]
	v_pk_min_f16 v105, v63, v10
	v_pk_add_f16 v10, v1, v40
	v_pk_min_f16 v39, 0x7c00, v39 op_sel_hi:[0,1]
	v_pk_min_f16 v69, 0x7c00, v69 op_sel_hi:[0,1]
	v_pk_min_f16 v70, 0x7c00, v70 op_sel_hi:[0,1]
	v_pk_min_f16 v72, 0x7c00, v72 op_sel_hi:[0,1]
	v_pk_min_f16 v104, v64, v35
	v_pk_min_f16 v103, v65, v37
	;; [unrolled: 1-line block ×3, first 2 shown]
	v_pk_add_f16 v35, v3, v40
	v_pk_add_f16 v37, v17, v50
	;; [unrolled: 1-line block ×3, first 2 shown]
	v_pk_min_f16 v100, v68, v10
	v_pk_add_f16 v10, v15, v50
	v_pk_min_f16 v73, 0x7c00, v73 op_sel_hi:[0,1]
	v_pk_min_f16 v74, 0x7c00, v74 op_sel_hi:[0,1]
	v_pk_min_f16 v75, 0x7c00, v75 op_sel_hi:[0,1]
	v_pk_min_f16 v49, 0x7c00, v49 op_sel_hi:[0,1]
	v_pk_min_f16 v76, 0x7c00, v76 op_sel_hi:[0,1]
	v_pk_min_f16 v99, v39, v35
	v_pk_min_f16 v98, v69, v37
	;; [unrolled: 1-line block ×3, first 2 shown]
	v_pk_add_f16 v35, v5, v50
	v_pk_add_f16 v37, v7, v50
	;; [unrolled: 1-line block ×4, first 2 shown]
	v_pk_min_f16 v95, v72, v10
	v_pk_add_f16 v10, v17, v52
	v_pk_min_f16 v57, 0x7c00, v57 op_sel_hi:[0,1]
	v_pk_min_f16 v58, 0x7c00, v58 op_sel_hi:[0,1]
	;; [unrolled: 1-line block ×7, first 2 shown]
	v_pk_min_f16 v94, v73, v35
	v_pk_min_f16 v93, v74, v37
	;; [unrolled: 1-line block ×4, first 2 shown]
	v_pk_add_f16 v35, v19, v52
	v_pk_add_f16 v37, v13, v52
	;; [unrolled: 1-line block ×4, first 2 shown]
	v_pk_min_f16 v90, v76, v10
	v_pk_add_f16 v10, v7, v52
	v_pk_min_f16 v83, 0x7c00, v83 op_sel_hi:[0,1]
	v_pk_min_f16 v51, 0x7c00, v51 op_sel_hi:[0,1]
	;; [unrolled: 1-line block ×4, first 2 shown]
	v_pk_min_f16 v112, v57, v85
	v_pk_min_f16 v111, v58, v87
	;; [unrolled: 1-line block ×6, first 2 shown]
	v_pk_add_f16 v35, v1, v52
	v_pk_add_f16 v37, v3, v52
	;; [unrolled: 1-line block ×4, first 2 shown]
	v_pk_min_f16 v84, v82, v10
	v_pk_add_f16 v10, v13, v54
	v_pk_min_f16 v61, 0x7c00, v61 op_sel_hi:[0,1]
	v_pk_min_f16 v53, 0x7c00, v53 op_sel_hi:[0,1]
	v_pk_min_f16 v83, v83, v35
	v_pk_min_f16 v82, v51, v37
	;; [unrolled: 1-line block ×4, first 2 shown]
	v_pk_add_f16 v35, v15, v54
	v_pk_add_f16 v37, v5, v54
	;; [unrolled: 1-line block ×4, first 2 shown]
	v_pk_min_f16 v79, v117, v10
	v_pk_add_f16 v10, v3, v54
	v_pk_min_f16 v71, 0x7c00, v71 op_sel_hi:[0,1]
	v_pk_add_f16 v57, v17, v40
	v_pk_min_f16 v108, v61, v41
	v_pk_add_f16 v41, v7, v40
	v_pk_add_f16 v40, v13, v50
	v_pk_min_f16 v78, v118, v35
	v_pk_min_f16 v76, v119, v37
	;; [unrolled: 1-line block ×4, first 2 shown]
	v_pk_add_f16 v35, v17, v56
	v_pk_add_f16 v37, v19, v56
	;; [unrolled: 1-line block ×4, first 2 shown]
	v_pk_min_f16 v73, v53, v10
	v_pk_add_f16 v10, v5, v56
	v_pk_min_f16 v67, 0x7c00, v67 op_sel_hi:[0,1]
	v_pk_min_f16 v55, 0x7c00, v55 op_sel_hi:[0,1]
	v_pk_min_f16 v96, v71, v40
	v_pk_min_f16 v72, v122, v35
	v_pk_min_f16 v71, v123, v37
	v_pk_min_f16 v70, v124, v38
	v_pk_min_f16 v69, v125, v39
	v_pk_add_f16 v35, v7, v56
	v_pk_add_f16 v37, v1, v56
	v_pk_add_f16 v38, v3, v56
	v_pk_add_f16 v39, v17, v9
	v_pk_min_f16 v68, v126, v10
	v_pk_add_f16 v10, v19, v9
	v_pk_min_f16 v62, 0x7c00, v62 op_sel_hi:[0,1]
	v_pk_min_f16 v8, 0x7c00, v8 op_sel_hi:[0,1]
	v_pk_min_f16 v101, v67, v41
	v_pk_min_f16 v67, v127, v35
	;; [unrolled: 1-line block ×5, first 2 shown]
	v_pk_add_f16 v35, v13, v9
	v_pk_add_f16 v37, v15, v9
	;; [unrolled: 1-line block ×4, first 2 shown]
	v_pk_min_f16 v63, v130, v10
	v_pk_add_f16 v10, v1, v9
	v_pk_add_f16 v9, v3, v9
	v_pk_min_f16 v16, 0x7c00, v16 op_sel_hi:[0,1]
	v_pk_min_f16 v18, 0x7c00, v18 op_sel_hi:[0,1]
	;; [unrolled: 1-line block ×8, first 2 shown]
	v_pk_min_f16 v106, v62, v57
	v_pk_add_f16 v17, v17, v11
	v_pk_add_f16 v19, v19, v11
	;; [unrolled: 1-line block ×3, first 2 shown]
	v_pk_min_f16 v57, v8, v9
	v_pk_add_f16 v8, v15, v11
	v_pk_add_f16 v5, v5, v11
	;; [unrolled: 1-line block ×5, first 2 shown]
	v_pk_min_f16 v62, v131, v35
	v_pk_min_f16 v61, v132, v37
	;; [unrolled: 1-line block ×13, first 2 shown]
	s_cbranch_scc1 .LBB261_50
; %bb.28:
	v_mad_i64_i32 v[0:1], null, s26, v28, 0
	v_add_nc_u32_e32 v115, 0x1000, v34
	v_add_nc_u32_e32 v118, 0x1200, v34
	v_lshlrev_b64 v[32:33], 1, v[20:21]
	v_lshlrev_b64 v[34:35], 1, v[22:23]
	;; [unrolled: 1-line block ×3, first 2 shown]
	v_add_nc_u32_e32 v116, 0x1000, v77
	v_lshlrev_b64 v[0:1], 1, v[0:1]
	v_add_nc_u32_e32 v117, 0x800, v86
	v_lshl_add_u32 v119, v42, 3, 0x800
	v_lshl_add_u32 v120, v43, 3, 0x1200
	s_delay_alu instid0(VALU_DEP_4) | instskip(NEXT) | instid1(VALU_DEP_1)
	v_add_co_u32 v0, s8, v0, v36
	v_add_co_ci_u32_e64 v1, s8, 0, v1, s8
	v_lshlrev_b64 v[36:37], 1, v[24:25]
	s_delay_alu instid0(VALU_DEP_3) | instskip(NEXT) | instid1(VALU_DEP_1)
	v_add_co_u32 v0, s8, v0, s24
	v_add_co_ci_u32_e64 v1, s8, s25, v1, s8
	s_add_i32 s24, s18, -8
	s_delay_alu instid0(VALU_DEP_2) | instskip(NEXT) | instid1(VALU_DEP_1)
	v_add_co_u32 v40, s8, v0, 24
	v_add_co_ci_u32_e64 v41, s8, 0, v1, s8
	s_mov_b32 s25, 0
	s_branch .LBB261_30
.LBB261_29:                             ;   in Loop: Header=BB261_30 Depth=1
	s_or_b32 exec_lo, exec_lo, s8
	ds_load_2addr_b64 v[125:128], v46 offset1:32
	ds_load_2addr_b64 v[88:91], v116 offset1:8
	ds_load_2addr_b64 v[129:132], v46 offset0:64 offset1:96
	ds_load_2addr_b64 v[133:136], v46 offset0:128 offset1:160
	;; [unrolled: 1-line block ×6, first 2 shown]
	v_pk_max_f16 v11, v87, v87
	v_pk_max_f16 v15, v84, v84
	;; [unrolled: 1-line block ×13, first 2 shown]
	s_waitcnt lgkmcnt(6)
	v_pk_add_f16 v83, v125, v88
	v_pk_add_f16 v84, v127, v88
	s_waitcnt lgkmcnt(5)
	v_pk_add_f16 v85, v129, v88
	v_pk_add_f16 v87, v131, v88
	s_waitcnt lgkmcnt(4)
	v_pk_add_f16 v92, v133, v88
	v_pk_min_f16 v11, v11, v83
	v_pk_min_f16 v15, v15, v84
	;; [unrolled: 1-line block ×3, first 2 shown]
	v_pk_add_f16 v83, v125, v90
	v_pk_add_f16 v84, v127, v90
	;; [unrolled: 1-line block ×4, first 2 shown]
	s_waitcnt lgkmcnt(3)
	v_pk_add_f16 v94, v137, v88
	v_pk_min_f16 v73, v73, v83
	v_pk_min_f16 v71, v71, v84
	;; [unrolled: 1-line block ×3, first 2 shown]
	v_pk_add_f16 v83, v135, v90
	v_pk_add_f16 v84, v137, v90
	;; [unrolled: 1-line block ×4, first 2 shown]
	v_pk_min_f16 v19, v19, v87
	v_pk_add_f16 v87, v131, v90
	v_pk_max_f16 v76, v76, v76
	v_pk_min_f16 v68, v68, v83
	v_pk_min_f16 v66, v66, v84
	;; [unrolled: 1-line block ×3, first 2 shown]
	s_waitcnt lgkmcnt(2)
	v_pk_add_f16 v83, v129, v141
	v_pk_max_f16 v63, v63, v63
	v_pk_add_f16 v84, v131, v141
	v_pk_max_f16 v61, v61, v61
	v_pk_add_f16 v85, v133, v141
	v_pk_max_f16 v69, v69, v69
	v_pk_min_f16 v79, v79, v88
	v_pk_add_f16 v88, v133, v90
	v_pk_max_f16 v75, v75, v75
	v_pk_min_f16 v76, v76, v87
	v_pk_add_f16 v87, v125, v141
	v_pk_max_f16 v72, v72, v72
	v_pk_min_f16 v63, v63, v83
	v_pk_min_f16 v61, v61, v84
	v_pk_min_f16 v69, v69, v85
	v_pk_add_f16 v83, v139, v141
	v_pk_max_f16 v58, v58, v58
	v_pk_add_f16 v84, v125, v143
	v_pk_max_f16 v56, v56, v56
	v_pk_add_f16 v85, v127, v143
	v_pk_max_f16 v64, v64, v64
	v_pk_min_f16 v75, v75, v88
	v_pk_add_f16 v88, v127, v141
	v_pk_max_f16 v70, v70, v70
	v_pk_min_f16 v72, v72, v87
	v_pk_add_f16 v87, v135, v141
	v_pk_max_f16 v67, v67, v67
	v_pk_min_f16 v58, v58, v83
	v_pk_min_f16 v56, v56, v84
	v_pk_min_f16 v64, v64, v85
	;; [unrolled: 15-line block ×3, first 2 shown]
	s_waitcnt lgkmcnt(1)
	v_pk_add_f16 v83, v127, v145
	v_pk_max_f16 v31, v31, v31
	v_pk_add_f16 v84, v129, v145
	v_pk_max_f16 v29, v29, v29
	v_pk_add_f16 v85, v131, v145
	v_pk_max_f16 v54, v54, v54
	v_pk_min_f16 v65, v65, v88
	v_pk_add_f16 v88, v131, v143
	v_pk_max_f16 v60, v60, v60
	v_pk_min_f16 v62, v62, v87
	v_pk_add_f16 v87, v139, v143
	v_pk_max_f16 v57, v57, v57
	v_pk_min_f16 v31, v31, v83
	v_pk_min_f16 v29, v29, v84
	v_pk_min_f16 v54, v54, v85
	v_pk_add_f16 v83, v137, v145
	v_pk_max_f16 v26, v26, v26
	v_pk_add_f16 v84, v139, v145
	v_pk_max_f16 v24, v24, v24
	v_pk_add_f16 v85, v125, v147
	v_pk_max_f16 v49, v49, v49
	v_pk_min_f16 v60, v60, v88
	v_pk_add_f16 v88, v125, v145
	v_pk_max_f16 v55, v55, v55
	v_pk_min_f16 v57, v57, v87
	v_pk_add_f16 v87, v133, v145
	v_pk_max_f16 v52, v52, v52
	v_pk_min_f16 v26, v26, v83
	v_pk_min_f16 v24, v24, v84
	v_pk_min_f16 v49, v49, v85
	;; [unrolled: 15-line block ×3, first 2 shown]
	s_waitcnt lgkmcnt(0)
	v_pk_add_f16 v83, v125, v149
	v_pk_max_f16 v14, v14, v14
	v_pk_add_f16 v84, v127, v149
	v_pk_max_f16 v10, v10, v10
	;; [unrolled: 2-line block ×3, first 2 shown]
	v_pk_min_f16 v50, v50, v88
	v_pk_add_f16 v88, v129, v147
	v_pk_max_f16 v28, v28, v28
	v_pk_min_f16 v30, v30, v87
	v_pk_add_f16 v87, v137, v147
	v_pk_max_f16 v25, v25, v25
	v_pk_min_f16 v14, v14, v83
	v_pk_min_f16 v10, v10, v84
	;; [unrolled: 1-line block ×3, first 2 shown]
	v_pk_add_f16 v83, v135, v149
	v_pk_max_f16 v8, v8, v8
	v_pk_add_f16 v84, v137, v149
	v_pk_max_f16 v6, v6, v6
	;; [unrolled: 2-line block ×3, first 2 shown]
	v_pk_min_f16 v28, v28, v88
	v_pk_add_f16 v88, v139, v147
	v_pk_max_f16 v23, v23, v23
	v_pk_min_f16 v25, v25, v87
	v_pk_add_f16 v87, v131, v149
	v_pk_max_f16 v20, v20, v20
	v_pk_min_f16 v8, v8, v83
	v_pk_min_f16 v6, v6, v84
	;; [unrolled: 1-line block ×3, first 2 shown]
	v_pk_add_f16 v83, v129, v151
	v_pk_max_f16 v4, v4, v4
	v_pk_add_f16 v84, v131, v151
	v_pk_max_f16 v2, v2, v2
	;; [unrolled: 2-line block ×3, first 2 shown]
	v_pk_max_f16 v80, v80, v80
	v_pk_min_f16 v23, v23, v88
	v_pk_add_f16 v88, v133, v149
	v_pk_max_f16 v16, v16, v16
	v_pk_min_f16 v20, v20, v87
	v_pk_add_f16 v87, v125, v151
	v_pk_max_f16 v12, v12, v12
	v_pk_min_f16 v4, v4, v83
	v_pk_min_f16 v2, v2, v84
	;; [unrolled: 1-line block ×3, first 2 shown]
	v_pk_add_f16 v83, v139, v151
	v_pk_max_f16 v1, v1, v1
	v_pk_add_f16 v84, v126, v89
	v_pk_add_f16 v85, v128, v89
	v_pk_min_f16 v80, v80, v92
	v_pk_min_f16 v81, v81, v93
	v_pk_min_f16 v16, v16, v88
	v_pk_add_f16 v88, v127, v151
	v_pk_max_f16 v9, v9, v9
	v_pk_min_f16 v12, v12, v87
	v_pk_add_f16 v87, v135, v151
	v_pk_max_f16 v5, v5, v5
	v_pk_min_f16 v1, v1, v83
	v_pk_min_f16 v114, v11, v84
	;; [unrolled: 1-line block ×3, first 2 shown]
	v_pk_add_f16 v11, v134, v89
	v_pk_add_f16 v15, v136, v89
	v_pk_add_f16 v83, v126, v91
	v_pk_min_f16 v9, v9, v88
	v_pk_add_f16 v88, v137, v151
	v_pk_max_f16 v3, v3, v3
	v_pk_min_f16 v5, v5, v87
	v_pk_add_f16 v87, v130, v89
	v_pk_min_f16 v110, v80, v11
	v_pk_min_f16 v109, v81, v15
	;; [unrolled: 1-line block ×3, first 2 shown]
	v_pk_add_f16 v11, v128, v91
	v_pk_add_f16 v15, v130, v91
	v_pk_add_f16 v73, v136, v91
	v_pk_min_f16 v82, v82, v94
	v_pk_min_f16 v3, v3, v88
	v_pk_add_f16 v88, v132, v89
	v_pk_min_f16 v112, v17, v87
	v_pk_add_f16 v17, v138, v89
	v_pk_min_f16 v105, v71, v11
	v_pk_min_f16 v104, v78, v15
	v_pk_min_f16 v101, v68, v73
	v_pk_add_f16 v11, v138, v91
	v_pk_add_f16 v15, v140, v91
	v_pk_add_f16 v68, v130, v142
	v_pk_min_f16 v111, v19, v88
	v_pk_add_f16 v19, v140, v89
	v_pk_min_f16 v108, v82, v17
	v_pk_add_f16 v17, v132, v91
	v_pk_min_f16 v100, v66, v11
	v_pk_min_f16 v99, v74, v15
	v_pk_min_f16 v96, v63, v68
	v_pk_add_f16 v11, v132, v142
	v_pk_add_f16 v15, v134, v142
	v_pk_add_f16 v63, v140, v142
	;; [unrolled: 10-line block ×8, first 2 shown]
	v_pk_add_f16 v18, v136, v150
	v_pk_min_f16 v75, v50, v19
	v_pk_add_f16 v19, v130, v148
	v_pk_min_f16 v71, v30, v17
	;; [unrolled: 2-line block ×3, first 2 shown]
	v_pk_min_f16 v62, v22, v14
	v_pk_min_f16 v61, v20, v15
	;; [unrolled: 1-line block ×3, first 2 shown]
	v_pk_add_f16 v8, v138, v150
	v_pk_add_f16 v10, v140, v150
	;; [unrolled: 1-line block ×4, first 2 shown]
	v_pk_min_f16 v70, v28, v19
	v_pk_add_f16 v19, v140, v148
	v_pk_min_f16 v66, v25, v17
	v_pk_add_f16 v17, v134, v150
	v_pk_add_f16 v11, v126, v152
	v_pk_min_f16 v58, v6, v8
	v_pk_min_f16 v57, v13, v10
	;; [unrolled: 1-line block ×4, first 2 shown]
	v_pk_add_f16 v4, v132, v152
	v_pk_add_f16 v6, v134, v152
	;; [unrolled: 1-line block ×5, first 2 shown]
	v_add_co_u32 v40, s8, v40, 16
	v_pk_min_f16 v65, v23, v19
	v_pk_min_f16 v60, v16, v17
	;; [unrolled: 1-line block ×8, first 2 shown]
	v_add_co_ci_u32_e64 v41, s8, 0, v41, s8
	s_add_i32 s25, s25, 8
	ds_store_b16 v117, v121
	ds_store_b16 v117, v122 offset:512
	ds_store_b16 v117, v123 offset:1024
	;; [unrolled: 1-line block ×3, first 2 shown]
	ds_store_b16 v118, v0
	s_cmp_ge_i32 s25, s24
	s_waitcnt lgkmcnt(0)
	s_barrier
	buffer_gl0_inv
	s_cbranch_scc1 .LBB261_50
.LBB261_30:                             ; =>This Inner Loop Header: Depth=1
	v_add_nc_u32_e32 v0, s25, v45
	s_delay_alu instid0(VALU_DEP_1) | instskip(NEXT) | instid1(VALU_DEP_1)
	v_add_nc_u32_e32 v3, 8, v0
	v_min_i32_e32 v4, s21, v3
	v_cmp_le_i32_e64 s8, s18, v3
	s_delay_alu instid0(VALU_DEP_2) | instskip(NEXT) | instid1(VALU_DEP_1)
	v_mad_i64_i32 v[1:2], null, v4, s15, 0
	v_lshlrev_b64 v[1:2], 1, v[1:2]
	s_delay_alu instid0(VALU_DEP_1) | instskip(NEXT) | instid1(VALU_DEP_1)
	v_add_co_u32 v1, s9, s22, v1
	v_add_co_ci_u32_e64 v2, s9, s23, v2, s9
	s_or_b32 s9, vcc_lo, s8
	s_delay_alu instid0(SALU_CYCLE_1) | instskip(SKIP_1) | instid1(SALU_CYCLE_1)
	v_cndmask_b32_e64 v121, 0, 0x7c00, s9
	s_or_b32 s9, s3, s9
	s_xor_b32 s9, s9, -1
	s_delay_alu instid0(SALU_CYCLE_1)
	s_and_saveexec_b32 s26, s9
	s_cbranch_execz .LBB261_32
; %bb.31:                               ;   in Loop: Header=BB261_30 Depth=1
	v_add_co_u32 v3, s9, v1, v32
	s_delay_alu instid0(VALU_DEP_1)
	v_add_co_ci_u32_e64 v4, s9, v2, v33, s9
	flat_load_u16 v3, v[3:4]
	s_waitcnt vmcnt(0) lgkmcnt(0)
	v_mul_f16_e32 v121, v44, v3
.LBB261_32:                             ;   in Loop: Header=BB261_30 Depth=1
	s_or_b32 exec_lo, exec_lo, s26
	s_or_b32 s9, s4, s8
	s_delay_alu instid0(SALU_CYCLE_1) | instskip(SKIP_1) | instid1(SALU_CYCLE_1)
	v_cndmask_b32_e64 v122, 0, 0x7c00, s9
	s_or_b32 s9, s3, s9
	s_xor_b32 s9, s9, -1
	s_delay_alu instid0(SALU_CYCLE_1)
	s_and_saveexec_b32 s26, s9
	s_cbranch_execz .LBB261_34
; %bb.33:                               ;   in Loop: Header=BB261_30 Depth=1
	v_add_co_u32 v3, s9, v1, v34
	s_delay_alu instid0(VALU_DEP_1)
	v_add_co_ci_u32_e64 v4, s9, v2, v35, s9
	flat_load_u16 v3, v[3:4]
	s_waitcnt vmcnt(0) lgkmcnt(0)
	v_mul_f16_e32 v122, v44, v3
.LBB261_34:                             ;   in Loop: Header=BB261_30 Depth=1
	s_or_b32 exec_lo, exec_lo, s26
	s_or_b32 s9, s5, s8
	;; [unrolled: 17-line block ×3, first 2 shown]
	s_delay_alu instid0(SALU_CYCLE_1) | instskip(SKIP_1) | instid1(SALU_CYCLE_1)
	v_cndmask_b32_e64 v124, 0, 0x7c00, s8
	s_or_b32 s8, s3, s8
	s_xor_b32 s8, s8, -1
	s_delay_alu instid0(SALU_CYCLE_1)
	s_and_saveexec_b32 s9, s8
	s_cbranch_execz .LBB261_38
; %bb.37:                               ;   in Loop: Header=BB261_30 Depth=1
	v_add_co_u32 v1, s8, v1, v38
	s_delay_alu instid0(VALU_DEP_1)
	v_add_co_ci_u32_e64 v2, s8, v2, v39, s8
	flat_load_u16 v1, v[1:2]
	s_waitcnt vmcnt(0) lgkmcnt(0)
	v_mul_f16_e32 v124, v44, v1
.LBB261_38:                             ;   in Loop: Header=BB261_30 Depth=1
	s_or_b32 exec_lo, exec_lo, s9
	v_add_nc_u32_e32 v125, s25, v47
	s_delay_alu instid0(VALU_DEP_1) | instskip(NEXT) | instid1(VALU_DEP_1)
	v_add_nc_u32_e32 v1, 8, v125
	v_cmp_le_i32_e64 s8, s18, v1
	s_delay_alu instid0(VALU_DEP_1) | instskip(NEXT) | instid1(SALU_CYCLE_1)
	s_or_b32 s8, s8, s7
	v_cndmask_b32_e64 v126, 0, 0x7c00, s8
	s_or_b32 s8, s3, s8
	s_delay_alu instid0(SALU_CYCLE_1) | instskip(NEXT) | instid1(SALU_CYCLE_1)
	s_xor_b32 s8, s8, -1
	s_and_saveexec_b32 s9, s8
	s_cbranch_execz .LBB261_40
; %bb.39:                               ;   in Loop: Header=BB261_30 Depth=1
	v_add_co_u32 v1, s8, -8, v40
	s_delay_alu instid0(VALU_DEP_1)
	v_add_co_ci_u32_e64 v2, s8, -1, v41, s8
	flat_load_u16 v1, v[1:2]
	s_waitcnt vmcnt(0) lgkmcnt(0)
	v_mul_f16_e32 v126, v44, v1
.LBB261_40:                             ;   in Loop: Header=BB261_30 Depth=1
	s_or_b32 exec_lo, exec_lo, s9
	v_add_nc_u32_e32 v129, 12, v0
	ds_load_2addr_b64 v[16:19], v119 offset1:32
	ds_load_2addr_b64 v[12:15], v119 offset0:64 offset1:96
	v_min_i32_e32 v0, s21, v129
	v_cmp_le_i32_e64 s8, s18, v129
	s_delay_alu instid0(VALU_DEP_2)
	v_mad_i64_i32 v[127:128], null, v0, s15, 0
	ds_load_2addr_b64 v[4:7], v119 offset0:128 offset1:160
	ds_load_2addr_b64 v[0:3], v119 offset0:192 offset1:224
	ds_load_2addr_b64 v[28:31], v120 offset1:8
	ds_load_2addr_b64 v[24:27], v120 offset0:16 offset1:24
	ds_load_2addr_b64 v[20:23], v120 offset0:32 offset1:40
	;; [unrolled: 1-line block ×3, first 2 shown]
	ds_store_b16 v86, v121
	ds_store_b16 v86, v122 offset:512
	ds_store_b16 v86, v123 offset:1024
	;; [unrolled: 1-line block ×3, first 2 shown]
	ds_store_b16 v115, v126
	s_waitcnt lgkmcnt(0)
	s_barrier
	buffer_gl0_inv
	v_lshlrev_b64 v[127:128], 1, v[127:128]
	s_delay_alu instid0(VALU_DEP_1) | instskip(NEXT) | instid1(VALU_DEP_1)
	v_add_co_u32 v126, s9, s22, v127
	v_add_co_ci_u32_e64 v127, s9, s23, v128, s9
	s_or_b32 s9, vcc_lo, s8
	s_delay_alu instid0(SALU_CYCLE_1) | instskip(SKIP_1) | instid1(SALU_CYCLE_1)
	v_cndmask_b32_e64 v121, 0, 0x7c00, s9
	s_or_b32 s9, s3, s9
	s_xor_b32 s9, s9, -1
	s_delay_alu instid0(SALU_CYCLE_1) | instskip(NEXT) | instid1(SALU_CYCLE_1)
	s_and_saveexec_b32 s26, s9
	s_xor_b32 s26, exec_lo, s26
	s_cbranch_execz .LBB261_42
; %bb.41:                               ;   in Loop: Header=BB261_30 Depth=1
	v_add_co_u32 v121, s9, v126, v32
	s_delay_alu instid0(VALU_DEP_1)
	v_add_co_ci_u32_e64 v122, s9, v127, v33, s9
	flat_load_u16 v121, v[121:122]
	s_waitcnt vmcnt(0) lgkmcnt(0)
	v_mul_f16_e32 v121, v44, v121
.LBB261_42:                             ;   in Loop: Header=BB261_30 Depth=1
	s_or_b32 exec_lo, exec_lo, s26
	s_or_b32 s9, s4, s8
	s_delay_alu instid0(SALU_CYCLE_1) | instskip(SKIP_1) | instid1(SALU_CYCLE_1)
	v_cndmask_b32_e64 v122, 0, 0x7c00, s9
	s_or_b32 s9, s3, s9
	s_xor_b32 s9, s9, -1
	s_delay_alu instid0(SALU_CYCLE_1)
	s_and_saveexec_b32 s26, s9
	s_cbranch_execz .LBB261_44
; %bb.43:                               ;   in Loop: Header=BB261_30 Depth=1
	v_add_co_u32 v122, s9, v126, v34
	s_delay_alu instid0(VALU_DEP_1)
	v_add_co_ci_u32_e64 v123, s9, v127, v35, s9
	flat_load_u16 v122, v[122:123]
	s_waitcnt vmcnt(0) lgkmcnt(0)
	v_mul_f16_e32 v122, v44, v122
.LBB261_44:                             ;   in Loop: Header=BB261_30 Depth=1
	s_or_b32 exec_lo, exec_lo, s26
	s_or_b32 s9, s5, s8
	s_delay_alu instid0(SALU_CYCLE_1) | instskip(SKIP_1) | instid1(SALU_CYCLE_1)
	v_cndmask_b32_e64 v123, 0, 0x7c00, s9
	s_or_b32 s9, s3, s9
	s_xor_b32 s9, s9, -1
	s_delay_alu instid0(SALU_CYCLE_1)
	s_and_saveexec_b32 s26, s9
	;; [unrolled: 17-line block ×3, first 2 shown]
	s_cbranch_execz .LBB261_48
; %bb.47:                               ;   in Loop: Header=BB261_30 Depth=1
	v_add_co_u32 v126, s8, v126, v38
	s_delay_alu instid0(VALU_DEP_1)
	v_add_co_ci_u32_e64 v127, s8, v127, v39, s8
	flat_load_u16 v124, v[126:127]
	s_waitcnt vmcnt(0) lgkmcnt(0)
	v_mul_f16_e32 v124, v44, v124
.LBB261_48:                             ;   in Loop: Header=BB261_30 Depth=1
	s_or_b32 exec_lo, exec_lo, s9
	v_pk_add_f16 v126, v16, v28
	v_pk_max_f16 v114, v114, v114
	v_pk_add_f16 v127, v18, v28
	v_pk_max_f16 v113, v113, v113
	;; [unrolled: 2-line block ×3, first 2 shown]
	v_pk_add_f16 v129, v14, v28
	v_pk_min_f16 v114, v114, v126
	v_pk_min_f16 v113, v113, v127
	v_pk_add_f16 v126, v4, v28
	v_pk_min_f16 v112, v112, v128
	v_pk_add_f16 v127, v6, v28
	v_pk_add_f16 v128, v0, v28
	;; [unrolled: 1-line block ×3, first 2 shown]
	v_pk_max_f16 v107, v107, v107
	v_pk_max_f16 v111, v111, v111
	;; [unrolled: 1-line block ×5, first 2 shown]
	v_pk_min_f16 v28, v107, v28
	v_pk_add_f16 v107, v18, v30
	v_pk_min_f16 v111, v111, v129
	v_pk_max_f16 v108, v108, v108
	v_pk_add_f16 v129, v16, v30
	v_pk_max_f16 v106, v106, v106
	v_pk_min_f16 v110, v110, v126
	v_pk_min_f16 v109, v109, v127
	v_pk_add_f16 v126, v12, v30
	v_pk_max_f16 v104, v104, v104
	v_pk_add_f16 v127, v14, v30
	v_pk_max_f16 v103, v103, v103
	v_pk_min_f16 v105, v105, v107
	v_pk_add_f16 v107, v0, v30
	v_pk_max_f16 v100, v100, v100
	v_pk_min_f16 v108, v108, v128
	v_pk_min_f16 v106, v106, v129
	v_pk_add_f16 v128, v4, v30
	v_pk_max_f16 v102, v102, v102
	v_pk_add_f16 v129, v6, v30
	v_pk_min_f16 v104, v104, v126
	v_pk_min_f16 v103, v103, v127
	v_pk_add_f16 v30, v2, v30
	v_pk_max_f16 v99, v99, v99
	v_pk_add_f16 v126, v16, v24
	v_pk_max_f16 v98, v98, v98
	;; [unrolled: 2-line block ×3, first 2 shown]
	v_pk_min_f16 v100, v100, v107
	v_pk_add_f16 v107, v4, v24
	v_pk_max_f16 v94, v94, v94
	v_pk_min_f16 v102, v102, v128
	v_pk_add_f16 v128, v12, v24
	v_pk_min_f16 v30, v99, v30
	v_pk_min_f16 v98, v98, v126
	;; [unrolled: 1-line block ×3, first 2 shown]
	v_pk_add_f16 v99, v14, v24
	v_pk_max_f16 v95, v95, v95
	v_pk_add_f16 v126, v6, v24
	v_pk_max_f16 v93, v93, v93
	;; [unrolled: 2-line block ×4, first 2 shown]
	v_pk_min_f16 v94, v94, v107
	v_pk_add_f16 v107, v12, v26
	v_pk_max_f16 v88, v88, v88
	v_pk_min_f16 v95, v95, v99
	v_pk_min_f16 v93, v93, v126
	;; [unrolled: 1-line block ×4, first 2 shown]
	v_pk_add_f16 v91, v16, v26
	v_pk_max_f16 v90, v90, v90
	v_pk_add_f16 v99, v18, v26
	v_pk_max_f16 v89, v89, v89
	v_pk_add_f16 v126, v14, v26
	v_pk_max_f16 v87, v87, v87
	v_pk_add_f16 v127, v4, v26
	v_pk_max_f16 v85, v85, v85
	v_pk_min_f16 v88, v88, v107
	v_pk_add_f16 v107, v16, v20
	v_pk_max_f16 v81, v81, v81
	v_pk_max_f16 v96, v96, v96
	v_pk_min_f16 v90, v90, v91
	v_pk_min_f16 v89, v89, v99
	;; [unrolled: 1-line block ×4, first 2 shown]
	v_pk_add_f16 v85, v6, v26
	v_pk_max_f16 v84, v84, v84
	v_pk_add_f16 v87, v0, v26
	v_pk_max_f16 v83, v83, v83
	;; [unrolled: 2-line block ×3, first 2 shown]
	v_pk_min_f16 v107, v81, v107
	v_pk_add_f16 v81, v14, v20
	v_pk_max_f16 v78, v78, v78
	v_pk_min_f16 v96, v96, v128
	v_pk_min_f16 v127, v84, v85
	;; [unrolled: 1-line block ×4, first 2 shown]
	v_pk_add_f16 v82, v4, v20
	v_pk_max_f16 v76, v76, v76
	v_pk_add_f16 v83, v6, v20
	v_pk_max_f16 v75, v75, v75
	;; [unrolled: 2-line block ×3, first 2 shown]
	v_pk_min_f16 v130, v78, v81
	v_pk_add_f16 v78, v14, v22
	v_pk_max_f16 v69, v69, v69
	v_pk_min_f16 v131, v76, v82
	v_pk_min_f16 v132, v75, v83
	;; [unrolled: 1-line block ×3, first 2 shown]
	v_pk_add_f16 v74, v16, v22
	v_pk_max_f16 v72, v72, v72
	v_pk_add_f16 v75, v18, v22
	v_pk_max_f16 v71, v71, v71
	;; [unrolled: 2-line block ×3, first 2 shown]
	v_pk_min_f16 v137, v69, v78
	v_pk_add_f16 v69, v4, v22
	v_pk_max_f16 v68, v68, v68
	v_pk_min_f16 v134, v72, v74
	v_pk_min_f16 v135, v71, v75
	;; [unrolled: 1-line block ×3, first 2 shown]
	v_pk_add_f16 v70, v6, v22
	v_pk_max_f16 v67, v67, v67
	v_pk_add_f16 v71, v0, v22
	v_pk_max_f16 v66, v66, v66
	;; [unrolled: 2-line block ×4, first 2 shown]
	v_pk_min_f16 v138, v68, v69
	v_pk_add_f16 v68, v6, v8
	v_pk_max_f16 v59, v59, v59
	v_pk_add_f16 v126, v18, v20
	v_pk_max_f16 v80, v80, v80
	v_pk_min_f16 v139, v67, v70
	v_pk_min_f16 v140, v66, v71
	;; [unrolled: 1-line block ×4, first 2 shown]
	v_pk_add_f16 v64, v18, v8
	v_pk_add_f16 v65, v12, v8
	;; [unrolled: 1-line block ×4, first 2 shown]
	v_pk_min_f16 v146, v59, v68
	v_pk_add_f16 v59, v0, v8
	v_pk_add_f16 v8, v2, v8
	v_pk_max_f16 v57, v57, v57
	v_pk_min_f16 v126, v80, v126
	v_pk_add_f16 v80, v12, v20
	v_pk_add_f16 v20, v2, v20
	;; [unrolled: 1-line block ×3, first 2 shown]
	v_pk_max_f16 v55, v55, v55
	v_pk_add_f16 v18, v18, v10
	v_pk_add_f16 v12, v12, v10
	v_pk_min_f16 v148, v57, v8
	v_pk_add_f16 v8, v14, v10
	v_pk_add_f16 v4, v4, v10
	v_pk_add_f16 v6, v6, v10
	v_pk_add_f16 v0, v0, v10
	v_pk_add_f16 v2, v2, v10
	v_pk_max_f16 v10, v49, v49
	v_pk_min_f16 v149, v55, v16
	v_pk_max_f16 v14, v54, v54
	v_pk_max_f16 v16, v52, v52
	;; [unrolled: 1-line block ×3, first 2 shown]
	v_pk_min_f16 v155, v10, v2
	v_pk_add_f16 v2, v17, v29
	v_pk_min_f16 v153, v14, v4
	v_pk_min_f16 v154, v16, v6
	v_pk_add_f16 v4, v19, v29
	v_pk_add_f16 v6, v13, v29
	v_pk_min_f16 v87, v114, v2
	v_pk_add_f16 v2, v7, v29
	v_pk_max_f16 v101, v101, v101
	v_pk_max_f16 v79, v79, v79
	v_pk_min_f16 v151, v51, v12
	v_pk_max_f16 v12, v56, v56
	v_pk_min_f16 v84, v113, v4
	v_pk_min_f16 v82, v112, v6
	v_pk_add_f16 v4, v1, v29
	v_pk_add_f16 v6, v3, v29
	v_pk_min_f16 v85, v109, v2
	v_pk_add_f16 v2, v13, v31
	v_pk_min_f16 v101, v101, v129
	v_pk_min_f16 v129, v79, v80
	;; [unrolled: 1-line block ×3, first 2 shown]
	v_pk_add_f16 v8, v15, v29
	v_pk_add_f16 v10, v5, v29
	v_pk_min_f16 v83, v108, v4
	v_pk_min_f16 v79, v28, v6
	v_pk_add_f16 v4, v15, v31
	v_pk_add_f16 v6, v5, v31
	v_pk_min_f16 v78, v104, v2
	v_pk_add_f16 v2, v3, v31
	v_pk_max_f16 v73, v73, v73
	v_pk_min_f16 v81, v111, v8
	v_pk_min_f16 v80, v110, v10
	v_pk_add_f16 v8, v17, v31
	v_pk_add_f16 v10, v19, v31
	v_pk_min_f16 v76, v103, v4
	v_pk_min_f16 v75, v102, v6
	v_pk_add_f16 v4, v17, v25
	v_pk_add_f16 v6, v19, v25
	v_pk_min_f16 v74, v30, v2
	v_pk_add_f16 v2, v5, v25
	v_pk_min_f16 v20, v73, v20
	v_pk_max_f16 v63, v63, v63
	v_pk_max_f16 v62, v62, v62
	;; [unrolled: 1-line block ×4, first 2 shown]
	v_pk_min_f16 v73, v106, v8
	v_pk_min_f16 v71, v105, v10
	v_pk_add_f16 v8, v7, v31
	v_pk_add_f16 v10, v1, v31
	v_pk_min_f16 v72, v98, v4
	v_pk_min_f16 v70, v97, v6
	v_pk_add_f16 v4, v7, v25
	v_pk_add_f16 v6, v1, v25
	v_pk_min_f16 v69, v94, v2
	v_pk_add_f16 v2, v19, v27
	v_pk_min_f16 v142, v63, v64
	v_pk_min_f16 v143, v62, v65
	;; [unrolled: 1-line block ×4, first 2 shown]
	v_pk_max_f16 v58, v58, v58
	v_pk_min_f16 v68, v101, v8
	v_pk_min_f16 v66, v100, v10
	v_pk_add_f16 v8, v13, v25
	v_pk_add_f16 v10, v15, v25
	v_pk_min_f16 v67, v93, v4
	v_pk_min_f16 v65, v92, v6
	v_pk_add_f16 v4, v13, v27
	v_pk_add_f16 v6, v15, v27
	v_pk_min_f16 v64, v89, v2
	v_pk_add_f16 v2, v1, v27
	v_pk_min_f16 v147, v58, v59
	v_pk_min_f16 v63, v96, v8
	;; [unrolled: 1-line block ×3, first 2 shown]
	v_pk_add_f16 v8, v3, v25
	v_pk_add_f16 v10, v17, v27
	v_pk_min_f16 v62, v88, v4
	v_pk_min_f16 v60, v91, v6
	v_pk_add_f16 v4, v3, v27
	v_pk_add_f16 v6, v17, v21
	v_pk_min_f16 v59, v128, v2
	v_pk_add_f16 v2, v15, v21
	v_pk_max_f16 v53, v53, v53
	v_pk_min_f16 v58, v24, v8
	v_pk_min_f16 v56, v90, v10
	v_pk_add_f16 v8, v5, v27
	v_pk_add_f16 v10, v7, v27
	v_pk_min_f16 v57, v26, v4
	v_pk_min_f16 v55, v107, v6
	v_pk_add_f16 v4, v5, v21
	v_pk_add_f16 v6, v7, v21
	v_pk_min_f16 v54, v130, v2
	v_pk_add_f16 v2, v17, v23
	v_pk_min_f16 v150, v53, v18
	v_pk_max_f16 v18, v50, v50
	v_pk_min_f16 v53, v99, v8
	v_pk_min_f16 v51, v127, v10
	v_pk_add_f16 v8, v19, v21
	v_pk_add_f16 v10, v13, v21
	v_pk_min_f16 v52, v131, v4
	v_pk_min_f16 v50, v132, v6
	v_pk_add_f16 v4, v19, v23
	v_pk_add_f16 v6, v13, v23
	v_pk_min_f16 v49, v134, v2
	v_pk_add_f16 v2, v7, v23
	v_pk_min_f16 v31, v126, v8
	v_pk_min_f16 v29, v129, v10
	v_pk_add_f16 v8, v1, v21
	v_pk_add_f16 v10, v3, v21
	v_pk_min_f16 v30, v135, v4
	v_pk_min_f16 v28, v136, v6
	v_pk_add_f16 v4, v1, v23
	v_pk_add_f16 v6, v3, v23
	v_pk_min_f16 v27, v139, v2
	v_pk_add_f16 v2, v13, v9
	v_pk_min_f16 v26, v133, v8
	v_pk_min_f16 v24, v20, v10
	v_pk_add_f16 v8, v15, v23
	v_pk_add_f16 v10, v5, v23
	v_pk_min_f16 v25, v140, v4
	v_pk_min_f16 v23, v22, v6
	v_pk_add_f16 v4, v15, v9
	v_pk_min_f16 v22, v143, v2
	v_pk_add_f16 v2, v3, v9
	v_pk_add_f16 v15, v15, v11
	v_pk_min_f16 v21, v137, v8
	v_pk_add_f16 v8, v17, v9
	v_pk_min_f16 v20, v144, v4
	v_pk_add_f16 v4, v17, v11
	v_pk_add_f16 v17, v13, v11
	v_pk_min_f16 v13, v148, v2
	v_pk_min_f16 v2, v152, v15
	v_add_nc_u32_e32 v15, 12, v125
	v_pk_add_f16 v6, v5, v9
	v_pk_add_f16 v12, v1, v9
	v_pk_min_f16 v0, v18, v0
	v_pk_min_f16 v18, v138, v10
	v_cmp_le_i32_e64 s8, s18, v15
	v_pk_add_f16 v10, v19, v9
	v_pk_min_f16 v14, v141, v8
	v_pk_add_f16 v8, v7, v9
	v_pk_min_f16 v16, v145, v6
	v_pk_min_f16 v6, v147, v12
	v_pk_add_f16 v9, v19, v11
	v_pk_min_f16 v12, v149, v4
	v_pk_min_f16 v4, v151, v17
	v_pk_add_f16 v5, v5, v11
	v_pk_add_f16 v17, v7, v11
	;; [unrolled: 1-line block ×4, first 2 shown]
	s_or_b32 s8, s8, s7
	v_pk_min_f16 v10, v142, v10
	v_pk_min_f16 v8, v146, v8
	;; [unrolled: 1-line block ×7, first 2 shown]
	v_cndmask_b32_e64 v0, 0, 0x7c00, s8
	s_or_b32 s8, s3, s8
	s_delay_alu instid0(SALU_CYCLE_1) | instskip(NEXT) | instid1(SALU_CYCLE_1)
	s_xor_b32 s9, s8, -1
	s_and_saveexec_b32 s8, s9
	s_cbranch_execz .LBB261_29
; %bb.49:                               ;   in Loop: Header=BB261_30 Depth=1
	flat_load_u16 v0, v[40:41]
	s_waitcnt vmcnt(0) lgkmcnt(0)
	v_mul_f16_e32 v0, v44, v0
	s_branch .LBB261_29
.LBB261_50:
	s_clause 0x2
	s_load_b64 s[4:5], s[0:1], 0x78
	s_load_b32 s15, s[0:1], 0x58
	s_load_b32 s9, s[0:1], 0x70
	v_add_nc_u32_e32 v0, 0x800, v46
	v_add_nc_u32_e32 v86, s19, v43
	;; [unrolled: 1-line block ×4, first 2 shown]
	ds_load_2addr_b64 v[16:19], v0 offset1:32
	ds_load_2addr_b64 v[12:15], v0 offset0:64 offset1:96
	ds_load_2addr_b64 v[8:11], v0 offset0:128 offset1:160
	;; [unrolled: 1-line block ×7, first 2 shown]
	v_cmp_gt_i32_e64 s8, s17, v86
	v_cndmask_b32_e64 v77, 0, 1, s2
	v_cmp_gt_i32_e64 s0, s16, v32
	v_ashrrev_i32_e32 v33, 31, v32
	s_waitcnt lgkmcnt(0)
	s_mul_i32 s1, s20, s5
	v_mad_i64_i32 v[34:35], null, v86, s15, 0
	v_mad_i64_i32 v[36:37], null, v86, s9, 0
	s_mul_hi_u32 s3, s20, s4
	s_mul_i32 s4, s20, s4
	s_add_i32 s5, s3, s1
	s_delay_alu instid0(SALU_CYCLE_1) | instskip(NEXT) | instid1(VALU_DEP_2)
	s_lshl_b64 s[4:5], s[4:5], 1
	v_lshlrev_b64 v[34:35], 1, v[34:35]
	s_delay_alu instid0(VALU_DEP_2) | instskip(SKIP_3) | instid1(VALU_DEP_2)
	v_lshlrev_b64 v[36:37], 1, v[36:37]
	s_add_u32 s10, s10, s4
	s_addc_u32 s11, s11, s5
	s_and_b32 s1, s0, s8
	v_add_co_u32 v117, vcc_lo, s12, v34
	v_add_co_ci_u32_e32 v118, vcc_lo, s13, v35, vcc_lo
	v_add_co_u32 v115, vcc_lo, s10, v36
	v_add_co_ci_u32_e32 v116, vcc_lo, s11, v37, vcc_lo
	s_and_saveexec_b32 s3, s1
	s_delay_alu instid0(SALU_CYCLE_1)
	s_xor_b32 s1, exec_lo, s3
	s_cbranch_execz .LBB261_55
; %bb.51:
	s_and_not1_b32 vcc_lo, exec_lo, s2
	s_cbranch_vccnz .LBB261_53
; %bb.52:
	v_lshlrev_b64 v[34:35], 1, v[32:33]
	s_delay_alu instid0(VALU_DEP_1) | instskip(NEXT) | instid1(VALU_DEP_2)
	v_add_co_u32 v34, vcc_lo, v117, v34
	v_add_co_ci_u32_e32 v35, vcc_lo, v118, v35, vcc_lo
	flat_load_u16 v34, v[34:35]
	s_waitcnt vmcnt(0) lgkmcnt(0)
	v_mul_f16_e32 v34, v48, v34
	s_branch .LBB261_54
.LBB261_53:
	v_mov_b32_e32 v34, 0
.LBB261_54:
	v_pk_add_f16 v35, v16, v28
	v_pk_max_f16 v36, v114, v114
	v_pk_add_f16 v37, v17, v29
	s_delay_alu instid0(VALU_DEP_2) | instskip(NEXT) | instid1(VALU_DEP_1)
	v_pk_min_f16 v35, v36, v35
	v_pk_min_f16 v37, v35, v37
	v_lshlrev_b64 v[35:36], 1, v[32:33]
	s_delay_alu instid0(VALU_DEP_2) | instskip(NEXT) | instid1(VALU_DEP_1)
	v_lshrrev_b32_e32 v38, 16, v37
	v_min3_f16 v37, v34, v37, v38
	s_delay_alu instid0(VALU_DEP_3) | instskip(NEXT) | instid1(VALU_DEP_4)
	v_add_co_u32 v34, vcc_lo, v115, v35
	v_add_co_ci_u32_e32 v35, vcc_lo, v116, v36, vcc_lo
	global_store_b16 v[34:35], v37, off
.LBB261_55:
	s_or_b32 exec_lo, exec_lo, s1
	v_add_nc_u32_e32 v34, 32, v32
	s_delay_alu instid0(VALU_DEP_1) | instskip(SKIP_1) | instid1(VALU_DEP_2)
	v_cmp_gt_i32_e64 s1, s16, v34
	v_ashrrev_i32_e32 v35, 31, v34
	s_and_b32 s3, s1, s8
	s_delay_alu instid0(SALU_CYCLE_1)
	s_and_saveexec_b32 s2, s3
	s_cbranch_execz .LBB261_60
; %bb.56:
	v_cmp_ne_u32_e32 vcc_lo, 1, v77
	s_cbranch_vccnz .LBB261_58
; %bb.57:
	v_lshlrev_b64 v[36:37], 1, v[34:35]
	s_delay_alu instid0(VALU_DEP_1) | instskip(NEXT) | instid1(VALU_DEP_2)
	v_add_co_u32 v36, vcc_lo, v117, v36
	v_add_co_ci_u32_e32 v37, vcc_lo, v118, v37, vcc_lo
	flat_load_u16 v36, v[36:37]
	s_waitcnt vmcnt(0) lgkmcnt(0)
	v_mul_f16_e32 v36, v48, v36
	s_branch .LBB261_59
.LBB261_58:
	v_mov_b32_e32 v36, 0
.LBB261_59:
	v_pk_add_f16 v37, v18, v28
	v_pk_max_f16 v38, v113, v113
	v_pk_add_f16 v39, v19, v29
	s_delay_alu instid0(VALU_DEP_2) | instskip(NEXT) | instid1(VALU_DEP_1)
	v_pk_min_f16 v37, v38, v37
	v_pk_min_f16 v39, v37, v39
	v_lshlrev_b64 v[37:38], 1, v[34:35]
	s_delay_alu instid0(VALU_DEP_2) | instskip(NEXT) | instid1(VALU_DEP_1)
	v_lshrrev_b32_e32 v40, 16, v39
	v_min3_f16 v39, v36, v39, v40
	s_delay_alu instid0(VALU_DEP_3) | instskip(NEXT) | instid1(VALU_DEP_4)
	v_add_co_u32 v36, vcc_lo, v115, v37
	v_add_co_ci_u32_e32 v37, vcc_lo, v116, v38, vcc_lo
	global_store_b16 v[36:37], v39, off
.LBB261_60:
	s_or_b32 exec_lo, exec_lo, s2
	v_add_nc_u32_e32 v36, 64, v32
	s_delay_alu instid0(VALU_DEP_1) | instskip(SKIP_1) | instid1(VALU_DEP_2)
	v_cmp_gt_i32_e64 s2, s16, v36
	v_ashrrev_i32_e32 v37, 31, v36
	s_and_b32 s4, s2, s8
	s_delay_alu instid0(SALU_CYCLE_1)
	s_and_saveexec_b32 s3, s4
	s_cbranch_execz .LBB261_65
; %bb.61:
	v_cmp_ne_u32_e32 vcc_lo, 1, v77
	s_cbranch_vccnz .LBB261_63
; %bb.62:
	v_lshlrev_b64 v[38:39], 1, v[36:37]
	s_delay_alu instid0(VALU_DEP_1) | instskip(NEXT) | instid1(VALU_DEP_2)
	v_add_co_u32 v38, vcc_lo, v117, v38
	v_add_co_ci_u32_e32 v39, vcc_lo, v118, v39, vcc_lo
	flat_load_u16 v38, v[38:39]
	s_waitcnt vmcnt(0) lgkmcnt(0)
	v_mul_f16_e32 v38, v48, v38
	s_branch .LBB261_64
.LBB261_63:
	v_mov_b32_e32 v38, 0
.LBB261_64:
	v_pk_add_f16 v39, v12, v28
	v_pk_max_f16 v40, v112, v112
	v_pk_add_f16 v41, v13, v29
	s_delay_alu instid0(VALU_DEP_2) | instskip(NEXT) | instid1(VALU_DEP_1)
	v_pk_min_f16 v39, v40, v39
	v_pk_min_f16 v41, v39, v41
	v_lshlrev_b64 v[39:40], 1, v[36:37]
	s_delay_alu instid0(VALU_DEP_2) | instskip(NEXT) | instid1(VALU_DEP_1)
	v_lshrrev_b32_e32 v42, 16, v41
	v_min3_f16 v41, v38, v41, v42
	s_delay_alu instid0(VALU_DEP_3) | instskip(NEXT) | instid1(VALU_DEP_4)
	v_add_co_u32 v38, vcc_lo, v115, v39
	v_add_co_ci_u32_e32 v39, vcc_lo, v116, v40, vcc_lo
	global_store_b16 v[38:39], v41, off
.LBB261_65:
	;; [unrolled: 39-line block ×6, first 2 shown]
	s_or_b32 exec_lo, exec_lo, s7
	v_add_nc_u32_e32 v46, 0xe0, v32
	s_delay_alu instid0(VALU_DEP_1) | instskip(SKIP_1) | instid1(VALU_DEP_2)
	v_cmp_gt_i32_e64 s7, s16, v46
	v_ashrrev_i32_e32 v47, 31, v46
	s_and_b32 s14, s7, s8
	s_delay_alu instid0(SALU_CYCLE_1)
	s_and_saveexec_b32 s8, s14
	s_cbranch_execz .LBB261_90
; %bb.86:
	v_cmp_ne_u32_e32 vcc_lo, 1, v77
	s_cbranch_vccnz .LBB261_88
; %bb.87:
	v_lshlrev_b64 v[108:109], 1, v[46:47]
	s_delay_alu instid0(VALU_DEP_1) | instskip(NEXT) | instid1(VALU_DEP_2)
	v_add_co_u32 v108, vcc_lo, v117, v108
	v_add_co_ci_u32_e32 v109, vcc_lo, v118, v109, vcc_lo
	flat_load_u16 v108, v[108:109]
	s_waitcnt vmcnt(0) lgkmcnt(0)
	v_mul_f16_e32 v108, v48, v108
	s_branch .LBB261_89
.LBB261_88:
	v_mov_b32_e32 v108, 0
.LBB261_89:
	v_pk_add_f16 v28, v2, v28
	v_pk_max_f16 v107, v107, v107
	v_pk_add_f16 v29, v3, v29
	s_delay_alu instid0(VALU_DEP_2) | instskip(NEXT) | instid1(VALU_DEP_1)
	v_pk_min_f16 v28, v107, v28
	v_pk_min_f16 v107, v28, v29
	v_lshlrev_b64 v[28:29], 1, v[46:47]
	s_delay_alu instid0(VALU_DEP_2) | instskip(NEXT) | instid1(VALU_DEP_2)
	v_lshrrev_b32_e32 v109, 16, v107
	v_add_co_u32 v28, vcc_lo, v115, v28
	s_delay_alu instid0(VALU_DEP_3) | instskip(NEXT) | instid1(VALU_DEP_3)
	v_add_co_ci_u32_e32 v29, vcc_lo, v116, v29, vcc_lo
	v_min3_f16 v107, v108, v107, v109
	global_store_b16 v[28:29], v107, off
.LBB261_90:
	s_or_b32 exec_lo, exec_lo, s8
	v_add_nc_u32_e32 v109, 8, v86
	s_delay_alu instid0(VALU_DEP_1) | instskip(SKIP_2) | instid1(VALU_DEP_3)
	v_mad_i64_i32 v[28:29], null, v109, s15, 0
	v_mad_i64_i32 v[107:108], null, v109, s9, 0
	v_cmp_gt_i32_e64 s8, s17, v109
	v_lshlrev_b64 v[28:29], 1, v[28:29]
	s_delay_alu instid0(VALU_DEP_2) | instskip(NEXT) | instid1(VALU_DEP_3)
	s_and_b32 s16, s0, s8
	v_lshlrev_b64 v[109:110], 1, v[107:108]
	s_delay_alu instid0(VALU_DEP_2) | instskip(NEXT) | instid1(VALU_DEP_3)
	v_add_co_u32 v107, vcc_lo, s12, v28
	v_add_co_ci_u32_e32 v108, vcc_lo, s13, v29, vcc_lo
	s_delay_alu instid0(VALU_DEP_3) | instskip(NEXT) | instid1(VALU_DEP_4)
	v_add_co_u32 v28, vcc_lo, s10, v109
	v_add_co_ci_u32_e32 v29, vcc_lo, s11, v110, vcc_lo
	s_and_saveexec_b32 s14, s16
	s_cbranch_execnz .LBB261_98
; %bb.91:
	s_or_b32 exec_lo, exec_lo, s14
	s_and_b32 s16, s1, s8
	s_delay_alu instid0(SALU_CYCLE_1)
	s_and_saveexec_b32 s14, s16
	s_cbranch_execnz .LBB261_102
.LBB261_92:
	s_or_b32 exec_lo, exec_lo, s14
	s_and_b32 s16, s2, s8
	s_delay_alu instid0(SALU_CYCLE_1)
	s_and_saveexec_b32 s14, s16
	s_cbranch_execnz .LBB261_106
.LBB261_93:
	s_or_b32 exec_lo, exec_lo, s14
	s_and_b32 s16, s3, s8
	s_delay_alu instid0(SALU_CYCLE_1)
	s_and_saveexec_b32 s14, s16
	s_cbranch_execnz .LBB261_110
.LBB261_94:
	s_or_b32 exec_lo, exec_lo, s14
	s_and_b32 s16, s4, s8
	s_delay_alu instid0(SALU_CYCLE_1)
	s_and_saveexec_b32 s14, s16
	s_cbranch_execnz .LBB261_114
.LBB261_95:
	s_or_b32 exec_lo, exec_lo, s14
	s_and_b32 s16, s5, s8
	s_delay_alu instid0(SALU_CYCLE_1)
	s_and_saveexec_b32 s14, s16
	s_cbranch_execnz .LBB261_118
.LBB261_96:
	s_or_b32 exec_lo, exec_lo, s14
	s_and_b32 s16, s6, s8
	s_delay_alu instid0(SALU_CYCLE_1)
	s_and_saveexec_b32 s14, s16
	s_cbranch_execnz .LBB261_122
.LBB261_97:
	s_or_b32 exec_lo, exec_lo, s14
	s_and_b32 s14, s7, s8
	s_delay_alu instid0(SALU_CYCLE_1)
	s_and_saveexec_b32 s8, s14
	s_cbranch_execnz .LBB261_126
	s_branch .LBB261_130
.LBB261_98:
	v_cmp_ne_u32_e32 vcc_lo, 1, v77
	s_cbranch_vccnz .LBB261_100
; %bb.99:
	v_lshlrev_b64 v[109:110], 1, v[32:33]
	s_delay_alu instid0(VALU_DEP_1) | instskip(NEXT) | instid1(VALU_DEP_2)
	v_add_co_u32 v109, vcc_lo, v107, v109
	v_add_co_ci_u32_e32 v110, vcc_lo, v108, v110, vcc_lo
	flat_load_u16 v109, v[109:110]
	s_waitcnt vmcnt(0) lgkmcnt(0)
	v_mul_f16_e32 v109, v48, v109
	s_branch .LBB261_101
.LBB261_100:
	v_mov_b32_e32 v109, 0
.LBB261_101:
	v_pk_add_f16 v110, v16, v30
	v_pk_max_f16 v106, v106, v106
	v_pk_add_f16 v111, v17, v31
	s_delay_alu instid0(VALU_DEP_2) | instskip(NEXT) | instid1(VALU_DEP_1)
	v_pk_min_f16 v106, v106, v110
	v_pk_min_f16 v106, v106, v111
	v_lshlrev_b64 v[110:111], 1, v[32:33]
	s_delay_alu instid0(VALU_DEP_2) | instskip(NEXT) | instid1(VALU_DEP_1)
	v_lshrrev_b32_e32 v112, 16, v106
	v_min3_f16 v106, v109, v106, v112
	s_delay_alu instid0(VALU_DEP_3) | instskip(NEXT) | instid1(VALU_DEP_4)
	v_add_co_u32 v109, vcc_lo, v28, v110
	v_add_co_ci_u32_e32 v110, vcc_lo, v29, v111, vcc_lo
	global_store_b16 v[109:110], v106, off
	s_or_b32 exec_lo, exec_lo, s14
	s_and_b32 s16, s1, s8
	s_delay_alu instid0(SALU_CYCLE_1)
	s_and_saveexec_b32 s14, s16
	s_cbranch_execz .LBB261_92
.LBB261_102:
	v_cmp_ne_u32_e32 vcc_lo, 1, v77
	s_cbranch_vccnz .LBB261_104
; %bb.103:
	v_lshlrev_b64 v[109:110], 1, v[34:35]
	s_delay_alu instid0(VALU_DEP_1) | instskip(NEXT) | instid1(VALU_DEP_2)
	v_add_co_u32 v109, vcc_lo, v107, v109
	v_add_co_ci_u32_e32 v110, vcc_lo, v108, v110, vcc_lo
	flat_load_u16 v106, v[109:110]
	s_waitcnt vmcnt(0) lgkmcnt(0)
	v_mul_f16_e32 v106, v48, v106
	s_branch .LBB261_105
.LBB261_104:
	v_mov_b32_e32 v106, 0
.LBB261_105:
	v_pk_add_f16 v109, v18, v30
	v_pk_max_f16 v105, v105, v105
	v_pk_add_f16 v110, v19, v31
	s_delay_alu instid0(VALU_DEP_2) | instskip(NEXT) | instid1(VALU_DEP_1)
	v_pk_min_f16 v105, v105, v109
	v_pk_min_f16 v105, v105, v110
	v_lshlrev_b64 v[109:110], 1, v[34:35]
	s_delay_alu instid0(VALU_DEP_2) | instskip(NEXT) | instid1(VALU_DEP_1)
	v_lshrrev_b32_e32 v111, 16, v105
	v_min3_f16 v111, v106, v105, v111
	s_delay_alu instid0(VALU_DEP_3) | instskip(NEXT) | instid1(VALU_DEP_4)
	v_add_co_u32 v105, vcc_lo, v28, v109
	v_add_co_ci_u32_e32 v106, vcc_lo, v29, v110, vcc_lo
	global_store_b16 v[105:106], v111, off
	s_or_b32 exec_lo, exec_lo, s14
	s_and_b32 s16, s2, s8
	s_delay_alu instid0(SALU_CYCLE_1)
	s_and_saveexec_b32 s14, s16
	s_cbranch_execz .LBB261_93
.LBB261_106:
	v_cmp_ne_u32_e32 vcc_lo, 1, v77
	s_cbranch_vccnz .LBB261_108
; %bb.107:
	v_lshlrev_b64 v[105:106], 1, v[36:37]
	s_delay_alu instid0(VALU_DEP_1) | instskip(NEXT) | instid1(VALU_DEP_2)
	v_add_co_u32 v105, vcc_lo, v107, v105
	v_add_co_ci_u32_e32 v106, vcc_lo, v108, v106, vcc_lo
	flat_load_u16 v105, v[105:106]
	s_waitcnt vmcnt(0) lgkmcnt(0)
	v_mul_f16_e32 v105, v48, v105
	s_branch .LBB261_109
.LBB261_108:
	v_mov_b32_e32 v105, 0
.LBB261_109:
	v_pk_add_f16 v106, v12, v30
	v_pk_max_f16 v104, v104, v104
	v_pk_add_f16 v109, v13, v31
	s_delay_alu instid0(VALU_DEP_2) | instskip(NEXT) | instid1(VALU_DEP_1)
	v_pk_min_f16 v104, v104, v106
	v_pk_min_f16 v104, v104, v109
	v_lshlrev_b64 v[109:110], 1, v[36:37]
	s_delay_alu instid0(VALU_DEP_2) | instskip(NEXT) | instid1(VALU_DEP_1)
	v_lshrrev_b32_e32 v106, 16, v104
	v_min3_f16 v106, v105, v104, v106
	s_delay_alu instid0(VALU_DEP_3) | instskip(NEXT) | instid1(VALU_DEP_4)
	v_add_co_u32 v104, vcc_lo, v28, v109
	v_add_co_ci_u32_e32 v105, vcc_lo, v29, v110, vcc_lo
	global_store_b16 v[104:105], v106, off
	s_or_b32 exec_lo, exec_lo, s14
	s_and_b32 s16, s3, s8
	s_delay_alu instid0(SALU_CYCLE_1)
	s_and_saveexec_b32 s14, s16
	s_cbranch_execz .LBB261_94
.LBB261_110:
	v_cmp_ne_u32_e32 vcc_lo, 1, v77
	s_cbranch_vccnz .LBB261_112
; %bb.111:
	v_lshlrev_b64 v[104:105], 1, v[38:39]
	s_delay_alu instid0(VALU_DEP_1) | instskip(NEXT) | instid1(VALU_DEP_2)
	v_add_co_u32 v104, vcc_lo, v107, v104
	v_add_co_ci_u32_e32 v105, vcc_lo, v108, v105, vcc_lo
	flat_load_u16 v104, v[104:105]
	s_waitcnt vmcnt(0) lgkmcnt(0)
	v_mul_f16_e32 v104, v48, v104
	s_branch .LBB261_113
.LBB261_112:
	v_mov_b32_e32 v104, 0
.LBB261_113:
	v_pk_add_f16 v105, v14, v30
	v_pk_max_f16 v103, v103, v103
	v_pk_add_f16 v106, v15, v31
	s_delay_alu instid0(VALU_DEP_2) | instskip(NEXT) | instid1(VALU_DEP_1)
	v_pk_min_f16 v103, v103, v105
	v_pk_min_f16 v103, v103, v106
	v_lshlrev_b64 v[105:106], 1, v[38:39]
	s_delay_alu instid0(VALU_DEP_2) | instskip(NEXT) | instid1(VALU_DEP_1)
	v_lshrrev_b32_e32 v109, 16, v103
	v_min3_f16 v109, v104, v103, v109
	s_delay_alu instid0(VALU_DEP_3) | instskip(NEXT) | instid1(VALU_DEP_4)
	v_add_co_u32 v103, vcc_lo, v28, v105
	v_add_co_ci_u32_e32 v104, vcc_lo, v29, v106, vcc_lo
	global_store_b16 v[103:104], v109, off
	s_or_b32 exec_lo, exec_lo, s14
	s_and_b32 s16, s4, s8
	s_delay_alu instid0(SALU_CYCLE_1)
	s_and_saveexec_b32 s14, s16
	s_cbranch_execz .LBB261_95
.LBB261_114:
	v_cmp_ne_u32_e32 vcc_lo, 1, v77
	s_cbranch_vccnz .LBB261_116
; %bb.115:
	v_lshlrev_b64 v[103:104], 1, v[40:41]
	s_delay_alu instid0(VALU_DEP_1) | instskip(NEXT) | instid1(VALU_DEP_2)
	v_add_co_u32 v103, vcc_lo, v107, v103
	v_add_co_ci_u32_e32 v104, vcc_lo, v108, v104, vcc_lo
	flat_load_u16 v103, v[103:104]
	s_waitcnt vmcnt(0) lgkmcnt(0)
	v_mul_f16_e32 v103, v48, v103
	s_branch .LBB261_117
.LBB261_116:
	v_mov_b32_e32 v103, 0
.LBB261_117:
	v_pk_add_f16 v104, v8, v30
	v_pk_max_f16 v102, v102, v102
	v_pk_add_f16 v105, v9, v31
	s_delay_alu instid0(VALU_DEP_2) | instskip(NEXT) | instid1(VALU_DEP_1)
	v_pk_min_f16 v102, v102, v104
	v_pk_min_f16 v102, v102, v105
	v_lshlrev_b64 v[104:105], 1, v[40:41]
	s_delay_alu instid0(VALU_DEP_2) | instskip(NEXT) | instid1(VALU_DEP_1)
	v_lshrrev_b32_e32 v106, 16, v102
	v_min3_f16 v106, v103, v102, v106
	s_delay_alu instid0(VALU_DEP_3) | instskip(NEXT) | instid1(VALU_DEP_4)
	v_add_co_u32 v102, vcc_lo, v28, v104
	v_add_co_ci_u32_e32 v103, vcc_lo, v29, v105, vcc_lo
	global_store_b16 v[102:103], v106, off
	s_or_b32 exec_lo, exec_lo, s14
	s_and_b32 s16, s5, s8
	s_delay_alu instid0(SALU_CYCLE_1)
	s_and_saveexec_b32 s14, s16
	s_cbranch_execz .LBB261_96
.LBB261_118:
	v_cmp_ne_u32_e32 vcc_lo, 1, v77
	s_cbranch_vccnz .LBB261_120
; %bb.119:
	v_lshlrev_b64 v[102:103], 1, v[42:43]
	s_delay_alu instid0(VALU_DEP_1) | instskip(NEXT) | instid1(VALU_DEP_2)
	v_add_co_u32 v102, vcc_lo, v107, v102
	v_add_co_ci_u32_e32 v103, vcc_lo, v108, v103, vcc_lo
	flat_load_u16 v102, v[102:103]
	s_waitcnt vmcnt(0) lgkmcnt(0)
	v_mul_f16_e32 v102, v48, v102
	s_branch .LBB261_121
.LBB261_120:
	v_mov_b32_e32 v102, 0
.LBB261_121:
	v_pk_add_f16 v103, v10, v30
	v_pk_max_f16 v101, v101, v101
	v_pk_add_f16 v104, v11, v31
	s_delay_alu instid0(VALU_DEP_2) | instskip(NEXT) | instid1(VALU_DEP_1)
	v_pk_min_f16 v101, v101, v103
	v_pk_min_f16 v101, v101, v104
	v_lshlrev_b64 v[103:104], 1, v[42:43]
	s_delay_alu instid0(VALU_DEP_2) | instskip(NEXT) | instid1(VALU_DEP_1)
	v_lshrrev_b32_e32 v105, 16, v101
	v_min3_f16 v105, v102, v101, v105
	s_delay_alu instid0(VALU_DEP_3) | instskip(NEXT) | instid1(VALU_DEP_4)
	v_add_co_u32 v101, vcc_lo, v28, v103
	v_add_co_ci_u32_e32 v102, vcc_lo, v29, v104, vcc_lo
	global_store_b16 v[101:102], v105, off
	s_or_b32 exec_lo, exec_lo, s14
	s_and_b32 s16, s6, s8
	s_delay_alu instid0(SALU_CYCLE_1)
	s_and_saveexec_b32 s14, s16
	s_cbranch_execz .LBB261_97
.LBB261_122:
	v_cmp_ne_u32_e32 vcc_lo, 1, v77
	s_cbranch_vccnz .LBB261_124
; %bb.123:
	v_lshlrev_b64 v[101:102], 1, v[44:45]
	s_delay_alu instid0(VALU_DEP_1) | instskip(NEXT) | instid1(VALU_DEP_2)
	v_add_co_u32 v101, vcc_lo, v107, v101
	v_add_co_ci_u32_e32 v102, vcc_lo, v108, v102, vcc_lo
	flat_load_u16 v101, v[101:102]
	s_waitcnt vmcnt(0) lgkmcnt(0)
	v_mul_f16_e32 v101, v48, v101
	s_branch .LBB261_125
.LBB261_124:
	v_mov_b32_e32 v101, 0
.LBB261_125:
	v_pk_add_f16 v102, v0, v30
	v_pk_max_f16 v100, v100, v100
	v_pk_add_f16 v103, v1, v31
	s_delay_alu instid0(VALU_DEP_2) | instskip(NEXT) | instid1(VALU_DEP_1)
	v_pk_min_f16 v100, v100, v102
	v_pk_min_f16 v100, v100, v103
	v_lshlrev_b64 v[102:103], 1, v[44:45]
	s_delay_alu instid0(VALU_DEP_2) | instskip(NEXT) | instid1(VALU_DEP_1)
	v_lshrrev_b32_e32 v104, 16, v100
	v_min3_f16 v104, v101, v100, v104
	s_delay_alu instid0(VALU_DEP_3) | instskip(NEXT) | instid1(VALU_DEP_4)
	v_add_co_u32 v100, vcc_lo, v28, v102
	v_add_co_ci_u32_e32 v101, vcc_lo, v29, v103, vcc_lo
	global_store_b16 v[100:101], v104, off
	s_or_b32 exec_lo, exec_lo, s14
	s_and_b32 s14, s7, s8
	s_delay_alu instid0(SALU_CYCLE_1)
	s_and_saveexec_b32 s8, s14
	s_cbranch_execz .LBB261_130
.LBB261_126:
	v_cmp_ne_u32_e32 vcc_lo, 1, v77
	s_cbranch_vccnz .LBB261_128
; %bb.127:
	v_lshlrev_b64 v[100:101], 1, v[46:47]
	s_delay_alu instid0(VALU_DEP_1) | instskip(NEXT) | instid1(VALU_DEP_2)
	v_add_co_u32 v100, vcc_lo, v107, v100
	v_add_co_ci_u32_e32 v101, vcc_lo, v108, v101, vcc_lo
	flat_load_u16 v100, v[100:101]
	s_waitcnt vmcnt(0) lgkmcnt(0)
	v_mul_f16_e32 v100, v48, v100
	s_branch .LBB261_129
.LBB261_128:
	v_mov_b32_e32 v100, 0
.LBB261_129:
	v_pk_add_f16 v30, v2, v30
	v_pk_max_f16 v99, v99, v99
	v_pk_add_f16 v31, v3, v31
	s_delay_alu instid0(VALU_DEP_2) | instskip(NEXT) | instid1(VALU_DEP_1)
	v_pk_min_f16 v30, v99, v30
	v_pk_min_f16 v99, v30, v31
	v_lshlrev_b64 v[30:31], 1, v[46:47]
	s_delay_alu instid0(VALU_DEP_2) | instskip(NEXT) | instid1(VALU_DEP_2)
	v_lshrrev_b32_e32 v101, 16, v99
	v_add_co_u32 v28, vcc_lo, v28, v30
	s_delay_alu instid0(VALU_DEP_3) | instskip(NEXT) | instid1(VALU_DEP_3)
	v_add_co_ci_u32_e32 v29, vcc_lo, v29, v31, vcc_lo
	v_min3_f16 v99, v100, v99, v101
	global_store_b16 v[28:29], v99, off
.LBB261_130:
	s_or_b32 exec_lo, exec_lo, s8
	v_add_nc_u32_e32 v99, 16, v86
	s_delay_alu instid0(VALU_DEP_1) | instskip(SKIP_2) | instid1(VALU_DEP_3)
	v_mad_i64_i32 v[28:29], null, v99, s15, 0
	v_mad_i64_i32 v[30:31], null, v99, s9, 0
	v_cmp_gt_i32_e64 s8, s17, v99
	v_lshlrev_b64 v[28:29], 1, v[28:29]
	s_delay_alu instid0(VALU_DEP_2) | instskip(NEXT) | instid1(VALU_DEP_3)
	s_and_b32 s16, s0, s8
	v_lshlrev_b64 v[99:100], 1, v[30:31]
	s_delay_alu instid0(VALU_DEP_2) | instskip(NEXT) | instid1(VALU_DEP_3)
	v_add_co_u32 v30, vcc_lo, s12, v28
	v_add_co_ci_u32_e32 v31, vcc_lo, s13, v29, vcc_lo
	s_delay_alu instid0(VALU_DEP_3) | instskip(NEXT) | instid1(VALU_DEP_4)
	v_add_co_u32 v28, vcc_lo, s10, v99
	v_add_co_ci_u32_e32 v29, vcc_lo, s11, v100, vcc_lo
	s_and_saveexec_b32 s14, s16
	s_cbranch_execnz .LBB261_138
; %bb.131:
	s_or_b32 exec_lo, exec_lo, s14
	s_and_b32 s16, s1, s8
	s_delay_alu instid0(SALU_CYCLE_1)
	s_and_saveexec_b32 s14, s16
	s_cbranch_execnz .LBB261_142
.LBB261_132:
	s_or_b32 exec_lo, exec_lo, s14
	s_and_b32 s16, s2, s8
	s_delay_alu instid0(SALU_CYCLE_1)
	s_and_saveexec_b32 s14, s16
	s_cbranch_execnz .LBB261_146
.LBB261_133:
	s_or_b32 exec_lo, exec_lo, s14
	s_and_b32 s16, s3, s8
	s_delay_alu instid0(SALU_CYCLE_1)
	s_and_saveexec_b32 s14, s16
	s_cbranch_execnz .LBB261_150
.LBB261_134:
	s_or_b32 exec_lo, exec_lo, s14
	s_and_b32 s16, s4, s8
	s_delay_alu instid0(SALU_CYCLE_1)
	s_and_saveexec_b32 s14, s16
	s_cbranch_execnz .LBB261_154
.LBB261_135:
	s_or_b32 exec_lo, exec_lo, s14
	s_and_b32 s16, s5, s8
	s_delay_alu instid0(SALU_CYCLE_1)
	s_and_saveexec_b32 s14, s16
	s_cbranch_execnz .LBB261_158
.LBB261_136:
	s_or_b32 exec_lo, exec_lo, s14
	s_and_b32 s16, s6, s8
	s_delay_alu instid0(SALU_CYCLE_1)
	s_and_saveexec_b32 s14, s16
	s_cbranch_execnz .LBB261_162
.LBB261_137:
	s_or_b32 exec_lo, exec_lo, s14
	s_and_b32 s14, s7, s8
	s_delay_alu instid0(SALU_CYCLE_1)
	s_and_saveexec_b32 s8, s14
	s_cbranch_execnz .LBB261_166
	s_branch .LBB261_170
.LBB261_138:
	v_cmp_ne_u32_e32 vcc_lo, 1, v77
	s_cbranch_vccnz .LBB261_140
; %bb.139:
	v_lshlrev_b64 v[99:100], 1, v[32:33]
	s_delay_alu instid0(VALU_DEP_1) | instskip(NEXT) | instid1(VALU_DEP_2)
	v_add_co_u32 v99, vcc_lo, v30, v99
	v_add_co_ci_u32_e32 v100, vcc_lo, v31, v100, vcc_lo
	flat_load_u16 v99, v[99:100]
	s_waitcnt vmcnt(0) lgkmcnt(0)
	v_mul_f16_e32 v99, v48, v99
	s_branch .LBB261_141
.LBB261_140:
	v_mov_b32_e32 v99, 0
.LBB261_141:
	v_pk_add_f16 v100, v16, v24
	v_pk_max_f16 v98, v98, v98
	v_pk_add_f16 v101, v17, v25
	s_delay_alu instid0(VALU_DEP_2) | instskip(NEXT) | instid1(VALU_DEP_1)
	v_pk_min_f16 v98, v98, v100
	v_pk_min_f16 v98, v98, v101
	v_lshlrev_b64 v[100:101], 1, v[32:33]
	s_delay_alu instid0(VALU_DEP_2) | instskip(NEXT) | instid1(VALU_DEP_1)
	v_lshrrev_b32_e32 v102, 16, v98
	v_min3_f16 v102, v99, v98, v102
	s_delay_alu instid0(VALU_DEP_3) | instskip(NEXT) | instid1(VALU_DEP_4)
	v_add_co_u32 v98, vcc_lo, v28, v100
	v_add_co_ci_u32_e32 v99, vcc_lo, v29, v101, vcc_lo
	global_store_b16 v[98:99], v102, off
	s_or_b32 exec_lo, exec_lo, s14
	s_and_b32 s16, s1, s8
	s_delay_alu instid0(SALU_CYCLE_1)
	s_and_saveexec_b32 s14, s16
	s_cbranch_execz .LBB261_132
.LBB261_142:
	v_cmp_ne_u32_e32 vcc_lo, 1, v77
	s_cbranch_vccnz .LBB261_144
; %bb.143:
	v_lshlrev_b64 v[98:99], 1, v[34:35]
	s_delay_alu instid0(VALU_DEP_1) | instskip(NEXT) | instid1(VALU_DEP_2)
	v_add_co_u32 v98, vcc_lo, v30, v98
	v_add_co_ci_u32_e32 v99, vcc_lo, v31, v99, vcc_lo
	flat_load_u16 v98, v[98:99]
	s_waitcnt vmcnt(0) lgkmcnt(0)
	v_mul_f16_e32 v98, v48, v98
	s_branch .LBB261_145
.LBB261_144:
	v_mov_b32_e32 v98, 0
.LBB261_145:
	v_pk_add_f16 v99, v18, v24
	v_pk_max_f16 v97, v97, v97
	v_pk_add_f16 v100, v19, v25
	s_delay_alu instid0(VALU_DEP_2) | instskip(NEXT) | instid1(VALU_DEP_1)
	v_pk_min_f16 v97, v97, v99
	v_pk_min_f16 v97, v97, v100
	v_lshlrev_b64 v[99:100], 1, v[34:35]
	s_delay_alu instid0(VALU_DEP_2) | instskip(NEXT) | instid1(VALU_DEP_1)
	v_lshrrev_b32_e32 v101, 16, v97
	v_min3_f16 v101, v98, v97, v101
	s_delay_alu instid0(VALU_DEP_3) | instskip(NEXT) | instid1(VALU_DEP_4)
	v_add_co_u32 v97, vcc_lo, v28, v99
	v_add_co_ci_u32_e32 v98, vcc_lo, v29, v100, vcc_lo
	global_store_b16 v[97:98], v101, off
	s_or_b32 exec_lo, exec_lo, s14
	s_and_b32 s16, s2, s8
	s_delay_alu instid0(SALU_CYCLE_1)
	s_and_saveexec_b32 s14, s16
	s_cbranch_execz .LBB261_133
.LBB261_146:
	v_cmp_ne_u32_e32 vcc_lo, 1, v77
	s_cbranch_vccnz .LBB261_148
; %bb.147:
	v_lshlrev_b64 v[97:98], 1, v[36:37]
	s_delay_alu instid0(VALU_DEP_1) | instskip(NEXT) | instid1(VALU_DEP_2)
	v_add_co_u32 v97, vcc_lo, v30, v97
	v_add_co_ci_u32_e32 v98, vcc_lo, v31, v98, vcc_lo
	flat_load_u16 v97, v[97:98]
	s_waitcnt vmcnt(0) lgkmcnt(0)
	v_mul_f16_e32 v97, v48, v97
	s_branch .LBB261_149
.LBB261_148:
	v_mov_b32_e32 v97, 0
.LBB261_149:
	v_pk_add_f16 v98, v12, v24
	v_pk_max_f16 v96, v96, v96
	v_pk_add_f16 v99, v13, v25
	s_delay_alu instid0(VALU_DEP_2) | instskip(NEXT) | instid1(VALU_DEP_1)
	v_pk_min_f16 v96, v96, v98
	v_pk_min_f16 v96, v96, v99
	v_lshlrev_b64 v[98:99], 1, v[36:37]
	s_delay_alu instid0(VALU_DEP_2) | instskip(NEXT) | instid1(VALU_DEP_1)
	v_lshrrev_b32_e32 v100, 16, v96
	v_min3_f16 v100, v97, v96, v100
	s_delay_alu instid0(VALU_DEP_3) | instskip(NEXT) | instid1(VALU_DEP_4)
	v_add_co_u32 v96, vcc_lo, v28, v98
	v_add_co_ci_u32_e32 v97, vcc_lo, v29, v99, vcc_lo
	global_store_b16 v[96:97], v100, off
	s_or_b32 exec_lo, exec_lo, s14
	s_and_b32 s16, s3, s8
	s_delay_alu instid0(SALU_CYCLE_1)
	s_and_saveexec_b32 s14, s16
	s_cbranch_execz .LBB261_134
.LBB261_150:
	v_cmp_ne_u32_e32 vcc_lo, 1, v77
	s_cbranch_vccnz .LBB261_152
; %bb.151:
	v_lshlrev_b64 v[96:97], 1, v[38:39]
	s_delay_alu instid0(VALU_DEP_1) | instskip(NEXT) | instid1(VALU_DEP_2)
	v_add_co_u32 v96, vcc_lo, v30, v96
	v_add_co_ci_u32_e32 v97, vcc_lo, v31, v97, vcc_lo
	flat_load_u16 v96, v[96:97]
	s_waitcnt vmcnt(0) lgkmcnt(0)
	v_mul_f16_e32 v96, v48, v96
	s_branch .LBB261_153
.LBB261_152:
	v_mov_b32_e32 v96, 0
.LBB261_153:
	v_pk_add_f16 v97, v14, v24
	v_pk_max_f16 v95, v95, v95
	v_pk_add_f16 v98, v15, v25
	s_delay_alu instid0(VALU_DEP_2) | instskip(NEXT) | instid1(VALU_DEP_1)
	v_pk_min_f16 v95, v95, v97
	v_pk_min_f16 v95, v95, v98
	v_lshlrev_b64 v[97:98], 1, v[38:39]
	s_delay_alu instid0(VALU_DEP_2) | instskip(NEXT) | instid1(VALU_DEP_1)
	v_lshrrev_b32_e32 v99, 16, v95
	v_min3_f16 v99, v96, v95, v99
	s_delay_alu instid0(VALU_DEP_3) | instskip(NEXT) | instid1(VALU_DEP_4)
	v_add_co_u32 v95, vcc_lo, v28, v97
	v_add_co_ci_u32_e32 v96, vcc_lo, v29, v98, vcc_lo
	global_store_b16 v[95:96], v99, off
	s_or_b32 exec_lo, exec_lo, s14
	s_and_b32 s16, s4, s8
	s_delay_alu instid0(SALU_CYCLE_1)
	s_and_saveexec_b32 s14, s16
	s_cbranch_execz .LBB261_135
.LBB261_154:
	v_cmp_ne_u32_e32 vcc_lo, 1, v77
	s_cbranch_vccnz .LBB261_156
; %bb.155:
	v_lshlrev_b64 v[95:96], 1, v[40:41]
	s_delay_alu instid0(VALU_DEP_1) | instskip(NEXT) | instid1(VALU_DEP_2)
	v_add_co_u32 v95, vcc_lo, v30, v95
	v_add_co_ci_u32_e32 v96, vcc_lo, v31, v96, vcc_lo
	flat_load_u16 v95, v[95:96]
	s_waitcnt vmcnt(0) lgkmcnt(0)
	v_mul_f16_e32 v95, v48, v95
	s_branch .LBB261_157
.LBB261_156:
	v_mov_b32_e32 v95, 0
.LBB261_157:
	v_pk_add_f16 v96, v8, v24
	v_pk_max_f16 v94, v94, v94
	v_pk_add_f16 v97, v9, v25
	s_delay_alu instid0(VALU_DEP_2) | instskip(NEXT) | instid1(VALU_DEP_1)
	v_pk_min_f16 v94, v94, v96
	v_pk_min_f16 v94, v94, v97
	v_lshlrev_b64 v[96:97], 1, v[40:41]
	s_delay_alu instid0(VALU_DEP_2) | instskip(NEXT) | instid1(VALU_DEP_1)
	v_lshrrev_b32_e32 v98, 16, v94
	v_min3_f16 v98, v95, v94, v98
	s_delay_alu instid0(VALU_DEP_3) | instskip(NEXT) | instid1(VALU_DEP_4)
	v_add_co_u32 v94, vcc_lo, v28, v96
	v_add_co_ci_u32_e32 v95, vcc_lo, v29, v97, vcc_lo
	global_store_b16 v[94:95], v98, off
	s_or_b32 exec_lo, exec_lo, s14
	s_and_b32 s16, s5, s8
	s_delay_alu instid0(SALU_CYCLE_1)
	s_and_saveexec_b32 s14, s16
	s_cbranch_execz .LBB261_136
.LBB261_158:
	v_cmp_ne_u32_e32 vcc_lo, 1, v77
	s_cbranch_vccnz .LBB261_160
; %bb.159:
	v_lshlrev_b64 v[94:95], 1, v[42:43]
	s_delay_alu instid0(VALU_DEP_1) | instskip(NEXT) | instid1(VALU_DEP_2)
	v_add_co_u32 v94, vcc_lo, v30, v94
	v_add_co_ci_u32_e32 v95, vcc_lo, v31, v95, vcc_lo
	flat_load_u16 v94, v[94:95]
	s_waitcnt vmcnt(0) lgkmcnt(0)
	v_mul_f16_e32 v94, v48, v94
	s_branch .LBB261_161
.LBB261_160:
	v_mov_b32_e32 v94, 0
.LBB261_161:
	v_pk_add_f16 v95, v10, v24
	v_pk_max_f16 v93, v93, v93
	v_pk_add_f16 v96, v11, v25
	s_delay_alu instid0(VALU_DEP_2) | instskip(NEXT) | instid1(VALU_DEP_1)
	v_pk_min_f16 v93, v93, v95
	v_pk_min_f16 v93, v93, v96
	v_lshlrev_b64 v[95:96], 1, v[42:43]
	s_delay_alu instid0(VALU_DEP_2) | instskip(NEXT) | instid1(VALU_DEP_1)
	v_lshrrev_b32_e32 v97, 16, v93
	v_min3_f16 v97, v94, v93, v97
	s_delay_alu instid0(VALU_DEP_3) | instskip(NEXT) | instid1(VALU_DEP_4)
	v_add_co_u32 v93, vcc_lo, v28, v95
	v_add_co_ci_u32_e32 v94, vcc_lo, v29, v96, vcc_lo
	global_store_b16 v[93:94], v97, off
	s_or_b32 exec_lo, exec_lo, s14
	s_and_b32 s16, s6, s8
	s_delay_alu instid0(SALU_CYCLE_1)
	s_and_saveexec_b32 s14, s16
	s_cbranch_execz .LBB261_137
.LBB261_162:
	v_cmp_ne_u32_e32 vcc_lo, 1, v77
	s_cbranch_vccnz .LBB261_164
; %bb.163:
	v_lshlrev_b64 v[93:94], 1, v[44:45]
	s_delay_alu instid0(VALU_DEP_1) | instskip(NEXT) | instid1(VALU_DEP_2)
	v_add_co_u32 v93, vcc_lo, v30, v93
	v_add_co_ci_u32_e32 v94, vcc_lo, v31, v94, vcc_lo
	flat_load_u16 v93, v[93:94]
	s_waitcnt vmcnt(0) lgkmcnt(0)
	v_mul_f16_e32 v93, v48, v93
	s_branch .LBB261_165
.LBB261_164:
	v_mov_b32_e32 v93, 0
.LBB261_165:
	v_pk_add_f16 v94, v0, v24
	v_pk_max_f16 v92, v92, v92
	v_pk_add_f16 v95, v1, v25
	s_delay_alu instid0(VALU_DEP_2) | instskip(NEXT) | instid1(VALU_DEP_1)
	v_pk_min_f16 v92, v92, v94
	v_pk_min_f16 v92, v92, v95
	v_lshlrev_b64 v[94:95], 1, v[44:45]
	s_delay_alu instid0(VALU_DEP_2) | instskip(NEXT) | instid1(VALU_DEP_1)
	v_lshrrev_b32_e32 v96, 16, v92
	v_min3_f16 v96, v93, v92, v96
	s_delay_alu instid0(VALU_DEP_3) | instskip(NEXT) | instid1(VALU_DEP_4)
	v_add_co_u32 v92, vcc_lo, v28, v94
	v_add_co_ci_u32_e32 v93, vcc_lo, v29, v95, vcc_lo
	global_store_b16 v[92:93], v96, off
	s_or_b32 exec_lo, exec_lo, s14
	s_and_b32 s14, s7, s8
	s_delay_alu instid0(SALU_CYCLE_1)
	s_and_saveexec_b32 s8, s14
	s_cbranch_execz .LBB261_170
.LBB261_166:
	v_cmp_ne_u32_e32 vcc_lo, 1, v77
	s_cbranch_vccnz .LBB261_168
; %bb.167:
	v_lshlrev_b64 v[92:93], 1, v[46:47]
	s_delay_alu instid0(VALU_DEP_1) | instskip(NEXT) | instid1(VALU_DEP_2)
	v_add_co_u32 v30, vcc_lo, v30, v92
	v_add_co_ci_u32_e32 v31, vcc_lo, v31, v93, vcc_lo
	flat_load_u16 v30, v[30:31]
	s_waitcnt vmcnt(0) lgkmcnt(0)
	v_mul_f16_e32 v30, v48, v30
	s_branch .LBB261_169
.LBB261_168:
	v_mov_b32_e32 v30, 0
.LBB261_169:
	v_pk_add_f16 v24, v2, v24
	v_pk_max_f16 v31, v91, v91
	v_pk_add_f16 v25, v3, v25
	s_delay_alu instid0(VALU_DEP_2) | instskip(NEXT) | instid1(VALU_DEP_1)
	v_pk_min_f16 v24, v31, v24
	v_pk_min_f16 v31, v24, v25
	v_lshlrev_b64 v[24:25], 1, v[46:47]
	s_delay_alu instid0(VALU_DEP_2) | instskip(NEXT) | instid1(VALU_DEP_2)
	v_lshrrev_b32_e32 v91, 16, v31
	v_add_co_u32 v24, vcc_lo, v28, v24
	s_delay_alu instid0(VALU_DEP_3) | instskip(NEXT) | instid1(VALU_DEP_3)
	v_add_co_ci_u32_e32 v25, vcc_lo, v29, v25, vcc_lo
	v_min3_f16 v30, v30, v31, v91
	global_store_b16 v[24:25], v30, off
.LBB261_170:
	s_or_b32 exec_lo, exec_lo, s8
	v_add_nc_u32_e32 v30, 24, v86
	s_delay_alu instid0(VALU_DEP_1) | instskip(SKIP_2) | instid1(VALU_DEP_3)
	v_mad_i64_i32 v[24:25], null, v30, s15, 0
	v_mad_i64_i32 v[28:29], null, v30, s9, 0
	v_cmp_gt_i32_e64 s8, s17, v30
	v_lshlrev_b64 v[24:25], 1, v[24:25]
	s_delay_alu instid0(VALU_DEP_2) | instskip(NEXT) | instid1(VALU_DEP_3)
	s_and_b32 s16, s0, s8
	v_lshlrev_b64 v[30:31], 1, v[28:29]
	s_delay_alu instid0(VALU_DEP_2) | instskip(NEXT) | instid1(VALU_DEP_3)
	v_add_co_u32 v28, vcc_lo, s12, v24
	v_add_co_ci_u32_e32 v29, vcc_lo, s13, v25, vcc_lo
	s_delay_alu instid0(VALU_DEP_3) | instskip(NEXT) | instid1(VALU_DEP_4)
	v_add_co_u32 v24, vcc_lo, s10, v30
	v_add_co_ci_u32_e32 v25, vcc_lo, s11, v31, vcc_lo
	s_and_saveexec_b32 s14, s16
	s_cbranch_execnz .LBB261_178
; %bb.171:
	s_or_b32 exec_lo, exec_lo, s14
	s_and_b32 s16, s1, s8
	s_delay_alu instid0(SALU_CYCLE_1)
	s_and_saveexec_b32 s14, s16
	s_cbranch_execnz .LBB261_182
.LBB261_172:
	s_or_b32 exec_lo, exec_lo, s14
	s_and_b32 s16, s2, s8
	s_delay_alu instid0(SALU_CYCLE_1)
	s_and_saveexec_b32 s14, s16
	s_cbranch_execnz .LBB261_186
.LBB261_173:
	s_or_b32 exec_lo, exec_lo, s14
	s_and_b32 s16, s3, s8
	s_delay_alu instid0(SALU_CYCLE_1)
	s_and_saveexec_b32 s14, s16
	s_cbranch_execnz .LBB261_190
.LBB261_174:
	s_or_b32 exec_lo, exec_lo, s14
	s_and_b32 s16, s4, s8
	s_delay_alu instid0(SALU_CYCLE_1)
	s_and_saveexec_b32 s14, s16
	s_cbranch_execnz .LBB261_194
.LBB261_175:
	s_or_b32 exec_lo, exec_lo, s14
	s_and_b32 s16, s5, s8
	s_delay_alu instid0(SALU_CYCLE_1)
	s_and_saveexec_b32 s14, s16
	s_cbranch_execnz .LBB261_198
.LBB261_176:
	s_or_b32 exec_lo, exec_lo, s14
	s_and_b32 s16, s6, s8
	s_delay_alu instid0(SALU_CYCLE_1)
	s_and_saveexec_b32 s14, s16
	s_cbranch_execnz .LBB261_202
.LBB261_177:
	s_or_b32 exec_lo, exec_lo, s14
	s_and_b32 s14, s7, s8
	s_delay_alu instid0(SALU_CYCLE_1)
	s_and_saveexec_b32 s8, s14
	s_cbranch_execnz .LBB261_206
	s_branch .LBB261_210
.LBB261_178:
	v_cmp_ne_u32_e32 vcc_lo, 1, v77
	s_cbranch_vccnz .LBB261_180
; %bb.179:
	v_lshlrev_b64 v[30:31], 1, v[32:33]
	s_delay_alu instid0(VALU_DEP_1) | instskip(NEXT) | instid1(VALU_DEP_2)
	v_add_co_u32 v30, vcc_lo, v28, v30
	v_add_co_ci_u32_e32 v31, vcc_lo, v29, v31, vcc_lo
	flat_load_u16 v30, v[30:31]
	s_waitcnt vmcnt(0) lgkmcnt(0)
	v_mul_f16_e32 v30, v48, v30
	s_branch .LBB261_181
.LBB261_180:
	v_mov_b32_e32 v30, 0
.LBB261_181:
	v_pk_add_f16 v31, v16, v26
	v_pk_max_f16 v90, v90, v90
	v_pk_add_f16 v91, v17, v27
	s_delay_alu instid0(VALU_DEP_2) | instskip(NEXT) | instid1(VALU_DEP_1)
	v_pk_min_f16 v31, v90, v31
	v_pk_min_f16 v31, v31, v91
	v_lshlrev_b64 v[90:91], 1, v[32:33]
	s_delay_alu instid0(VALU_DEP_2) | instskip(NEXT) | instid1(VALU_DEP_1)
	v_lshrrev_b32_e32 v92, 16, v31
	v_min3_f16 v92, v30, v31, v92
	s_delay_alu instid0(VALU_DEP_3) | instskip(NEXT) | instid1(VALU_DEP_4)
	v_add_co_u32 v30, vcc_lo, v24, v90
	v_add_co_ci_u32_e32 v31, vcc_lo, v25, v91, vcc_lo
	global_store_b16 v[30:31], v92, off
	s_or_b32 exec_lo, exec_lo, s14
	s_and_b32 s16, s1, s8
	s_delay_alu instid0(SALU_CYCLE_1)
	s_and_saveexec_b32 s14, s16
	s_cbranch_execz .LBB261_172
.LBB261_182:
	v_cmp_ne_u32_e32 vcc_lo, 1, v77
	s_cbranch_vccnz .LBB261_184
; %bb.183:
	v_lshlrev_b64 v[30:31], 1, v[34:35]
	s_delay_alu instid0(VALU_DEP_1) | instskip(NEXT) | instid1(VALU_DEP_2)
	v_add_co_u32 v30, vcc_lo, v28, v30
	v_add_co_ci_u32_e32 v31, vcc_lo, v29, v31, vcc_lo
	flat_load_u16 v30, v[30:31]
	s_waitcnt vmcnt(0) lgkmcnt(0)
	v_mul_f16_e32 v30, v48, v30
	s_branch .LBB261_185
.LBB261_184:
	v_mov_b32_e32 v30, 0
.LBB261_185:
	v_pk_add_f16 v31, v18, v26
	v_pk_max_f16 v89, v89, v89
	v_pk_add_f16 v90, v19, v27
	s_delay_alu instid0(VALU_DEP_2) | instskip(NEXT) | instid1(VALU_DEP_1)
	v_pk_min_f16 v31, v89, v31
	v_pk_min_f16 v31, v31, v90
	v_lshlrev_b64 v[89:90], 1, v[34:35]
	s_delay_alu instid0(VALU_DEP_2) | instskip(NEXT) | instid1(VALU_DEP_1)
	v_lshrrev_b32_e32 v91, 16, v31
	v_min3_f16 v91, v30, v31, v91
	s_delay_alu instid0(VALU_DEP_3) | instskip(NEXT) | instid1(VALU_DEP_4)
	v_add_co_u32 v30, vcc_lo, v24, v89
	v_add_co_ci_u32_e32 v31, vcc_lo, v25, v90, vcc_lo
	global_store_b16 v[30:31], v91, off
	s_or_b32 exec_lo, exec_lo, s14
	s_and_b32 s16, s2, s8
	s_delay_alu instid0(SALU_CYCLE_1)
	s_and_saveexec_b32 s14, s16
	s_cbranch_execz .LBB261_173
.LBB261_186:
	v_cmp_ne_u32_e32 vcc_lo, 1, v77
	s_cbranch_vccnz .LBB261_188
; %bb.187:
	v_lshlrev_b64 v[30:31], 1, v[36:37]
	s_delay_alu instid0(VALU_DEP_1) | instskip(NEXT) | instid1(VALU_DEP_2)
	v_add_co_u32 v30, vcc_lo, v28, v30
	v_add_co_ci_u32_e32 v31, vcc_lo, v29, v31, vcc_lo
	flat_load_u16 v30, v[30:31]
	s_waitcnt vmcnt(0) lgkmcnt(0)
	v_mul_f16_e32 v30, v48, v30
	s_branch .LBB261_189
.LBB261_188:
	v_mov_b32_e32 v30, 0
.LBB261_189:
	v_pk_add_f16 v31, v12, v26
	v_pk_max_f16 v88, v88, v88
	v_pk_add_f16 v89, v13, v27
	s_delay_alu instid0(VALU_DEP_2) | instskip(NEXT) | instid1(VALU_DEP_1)
	v_pk_min_f16 v31, v88, v31
	v_pk_min_f16 v31, v31, v89
	v_lshlrev_b64 v[88:89], 1, v[36:37]
	s_delay_alu instid0(VALU_DEP_2) | instskip(NEXT) | instid1(VALU_DEP_1)
	v_lshrrev_b32_e32 v90, 16, v31
	v_min3_f16 v90, v30, v31, v90
	s_delay_alu instid0(VALU_DEP_3) | instskip(NEXT) | instid1(VALU_DEP_4)
	v_add_co_u32 v30, vcc_lo, v24, v88
	v_add_co_ci_u32_e32 v31, vcc_lo, v25, v89, vcc_lo
	global_store_b16 v[30:31], v90, off
	s_or_b32 exec_lo, exec_lo, s14
	s_and_b32 s16, s3, s8
	s_delay_alu instid0(SALU_CYCLE_1)
	s_and_saveexec_b32 s14, s16
	s_cbranch_execz .LBB261_174
.LBB261_190:
	v_cmp_ne_u32_e32 vcc_lo, 1, v77
	s_cbranch_vccnz .LBB261_192
; %bb.191:
	v_lshlrev_b64 v[30:31], 1, v[38:39]
	s_delay_alu instid0(VALU_DEP_1) | instskip(NEXT) | instid1(VALU_DEP_2)
	v_add_co_u32 v30, vcc_lo, v28, v30
	v_add_co_ci_u32_e32 v31, vcc_lo, v29, v31, vcc_lo
	flat_load_u16 v30, v[30:31]
	s_waitcnt vmcnt(0) lgkmcnt(0)
	v_mul_f16_e32 v30, v48, v30
	s_branch .LBB261_193
.LBB261_192:
	v_mov_b32_e32 v30, 0
.LBB261_193:
	v_pk_add_f16 v31, v14, v26
	v_pk_max_f16 v87, v87, v87
	v_pk_add_f16 v88, v15, v27
	s_delay_alu instid0(VALU_DEP_2) | instskip(NEXT) | instid1(VALU_DEP_1)
	v_pk_min_f16 v31, v87, v31
	v_pk_min_f16 v31, v31, v88
	v_lshlrev_b64 v[87:88], 1, v[38:39]
	s_delay_alu instid0(VALU_DEP_2) | instskip(NEXT) | instid1(VALU_DEP_1)
	v_lshrrev_b32_e32 v89, 16, v31
	v_min3_f16 v89, v30, v31, v89
	s_delay_alu instid0(VALU_DEP_3) | instskip(NEXT) | instid1(VALU_DEP_4)
	v_add_co_u32 v30, vcc_lo, v24, v87
	v_add_co_ci_u32_e32 v31, vcc_lo, v25, v88, vcc_lo
	global_store_b16 v[30:31], v89, off
	s_or_b32 exec_lo, exec_lo, s14
	s_and_b32 s16, s4, s8
	s_delay_alu instid0(SALU_CYCLE_1)
	s_and_saveexec_b32 s14, s16
	s_cbranch_execz .LBB261_175
.LBB261_194:
	v_cmp_ne_u32_e32 vcc_lo, 1, v77
	s_cbranch_vccnz .LBB261_196
; %bb.195:
	v_lshlrev_b64 v[30:31], 1, v[40:41]
	s_delay_alu instid0(VALU_DEP_1) | instskip(NEXT) | instid1(VALU_DEP_2)
	v_add_co_u32 v30, vcc_lo, v28, v30
	v_add_co_ci_u32_e32 v31, vcc_lo, v29, v31, vcc_lo
	flat_load_u16 v30, v[30:31]
	s_waitcnt vmcnt(0) lgkmcnt(0)
	v_mul_f16_e32 v30, v48, v30
	s_branch .LBB261_197
.LBB261_196:
	v_mov_b32_e32 v30, 0
.LBB261_197:
	v_pk_add_f16 v31, v8, v26
	v_pk_max_f16 v85, v85, v85
	v_pk_add_f16 v87, v9, v27
	s_delay_alu instid0(VALU_DEP_2) | instskip(NEXT) | instid1(VALU_DEP_1)
	v_pk_min_f16 v31, v85, v31
	v_pk_min_f16 v31, v31, v87
	v_lshlrev_b64 v[87:88], 1, v[40:41]
	s_delay_alu instid0(VALU_DEP_2) | instskip(NEXT) | instid1(VALU_DEP_1)
	v_lshrrev_b32_e32 v85, 16, v31
	v_min3_f16 v85, v30, v31, v85
	s_delay_alu instid0(VALU_DEP_3) | instskip(NEXT) | instid1(VALU_DEP_4)
	v_add_co_u32 v30, vcc_lo, v24, v87
	v_add_co_ci_u32_e32 v31, vcc_lo, v25, v88, vcc_lo
	global_store_b16 v[30:31], v85, off
	s_or_b32 exec_lo, exec_lo, s14
	s_and_b32 s16, s5, s8
	s_delay_alu instid0(SALU_CYCLE_1)
	s_and_saveexec_b32 s14, s16
	s_cbranch_execz .LBB261_176
.LBB261_198:
	v_cmp_ne_u32_e32 vcc_lo, 1, v77
	s_cbranch_vccnz .LBB261_200
; %bb.199:
	v_lshlrev_b64 v[30:31], 1, v[42:43]
	s_delay_alu instid0(VALU_DEP_1) | instskip(NEXT) | instid1(VALU_DEP_2)
	v_add_co_u32 v30, vcc_lo, v28, v30
	v_add_co_ci_u32_e32 v31, vcc_lo, v29, v31, vcc_lo
	flat_load_u16 v30, v[30:31]
	s_waitcnt vmcnt(0) lgkmcnt(0)
	v_mul_f16_e32 v30, v48, v30
	s_branch .LBB261_201
.LBB261_200:
	v_mov_b32_e32 v30, 0
.LBB261_201:
	v_pk_add_f16 v31, v10, v26
	v_pk_max_f16 v84, v84, v84
	v_pk_add_f16 v85, v11, v27
	s_delay_alu instid0(VALU_DEP_2) | instskip(NEXT) | instid1(VALU_DEP_1)
	v_pk_min_f16 v31, v84, v31
	v_pk_min_f16 v31, v31, v85
	v_lshlrev_b64 v[84:85], 1, v[42:43]
	s_delay_alu instid0(VALU_DEP_2) | instskip(NEXT) | instid1(VALU_DEP_1)
	v_lshrrev_b32_e32 v87, 16, v31
	v_min3_f16 v87, v30, v31, v87
	s_delay_alu instid0(VALU_DEP_3) | instskip(NEXT) | instid1(VALU_DEP_4)
	v_add_co_u32 v30, vcc_lo, v24, v84
	v_add_co_ci_u32_e32 v31, vcc_lo, v25, v85, vcc_lo
	global_store_b16 v[30:31], v87, off
	s_or_b32 exec_lo, exec_lo, s14
	s_and_b32 s16, s6, s8
	s_delay_alu instid0(SALU_CYCLE_1)
	s_and_saveexec_b32 s14, s16
	s_cbranch_execz .LBB261_177
.LBB261_202:
	v_cmp_ne_u32_e32 vcc_lo, 1, v77
	s_cbranch_vccnz .LBB261_204
; %bb.203:
	v_lshlrev_b64 v[30:31], 1, v[44:45]
	s_delay_alu instid0(VALU_DEP_1) | instskip(NEXT) | instid1(VALU_DEP_2)
	v_add_co_u32 v30, vcc_lo, v28, v30
	v_add_co_ci_u32_e32 v31, vcc_lo, v29, v31, vcc_lo
	flat_load_u16 v30, v[30:31]
	s_waitcnt vmcnt(0) lgkmcnt(0)
	v_mul_f16_e32 v30, v48, v30
	s_branch .LBB261_205
.LBB261_204:
	v_mov_b32_e32 v30, 0
.LBB261_205:
	v_pk_add_f16 v31, v0, v26
	v_pk_max_f16 v83, v83, v83
	v_pk_add_f16 v84, v1, v27
	s_delay_alu instid0(VALU_DEP_2) | instskip(NEXT) | instid1(VALU_DEP_1)
	v_pk_min_f16 v31, v83, v31
	v_pk_min_f16 v31, v31, v84
	v_lshlrev_b64 v[83:84], 1, v[44:45]
	s_delay_alu instid0(VALU_DEP_2) | instskip(NEXT) | instid1(VALU_DEP_1)
	v_lshrrev_b32_e32 v85, 16, v31
	v_min3_f16 v85, v30, v31, v85
	s_delay_alu instid0(VALU_DEP_3) | instskip(NEXT) | instid1(VALU_DEP_4)
	v_add_co_u32 v30, vcc_lo, v24, v83
	v_add_co_ci_u32_e32 v31, vcc_lo, v25, v84, vcc_lo
	global_store_b16 v[30:31], v85, off
	s_or_b32 exec_lo, exec_lo, s14
	s_and_b32 s14, s7, s8
	s_delay_alu instid0(SALU_CYCLE_1)
	s_and_saveexec_b32 s8, s14
	s_cbranch_execz .LBB261_210
.LBB261_206:
	v_cmp_ne_u32_e32 vcc_lo, 1, v77
	s_cbranch_vccnz .LBB261_208
; %bb.207:
	v_lshlrev_b64 v[30:31], 1, v[46:47]
	s_delay_alu instid0(VALU_DEP_1) | instskip(NEXT) | instid1(VALU_DEP_2)
	v_add_co_u32 v28, vcc_lo, v28, v30
	v_add_co_ci_u32_e32 v29, vcc_lo, v29, v31, vcc_lo
	flat_load_u16 v28, v[28:29]
	s_waitcnt vmcnt(0) lgkmcnt(0)
	v_mul_f16_e32 v28, v48, v28
	s_branch .LBB261_209
.LBB261_208:
	v_mov_b32_e32 v28, 0
.LBB261_209:
	v_pk_add_f16 v26, v2, v26
	v_pk_max_f16 v29, v82, v82
	v_pk_add_f16 v27, v3, v27
	s_delay_alu instid0(VALU_DEP_2) | instskip(NEXT) | instid1(VALU_DEP_1)
	v_pk_min_f16 v26, v29, v26
	v_pk_min_f16 v29, v26, v27
	v_lshlrev_b64 v[26:27], 1, v[46:47]
	s_delay_alu instid0(VALU_DEP_2) | instskip(NEXT) | instid1(VALU_DEP_2)
	v_lshrrev_b32_e32 v30, 16, v29
	v_add_co_u32 v24, vcc_lo, v24, v26
	s_delay_alu instid0(VALU_DEP_3) | instskip(NEXT) | instid1(VALU_DEP_3)
	v_add_co_ci_u32_e32 v25, vcc_lo, v25, v27, vcc_lo
	v_min3_f16 v28, v28, v29, v30
	global_store_b16 v[24:25], v28, off
.LBB261_210:
	s_or_b32 exec_lo, exec_lo, s8
	v_add_nc_u32_e32 v28, 32, v86
	s_delay_alu instid0(VALU_DEP_1) | instskip(SKIP_2) | instid1(VALU_DEP_3)
	v_mad_i64_i32 v[24:25], null, v28, s15, 0
	v_mad_i64_i32 v[26:27], null, v28, s9, 0
	v_cmp_gt_i32_e64 s8, s17, v28
	v_lshlrev_b64 v[24:25], 1, v[24:25]
	s_delay_alu instid0(VALU_DEP_2) | instskip(NEXT) | instid1(VALU_DEP_3)
	s_and_b32 s16, s0, s8
	v_lshlrev_b64 v[28:29], 1, v[26:27]
	s_delay_alu instid0(VALU_DEP_2) | instskip(NEXT) | instid1(VALU_DEP_3)
	v_add_co_u32 v26, vcc_lo, s12, v24
	v_add_co_ci_u32_e32 v27, vcc_lo, s13, v25, vcc_lo
	s_delay_alu instid0(VALU_DEP_3) | instskip(NEXT) | instid1(VALU_DEP_4)
	v_add_co_u32 v24, vcc_lo, s10, v28
	v_add_co_ci_u32_e32 v25, vcc_lo, s11, v29, vcc_lo
	s_and_saveexec_b32 s14, s16
	s_cbranch_execnz .LBB261_218
; %bb.211:
	s_or_b32 exec_lo, exec_lo, s14
	s_and_b32 s16, s1, s8
	s_delay_alu instid0(SALU_CYCLE_1)
	s_and_saveexec_b32 s14, s16
	s_cbranch_execnz .LBB261_222
.LBB261_212:
	s_or_b32 exec_lo, exec_lo, s14
	s_and_b32 s16, s2, s8
	s_delay_alu instid0(SALU_CYCLE_1)
	s_and_saveexec_b32 s14, s16
	s_cbranch_execnz .LBB261_226
.LBB261_213:
	s_or_b32 exec_lo, exec_lo, s14
	s_and_b32 s16, s3, s8
	s_delay_alu instid0(SALU_CYCLE_1)
	s_and_saveexec_b32 s14, s16
	s_cbranch_execnz .LBB261_230
.LBB261_214:
	s_or_b32 exec_lo, exec_lo, s14
	s_and_b32 s16, s4, s8
	s_delay_alu instid0(SALU_CYCLE_1)
	s_and_saveexec_b32 s14, s16
	s_cbranch_execnz .LBB261_234
.LBB261_215:
	s_or_b32 exec_lo, exec_lo, s14
	s_and_b32 s16, s5, s8
	s_delay_alu instid0(SALU_CYCLE_1)
	s_and_saveexec_b32 s14, s16
	s_cbranch_execnz .LBB261_238
.LBB261_216:
	s_or_b32 exec_lo, exec_lo, s14
	s_and_b32 s16, s6, s8
	s_delay_alu instid0(SALU_CYCLE_1)
	s_and_saveexec_b32 s14, s16
	s_cbranch_execnz .LBB261_242
.LBB261_217:
	s_or_b32 exec_lo, exec_lo, s14
	s_and_b32 s14, s7, s8
	s_delay_alu instid0(SALU_CYCLE_1)
	s_and_saveexec_b32 s8, s14
	s_cbranch_execnz .LBB261_246
	s_branch .LBB261_250
.LBB261_218:
	v_cmp_ne_u32_e32 vcc_lo, 1, v77
	s_cbranch_vccnz .LBB261_220
; %bb.219:
	v_lshlrev_b64 v[28:29], 1, v[32:33]
	s_delay_alu instid0(VALU_DEP_1) | instskip(NEXT) | instid1(VALU_DEP_2)
	v_add_co_u32 v28, vcc_lo, v26, v28
	v_add_co_ci_u32_e32 v29, vcc_lo, v27, v29, vcc_lo
	flat_load_u16 v28, v[28:29]
	s_waitcnt vmcnt(0) lgkmcnt(0)
	v_mul_f16_e32 v28, v48, v28
	s_branch .LBB261_221
.LBB261_220:
	v_mov_b32_e32 v28, 0
.LBB261_221:
	v_pk_add_f16 v29, v16, v20
	v_pk_max_f16 v30, v81, v81
	v_pk_add_f16 v31, v17, v21
	s_delay_alu instid0(VALU_DEP_2) | instskip(NEXT) | instid1(VALU_DEP_1)
	v_pk_min_f16 v29, v30, v29
	v_pk_min_f16 v31, v29, v31
	v_lshlrev_b64 v[29:30], 1, v[32:33]
	s_delay_alu instid0(VALU_DEP_2) | instskip(NEXT) | instid1(VALU_DEP_1)
	v_lshrrev_b32_e32 v81, 16, v31
	v_min3_f16 v31, v28, v31, v81
	s_delay_alu instid0(VALU_DEP_3) | instskip(NEXT) | instid1(VALU_DEP_4)
	v_add_co_u32 v28, vcc_lo, v24, v29
	v_add_co_ci_u32_e32 v29, vcc_lo, v25, v30, vcc_lo
	global_store_b16 v[28:29], v31, off
	s_or_b32 exec_lo, exec_lo, s14
	s_and_b32 s16, s1, s8
	s_delay_alu instid0(SALU_CYCLE_1)
	s_and_saveexec_b32 s14, s16
	s_cbranch_execz .LBB261_212
.LBB261_222:
	v_cmp_ne_u32_e32 vcc_lo, 1, v77
	s_cbranch_vccnz .LBB261_224
; %bb.223:
	v_lshlrev_b64 v[28:29], 1, v[34:35]
	s_delay_alu instid0(VALU_DEP_1) | instskip(NEXT) | instid1(VALU_DEP_2)
	v_add_co_u32 v28, vcc_lo, v26, v28
	v_add_co_ci_u32_e32 v29, vcc_lo, v27, v29, vcc_lo
	flat_load_u16 v28, v[28:29]
	s_waitcnt vmcnt(0) lgkmcnt(0)
	v_mul_f16_e32 v28, v48, v28
	s_branch .LBB261_225
.LBB261_224:
	v_mov_b32_e32 v28, 0
.LBB261_225:
	v_pk_add_f16 v29, v18, v20
	v_pk_max_f16 v30, v80, v80
	v_pk_add_f16 v31, v19, v21
	s_delay_alu instid0(VALU_DEP_2) | instskip(NEXT) | instid1(VALU_DEP_1)
	v_pk_min_f16 v29, v30, v29
	v_pk_min_f16 v31, v29, v31
	v_lshlrev_b64 v[29:30], 1, v[34:35]
	s_delay_alu instid0(VALU_DEP_2) | instskip(NEXT) | instid1(VALU_DEP_1)
	v_lshrrev_b32_e32 v80, 16, v31
	v_min3_f16 v31, v28, v31, v80
	s_delay_alu instid0(VALU_DEP_3) | instskip(NEXT) | instid1(VALU_DEP_4)
	v_add_co_u32 v28, vcc_lo, v24, v29
	v_add_co_ci_u32_e32 v29, vcc_lo, v25, v30, vcc_lo
	global_store_b16 v[28:29], v31, off
	s_or_b32 exec_lo, exec_lo, s14
	s_and_b32 s16, s2, s8
	s_delay_alu instid0(SALU_CYCLE_1)
	s_and_saveexec_b32 s14, s16
	s_cbranch_execz .LBB261_213
.LBB261_226:
	v_cmp_ne_u32_e32 vcc_lo, 1, v77
	s_cbranch_vccnz .LBB261_228
; %bb.227:
	v_lshlrev_b64 v[28:29], 1, v[36:37]
	s_delay_alu instid0(VALU_DEP_1) | instskip(NEXT) | instid1(VALU_DEP_2)
	v_add_co_u32 v28, vcc_lo, v26, v28
	v_add_co_ci_u32_e32 v29, vcc_lo, v27, v29, vcc_lo
	flat_load_u16 v28, v[28:29]
	s_waitcnt vmcnt(0) lgkmcnt(0)
	v_mul_f16_e32 v28, v48, v28
	s_branch .LBB261_229
.LBB261_228:
	v_mov_b32_e32 v28, 0
.LBB261_229:
	v_pk_add_f16 v29, v12, v20
	v_pk_max_f16 v30, v79, v79
	v_pk_add_f16 v31, v13, v21
	s_delay_alu instid0(VALU_DEP_2) | instskip(NEXT) | instid1(VALU_DEP_1)
	v_pk_min_f16 v29, v30, v29
	v_pk_min_f16 v31, v29, v31
	v_lshlrev_b64 v[29:30], 1, v[36:37]
	s_delay_alu instid0(VALU_DEP_2) | instskip(NEXT) | instid1(VALU_DEP_1)
	v_lshrrev_b32_e32 v79, 16, v31
	v_min3_f16 v31, v28, v31, v79
	s_delay_alu instid0(VALU_DEP_3) | instskip(NEXT) | instid1(VALU_DEP_4)
	v_add_co_u32 v28, vcc_lo, v24, v29
	v_add_co_ci_u32_e32 v29, vcc_lo, v25, v30, vcc_lo
	global_store_b16 v[28:29], v31, off
	s_or_b32 exec_lo, exec_lo, s14
	s_and_b32 s16, s3, s8
	s_delay_alu instid0(SALU_CYCLE_1)
	s_and_saveexec_b32 s14, s16
	s_cbranch_execz .LBB261_214
.LBB261_230:
	v_cmp_ne_u32_e32 vcc_lo, 1, v77
	s_cbranch_vccnz .LBB261_232
; %bb.231:
	v_lshlrev_b64 v[28:29], 1, v[38:39]
	s_delay_alu instid0(VALU_DEP_1) | instskip(NEXT) | instid1(VALU_DEP_2)
	v_add_co_u32 v28, vcc_lo, v26, v28
	v_add_co_ci_u32_e32 v29, vcc_lo, v27, v29, vcc_lo
	flat_load_u16 v28, v[28:29]
	s_waitcnt vmcnt(0) lgkmcnt(0)
	v_mul_f16_e32 v28, v48, v28
	s_branch .LBB261_233
.LBB261_232:
	v_mov_b32_e32 v28, 0
.LBB261_233:
	v_pk_add_f16 v29, v14, v20
	v_pk_max_f16 v30, v78, v78
	v_pk_add_f16 v31, v15, v21
	s_delay_alu instid0(VALU_DEP_2) | instskip(NEXT) | instid1(VALU_DEP_1)
	v_pk_min_f16 v29, v30, v29
	v_pk_min_f16 v31, v29, v31
	v_lshlrev_b64 v[29:30], 1, v[38:39]
	s_delay_alu instid0(VALU_DEP_2) | instskip(NEXT) | instid1(VALU_DEP_1)
	v_lshrrev_b32_e32 v78, 16, v31
	v_min3_f16 v31, v28, v31, v78
	s_delay_alu instid0(VALU_DEP_3) | instskip(NEXT) | instid1(VALU_DEP_4)
	v_add_co_u32 v28, vcc_lo, v24, v29
	v_add_co_ci_u32_e32 v29, vcc_lo, v25, v30, vcc_lo
	global_store_b16 v[28:29], v31, off
	s_or_b32 exec_lo, exec_lo, s14
	s_and_b32 s16, s4, s8
	s_delay_alu instid0(SALU_CYCLE_1)
	s_and_saveexec_b32 s14, s16
	s_cbranch_execz .LBB261_215
.LBB261_234:
	v_cmp_ne_u32_e32 vcc_lo, 1, v77
	s_cbranch_vccnz .LBB261_236
; %bb.235:
	v_lshlrev_b64 v[28:29], 1, v[40:41]
	s_delay_alu instid0(VALU_DEP_1) | instskip(NEXT) | instid1(VALU_DEP_2)
	v_add_co_u32 v28, vcc_lo, v26, v28
	v_add_co_ci_u32_e32 v29, vcc_lo, v27, v29, vcc_lo
	flat_load_u16 v28, v[28:29]
	s_waitcnt vmcnt(0) lgkmcnt(0)
	v_mul_f16_e32 v28, v48, v28
	s_branch .LBB261_237
.LBB261_236:
	v_mov_b32_e32 v28, 0
.LBB261_237:
	v_pk_add_f16 v29, v8, v20
	v_pk_max_f16 v30, v76, v76
	v_pk_add_f16 v31, v9, v21
	s_delay_alu instid0(VALU_DEP_2) | instskip(NEXT) | instid1(VALU_DEP_1)
	v_pk_min_f16 v29, v30, v29
	v_pk_min_f16 v31, v29, v31
	v_lshlrev_b64 v[29:30], 1, v[40:41]
	s_delay_alu instid0(VALU_DEP_2) | instskip(NEXT) | instid1(VALU_DEP_1)
	v_lshrrev_b32_e32 v76, 16, v31
	v_min3_f16 v31, v28, v31, v76
	s_delay_alu instid0(VALU_DEP_3) | instskip(NEXT) | instid1(VALU_DEP_4)
	v_add_co_u32 v28, vcc_lo, v24, v29
	v_add_co_ci_u32_e32 v29, vcc_lo, v25, v30, vcc_lo
	global_store_b16 v[28:29], v31, off
	s_or_b32 exec_lo, exec_lo, s14
	s_and_b32 s16, s5, s8
	s_delay_alu instid0(SALU_CYCLE_1)
	s_and_saveexec_b32 s14, s16
	s_cbranch_execz .LBB261_216
.LBB261_238:
	v_cmp_ne_u32_e32 vcc_lo, 1, v77
	s_cbranch_vccnz .LBB261_240
; %bb.239:
	v_lshlrev_b64 v[28:29], 1, v[42:43]
	s_delay_alu instid0(VALU_DEP_1) | instskip(NEXT) | instid1(VALU_DEP_2)
	v_add_co_u32 v28, vcc_lo, v26, v28
	v_add_co_ci_u32_e32 v29, vcc_lo, v27, v29, vcc_lo
	flat_load_u16 v28, v[28:29]
	s_waitcnt vmcnt(0) lgkmcnt(0)
	v_mul_f16_e32 v28, v48, v28
	s_branch .LBB261_241
.LBB261_240:
	v_mov_b32_e32 v28, 0
.LBB261_241:
	v_pk_add_f16 v29, v10, v20
	v_pk_max_f16 v30, v75, v75
	v_pk_add_f16 v31, v11, v21
	s_delay_alu instid0(VALU_DEP_2) | instskip(NEXT) | instid1(VALU_DEP_1)
	v_pk_min_f16 v29, v30, v29
	v_pk_min_f16 v31, v29, v31
	v_lshlrev_b64 v[29:30], 1, v[42:43]
	s_delay_alu instid0(VALU_DEP_2) | instskip(NEXT) | instid1(VALU_DEP_1)
	v_lshrrev_b32_e32 v75, 16, v31
	v_min3_f16 v31, v28, v31, v75
	s_delay_alu instid0(VALU_DEP_3) | instskip(NEXT) | instid1(VALU_DEP_4)
	v_add_co_u32 v28, vcc_lo, v24, v29
	v_add_co_ci_u32_e32 v29, vcc_lo, v25, v30, vcc_lo
	global_store_b16 v[28:29], v31, off
	s_or_b32 exec_lo, exec_lo, s14
	s_and_b32 s16, s6, s8
	s_delay_alu instid0(SALU_CYCLE_1)
	s_and_saveexec_b32 s14, s16
	s_cbranch_execz .LBB261_217
.LBB261_242:
	v_cmp_ne_u32_e32 vcc_lo, 1, v77
	s_cbranch_vccnz .LBB261_244
; %bb.243:
	v_lshlrev_b64 v[28:29], 1, v[44:45]
	s_delay_alu instid0(VALU_DEP_1) | instskip(NEXT) | instid1(VALU_DEP_2)
	v_add_co_u32 v28, vcc_lo, v26, v28
	v_add_co_ci_u32_e32 v29, vcc_lo, v27, v29, vcc_lo
	flat_load_u16 v28, v[28:29]
	s_waitcnt vmcnt(0) lgkmcnt(0)
	v_mul_f16_e32 v28, v48, v28
	s_branch .LBB261_245
.LBB261_244:
	v_mov_b32_e32 v28, 0
.LBB261_245:
	v_pk_add_f16 v29, v0, v20
	v_pk_max_f16 v30, v74, v74
	v_pk_add_f16 v31, v1, v21
	s_delay_alu instid0(VALU_DEP_2) | instskip(NEXT) | instid1(VALU_DEP_1)
	v_pk_min_f16 v29, v30, v29
	v_pk_min_f16 v31, v29, v31
	v_lshlrev_b64 v[29:30], 1, v[44:45]
	s_delay_alu instid0(VALU_DEP_2) | instskip(NEXT) | instid1(VALU_DEP_1)
	v_lshrrev_b32_e32 v74, 16, v31
	v_min3_f16 v31, v28, v31, v74
	s_delay_alu instid0(VALU_DEP_3) | instskip(NEXT) | instid1(VALU_DEP_4)
	v_add_co_u32 v28, vcc_lo, v24, v29
	v_add_co_ci_u32_e32 v29, vcc_lo, v25, v30, vcc_lo
	global_store_b16 v[28:29], v31, off
	s_or_b32 exec_lo, exec_lo, s14
	s_and_b32 s14, s7, s8
	s_delay_alu instid0(SALU_CYCLE_1)
	s_and_saveexec_b32 s8, s14
	s_cbranch_execz .LBB261_250
.LBB261_246:
	v_cmp_ne_u32_e32 vcc_lo, 1, v77
	s_cbranch_vccnz .LBB261_248
; %bb.247:
	v_lshlrev_b64 v[28:29], 1, v[46:47]
	s_delay_alu instid0(VALU_DEP_1) | instskip(NEXT) | instid1(VALU_DEP_2)
	v_add_co_u32 v26, vcc_lo, v26, v28
	v_add_co_ci_u32_e32 v27, vcc_lo, v27, v29, vcc_lo
	flat_load_u16 v26, v[26:27]
	s_waitcnt vmcnt(0) lgkmcnt(0)
	v_mul_f16_e32 v26, v48, v26
	s_branch .LBB261_249
.LBB261_248:
	v_mov_b32_e32 v26, 0
.LBB261_249:
	v_pk_add_f16 v20, v2, v20
	v_pk_max_f16 v27, v73, v73
	v_pk_add_f16 v21, v3, v21
	s_delay_alu instid0(VALU_DEP_2) | instskip(NEXT) | instid1(VALU_DEP_1)
	v_pk_min_f16 v20, v27, v20
	v_pk_min_f16 v27, v20, v21
	v_lshlrev_b64 v[20:21], 1, v[46:47]
	s_delay_alu instid0(VALU_DEP_2) | instskip(NEXT) | instid1(VALU_DEP_2)
	v_lshrrev_b32_e32 v28, 16, v27
	v_add_co_u32 v20, vcc_lo, v24, v20
	s_delay_alu instid0(VALU_DEP_3) | instskip(NEXT) | instid1(VALU_DEP_3)
	v_add_co_ci_u32_e32 v21, vcc_lo, v25, v21, vcc_lo
	v_min3_f16 v26, v26, v27, v28
	global_store_b16 v[20:21], v26, off
.LBB261_250:
	s_or_b32 exec_lo, exec_lo, s8
	v_add_nc_u32_e32 v26, 40, v86
	s_delay_alu instid0(VALU_DEP_1) | instskip(SKIP_2) | instid1(VALU_DEP_3)
	v_mad_i64_i32 v[20:21], null, v26, s15, 0
	v_mad_i64_i32 v[24:25], null, v26, s9, 0
	v_cmp_gt_i32_e64 s8, s17, v26
	v_lshlrev_b64 v[20:21], 1, v[20:21]
	s_delay_alu instid0(VALU_DEP_2) | instskip(NEXT) | instid1(VALU_DEP_3)
	s_and_b32 s16, s0, s8
	v_lshlrev_b64 v[26:27], 1, v[24:25]
	s_delay_alu instid0(VALU_DEP_2) | instskip(NEXT) | instid1(VALU_DEP_3)
	v_add_co_u32 v24, vcc_lo, s12, v20
	v_add_co_ci_u32_e32 v25, vcc_lo, s13, v21, vcc_lo
	s_delay_alu instid0(VALU_DEP_3) | instskip(NEXT) | instid1(VALU_DEP_4)
	v_add_co_u32 v20, vcc_lo, s10, v26
	v_add_co_ci_u32_e32 v21, vcc_lo, s11, v27, vcc_lo
	s_and_saveexec_b32 s14, s16
	s_cbranch_execnz .LBB261_258
; %bb.251:
	s_or_b32 exec_lo, exec_lo, s14
	s_and_b32 s16, s1, s8
	s_delay_alu instid0(SALU_CYCLE_1)
	s_and_saveexec_b32 s14, s16
	s_cbranch_execnz .LBB261_262
.LBB261_252:
	s_or_b32 exec_lo, exec_lo, s14
	s_and_b32 s16, s2, s8
	s_delay_alu instid0(SALU_CYCLE_1)
	s_and_saveexec_b32 s14, s16
	s_cbranch_execnz .LBB261_266
.LBB261_253:
	s_or_b32 exec_lo, exec_lo, s14
	s_and_b32 s16, s3, s8
	s_delay_alu instid0(SALU_CYCLE_1)
	s_and_saveexec_b32 s14, s16
	s_cbranch_execnz .LBB261_270
.LBB261_254:
	s_or_b32 exec_lo, exec_lo, s14
	s_and_b32 s16, s4, s8
	s_delay_alu instid0(SALU_CYCLE_1)
	s_and_saveexec_b32 s14, s16
	s_cbranch_execnz .LBB261_274
.LBB261_255:
	s_or_b32 exec_lo, exec_lo, s14
	s_and_b32 s16, s5, s8
	s_delay_alu instid0(SALU_CYCLE_1)
	s_and_saveexec_b32 s14, s16
	s_cbranch_execnz .LBB261_278
.LBB261_256:
	s_or_b32 exec_lo, exec_lo, s14
	s_and_b32 s16, s6, s8
	s_delay_alu instid0(SALU_CYCLE_1)
	s_and_saveexec_b32 s14, s16
	s_cbranch_execnz .LBB261_282
.LBB261_257:
	s_or_b32 exec_lo, exec_lo, s14
	s_and_b32 s14, s7, s8
	s_delay_alu instid0(SALU_CYCLE_1)
	s_and_saveexec_b32 s8, s14
	s_cbranch_execnz .LBB261_286
	s_branch .LBB261_290
.LBB261_258:
	v_cmp_ne_u32_e32 vcc_lo, 1, v77
	s_cbranch_vccnz .LBB261_260
; %bb.259:
	v_lshlrev_b64 v[26:27], 1, v[32:33]
	s_delay_alu instid0(VALU_DEP_1) | instskip(NEXT) | instid1(VALU_DEP_2)
	v_add_co_u32 v26, vcc_lo, v24, v26
	v_add_co_ci_u32_e32 v27, vcc_lo, v25, v27, vcc_lo
	flat_load_u16 v26, v[26:27]
	s_waitcnt vmcnt(0) lgkmcnt(0)
	v_mul_f16_e32 v26, v48, v26
	s_branch .LBB261_261
.LBB261_260:
	v_mov_b32_e32 v26, 0
.LBB261_261:
	v_pk_add_f16 v27, v16, v22
	v_pk_max_f16 v28, v72, v72
	v_pk_add_f16 v29, v17, v23
	s_delay_alu instid0(VALU_DEP_2) | instskip(NEXT) | instid1(VALU_DEP_1)
	v_pk_min_f16 v27, v28, v27
	v_pk_min_f16 v29, v27, v29
	v_lshlrev_b64 v[27:28], 1, v[32:33]
	s_delay_alu instid0(VALU_DEP_2) | instskip(NEXT) | instid1(VALU_DEP_1)
	v_lshrrev_b32_e32 v30, 16, v29
	v_min3_f16 v29, v26, v29, v30
	s_delay_alu instid0(VALU_DEP_3) | instskip(NEXT) | instid1(VALU_DEP_4)
	v_add_co_u32 v26, vcc_lo, v20, v27
	v_add_co_ci_u32_e32 v27, vcc_lo, v21, v28, vcc_lo
	global_store_b16 v[26:27], v29, off
	s_or_b32 exec_lo, exec_lo, s14
	s_and_b32 s16, s1, s8
	s_delay_alu instid0(SALU_CYCLE_1)
	s_and_saveexec_b32 s14, s16
	s_cbranch_execz .LBB261_252
.LBB261_262:
	v_cmp_ne_u32_e32 vcc_lo, 1, v77
	s_cbranch_vccnz .LBB261_264
; %bb.263:
	v_lshlrev_b64 v[26:27], 1, v[34:35]
	s_delay_alu instid0(VALU_DEP_1) | instskip(NEXT) | instid1(VALU_DEP_2)
	v_add_co_u32 v26, vcc_lo, v24, v26
	v_add_co_ci_u32_e32 v27, vcc_lo, v25, v27, vcc_lo
	flat_load_u16 v26, v[26:27]
	s_waitcnt vmcnt(0) lgkmcnt(0)
	v_mul_f16_e32 v26, v48, v26
	s_branch .LBB261_265
.LBB261_264:
	v_mov_b32_e32 v26, 0
.LBB261_265:
	v_pk_add_f16 v27, v18, v22
	v_pk_max_f16 v28, v71, v71
	v_pk_add_f16 v29, v19, v23
	s_delay_alu instid0(VALU_DEP_2) | instskip(NEXT) | instid1(VALU_DEP_1)
	v_pk_min_f16 v27, v28, v27
	v_pk_min_f16 v29, v27, v29
	v_lshlrev_b64 v[27:28], 1, v[34:35]
	s_delay_alu instid0(VALU_DEP_2) | instskip(NEXT) | instid1(VALU_DEP_1)
	v_lshrrev_b32_e32 v30, 16, v29
	v_min3_f16 v29, v26, v29, v30
	s_delay_alu instid0(VALU_DEP_3) | instskip(NEXT) | instid1(VALU_DEP_4)
	v_add_co_u32 v26, vcc_lo, v20, v27
	v_add_co_ci_u32_e32 v27, vcc_lo, v21, v28, vcc_lo
	global_store_b16 v[26:27], v29, off
	s_or_b32 exec_lo, exec_lo, s14
	s_and_b32 s16, s2, s8
	s_delay_alu instid0(SALU_CYCLE_1)
	s_and_saveexec_b32 s14, s16
	s_cbranch_execz .LBB261_253
.LBB261_266:
	v_cmp_ne_u32_e32 vcc_lo, 1, v77
	s_cbranch_vccnz .LBB261_268
; %bb.267:
	v_lshlrev_b64 v[26:27], 1, v[36:37]
	s_delay_alu instid0(VALU_DEP_1) | instskip(NEXT) | instid1(VALU_DEP_2)
	v_add_co_u32 v26, vcc_lo, v24, v26
	v_add_co_ci_u32_e32 v27, vcc_lo, v25, v27, vcc_lo
	flat_load_u16 v26, v[26:27]
	s_waitcnt vmcnt(0) lgkmcnt(0)
	v_mul_f16_e32 v26, v48, v26
	s_branch .LBB261_269
.LBB261_268:
	v_mov_b32_e32 v26, 0
.LBB261_269:
	v_pk_add_f16 v27, v12, v22
	v_pk_max_f16 v28, v70, v70
	v_pk_add_f16 v29, v13, v23
	s_delay_alu instid0(VALU_DEP_2) | instskip(NEXT) | instid1(VALU_DEP_1)
	v_pk_min_f16 v27, v28, v27
	v_pk_min_f16 v29, v27, v29
	v_lshlrev_b64 v[27:28], 1, v[36:37]
	s_delay_alu instid0(VALU_DEP_2) | instskip(NEXT) | instid1(VALU_DEP_1)
	v_lshrrev_b32_e32 v30, 16, v29
	v_min3_f16 v29, v26, v29, v30
	s_delay_alu instid0(VALU_DEP_3) | instskip(NEXT) | instid1(VALU_DEP_4)
	v_add_co_u32 v26, vcc_lo, v20, v27
	v_add_co_ci_u32_e32 v27, vcc_lo, v21, v28, vcc_lo
	global_store_b16 v[26:27], v29, off
	s_or_b32 exec_lo, exec_lo, s14
	s_and_b32 s16, s3, s8
	s_delay_alu instid0(SALU_CYCLE_1)
	s_and_saveexec_b32 s14, s16
	s_cbranch_execz .LBB261_254
.LBB261_270:
	v_cmp_ne_u32_e32 vcc_lo, 1, v77
	s_cbranch_vccnz .LBB261_272
; %bb.271:
	v_lshlrev_b64 v[26:27], 1, v[38:39]
	s_delay_alu instid0(VALU_DEP_1) | instskip(NEXT) | instid1(VALU_DEP_2)
	v_add_co_u32 v26, vcc_lo, v24, v26
	v_add_co_ci_u32_e32 v27, vcc_lo, v25, v27, vcc_lo
	flat_load_u16 v26, v[26:27]
	s_waitcnt vmcnt(0) lgkmcnt(0)
	v_mul_f16_e32 v26, v48, v26
	s_branch .LBB261_273
.LBB261_272:
	v_mov_b32_e32 v26, 0
.LBB261_273:
	v_pk_add_f16 v27, v14, v22
	v_pk_max_f16 v28, v69, v69
	v_pk_add_f16 v29, v15, v23
	s_delay_alu instid0(VALU_DEP_2) | instskip(NEXT) | instid1(VALU_DEP_1)
	v_pk_min_f16 v27, v28, v27
	v_pk_min_f16 v29, v27, v29
	v_lshlrev_b64 v[27:28], 1, v[38:39]
	s_delay_alu instid0(VALU_DEP_2) | instskip(NEXT) | instid1(VALU_DEP_1)
	v_lshrrev_b32_e32 v30, 16, v29
	v_min3_f16 v29, v26, v29, v30
	s_delay_alu instid0(VALU_DEP_3) | instskip(NEXT) | instid1(VALU_DEP_4)
	v_add_co_u32 v26, vcc_lo, v20, v27
	v_add_co_ci_u32_e32 v27, vcc_lo, v21, v28, vcc_lo
	global_store_b16 v[26:27], v29, off
	s_or_b32 exec_lo, exec_lo, s14
	s_and_b32 s16, s4, s8
	s_delay_alu instid0(SALU_CYCLE_1)
	s_and_saveexec_b32 s14, s16
	s_cbranch_execz .LBB261_255
.LBB261_274:
	v_cmp_ne_u32_e32 vcc_lo, 1, v77
	s_cbranch_vccnz .LBB261_276
; %bb.275:
	v_lshlrev_b64 v[26:27], 1, v[40:41]
	s_delay_alu instid0(VALU_DEP_1) | instskip(NEXT) | instid1(VALU_DEP_2)
	v_add_co_u32 v26, vcc_lo, v24, v26
	v_add_co_ci_u32_e32 v27, vcc_lo, v25, v27, vcc_lo
	flat_load_u16 v26, v[26:27]
	s_waitcnt vmcnt(0) lgkmcnt(0)
	v_mul_f16_e32 v26, v48, v26
	s_branch .LBB261_277
.LBB261_276:
	v_mov_b32_e32 v26, 0
.LBB261_277:
	v_pk_add_f16 v27, v8, v22
	v_pk_max_f16 v28, v68, v68
	v_pk_add_f16 v29, v9, v23
	s_delay_alu instid0(VALU_DEP_2) | instskip(NEXT) | instid1(VALU_DEP_1)
	v_pk_min_f16 v27, v28, v27
	v_pk_min_f16 v29, v27, v29
	v_lshlrev_b64 v[27:28], 1, v[40:41]
	s_delay_alu instid0(VALU_DEP_2) | instskip(NEXT) | instid1(VALU_DEP_1)
	v_lshrrev_b32_e32 v30, 16, v29
	v_min3_f16 v29, v26, v29, v30
	s_delay_alu instid0(VALU_DEP_3) | instskip(NEXT) | instid1(VALU_DEP_4)
	v_add_co_u32 v26, vcc_lo, v20, v27
	v_add_co_ci_u32_e32 v27, vcc_lo, v21, v28, vcc_lo
	global_store_b16 v[26:27], v29, off
	s_or_b32 exec_lo, exec_lo, s14
	s_and_b32 s16, s5, s8
	s_delay_alu instid0(SALU_CYCLE_1)
	s_and_saveexec_b32 s14, s16
	s_cbranch_execz .LBB261_256
.LBB261_278:
	v_cmp_ne_u32_e32 vcc_lo, 1, v77
	s_cbranch_vccnz .LBB261_280
; %bb.279:
	v_lshlrev_b64 v[26:27], 1, v[42:43]
	s_delay_alu instid0(VALU_DEP_1) | instskip(NEXT) | instid1(VALU_DEP_2)
	v_add_co_u32 v26, vcc_lo, v24, v26
	v_add_co_ci_u32_e32 v27, vcc_lo, v25, v27, vcc_lo
	flat_load_u16 v26, v[26:27]
	s_waitcnt vmcnt(0) lgkmcnt(0)
	v_mul_f16_e32 v26, v48, v26
	s_branch .LBB261_281
.LBB261_280:
	v_mov_b32_e32 v26, 0
.LBB261_281:
	v_pk_add_f16 v27, v10, v22
	v_pk_max_f16 v28, v67, v67
	v_pk_add_f16 v29, v11, v23
	s_delay_alu instid0(VALU_DEP_2) | instskip(NEXT) | instid1(VALU_DEP_1)
	v_pk_min_f16 v27, v28, v27
	v_pk_min_f16 v29, v27, v29
	v_lshlrev_b64 v[27:28], 1, v[42:43]
	s_delay_alu instid0(VALU_DEP_2) | instskip(NEXT) | instid1(VALU_DEP_1)
	v_lshrrev_b32_e32 v30, 16, v29
	v_min3_f16 v29, v26, v29, v30
	s_delay_alu instid0(VALU_DEP_3) | instskip(NEXT) | instid1(VALU_DEP_4)
	v_add_co_u32 v26, vcc_lo, v20, v27
	v_add_co_ci_u32_e32 v27, vcc_lo, v21, v28, vcc_lo
	global_store_b16 v[26:27], v29, off
	s_or_b32 exec_lo, exec_lo, s14
	s_and_b32 s16, s6, s8
	s_delay_alu instid0(SALU_CYCLE_1)
	s_and_saveexec_b32 s14, s16
	s_cbranch_execz .LBB261_257
.LBB261_282:
	v_cmp_ne_u32_e32 vcc_lo, 1, v77
	s_cbranch_vccnz .LBB261_284
; %bb.283:
	v_lshlrev_b64 v[26:27], 1, v[44:45]
	s_delay_alu instid0(VALU_DEP_1) | instskip(NEXT) | instid1(VALU_DEP_2)
	v_add_co_u32 v26, vcc_lo, v24, v26
	v_add_co_ci_u32_e32 v27, vcc_lo, v25, v27, vcc_lo
	flat_load_u16 v26, v[26:27]
	s_waitcnt vmcnt(0) lgkmcnt(0)
	v_mul_f16_e32 v26, v48, v26
	s_branch .LBB261_285
.LBB261_284:
	v_mov_b32_e32 v26, 0
.LBB261_285:
	v_pk_add_f16 v27, v0, v22
	v_pk_max_f16 v28, v66, v66
	v_pk_add_f16 v29, v1, v23
	s_delay_alu instid0(VALU_DEP_2) | instskip(NEXT) | instid1(VALU_DEP_1)
	v_pk_min_f16 v27, v28, v27
	v_pk_min_f16 v29, v27, v29
	v_lshlrev_b64 v[27:28], 1, v[44:45]
	s_delay_alu instid0(VALU_DEP_2) | instskip(NEXT) | instid1(VALU_DEP_1)
	v_lshrrev_b32_e32 v30, 16, v29
	v_min3_f16 v29, v26, v29, v30
	s_delay_alu instid0(VALU_DEP_3) | instskip(NEXT) | instid1(VALU_DEP_4)
	v_add_co_u32 v26, vcc_lo, v20, v27
	v_add_co_ci_u32_e32 v27, vcc_lo, v21, v28, vcc_lo
	global_store_b16 v[26:27], v29, off
	s_or_b32 exec_lo, exec_lo, s14
	s_and_b32 s14, s7, s8
	s_delay_alu instid0(SALU_CYCLE_1)
	s_and_saveexec_b32 s8, s14
	s_cbranch_execz .LBB261_290
.LBB261_286:
	v_cmp_ne_u32_e32 vcc_lo, 1, v77
	s_cbranch_vccnz .LBB261_288
; %bb.287:
	v_lshlrev_b64 v[26:27], 1, v[46:47]
	s_delay_alu instid0(VALU_DEP_1) | instskip(NEXT) | instid1(VALU_DEP_2)
	v_add_co_u32 v24, vcc_lo, v24, v26
	v_add_co_ci_u32_e32 v25, vcc_lo, v25, v27, vcc_lo
	flat_load_u16 v24, v[24:25]
	s_waitcnt vmcnt(0) lgkmcnt(0)
	v_mul_f16_e32 v24, v48, v24
	s_branch .LBB261_289
.LBB261_288:
	v_mov_b32_e32 v24, 0
.LBB261_289:
	v_pk_add_f16 v22, v2, v22
	v_pk_max_f16 v25, v65, v65
	v_pk_add_f16 v23, v3, v23
	s_delay_alu instid0(VALU_DEP_2) | instskip(NEXT) | instid1(VALU_DEP_1)
	v_pk_min_f16 v22, v25, v22
	v_pk_min_f16 v25, v22, v23
	v_lshlrev_b64 v[22:23], 1, v[46:47]
	s_delay_alu instid0(VALU_DEP_2) | instskip(NEXT) | instid1(VALU_DEP_2)
	v_lshrrev_b32_e32 v26, 16, v25
	v_add_co_u32 v20, vcc_lo, v20, v22
	s_delay_alu instid0(VALU_DEP_3) | instskip(NEXT) | instid1(VALU_DEP_3)
	v_add_co_ci_u32_e32 v21, vcc_lo, v21, v23, vcc_lo
	v_min3_f16 v24, v24, v25, v26
	global_store_b16 v[20:21], v24, off
.LBB261_290:
	s_or_b32 exec_lo, exec_lo, s8
	v_add_nc_u32_e32 v24, 48, v86
	s_delay_alu instid0(VALU_DEP_1) | instskip(SKIP_2) | instid1(VALU_DEP_3)
	v_mad_i64_i32 v[20:21], null, v24, s15, 0
	v_mad_i64_i32 v[22:23], null, v24, s9, 0
	v_cmp_gt_i32_e64 s8, s17, v24
	v_lshlrev_b64 v[20:21], 1, v[20:21]
	s_delay_alu instid0(VALU_DEP_2) | instskip(NEXT) | instid1(VALU_DEP_3)
	s_and_b32 s16, s0, s8
	v_lshlrev_b64 v[24:25], 1, v[22:23]
	s_delay_alu instid0(VALU_DEP_2) | instskip(NEXT) | instid1(VALU_DEP_3)
	v_add_co_u32 v22, vcc_lo, s12, v20
	v_add_co_ci_u32_e32 v23, vcc_lo, s13, v21, vcc_lo
	s_delay_alu instid0(VALU_DEP_3) | instskip(NEXT) | instid1(VALU_DEP_4)
	v_add_co_u32 v20, vcc_lo, s10, v24
	v_add_co_ci_u32_e32 v21, vcc_lo, s11, v25, vcc_lo
	s_and_saveexec_b32 s14, s16
	s_cbranch_execnz .LBB261_298
; %bb.291:
	s_or_b32 exec_lo, exec_lo, s14
	s_and_b32 s16, s1, s8
	s_delay_alu instid0(SALU_CYCLE_1)
	s_and_saveexec_b32 s14, s16
	s_cbranch_execnz .LBB261_302
.LBB261_292:
	s_or_b32 exec_lo, exec_lo, s14
	s_and_b32 s16, s2, s8
	s_delay_alu instid0(SALU_CYCLE_1)
	s_and_saveexec_b32 s14, s16
	s_cbranch_execnz .LBB261_306
.LBB261_293:
	s_or_b32 exec_lo, exec_lo, s14
	s_and_b32 s16, s3, s8
	s_delay_alu instid0(SALU_CYCLE_1)
	s_and_saveexec_b32 s14, s16
	s_cbranch_execnz .LBB261_310
.LBB261_294:
	s_or_b32 exec_lo, exec_lo, s14
	s_and_b32 s16, s4, s8
	s_delay_alu instid0(SALU_CYCLE_1)
	s_and_saveexec_b32 s14, s16
	s_cbranch_execnz .LBB261_314
.LBB261_295:
	s_or_b32 exec_lo, exec_lo, s14
	s_and_b32 s16, s5, s8
	s_delay_alu instid0(SALU_CYCLE_1)
	s_and_saveexec_b32 s14, s16
	s_cbranch_execnz .LBB261_318
.LBB261_296:
	s_or_b32 exec_lo, exec_lo, s14
	s_and_b32 s16, s6, s8
	s_delay_alu instid0(SALU_CYCLE_1)
	s_and_saveexec_b32 s14, s16
	s_cbranch_execnz .LBB261_322
.LBB261_297:
	s_or_b32 exec_lo, exec_lo, s14
	s_and_b32 s14, s7, s8
	s_delay_alu instid0(SALU_CYCLE_1)
	s_and_saveexec_b32 s8, s14
	s_cbranch_execnz .LBB261_326
	s_branch .LBB261_330
.LBB261_298:
	v_cmp_ne_u32_e32 vcc_lo, 1, v77
	s_cbranch_vccnz .LBB261_300
; %bb.299:
	v_lshlrev_b64 v[24:25], 1, v[32:33]
	s_delay_alu instid0(VALU_DEP_1) | instskip(NEXT) | instid1(VALU_DEP_2)
	v_add_co_u32 v24, vcc_lo, v22, v24
	v_add_co_ci_u32_e32 v25, vcc_lo, v23, v25, vcc_lo
	flat_load_u16 v24, v[24:25]
	s_waitcnt vmcnt(0) lgkmcnt(0)
	v_mul_f16_e32 v24, v48, v24
	s_branch .LBB261_301
.LBB261_300:
	v_mov_b32_e32 v24, 0
.LBB261_301:
	v_pk_add_f16 v25, v16, v4
	v_pk_max_f16 v26, v64, v64
	v_pk_add_f16 v27, v17, v5
	s_delay_alu instid0(VALU_DEP_2) | instskip(NEXT) | instid1(VALU_DEP_1)
	v_pk_min_f16 v25, v26, v25
	v_pk_min_f16 v27, v25, v27
	v_lshlrev_b64 v[25:26], 1, v[32:33]
	s_delay_alu instid0(VALU_DEP_2) | instskip(NEXT) | instid1(VALU_DEP_1)
	v_lshrrev_b32_e32 v28, 16, v27
	v_min3_f16 v27, v24, v27, v28
	s_delay_alu instid0(VALU_DEP_3) | instskip(NEXT) | instid1(VALU_DEP_4)
	v_add_co_u32 v24, vcc_lo, v20, v25
	v_add_co_ci_u32_e32 v25, vcc_lo, v21, v26, vcc_lo
	global_store_b16 v[24:25], v27, off
	s_or_b32 exec_lo, exec_lo, s14
	s_and_b32 s16, s1, s8
	s_delay_alu instid0(SALU_CYCLE_1)
	s_and_saveexec_b32 s14, s16
	s_cbranch_execz .LBB261_292
.LBB261_302:
	v_cmp_ne_u32_e32 vcc_lo, 1, v77
	s_cbranch_vccnz .LBB261_304
; %bb.303:
	v_lshlrev_b64 v[24:25], 1, v[34:35]
	s_delay_alu instid0(VALU_DEP_1) | instskip(NEXT) | instid1(VALU_DEP_2)
	v_add_co_u32 v24, vcc_lo, v22, v24
	v_add_co_ci_u32_e32 v25, vcc_lo, v23, v25, vcc_lo
	flat_load_u16 v24, v[24:25]
	s_waitcnt vmcnt(0) lgkmcnt(0)
	v_mul_f16_e32 v24, v48, v24
	s_branch .LBB261_305
.LBB261_304:
	v_mov_b32_e32 v24, 0
.LBB261_305:
	v_pk_add_f16 v25, v18, v4
	v_pk_max_f16 v26, v63, v63
	v_pk_add_f16 v27, v19, v5
	s_delay_alu instid0(VALU_DEP_2) | instskip(NEXT) | instid1(VALU_DEP_1)
	v_pk_min_f16 v25, v26, v25
	v_pk_min_f16 v27, v25, v27
	v_lshlrev_b64 v[25:26], 1, v[34:35]
	s_delay_alu instid0(VALU_DEP_2) | instskip(NEXT) | instid1(VALU_DEP_1)
	v_lshrrev_b32_e32 v28, 16, v27
	v_min3_f16 v27, v24, v27, v28
	s_delay_alu instid0(VALU_DEP_3) | instskip(NEXT) | instid1(VALU_DEP_4)
	v_add_co_u32 v24, vcc_lo, v20, v25
	v_add_co_ci_u32_e32 v25, vcc_lo, v21, v26, vcc_lo
	global_store_b16 v[24:25], v27, off
	s_or_b32 exec_lo, exec_lo, s14
	s_and_b32 s16, s2, s8
	s_delay_alu instid0(SALU_CYCLE_1)
	s_and_saveexec_b32 s14, s16
	s_cbranch_execz .LBB261_293
.LBB261_306:
	v_cmp_ne_u32_e32 vcc_lo, 1, v77
	s_cbranch_vccnz .LBB261_308
; %bb.307:
	v_lshlrev_b64 v[24:25], 1, v[36:37]
	s_delay_alu instid0(VALU_DEP_1) | instskip(NEXT) | instid1(VALU_DEP_2)
	v_add_co_u32 v24, vcc_lo, v22, v24
	v_add_co_ci_u32_e32 v25, vcc_lo, v23, v25, vcc_lo
	flat_load_u16 v24, v[24:25]
	s_waitcnt vmcnt(0) lgkmcnt(0)
	v_mul_f16_e32 v24, v48, v24
	s_branch .LBB261_309
.LBB261_308:
	v_mov_b32_e32 v24, 0
.LBB261_309:
	v_pk_add_f16 v25, v12, v4
	v_pk_max_f16 v26, v62, v62
	v_pk_add_f16 v27, v13, v5
	s_delay_alu instid0(VALU_DEP_2) | instskip(NEXT) | instid1(VALU_DEP_1)
	v_pk_min_f16 v25, v26, v25
	v_pk_min_f16 v27, v25, v27
	v_lshlrev_b64 v[25:26], 1, v[36:37]
	s_delay_alu instid0(VALU_DEP_2) | instskip(NEXT) | instid1(VALU_DEP_1)
	v_lshrrev_b32_e32 v28, 16, v27
	v_min3_f16 v27, v24, v27, v28
	s_delay_alu instid0(VALU_DEP_3) | instskip(NEXT) | instid1(VALU_DEP_4)
	v_add_co_u32 v24, vcc_lo, v20, v25
	v_add_co_ci_u32_e32 v25, vcc_lo, v21, v26, vcc_lo
	global_store_b16 v[24:25], v27, off
	s_or_b32 exec_lo, exec_lo, s14
	s_and_b32 s16, s3, s8
	s_delay_alu instid0(SALU_CYCLE_1)
	s_and_saveexec_b32 s14, s16
	s_cbranch_execz .LBB261_294
.LBB261_310:
	v_cmp_ne_u32_e32 vcc_lo, 1, v77
	s_cbranch_vccnz .LBB261_312
; %bb.311:
	v_lshlrev_b64 v[24:25], 1, v[38:39]
	s_delay_alu instid0(VALU_DEP_1) | instskip(NEXT) | instid1(VALU_DEP_2)
	v_add_co_u32 v24, vcc_lo, v22, v24
	v_add_co_ci_u32_e32 v25, vcc_lo, v23, v25, vcc_lo
	flat_load_u16 v24, v[24:25]
	s_waitcnt vmcnt(0) lgkmcnt(0)
	v_mul_f16_e32 v24, v48, v24
	s_branch .LBB261_313
.LBB261_312:
	v_mov_b32_e32 v24, 0
.LBB261_313:
	v_pk_add_f16 v25, v14, v4
	v_pk_max_f16 v26, v61, v61
	v_pk_add_f16 v27, v15, v5
	s_delay_alu instid0(VALU_DEP_2) | instskip(NEXT) | instid1(VALU_DEP_1)
	v_pk_min_f16 v25, v26, v25
	v_pk_min_f16 v27, v25, v27
	v_lshlrev_b64 v[25:26], 1, v[38:39]
	s_delay_alu instid0(VALU_DEP_2) | instskip(NEXT) | instid1(VALU_DEP_1)
	v_lshrrev_b32_e32 v28, 16, v27
	v_min3_f16 v27, v24, v27, v28
	s_delay_alu instid0(VALU_DEP_3) | instskip(NEXT) | instid1(VALU_DEP_4)
	v_add_co_u32 v24, vcc_lo, v20, v25
	v_add_co_ci_u32_e32 v25, vcc_lo, v21, v26, vcc_lo
	global_store_b16 v[24:25], v27, off
	s_or_b32 exec_lo, exec_lo, s14
	s_and_b32 s16, s4, s8
	s_delay_alu instid0(SALU_CYCLE_1)
	s_and_saveexec_b32 s14, s16
	s_cbranch_execz .LBB261_295
.LBB261_314:
	v_cmp_ne_u32_e32 vcc_lo, 1, v77
	s_cbranch_vccnz .LBB261_316
; %bb.315:
	v_lshlrev_b64 v[24:25], 1, v[40:41]
	s_delay_alu instid0(VALU_DEP_1) | instskip(NEXT) | instid1(VALU_DEP_2)
	v_add_co_u32 v24, vcc_lo, v22, v24
	v_add_co_ci_u32_e32 v25, vcc_lo, v23, v25, vcc_lo
	flat_load_u16 v24, v[24:25]
	s_waitcnt vmcnt(0) lgkmcnt(0)
	v_mul_f16_e32 v24, v48, v24
	s_branch .LBB261_317
.LBB261_316:
	v_mov_b32_e32 v24, 0
.LBB261_317:
	v_pk_add_f16 v25, v8, v4
	v_pk_max_f16 v26, v60, v60
	v_pk_add_f16 v27, v9, v5
	s_delay_alu instid0(VALU_DEP_2) | instskip(NEXT) | instid1(VALU_DEP_1)
	v_pk_min_f16 v25, v26, v25
	v_pk_min_f16 v27, v25, v27
	v_lshlrev_b64 v[25:26], 1, v[40:41]
	s_delay_alu instid0(VALU_DEP_2) | instskip(NEXT) | instid1(VALU_DEP_1)
	v_lshrrev_b32_e32 v28, 16, v27
	v_min3_f16 v27, v24, v27, v28
	s_delay_alu instid0(VALU_DEP_3) | instskip(NEXT) | instid1(VALU_DEP_4)
	v_add_co_u32 v24, vcc_lo, v20, v25
	v_add_co_ci_u32_e32 v25, vcc_lo, v21, v26, vcc_lo
	global_store_b16 v[24:25], v27, off
	s_or_b32 exec_lo, exec_lo, s14
	s_and_b32 s16, s5, s8
	s_delay_alu instid0(SALU_CYCLE_1)
	s_and_saveexec_b32 s14, s16
	s_cbranch_execz .LBB261_296
.LBB261_318:
	v_cmp_ne_u32_e32 vcc_lo, 1, v77
	s_cbranch_vccnz .LBB261_320
; %bb.319:
	v_lshlrev_b64 v[24:25], 1, v[42:43]
	s_delay_alu instid0(VALU_DEP_1) | instskip(NEXT) | instid1(VALU_DEP_2)
	v_add_co_u32 v24, vcc_lo, v22, v24
	v_add_co_ci_u32_e32 v25, vcc_lo, v23, v25, vcc_lo
	flat_load_u16 v24, v[24:25]
	s_waitcnt vmcnt(0) lgkmcnt(0)
	v_mul_f16_e32 v24, v48, v24
	s_branch .LBB261_321
.LBB261_320:
	v_mov_b32_e32 v24, 0
.LBB261_321:
	v_pk_add_f16 v25, v10, v4
	v_pk_max_f16 v26, v59, v59
	v_pk_add_f16 v27, v11, v5
	s_delay_alu instid0(VALU_DEP_2) | instskip(NEXT) | instid1(VALU_DEP_1)
	v_pk_min_f16 v25, v26, v25
	v_pk_min_f16 v27, v25, v27
	v_lshlrev_b64 v[25:26], 1, v[42:43]
	s_delay_alu instid0(VALU_DEP_2) | instskip(NEXT) | instid1(VALU_DEP_1)
	v_lshrrev_b32_e32 v28, 16, v27
	v_min3_f16 v27, v24, v27, v28
	s_delay_alu instid0(VALU_DEP_3) | instskip(NEXT) | instid1(VALU_DEP_4)
	v_add_co_u32 v24, vcc_lo, v20, v25
	v_add_co_ci_u32_e32 v25, vcc_lo, v21, v26, vcc_lo
	global_store_b16 v[24:25], v27, off
	s_or_b32 exec_lo, exec_lo, s14
	s_and_b32 s16, s6, s8
	s_delay_alu instid0(SALU_CYCLE_1)
	s_and_saveexec_b32 s14, s16
	s_cbranch_execz .LBB261_297
.LBB261_322:
	v_cmp_ne_u32_e32 vcc_lo, 1, v77
	s_cbranch_vccnz .LBB261_324
; %bb.323:
	v_lshlrev_b64 v[24:25], 1, v[44:45]
	s_delay_alu instid0(VALU_DEP_1) | instskip(NEXT) | instid1(VALU_DEP_2)
	v_add_co_u32 v24, vcc_lo, v22, v24
	v_add_co_ci_u32_e32 v25, vcc_lo, v23, v25, vcc_lo
	flat_load_u16 v24, v[24:25]
	s_waitcnt vmcnt(0) lgkmcnt(0)
	v_mul_f16_e32 v24, v48, v24
	s_branch .LBB261_325
.LBB261_324:
	v_mov_b32_e32 v24, 0
.LBB261_325:
	v_pk_add_f16 v25, v0, v4
	v_pk_max_f16 v26, v58, v58
	v_pk_add_f16 v27, v1, v5
	s_delay_alu instid0(VALU_DEP_2) | instskip(NEXT) | instid1(VALU_DEP_1)
	v_pk_min_f16 v25, v26, v25
	v_pk_min_f16 v27, v25, v27
	v_lshlrev_b64 v[25:26], 1, v[44:45]
	s_delay_alu instid0(VALU_DEP_2) | instskip(NEXT) | instid1(VALU_DEP_1)
	v_lshrrev_b32_e32 v28, 16, v27
	v_min3_f16 v27, v24, v27, v28
	s_delay_alu instid0(VALU_DEP_3) | instskip(NEXT) | instid1(VALU_DEP_4)
	v_add_co_u32 v24, vcc_lo, v20, v25
	v_add_co_ci_u32_e32 v25, vcc_lo, v21, v26, vcc_lo
	global_store_b16 v[24:25], v27, off
	s_or_b32 exec_lo, exec_lo, s14
	s_and_b32 s14, s7, s8
	s_delay_alu instid0(SALU_CYCLE_1)
	s_and_saveexec_b32 s8, s14
	s_cbranch_execz .LBB261_330
.LBB261_326:
	v_cmp_ne_u32_e32 vcc_lo, 1, v77
	s_cbranch_vccnz .LBB261_328
; %bb.327:
	v_lshlrev_b64 v[24:25], 1, v[46:47]
	s_delay_alu instid0(VALU_DEP_1) | instskip(NEXT) | instid1(VALU_DEP_2)
	v_add_co_u32 v22, vcc_lo, v22, v24
	v_add_co_ci_u32_e32 v23, vcc_lo, v23, v25, vcc_lo
	flat_load_u16 v22, v[22:23]
	s_waitcnt vmcnt(0) lgkmcnt(0)
	v_mul_f16_e32 v22, v48, v22
	s_branch .LBB261_329
.LBB261_328:
	v_mov_b32_e32 v22, 0
.LBB261_329:
	v_pk_add_f16 v4, v2, v4
	v_pk_max_f16 v23, v57, v57
	v_pk_add_f16 v5, v3, v5
	s_delay_alu instid0(VALU_DEP_2) | instskip(NEXT) | instid1(VALU_DEP_1)
	v_pk_min_f16 v4, v23, v4
	v_pk_min_f16 v23, v4, v5
	v_lshlrev_b64 v[4:5], 1, v[46:47]
	s_delay_alu instid0(VALU_DEP_2) | instskip(NEXT) | instid1(VALU_DEP_2)
	v_lshrrev_b32_e32 v24, 16, v23
	v_add_co_u32 v4, vcc_lo, v20, v4
	s_delay_alu instid0(VALU_DEP_3) | instskip(NEXT) | instid1(VALU_DEP_3)
	v_add_co_ci_u32_e32 v5, vcc_lo, v21, v5, vcc_lo
	v_min3_f16 v22, v22, v23, v24
	global_store_b16 v[4:5], v22, off
.LBB261_330:
	s_or_b32 exec_lo, exec_lo, s8
	v_add_nc_u32_e32 v22, 56, v86
	s_delay_alu instid0(VALU_DEP_1) | instskip(SKIP_2) | instid1(VALU_DEP_3)
	v_mad_i64_i32 v[4:5], null, v22, s15, 0
	v_mad_i64_i32 v[20:21], null, v22, s9, 0
	v_cmp_gt_i32_e64 s8, s17, v22
	v_lshlrev_b64 v[4:5], 1, v[4:5]
	s_delay_alu instid0(VALU_DEP_2) | instskip(NEXT) | instid1(VALU_DEP_3)
	s_and_b32 s9, s0, s8
	v_lshlrev_b64 v[20:21], 1, v[20:21]
	s_delay_alu instid0(VALU_DEP_2) | instskip(NEXT) | instid1(VALU_DEP_3)
	v_add_co_u32 v22, vcc_lo, s12, v4
	v_add_co_ci_u32_e32 v23, vcc_lo, s13, v5, vcc_lo
	s_delay_alu instid0(VALU_DEP_3) | instskip(NEXT) | instid1(VALU_DEP_4)
	v_add_co_u32 v20, vcc_lo, s10, v20
	v_add_co_ci_u32_e32 v21, vcc_lo, s11, v21, vcc_lo
	s_and_saveexec_b32 s0, s9
	s_cbranch_execnz .LBB261_339
; %bb.331:
	s_or_b32 exec_lo, exec_lo, s0
	s_and_b32 s1, s1, s8
	s_delay_alu instid0(SALU_CYCLE_1)
	s_and_saveexec_b32 s0, s1
	s_cbranch_execnz .LBB261_343
.LBB261_332:
	s_or_b32 exec_lo, exec_lo, s0
	s_and_b32 s1, s2, s8
	s_delay_alu instid0(SALU_CYCLE_1)
	s_and_saveexec_b32 s0, s1
	s_cbranch_execnz .LBB261_347
.LBB261_333:
	s_or_b32 exec_lo, exec_lo, s0
	s_and_b32 s1, s3, s8
	s_delay_alu instid0(SALU_CYCLE_1)
	s_and_saveexec_b32 s0, s1
	s_cbranch_execnz .LBB261_351
.LBB261_334:
	s_or_b32 exec_lo, exec_lo, s0
	s_and_b32 s1, s4, s8
	s_delay_alu instid0(SALU_CYCLE_1)
	s_and_saveexec_b32 s0, s1
	s_cbranch_execnz .LBB261_355
.LBB261_335:
	s_or_b32 exec_lo, exec_lo, s0
	s_and_b32 s1, s5, s8
	s_delay_alu instid0(SALU_CYCLE_1)
	s_and_saveexec_b32 s0, s1
	s_cbranch_execnz .LBB261_359
.LBB261_336:
	s_or_b32 exec_lo, exec_lo, s0
	s_and_b32 s1, s6, s8
	s_delay_alu instid0(SALU_CYCLE_1)
	s_and_saveexec_b32 s0, s1
	s_cbranch_execnz .LBB261_363
.LBB261_337:
	s_or_b32 exec_lo, exec_lo, s0
	s_and_b32 s0, s7, s8
	s_delay_alu instid0(SALU_CYCLE_1)
	s_and_saveexec_b32 s1, s0
	s_cbranch_execnz .LBB261_367
.LBB261_338:
	s_nop 0
	s_sendmsg sendmsg(MSG_DEALLOC_VGPRS)
	s_endpgm
.LBB261_339:
	v_cmp_ne_u32_e32 vcc_lo, 1, v77
	v_lshlrev_b64 v[4:5], 1, v[32:33]
	s_cbranch_vccnz .LBB261_341
; %bb.340:
	s_delay_alu instid0(VALU_DEP_1) | instskip(NEXT) | instid1(VALU_DEP_2)
	v_add_co_u32 v24, vcc_lo, v22, v4
	v_add_co_ci_u32_e32 v25, vcc_lo, v23, v5, vcc_lo
	flat_load_u16 v24, v[24:25]
	s_waitcnt vmcnt(0) lgkmcnt(0)
	v_mul_f16_e32 v24, v48, v24
	s_branch .LBB261_342
.LBB261_341:
	v_mov_b32_e32 v24, 0
.LBB261_342:
	v_pk_add_f16 v16, v16, v6
	v_pk_max_f16 v25, v55, v55
	v_pk_add_f16 v17, v17, v7
	v_add_co_u32 v4, vcc_lo, v20, v4
	v_add_co_ci_u32_e32 v5, vcc_lo, v21, v5, vcc_lo
	s_delay_alu instid0(VALU_DEP_4) | instskip(NEXT) | instid1(VALU_DEP_1)
	v_pk_min_f16 v16, v25, v16
	v_pk_min_f16 v16, v16, v17
	s_delay_alu instid0(VALU_DEP_1) | instskip(NEXT) | instid1(VALU_DEP_1)
	v_lshrrev_b32_e32 v17, 16, v16
	v_min3_f16 v16, v24, v16, v17
	global_store_b16 v[4:5], v16, off
	s_or_b32 exec_lo, exec_lo, s0
	s_and_b32 s1, s1, s8
	s_delay_alu instid0(SALU_CYCLE_1)
	s_and_saveexec_b32 s0, s1
	s_cbranch_execz .LBB261_332
.LBB261_343:
	v_cmp_ne_u32_e32 vcc_lo, 1, v77
	v_lshlrev_b64 v[4:5], 1, v[34:35]
	s_cbranch_vccnz .LBB261_345
; %bb.344:
	s_delay_alu instid0(VALU_DEP_1) | instskip(NEXT) | instid1(VALU_DEP_2)
	v_add_co_u32 v16, vcc_lo, v22, v4
	v_add_co_ci_u32_e32 v17, vcc_lo, v23, v5, vcc_lo
	flat_load_u16 v16, v[16:17]
	s_waitcnt vmcnt(0) lgkmcnt(0)
	v_mul_f16_e32 v16, v48, v16
	s_branch .LBB261_346
.LBB261_345:
	v_mov_b32_e32 v16, 0
.LBB261_346:
	v_pk_add_f16 v17, v18, v6
	v_pk_max_f16 v18, v53, v53
	v_pk_add_f16 v19, v19, v7
	v_add_co_u32 v4, vcc_lo, v20, v4
	v_add_co_ci_u32_e32 v5, vcc_lo, v21, v5, vcc_lo
	s_delay_alu instid0(VALU_DEP_4) | instskip(NEXT) | instid1(VALU_DEP_1)
	v_pk_min_f16 v17, v18, v17
	v_pk_min_f16 v17, v17, v19
	s_delay_alu instid0(VALU_DEP_1) | instskip(NEXT) | instid1(VALU_DEP_1)
	v_lshrrev_b32_e32 v18, 16, v17
	v_min3_f16 v16, v16, v17, v18
	global_store_b16 v[4:5], v16, off
	s_or_b32 exec_lo, exec_lo, s0
	s_and_b32 s1, s2, s8
	s_delay_alu instid0(SALU_CYCLE_1)
	s_and_saveexec_b32 s0, s1
	s_cbranch_execz .LBB261_333
.LBB261_347:
	v_cmp_ne_u32_e32 vcc_lo, 1, v77
	v_lshlrev_b64 v[4:5], 1, v[36:37]
	s_cbranch_vccnz .LBB261_349
; %bb.348:
	s_delay_alu instid0(VALU_DEP_1) | instskip(NEXT) | instid1(VALU_DEP_2)
	v_add_co_u32 v16, vcc_lo, v22, v4
	v_add_co_ci_u32_e32 v17, vcc_lo, v23, v5, vcc_lo
	flat_load_u16 v16, v[16:17]
	s_waitcnt vmcnt(0) lgkmcnt(0)
	v_mul_f16_e32 v16, v48, v16
	s_branch .LBB261_350
.LBB261_349:
	v_mov_b32_e32 v16, 0
.LBB261_350:
	v_pk_add_f16 v12, v12, v6
	v_pk_max_f16 v17, v51, v51
	v_pk_add_f16 v13, v13, v7
	v_add_co_u32 v4, vcc_lo, v20, v4
	v_add_co_ci_u32_e32 v5, vcc_lo, v21, v5, vcc_lo
	s_delay_alu instid0(VALU_DEP_4) | instskip(NEXT) | instid1(VALU_DEP_1)
	v_pk_min_f16 v12, v17, v12
	v_pk_min_f16 v12, v12, v13
	s_delay_alu instid0(VALU_DEP_1) | instskip(NEXT) | instid1(VALU_DEP_1)
	v_lshrrev_b32_e32 v13, 16, v12
	v_min3_f16 v12, v16, v12, v13
	global_store_b16 v[4:5], v12, off
	s_or_b32 exec_lo, exec_lo, s0
	s_and_b32 s1, s3, s8
	s_delay_alu instid0(SALU_CYCLE_1)
	s_and_saveexec_b32 s0, s1
	s_cbranch_execz .LBB261_334
.LBB261_351:
	v_cmp_ne_u32_e32 vcc_lo, 1, v77
	v_lshlrev_b64 v[4:5], 1, v[38:39]
	s_cbranch_vccnz .LBB261_353
; %bb.352:
	s_delay_alu instid0(VALU_DEP_1) | instskip(NEXT) | instid1(VALU_DEP_2)
	v_add_co_u32 v12, vcc_lo, v22, v4
	v_add_co_ci_u32_e32 v13, vcc_lo, v23, v5, vcc_lo
	flat_load_u16 v12, v[12:13]
	s_waitcnt vmcnt(0) lgkmcnt(0)
	v_mul_f16_e32 v12, v48, v12
	s_branch .LBB261_354
.LBB261_353:
	v_mov_b32_e32 v12, 0
.LBB261_354:
	v_pk_add_f16 v13, v14, v6
	v_pk_max_f16 v14, v56, v56
	v_pk_add_f16 v15, v15, v7
	v_add_co_u32 v4, vcc_lo, v20, v4
	v_add_co_ci_u32_e32 v5, vcc_lo, v21, v5, vcc_lo
	s_delay_alu instid0(VALU_DEP_4) | instskip(NEXT) | instid1(VALU_DEP_1)
	v_pk_min_f16 v13, v14, v13
	v_pk_min_f16 v13, v13, v15
	s_delay_alu instid0(VALU_DEP_1) | instskip(NEXT) | instid1(VALU_DEP_1)
	v_lshrrev_b32_e32 v14, 16, v13
	v_min3_f16 v12, v12, v13, v14
	global_store_b16 v[4:5], v12, off
	s_or_b32 exec_lo, exec_lo, s0
	s_and_b32 s1, s4, s8
	s_delay_alu instid0(SALU_CYCLE_1)
	s_and_saveexec_b32 s0, s1
	s_cbranch_execz .LBB261_335
.LBB261_355:
	v_cmp_ne_u32_e32 vcc_lo, 1, v77
	v_lshlrev_b64 v[4:5], 1, v[40:41]
	s_cbranch_vccnz .LBB261_357
; %bb.356:
	s_delay_alu instid0(VALU_DEP_1) | instskip(NEXT) | instid1(VALU_DEP_2)
	v_add_co_u32 v12, vcc_lo, v22, v4
	v_add_co_ci_u32_e32 v13, vcc_lo, v23, v5, vcc_lo
	flat_load_u16 v12, v[12:13]
	s_waitcnt vmcnt(0) lgkmcnt(0)
	v_mul_f16_e32 v12, v48, v12
	s_branch .LBB261_358
.LBB261_357:
	v_mov_b32_e32 v12, 0
.LBB261_358:
	v_pk_add_f16 v8, v8, v6
	v_pk_max_f16 v13, v54, v54
	v_pk_add_f16 v9, v9, v7
	v_add_co_u32 v4, vcc_lo, v20, v4
	v_add_co_ci_u32_e32 v5, vcc_lo, v21, v5, vcc_lo
	s_delay_alu instid0(VALU_DEP_4) | instskip(NEXT) | instid1(VALU_DEP_1)
	v_pk_min_f16 v8, v13, v8
	v_pk_min_f16 v8, v8, v9
	s_delay_alu instid0(VALU_DEP_1) | instskip(NEXT) | instid1(VALU_DEP_1)
	v_lshrrev_b32_e32 v9, 16, v8
	v_min3_f16 v8, v12, v8, v9
	global_store_b16 v[4:5], v8, off
	s_or_b32 exec_lo, exec_lo, s0
	s_and_b32 s1, s5, s8
	s_delay_alu instid0(SALU_CYCLE_1)
	s_and_saveexec_b32 s0, s1
	s_cbranch_execz .LBB261_336
.LBB261_359:
	v_cmp_ne_u32_e32 vcc_lo, 1, v77
	v_lshlrev_b64 v[4:5], 1, v[42:43]
	s_cbranch_vccnz .LBB261_361
; %bb.360:
	s_delay_alu instid0(VALU_DEP_1) | instskip(NEXT) | instid1(VALU_DEP_2)
	v_add_co_u32 v8, vcc_lo, v22, v4
	v_add_co_ci_u32_e32 v9, vcc_lo, v23, v5, vcc_lo
	flat_load_u16 v8, v[8:9]
	s_waitcnt vmcnt(0) lgkmcnt(0)
	v_mul_f16_e32 v8, v48, v8
	s_branch .LBB261_362
.LBB261_361:
	v_mov_b32_e32 v8, 0
.LBB261_362:
	v_pk_add_f16 v9, v10, v6
	v_pk_max_f16 v10, v52, v52
	v_pk_add_f16 v11, v11, v7
	v_add_co_u32 v4, vcc_lo, v20, v4
	v_add_co_ci_u32_e32 v5, vcc_lo, v21, v5, vcc_lo
	s_delay_alu instid0(VALU_DEP_4) | instskip(NEXT) | instid1(VALU_DEP_1)
	v_pk_min_f16 v9, v10, v9
	v_pk_min_f16 v9, v9, v11
	s_delay_alu instid0(VALU_DEP_1) | instskip(NEXT) | instid1(VALU_DEP_1)
	v_lshrrev_b32_e32 v10, 16, v9
	v_min3_f16 v8, v8, v9, v10
	global_store_b16 v[4:5], v8, off
	s_or_b32 exec_lo, exec_lo, s0
	s_and_b32 s1, s6, s8
	s_delay_alu instid0(SALU_CYCLE_1)
	s_and_saveexec_b32 s0, s1
	s_cbranch_execz .LBB261_337
.LBB261_363:
	v_cmp_ne_u32_e32 vcc_lo, 1, v77
	v_lshlrev_b64 v[4:5], 1, v[44:45]
	s_cbranch_vccnz .LBB261_365
; %bb.364:
	s_delay_alu instid0(VALU_DEP_1) | instskip(NEXT) | instid1(VALU_DEP_2)
	v_add_co_u32 v8, vcc_lo, v22, v4
	v_add_co_ci_u32_e32 v9, vcc_lo, v23, v5, vcc_lo
	flat_load_u16 v8, v[8:9]
	s_waitcnt vmcnt(0) lgkmcnt(0)
	v_mul_f16_e32 v8, v48, v8
	s_branch .LBB261_366
.LBB261_365:
	v_mov_b32_e32 v8, 0
.LBB261_366:
	v_pk_add_f16 v0, v0, v6
	v_pk_max_f16 v9, v50, v50
	v_pk_add_f16 v1, v1, v7
	s_delay_alu instid0(VALU_DEP_2) | instskip(NEXT) | instid1(VALU_DEP_1)
	v_pk_min_f16 v0, v9, v0
	v_pk_min_f16 v0, v0, v1
	s_delay_alu instid0(VALU_DEP_1) | instskip(NEXT) | instid1(VALU_DEP_1)
	v_lshrrev_b32_e32 v1, 16, v0
	v_min3_f16 v8, v8, v0, v1
	v_add_co_u32 v0, vcc_lo, v20, v4
	v_add_co_ci_u32_e32 v1, vcc_lo, v21, v5, vcc_lo
	global_store_b16 v[0:1], v8, off
	s_or_b32 exec_lo, exec_lo, s0
	s_and_b32 s0, s7, s8
	s_delay_alu instid0(SALU_CYCLE_1)
	s_and_saveexec_b32 s1, s0
	s_cbranch_execz .LBB261_338
.LBB261_367:
	v_cmp_ne_u32_e32 vcc_lo, 1, v77
	v_lshlrev_b64 v[0:1], 1, v[46:47]
	s_cbranch_vccnz .LBB261_369
; %bb.368:
	s_delay_alu instid0(VALU_DEP_1) | instskip(NEXT) | instid1(VALU_DEP_2)
	v_add_co_u32 v4, vcc_lo, v22, v0
	v_add_co_ci_u32_e32 v5, vcc_lo, v23, v1, vcc_lo
	flat_load_u16 v4, v[4:5]
	s_waitcnt vmcnt(0) lgkmcnt(0)
	v_mul_f16_e32 v4, v48, v4
	s_branch .LBB261_370
.LBB261_369:
	v_mov_b32_e32 v4, 0
.LBB261_370:
	v_pk_add_f16 v2, v2, v6
	v_pk_max_f16 v5, v49, v49
	v_pk_add_f16 v3, v3, v7
	v_add_co_u32 v0, vcc_lo, v20, v0
	v_add_co_ci_u32_e32 v1, vcc_lo, v21, v1, vcc_lo
	s_delay_alu instid0(VALU_DEP_4) | instskip(NEXT) | instid1(VALU_DEP_1)
	v_pk_min_f16 v2, v5, v2
	v_pk_min_f16 v2, v2, v3
	s_delay_alu instid0(VALU_DEP_1) | instskip(NEXT) | instid1(VALU_DEP_1)
	v_lshrrev_b32_e32 v3, 16, v2
	v_min3_f16 v2, v4, v2, v3
	global_store_b16 v[0:1], v2, off
	s_nop 0
	s_sendmsg sendmsg(MSG_DEALLOC_VGPRS)
	s_endpgm
	.section	.rodata,"a",@progbits
	.p2align	6, 0x0
	.amdhsa_kernel _ZN12_GLOBAL__N_120geam_min_plus_kernelIDF16_Dv2_DF16_S1_Li32ELi8ELi256ELi64ELi4ELi64ELi4ELi4ELi64ELc78ELc78ELb0ELb1ELb1EPKDF16_S2_DF16_EEviiiT16_PT17_ilS6_ilS4_S6_ilPT18_ili26rocblas_geam_ex_operation_
		.amdhsa_group_segment_fixed_size 5120
		.amdhsa_private_segment_fixed_size 0
		.amdhsa_kernarg_size 136
		.amdhsa_user_sgpr_count 14
		.amdhsa_user_sgpr_dispatch_ptr 0
		.amdhsa_user_sgpr_queue_ptr 0
		.amdhsa_user_sgpr_kernarg_segment_ptr 1
		.amdhsa_user_sgpr_dispatch_id 0
		.amdhsa_user_sgpr_private_segment_size 0
		.amdhsa_wavefront_size32 1
		.amdhsa_uses_dynamic_stack 0
		.amdhsa_enable_private_segment 0
		.amdhsa_system_sgpr_workgroup_id_x 1
		.amdhsa_system_sgpr_workgroup_id_y 0
		.amdhsa_system_sgpr_workgroup_id_z 1
		.amdhsa_system_sgpr_workgroup_info 0
		.amdhsa_system_vgpr_workitem_id 1
		.amdhsa_next_free_vgpr 156
		.amdhsa_next_free_sgpr 28
		.amdhsa_reserve_vcc 1
		.amdhsa_float_round_mode_32 0
		.amdhsa_float_round_mode_16_64 0
		.amdhsa_float_denorm_mode_32 3
		.amdhsa_float_denorm_mode_16_64 3
		.amdhsa_dx10_clamp 1
		.amdhsa_ieee_mode 1
		.amdhsa_fp16_overflow 0
		.amdhsa_workgroup_processor_mode 1
		.amdhsa_memory_ordered 1
		.amdhsa_forward_progress 0
		.amdhsa_shared_vgpr_count 0
		.amdhsa_exception_fp_ieee_invalid_op 0
		.amdhsa_exception_fp_denorm_src 0
		.amdhsa_exception_fp_ieee_div_zero 0
		.amdhsa_exception_fp_ieee_overflow 0
		.amdhsa_exception_fp_ieee_underflow 0
		.amdhsa_exception_fp_ieee_inexact 0
		.amdhsa_exception_int_div_zero 0
	.end_amdhsa_kernel
	.section	.text._ZN12_GLOBAL__N_120geam_min_plus_kernelIDF16_Dv2_DF16_S1_Li32ELi8ELi256ELi64ELi4ELi64ELi4ELi4ELi64ELc78ELc78ELb0ELb1ELb1EPKDF16_S2_DF16_EEviiiT16_PT17_ilS6_ilS4_S6_ilPT18_ili26rocblas_geam_ex_operation_,"axG",@progbits,_ZN12_GLOBAL__N_120geam_min_plus_kernelIDF16_Dv2_DF16_S1_Li32ELi8ELi256ELi64ELi4ELi64ELi4ELi4ELi64ELc78ELc78ELb0ELb1ELb1EPKDF16_S2_DF16_EEviiiT16_PT17_ilS6_ilS4_S6_ilPT18_ili26rocblas_geam_ex_operation_,comdat
.Lfunc_end261:
	.size	_ZN12_GLOBAL__N_120geam_min_plus_kernelIDF16_Dv2_DF16_S1_Li32ELi8ELi256ELi64ELi4ELi64ELi4ELi4ELi64ELc78ELc78ELb0ELb1ELb1EPKDF16_S2_DF16_EEviiiT16_PT17_ilS6_ilS4_S6_ilPT18_ili26rocblas_geam_ex_operation_, .Lfunc_end261-_ZN12_GLOBAL__N_120geam_min_plus_kernelIDF16_Dv2_DF16_S1_Li32ELi8ELi256ELi64ELi4ELi64ELi4ELi4ELi64ELc78ELc78ELb0ELb1ELb1EPKDF16_S2_DF16_EEviiiT16_PT17_ilS6_ilS4_S6_ilPT18_ili26rocblas_geam_ex_operation_
                                        ; -- End function
	.section	.AMDGPU.csdata,"",@progbits
; Kernel info:
; codeLenInByte = 23436
; NumSgprs: 30
; NumVgprs: 156
; ScratchSize: 0
; MemoryBound: 0
; FloatMode: 240
; IeeeMode: 1
; LDSByteSize: 5120 bytes/workgroup (compile time only)
; SGPRBlocks: 3
; VGPRBlocks: 19
; NumSGPRsForWavesPerEU: 30
; NumVGPRsForWavesPerEU: 156
; Occupancy: 9
; WaveLimiterHint : 0
; COMPUTE_PGM_RSRC2:SCRATCH_EN: 0
; COMPUTE_PGM_RSRC2:USER_SGPR: 14
; COMPUTE_PGM_RSRC2:TRAP_HANDLER: 0
; COMPUTE_PGM_RSRC2:TGID_X_EN: 1
; COMPUTE_PGM_RSRC2:TGID_Y_EN: 0
; COMPUTE_PGM_RSRC2:TGID_Z_EN: 1
; COMPUTE_PGM_RSRC2:TIDIG_COMP_CNT: 1
	.section	.text._ZN12_GLOBAL__N_120geam_min_plus_kernelIDF16_Dv2_DF16_S1_Li32ELi8ELi256ELi64ELi4ELi64ELi4ELi4ELi64ELc78ELc78ELb1ELb1ELb1EDF16_KDF16_DF16_EEviiiT16_PT17_ilS5_ilS3_S5_ilPT18_ili26rocblas_geam_ex_operation_,"axG",@progbits,_ZN12_GLOBAL__N_120geam_min_plus_kernelIDF16_Dv2_DF16_S1_Li32ELi8ELi256ELi64ELi4ELi64ELi4ELi4ELi64ELc78ELc78ELb1ELb1ELb1EDF16_KDF16_DF16_EEviiiT16_PT17_ilS5_ilS3_S5_ilPT18_ili26rocblas_geam_ex_operation_,comdat
	.globl	_ZN12_GLOBAL__N_120geam_min_plus_kernelIDF16_Dv2_DF16_S1_Li32ELi8ELi256ELi64ELi4ELi64ELi4ELi4ELi64ELc78ELc78ELb1ELb1ELb1EDF16_KDF16_DF16_EEviiiT16_PT17_ilS5_ilS3_S5_ilPT18_ili26rocblas_geam_ex_operation_ ; -- Begin function _ZN12_GLOBAL__N_120geam_min_plus_kernelIDF16_Dv2_DF16_S1_Li32ELi8ELi256ELi64ELi4ELi64ELi4ELi4ELi64ELc78ELc78ELb1ELb1ELb1EDF16_KDF16_DF16_EEviiiT16_PT17_ilS5_ilS3_S5_ilPT18_ili26rocblas_geam_ex_operation_
	.p2align	8
	.type	_ZN12_GLOBAL__N_120geam_min_plus_kernelIDF16_Dv2_DF16_S1_Li32ELi8ELi256ELi64ELi4ELi64ELi4ELi4ELi64ELc78ELc78ELb1ELb1ELb1EDF16_KDF16_DF16_EEviiiT16_PT17_ilS5_ilS3_S5_ilPT18_ili26rocblas_geam_ex_operation_,@function
_ZN12_GLOBAL__N_120geam_min_plus_kernelIDF16_Dv2_DF16_S1_Li32ELi8ELi256ELi64ELi4ELi64ELi4ELi4ELi64ELc78ELc78ELb1ELb1ELb1EDF16_KDF16_DF16_EEviiiT16_PT17_ilS5_ilS3_S5_ilPT18_ili26rocblas_geam_ex_operation_: ; @_ZN12_GLOBAL__N_120geam_min_plus_kernelIDF16_Dv2_DF16_S1_Li32ELi8ELi256ELi64ELi4ELi64ELi4ELi4ELi64ELc78ELc78ELb1ELb1ELb1EDF16_KDF16_DF16_EEviiiT16_PT17_ilS5_ilS3_S5_ilPT18_ili26rocblas_geam_ex_operation_
; %bb.0:
	s_clause 0x1
	s_load_b128 s[16:19], s[0:1], 0x0
	s_load_b128 s[4:7], s[0:1], 0x20
	s_waitcnt lgkmcnt(0)
	v_cmp_eq_f16_e64 s2, s19, 0
	s_delay_alu instid0(VALU_DEP_1)
	s_and_b32 vcc_lo, exec_lo, s2
	s_cbranch_vccnz .LBB262_3
; %bb.1:
	s_load_b64 s[8:9], s[0:1], 0x10
	s_mul_i32 s3, s15, s5
	s_mul_hi_u32 s5, s15, s4
	s_mul_i32 s4, s15, s4
	s_add_i32 s5, s5, s3
	s_delay_alu instid0(SALU_CYCLE_1)
	s_lshl_b64 s[4:5], s[4:5], 1
	s_waitcnt lgkmcnt(0)
	s_add_u32 s20, s8, s4
	s_addc_u32 s21, s9, s5
	s_and_not1_b32 vcc_lo, exec_lo, s2
	s_cbranch_vccnz .LBB262_4
.LBB262_2:
	s_mov_b32 s24, 0
	s_mov_b64 s[22:23], 0
	s_cbranch_execz .LBB262_5
	s_branch .LBB262_6
.LBB262_3:
	s_mov_b64 s[20:21], 0
	s_and_not1_b32 vcc_lo, exec_lo, s2
	s_cbranch_vccz .LBB262_2
.LBB262_4:
	s_mov_b32 s24, -1
                                        ; implicit-def: $sgpr22_sgpr23
.LBB262_5:
	s_load_b64 s[2:3], s[0:1], 0x38
	s_mov_b32 s24, 0
	s_waitcnt lgkmcnt(0)
	s_mul_i32 s3, s15, s3
	s_mul_hi_u32 s4, s15, s2
	s_mul_i32 s2, s15, s2
	s_add_i32 s3, s4, s3
	s_delay_alu instid0(SALU_CYCLE_1) | instskip(NEXT) | instid1(SALU_CYCLE_1)
	s_lshl_b64 s[2:3], s[2:3], 1
	s_add_u32 s22, s6, s2
	s_addc_u32 s23, s7, s3
.LBB262_6:
	s_clause 0x1
	s_load_b32 s19, s[0:1], 0x40
	s_load_b128 s[8:11], s[0:1], 0x58
	s_waitcnt lgkmcnt(0)
	v_cmp_eq_f16_e64 s2, s19, 0
	v_cmp_neq_f16_e64 s7, s19, 0
	s_delay_alu instid0(VALU_DEP_2)
	s_and_b32 vcc_lo, exec_lo, s2
	s_cbranch_vccnz .LBB262_8
; %bb.7:
	s_load_b64 s[2:3], s[0:1], 0x48
	s_mul_i32 s4, s15, s9
	s_mul_hi_u32 s5, s15, s8
	s_delay_alu instid0(SALU_CYCLE_1) | instskip(SKIP_1) | instid1(SALU_CYCLE_1)
	s_add_i32 s4, s5, s4
	s_mul_i32 s5, s24, s8
	s_add_i32 s5, s4, s5
	s_mul_i32 s4, s15, s8
	s_delay_alu instid0(SALU_CYCLE_1)
	s_lshl_b64 s[4:5], s[4:5], 1
	s_waitcnt lgkmcnt(0)
	s_add_u32 s12, s2, s4
	s_addc_u32 s13, s3, s5
	s_branch .LBB262_9
.LBB262_8:
	s_mov_b64 s[12:13], 0
.LBB262_9:
	s_add_i32 s2, s16, -1
	s_load_b32 s8, s[0:1], 0x18
	s_ashr_i32 s3, s2, 31
	v_and_b32_e32 v38, 0x3ff, v0
	s_lshr_b32 s3, s3, 24
	v_bfe_u32 v39, v0, 10, 10
	s_add_i32 s2, s2, s3
	s_delay_alu instid0(SALU_CYCLE_1) | instskip(NEXT) | instid1(VALU_DEP_1)
	s_ashr_i32 s2, s2, 8
	v_lshl_add_u32 v5, v39, 5, v38
	s_add_i32 s3, s2, 1
	s_not_b32 s2, s2
	v_cvt_f32_u32_e32 v1, s3
	s_delay_alu instid0(VALU_DEP_2) | instskip(SKIP_1) | instid1(VALU_DEP_3)
	v_lshrrev_b32_e32 v40, 6, v5
	v_and_b32_e32 v0, 63, v5
	v_rcp_iflag_f32_e32 v1, v1
	s_waitcnt_depctr 0xfff
	v_mul_f32_e32 v1, 0x4f7ffffe, v1
	s_delay_alu instid0(VALU_DEP_1) | instskip(NEXT) | instid1(VALU_DEP_1)
	v_cvt_u32_f32_e32 v1, v1
	v_readfirstlane_b32 s4, v1
	s_waitcnt lgkmcnt(0)
	v_mad_i64_i32 v[1:2], null, s8, v40, 0
	s_delay_alu instid0(VALU_DEP_2) | instskip(NEXT) | instid1(SALU_CYCLE_1)
	s_mul_i32 s2, s2, s4
	s_mul_hi_u32 s2, s4, s2
	s_delay_alu instid0(SALU_CYCLE_1) | instskip(NEXT) | instid1(VALU_DEP_1)
	s_add_i32 s4, s4, s2
	v_lshlrev_b64 v[1:2], 1, v[1:2]
	s_mul_hi_u32 s2, s14, s4
	s_delay_alu instid0(SALU_CYCLE_1) | instskip(SKIP_2) | instid1(SALU_CYCLE_1)
	s_mul_i32 s4, s2, s3
	s_add_i32 s5, s2, 1
	s_sub_i32 s4, s14, s4
	s_sub_i32 s6, s4, s3
	s_cmp_ge_u32 s4, s3
	s_cselect_b32 s2, s5, s2
	s_cselect_b32 s4, s6, s4
	s_add_i32 s5, s2, 1
	s_cmp_ge_u32 s4, s3
	s_cselect_b32 s6, s5, s2
	v_cmp_le_i32_e64 s5, s18, v40
	s_mul_i32 s2, s6, s3
	s_delay_alu instid0(SALU_CYCLE_1) | instskip(NEXT) | instid1(SALU_CYCLE_1)
	s_sub_i32 s2, s14, s2
	s_lshl_b32 s25, s2, 8
	v_add_co_u32 v6, s2, s20, v1
	v_mov_b32_e32 v1, 0x7c00
	v_or_b32_e32 v20, s25, v0
	v_add_co_ci_u32_e64 v7, s2, s21, v2, s2
	v_mov_b32_e32 v2, 0x7c00
	s_delay_alu instid0(VALU_DEP_3) | instskip(SKIP_2) | instid1(SALU_CYCLE_1)
	v_cmp_le_i32_e32 vcc_lo, s16, v20
	v_ashrrev_i32_e32 v21, 31, v20
	s_or_b32 s2, vcc_lo, s5
	s_xor_b32 s2, s2, -1
	s_delay_alu instid0(SALU_CYCLE_1)
	s_and_saveexec_b32 s3, s2
	s_cbranch_execz .LBB262_11
; %bb.10:
	v_lshlrev_b64 v[2:3], 1, v[20:21]
	s_delay_alu instid0(VALU_DEP_1) | instskip(NEXT) | instid1(VALU_DEP_1)
	v_add_co_u32 v2, s2, v6, v2
	v_add_co_ci_u32_e64 v3, s2, v7, v3, s2
	flat_load_u16 v2, v[2:3]
.LBB262_11:
	s_or_b32 exec_lo, exec_lo, s3
	v_or_b32_e32 v3, 64, v20
	s_delay_alu instid0(VALU_DEP_1) | instskip(NEXT) | instid1(VALU_DEP_1)
	v_cmp_le_i32_e64 s2, s16, v3
	s_or_b32 s3, s2, s5
	s_delay_alu instid0(SALU_CYCLE_1) | instskip(NEXT) | instid1(SALU_CYCLE_1)
	s_xor_b32 s3, s3, -1
	s_and_saveexec_b32 s4, s3
	s_cbranch_execz .LBB262_13
; %bb.12:
	v_lshlrev_b64 v[3:4], 1, v[20:21]
	s_delay_alu instid0(VALU_DEP_1) | instskip(NEXT) | instid1(VALU_DEP_1)
	v_add_co_u32 v3, s3, v6, v3
	v_add_co_ci_u32_e64 v4, s3, v7, v4, s3
	flat_load_u16 v1, v[3:4] offset:128
.LBB262_13:
	s_or_b32 exec_lo, exec_lo, s4
	v_or_b32_e32 v3, 0x80, v20
	s_ashr_i32 s9, s8, 31
	v_mov_b32_e32 v4, 0x7c00
	s_delay_alu instid0(VALU_DEP_2) | instskip(SKIP_1) | instid1(VALU_DEP_2)
	v_cmp_le_i32_e64 s3, s16, v3
	v_mov_b32_e32 v3, 0x7c00
	s_or_b32 s4, s3, s5
	s_delay_alu instid0(SALU_CYCLE_1) | instskip(NEXT) | instid1(SALU_CYCLE_1)
	s_xor_b32 s4, s4, -1
	s_and_saveexec_b32 s14, s4
	s_cbranch_execz .LBB262_15
; %bb.14:
	v_lshlrev_b64 v[8:9], 1, v[20:21]
	s_delay_alu instid0(VALU_DEP_1) | instskip(NEXT) | instid1(VALU_DEP_1)
	v_add_co_u32 v8, s4, v6, v8
	v_add_co_ci_u32_e64 v9, s4, v7, v9, s4
	flat_load_u16 v4, v[8:9] offset:256
.LBB262_15:
	s_or_b32 exec_lo, exec_lo, s14
	v_or_b32_e32 v8, 0xc0, v20
	s_delay_alu instid0(VALU_DEP_1) | instskip(NEXT) | instid1(VALU_DEP_1)
	v_cmp_le_i32_e64 s4, s16, v8
	s_or_b32 s5, s4, s5
	s_delay_alu instid0(SALU_CYCLE_1) | instskip(NEXT) | instid1(SALU_CYCLE_1)
	s_xor_b32 s5, s5, -1
	s_and_saveexec_b32 s14, s5
	s_cbranch_execz .LBB262_17
; %bb.16:
	v_lshlrev_b64 v[8:9], 1, v[20:21]
	s_delay_alu instid0(VALU_DEP_1) | instskip(NEXT) | instid1(VALU_DEP_1)
	v_add_co_u32 v6, s5, v6, v8
	v_add_co_ci_u32_e64 v7, s5, v7, v9, s5
	flat_load_u16 v3, v[6:7] offset:384
.LBB262_17:
	s_or_b32 exec_lo, exec_lo, s14
	s_load_b32 s27, s[0:1], 0x30
	v_lshrrev_b32_e32 v5, 2, v5
	s_lshl_b32 s26, s6, 6
	v_dual_mov_b32 v6, 0x7c00 :: v_dual_and_b32 v43, 3, v38
	s_delay_alu instid0(VALU_DEP_2) | instskip(NEXT) | instid1(VALU_DEP_2)
	v_dual_mov_b32 v24, 0x7c00 :: v_dual_add_nc_u32 v23, s26, v5
	v_cmp_gt_i32_e64 s6, s18, v43
	v_lshlrev_b32_e32 v22, 1, v43
	s_delay_alu instid0(VALU_DEP_3) | instskip(NEXT) | instid1(VALU_DEP_1)
	v_cmp_le_i32_e64 s5, s17, v23
	s_xor_b32 s14, s5, -1
	s_delay_alu instid0(VALU_DEP_3) | instid1(SALU_CYCLE_1)
	s_and_b32 s5, s6, s14
	s_delay_alu instid0(SALU_CYCLE_1)
	s_and_saveexec_b32 s6, s5
	s_cbranch_execz .LBB262_19
; %bb.18:
	s_waitcnt lgkmcnt(0)
	v_mad_i64_i32 v[6:7], null, v23, s27, 0
	s_delay_alu instid0(VALU_DEP_1) | instskip(NEXT) | instid1(VALU_DEP_1)
	v_lshlrev_b64 v[6:7], 1, v[6:7]
	v_add_co_u32 v6, s5, s22, v6
	s_delay_alu instid0(VALU_DEP_1) | instskip(NEXT) | instid1(VALU_DEP_2)
	v_add_co_ci_u32_e64 v7, s5, s23, v7, s5
	v_add_co_u32 v6, s5, v6, v22
	s_delay_alu instid0(VALU_DEP_1)
	v_add_co_ci_u32_e64 v7, s5, 0, v7, s5
	flat_load_u16 v6, v[6:7]
.LBB262_19:
	s_or_b32 exec_lo, exec_lo, s6
	v_add_nc_u32_e32 v9, 4, v40
	s_delay_alu instid0(VALU_DEP_1) | instskip(SKIP_1) | instid1(VALU_DEP_2)
	v_mad_i64_i32 v[7:8], null, s8, v9, 0
	v_cmp_le_i32_e64 s5, s18, v9
	v_lshlrev_b64 v[7:8], 1, v[7:8]
	s_delay_alu instid0(VALU_DEP_1) | instskip(NEXT) | instid1(VALU_DEP_1)
	v_add_co_u32 v7, s6, s20, v7
	v_add_co_ci_u32_e64 v8, s6, s21, v8, s6
	s_delay_alu instid0(VALU_DEP_4) | instskip(NEXT) | instid1(SALU_CYCLE_1)
	s_or_b32 s6, vcc_lo, s5
	s_xor_b32 s6, s6, -1
	s_delay_alu instid0(SALU_CYCLE_1)
	s_and_saveexec_b32 s28, s6
	s_cbranch_execz .LBB262_21
; %bb.20:
	v_lshlrev_b64 v[9:10], 1, v[20:21]
	s_delay_alu instid0(VALU_DEP_1) | instskip(NEXT) | instid1(VALU_DEP_1)
	v_add_co_u32 v9, s6, v7, v9
	v_add_co_ci_u32_e64 v10, s6, v8, v10, s6
	flat_load_u16 v24, v[9:10]
.LBB262_21:
	s_or_b32 exec_lo, exec_lo, s28
	v_dual_mov_b32 v25, 0x7c00 :: v_dual_mov_b32 v26, 0x7c00
	s_or_b32 s6, s2, s5
	s_delay_alu instid0(SALU_CYCLE_1) | instskip(NEXT) | instid1(SALU_CYCLE_1)
	s_xor_b32 s6, s6, -1
	s_and_saveexec_b32 s28, s6
	s_cbranch_execz .LBB262_23
; %bb.22:
	v_lshlrev_b64 v[9:10], 1, v[20:21]
	s_delay_alu instid0(VALU_DEP_1) | instskip(NEXT) | instid1(VALU_DEP_1)
	v_add_co_u32 v9, s6, v7, v9
	v_add_co_ci_u32_e64 v10, s6, v8, v10, s6
	flat_load_u16 v26, v[9:10] offset:128
.LBB262_23:
	s_or_b32 exec_lo, exec_lo, s28
	s_or_b32 s6, s3, s5
	s_delay_alu instid0(SALU_CYCLE_1) | instskip(NEXT) | instid1(SALU_CYCLE_1)
	s_xor_b32 s6, s6, -1
	s_and_saveexec_b32 s28, s6
	s_cbranch_execz .LBB262_25
; %bb.24:
	v_lshlrev_b64 v[9:10], 1, v[20:21]
	s_delay_alu instid0(VALU_DEP_1) | instskip(NEXT) | instid1(VALU_DEP_1)
	v_add_co_u32 v9, s6, v7, v9
	v_add_co_ci_u32_e64 v10, s6, v8, v10, s6
	flat_load_u16 v25, v[9:10] offset:256
.LBB262_25:
	s_or_b32 exec_lo, exec_lo, s28
	v_dual_mov_b32 v28, 0x7c00 :: v_dual_mov_b32 v27, 0x7c00
	s_or_b32 s5, s4, s5
	s_delay_alu instid0(SALU_CYCLE_1) | instskip(NEXT) | instid1(SALU_CYCLE_1)
	s_xor_b32 s5, s5, -1
	s_and_saveexec_b32 s6, s5
	s_cbranch_execz .LBB262_27
; %bb.26:
	v_lshlrev_b64 v[9:10], 1, v[20:21]
	s_delay_alu instid0(VALU_DEP_1) | instskip(NEXT) | instid1(VALU_DEP_1)
	v_add_co_u32 v7, s5, v7, v9
	v_add_co_ci_u32_e64 v8, s5, v8, v10, s5
	flat_load_u16 v27, v[7:8] offset:384
.LBB262_27:
	s_or_b32 exec_lo, exec_lo, s6
	v_or_b32_e32 v7, 4, v43
	s_delay_alu instid0(VALU_DEP_1) | instskip(NEXT) | instid1(VALU_DEP_1)
	v_cmp_gt_i32_e64 s5, s18, v7
	s_and_b32 s5, s5, s14
	s_delay_alu instid0(SALU_CYCLE_1)
	s_and_saveexec_b32 s6, s5
	s_cbranch_execz .LBB262_29
; %bb.28:
	s_waitcnt lgkmcnt(0)
	v_mad_i64_i32 v[7:8], null, v23, s27, 0
	s_delay_alu instid0(VALU_DEP_1) | instskip(NEXT) | instid1(VALU_DEP_1)
	v_lshlrev_b64 v[7:8], 1, v[7:8]
	v_add_co_u32 v7, s5, s22, v7
	s_delay_alu instid0(VALU_DEP_1) | instskip(NEXT) | instid1(VALU_DEP_2)
	v_add_co_ci_u32_e64 v8, s5, s23, v8, s5
	v_add_co_u32 v7, s5, v7, v22
	s_delay_alu instid0(VALU_DEP_1)
	v_add_co_ci_u32_e64 v8, s5, 0, v8, s5
	flat_load_u16 v28, v[7:8] offset:8
.LBB262_29:
	s_or_b32 exec_lo, exec_lo, s6
	v_lshlrev_b32_e32 v7, 1, v40
	v_lshlrev_b32_e32 v41, 3, v39
	;; [unrolled: 1-line block ×3, first 2 shown]
	v_lshl_or_b32 v29, v5, 3, v22
	s_cmp_lt_i32 s18, 9
	v_lshl_add_u32 v44, v0, 3, v7
	v_add_nc_u32_e32 v8, 0x1000, v41
	s_waitcnt vmcnt(0) lgkmcnt(0)
	ds_store_b16 v44, v2
	ds_store_b16 v44, v1 offset:512
	ds_store_b16 v44, v4 offset:1024
	;; [unrolled: 1-line block ×4, first 2 shown]
	s_waitcnt lgkmcnt(0)
	s_barrier
	buffer_gl0_inv
	ds_load_2addr_b64 v[16:19], v42 offset1:32
	ds_load_2addr_b64 v[30:33], v8 offset1:8
	ds_load_2addr_b64 v[12:15], v42 offset0:64 offset1:96
	ds_load_2addr_b64 v[4:7], v42 offset0:128 offset1:160
	;; [unrolled: 1-line block ×6, first 2 shown]
	ds_store_b16 v44, v24 offset:2048
	ds_store_b16 v44, v26 offset:2560
	;; [unrolled: 1-line block ×5, first 2 shown]
	s_waitcnt lgkmcnt(0)
	s_barrier
	buffer_gl0_inv
	v_pk_add_f16 v45, v16, v30
	v_pk_add_f16 v46, v18, v30
	;; [unrolled: 1-line block ×11, first 2 shown]
	v_pk_min_f16 v83, 0x7c00, v79 op_sel_hi:[0,1]
	v_pk_add_f16 v79, v0, v47
	v_pk_add_f16 v47, v2, v47
	v_pk_min_f16 v111, 0x7c00, v80 op_sel_hi:[0,1]
	v_pk_min_f16 v112, 0x7c00, v81 op_sel_hi:[0,1]
	v_pk_add_f16 v80, v16, v49
	v_pk_add_f16 v81, v18, v49
	v_pk_min_f16 v114, 0x7c00, v79 op_sel_hi:[0,1]
	v_pk_min_f16 v115, 0x7c00, v47 op_sel_hi:[0,1]
	v_pk_add_f16 v47, v14, v49
	v_pk_add_f16 v79, v4, v49
	v_pk_min_f16 v113, 0x7c00, v82 op_sel_hi:[0,1]
	v_pk_add_f16 v82, v12, v49
	v_pk_min_f16 v116, 0x7c00, v80 op_sel_hi:[0,1]
	v_pk_min_f16 v117, 0x7c00, v81 op_sel_hi:[0,1]
	v_pk_add_f16 v80, v6, v49
	v_pk_add_f16 v81, v0, v49
	v_pk_min_f16 v119, 0x7c00, v47 op_sel_hi:[0,1]
	v_pk_min_f16 v120, 0x7c00, v79 op_sel_hi:[0,1]
	v_pk_add_f16 v47, v16, v8
	v_pk_add_f16 v79, v18, v8
	;; [unrolled: 1-line block ×5, first 2 shown]
	v_pk_min_f16 v45, 0x7c00, v45 op_sel_hi:[0,1]
	v_pk_add_f16 v56, v16, v32
	v_pk_add_f16 v57, v18, v32
	;; [unrolled: 1-line block ×24, first 2 shown]
	v_pk_min_f16 v118, 0x7c00, v82 op_sel_hi:[0,1]
	v_pk_add_f16 v49, v2, v49
	v_pk_min_f16 v121, 0x7c00, v80 op_sel_hi:[0,1]
	v_pk_min_f16 v122, 0x7c00, v81 op_sel_hi:[0,1]
	v_pk_add_f16 v80, v12, v8
	v_pk_add_f16 v81, v14, v8
	;; [unrolled: 1-line block ×3, first 2 shown]
	v_pk_min_f16 v123, 0x7c00, v47 op_sel_hi:[0,1]
	v_pk_min_f16 v124, 0x7c00, v79 op_sel_hi:[0,1]
	v_pk_add_f16 v47, v6, v8
	v_pk_add_f16 v79, v0, v8
	;; [unrolled: 1-line block ×12, first 2 shown]
	v_pk_min_f16 v46, 0x7c00, v46 op_sel_hi:[0,1]
	v_pk_min_f16 v53, 0x7c00, v53 op_sel_hi:[0,1]
	;; [unrolled: 1-line block ×3, first 2 shown]
	v_pk_add_f16 v47, v19, v31
	v_pk_min_f16 v110, v45, v10
	v_pk_add_f16 v10, v5, v31
	v_pk_min_f16 v51, 0x7c00, v51 op_sel_hi:[0,1]
	v_pk_min_f16 v30, 0x7c00, v30 op_sel_hi:[0,1]
	;; [unrolled: 1-line block ×5, first 2 shown]
	v_pk_add_f16 v79, v13, v31
	v_pk_add_f16 v80, v15, v31
	v_pk_min_f16 v109, v46, v47
	v_pk_add_f16 v45, v7, v31
	v_pk_add_f16 v46, v1, v31
	;; [unrolled: 1-line block ×3, first 2 shown]
	v_pk_min_f16 v47, v53, v10
	v_pk_add_f16 v10, v19, v33
	v_pk_min_f16 v52, 0x7c00, v52 op_sel_hi:[0,1]
	v_pk_min_f16 v56, 0x7c00, v56 op_sel_hi:[0,1]
	;; [unrolled: 1-line block ×5, first 2 shown]
	v_pk_min_f16 v108, v51, v79
	v_pk_add_f16 v51, v17, v33
	v_pk_min_f16 v106, v30, v31
	v_pk_add_f16 v30, v13, v33
	v_pk_add_f16 v31, v15, v33
	v_pk_min_f16 v104, v57, v10
	v_pk_add_f16 v10, v1, v33
	v_pk_min_f16 v32, 0x7c00, v32 op_sel_hi:[0,1]
	v_pk_min_f16 v63, 0x7c00, v63 op_sel_hi:[0,1]
	;; [unrolled: 1-line block ×4, first 2 shown]
	v_pk_min_f16 v107, v52, v80
	v_pk_min_f16 v105, v56, v51
	v_pk_add_f16 v51, v5, v33
	v_pk_add_f16 v52, v7, v33
	v_pk_min_f16 v103, v58, v30
	v_pk_min_f16 v102, v59, v31
	v_pk_add_f16 v30, v3, v33
	v_pk_add_f16 v31, v17, v35
	;; [unrolled: 1-line block ×3, first 2 shown]
	v_pk_min_f16 v99, v62, v10
	v_pk_add_f16 v10, v15, v35
	v_pk_min_f16 v67, 0x7c00, v67 op_sel_hi:[0,1]
	v_pk_min_f16 v68, 0x7c00, v68 op_sel_hi:[0,1]
	;; [unrolled: 1-line block ×5, first 2 shown]
	v_pk_min_f16 v98, v32, v30
	v_pk_min_f16 v97, v63, v31
	;; [unrolled: 1-line block ×3, first 2 shown]
	v_pk_add_f16 v30, v5, v35
	v_pk_add_f16 v31, v7, v35
	;; [unrolled: 1-line block ×4, first 2 shown]
	v_pk_min_f16 v94, v66, v10
	v_pk_add_f16 v10, v17, v37
	v_pk_min_f16 v71, 0x7c00, v71 op_sel_hi:[0,1]
	v_pk_min_f16 v72, 0x7c00, v72 op_sel_hi:[0,1]
	;; [unrolled: 1-line block ×5, first 2 shown]
	v_pk_min_f16 v93, v67, v30
	v_pk_min_f16 v92, v68, v31
	;; [unrolled: 1-line block ×4, first 2 shown]
	v_pk_add_f16 v30, v19, v37
	v_pk_add_f16 v31, v13, v37
	;; [unrolled: 1-line block ×4, first 2 shown]
	v_pk_min_f16 v89, v70, v10
	v_pk_add_f16 v10, v7, v37
	v_pk_min_f16 v76, 0x7c00, v76 op_sel_hi:[0,1]
	v_pk_min_f16 v36, 0x7c00, v36 op_sel_hi:[0,1]
	;; [unrolled: 1-line block ×4, first 2 shown]
	v_pk_min_f16 v88, v71, v30
	v_pk_min_f16 v87, v72, v31
	;; [unrolled: 1-line block ×4, first 2 shown]
	v_pk_add_f16 v30, v1, v37
	v_pk_add_f16 v31, v3, v37
	v_pk_add_f16 v32, v17, v48
	v_pk_add_f16 v33, v19, v48
	v_pk_min_f16 v84, v75, v10
	v_pk_add_f16 v10, v13, v48
	v_pk_min_f16 v126, 0x7c00, v81 op_sel_hi:[0,1]
	v_pk_min_f16 v127, 0x7c00, v82 op_sel_hi:[0,1]
	v_pk_min_f16 v82, v76, v30
	v_pk_min_f16 v81, v36, v31
	;; [unrolled: 1-line block ×4, first 2 shown]
	v_pk_add_f16 v30, v15, v48
	v_pk_add_f16 v31, v5, v48
	v_pk_add_f16 v32, v7, v48
	v_pk_add_f16 v33, v1, v48
	v_pk_min_f16 v78, v83, v10
	v_pk_add_f16 v10, v3, v48
	v_pk_min_f16 v60, 0x7c00, v60 op_sel_hi:[0,1]
	v_pk_min_f16 v77, v111, v30
	v_pk_min_f16 v75, v112, v31
	;; [unrolled: 1-line block ×4, first 2 shown]
	v_pk_add_f16 v30, v17, v50
	v_pk_add_f16 v31, v19, v50
	v_pk_add_f16 v32, v13, v50
	v_pk_add_f16 v33, v15, v50
	v_pk_min_f16 v72, v115, v10
	v_pk_add_f16 v10, v5, v50
	v_pk_min_f16 v65, 0x7c00, v65 op_sel_hi:[0,1]
	v_pk_min_f16 v49, 0x7c00, v49 op_sel_hi:[0,1]
	v_pk_min_f16 v101, v60, v51
	v_pk_add_f16 v51, v13, v35
	v_pk_min_f16 v71, v116, v30
	v_pk_min_f16 v70, v117, v31
	;; [unrolled: 1-line block ×4, first 2 shown]
	v_pk_add_f16 v30, v7, v50
	v_pk_add_f16 v31, v1, v50
	;; [unrolled: 1-line block ×4, first 2 shown]
	v_pk_min_f16 v67, v120, v10
	v_pk_add_f16 v10, v19, v9
	v_pk_min_f16 v8, 0x7c00, v8 op_sel_hi:[0,1]
	v_pk_min_f16 v95, v65, v51
	v_pk_min_f16 v66, v121, v30
	;; [unrolled: 1-line block ×5, first 2 shown]
	v_pk_add_f16 v30, v13, v9
	v_pk_add_f16 v31, v15, v9
	;; [unrolled: 1-line block ×4, first 2 shown]
	v_pk_min_f16 v62, v124, v10
	v_pk_add_f16 v10, v1, v9
	v_pk_add_f16 v9, v3, v9
	v_pk_min_f16 v54, 0x7c00, v54 op_sel_hi:[0,1]
	v_pk_min_f16 v55, 0x7c00, v55 op_sel_hi:[0,1]
	;; [unrolled: 1-line block ×11, first 2 shown]
	v_pk_add_f16 v17, v17, v11
	v_pk_add_f16 v19, v19, v11
	;; [unrolled: 1-line block ×3, first 2 shown]
	v_pk_min_f16 v56, v8, v9
	v_pk_add_f16 v8, v15, v11
	v_pk_add_f16 v5, v5, v11
	;; [unrolled: 1-line block ×5, first 2 shown]
	v_pk_min_f16 v45, v54, v45
	v_pk_min_f16 v46, v55, v46
	;; [unrolled: 1-line block ×16, first 2 shown]
	s_cbranch_scc1 .LBB262_52
; %bb.30:
	v_mad_i64_i32 v[0:1], null, s27, v23, 0
	v_add_nc_u32_e32 v2, 8, v40
	v_add_nc_u32_e32 v4, 12, v40
	;; [unrolled: 1-line block ×6, first 2 shown]
	v_lshlrev_b64 v[0:1], 1, v[0:1]
	v_lshl_add_u32 v113, v38, 3, 0x800
	v_lshl_add_u32 v114, v39, 3, 0x1200
	s_delay_alu instid0(VALU_DEP_3) | instskip(NEXT) | instid1(VALU_DEP_1)
	v_add_co_u32 v5, s5, v0, v22
	v_add_co_ci_u32_e64 v6, s5, 0, v1, s5
	v_mad_i64_i32 v[0:1], null, v2, s8, 0
	s_delay_alu instid0(VALU_DEP_3) | instskip(SKIP_1) | instid1(VALU_DEP_4)
	v_add_co_u32 v7, s5, v5, s22
	v_mad_i64_i32 v[2:3], null, v4, s8, 0
	v_add_co_ci_u32_e64 v6, s5, s23, v6, s5
	v_lshlrev_b64 v[4:5], 1, v[20:21]
	s_delay_alu instid0(VALU_DEP_4) | instskip(NEXT) | instid1(VALU_DEP_1)
	v_add_co_u32 v32, s5, v7, 24
	v_add_co_ci_u32_e64 v33, s5, 0, v6, s5
	v_lshlrev_b64 v[34:35], 1, v[0:1]
	s_delay_alu instid0(VALU_DEP_4)
	v_add_co_u32 v115, s5, s20, v4
	v_lshlrev_b64 v[36:37], 1, v[2:3]
	v_add_co_ci_u32_e64 v116, s5, s21, v5, s5
	s_add_i32 s20, s18, -8
	s_lshl_b64 s[8:9], s[8:9], 4
	s_mov_b32 s21, 0
	s_branch .LBB262_32
.LBB262_31:                             ;   in Loop: Header=BB262_32 Depth=1
	s_or_b32 exec_lo, exec_lo, s5
	ds_load_2addr_b64 v[122:125], v42 offset1:32
	ds_load_2addr_b64 v[84:87], v83 offset1:8
	ds_load_2addr_b64 v[126:129], v42 offset0:64 offset1:96
	ds_load_2addr_b64 v[130:133], v42 offset0:128 offset1:160
	;; [unrolled: 1-line block ×6, first 2 shown]
	v_pk_max_f16 v13, v81, v81
	v_pk_max_f16 v15, v79, v79
	;; [unrolled: 1-line block ×13, first 2 shown]
	s_waitcnt lgkmcnt(6)
	v_pk_add_f16 v78, v122, v84
	v_pk_add_f16 v79, v124, v84
	s_waitcnt lgkmcnt(5)
	v_pk_add_f16 v81, v128, v84
	v_pk_add_f16 v80, v126, v84
	s_waitcnt lgkmcnt(4)
	v_pk_add_f16 v82, v130, v84
	v_pk_min_f16 v13, v13, v78
	v_pk_min_f16 v15, v15, v79
	v_pk_add_f16 v78, v122, v86
	v_pk_add_f16 v79, v124, v86
	v_pk_min_f16 v19, v19, v81
	v_pk_add_f16 v81, v128, v86
	v_pk_max_f16 v58, v58, v58
	v_pk_min_f16 v68, v68, v78
	v_pk_min_f16 v66, v66, v79
	v_pk_add_f16 v78, v132, v86
	s_waitcnt lgkmcnt(3)
	v_pk_add_f16 v79, v134, v86
	v_pk_min_f16 v71, v71, v81
	s_waitcnt lgkmcnt(2)
	v_pk_add_f16 v81, v122, v138
	v_pk_max_f16 v56, v56, v56
	v_pk_min_f16 v63, v63, v78
	v_pk_min_f16 v61, v61, v79
	v_pk_add_f16 v78, v126, v138
	v_pk_add_f16 v79, v128, v138
	v_pk_min_f16 v17, v17, v80
	v_pk_min_f16 v74, v74, v82
	v_pk_add_f16 v80, v126, v86
	v_pk_max_f16 v72, v72, v72
	v_pk_add_f16 v82, v130, v86
	v_pk_max_f16 v70, v70, v70
	v_pk_min_f16 v67, v67, v81
	v_pk_add_f16 v81, v132, v138
	v_pk_max_f16 v62, v62, v62
	v_pk_min_f16 v58, v58, v78
	v_pk_min_f16 v56, v56, v79
	v_pk_add_f16 v78, v136, v138
	v_pk_max_f16 v53, v53, v53
	v_pk_add_f16 v79, v122, v140
	v_pk_max_f16 v51, v51, v51
	v_pk_min_f16 v72, v72, v80
	v_pk_min_f16 v70, v70, v82
	v_pk_add_f16 v80, v136, v86
	v_pk_max_f16 v69, v69, v69
	v_pk_add_f16 v82, v124, v138
	v_pk_max_f16 v65, v65, v65
	v_pk_min_f16 v62, v62, v81
	v_pk_add_f16 v81, v126, v140
	v_pk_max_f16 v57, v57, v57
	v_pk_min_f16 v53, v53, v78
	v_pk_min_f16 v51, v51, v79
	v_pk_add_f16 v78, v130, v140
	v_pk_max_f16 v48, v48, v48
	v_pk_add_f16 v79, v132, v140
	v_pk_max_f16 v46, v46, v46
	v_pk_min_f16 v69, v69, v80
	v_pk_min_f16 v65, v65, v82
	v_pk_add_f16 v80, v130, v138
	v_pk_max_f16 v64, v64, v64
	v_pk_add_f16 v82, v134, v138
	v_pk_max_f16 v60, v60, v60
	v_pk_min_f16 v57, v57, v81
	v_pk_add_f16 v81, v136, v140
	v_pk_max_f16 v52, v52, v52
	v_pk_min_f16 v48, v48, v78
	v_pk_min_f16 v78, v46, v79
	s_waitcnt lgkmcnt(1)
	v_pk_add_f16 v46, v124, v142
	v_pk_max_f16 v30, v30, v30
	v_pk_add_f16 v79, v126, v142
	v_pk_max_f16 v28, v28, v28
	v_pk_min_f16 v64, v64, v80
	v_pk_min_f16 v60, v60, v82
	v_pk_add_f16 v80, v124, v140
	v_pk_max_f16 v59, v59, v59
	v_pk_add_f16 v82, v128, v140
	v_pk_max_f16 v55, v55, v55
	v_pk_min_f16 v52, v52, v81
	v_pk_add_f16 v81, v130, v142
	v_pk_max_f16 v47, v47, v47
	v_pk_min_f16 v30, v30, v46
	v_pk_min_f16 v28, v28, v79
	v_pk_add_f16 v46, v136, v142
	v_pk_max_f16 v24, v24, v24
	v_pk_add_f16 v79, v124, v144
	v_pk_max_f16 v29, v29, v29
	v_pk_min_f16 v59, v59, v80
	v_pk_min_f16 v55, v55, v82
	v_pk_add_f16 v80, v134, v140
	v_pk_max_f16 v54, v54, v54
	v_pk_add_f16 v82, v122, v142
	v_pk_max_f16 v50, v50, v50
	v_pk_min_f16 v138, v47, v81
	v_pk_add_f16 v47, v122, v144
	v_pk_max_f16 v31, v31, v31
	v_pk_min_f16 v24, v24, v46
	v_pk_min_f16 v29, v29, v79
	v_pk_add_f16 v46, v130, v144
	v_pk_max_f16 v16, v16, v16
	v_pk_add_f16 v79, v134, v144
	v_pk_max_f16 v23, v23, v23
	v_pk_min_f16 v54, v54, v80
	v_pk_min_f16 v50, v50, v82
	v_pk_add_f16 v80, v128, v142
	v_pk_max_f16 v49, v49, v49
	v_pk_add_f16 v82, v132, v142
	v_pk_max_f16 v45, v45, v45
	v_pk_min_f16 v31, v31, v47
	v_pk_add_f16 v47, v132, v144
	v_pk_max_f16 v26, v26, v26
	v_pk_min_f16 v16, v16, v46
	v_pk_min_f16 v23, v23, v79
	s_waitcnt lgkmcnt(0)
	v_pk_add_f16 v46, v124, v146
	v_pk_max_f16 v10, v10, v10
	v_pk_add_f16 v79, v128, v146
	v_pk_max_f16 v18, v18, v18
	v_pk_min_f16 v49, v49, v80
	v_pk_min_f16 v140, v45, v82
	v_pk_add_f16 v45, v134, v142
	v_pk_max_f16 v25, v25, v25
	v_pk_add_f16 v80, v126, v144
	v_pk_max_f16 v27, v27, v27
	v_pk_min_f16 v26, v26, v47
	v_pk_add_f16 v47, v126, v146
	v_pk_max_f16 v21, v21, v21
	v_pk_min_f16 v10, v10, v46
	v_pk_min_f16 v18, v18, v79
	v_pk_add_f16 v46, v134, v146
	v_pk_max_f16 v4, v4, v4
	v_pk_add_f16 v79, v122, v148
	v_pk_max_f16 v9, v9, v9
	v_pk_min_f16 v25, v25, v45
	v_pk_min_f16 v27, v27, v80
	v_pk_add_f16 v45, v128, v144
	v_pk_max_f16 v20, v20, v20
	v_pk_add_f16 v80, v136, v144
	v_pk_max_f16 v22, v22, v22
	v_pk_min_f16 v21, v21, v47
	v_pk_add_f16 v47, v136, v146
	v_pk_max_f16 v11, v11, v11
	v_pk_min_f16 v4, v4, v46
	v_pk_min_f16 v9, v9, v79
	v_pk_add_f16 v46, v128, v148
	v_pk_max_f16 v0, v0, v0
	v_pk_add_f16 v79, v132, v148
	v_pk_max_f16 v5, v5, v5
	v_pk_add_f16 v89, v134, v84
	v_pk_min_f16 v20, v20, v45
	v_pk_min_f16 v22, v22, v80
	v_pk_add_f16 v45, v122, v146
	v_pk_max_f16 v12, v12, v12
	v_pk_add_f16 v80, v130, v146
	v_pk_max_f16 v14, v14, v14
	v_pk_min_f16 v11, v11, v47
	v_pk_add_f16 v47, v130, v148
	v_pk_max_f16 v7, v7, v7
	v_pk_min_f16 v0, v0, v46
	v_pk_min_f16 v5, v5, v79
	v_pk_add_f16 v46, v123, v85
	v_pk_add_f16 v79, v127, v85
	v_pk_min_f16 v77, v77, v89
	v_pk_min_f16 v12, v12, v45
	;; [unrolled: 1-line block ×3, first 2 shown]
	v_pk_add_f16 v45, v132, v146
	v_pk_max_f16 v6, v6, v6
	v_pk_add_f16 v80, v124, v148
	v_pk_max_f16 v8, v8, v8
	v_pk_min_f16 v7, v7, v47
	v_pk_add_f16 v47, v125, v85
	v_pk_min_f16 v110, v13, v46
	v_pk_min_f16 v108, v17, v79
	v_pk_add_f16 v13, v131, v85
	v_pk_add_f16 v17, v135, v85
	;; [unrolled: 1-line block ×4, first 2 shown]
	v_pk_min_f16 v6, v6, v45
	v_pk_min_f16 v8, v8, v80
	v_pk_add_f16 v45, v126, v148
	v_pk_max_f16 v2, v2, v2
	v_pk_add_f16 v80, v134, v148
	v_pk_max_f16 v3, v3, v3
	v_pk_min_f16 v109, v15, v47
	v_pk_min_f16 v47, v74, v13
	;; [unrolled: 1-line block ×4, first 2 shown]
	v_pk_add_f16 v13, v125, v87
	v_pk_add_f16 v17, v129, v87
	;; [unrolled: 1-line block ×4, first 2 shown]
	v_pk_max_f16 v73, v73, v73
	v_pk_min_f16 v75, v75, v88
	v_pk_min_f16 v2, v2, v45
	;; [unrolled: 1-line block ×3, first 2 shown]
	v_pk_add_f16 v45, v136, v148
	v_pk_max_f16 v1, v1, v1
	v_pk_add_f16 v80, v129, v85
	v_pk_add_f16 v15, v133, v85
	v_pk_min_f16 v104, v66, v13
	v_pk_min_f16 v102, v71, v17
	;; [unrolled: 1-line block ×3, first 2 shown]
	v_pk_add_f16 v13, v135, v87
	v_pk_add_f16 v17, v123, v139
	v_pk_add_f16 v63, v127, v139
	v_pk_min_f16 v73, v73, v84
	v_pk_min_f16 v1, v1, v45
	;; [unrolled: 1-line block ×3, first 2 shown]
	v_pk_add_f16 v19, v137, v85
	v_pk_min_f16 v45, v75, v15
	v_pk_add_f16 v15, v127, v87
	v_pk_min_f16 v99, v61, v13
	v_pk_min_f16 v97, v67, v17
	v_pk_min_f16 v95, v58, v63
	v_pk_add_f16 v13, v129, v139
	v_pk_add_f16 v17, v133, v139
	v_pk_add_f16 v58, v137, v139
	v_pk_min_f16 v106, v73, v19
	v_pk_add_f16 v19, v131, v87
	v_pk_min_f16 v103, v72, v15
	v_pk_add_f16 v15, v137, v87
	v_pk_min_f16 v94, v56, v13
	v_pk_min_f16 v92, v62, v17
	v_pk_min_f16 v90, v53, v58
	v_pk_add_f16 v13, v123, v141
	v_pk_add_f16 v17, v127, v141
	v_pk_add_f16 v53, v131, v141
	v_pk_min_f16 v101, v70, v19
	;; [unrolled: 10-line block ×6, first 2 shown]
	v_pk_add_f16 v19, v133, v143
	v_pk_min_f16 v77, v49, v15
	v_pk_add_f16 v15, v123, v145
	v_pk_min_f16 v67, v16, v13
	v_pk_min_f16 v65, v23, v17
	;; [unrolled: 1-line block ×3, first 2 shown]
	v_pk_add_f16 v12, v125, v147
	v_pk_add_f16 v13, v127, v147
	;; [unrolled: 1-line block ×4, first 2 shown]
	v_pk_min_f16 v74, v140, v19
	v_pk_add_f16 v19, v127, v145
	v_pk_min_f16 v71, v31, v15
	v_pk_add_f16 v15, v133, v145
	v_pk_min_f16 v62, v10, v12
	v_pk_min_f16 v61, v21, v13
	v_pk_min_f16 v59, v14, v16
	v_pk_min_f16 v58, v6, v17
	v_pk_add_f16 v6, v135, v147
	v_pk_add_f16 v12, v123, v149
	;; [unrolled: 1-line block ×4, first 2 shown]
	v_pk_min_f16 v69, v27, v19
	v_pk_add_f16 v19, v137, v145
	v_pk_min_f16 v66, v26, v15
	v_pk_add_f16 v15, v129, v147
	v_pk_add_f16 v10, v137, v147
	v_pk_min_f16 v57, v4, v6
	v_pk_min_f16 v54, v9, v12
	;; [unrolled: 1-line block ×4, first 2 shown]
	v_pk_add_f16 v2, v129, v149
	v_pk_add_f16 v4, v131, v149
	;; [unrolled: 1-line block ×5, first 2 shown]
	v_add_co_u32 v32, s5, v32, 16
	s_delay_alu instid0(VALU_DEP_1)
	v_add_co_ci_u32_e64 v33, s5, 0, v33, s5
	v_add_co_u32 v115, s5, v115, s8
	v_pk_min_f16 v64, v22, v19
	v_pk_min_f16 v60, v18, v15
	;; [unrolled: 1-line block ×8, first 2 shown]
	v_add_co_ci_u32_e64 v116, s5, s9, v116, s5
	s_add_i32 s21, s21, 8
	s_waitcnt vmcnt(0)
	ds_store_b16 v111, v117
	ds_store_b16 v111, v119 offset:512
	ds_store_b16 v111, v118 offset:1024
	;; [unrolled: 1-line block ×3, first 2 shown]
	ds_store_b16 v112, v120
	s_cmp_ge_i32 s21, s20
	s_waitcnt lgkmcnt(0)
	s_barrier
	buffer_gl0_inv
	s_cbranch_scc1 .LBB262_52
.LBB262_32:                             ; =>This Inner Loop Header: Depth=1
	v_dual_mov_b32 v119, 0x7c00 :: v_dual_add_nc_u32 v118, s21, v40
	v_mov_b32_e32 v120, 0x7c00
	s_delay_alu instid0(VALU_DEP_2) | instskip(NEXT) | instid1(VALU_DEP_1)
	v_add_nc_u32_e32 v0, 8, v118
	v_cmp_le_i32_e64 s5, s18, v0
	s_delay_alu instid0(VALU_DEP_1) | instskip(NEXT) | instid1(SALU_CYCLE_1)
	s_or_b32 s6, vcc_lo, s5
	s_xor_b32 s6, s6, -1
	s_delay_alu instid0(SALU_CYCLE_1)
	s_and_saveexec_b32 s22, s6
	s_cbranch_execz .LBB262_34
; %bb.33:                               ;   in Loop: Header=BB262_32 Depth=1
	v_add_co_u32 v0, s6, v115, v34
	s_delay_alu instid0(VALU_DEP_1)
	v_add_co_ci_u32_e64 v1, s6, v116, v35, s6
	flat_load_u16 v120, v[0:1]
.LBB262_34:                             ;   in Loop: Header=BB262_32 Depth=1
	s_or_b32 exec_lo, exec_lo, s22
	s_or_b32 s6, s2, s5
	s_delay_alu instid0(SALU_CYCLE_1) | instskip(NEXT) | instid1(SALU_CYCLE_1)
	s_xor_b32 s6, s6, -1
	s_and_saveexec_b32 s22, s6
	s_cbranch_execz .LBB262_36
; %bb.35:                               ;   in Loop: Header=BB262_32 Depth=1
	v_add_co_u32 v0, s6, v115, v34
	s_delay_alu instid0(VALU_DEP_1)
	v_add_co_ci_u32_e64 v1, s6, v116, v35, s6
	flat_load_u16 v119, v[0:1] offset:128
.LBB262_36:                             ;   in Loop: Header=BB262_32 Depth=1
	s_or_b32 exec_lo, exec_lo, s22
	v_mov_b32_e32 v121, 0x7c00
	v_mov_b32_e32 v123, 0x7c00
	s_or_b32 s6, s3, s5
	s_delay_alu instid0(SALU_CYCLE_1) | instskip(NEXT) | instid1(SALU_CYCLE_1)
	s_xor_b32 s6, s6, -1
	s_and_saveexec_b32 s22, s6
	s_cbranch_execz .LBB262_38
; %bb.37:                               ;   in Loop: Header=BB262_32 Depth=1
	v_add_co_u32 v0, s6, v115, v34
	s_delay_alu instid0(VALU_DEP_1)
	v_add_co_ci_u32_e64 v1, s6, v116, v35, s6
	flat_load_u16 v123, v[0:1] offset:256
.LBB262_38:                             ;   in Loop: Header=BB262_32 Depth=1
	s_or_b32 exec_lo, exec_lo, s22
	s_or_b32 s5, s4, s5
	s_delay_alu instid0(SALU_CYCLE_1) | instskip(NEXT) | instid1(SALU_CYCLE_1)
	s_xor_b32 s5, s5, -1
	s_and_saveexec_b32 s6, s5
	s_cbranch_execz .LBB262_40
; %bb.39:                               ;   in Loop: Header=BB262_32 Depth=1
	v_add_co_u32 v0, s5, v115, v34
	s_delay_alu instid0(VALU_DEP_1)
	v_add_co_ci_u32_e64 v1, s5, v116, v35, s5
	flat_load_u16 v121, v[0:1] offset:384
.LBB262_40:                             ;   in Loop: Header=BB262_32 Depth=1
	s_or_b32 exec_lo, exec_lo, s6
	v_dual_mov_b32 v117, 0x7c00 :: v_dual_add_nc_u32 v122, s21, v43
	v_mov_b32_e32 v124, 0x7c00
	s_delay_alu instid0(VALU_DEP_2) | instskip(NEXT) | instid1(VALU_DEP_1)
	v_add_nc_u32_e32 v0, 8, v122
	v_cmp_gt_i32_e64 s5, s18, v0
	s_delay_alu instid0(VALU_DEP_1) | instskip(NEXT) | instid1(SALU_CYCLE_1)
	s_and_b32 s5, s5, s14
	s_and_saveexec_b32 s6, s5
	s_cbranch_execz .LBB262_42
; %bb.41:                               ;   in Loop: Header=BB262_32 Depth=1
	v_add_co_u32 v0, s5, -8, v32
	s_delay_alu instid0(VALU_DEP_1)
	v_add_co_ci_u32_e64 v1, s5, -1, v33, s5
	flat_load_u16 v124, v[0:1]
.LBB262_42:                             ;   in Loop: Header=BB262_32 Depth=1
	s_or_b32 exec_lo, exec_lo, s6
	ds_load_2addr_b64 v[12:15], v113 offset1:32
	ds_load_2addr_b64 v[8:11], v113 offset0:64 offset1:96
	ds_load_2addr_b64 v[4:7], v113 offset0:128 offset1:160
	;; [unrolled: 1-line block ×3, first 2 shown]
	ds_load_2addr_b64 v[28:31], v114 offset1:8
	ds_load_2addr_b64 v[24:27], v114 offset0:16 offset1:24
	ds_load_2addr_b64 v[20:23], v114 offset0:32 offset1:40
	;; [unrolled: 1-line block ×3, first 2 shown]
	v_add_nc_u32_e32 v118, 12, v118
	s_waitcnt vmcnt(0) lgkmcnt(8)
	ds_store_b16 v44, v120
	ds_store_b16 v44, v119 offset:512
	ds_store_b16 v44, v123 offset:1024
	;; [unrolled: 1-line block ×3, first 2 shown]
	ds_store_b16 v76, v124
	s_waitcnt lgkmcnt(0)
	s_barrier
	buffer_gl0_inv
	v_cmp_le_i32_e64 s5, s18, v118
	s_delay_alu instid0(VALU_DEP_1) | instskip(NEXT) | instid1(SALU_CYCLE_1)
	s_or_b32 s6, vcc_lo, s5
	s_xor_b32 s6, s6, -1
	s_delay_alu instid0(SALU_CYCLE_1) | instskip(NEXT) | instid1(SALU_CYCLE_1)
	s_and_saveexec_b32 s22, s6
	s_xor_b32 s22, exec_lo, s22
	s_cbranch_execz .LBB262_44
; %bb.43:                               ;   in Loop: Header=BB262_32 Depth=1
	v_add_co_u32 v117, s6, v115, v36
	s_delay_alu instid0(VALU_DEP_1)
	v_add_co_ci_u32_e64 v118, s6, v116, v37, s6
	flat_load_u16 v117, v[117:118]
.LBB262_44:                             ;   in Loop: Header=BB262_32 Depth=1
	s_or_b32 exec_lo, exec_lo, s22
	v_dual_mov_b32 v118, 0x7c00 :: v_dual_mov_b32 v119, 0x7c00
	s_or_b32 s6, s2, s5
	s_delay_alu instid0(SALU_CYCLE_1) | instskip(NEXT) | instid1(SALU_CYCLE_1)
	s_xor_b32 s6, s6, -1
	s_and_saveexec_b32 s22, s6
	s_cbranch_execz .LBB262_46
; %bb.45:                               ;   in Loop: Header=BB262_32 Depth=1
	v_add_co_u32 v119, s6, v115, v36
	s_delay_alu instid0(VALU_DEP_1)
	v_add_co_ci_u32_e64 v120, s6, v116, v37, s6
	flat_load_u16 v119, v[119:120] offset:128
.LBB262_46:                             ;   in Loop: Header=BB262_32 Depth=1
	s_or_b32 exec_lo, exec_lo, s22
	s_or_b32 s6, s3, s5
	s_delay_alu instid0(SALU_CYCLE_1) | instskip(NEXT) | instid1(SALU_CYCLE_1)
	s_xor_b32 s6, s6, -1
	s_and_saveexec_b32 s22, s6
	s_cbranch_execz .LBB262_48
; %bb.47:                               ;   in Loop: Header=BB262_32 Depth=1
	v_add_co_u32 v120, s6, v115, v36
	s_delay_alu instid0(VALU_DEP_1)
	v_add_co_ci_u32_e64 v121, s6, v116, v37, s6
	flat_load_u16 v118, v[120:121] offset:256
.LBB262_48:                             ;   in Loop: Header=BB262_32 Depth=1
	s_or_b32 exec_lo, exec_lo, s22
	v_dual_mov_b32 v120, 0x7c00 :: v_dual_mov_b32 v121, 0x7c00
	s_or_b32 s5, s4, s5
	s_delay_alu instid0(SALU_CYCLE_1) | instskip(NEXT) | instid1(SALU_CYCLE_1)
	s_xor_b32 s5, s5, -1
	s_and_saveexec_b32 s6, s5
	s_cbranch_execz .LBB262_50
; %bb.49:                               ;   in Loop: Header=BB262_32 Depth=1
	v_add_co_u32 v123, s5, v115, v36
	s_delay_alu instid0(VALU_DEP_1)
	v_add_co_ci_u32_e64 v124, s5, v116, v37, s5
	flat_load_u16 v121, v[123:124] offset:384
.LBB262_50:                             ;   in Loop: Header=BB262_32 Depth=1
	s_or_b32 exec_lo, exec_lo, s6
	v_pk_add_f16 v123, v12, v28
	v_pk_max_f16 v110, v110, v110
	v_pk_add_f16 v124, v14, v28
	v_pk_max_f16 v109, v109, v109
	;; [unrolled: 2-line block ×4, first 2 shown]
	v_pk_min_f16 v110, v110, v123
	v_pk_min_f16 v109, v109, v124
	;; [unrolled: 1-line block ×3, first 2 shown]
	v_pk_add_f16 v123, v4, v28
	v_pk_max_f16 v47, v47, v47
	v_pk_add_f16 v124, v6, v28
	v_pk_max_f16 v45, v45, v45
	v_pk_add_f16 v125, v0, v28
	v_pk_add_f16 v28, v2, v28
	v_pk_max_f16 v106, v106, v106
	v_pk_min_f16 v107, v107, v126
	v_pk_max_f16 v46, v46, v46
	v_pk_add_f16 v126, v12, v30
	v_pk_max_f16 v105, v105, v105
	v_pk_min_f16 v47, v47, v123
	v_pk_min_f16 v45, v45, v124
	;; [unrolled: 1-line block ×3, first 2 shown]
	v_pk_add_f16 v106, v14, v30
	v_pk_max_f16 v104, v104, v104
	v_pk_add_f16 v123, v8, v30
	v_pk_max_f16 v103, v103, v103
	;; [unrolled: 2-line block ×3, first 2 shown]
	v_pk_min_f16 v46, v46, v125
	v_pk_min_f16 v105, v105, v126
	v_pk_add_f16 v125, v4, v30
	v_pk_max_f16 v101, v101, v101
	v_pk_add_f16 v126, v6, v30
	v_pk_min_f16 v104, v104, v106
	v_pk_min_f16 v103, v103, v123
	;; [unrolled: 1-line block ×3, first 2 shown]
	v_pk_add_f16 v106, v0, v30
	v_pk_max_f16 v99, v99, v99
	v_pk_add_f16 v30, v2, v30
	v_pk_max_f16 v98, v98, v98
	;; [unrolled: 2-line block ×4, first 2 shown]
	v_pk_min_f16 v101, v101, v125
	v_pk_add_f16 v125, v8, v24
	v_pk_min_f16 v99, v99, v106
	v_pk_min_f16 v30, v98, v30
	;; [unrolled: 1-line block ×4, first 2 shown]
	v_pk_add_f16 v98, v10, v24
	v_pk_add_f16 v106, v4, v24
	v_pk_max_f16 v93, v93, v93
	v_pk_add_f16 v123, v6, v24
	v_pk_add_f16 v124, v0, v24
	;; [unrolled: 1-line block ×3, first 2 shown]
	v_pk_max_f16 v90, v90, v90
	v_pk_max_f16 v94, v94, v94
	;; [unrolled: 1-line block ×3, first 2 shown]
	v_pk_min_f16 v93, v93, v106
	v_pk_max_f16 v89, v89, v89
	v_pk_min_f16 v24, v90, v24
	v_pk_add_f16 v90, v12, v26
	v_pk_add_f16 v106, v8, v26
	v_pk_max_f16 v87, v87, v87
	v_pk_max_f16 v91, v91, v91
	v_pk_min_f16 v94, v94, v98
	v_pk_min_f16 v92, v92, v123
	v_pk_add_f16 v98, v14, v26
	v_pk_max_f16 v88, v88, v88
	v_pk_add_f16 v123, v10, v26
	v_pk_max_f16 v86, v86, v86
	v_pk_min_f16 v89, v89, v90
	v_pk_min_f16 v87, v87, v106
	v_pk_add_f16 v90, v6, v26
	v_pk_max_f16 v84, v84, v84
	v_pk_add_f16 v106, v12, v20
	v_pk_max_f16 v80, v80, v80
	v_pk_max_f16 v95, v95, v95
	v_pk_min_f16 v91, v91, v124
	v_pk_add_f16 v124, v4, v26
	v_pk_min_f16 v88, v88, v98
	v_pk_min_f16 v86, v86, v123
	v_pk_add_f16 v98, v0, v26
	v_pk_max_f16 v82, v82, v82
	v_pk_add_f16 v26, v2, v26
	v_pk_max_f16 v81, v81, v81
	;; [unrolled: 2-line block ×3, first 2 shown]
	v_pk_min_f16 v84, v84, v90
	v_pk_min_f16 v90, v80, v106
	v_pk_add_f16 v80, v10, v20
	v_pk_max_f16 v77, v77, v77
	v_pk_max_f16 v100, v100, v100
	v_pk_min_f16 v95, v95, v125
	v_pk_min_f16 v82, v82, v98
	;; [unrolled: 1-line block ×4, first 2 shown]
	v_pk_add_f16 v81, v4, v20
	v_pk_max_f16 v75, v75, v75
	v_pk_add_f16 v106, v6, v20
	v_pk_max_f16 v74, v74, v74
	;; [unrolled: 2-line block ×3, first 2 shown]
	v_pk_min_f16 v125, v77, v80
	v_pk_add_f16 v77, v10, v22
	v_pk_max_f16 v68, v68, v68
	v_pk_min_f16 v100, v100, v126
	v_pk_min_f16 v126, v75, v81
	;; [unrolled: 1-line block ×4, first 2 shown]
	v_pk_add_f16 v73, v12, v22
	v_pk_max_f16 v71, v71, v71
	v_pk_add_f16 v74, v14, v22
	v_pk_max_f16 v70, v70, v70
	;; [unrolled: 2-line block ×3, first 2 shown]
	v_pk_min_f16 v130, v68, v77
	v_pk_add_f16 v68, v4, v22
	v_pk_max_f16 v67, v67, v67
	v_pk_min_f16 v127, v71, v73
	v_pk_min_f16 v128, v70, v74
	;; [unrolled: 1-line block ×3, first 2 shown]
	v_pk_add_f16 v69, v6, v22
	v_pk_max_f16 v66, v66, v66
	v_pk_add_f16 v70, v0, v22
	v_pk_max_f16 v65, v65, v65
	;; [unrolled: 2-line block ×4, first 2 shown]
	v_pk_min_f16 v131, v67, v68
	v_pk_add_f16 v67, v6, v16
	v_pk_max_f16 v58, v58, v58
	v_pk_add_f16 v79, v8, v20
	v_pk_min_f16 v132, v66, v69
	v_pk_min_f16 v133, v65, v70
	;; [unrolled: 1-line block ×4, first 2 shown]
	v_pk_add_f16 v63, v14, v16
	v_pk_add_f16 v64, v8, v16
	;; [unrolled: 1-line block ×4, first 2 shown]
	v_pk_min_f16 v139, v58, v67
	v_pk_add_f16 v58, v0, v16
	v_pk_add_f16 v16, v2, v16
	v_pk_max_f16 v56, v56, v56
	v_pk_add_f16 v12, v12, v18
	v_pk_max_f16 v54, v54, v54
	;; [unrolled: 2-line block ×3, first 2 shown]
	v_pk_min_f16 v141, v56, v16
	v_pk_add_f16 v4, v4, v18
	v_pk_min_f16 v142, v54, v12
	v_pk_max_f16 v12, v53, v53
	v_pk_min_f16 v144, v50, v8
	v_pk_add_f16 v8, v10, v18
	v_pk_max_f16 v10, v55, v55
	v_pk_add_f16 v0, v0, v18
	v_pk_max_f16 v16, v49, v49
	v_pk_add_f16 v20, v2, v20
	v_pk_add_f16 v14, v14, v18
	;; [unrolled: 1-line block ×4, first 2 shown]
	v_pk_max_f16 v18, v48, v48
	v_pk_min_f16 v145, v10, v8
	v_pk_min_f16 v146, v12, v4
	;; [unrolled: 1-line block ×3, first 2 shown]
	v_pk_add_f16 v0, v13, v29
	v_pk_add_f16 v4, v9, v29
	;; [unrolled: 1-line block ×3, first 2 shown]
	v_pk_max_f16 v85, v85, v85
	v_pk_max_f16 v78, v78, v78
	;; [unrolled: 1-line block ×3, first 2 shown]
	v_pk_min_f16 v149, v18, v2
	v_pk_add_f16 v2, v15, v29
	v_pk_max_f16 v59, v59, v59
	v_pk_min_f16 v81, v110, v0
	v_pk_min_f16 v77, v108, v4
	;; [unrolled: 1-line block ×3, first 2 shown]
	v_pk_add_f16 v0, v7, v29
	v_pk_add_f16 v4, v3, v29
	;; [unrolled: 1-line block ×3, first 2 shown]
	v_pk_min_f16 v85, v85, v124
	v_pk_min_f16 v124, v78, v79
	;; [unrolled: 1-line block ×3, first 2 shown]
	v_pk_max_f16 v14, v51, v51
	v_pk_min_f16 v79, v109, v2
	v_pk_add_f16 v2, v1, v29
	v_pk_max_f16 v72, v72, v72
	v_pk_max_f16 v61, v61, v61
	v_pk_min_f16 v138, v59, v66
	v_pk_min_f16 v80, v45, v0
	;; [unrolled: 1-line block ×4, first 2 shown]
	v_pk_add_f16 v0, v9, v31
	v_pk_add_f16 v4, v5, v31
	;; [unrolled: 1-line block ×3, first 2 shown]
	v_pk_min_f16 v147, v14, v6
	v_pk_add_f16 v6, v11, v29
	v_pk_min_f16 v78, v46, v2
	v_pk_add_f16 v2, v11, v31
	v_pk_min_f16 v20, v72, v20
	v_pk_max_f16 v60, v60, v60
	v_pk_min_f16 v136, v61, v64
	v_pk_min_f16 v72, v103, v0
	;; [unrolled: 1-line block ×4, first 2 shown]
	v_pk_add_f16 v0, v3, v31
	v_pk_add_f16 v4, v15, v25
	;; [unrolled: 1-line block ×3, first 2 shown]
	v_pk_min_f16 v75, v107, v6
	v_pk_add_f16 v6, v13, v31
	v_pk_min_f16 v71, v102, v2
	v_pk_add_f16 v2, v13, v25
	v_pk_min_f16 v137, v60, v65
	v_pk_min_f16 v69, v30, v0
	;; [unrolled: 1-line block ×4, first 2 shown]
	v_pk_add_f16 v0, v5, v25
	v_pk_add_f16 v4, v1, v25
	;; [unrolled: 1-line block ×3, first 2 shown]
	v_pk_max_f16 v62, v62, v62
	v_pk_min_f16 v68, v105, v6
	v_pk_add_f16 v6, v7, v31
	v_pk_min_f16 v67, v97, v2
	v_pk_add_f16 v2, v7, v25
	v_pk_min_f16 v64, v93, v0
	v_pk_min_f16 v60, v91, v4
	;; [unrolled: 1-line block ×3, first 2 shown]
	v_pk_add_f16 v0, v15, v27
	v_pk_add_f16 v4, v11, v27
	;; [unrolled: 1-line block ×3, first 2 shown]
	v_pk_min_f16 v135, v62, v63
	v_pk_max_f16 v57, v57, v57
	v_pk_min_f16 v63, v100, v6
	v_pk_add_f16 v6, v9, v25
	v_pk_min_f16 v62, v92, v2
	v_pk_add_f16 v2, v9, v27
	v_pk_min_f16 v59, v88, v0
	v_pk_min_f16 v55, v86, v4
	;; [unrolled: 1-line block ×3, first 2 shown]
	v_pk_add_f16 v0, v1, v27
	v_pk_add_f16 v4, v13, v21
	;; [unrolled: 1-line block ×3, first 2 shown]
	v_pk_min_f16 v140, v57, v58
	v_pk_min_f16 v58, v95, v6
	v_pk_add_f16 v6, v3, v25
	v_pk_min_f16 v57, v87, v2
	v_pk_add_f16 v2, v3, v27
	v_pk_min_f16 v54, v82, v0
	v_pk_min_f16 v50, v90, v4
	v_pk_min_f16 v28, v124, v8
	v_pk_add_f16 v0, v11, v21
	v_pk_add_f16 v4, v7, v21
	v_pk_add_f16 v8, v3, v21
	v_pk_min_f16 v53, v24, v6
	v_pk_add_f16 v6, v5, v27
	v_pk_min_f16 v52, v26, v2
	v_pk_add_f16 v2, v5, v21
	v_pk_min_f16 v49, v125, v0
	v_pk_min_f16 v45, v106, v4
	v_pk_min_f16 v24, v20, v8
	v_pk_add_f16 v0, v13, v23
	v_pk_add_f16 v4, v9, v23
	v_pk_add_f16 v8, v5, v23
	;; [unrolled: 10-line block ×5, first 2 shown]
	v_pk_min_f16 v20, v130, v6
	v_pk_add_f16 v6, v13, v17
	v_pk_min_f16 v18, v137, v2
	v_pk_add_f16 v2, v13, v19
	v_pk_add_f16 v13, v9, v19
	v_pk_min_f16 v11, v141, v0
	v_pk_min_f16 v0, v145, v15
	v_add_nc_u32_e32 v15, 12, v122
	v_pk_min_f16 v12, v134, v6
	v_pk_add_f16 v6, v7, v17
	v_pk_min_f16 v9, v142, v2
	v_pk_min_f16 v2, v144, v13
	v_pk_add_f16 v5, v5, v19
	v_pk_add_f16 v13, v7, v19
	;; [unrolled: 1-line block ×4, first 2 shown]
	v_cmp_gt_i32_e64 s5, s18, v15
	v_pk_min_f16 v6, v139, v6
	v_pk_min_f16 v8, v143, v8
	;; [unrolled: 1-line block ×6, first 2 shown]
	s_and_b32 s6, s5, s14
	s_delay_alu instid0(SALU_CYCLE_1)
	s_and_saveexec_b32 s5, s6
	s_cbranch_execz .LBB262_31
; %bb.51:                               ;   in Loop: Header=BB262_32 Depth=1
	flat_load_u16 v120, v[32:33]
	s_branch .LBB262_31
.LBB262_52:
	s_clause 0x2
	s_load_b64 s[2:3], s[0:1], 0x70
	s_load_b32 s14, s[0:1], 0x50
	s_load_b32 s9, s[0:1], 0x68
	v_add_nc_u32_e32 v0, 0x800, v42
	v_add_nc_u32_e32 v83, s26, v39
	;; [unrolled: 1-line block ×4, first 2 shown]
	ds_load_2addr_b64 v[16:19], v0 offset1:32
	ds_load_2addr_b64 v[12:15], v0 offset0:64 offset1:96
	ds_load_2addr_b64 v[8:11], v0 offset0:128 offset1:160
	;; [unrolled: 1-line block ×7, first 2 shown]
	v_cmp_gt_i32_e64 s8, s17, v83
	v_cndmask_b32_e64 v76, 0, 1, s7
	v_cmp_gt_i32_e64 s0, s16, v32
	v_ashrrev_i32_e32 v33, 31, v32
	s_waitcnt lgkmcnt(0)
	s_mul_i32 s1, s15, s3
	v_mad_i64_i32 v[34:35], null, v83, s14, 0
	v_mad_i64_i32 v[36:37], null, v83, s9, 0
	s_mul_hi_u32 s3, s15, s2
	s_mul_i32 s4, s24, s2
	s_add_i32 s1, s3, s1
	s_mul_i32 s2, s15, s2
	s_delay_alu instid0(VALU_DEP_2) | instskip(SKIP_1) | instid1(VALU_DEP_2)
	v_lshlrev_b64 v[34:35], 1, v[34:35]
	s_add_i32 s3, s1, s4
	v_lshlrev_b64 v[36:37], 1, v[36:37]
	s_lshl_b64 s[2:3], s[2:3], 1
	s_delay_alu instid0(SALU_CYCLE_1) | instskip(NEXT) | instid1(VALU_DEP_2)
	s_add_u32 s10, s10, s2
	v_add_co_u32 v113, vcc_lo, s12, v34
	v_add_co_ci_u32_e32 v114, vcc_lo, s13, v35, vcc_lo
	s_addc_u32 s11, s11, s3
	v_add_co_u32 v111, vcc_lo, s10, v36
	v_add_co_ci_u32_e32 v112, vcc_lo, s11, v37, vcc_lo
	s_and_b32 s1, s0, s8
	s_delay_alu instid0(SALU_CYCLE_1) | instskip(NEXT) | instid1(SALU_CYCLE_1)
	s_and_saveexec_b32 s2, s1
	s_xor_b32 s1, exec_lo, s2
	s_cbranch_execz .LBB262_57
; %bb.53:
	s_and_not1_b32 vcc_lo, exec_lo, s7
	s_cbranch_vccnz .LBB262_55
; %bb.54:
	v_lshlrev_b64 v[34:35], 1, v[32:33]
	s_delay_alu instid0(VALU_DEP_1) | instskip(NEXT) | instid1(VALU_DEP_2)
	v_add_co_u32 v34, vcc_lo, v113, v34
	v_add_co_ci_u32_e32 v35, vcc_lo, v114, v35, vcc_lo
	flat_load_u16 v34, v[34:35]
	s_waitcnt vmcnt(0) lgkmcnt(0)
	v_mul_f16_e32 v34, s19, v34
	s_branch .LBB262_56
.LBB262_55:
	v_mov_b32_e32 v34, 0
.LBB262_56:
	v_pk_add_f16 v35, v16, v28
	v_pk_max_f16 v36, v110, v110
	v_pk_add_f16 v37, v17, v29
	s_delay_alu instid0(VALU_DEP_2) | instskip(NEXT) | instid1(VALU_DEP_1)
	v_pk_min_f16 v35, v36, v35
	v_pk_min_f16 v37, v35, v37
	v_lshlrev_b64 v[35:36], 1, v[32:33]
	s_delay_alu instid0(VALU_DEP_2) | instskip(NEXT) | instid1(VALU_DEP_1)
	v_lshrrev_b32_e32 v38, 16, v37
	v_min3_f16 v37, v34, v37, v38
	s_delay_alu instid0(VALU_DEP_3) | instskip(NEXT) | instid1(VALU_DEP_4)
	v_add_co_u32 v34, vcc_lo, v111, v35
	v_add_co_ci_u32_e32 v35, vcc_lo, v112, v36, vcc_lo
	global_store_b16 v[34:35], v37, off
.LBB262_57:
	s_or_b32 exec_lo, exec_lo, s1
	v_add_nc_u32_e32 v34, 32, v32
	s_delay_alu instid0(VALU_DEP_1) | instskip(SKIP_1) | instid1(VALU_DEP_2)
	v_cmp_gt_i32_e64 s1, s16, v34
	v_ashrrev_i32_e32 v35, 31, v34
	s_and_b32 s3, s1, s8
	s_delay_alu instid0(SALU_CYCLE_1)
	s_and_saveexec_b32 s2, s3
	s_cbranch_execz .LBB262_62
; %bb.58:
	v_cmp_ne_u32_e32 vcc_lo, 1, v76
	s_cbranch_vccnz .LBB262_60
; %bb.59:
	v_lshlrev_b64 v[36:37], 1, v[34:35]
	s_delay_alu instid0(VALU_DEP_1) | instskip(NEXT) | instid1(VALU_DEP_2)
	v_add_co_u32 v36, vcc_lo, v113, v36
	v_add_co_ci_u32_e32 v37, vcc_lo, v114, v37, vcc_lo
	flat_load_u16 v36, v[36:37]
	s_waitcnt vmcnt(0) lgkmcnt(0)
	v_mul_f16_e32 v36, s19, v36
	s_branch .LBB262_61
.LBB262_60:
	v_mov_b32_e32 v36, 0
.LBB262_61:
	v_pk_add_f16 v37, v18, v28
	v_pk_max_f16 v38, v109, v109
	v_pk_add_f16 v39, v19, v29
	s_delay_alu instid0(VALU_DEP_2) | instskip(NEXT) | instid1(VALU_DEP_1)
	v_pk_min_f16 v37, v38, v37
	v_pk_min_f16 v39, v37, v39
	v_lshlrev_b64 v[37:38], 1, v[34:35]
	s_delay_alu instid0(VALU_DEP_2) | instskip(NEXT) | instid1(VALU_DEP_1)
	v_lshrrev_b32_e32 v40, 16, v39
	v_min3_f16 v39, v36, v39, v40
	s_delay_alu instid0(VALU_DEP_3) | instskip(NEXT) | instid1(VALU_DEP_4)
	v_add_co_u32 v36, vcc_lo, v111, v37
	v_add_co_ci_u32_e32 v37, vcc_lo, v112, v38, vcc_lo
	global_store_b16 v[36:37], v39, off
.LBB262_62:
	s_or_b32 exec_lo, exec_lo, s2
	v_add_nc_u32_e32 v36, 64, v32
	s_delay_alu instid0(VALU_DEP_1) | instskip(SKIP_1) | instid1(VALU_DEP_2)
	v_cmp_gt_i32_e64 s2, s16, v36
	v_ashrrev_i32_e32 v37, 31, v36
	s_and_b32 s4, s2, s8
	s_delay_alu instid0(SALU_CYCLE_1)
	s_and_saveexec_b32 s3, s4
	s_cbranch_execz .LBB262_67
; %bb.63:
	v_cmp_ne_u32_e32 vcc_lo, 1, v76
	s_cbranch_vccnz .LBB262_65
; %bb.64:
	v_lshlrev_b64 v[38:39], 1, v[36:37]
	s_delay_alu instid0(VALU_DEP_1) | instskip(NEXT) | instid1(VALU_DEP_2)
	v_add_co_u32 v38, vcc_lo, v113, v38
	v_add_co_ci_u32_e32 v39, vcc_lo, v114, v39, vcc_lo
	flat_load_u16 v38, v[38:39]
	s_waitcnt vmcnt(0) lgkmcnt(0)
	v_mul_f16_e32 v38, s19, v38
	s_branch .LBB262_66
.LBB262_65:
	v_mov_b32_e32 v38, 0
.LBB262_66:
	v_pk_add_f16 v39, v12, v28
	v_pk_max_f16 v40, v108, v108
	v_pk_add_f16 v41, v13, v29
	s_delay_alu instid0(VALU_DEP_2) | instskip(NEXT) | instid1(VALU_DEP_1)
	v_pk_min_f16 v39, v40, v39
	v_pk_min_f16 v41, v39, v41
	v_lshlrev_b64 v[39:40], 1, v[36:37]
	s_delay_alu instid0(VALU_DEP_2) | instskip(NEXT) | instid1(VALU_DEP_1)
	v_lshrrev_b32_e32 v42, 16, v41
	v_min3_f16 v41, v38, v41, v42
	s_delay_alu instid0(VALU_DEP_3) | instskip(NEXT) | instid1(VALU_DEP_4)
	v_add_co_u32 v38, vcc_lo, v111, v39
	v_add_co_ci_u32_e32 v39, vcc_lo, v112, v40, vcc_lo
	global_store_b16 v[38:39], v41, off
.LBB262_67:
	;; [unrolled: 39-line block ×6, first 2 shown]
	s_or_b32 exec_lo, exec_lo, s7
	v_add_nc_u32_e32 v46, 0xe0, v32
	s_delay_alu instid0(VALU_DEP_1) | instskip(SKIP_1) | instid1(VALU_DEP_2)
	v_cmp_gt_i32_e64 s7, s16, v46
	v_ashrrev_i32_e32 v47, 31, v46
	s_and_b32 s15, s7, s8
	s_delay_alu instid0(SALU_CYCLE_1)
	s_and_saveexec_b32 s8, s15
	s_cbranch_execz .LBB262_92
; %bb.88:
	v_cmp_ne_u32_e32 vcc_lo, 1, v76
	s_cbranch_vccnz .LBB262_90
; %bb.89:
	v_lshlrev_b64 v[107:108], 1, v[46:47]
	s_delay_alu instid0(VALU_DEP_1) | instskip(NEXT) | instid1(VALU_DEP_2)
	v_add_co_u32 v107, vcc_lo, v113, v107
	v_add_co_ci_u32_e32 v108, vcc_lo, v114, v108, vcc_lo
	flat_load_u16 v107, v[107:108]
	s_waitcnt vmcnt(0) lgkmcnt(0)
	v_mul_f16_e32 v107, s19, v107
	s_branch .LBB262_91
.LBB262_90:
	v_mov_b32_e32 v107, 0
.LBB262_91:
	v_pk_add_f16 v28, v2, v28
	v_pk_max_f16 v106, v106, v106
	v_pk_add_f16 v29, v3, v29
	s_delay_alu instid0(VALU_DEP_2) | instskip(NEXT) | instid1(VALU_DEP_1)
	v_pk_min_f16 v28, v106, v28
	v_pk_min_f16 v106, v28, v29
	v_lshlrev_b64 v[28:29], 1, v[46:47]
	s_delay_alu instid0(VALU_DEP_2) | instskip(NEXT) | instid1(VALU_DEP_2)
	v_lshrrev_b32_e32 v108, 16, v106
	v_add_co_u32 v28, vcc_lo, v111, v28
	s_delay_alu instid0(VALU_DEP_3) | instskip(NEXT) | instid1(VALU_DEP_3)
	v_add_co_ci_u32_e32 v29, vcc_lo, v112, v29, vcc_lo
	v_min3_f16 v106, v107, v106, v108
	global_store_b16 v[28:29], v106, off
.LBB262_92:
	s_or_b32 exec_lo, exec_lo, s8
	v_add_nc_u32_e32 v108, 8, v83
	s_delay_alu instid0(VALU_DEP_1) | instskip(SKIP_2) | instid1(VALU_DEP_3)
	v_mad_i64_i32 v[28:29], null, v108, s14, 0
	v_mad_i64_i32 v[106:107], null, v108, s9, 0
	v_cmp_gt_i32_e64 s8, s17, v108
	v_lshlrev_b64 v[28:29], 1, v[28:29]
	s_delay_alu instid0(VALU_DEP_2) | instskip(NEXT) | instid1(VALU_DEP_3)
	s_and_b32 s16, s0, s8
	v_lshlrev_b64 v[108:109], 1, v[106:107]
	s_delay_alu instid0(VALU_DEP_2) | instskip(NEXT) | instid1(VALU_DEP_3)
	v_add_co_u32 v106, vcc_lo, s12, v28
	v_add_co_ci_u32_e32 v107, vcc_lo, s13, v29, vcc_lo
	s_delay_alu instid0(VALU_DEP_3) | instskip(NEXT) | instid1(VALU_DEP_4)
	v_add_co_u32 v28, vcc_lo, s10, v108
	v_add_co_ci_u32_e32 v29, vcc_lo, s11, v109, vcc_lo
	s_and_saveexec_b32 s15, s16
	s_cbranch_execnz .LBB262_100
; %bb.93:
	s_or_b32 exec_lo, exec_lo, s15
	s_and_b32 s16, s1, s8
	s_delay_alu instid0(SALU_CYCLE_1)
	s_and_saveexec_b32 s15, s16
	s_cbranch_execnz .LBB262_104
.LBB262_94:
	s_or_b32 exec_lo, exec_lo, s15
	s_and_b32 s16, s2, s8
	s_delay_alu instid0(SALU_CYCLE_1)
	s_and_saveexec_b32 s15, s16
	s_cbranch_execnz .LBB262_108
.LBB262_95:
	s_or_b32 exec_lo, exec_lo, s15
	s_and_b32 s16, s3, s8
	s_delay_alu instid0(SALU_CYCLE_1)
	s_and_saveexec_b32 s15, s16
	s_cbranch_execnz .LBB262_112
.LBB262_96:
	s_or_b32 exec_lo, exec_lo, s15
	s_and_b32 s16, s4, s8
	s_delay_alu instid0(SALU_CYCLE_1)
	s_and_saveexec_b32 s15, s16
	s_cbranch_execnz .LBB262_116
.LBB262_97:
	s_or_b32 exec_lo, exec_lo, s15
	s_and_b32 s16, s5, s8
	s_delay_alu instid0(SALU_CYCLE_1)
	s_and_saveexec_b32 s15, s16
	s_cbranch_execnz .LBB262_120
.LBB262_98:
	s_or_b32 exec_lo, exec_lo, s15
	s_and_b32 s16, s6, s8
	s_delay_alu instid0(SALU_CYCLE_1)
	s_and_saveexec_b32 s15, s16
	s_cbranch_execnz .LBB262_124
.LBB262_99:
	s_or_b32 exec_lo, exec_lo, s15
	s_and_b32 s15, s7, s8
	s_delay_alu instid0(SALU_CYCLE_1)
	s_and_saveexec_b32 s8, s15
	s_cbranch_execnz .LBB262_128
	s_branch .LBB262_132
.LBB262_100:
	v_cmp_ne_u32_e32 vcc_lo, 1, v76
	s_cbranch_vccnz .LBB262_102
; %bb.101:
	v_lshlrev_b64 v[108:109], 1, v[32:33]
	s_delay_alu instid0(VALU_DEP_1) | instskip(NEXT) | instid1(VALU_DEP_2)
	v_add_co_u32 v108, vcc_lo, v106, v108
	v_add_co_ci_u32_e32 v109, vcc_lo, v107, v109, vcc_lo
	flat_load_u16 v108, v[108:109]
	s_waitcnt vmcnt(0) lgkmcnt(0)
	v_mul_f16_e32 v108, s19, v108
	s_branch .LBB262_103
.LBB262_102:
	v_mov_b32_e32 v108, 0
.LBB262_103:
	v_pk_add_f16 v109, v16, v30
	v_pk_max_f16 v105, v105, v105
	v_pk_add_f16 v110, v17, v31
	s_delay_alu instid0(VALU_DEP_2) | instskip(NEXT) | instid1(VALU_DEP_1)
	v_pk_min_f16 v105, v105, v109
	v_pk_min_f16 v105, v105, v110
	v_lshlrev_b64 v[109:110], 1, v[32:33]
	s_delay_alu instid0(VALU_DEP_2) | instskip(NEXT) | instid1(VALU_DEP_1)
	v_lshrrev_b32_e32 v111, 16, v105
	v_min3_f16 v105, v108, v105, v111
	s_delay_alu instid0(VALU_DEP_3) | instskip(NEXT) | instid1(VALU_DEP_4)
	v_add_co_u32 v108, vcc_lo, v28, v109
	v_add_co_ci_u32_e32 v109, vcc_lo, v29, v110, vcc_lo
	global_store_b16 v[108:109], v105, off
	s_or_b32 exec_lo, exec_lo, s15
	s_and_b32 s16, s1, s8
	s_delay_alu instid0(SALU_CYCLE_1)
	s_and_saveexec_b32 s15, s16
	s_cbranch_execz .LBB262_94
.LBB262_104:
	v_cmp_ne_u32_e32 vcc_lo, 1, v76
	s_cbranch_vccnz .LBB262_106
; %bb.105:
	v_lshlrev_b64 v[108:109], 1, v[34:35]
	s_delay_alu instid0(VALU_DEP_1) | instskip(NEXT) | instid1(VALU_DEP_2)
	v_add_co_u32 v108, vcc_lo, v106, v108
	v_add_co_ci_u32_e32 v109, vcc_lo, v107, v109, vcc_lo
	flat_load_u16 v105, v[108:109]
	s_waitcnt vmcnt(0) lgkmcnt(0)
	v_mul_f16_e32 v105, s19, v105
	s_branch .LBB262_107
.LBB262_106:
	v_mov_b32_e32 v105, 0
.LBB262_107:
	v_pk_add_f16 v108, v18, v30
	v_pk_max_f16 v104, v104, v104
	v_pk_add_f16 v109, v19, v31
	s_delay_alu instid0(VALU_DEP_2) | instskip(NEXT) | instid1(VALU_DEP_1)
	v_pk_min_f16 v104, v104, v108
	v_pk_min_f16 v104, v104, v109
	v_lshlrev_b64 v[108:109], 1, v[34:35]
	s_delay_alu instid0(VALU_DEP_2) | instskip(NEXT) | instid1(VALU_DEP_1)
	v_lshrrev_b32_e32 v110, 16, v104
	v_min3_f16 v110, v105, v104, v110
	s_delay_alu instid0(VALU_DEP_3) | instskip(NEXT) | instid1(VALU_DEP_4)
	v_add_co_u32 v104, vcc_lo, v28, v108
	v_add_co_ci_u32_e32 v105, vcc_lo, v29, v109, vcc_lo
	global_store_b16 v[104:105], v110, off
	s_or_b32 exec_lo, exec_lo, s15
	s_and_b32 s16, s2, s8
	s_delay_alu instid0(SALU_CYCLE_1)
	s_and_saveexec_b32 s15, s16
	s_cbranch_execz .LBB262_95
.LBB262_108:
	v_cmp_ne_u32_e32 vcc_lo, 1, v76
	s_cbranch_vccnz .LBB262_110
; %bb.109:
	v_lshlrev_b64 v[104:105], 1, v[36:37]
	s_delay_alu instid0(VALU_DEP_1) | instskip(NEXT) | instid1(VALU_DEP_2)
	v_add_co_u32 v104, vcc_lo, v106, v104
	v_add_co_ci_u32_e32 v105, vcc_lo, v107, v105, vcc_lo
	flat_load_u16 v104, v[104:105]
	s_waitcnt vmcnt(0) lgkmcnt(0)
	v_mul_f16_e32 v104, s19, v104
	s_branch .LBB262_111
.LBB262_110:
	v_mov_b32_e32 v104, 0
.LBB262_111:
	v_pk_add_f16 v105, v12, v30
	v_pk_max_f16 v103, v103, v103
	v_pk_add_f16 v108, v13, v31
	s_delay_alu instid0(VALU_DEP_2) | instskip(NEXT) | instid1(VALU_DEP_1)
	v_pk_min_f16 v103, v103, v105
	v_pk_min_f16 v103, v103, v108
	v_lshlrev_b64 v[108:109], 1, v[36:37]
	s_delay_alu instid0(VALU_DEP_2) | instskip(NEXT) | instid1(VALU_DEP_1)
	v_lshrrev_b32_e32 v105, 16, v103
	v_min3_f16 v105, v104, v103, v105
	s_delay_alu instid0(VALU_DEP_3) | instskip(NEXT) | instid1(VALU_DEP_4)
	v_add_co_u32 v103, vcc_lo, v28, v108
	v_add_co_ci_u32_e32 v104, vcc_lo, v29, v109, vcc_lo
	global_store_b16 v[103:104], v105, off
	s_or_b32 exec_lo, exec_lo, s15
	s_and_b32 s16, s3, s8
	s_delay_alu instid0(SALU_CYCLE_1)
	s_and_saveexec_b32 s15, s16
	s_cbranch_execz .LBB262_96
.LBB262_112:
	v_cmp_ne_u32_e32 vcc_lo, 1, v76
	s_cbranch_vccnz .LBB262_114
; %bb.113:
	v_lshlrev_b64 v[103:104], 1, v[38:39]
	s_delay_alu instid0(VALU_DEP_1) | instskip(NEXT) | instid1(VALU_DEP_2)
	v_add_co_u32 v103, vcc_lo, v106, v103
	v_add_co_ci_u32_e32 v104, vcc_lo, v107, v104, vcc_lo
	flat_load_u16 v103, v[103:104]
	s_waitcnt vmcnt(0) lgkmcnt(0)
	v_mul_f16_e32 v103, s19, v103
	s_branch .LBB262_115
.LBB262_114:
	v_mov_b32_e32 v103, 0
.LBB262_115:
	v_pk_add_f16 v104, v14, v30
	v_pk_max_f16 v102, v102, v102
	v_pk_add_f16 v105, v15, v31
	s_delay_alu instid0(VALU_DEP_2) | instskip(NEXT) | instid1(VALU_DEP_1)
	v_pk_min_f16 v102, v102, v104
	v_pk_min_f16 v102, v102, v105
	v_lshlrev_b64 v[104:105], 1, v[38:39]
	s_delay_alu instid0(VALU_DEP_2) | instskip(NEXT) | instid1(VALU_DEP_1)
	v_lshrrev_b32_e32 v108, 16, v102
	v_min3_f16 v108, v103, v102, v108
	s_delay_alu instid0(VALU_DEP_3) | instskip(NEXT) | instid1(VALU_DEP_4)
	v_add_co_u32 v102, vcc_lo, v28, v104
	v_add_co_ci_u32_e32 v103, vcc_lo, v29, v105, vcc_lo
	global_store_b16 v[102:103], v108, off
	s_or_b32 exec_lo, exec_lo, s15
	s_and_b32 s16, s4, s8
	s_delay_alu instid0(SALU_CYCLE_1)
	s_and_saveexec_b32 s15, s16
	s_cbranch_execz .LBB262_97
.LBB262_116:
	v_cmp_ne_u32_e32 vcc_lo, 1, v76
	s_cbranch_vccnz .LBB262_118
; %bb.117:
	v_lshlrev_b64 v[102:103], 1, v[40:41]
	s_delay_alu instid0(VALU_DEP_1) | instskip(NEXT) | instid1(VALU_DEP_2)
	v_add_co_u32 v102, vcc_lo, v106, v102
	v_add_co_ci_u32_e32 v103, vcc_lo, v107, v103, vcc_lo
	flat_load_u16 v102, v[102:103]
	s_waitcnt vmcnt(0) lgkmcnt(0)
	v_mul_f16_e32 v102, s19, v102
	s_branch .LBB262_119
.LBB262_118:
	v_mov_b32_e32 v102, 0
.LBB262_119:
	v_pk_add_f16 v103, v8, v30
	v_pk_max_f16 v101, v101, v101
	v_pk_add_f16 v104, v9, v31
	s_delay_alu instid0(VALU_DEP_2) | instskip(NEXT) | instid1(VALU_DEP_1)
	v_pk_min_f16 v101, v101, v103
	v_pk_min_f16 v101, v101, v104
	v_lshlrev_b64 v[103:104], 1, v[40:41]
	s_delay_alu instid0(VALU_DEP_2) | instskip(NEXT) | instid1(VALU_DEP_1)
	v_lshrrev_b32_e32 v105, 16, v101
	v_min3_f16 v105, v102, v101, v105
	s_delay_alu instid0(VALU_DEP_3) | instskip(NEXT) | instid1(VALU_DEP_4)
	v_add_co_u32 v101, vcc_lo, v28, v103
	v_add_co_ci_u32_e32 v102, vcc_lo, v29, v104, vcc_lo
	global_store_b16 v[101:102], v105, off
	s_or_b32 exec_lo, exec_lo, s15
	s_and_b32 s16, s5, s8
	s_delay_alu instid0(SALU_CYCLE_1)
	s_and_saveexec_b32 s15, s16
	s_cbranch_execz .LBB262_98
.LBB262_120:
	v_cmp_ne_u32_e32 vcc_lo, 1, v76
	s_cbranch_vccnz .LBB262_122
; %bb.121:
	v_lshlrev_b64 v[101:102], 1, v[42:43]
	s_delay_alu instid0(VALU_DEP_1) | instskip(NEXT) | instid1(VALU_DEP_2)
	v_add_co_u32 v101, vcc_lo, v106, v101
	v_add_co_ci_u32_e32 v102, vcc_lo, v107, v102, vcc_lo
	flat_load_u16 v101, v[101:102]
	s_waitcnt vmcnt(0) lgkmcnt(0)
	v_mul_f16_e32 v101, s19, v101
	s_branch .LBB262_123
.LBB262_122:
	v_mov_b32_e32 v101, 0
.LBB262_123:
	v_pk_add_f16 v102, v10, v30
	v_pk_max_f16 v100, v100, v100
	v_pk_add_f16 v103, v11, v31
	s_delay_alu instid0(VALU_DEP_2) | instskip(NEXT) | instid1(VALU_DEP_1)
	v_pk_min_f16 v100, v100, v102
	v_pk_min_f16 v100, v100, v103
	v_lshlrev_b64 v[102:103], 1, v[42:43]
	s_delay_alu instid0(VALU_DEP_2) | instskip(NEXT) | instid1(VALU_DEP_1)
	v_lshrrev_b32_e32 v104, 16, v100
	v_min3_f16 v104, v101, v100, v104
	s_delay_alu instid0(VALU_DEP_3) | instskip(NEXT) | instid1(VALU_DEP_4)
	v_add_co_u32 v100, vcc_lo, v28, v102
	v_add_co_ci_u32_e32 v101, vcc_lo, v29, v103, vcc_lo
	global_store_b16 v[100:101], v104, off
	s_or_b32 exec_lo, exec_lo, s15
	s_and_b32 s16, s6, s8
	s_delay_alu instid0(SALU_CYCLE_1)
	s_and_saveexec_b32 s15, s16
	s_cbranch_execz .LBB262_99
.LBB262_124:
	v_cmp_ne_u32_e32 vcc_lo, 1, v76
	s_cbranch_vccnz .LBB262_126
; %bb.125:
	v_lshlrev_b64 v[100:101], 1, v[44:45]
	s_delay_alu instid0(VALU_DEP_1) | instskip(NEXT) | instid1(VALU_DEP_2)
	v_add_co_u32 v100, vcc_lo, v106, v100
	v_add_co_ci_u32_e32 v101, vcc_lo, v107, v101, vcc_lo
	flat_load_u16 v100, v[100:101]
	s_waitcnt vmcnt(0) lgkmcnt(0)
	v_mul_f16_e32 v100, s19, v100
	s_branch .LBB262_127
.LBB262_126:
	v_mov_b32_e32 v100, 0
.LBB262_127:
	v_pk_add_f16 v101, v0, v30
	v_pk_max_f16 v99, v99, v99
	v_pk_add_f16 v102, v1, v31
	s_delay_alu instid0(VALU_DEP_2) | instskip(NEXT) | instid1(VALU_DEP_1)
	v_pk_min_f16 v99, v99, v101
	v_pk_min_f16 v99, v99, v102
	v_lshlrev_b64 v[101:102], 1, v[44:45]
	s_delay_alu instid0(VALU_DEP_2) | instskip(NEXT) | instid1(VALU_DEP_1)
	v_lshrrev_b32_e32 v103, 16, v99
	v_min3_f16 v103, v100, v99, v103
	s_delay_alu instid0(VALU_DEP_3) | instskip(NEXT) | instid1(VALU_DEP_4)
	v_add_co_u32 v99, vcc_lo, v28, v101
	v_add_co_ci_u32_e32 v100, vcc_lo, v29, v102, vcc_lo
	global_store_b16 v[99:100], v103, off
	s_or_b32 exec_lo, exec_lo, s15
	s_and_b32 s15, s7, s8
	s_delay_alu instid0(SALU_CYCLE_1)
	s_and_saveexec_b32 s8, s15
	s_cbranch_execz .LBB262_132
.LBB262_128:
	v_cmp_ne_u32_e32 vcc_lo, 1, v76
	s_cbranch_vccnz .LBB262_130
; %bb.129:
	v_lshlrev_b64 v[99:100], 1, v[46:47]
	s_delay_alu instid0(VALU_DEP_1) | instskip(NEXT) | instid1(VALU_DEP_2)
	v_add_co_u32 v99, vcc_lo, v106, v99
	v_add_co_ci_u32_e32 v100, vcc_lo, v107, v100, vcc_lo
	flat_load_u16 v99, v[99:100]
	s_waitcnt vmcnt(0) lgkmcnt(0)
	v_mul_f16_e32 v99, s19, v99
	s_branch .LBB262_131
.LBB262_130:
	v_mov_b32_e32 v99, 0
.LBB262_131:
	v_pk_add_f16 v30, v2, v30
	v_pk_max_f16 v98, v98, v98
	v_pk_add_f16 v31, v3, v31
	s_delay_alu instid0(VALU_DEP_2) | instskip(NEXT) | instid1(VALU_DEP_1)
	v_pk_min_f16 v30, v98, v30
	v_pk_min_f16 v98, v30, v31
	v_lshlrev_b64 v[30:31], 1, v[46:47]
	s_delay_alu instid0(VALU_DEP_2) | instskip(NEXT) | instid1(VALU_DEP_2)
	v_lshrrev_b32_e32 v100, 16, v98
	v_add_co_u32 v28, vcc_lo, v28, v30
	s_delay_alu instid0(VALU_DEP_3) | instskip(NEXT) | instid1(VALU_DEP_3)
	v_add_co_ci_u32_e32 v29, vcc_lo, v29, v31, vcc_lo
	v_min3_f16 v98, v99, v98, v100
	global_store_b16 v[28:29], v98, off
.LBB262_132:
	s_or_b32 exec_lo, exec_lo, s8
	v_add_nc_u32_e32 v98, 16, v83
	s_delay_alu instid0(VALU_DEP_1) | instskip(SKIP_2) | instid1(VALU_DEP_3)
	v_mad_i64_i32 v[28:29], null, v98, s14, 0
	v_mad_i64_i32 v[30:31], null, v98, s9, 0
	v_cmp_gt_i32_e64 s8, s17, v98
	v_lshlrev_b64 v[28:29], 1, v[28:29]
	s_delay_alu instid0(VALU_DEP_2) | instskip(NEXT) | instid1(VALU_DEP_3)
	s_and_b32 s16, s0, s8
	v_lshlrev_b64 v[98:99], 1, v[30:31]
	s_delay_alu instid0(VALU_DEP_2) | instskip(NEXT) | instid1(VALU_DEP_3)
	v_add_co_u32 v30, vcc_lo, s12, v28
	v_add_co_ci_u32_e32 v31, vcc_lo, s13, v29, vcc_lo
	s_delay_alu instid0(VALU_DEP_3) | instskip(NEXT) | instid1(VALU_DEP_4)
	v_add_co_u32 v28, vcc_lo, s10, v98
	v_add_co_ci_u32_e32 v29, vcc_lo, s11, v99, vcc_lo
	s_and_saveexec_b32 s15, s16
	s_cbranch_execnz .LBB262_140
; %bb.133:
	s_or_b32 exec_lo, exec_lo, s15
	s_and_b32 s16, s1, s8
	s_delay_alu instid0(SALU_CYCLE_1)
	s_and_saveexec_b32 s15, s16
	s_cbranch_execnz .LBB262_144
.LBB262_134:
	s_or_b32 exec_lo, exec_lo, s15
	s_and_b32 s16, s2, s8
	s_delay_alu instid0(SALU_CYCLE_1)
	s_and_saveexec_b32 s15, s16
	s_cbranch_execnz .LBB262_148
.LBB262_135:
	s_or_b32 exec_lo, exec_lo, s15
	s_and_b32 s16, s3, s8
	s_delay_alu instid0(SALU_CYCLE_1)
	s_and_saveexec_b32 s15, s16
	s_cbranch_execnz .LBB262_152
.LBB262_136:
	s_or_b32 exec_lo, exec_lo, s15
	s_and_b32 s16, s4, s8
	s_delay_alu instid0(SALU_CYCLE_1)
	s_and_saveexec_b32 s15, s16
	s_cbranch_execnz .LBB262_156
.LBB262_137:
	s_or_b32 exec_lo, exec_lo, s15
	s_and_b32 s16, s5, s8
	s_delay_alu instid0(SALU_CYCLE_1)
	s_and_saveexec_b32 s15, s16
	s_cbranch_execnz .LBB262_160
.LBB262_138:
	s_or_b32 exec_lo, exec_lo, s15
	s_and_b32 s16, s6, s8
	s_delay_alu instid0(SALU_CYCLE_1)
	s_and_saveexec_b32 s15, s16
	s_cbranch_execnz .LBB262_164
.LBB262_139:
	s_or_b32 exec_lo, exec_lo, s15
	s_and_b32 s15, s7, s8
	s_delay_alu instid0(SALU_CYCLE_1)
	s_and_saveexec_b32 s8, s15
	s_cbranch_execnz .LBB262_168
	s_branch .LBB262_172
.LBB262_140:
	v_cmp_ne_u32_e32 vcc_lo, 1, v76
	s_cbranch_vccnz .LBB262_142
; %bb.141:
	v_lshlrev_b64 v[98:99], 1, v[32:33]
	s_delay_alu instid0(VALU_DEP_1) | instskip(NEXT) | instid1(VALU_DEP_2)
	v_add_co_u32 v98, vcc_lo, v30, v98
	v_add_co_ci_u32_e32 v99, vcc_lo, v31, v99, vcc_lo
	flat_load_u16 v98, v[98:99]
	s_waitcnt vmcnt(0) lgkmcnt(0)
	v_mul_f16_e32 v98, s19, v98
	s_branch .LBB262_143
.LBB262_142:
	v_mov_b32_e32 v98, 0
.LBB262_143:
	v_pk_add_f16 v99, v16, v24
	v_pk_max_f16 v97, v97, v97
	v_pk_add_f16 v100, v17, v25
	s_delay_alu instid0(VALU_DEP_2) | instskip(NEXT) | instid1(VALU_DEP_1)
	v_pk_min_f16 v97, v97, v99
	v_pk_min_f16 v97, v97, v100
	v_lshlrev_b64 v[99:100], 1, v[32:33]
	s_delay_alu instid0(VALU_DEP_2) | instskip(NEXT) | instid1(VALU_DEP_1)
	v_lshrrev_b32_e32 v101, 16, v97
	v_min3_f16 v101, v98, v97, v101
	s_delay_alu instid0(VALU_DEP_3) | instskip(NEXT) | instid1(VALU_DEP_4)
	v_add_co_u32 v97, vcc_lo, v28, v99
	v_add_co_ci_u32_e32 v98, vcc_lo, v29, v100, vcc_lo
	global_store_b16 v[97:98], v101, off
	s_or_b32 exec_lo, exec_lo, s15
	s_and_b32 s16, s1, s8
	s_delay_alu instid0(SALU_CYCLE_1)
	s_and_saveexec_b32 s15, s16
	s_cbranch_execz .LBB262_134
.LBB262_144:
	v_cmp_ne_u32_e32 vcc_lo, 1, v76
	s_cbranch_vccnz .LBB262_146
; %bb.145:
	v_lshlrev_b64 v[97:98], 1, v[34:35]
	s_delay_alu instid0(VALU_DEP_1) | instskip(NEXT) | instid1(VALU_DEP_2)
	v_add_co_u32 v97, vcc_lo, v30, v97
	v_add_co_ci_u32_e32 v98, vcc_lo, v31, v98, vcc_lo
	flat_load_u16 v97, v[97:98]
	s_waitcnt vmcnt(0) lgkmcnt(0)
	v_mul_f16_e32 v97, s19, v97
	s_branch .LBB262_147
.LBB262_146:
	v_mov_b32_e32 v97, 0
.LBB262_147:
	v_pk_add_f16 v98, v18, v24
	v_pk_max_f16 v96, v96, v96
	v_pk_add_f16 v99, v19, v25
	s_delay_alu instid0(VALU_DEP_2) | instskip(NEXT) | instid1(VALU_DEP_1)
	v_pk_min_f16 v96, v96, v98
	v_pk_min_f16 v96, v96, v99
	v_lshlrev_b64 v[98:99], 1, v[34:35]
	s_delay_alu instid0(VALU_DEP_2) | instskip(NEXT) | instid1(VALU_DEP_1)
	v_lshrrev_b32_e32 v100, 16, v96
	v_min3_f16 v100, v97, v96, v100
	s_delay_alu instid0(VALU_DEP_3) | instskip(NEXT) | instid1(VALU_DEP_4)
	v_add_co_u32 v96, vcc_lo, v28, v98
	v_add_co_ci_u32_e32 v97, vcc_lo, v29, v99, vcc_lo
	global_store_b16 v[96:97], v100, off
	s_or_b32 exec_lo, exec_lo, s15
	s_and_b32 s16, s2, s8
	s_delay_alu instid0(SALU_CYCLE_1)
	s_and_saveexec_b32 s15, s16
	s_cbranch_execz .LBB262_135
.LBB262_148:
	v_cmp_ne_u32_e32 vcc_lo, 1, v76
	s_cbranch_vccnz .LBB262_150
; %bb.149:
	v_lshlrev_b64 v[96:97], 1, v[36:37]
	s_delay_alu instid0(VALU_DEP_1) | instskip(NEXT) | instid1(VALU_DEP_2)
	v_add_co_u32 v96, vcc_lo, v30, v96
	v_add_co_ci_u32_e32 v97, vcc_lo, v31, v97, vcc_lo
	flat_load_u16 v96, v[96:97]
	s_waitcnt vmcnt(0) lgkmcnt(0)
	v_mul_f16_e32 v96, s19, v96
	s_branch .LBB262_151
.LBB262_150:
	v_mov_b32_e32 v96, 0
.LBB262_151:
	v_pk_add_f16 v97, v12, v24
	v_pk_max_f16 v95, v95, v95
	v_pk_add_f16 v98, v13, v25
	s_delay_alu instid0(VALU_DEP_2) | instskip(NEXT) | instid1(VALU_DEP_1)
	v_pk_min_f16 v95, v95, v97
	v_pk_min_f16 v95, v95, v98
	v_lshlrev_b64 v[97:98], 1, v[36:37]
	s_delay_alu instid0(VALU_DEP_2) | instskip(NEXT) | instid1(VALU_DEP_1)
	v_lshrrev_b32_e32 v99, 16, v95
	v_min3_f16 v99, v96, v95, v99
	s_delay_alu instid0(VALU_DEP_3) | instskip(NEXT) | instid1(VALU_DEP_4)
	v_add_co_u32 v95, vcc_lo, v28, v97
	v_add_co_ci_u32_e32 v96, vcc_lo, v29, v98, vcc_lo
	global_store_b16 v[95:96], v99, off
	s_or_b32 exec_lo, exec_lo, s15
	s_and_b32 s16, s3, s8
	s_delay_alu instid0(SALU_CYCLE_1)
	s_and_saveexec_b32 s15, s16
	s_cbranch_execz .LBB262_136
.LBB262_152:
	v_cmp_ne_u32_e32 vcc_lo, 1, v76
	s_cbranch_vccnz .LBB262_154
; %bb.153:
	v_lshlrev_b64 v[95:96], 1, v[38:39]
	s_delay_alu instid0(VALU_DEP_1) | instskip(NEXT) | instid1(VALU_DEP_2)
	v_add_co_u32 v95, vcc_lo, v30, v95
	v_add_co_ci_u32_e32 v96, vcc_lo, v31, v96, vcc_lo
	flat_load_u16 v95, v[95:96]
	s_waitcnt vmcnt(0) lgkmcnt(0)
	v_mul_f16_e32 v95, s19, v95
	s_branch .LBB262_155
.LBB262_154:
	v_mov_b32_e32 v95, 0
.LBB262_155:
	v_pk_add_f16 v96, v14, v24
	v_pk_max_f16 v94, v94, v94
	v_pk_add_f16 v97, v15, v25
	s_delay_alu instid0(VALU_DEP_2) | instskip(NEXT) | instid1(VALU_DEP_1)
	v_pk_min_f16 v94, v94, v96
	v_pk_min_f16 v94, v94, v97
	v_lshlrev_b64 v[96:97], 1, v[38:39]
	s_delay_alu instid0(VALU_DEP_2) | instskip(NEXT) | instid1(VALU_DEP_1)
	v_lshrrev_b32_e32 v98, 16, v94
	v_min3_f16 v98, v95, v94, v98
	s_delay_alu instid0(VALU_DEP_3) | instskip(NEXT) | instid1(VALU_DEP_4)
	v_add_co_u32 v94, vcc_lo, v28, v96
	v_add_co_ci_u32_e32 v95, vcc_lo, v29, v97, vcc_lo
	global_store_b16 v[94:95], v98, off
	s_or_b32 exec_lo, exec_lo, s15
	s_and_b32 s16, s4, s8
	s_delay_alu instid0(SALU_CYCLE_1)
	s_and_saveexec_b32 s15, s16
	s_cbranch_execz .LBB262_137
.LBB262_156:
	v_cmp_ne_u32_e32 vcc_lo, 1, v76
	s_cbranch_vccnz .LBB262_158
; %bb.157:
	v_lshlrev_b64 v[94:95], 1, v[40:41]
	s_delay_alu instid0(VALU_DEP_1) | instskip(NEXT) | instid1(VALU_DEP_2)
	v_add_co_u32 v94, vcc_lo, v30, v94
	v_add_co_ci_u32_e32 v95, vcc_lo, v31, v95, vcc_lo
	flat_load_u16 v94, v[94:95]
	s_waitcnt vmcnt(0) lgkmcnt(0)
	v_mul_f16_e32 v94, s19, v94
	s_branch .LBB262_159
.LBB262_158:
	v_mov_b32_e32 v94, 0
.LBB262_159:
	v_pk_add_f16 v95, v8, v24
	v_pk_max_f16 v93, v93, v93
	v_pk_add_f16 v96, v9, v25
	s_delay_alu instid0(VALU_DEP_2) | instskip(NEXT) | instid1(VALU_DEP_1)
	v_pk_min_f16 v93, v93, v95
	v_pk_min_f16 v93, v93, v96
	v_lshlrev_b64 v[95:96], 1, v[40:41]
	s_delay_alu instid0(VALU_DEP_2) | instskip(NEXT) | instid1(VALU_DEP_1)
	v_lshrrev_b32_e32 v97, 16, v93
	v_min3_f16 v97, v94, v93, v97
	s_delay_alu instid0(VALU_DEP_3) | instskip(NEXT) | instid1(VALU_DEP_4)
	v_add_co_u32 v93, vcc_lo, v28, v95
	v_add_co_ci_u32_e32 v94, vcc_lo, v29, v96, vcc_lo
	global_store_b16 v[93:94], v97, off
	s_or_b32 exec_lo, exec_lo, s15
	s_and_b32 s16, s5, s8
	s_delay_alu instid0(SALU_CYCLE_1)
	s_and_saveexec_b32 s15, s16
	s_cbranch_execz .LBB262_138
.LBB262_160:
	v_cmp_ne_u32_e32 vcc_lo, 1, v76
	s_cbranch_vccnz .LBB262_162
; %bb.161:
	v_lshlrev_b64 v[93:94], 1, v[42:43]
	s_delay_alu instid0(VALU_DEP_1) | instskip(NEXT) | instid1(VALU_DEP_2)
	v_add_co_u32 v93, vcc_lo, v30, v93
	v_add_co_ci_u32_e32 v94, vcc_lo, v31, v94, vcc_lo
	flat_load_u16 v93, v[93:94]
	s_waitcnt vmcnt(0) lgkmcnt(0)
	v_mul_f16_e32 v93, s19, v93
	s_branch .LBB262_163
.LBB262_162:
	v_mov_b32_e32 v93, 0
.LBB262_163:
	v_pk_add_f16 v94, v10, v24
	v_pk_max_f16 v92, v92, v92
	v_pk_add_f16 v95, v11, v25
	s_delay_alu instid0(VALU_DEP_2) | instskip(NEXT) | instid1(VALU_DEP_1)
	v_pk_min_f16 v92, v92, v94
	v_pk_min_f16 v92, v92, v95
	v_lshlrev_b64 v[94:95], 1, v[42:43]
	s_delay_alu instid0(VALU_DEP_2) | instskip(NEXT) | instid1(VALU_DEP_1)
	v_lshrrev_b32_e32 v96, 16, v92
	v_min3_f16 v96, v93, v92, v96
	s_delay_alu instid0(VALU_DEP_3) | instskip(NEXT) | instid1(VALU_DEP_4)
	v_add_co_u32 v92, vcc_lo, v28, v94
	v_add_co_ci_u32_e32 v93, vcc_lo, v29, v95, vcc_lo
	global_store_b16 v[92:93], v96, off
	s_or_b32 exec_lo, exec_lo, s15
	s_and_b32 s16, s6, s8
	s_delay_alu instid0(SALU_CYCLE_1)
	s_and_saveexec_b32 s15, s16
	s_cbranch_execz .LBB262_139
.LBB262_164:
	v_cmp_ne_u32_e32 vcc_lo, 1, v76
	s_cbranch_vccnz .LBB262_166
; %bb.165:
	v_lshlrev_b64 v[92:93], 1, v[44:45]
	s_delay_alu instid0(VALU_DEP_1) | instskip(NEXT) | instid1(VALU_DEP_2)
	v_add_co_u32 v92, vcc_lo, v30, v92
	v_add_co_ci_u32_e32 v93, vcc_lo, v31, v93, vcc_lo
	flat_load_u16 v92, v[92:93]
	s_waitcnt vmcnt(0) lgkmcnt(0)
	v_mul_f16_e32 v92, s19, v92
	s_branch .LBB262_167
.LBB262_166:
	v_mov_b32_e32 v92, 0
.LBB262_167:
	v_pk_add_f16 v93, v0, v24
	v_pk_max_f16 v91, v91, v91
	v_pk_add_f16 v94, v1, v25
	s_delay_alu instid0(VALU_DEP_2) | instskip(NEXT) | instid1(VALU_DEP_1)
	v_pk_min_f16 v91, v91, v93
	v_pk_min_f16 v91, v91, v94
	v_lshlrev_b64 v[93:94], 1, v[44:45]
	s_delay_alu instid0(VALU_DEP_2) | instskip(NEXT) | instid1(VALU_DEP_1)
	v_lshrrev_b32_e32 v95, 16, v91
	v_min3_f16 v95, v92, v91, v95
	s_delay_alu instid0(VALU_DEP_3) | instskip(NEXT) | instid1(VALU_DEP_4)
	v_add_co_u32 v91, vcc_lo, v28, v93
	v_add_co_ci_u32_e32 v92, vcc_lo, v29, v94, vcc_lo
	global_store_b16 v[91:92], v95, off
	s_or_b32 exec_lo, exec_lo, s15
	s_and_b32 s15, s7, s8
	s_delay_alu instid0(SALU_CYCLE_1)
	s_and_saveexec_b32 s8, s15
	s_cbranch_execz .LBB262_172
.LBB262_168:
	v_cmp_ne_u32_e32 vcc_lo, 1, v76
	s_cbranch_vccnz .LBB262_170
; %bb.169:
	v_lshlrev_b64 v[91:92], 1, v[46:47]
	s_delay_alu instid0(VALU_DEP_1) | instskip(NEXT) | instid1(VALU_DEP_2)
	v_add_co_u32 v30, vcc_lo, v30, v91
	v_add_co_ci_u32_e32 v31, vcc_lo, v31, v92, vcc_lo
	flat_load_u16 v30, v[30:31]
	s_waitcnt vmcnt(0) lgkmcnt(0)
	v_mul_f16_e32 v30, s19, v30
	s_branch .LBB262_171
.LBB262_170:
	v_mov_b32_e32 v30, 0
.LBB262_171:
	v_pk_add_f16 v24, v2, v24
	v_pk_max_f16 v31, v90, v90
	v_pk_add_f16 v25, v3, v25
	s_delay_alu instid0(VALU_DEP_2) | instskip(NEXT) | instid1(VALU_DEP_1)
	v_pk_min_f16 v24, v31, v24
	v_pk_min_f16 v31, v24, v25
	v_lshlrev_b64 v[24:25], 1, v[46:47]
	s_delay_alu instid0(VALU_DEP_2) | instskip(NEXT) | instid1(VALU_DEP_2)
	v_lshrrev_b32_e32 v90, 16, v31
	v_add_co_u32 v24, vcc_lo, v28, v24
	s_delay_alu instid0(VALU_DEP_3) | instskip(NEXT) | instid1(VALU_DEP_3)
	v_add_co_ci_u32_e32 v25, vcc_lo, v29, v25, vcc_lo
	v_min3_f16 v30, v30, v31, v90
	global_store_b16 v[24:25], v30, off
.LBB262_172:
	s_or_b32 exec_lo, exec_lo, s8
	v_add_nc_u32_e32 v30, 24, v83
	s_delay_alu instid0(VALU_DEP_1) | instskip(SKIP_2) | instid1(VALU_DEP_3)
	v_mad_i64_i32 v[24:25], null, v30, s14, 0
	v_mad_i64_i32 v[28:29], null, v30, s9, 0
	v_cmp_gt_i32_e64 s8, s17, v30
	v_lshlrev_b64 v[24:25], 1, v[24:25]
	s_delay_alu instid0(VALU_DEP_2) | instskip(NEXT) | instid1(VALU_DEP_3)
	s_and_b32 s16, s0, s8
	v_lshlrev_b64 v[30:31], 1, v[28:29]
	s_delay_alu instid0(VALU_DEP_2) | instskip(NEXT) | instid1(VALU_DEP_3)
	v_add_co_u32 v28, vcc_lo, s12, v24
	v_add_co_ci_u32_e32 v29, vcc_lo, s13, v25, vcc_lo
	s_delay_alu instid0(VALU_DEP_3) | instskip(NEXT) | instid1(VALU_DEP_4)
	v_add_co_u32 v24, vcc_lo, s10, v30
	v_add_co_ci_u32_e32 v25, vcc_lo, s11, v31, vcc_lo
	s_and_saveexec_b32 s15, s16
	s_cbranch_execnz .LBB262_180
; %bb.173:
	s_or_b32 exec_lo, exec_lo, s15
	s_and_b32 s16, s1, s8
	s_delay_alu instid0(SALU_CYCLE_1)
	s_and_saveexec_b32 s15, s16
	s_cbranch_execnz .LBB262_184
.LBB262_174:
	s_or_b32 exec_lo, exec_lo, s15
	s_and_b32 s16, s2, s8
	s_delay_alu instid0(SALU_CYCLE_1)
	s_and_saveexec_b32 s15, s16
	s_cbranch_execnz .LBB262_188
.LBB262_175:
	s_or_b32 exec_lo, exec_lo, s15
	s_and_b32 s16, s3, s8
	s_delay_alu instid0(SALU_CYCLE_1)
	s_and_saveexec_b32 s15, s16
	s_cbranch_execnz .LBB262_192
.LBB262_176:
	s_or_b32 exec_lo, exec_lo, s15
	s_and_b32 s16, s4, s8
	s_delay_alu instid0(SALU_CYCLE_1)
	s_and_saveexec_b32 s15, s16
	s_cbranch_execnz .LBB262_196
.LBB262_177:
	s_or_b32 exec_lo, exec_lo, s15
	s_and_b32 s16, s5, s8
	s_delay_alu instid0(SALU_CYCLE_1)
	s_and_saveexec_b32 s15, s16
	s_cbranch_execnz .LBB262_200
.LBB262_178:
	s_or_b32 exec_lo, exec_lo, s15
	s_and_b32 s16, s6, s8
	s_delay_alu instid0(SALU_CYCLE_1)
	s_and_saveexec_b32 s15, s16
	s_cbranch_execnz .LBB262_204
.LBB262_179:
	s_or_b32 exec_lo, exec_lo, s15
	s_and_b32 s15, s7, s8
	s_delay_alu instid0(SALU_CYCLE_1)
	s_and_saveexec_b32 s8, s15
	s_cbranch_execnz .LBB262_208
	s_branch .LBB262_212
.LBB262_180:
	v_cmp_ne_u32_e32 vcc_lo, 1, v76
	s_cbranch_vccnz .LBB262_182
; %bb.181:
	v_lshlrev_b64 v[30:31], 1, v[32:33]
	s_delay_alu instid0(VALU_DEP_1) | instskip(NEXT) | instid1(VALU_DEP_2)
	v_add_co_u32 v30, vcc_lo, v28, v30
	v_add_co_ci_u32_e32 v31, vcc_lo, v29, v31, vcc_lo
	flat_load_u16 v30, v[30:31]
	s_waitcnt vmcnt(0) lgkmcnt(0)
	v_mul_f16_e32 v30, s19, v30
	s_branch .LBB262_183
.LBB262_182:
	v_mov_b32_e32 v30, 0
.LBB262_183:
	v_pk_add_f16 v31, v16, v26
	v_pk_max_f16 v89, v89, v89
	v_pk_add_f16 v90, v17, v27
	s_delay_alu instid0(VALU_DEP_2) | instskip(NEXT) | instid1(VALU_DEP_1)
	v_pk_min_f16 v31, v89, v31
	v_pk_min_f16 v31, v31, v90
	v_lshlrev_b64 v[89:90], 1, v[32:33]
	s_delay_alu instid0(VALU_DEP_2) | instskip(NEXT) | instid1(VALU_DEP_1)
	v_lshrrev_b32_e32 v91, 16, v31
	v_min3_f16 v91, v30, v31, v91
	s_delay_alu instid0(VALU_DEP_3) | instskip(NEXT) | instid1(VALU_DEP_4)
	v_add_co_u32 v30, vcc_lo, v24, v89
	v_add_co_ci_u32_e32 v31, vcc_lo, v25, v90, vcc_lo
	global_store_b16 v[30:31], v91, off
	s_or_b32 exec_lo, exec_lo, s15
	s_and_b32 s16, s1, s8
	s_delay_alu instid0(SALU_CYCLE_1)
	s_and_saveexec_b32 s15, s16
	s_cbranch_execz .LBB262_174
.LBB262_184:
	v_cmp_ne_u32_e32 vcc_lo, 1, v76
	s_cbranch_vccnz .LBB262_186
; %bb.185:
	v_lshlrev_b64 v[30:31], 1, v[34:35]
	s_delay_alu instid0(VALU_DEP_1) | instskip(NEXT) | instid1(VALU_DEP_2)
	v_add_co_u32 v30, vcc_lo, v28, v30
	v_add_co_ci_u32_e32 v31, vcc_lo, v29, v31, vcc_lo
	flat_load_u16 v30, v[30:31]
	s_waitcnt vmcnt(0) lgkmcnt(0)
	v_mul_f16_e32 v30, s19, v30
	s_branch .LBB262_187
.LBB262_186:
	v_mov_b32_e32 v30, 0
.LBB262_187:
	v_pk_add_f16 v31, v18, v26
	v_pk_max_f16 v88, v88, v88
	v_pk_add_f16 v89, v19, v27
	s_delay_alu instid0(VALU_DEP_2) | instskip(NEXT) | instid1(VALU_DEP_1)
	v_pk_min_f16 v31, v88, v31
	v_pk_min_f16 v31, v31, v89
	v_lshlrev_b64 v[88:89], 1, v[34:35]
	s_delay_alu instid0(VALU_DEP_2) | instskip(NEXT) | instid1(VALU_DEP_1)
	v_lshrrev_b32_e32 v90, 16, v31
	v_min3_f16 v90, v30, v31, v90
	s_delay_alu instid0(VALU_DEP_3) | instskip(NEXT) | instid1(VALU_DEP_4)
	v_add_co_u32 v30, vcc_lo, v24, v88
	v_add_co_ci_u32_e32 v31, vcc_lo, v25, v89, vcc_lo
	global_store_b16 v[30:31], v90, off
	s_or_b32 exec_lo, exec_lo, s15
	s_and_b32 s16, s2, s8
	s_delay_alu instid0(SALU_CYCLE_1)
	s_and_saveexec_b32 s15, s16
	s_cbranch_execz .LBB262_175
.LBB262_188:
	v_cmp_ne_u32_e32 vcc_lo, 1, v76
	s_cbranch_vccnz .LBB262_190
; %bb.189:
	v_lshlrev_b64 v[30:31], 1, v[36:37]
	s_delay_alu instid0(VALU_DEP_1) | instskip(NEXT) | instid1(VALU_DEP_2)
	v_add_co_u32 v30, vcc_lo, v28, v30
	v_add_co_ci_u32_e32 v31, vcc_lo, v29, v31, vcc_lo
	flat_load_u16 v30, v[30:31]
	s_waitcnt vmcnt(0) lgkmcnt(0)
	v_mul_f16_e32 v30, s19, v30
	s_branch .LBB262_191
.LBB262_190:
	v_mov_b32_e32 v30, 0
.LBB262_191:
	v_pk_add_f16 v31, v12, v26
	v_pk_max_f16 v87, v87, v87
	v_pk_add_f16 v88, v13, v27
	s_delay_alu instid0(VALU_DEP_2) | instskip(NEXT) | instid1(VALU_DEP_1)
	v_pk_min_f16 v31, v87, v31
	v_pk_min_f16 v31, v31, v88
	v_lshlrev_b64 v[87:88], 1, v[36:37]
	s_delay_alu instid0(VALU_DEP_2) | instskip(NEXT) | instid1(VALU_DEP_1)
	v_lshrrev_b32_e32 v89, 16, v31
	v_min3_f16 v89, v30, v31, v89
	s_delay_alu instid0(VALU_DEP_3) | instskip(NEXT) | instid1(VALU_DEP_4)
	v_add_co_u32 v30, vcc_lo, v24, v87
	v_add_co_ci_u32_e32 v31, vcc_lo, v25, v88, vcc_lo
	global_store_b16 v[30:31], v89, off
	s_or_b32 exec_lo, exec_lo, s15
	s_and_b32 s16, s3, s8
	s_delay_alu instid0(SALU_CYCLE_1)
	s_and_saveexec_b32 s15, s16
	s_cbranch_execz .LBB262_176
.LBB262_192:
	v_cmp_ne_u32_e32 vcc_lo, 1, v76
	s_cbranch_vccnz .LBB262_194
; %bb.193:
	v_lshlrev_b64 v[30:31], 1, v[38:39]
	s_delay_alu instid0(VALU_DEP_1) | instskip(NEXT) | instid1(VALU_DEP_2)
	v_add_co_u32 v30, vcc_lo, v28, v30
	v_add_co_ci_u32_e32 v31, vcc_lo, v29, v31, vcc_lo
	flat_load_u16 v30, v[30:31]
	s_waitcnt vmcnt(0) lgkmcnt(0)
	v_mul_f16_e32 v30, s19, v30
	s_branch .LBB262_195
.LBB262_194:
	v_mov_b32_e32 v30, 0
.LBB262_195:
	v_pk_add_f16 v31, v14, v26
	v_pk_max_f16 v86, v86, v86
	v_pk_add_f16 v87, v15, v27
	s_delay_alu instid0(VALU_DEP_2) | instskip(NEXT) | instid1(VALU_DEP_1)
	v_pk_min_f16 v31, v86, v31
	v_pk_min_f16 v31, v31, v87
	v_lshlrev_b64 v[86:87], 1, v[38:39]
	s_delay_alu instid0(VALU_DEP_2) | instskip(NEXT) | instid1(VALU_DEP_1)
	v_lshrrev_b32_e32 v88, 16, v31
	v_min3_f16 v88, v30, v31, v88
	s_delay_alu instid0(VALU_DEP_3) | instskip(NEXT) | instid1(VALU_DEP_4)
	v_add_co_u32 v30, vcc_lo, v24, v86
	v_add_co_ci_u32_e32 v31, vcc_lo, v25, v87, vcc_lo
	global_store_b16 v[30:31], v88, off
	s_or_b32 exec_lo, exec_lo, s15
	s_and_b32 s16, s4, s8
	s_delay_alu instid0(SALU_CYCLE_1)
	s_and_saveexec_b32 s15, s16
	s_cbranch_execz .LBB262_177
.LBB262_196:
	v_cmp_ne_u32_e32 vcc_lo, 1, v76
	s_cbranch_vccnz .LBB262_198
; %bb.197:
	v_lshlrev_b64 v[30:31], 1, v[40:41]
	s_delay_alu instid0(VALU_DEP_1) | instskip(NEXT) | instid1(VALU_DEP_2)
	v_add_co_u32 v30, vcc_lo, v28, v30
	v_add_co_ci_u32_e32 v31, vcc_lo, v29, v31, vcc_lo
	flat_load_u16 v30, v[30:31]
	s_waitcnt vmcnt(0) lgkmcnt(0)
	v_mul_f16_e32 v30, s19, v30
	s_branch .LBB262_199
.LBB262_198:
	v_mov_b32_e32 v30, 0
.LBB262_199:
	v_pk_add_f16 v31, v8, v26
	v_pk_max_f16 v85, v85, v85
	v_pk_add_f16 v86, v9, v27
	s_delay_alu instid0(VALU_DEP_2) | instskip(NEXT) | instid1(VALU_DEP_1)
	v_pk_min_f16 v31, v85, v31
	v_pk_min_f16 v31, v31, v86
	v_lshlrev_b64 v[85:86], 1, v[40:41]
	s_delay_alu instid0(VALU_DEP_2) | instskip(NEXT) | instid1(VALU_DEP_1)
	v_lshrrev_b32_e32 v87, 16, v31
	v_min3_f16 v87, v30, v31, v87
	s_delay_alu instid0(VALU_DEP_3) | instskip(NEXT) | instid1(VALU_DEP_4)
	v_add_co_u32 v30, vcc_lo, v24, v85
	v_add_co_ci_u32_e32 v31, vcc_lo, v25, v86, vcc_lo
	global_store_b16 v[30:31], v87, off
	s_or_b32 exec_lo, exec_lo, s15
	s_and_b32 s16, s5, s8
	s_delay_alu instid0(SALU_CYCLE_1)
	s_and_saveexec_b32 s15, s16
	s_cbranch_execz .LBB262_178
.LBB262_200:
	v_cmp_ne_u32_e32 vcc_lo, 1, v76
	s_cbranch_vccnz .LBB262_202
; %bb.201:
	v_lshlrev_b64 v[30:31], 1, v[42:43]
	s_delay_alu instid0(VALU_DEP_1) | instskip(NEXT) | instid1(VALU_DEP_2)
	v_add_co_u32 v30, vcc_lo, v28, v30
	v_add_co_ci_u32_e32 v31, vcc_lo, v29, v31, vcc_lo
	flat_load_u16 v30, v[30:31]
	s_waitcnt vmcnt(0) lgkmcnt(0)
	v_mul_f16_e32 v30, s19, v30
	s_branch .LBB262_203
.LBB262_202:
	v_mov_b32_e32 v30, 0
.LBB262_203:
	v_pk_add_f16 v31, v10, v26
	v_pk_max_f16 v84, v84, v84
	v_pk_add_f16 v85, v11, v27
	s_delay_alu instid0(VALU_DEP_2) | instskip(NEXT) | instid1(VALU_DEP_1)
	v_pk_min_f16 v31, v84, v31
	v_pk_min_f16 v31, v31, v85
	v_lshlrev_b64 v[84:85], 1, v[42:43]
	s_delay_alu instid0(VALU_DEP_2) | instskip(NEXT) | instid1(VALU_DEP_1)
	v_lshrrev_b32_e32 v86, 16, v31
	v_min3_f16 v86, v30, v31, v86
	s_delay_alu instid0(VALU_DEP_3) | instskip(NEXT) | instid1(VALU_DEP_4)
	v_add_co_u32 v30, vcc_lo, v24, v84
	v_add_co_ci_u32_e32 v31, vcc_lo, v25, v85, vcc_lo
	global_store_b16 v[30:31], v86, off
	s_or_b32 exec_lo, exec_lo, s15
	s_and_b32 s16, s6, s8
	s_delay_alu instid0(SALU_CYCLE_1)
	s_and_saveexec_b32 s15, s16
	s_cbranch_execz .LBB262_179
.LBB262_204:
	v_cmp_ne_u32_e32 vcc_lo, 1, v76
	s_cbranch_vccnz .LBB262_206
; %bb.205:
	v_lshlrev_b64 v[30:31], 1, v[44:45]
	s_delay_alu instid0(VALU_DEP_1) | instskip(NEXT) | instid1(VALU_DEP_2)
	v_add_co_u32 v30, vcc_lo, v28, v30
	v_add_co_ci_u32_e32 v31, vcc_lo, v29, v31, vcc_lo
	flat_load_u16 v30, v[30:31]
	s_waitcnt vmcnt(0) lgkmcnt(0)
	v_mul_f16_e32 v30, s19, v30
	s_branch .LBB262_207
.LBB262_206:
	v_mov_b32_e32 v30, 0
.LBB262_207:
	v_pk_add_f16 v31, v0, v26
	v_pk_max_f16 v82, v82, v82
	v_pk_add_f16 v84, v1, v27
	s_delay_alu instid0(VALU_DEP_2) | instskip(NEXT) | instid1(VALU_DEP_1)
	v_pk_min_f16 v31, v82, v31
	v_pk_min_f16 v31, v31, v84
	v_lshlrev_b64 v[84:85], 1, v[44:45]
	s_delay_alu instid0(VALU_DEP_2) | instskip(NEXT) | instid1(VALU_DEP_1)
	v_lshrrev_b32_e32 v82, 16, v31
	v_min3_f16 v82, v30, v31, v82
	s_delay_alu instid0(VALU_DEP_3) | instskip(NEXT) | instid1(VALU_DEP_4)
	v_add_co_u32 v30, vcc_lo, v24, v84
	v_add_co_ci_u32_e32 v31, vcc_lo, v25, v85, vcc_lo
	global_store_b16 v[30:31], v82, off
	s_or_b32 exec_lo, exec_lo, s15
	s_and_b32 s15, s7, s8
	s_delay_alu instid0(SALU_CYCLE_1)
	s_and_saveexec_b32 s8, s15
	s_cbranch_execz .LBB262_212
.LBB262_208:
	v_cmp_ne_u32_e32 vcc_lo, 1, v76
	s_cbranch_vccnz .LBB262_210
; %bb.209:
	v_lshlrev_b64 v[30:31], 1, v[46:47]
	s_delay_alu instid0(VALU_DEP_1) | instskip(NEXT) | instid1(VALU_DEP_2)
	v_add_co_u32 v28, vcc_lo, v28, v30
	v_add_co_ci_u32_e32 v29, vcc_lo, v29, v31, vcc_lo
	flat_load_u16 v28, v[28:29]
	s_waitcnt vmcnt(0) lgkmcnt(0)
	v_mul_f16_e32 v28, s19, v28
	s_branch .LBB262_211
.LBB262_210:
	v_mov_b32_e32 v28, 0
.LBB262_211:
	v_pk_add_f16 v26, v2, v26
	v_pk_max_f16 v29, v81, v81
	v_pk_add_f16 v27, v3, v27
	s_delay_alu instid0(VALU_DEP_2) | instskip(NEXT) | instid1(VALU_DEP_1)
	v_pk_min_f16 v26, v29, v26
	v_pk_min_f16 v29, v26, v27
	v_lshlrev_b64 v[26:27], 1, v[46:47]
	s_delay_alu instid0(VALU_DEP_2) | instskip(NEXT) | instid1(VALU_DEP_2)
	v_lshrrev_b32_e32 v30, 16, v29
	v_add_co_u32 v24, vcc_lo, v24, v26
	s_delay_alu instid0(VALU_DEP_3) | instskip(NEXT) | instid1(VALU_DEP_3)
	v_add_co_ci_u32_e32 v25, vcc_lo, v25, v27, vcc_lo
	v_min3_f16 v28, v28, v29, v30
	global_store_b16 v[24:25], v28, off
.LBB262_212:
	s_or_b32 exec_lo, exec_lo, s8
	v_add_nc_u32_e32 v28, 32, v83
	s_delay_alu instid0(VALU_DEP_1) | instskip(SKIP_2) | instid1(VALU_DEP_3)
	v_mad_i64_i32 v[24:25], null, v28, s14, 0
	v_mad_i64_i32 v[26:27], null, v28, s9, 0
	v_cmp_gt_i32_e64 s8, s17, v28
	v_lshlrev_b64 v[24:25], 1, v[24:25]
	s_delay_alu instid0(VALU_DEP_2) | instskip(NEXT) | instid1(VALU_DEP_3)
	s_and_b32 s16, s0, s8
	v_lshlrev_b64 v[28:29], 1, v[26:27]
	s_delay_alu instid0(VALU_DEP_2) | instskip(NEXT) | instid1(VALU_DEP_3)
	v_add_co_u32 v26, vcc_lo, s12, v24
	v_add_co_ci_u32_e32 v27, vcc_lo, s13, v25, vcc_lo
	s_delay_alu instid0(VALU_DEP_3) | instskip(NEXT) | instid1(VALU_DEP_4)
	v_add_co_u32 v24, vcc_lo, s10, v28
	v_add_co_ci_u32_e32 v25, vcc_lo, s11, v29, vcc_lo
	s_and_saveexec_b32 s15, s16
	s_cbranch_execnz .LBB262_220
; %bb.213:
	s_or_b32 exec_lo, exec_lo, s15
	s_and_b32 s16, s1, s8
	s_delay_alu instid0(SALU_CYCLE_1)
	s_and_saveexec_b32 s15, s16
	s_cbranch_execnz .LBB262_224
.LBB262_214:
	s_or_b32 exec_lo, exec_lo, s15
	s_and_b32 s16, s2, s8
	s_delay_alu instid0(SALU_CYCLE_1)
	s_and_saveexec_b32 s15, s16
	s_cbranch_execnz .LBB262_228
.LBB262_215:
	s_or_b32 exec_lo, exec_lo, s15
	s_and_b32 s16, s3, s8
	s_delay_alu instid0(SALU_CYCLE_1)
	s_and_saveexec_b32 s15, s16
	s_cbranch_execnz .LBB262_232
.LBB262_216:
	s_or_b32 exec_lo, exec_lo, s15
	s_and_b32 s16, s4, s8
	s_delay_alu instid0(SALU_CYCLE_1)
	s_and_saveexec_b32 s15, s16
	s_cbranch_execnz .LBB262_236
.LBB262_217:
	s_or_b32 exec_lo, exec_lo, s15
	s_and_b32 s16, s5, s8
	s_delay_alu instid0(SALU_CYCLE_1)
	s_and_saveexec_b32 s15, s16
	s_cbranch_execnz .LBB262_240
.LBB262_218:
	s_or_b32 exec_lo, exec_lo, s15
	s_and_b32 s16, s6, s8
	s_delay_alu instid0(SALU_CYCLE_1)
	s_and_saveexec_b32 s15, s16
	s_cbranch_execnz .LBB262_244
.LBB262_219:
	s_or_b32 exec_lo, exec_lo, s15
	s_and_b32 s15, s7, s8
	s_delay_alu instid0(SALU_CYCLE_1)
	s_and_saveexec_b32 s8, s15
	s_cbranch_execnz .LBB262_248
	s_branch .LBB262_252
.LBB262_220:
	v_cmp_ne_u32_e32 vcc_lo, 1, v76
	s_cbranch_vccnz .LBB262_222
; %bb.221:
	v_lshlrev_b64 v[28:29], 1, v[32:33]
	s_delay_alu instid0(VALU_DEP_1) | instskip(NEXT) | instid1(VALU_DEP_2)
	v_add_co_u32 v28, vcc_lo, v26, v28
	v_add_co_ci_u32_e32 v29, vcc_lo, v27, v29, vcc_lo
	flat_load_u16 v28, v[28:29]
	s_waitcnt vmcnt(0) lgkmcnt(0)
	v_mul_f16_e32 v28, s19, v28
	s_branch .LBB262_223
.LBB262_222:
	v_mov_b32_e32 v28, 0
.LBB262_223:
	v_pk_add_f16 v29, v16, v20
	v_pk_max_f16 v30, v80, v80
	v_pk_add_f16 v31, v17, v21
	s_delay_alu instid0(VALU_DEP_2) | instskip(NEXT) | instid1(VALU_DEP_1)
	v_pk_min_f16 v29, v30, v29
	v_pk_min_f16 v31, v29, v31
	v_lshlrev_b64 v[29:30], 1, v[32:33]
	s_delay_alu instid0(VALU_DEP_2) | instskip(NEXT) | instid1(VALU_DEP_1)
	v_lshrrev_b32_e32 v80, 16, v31
	v_min3_f16 v31, v28, v31, v80
	s_delay_alu instid0(VALU_DEP_3) | instskip(NEXT) | instid1(VALU_DEP_4)
	v_add_co_u32 v28, vcc_lo, v24, v29
	v_add_co_ci_u32_e32 v29, vcc_lo, v25, v30, vcc_lo
	global_store_b16 v[28:29], v31, off
	s_or_b32 exec_lo, exec_lo, s15
	s_and_b32 s16, s1, s8
	s_delay_alu instid0(SALU_CYCLE_1)
	s_and_saveexec_b32 s15, s16
	s_cbranch_execz .LBB262_214
.LBB262_224:
	v_cmp_ne_u32_e32 vcc_lo, 1, v76
	s_cbranch_vccnz .LBB262_226
; %bb.225:
	v_lshlrev_b64 v[28:29], 1, v[34:35]
	s_delay_alu instid0(VALU_DEP_1) | instskip(NEXT) | instid1(VALU_DEP_2)
	v_add_co_u32 v28, vcc_lo, v26, v28
	v_add_co_ci_u32_e32 v29, vcc_lo, v27, v29, vcc_lo
	flat_load_u16 v28, v[28:29]
	s_waitcnt vmcnt(0) lgkmcnt(0)
	v_mul_f16_e32 v28, s19, v28
	s_branch .LBB262_227
.LBB262_226:
	v_mov_b32_e32 v28, 0
.LBB262_227:
	v_pk_add_f16 v29, v18, v20
	v_pk_max_f16 v30, v79, v79
	v_pk_add_f16 v31, v19, v21
	s_delay_alu instid0(VALU_DEP_2) | instskip(NEXT) | instid1(VALU_DEP_1)
	v_pk_min_f16 v29, v30, v29
	v_pk_min_f16 v31, v29, v31
	v_lshlrev_b64 v[29:30], 1, v[34:35]
	s_delay_alu instid0(VALU_DEP_2) | instskip(NEXT) | instid1(VALU_DEP_1)
	v_lshrrev_b32_e32 v79, 16, v31
	v_min3_f16 v31, v28, v31, v79
	s_delay_alu instid0(VALU_DEP_3) | instskip(NEXT) | instid1(VALU_DEP_4)
	v_add_co_u32 v28, vcc_lo, v24, v29
	v_add_co_ci_u32_e32 v29, vcc_lo, v25, v30, vcc_lo
	global_store_b16 v[28:29], v31, off
	s_or_b32 exec_lo, exec_lo, s15
	s_and_b32 s16, s2, s8
	s_delay_alu instid0(SALU_CYCLE_1)
	s_and_saveexec_b32 s15, s16
	s_cbranch_execz .LBB262_215
.LBB262_228:
	v_cmp_ne_u32_e32 vcc_lo, 1, v76
	s_cbranch_vccnz .LBB262_230
; %bb.229:
	v_lshlrev_b64 v[28:29], 1, v[36:37]
	s_delay_alu instid0(VALU_DEP_1) | instskip(NEXT) | instid1(VALU_DEP_2)
	v_add_co_u32 v28, vcc_lo, v26, v28
	v_add_co_ci_u32_e32 v29, vcc_lo, v27, v29, vcc_lo
	flat_load_u16 v28, v[28:29]
	s_waitcnt vmcnt(0) lgkmcnt(0)
	v_mul_f16_e32 v28, s19, v28
	s_branch .LBB262_231
.LBB262_230:
	v_mov_b32_e32 v28, 0
.LBB262_231:
	v_pk_add_f16 v29, v12, v20
	v_pk_max_f16 v30, v78, v78
	v_pk_add_f16 v31, v13, v21
	s_delay_alu instid0(VALU_DEP_2) | instskip(NEXT) | instid1(VALU_DEP_1)
	v_pk_min_f16 v29, v30, v29
	v_pk_min_f16 v31, v29, v31
	v_lshlrev_b64 v[29:30], 1, v[36:37]
	s_delay_alu instid0(VALU_DEP_2) | instskip(NEXT) | instid1(VALU_DEP_1)
	v_lshrrev_b32_e32 v78, 16, v31
	v_min3_f16 v31, v28, v31, v78
	s_delay_alu instid0(VALU_DEP_3) | instskip(NEXT) | instid1(VALU_DEP_4)
	v_add_co_u32 v28, vcc_lo, v24, v29
	v_add_co_ci_u32_e32 v29, vcc_lo, v25, v30, vcc_lo
	global_store_b16 v[28:29], v31, off
	s_or_b32 exec_lo, exec_lo, s15
	s_and_b32 s16, s3, s8
	s_delay_alu instid0(SALU_CYCLE_1)
	s_and_saveexec_b32 s15, s16
	s_cbranch_execz .LBB262_216
.LBB262_232:
	v_cmp_ne_u32_e32 vcc_lo, 1, v76
	s_cbranch_vccnz .LBB262_234
; %bb.233:
	v_lshlrev_b64 v[28:29], 1, v[38:39]
	s_delay_alu instid0(VALU_DEP_1) | instskip(NEXT) | instid1(VALU_DEP_2)
	v_add_co_u32 v28, vcc_lo, v26, v28
	v_add_co_ci_u32_e32 v29, vcc_lo, v27, v29, vcc_lo
	flat_load_u16 v28, v[28:29]
	s_waitcnt vmcnt(0) lgkmcnt(0)
	v_mul_f16_e32 v28, s19, v28
	s_branch .LBB262_235
.LBB262_234:
	v_mov_b32_e32 v28, 0
.LBB262_235:
	v_pk_add_f16 v29, v14, v20
	v_pk_max_f16 v30, v77, v77
	v_pk_add_f16 v31, v15, v21
	s_delay_alu instid0(VALU_DEP_2) | instskip(NEXT) | instid1(VALU_DEP_1)
	v_pk_min_f16 v29, v30, v29
	v_pk_min_f16 v31, v29, v31
	v_lshlrev_b64 v[29:30], 1, v[38:39]
	s_delay_alu instid0(VALU_DEP_2) | instskip(NEXT) | instid1(VALU_DEP_1)
	v_lshrrev_b32_e32 v77, 16, v31
	v_min3_f16 v31, v28, v31, v77
	s_delay_alu instid0(VALU_DEP_3) | instskip(NEXT) | instid1(VALU_DEP_4)
	v_add_co_u32 v28, vcc_lo, v24, v29
	v_add_co_ci_u32_e32 v29, vcc_lo, v25, v30, vcc_lo
	global_store_b16 v[28:29], v31, off
	s_or_b32 exec_lo, exec_lo, s15
	s_and_b32 s16, s4, s8
	s_delay_alu instid0(SALU_CYCLE_1)
	s_and_saveexec_b32 s15, s16
	s_cbranch_execz .LBB262_217
.LBB262_236:
	v_cmp_ne_u32_e32 vcc_lo, 1, v76
	s_cbranch_vccnz .LBB262_238
; %bb.237:
	v_lshlrev_b64 v[28:29], 1, v[40:41]
	s_delay_alu instid0(VALU_DEP_1) | instskip(NEXT) | instid1(VALU_DEP_2)
	v_add_co_u32 v28, vcc_lo, v26, v28
	v_add_co_ci_u32_e32 v29, vcc_lo, v27, v29, vcc_lo
	flat_load_u16 v28, v[28:29]
	s_waitcnt vmcnt(0) lgkmcnt(0)
	v_mul_f16_e32 v28, s19, v28
	s_branch .LBB262_239
.LBB262_238:
	v_mov_b32_e32 v28, 0
.LBB262_239:
	v_pk_add_f16 v29, v8, v20
	v_pk_max_f16 v30, v75, v75
	v_pk_add_f16 v31, v9, v21
	s_delay_alu instid0(VALU_DEP_2) | instskip(NEXT) | instid1(VALU_DEP_1)
	v_pk_min_f16 v29, v30, v29
	v_pk_min_f16 v31, v29, v31
	v_lshlrev_b64 v[29:30], 1, v[40:41]
	s_delay_alu instid0(VALU_DEP_2) | instskip(NEXT) | instid1(VALU_DEP_1)
	v_lshrrev_b32_e32 v75, 16, v31
	v_min3_f16 v31, v28, v31, v75
	s_delay_alu instid0(VALU_DEP_3) | instskip(NEXT) | instid1(VALU_DEP_4)
	v_add_co_u32 v28, vcc_lo, v24, v29
	v_add_co_ci_u32_e32 v29, vcc_lo, v25, v30, vcc_lo
	global_store_b16 v[28:29], v31, off
	s_or_b32 exec_lo, exec_lo, s15
	s_and_b32 s16, s5, s8
	s_delay_alu instid0(SALU_CYCLE_1)
	s_and_saveexec_b32 s15, s16
	s_cbranch_execz .LBB262_218
.LBB262_240:
	v_cmp_ne_u32_e32 vcc_lo, 1, v76
	s_cbranch_vccnz .LBB262_242
; %bb.241:
	v_lshlrev_b64 v[28:29], 1, v[42:43]
	s_delay_alu instid0(VALU_DEP_1) | instskip(NEXT) | instid1(VALU_DEP_2)
	v_add_co_u32 v28, vcc_lo, v26, v28
	v_add_co_ci_u32_e32 v29, vcc_lo, v27, v29, vcc_lo
	flat_load_u16 v28, v[28:29]
	s_waitcnt vmcnt(0) lgkmcnt(0)
	v_mul_f16_e32 v28, s19, v28
	s_branch .LBB262_243
.LBB262_242:
	v_mov_b32_e32 v28, 0
.LBB262_243:
	v_pk_add_f16 v29, v10, v20
	v_pk_max_f16 v30, v74, v74
	v_pk_add_f16 v31, v11, v21
	s_delay_alu instid0(VALU_DEP_2) | instskip(NEXT) | instid1(VALU_DEP_1)
	v_pk_min_f16 v29, v30, v29
	v_pk_min_f16 v31, v29, v31
	v_lshlrev_b64 v[29:30], 1, v[42:43]
	s_delay_alu instid0(VALU_DEP_2) | instskip(NEXT) | instid1(VALU_DEP_1)
	v_lshrrev_b32_e32 v74, 16, v31
	v_min3_f16 v31, v28, v31, v74
	s_delay_alu instid0(VALU_DEP_3) | instskip(NEXT) | instid1(VALU_DEP_4)
	v_add_co_u32 v28, vcc_lo, v24, v29
	v_add_co_ci_u32_e32 v29, vcc_lo, v25, v30, vcc_lo
	global_store_b16 v[28:29], v31, off
	s_or_b32 exec_lo, exec_lo, s15
	s_and_b32 s16, s6, s8
	s_delay_alu instid0(SALU_CYCLE_1)
	s_and_saveexec_b32 s15, s16
	s_cbranch_execz .LBB262_219
.LBB262_244:
	v_cmp_ne_u32_e32 vcc_lo, 1, v76
	s_cbranch_vccnz .LBB262_246
; %bb.245:
	v_lshlrev_b64 v[28:29], 1, v[44:45]
	s_delay_alu instid0(VALU_DEP_1) | instskip(NEXT) | instid1(VALU_DEP_2)
	v_add_co_u32 v28, vcc_lo, v26, v28
	v_add_co_ci_u32_e32 v29, vcc_lo, v27, v29, vcc_lo
	flat_load_u16 v28, v[28:29]
	s_waitcnt vmcnt(0) lgkmcnt(0)
	v_mul_f16_e32 v28, s19, v28
	s_branch .LBB262_247
.LBB262_246:
	v_mov_b32_e32 v28, 0
.LBB262_247:
	v_pk_add_f16 v29, v0, v20
	v_pk_max_f16 v30, v73, v73
	v_pk_add_f16 v31, v1, v21
	s_delay_alu instid0(VALU_DEP_2) | instskip(NEXT) | instid1(VALU_DEP_1)
	v_pk_min_f16 v29, v30, v29
	v_pk_min_f16 v31, v29, v31
	v_lshlrev_b64 v[29:30], 1, v[44:45]
	s_delay_alu instid0(VALU_DEP_2) | instskip(NEXT) | instid1(VALU_DEP_1)
	v_lshrrev_b32_e32 v73, 16, v31
	v_min3_f16 v31, v28, v31, v73
	s_delay_alu instid0(VALU_DEP_3) | instskip(NEXT) | instid1(VALU_DEP_4)
	v_add_co_u32 v28, vcc_lo, v24, v29
	v_add_co_ci_u32_e32 v29, vcc_lo, v25, v30, vcc_lo
	global_store_b16 v[28:29], v31, off
	s_or_b32 exec_lo, exec_lo, s15
	s_and_b32 s15, s7, s8
	s_delay_alu instid0(SALU_CYCLE_1)
	s_and_saveexec_b32 s8, s15
	s_cbranch_execz .LBB262_252
.LBB262_248:
	v_cmp_ne_u32_e32 vcc_lo, 1, v76
	s_cbranch_vccnz .LBB262_250
; %bb.249:
	v_lshlrev_b64 v[28:29], 1, v[46:47]
	s_delay_alu instid0(VALU_DEP_1) | instskip(NEXT) | instid1(VALU_DEP_2)
	v_add_co_u32 v26, vcc_lo, v26, v28
	v_add_co_ci_u32_e32 v27, vcc_lo, v27, v29, vcc_lo
	flat_load_u16 v26, v[26:27]
	s_waitcnt vmcnt(0) lgkmcnt(0)
	v_mul_f16_e32 v26, s19, v26
	s_branch .LBB262_251
.LBB262_250:
	v_mov_b32_e32 v26, 0
.LBB262_251:
	v_pk_add_f16 v20, v2, v20
	v_pk_max_f16 v27, v72, v72
	v_pk_add_f16 v21, v3, v21
	s_delay_alu instid0(VALU_DEP_2) | instskip(NEXT) | instid1(VALU_DEP_1)
	v_pk_min_f16 v20, v27, v20
	v_pk_min_f16 v27, v20, v21
	v_lshlrev_b64 v[20:21], 1, v[46:47]
	s_delay_alu instid0(VALU_DEP_2) | instskip(NEXT) | instid1(VALU_DEP_2)
	v_lshrrev_b32_e32 v28, 16, v27
	v_add_co_u32 v20, vcc_lo, v24, v20
	s_delay_alu instid0(VALU_DEP_3) | instskip(NEXT) | instid1(VALU_DEP_3)
	v_add_co_ci_u32_e32 v21, vcc_lo, v25, v21, vcc_lo
	v_min3_f16 v26, v26, v27, v28
	global_store_b16 v[20:21], v26, off
.LBB262_252:
	s_or_b32 exec_lo, exec_lo, s8
	v_add_nc_u32_e32 v26, 40, v83
	s_delay_alu instid0(VALU_DEP_1) | instskip(SKIP_2) | instid1(VALU_DEP_3)
	v_mad_i64_i32 v[20:21], null, v26, s14, 0
	v_mad_i64_i32 v[24:25], null, v26, s9, 0
	v_cmp_gt_i32_e64 s8, s17, v26
	v_lshlrev_b64 v[20:21], 1, v[20:21]
	s_delay_alu instid0(VALU_DEP_2) | instskip(NEXT) | instid1(VALU_DEP_3)
	s_and_b32 s16, s0, s8
	v_lshlrev_b64 v[26:27], 1, v[24:25]
	s_delay_alu instid0(VALU_DEP_2) | instskip(NEXT) | instid1(VALU_DEP_3)
	v_add_co_u32 v24, vcc_lo, s12, v20
	v_add_co_ci_u32_e32 v25, vcc_lo, s13, v21, vcc_lo
	s_delay_alu instid0(VALU_DEP_3) | instskip(NEXT) | instid1(VALU_DEP_4)
	v_add_co_u32 v20, vcc_lo, s10, v26
	v_add_co_ci_u32_e32 v21, vcc_lo, s11, v27, vcc_lo
	s_and_saveexec_b32 s15, s16
	s_cbranch_execnz .LBB262_260
; %bb.253:
	s_or_b32 exec_lo, exec_lo, s15
	s_and_b32 s16, s1, s8
	s_delay_alu instid0(SALU_CYCLE_1)
	s_and_saveexec_b32 s15, s16
	s_cbranch_execnz .LBB262_264
.LBB262_254:
	s_or_b32 exec_lo, exec_lo, s15
	s_and_b32 s16, s2, s8
	s_delay_alu instid0(SALU_CYCLE_1)
	s_and_saveexec_b32 s15, s16
	s_cbranch_execnz .LBB262_268
.LBB262_255:
	s_or_b32 exec_lo, exec_lo, s15
	s_and_b32 s16, s3, s8
	s_delay_alu instid0(SALU_CYCLE_1)
	s_and_saveexec_b32 s15, s16
	s_cbranch_execnz .LBB262_272
.LBB262_256:
	s_or_b32 exec_lo, exec_lo, s15
	s_and_b32 s16, s4, s8
	s_delay_alu instid0(SALU_CYCLE_1)
	s_and_saveexec_b32 s15, s16
	s_cbranch_execnz .LBB262_276
.LBB262_257:
	s_or_b32 exec_lo, exec_lo, s15
	s_and_b32 s16, s5, s8
	s_delay_alu instid0(SALU_CYCLE_1)
	s_and_saveexec_b32 s15, s16
	s_cbranch_execnz .LBB262_280
.LBB262_258:
	s_or_b32 exec_lo, exec_lo, s15
	s_and_b32 s16, s6, s8
	s_delay_alu instid0(SALU_CYCLE_1)
	s_and_saveexec_b32 s15, s16
	s_cbranch_execnz .LBB262_284
.LBB262_259:
	s_or_b32 exec_lo, exec_lo, s15
	s_and_b32 s15, s7, s8
	s_delay_alu instid0(SALU_CYCLE_1)
	s_and_saveexec_b32 s8, s15
	s_cbranch_execnz .LBB262_288
	s_branch .LBB262_292
.LBB262_260:
	v_cmp_ne_u32_e32 vcc_lo, 1, v76
	s_cbranch_vccnz .LBB262_262
; %bb.261:
	v_lshlrev_b64 v[26:27], 1, v[32:33]
	s_delay_alu instid0(VALU_DEP_1) | instskip(NEXT) | instid1(VALU_DEP_2)
	v_add_co_u32 v26, vcc_lo, v24, v26
	v_add_co_ci_u32_e32 v27, vcc_lo, v25, v27, vcc_lo
	flat_load_u16 v26, v[26:27]
	s_waitcnt vmcnt(0) lgkmcnt(0)
	v_mul_f16_e32 v26, s19, v26
	s_branch .LBB262_263
.LBB262_262:
	v_mov_b32_e32 v26, 0
.LBB262_263:
	v_pk_add_f16 v27, v16, v22
	v_pk_max_f16 v28, v71, v71
	v_pk_add_f16 v29, v17, v23
	s_delay_alu instid0(VALU_DEP_2) | instskip(NEXT) | instid1(VALU_DEP_1)
	v_pk_min_f16 v27, v28, v27
	v_pk_min_f16 v29, v27, v29
	v_lshlrev_b64 v[27:28], 1, v[32:33]
	s_delay_alu instid0(VALU_DEP_2) | instskip(NEXT) | instid1(VALU_DEP_1)
	v_lshrrev_b32_e32 v30, 16, v29
	v_min3_f16 v29, v26, v29, v30
	s_delay_alu instid0(VALU_DEP_3) | instskip(NEXT) | instid1(VALU_DEP_4)
	v_add_co_u32 v26, vcc_lo, v20, v27
	v_add_co_ci_u32_e32 v27, vcc_lo, v21, v28, vcc_lo
	global_store_b16 v[26:27], v29, off
	s_or_b32 exec_lo, exec_lo, s15
	s_and_b32 s16, s1, s8
	s_delay_alu instid0(SALU_CYCLE_1)
	s_and_saveexec_b32 s15, s16
	s_cbranch_execz .LBB262_254
.LBB262_264:
	v_cmp_ne_u32_e32 vcc_lo, 1, v76
	s_cbranch_vccnz .LBB262_266
; %bb.265:
	v_lshlrev_b64 v[26:27], 1, v[34:35]
	s_delay_alu instid0(VALU_DEP_1) | instskip(NEXT) | instid1(VALU_DEP_2)
	v_add_co_u32 v26, vcc_lo, v24, v26
	v_add_co_ci_u32_e32 v27, vcc_lo, v25, v27, vcc_lo
	flat_load_u16 v26, v[26:27]
	s_waitcnt vmcnt(0) lgkmcnt(0)
	v_mul_f16_e32 v26, s19, v26
	s_branch .LBB262_267
.LBB262_266:
	v_mov_b32_e32 v26, 0
.LBB262_267:
	v_pk_add_f16 v27, v18, v22
	v_pk_max_f16 v28, v70, v70
	v_pk_add_f16 v29, v19, v23
	s_delay_alu instid0(VALU_DEP_2) | instskip(NEXT) | instid1(VALU_DEP_1)
	v_pk_min_f16 v27, v28, v27
	v_pk_min_f16 v29, v27, v29
	v_lshlrev_b64 v[27:28], 1, v[34:35]
	s_delay_alu instid0(VALU_DEP_2) | instskip(NEXT) | instid1(VALU_DEP_1)
	v_lshrrev_b32_e32 v30, 16, v29
	v_min3_f16 v29, v26, v29, v30
	s_delay_alu instid0(VALU_DEP_3) | instskip(NEXT) | instid1(VALU_DEP_4)
	v_add_co_u32 v26, vcc_lo, v20, v27
	v_add_co_ci_u32_e32 v27, vcc_lo, v21, v28, vcc_lo
	global_store_b16 v[26:27], v29, off
	s_or_b32 exec_lo, exec_lo, s15
	s_and_b32 s16, s2, s8
	s_delay_alu instid0(SALU_CYCLE_1)
	s_and_saveexec_b32 s15, s16
	s_cbranch_execz .LBB262_255
.LBB262_268:
	v_cmp_ne_u32_e32 vcc_lo, 1, v76
	s_cbranch_vccnz .LBB262_270
; %bb.269:
	v_lshlrev_b64 v[26:27], 1, v[36:37]
	s_delay_alu instid0(VALU_DEP_1) | instskip(NEXT) | instid1(VALU_DEP_2)
	v_add_co_u32 v26, vcc_lo, v24, v26
	v_add_co_ci_u32_e32 v27, vcc_lo, v25, v27, vcc_lo
	flat_load_u16 v26, v[26:27]
	s_waitcnt vmcnt(0) lgkmcnt(0)
	v_mul_f16_e32 v26, s19, v26
	s_branch .LBB262_271
.LBB262_270:
	v_mov_b32_e32 v26, 0
.LBB262_271:
	v_pk_add_f16 v27, v12, v22
	v_pk_max_f16 v28, v69, v69
	v_pk_add_f16 v29, v13, v23
	s_delay_alu instid0(VALU_DEP_2) | instskip(NEXT) | instid1(VALU_DEP_1)
	v_pk_min_f16 v27, v28, v27
	v_pk_min_f16 v29, v27, v29
	v_lshlrev_b64 v[27:28], 1, v[36:37]
	s_delay_alu instid0(VALU_DEP_2) | instskip(NEXT) | instid1(VALU_DEP_1)
	v_lshrrev_b32_e32 v30, 16, v29
	v_min3_f16 v29, v26, v29, v30
	s_delay_alu instid0(VALU_DEP_3) | instskip(NEXT) | instid1(VALU_DEP_4)
	v_add_co_u32 v26, vcc_lo, v20, v27
	v_add_co_ci_u32_e32 v27, vcc_lo, v21, v28, vcc_lo
	global_store_b16 v[26:27], v29, off
	s_or_b32 exec_lo, exec_lo, s15
	s_and_b32 s16, s3, s8
	s_delay_alu instid0(SALU_CYCLE_1)
	s_and_saveexec_b32 s15, s16
	s_cbranch_execz .LBB262_256
.LBB262_272:
	v_cmp_ne_u32_e32 vcc_lo, 1, v76
	s_cbranch_vccnz .LBB262_274
; %bb.273:
	v_lshlrev_b64 v[26:27], 1, v[38:39]
	s_delay_alu instid0(VALU_DEP_1) | instskip(NEXT) | instid1(VALU_DEP_2)
	v_add_co_u32 v26, vcc_lo, v24, v26
	v_add_co_ci_u32_e32 v27, vcc_lo, v25, v27, vcc_lo
	flat_load_u16 v26, v[26:27]
	s_waitcnt vmcnt(0) lgkmcnt(0)
	v_mul_f16_e32 v26, s19, v26
	s_branch .LBB262_275
.LBB262_274:
	v_mov_b32_e32 v26, 0
.LBB262_275:
	v_pk_add_f16 v27, v14, v22
	v_pk_max_f16 v28, v68, v68
	v_pk_add_f16 v29, v15, v23
	s_delay_alu instid0(VALU_DEP_2) | instskip(NEXT) | instid1(VALU_DEP_1)
	v_pk_min_f16 v27, v28, v27
	v_pk_min_f16 v29, v27, v29
	v_lshlrev_b64 v[27:28], 1, v[38:39]
	s_delay_alu instid0(VALU_DEP_2) | instskip(NEXT) | instid1(VALU_DEP_1)
	v_lshrrev_b32_e32 v30, 16, v29
	v_min3_f16 v29, v26, v29, v30
	s_delay_alu instid0(VALU_DEP_3) | instskip(NEXT) | instid1(VALU_DEP_4)
	v_add_co_u32 v26, vcc_lo, v20, v27
	v_add_co_ci_u32_e32 v27, vcc_lo, v21, v28, vcc_lo
	global_store_b16 v[26:27], v29, off
	s_or_b32 exec_lo, exec_lo, s15
	s_and_b32 s16, s4, s8
	s_delay_alu instid0(SALU_CYCLE_1)
	s_and_saveexec_b32 s15, s16
	s_cbranch_execz .LBB262_257
.LBB262_276:
	v_cmp_ne_u32_e32 vcc_lo, 1, v76
	s_cbranch_vccnz .LBB262_278
; %bb.277:
	v_lshlrev_b64 v[26:27], 1, v[40:41]
	s_delay_alu instid0(VALU_DEP_1) | instskip(NEXT) | instid1(VALU_DEP_2)
	v_add_co_u32 v26, vcc_lo, v24, v26
	v_add_co_ci_u32_e32 v27, vcc_lo, v25, v27, vcc_lo
	flat_load_u16 v26, v[26:27]
	s_waitcnt vmcnt(0) lgkmcnt(0)
	v_mul_f16_e32 v26, s19, v26
	s_branch .LBB262_279
.LBB262_278:
	v_mov_b32_e32 v26, 0
.LBB262_279:
	v_pk_add_f16 v27, v8, v22
	v_pk_max_f16 v28, v67, v67
	v_pk_add_f16 v29, v9, v23
	s_delay_alu instid0(VALU_DEP_2) | instskip(NEXT) | instid1(VALU_DEP_1)
	v_pk_min_f16 v27, v28, v27
	v_pk_min_f16 v29, v27, v29
	v_lshlrev_b64 v[27:28], 1, v[40:41]
	s_delay_alu instid0(VALU_DEP_2) | instskip(NEXT) | instid1(VALU_DEP_1)
	v_lshrrev_b32_e32 v30, 16, v29
	v_min3_f16 v29, v26, v29, v30
	s_delay_alu instid0(VALU_DEP_3) | instskip(NEXT) | instid1(VALU_DEP_4)
	v_add_co_u32 v26, vcc_lo, v20, v27
	v_add_co_ci_u32_e32 v27, vcc_lo, v21, v28, vcc_lo
	global_store_b16 v[26:27], v29, off
	s_or_b32 exec_lo, exec_lo, s15
	s_and_b32 s16, s5, s8
	s_delay_alu instid0(SALU_CYCLE_1)
	s_and_saveexec_b32 s15, s16
	s_cbranch_execz .LBB262_258
.LBB262_280:
	v_cmp_ne_u32_e32 vcc_lo, 1, v76
	s_cbranch_vccnz .LBB262_282
; %bb.281:
	v_lshlrev_b64 v[26:27], 1, v[42:43]
	s_delay_alu instid0(VALU_DEP_1) | instskip(NEXT) | instid1(VALU_DEP_2)
	v_add_co_u32 v26, vcc_lo, v24, v26
	v_add_co_ci_u32_e32 v27, vcc_lo, v25, v27, vcc_lo
	flat_load_u16 v26, v[26:27]
	s_waitcnt vmcnt(0) lgkmcnt(0)
	v_mul_f16_e32 v26, s19, v26
	s_branch .LBB262_283
.LBB262_282:
	v_mov_b32_e32 v26, 0
.LBB262_283:
	v_pk_add_f16 v27, v10, v22
	v_pk_max_f16 v28, v66, v66
	v_pk_add_f16 v29, v11, v23
	s_delay_alu instid0(VALU_DEP_2) | instskip(NEXT) | instid1(VALU_DEP_1)
	v_pk_min_f16 v27, v28, v27
	v_pk_min_f16 v29, v27, v29
	v_lshlrev_b64 v[27:28], 1, v[42:43]
	s_delay_alu instid0(VALU_DEP_2) | instskip(NEXT) | instid1(VALU_DEP_1)
	v_lshrrev_b32_e32 v30, 16, v29
	v_min3_f16 v29, v26, v29, v30
	s_delay_alu instid0(VALU_DEP_3) | instskip(NEXT) | instid1(VALU_DEP_4)
	v_add_co_u32 v26, vcc_lo, v20, v27
	v_add_co_ci_u32_e32 v27, vcc_lo, v21, v28, vcc_lo
	global_store_b16 v[26:27], v29, off
	s_or_b32 exec_lo, exec_lo, s15
	s_and_b32 s16, s6, s8
	s_delay_alu instid0(SALU_CYCLE_1)
	s_and_saveexec_b32 s15, s16
	s_cbranch_execz .LBB262_259
.LBB262_284:
	v_cmp_ne_u32_e32 vcc_lo, 1, v76
	s_cbranch_vccnz .LBB262_286
; %bb.285:
	v_lshlrev_b64 v[26:27], 1, v[44:45]
	s_delay_alu instid0(VALU_DEP_1) | instskip(NEXT) | instid1(VALU_DEP_2)
	v_add_co_u32 v26, vcc_lo, v24, v26
	v_add_co_ci_u32_e32 v27, vcc_lo, v25, v27, vcc_lo
	flat_load_u16 v26, v[26:27]
	s_waitcnt vmcnt(0) lgkmcnt(0)
	v_mul_f16_e32 v26, s19, v26
	s_branch .LBB262_287
.LBB262_286:
	v_mov_b32_e32 v26, 0
.LBB262_287:
	v_pk_add_f16 v27, v0, v22
	v_pk_max_f16 v28, v65, v65
	v_pk_add_f16 v29, v1, v23
	s_delay_alu instid0(VALU_DEP_2) | instskip(NEXT) | instid1(VALU_DEP_1)
	v_pk_min_f16 v27, v28, v27
	v_pk_min_f16 v29, v27, v29
	v_lshlrev_b64 v[27:28], 1, v[44:45]
	s_delay_alu instid0(VALU_DEP_2) | instskip(NEXT) | instid1(VALU_DEP_1)
	v_lshrrev_b32_e32 v30, 16, v29
	v_min3_f16 v29, v26, v29, v30
	s_delay_alu instid0(VALU_DEP_3) | instskip(NEXT) | instid1(VALU_DEP_4)
	v_add_co_u32 v26, vcc_lo, v20, v27
	v_add_co_ci_u32_e32 v27, vcc_lo, v21, v28, vcc_lo
	global_store_b16 v[26:27], v29, off
	s_or_b32 exec_lo, exec_lo, s15
	s_and_b32 s15, s7, s8
	s_delay_alu instid0(SALU_CYCLE_1)
	s_and_saveexec_b32 s8, s15
	s_cbranch_execz .LBB262_292
.LBB262_288:
	v_cmp_ne_u32_e32 vcc_lo, 1, v76
	s_cbranch_vccnz .LBB262_290
; %bb.289:
	v_lshlrev_b64 v[26:27], 1, v[46:47]
	s_delay_alu instid0(VALU_DEP_1) | instskip(NEXT) | instid1(VALU_DEP_2)
	v_add_co_u32 v24, vcc_lo, v24, v26
	v_add_co_ci_u32_e32 v25, vcc_lo, v25, v27, vcc_lo
	flat_load_u16 v24, v[24:25]
	s_waitcnt vmcnt(0) lgkmcnt(0)
	v_mul_f16_e32 v24, s19, v24
	s_branch .LBB262_291
.LBB262_290:
	v_mov_b32_e32 v24, 0
.LBB262_291:
	v_pk_add_f16 v22, v2, v22
	v_pk_max_f16 v25, v64, v64
	v_pk_add_f16 v23, v3, v23
	s_delay_alu instid0(VALU_DEP_2) | instskip(NEXT) | instid1(VALU_DEP_1)
	v_pk_min_f16 v22, v25, v22
	v_pk_min_f16 v25, v22, v23
	v_lshlrev_b64 v[22:23], 1, v[46:47]
	s_delay_alu instid0(VALU_DEP_2) | instskip(NEXT) | instid1(VALU_DEP_2)
	v_lshrrev_b32_e32 v26, 16, v25
	v_add_co_u32 v20, vcc_lo, v20, v22
	s_delay_alu instid0(VALU_DEP_3) | instskip(NEXT) | instid1(VALU_DEP_3)
	v_add_co_ci_u32_e32 v21, vcc_lo, v21, v23, vcc_lo
	v_min3_f16 v24, v24, v25, v26
	global_store_b16 v[20:21], v24, off
.LBB262_292:
	s_or_b32 exec_lo, exec_lo, s8
	v_add_nc_u32_e32 v24, 48, v83
	s_delay_alu instid0(VALU_DEP_1) | instskip(SKIP_2) | instid1(VALU_DEP_3)
	v_mad_i64_i32 v[20:21], null, v24, s14, 0
	v_mad_i64_i32 v[22:23], null, v24, s9, 0
	v_cmp_gt_i32_e64 s8, s17, v24
	v_lshlrev_b64 v[20:21], 1, v[20:21]
	s_delay_alu instid0(VALU_DEP_2) | instskip(NEXT) | instid1(VALU_DEP_3)
	s_and_b32 s16, s0, s8
	v_lshlrev_b64 v[24:25], 1, v[22:23]
	s_delay_alu instid0(VALU_DEP_2) | instskip(NEXT) | instid1(VALU_DEP_3)
	v_add_co_u32 v22, vcc_lo, s12, v20
	v_add_co_ci_u32_e32 v23, vcc_lo, s13, v21, vcc_lo
	s_delay_alu instid0(VALU_DEP_3) | instskip(NEXT) | instid1(VALU_DEP_4)
	v_add_co_u32 v20, vcc_lo, s10, v24
	v_add_co_ci_u32_e32 v21, vcc_lo, s11, v25, vcc_lo
	s_and_saveexec_b32 s15, s16
	s_cbranch_execnz .LBB262_300
; %bb.293:
	s_or_b32 exec_lo, exec_lo, s15
	s_and_b32 s16, s1, s8
	s_delay_alu instid0(SALU_CYCLE_1)
	s_and_saveexec_b32 s15, s16
	s_cbranch_execnz .LBB262_304
.LBB262_294:
	s_or_b32 exec_lo, exec_lo, s15
	s_and_b32 s16, s2, s8
	s_delay_alu instid0(SALU_CYCLE_1)
	s_and_saveexec_b32 s15, s16
	s_cbranch_execnz .LBB262_308
.LBB262_295:
	s_or_b32 exec_lo, exec_lo, s15
	s_and_b32 s16, s3, s8
	s_delay_alu instid0(SALU_CYCLE_1)
	s_and_saveexec_b32 s15, s16
	s_cbranch_execnz .LBB262_312
.LBB262_296:
	s_or_b32 exec_lo, exec_lo, s15
	s_and_b32 s16, s4, s8
	s_delay_alu instid0(SALU_CYCLE_1)
	s_and_saveexec_b32 s15, s16
	s_cbranch_execnz .LBB262_316
.LBB262_297:
	s_or_b32 exec_lo, exec_lo, s15
	s_and_b32 s16, s5, s8
	s_delay_alu instid0(SALU_CYCLE_1)
	s_and_saveexec_b32 s15, s16
	s_cbranch_execnz .LBB262_320
.LBB262_298:
	s_or_b32 exec_lo, exec_lo, s15
	s_and_b32 s16, s6, s8
	s_delay_alu instid0(SALU_CYCLE_1)
	s_and_saveexec_b32 s15, s16
	s_cbranch_execnz .LBB262_324
.LBB262_299:
	s_or_b32 exec_lo, exec_lo, s15
	s_and_b32 s15, s7, s8
	s_delay_alu instid0(SALU_CYCLE_1)
	s_and_saveexec_b32 s8, s15
	s_cbranch_execnz .LBB262_328
	s_branch .LBB262_332
.LBB262_300:
	v_cmp_ne_u32_e32 vcc_lo, 1, v76
	s_cbranch_vccnz .LBB262_302
; %bb.301:
	v_lshlrev_b64 v[24:25], 1, v[32:33]
	s_delay_alu instid0(VALU_DEP_1) | instskip(NEXT) | instid1(VALU_DEP_2)
	v_add_co_u32 v24, vcc_lo, v22, v24
	v_add_co_ci_u32_e32 v25, vcc_lo, v23, v25, vcc_lo
	flat_load_u16 v24, v[24:25]
	s_waitcnt vmcnt(0) lgkmcnt(0)
	v_mul_f16_e32 v24, s19, v24
	s_branch .LBB262_303
.LBB262_302:
	v_mov_b32_e32 v24, 0
.LBB262_303:
	v_pk_add_f16 v25, v16, v4
	v_pk_max_f16 v26, v63, v63
	v_pk_add_f16 v27, v17, v5
	s_delay_alu instid0(VALU_DEP_2) | instskip(NEXT) | instid1(VALU_DEP_1)
	v_pk_min_f16 v25, v26, v25
	v_pk_min_f16 v27, v25, v27
	v_lshlrev_b64 v[25:26], 1, v[32:33]
	s_delay_alu instid0(VALU_DEP_2) | instskip(NEXT) | instid1(VALU_DEP_1)
	v_lshrrev_b32_e32 v28, 16, v27
	v_min3_f16 v27, v24, v27, v28
	s_delay_alu instid0(VALU_DEP_3) | instskip(NEXT) | instid1(VALU_DEP_4)
	v_add_co_u32 v24, vcc_lo, v20, v25
	v_add_co_ci_u32_e32 v25, vcc_lo, v21, v26, vcc_lo
	global_store_b16 v[24:25], v27, off
	s_or_b32 exec_lo, exec_lo, s15
	s_and_b32 s16, s1, s8
	s_delay_alu instid0(SALU_CYCLE_1)
	s_and_saveexec_b32 s15, s16
	s_cbranch_execz .LBB262_294
.LBB262_304:
	v_cmp_ne_u32_e32 vcc_lo, 1, v76
	s_cbranch_vccnz .LBB262_306
; %bb.305:
	v_lshlrev_b64 v[24:25], 1, v[34:35]
	s_delay_alu instid0(VALU_DEP_1) | instskip(NEXT) | instid1(VALU_DEP_2)
	v_add_co_u32 v24, vcc_lo, v22, v24
	v_add_co_ci_u32_e32 v25, vcc_lo, v23, v25, vcc_lo
	flat_load_u16 v24, v[24:25]
	s_waitcnt vmcnt(0) lgkmcnt(0)
	v_mul_f16_e32 v24, s19, v24
	s_branch .LBB262_307
.LBB262_306:
	v_mov_b32_e32 v24, 0
.LBB262_307:
	v_pk_add_f16 v25, v18, v4
	v_pk_max_f16 v26, v62, v62
	v_pk_add_f16 v27, v19, v5
	s_delay_alu instid0(VALU_DEP_2) | instskip(NEXT) | instid1(VALU_DEP_1)
	v_pk_min_f16 v25, v26, v25
	v_pk_min_f16 v27, v25, v27
	v_lshlrev_b64 v[25:26], 1, v[34:35]
	s_delay_alu instid0(VALU_DEP_2) | instskip(NEXT) | instid1(VALU_DEP_1)
	v_lshrrev_b32_e32 v28, 16, v27
	v_min3_f16 v27, v24, v27, v28
	s_delay_alu instid0(VALU_DEP_3) | instskip(NEXT) | instid1(VALU_DEP_4)
	v_add_co_u32 v24, vcc_lo, v20, v25
	v_add_co_ci_u32_e32 v25, vcc_lo, v21, v26, vcc_lo
	global_store_b16 v[24:25], v27, off
	s_or_b32 exec_lo, exec_lo, s15
	s_and_b32 s16, s2, s8
	s_delay_alu instid0(SALU_CYCLE_1)
	s_and_saveexec_b32 s15, s16
	s_cbranch_execz .LBB262_295
.LBB262_308:
	v_cmp_ne_u32_e32 vcc_lo, 1, v76
	s_cbranch_vccnz .LBB262_310
; %bb.309:
	v_lshlrev_b64 v[24:25], 1, v[36:37]
	s_delay_alu instid0(VALU_DEP_1) | instskip(NEXT) | instid1(VALU_DEP_2)
	v_add_co_u32 v24, vcc_lo, v22, v24
	v_add_co_ci_u32_e32 v25, vcc_lo, v23, v25, vcc_lo
	flat_load_u16 v24, v[24:25]
	s_waitcnt vmcnt(0) lgkmcnt(0)
	v_mul_f16_e32 v24, s19, v24
	s_branch .LBB262_311
.LBB262_310:
	v_mov_b32_e32 v24, 0
.LBB262_311:
	v_pk_add_f16 v25, v12, v4
	v_pk_max_f16 v26, v61, v61
	v_pk_add_f16 v27, v13, v5
	s_delay_alu instid0(VALU_DEP_2) | instskip(NEXT) | instid1(VALU_DEP_1)
	v_pk_min_f16 v25, v26, v25
	v_pk_min_f16 v27, v25, v27
	v_lshlrev_b64 v[25:26], 1, v[36:37]
	s_delay_alu instid0(VALU_DEP_2) | instskip(NEXT) | instid1(VALU_DEP_1)
	v_lshrrev_b32_e32 v28, 16, v27
	v_min3_f16 v27, v24, v27, v28
	s_delay_alu instid0(VALU_DEP_3) | instskip(NEXT) | instid1(VALU_DEP_4)
	v_add_co_u32 v24, vcc_lo, v20, v25
	v_add_co_ci_u32_e32 v25, vcc_lo, v21, v26, vcc_lo
	global_store_b16 v[24:25], v27, off
	s_or_b32 exec_lo, exec_lo, s15
	s_and_b32 s16, s3, s8
	s_delay_alu instid0(SALU_CYCLE_1)
	s_and_saveexec_b32 s15, s16
	s_cbranch_execz .LBB262_296
.LBB262_312:
	v_cmp_ne_u32_e32 vcc_lo, 1, v76
	s_cbranch_vccnz .LBB262_314
; %bb.313:
	v_lshlrev_b64 v[24:25], 1, v[38:39]
	s_delay_alu instid0(VALU_DEP_1) | instskip(NEXT) | instid1(VALU_DEP_2)
	v_add_co_u32 v24, vcc_lo, v22, v24
	v_add_co_ci_u32_e32 v25, vcc_lo, v23, v25, vcc_lo
	flat_load_u16 v24, v[24:25]
	s_waitcnt vmcnt(0) lgkmcnt(0)
	v_mul_f16_e32 v24, s19, v24
	s_branch .LBB262_315
.LBB262_314:
	v_mov_b32_e32 v24, 0
.LBB262_315:
	v_pk_add_f16 v25, v14, v4
	v_pk_max_f16 v26, v60, v60
	v_pk_add_f16 v27, v15, v5
	s_delay_alu instid0(VALU_DEP_2) | instskip(NEXT) | instid1(VALU_DEP_1)
	v_pk_min_f16 v25, v26, v25
	v_pk_min_f16 v27, v25, v27
	v_lshlrev_b64 v[25:26], 1, v[38:39]
	s_delay_alu instid0(VALU_DEP_2) | instskip(NEXT) | instid1(VALU_DEP_1)
	v_lshrrev_b32_e32 v28, 16, v27
	v_min3_f16 v27, v24, v27, v28
	s_delay_alu instid0(VALU_DEP_3) | instskip(NEXT) | instid1(VALU_DEP_4)
	v_add_co_u32 v24, vcc_lo, v20, v25
	v_add_co_ci_u32_e32 v25, vcc_lo, v21, v26, vcc_lo
	global_store_b16 v[24:25], v27, off
	s_or_b32 exec_lo, exec_lo, s15
	s_and_b32 s16, s4, s8
	s_delay_alu instid0(SALU_CYCLE_1)
	s_and_saveexec_b32 s15, s16
	s_cbranch_execz .LBB262_297
.LBB262_316:
	v_cmp_ne_u32_e32 vcc_lo, 1, v76
	s_cbranch_vccnz .LBB262_318
; %bb.317:
	v_lshlrev_b64 v[24:25], 1, v[40:41]
	s_delay_alu instid0(VALU_DEP_1) | instskip(NEXT) | instid1(VALU_DEP_2)
	v_add_co_u32 v24, vcc_lo, v22, v24
	v_add_co_ci_u32_e32 v25, vcc_lo, v23, v25, vcc_lo
	flat_load_u16 v24, v[24:25]
	s_waitcnt vmcnt(0) lgkmcnt(0)
	v_mul_f16_e32 v24, s19, v24
	s_branch .LBB262_319
.LBB262_318:
	v_mov_b32_e32 v24, 0
.LBB262_319:
	v_pk_add_f16 v25, v8, v4
	v_pk_max_f16 v26, v59, v59
	v_pk_add_f16 v27, v9, v5
	s_delay_alu instid0(VALU_DEP_2) | instskip(NEXT) | instid1(VALU_DEP_1)
	v_pk_min_f16 v25, v26, v25
	v_pk_min_f16 v27, v25, v27
	v_lshlrev_b64 v[25:26], 1, v[40:41]
	s_delay_alu instid0(VALU_DEP_2) | instskip(NEXT) | instid1(VALU_DEP_1)
	v_lshrrev_b32_e32 v28, 16, v27
	v_min3_f16 v27, v24, v27, v28
	s_delay_alu instid0(VALU_DEP_3) | instskip(NEXT) | instid1(VALU_DEP_4)
	v_add_co_u32 v24, vcc_lo, v20, v25
	v_add_co_ci_u32_e32 v25, vcc_lo, v21, v26, vcc_lo
	global_store_b16 v[24:25], v27, off
	s_or_b32 exec_lo, exec_lo, s15
	s_and_b32 s16, s5, s8
	s_delay_alu instid0(SALU_CYCLE_1)
	s_and_saveexec_b32 s15, s16
	s_cbranch_execz .LBB262_298
.LBB262_320:
	v_cmp_ne_u32_e32 vcc_lo, 1, v76
	s_cbranch_vccnz .LBB262_322
; %bb.321:
	v_lshlrev_b64 v[24:25], 1, v[42:43]
	s_delay_alu instid0(VALU_DEP_1) | instskip(NEXT) | instid1(VALU_DEP_2)
	v_add_co_u32 v24, vcc_lo, v22, v24
	v_add_co_ci_u32_e32 v25, vcc_lo, v23, v25, vcc_lo
	flat_load_u16 v24, v[24:25]
	s_waitcnt vmcnt(0) lgkmcnt(0)
	v_mul_f16_e32 v24, s19, v24
	s_branch .LBB262_323
.LBB262_322:
	v_mov_b32_e32 v24, 0
.LBB262_323:
	v_pk_add_f16 v25, v10, v4
	v_pk_max_f16 v26, v58, v58
	v_pk_add_f16 v27, v11, v5
	s_delay_alu instid0(VALU_DEP_2) | instskip(NEXT) | instid1(VALU_DEP_1)
	v_pk_min_f16 v25, v26, v25
	v_pk_min_f16 v27, v25, v27
	v_lshlrev_b64 v[25:26], 1, v[42:43]
	s_delay_alu instid0(VALU_DEP_2) | instskip(NEXT) | instid1(VALU_DEP_1)
	v_lshrrev_b32_e32 v28, 16, v27
	v_min3_f16 v27, v24, v27, v28
	s_delay_alu instid0(VALU_DEP_3) | instskip(NEXT) | instid1(VALU_DEP_4)
	v_add_co_u32 v24, vcc_lo, v20, v25
	v_add_co_ci_u32_e32 v25, vcc_lo, v21, v26, vcc_lo
	global_store_b16 v[24:25], v27, off
	s_or_b32 exec_lo, exec_lo, s15
	s_and_b32 s16, s6, s8
	s_delay_alu instid0(SALU_CYCLE_1)
	s_and_saveexec_b32 s15, s16
	s_cbranch_execz .LBB262_299
.LBB262_324:
	v_cmp_ne_u32_e32 vcc_lo, 1, v76
	s_cbranch_vccnz .LBB262_326
; %bb.325:
	v_lshlrev_b64 v[24:25], 1, v[44:45]
	s_delay_alu instid0(VALU_DEP_1) | instskip(NEXT) | instid1(VALU_DEP_2)
	v_add_co_u32 v24, vcc_lo, v22, v24
	v_add_co_ci_u32_e32 v25, vcc_lo, v23, v25, vcc_lo
	flat_load_u16 v24, v[24:25]
	s_waitcnt vmcnt(0) lgkmcnt(0)
	v_mul_f16_e32 v24, s19, v24
	s_branch .LBB262_327
.LBB262_326:
	v_mov_b32_e32 v24, 0
.LBB262_327:
	v_pk_add_f16 v25, v0, v4
	v_pk_max_f16 v26, v57, v57
	v_pk_add_f16 v27, v1, v5
	s_delay_alu instid0(VALU_DEP_2) | instskip(NEXT) | instid1(VALU_DEP_1)
	v_pk_min_f16 v25, v26, v25
	v_pk_min_f16 v27, v25, v27
	v_lshlrev_b64 v[25:26], 1, v[44:45]
	s_delay_alu instid0(VALU_DEP_2) | instskip(NEXT) | instid1(VALU_DEP_1)
	v_lshrrev_b32_e32 v28, 16, v27
	v_min3_f16 v27, v24, v27, v28
	s_delay_alu instid0(VALU_DEP_3) | instskip(NEXT) | instid1(VALU_DEP_4)
	v_add_co_u32 v24, vcc_lo, v20, v25
	v_add_co_ci_u32_e32 v25, vcc_lo, v21, v26, vcc_lo
	global_store_b16 v[24:25], v27, off
	s_or_b32 exec_lo, exec_lo, s15
	s_and_b32 s15, s7, s8
	s_delay_alu instid0(SALU_CYCLE_1)
	s_and_saveexec_b32 s8, s15
	s_cbranch_execz .LBB262_332
.LBB262_328:
	v_cmp_ne_u32_e32 vcc_lo, 1, v76
	s_cbranch_vccnz .LBB262_330
; %bb.329:
	v_lshlrev_b64 v[24:25], 1, v[46:47]
	s_delay_alu instid0(VALU_DEP_1) | instskip(NEXT) | instid1(VALU_DEP_2)
	v_add_co_u32 v22, vcc_lo, v22, v24
	v_add_co_ci_u32_e32 v23, vcc_lo, v23, v25, vcc_lo
	flat_load_u16 v22, v[22:23]
	s_waitcnt vmcnt(0) lgkmcnt(0)
	v_mul_f16_e32 v22, s19, v22
	s_branch .LBB262_331
.LBB262_330:
	v_mov_b32_e32 v22, 0
.LBB262_331:
	v_pk_add_f16 v4, v2, v4
	v_pk_max_f16 v23, v56, v56
	v_pk_add_f16 v5, v3, v5
	s_delay_alu instid0(VALU_DEP_2) | instskip(NEXT) | instid1(VALU_DEP_1)
	v_pk_min_f16 v4, v23, v4
	v_pk_min_f16 v23, v4, v5
	v_lshlrev_b64 v[4:5], 1, v[46:47]
	s_delay_alu instid0(VALU_DEP_2) | instskip(NEXT) | instid1(VALU_DEP_2)
	v_lshrrev_b32_e32 v24, 16, v23
	v_add_co_u32 v4, vcc_lo, v20, v4
	s_delay_alu instid0(VALU_DEP_3) | instskip(NEXT) | instid1(VALU_DEP_3)
	v_add_co_ci_u32_e32 v5, vcc_lo, v21, v5, vcc_lo
	v_min3_f16 v22, v22, v23, v24
	global_store_b16 v[4:5], v22, off
.LBB262_332:
	s_or_b32 exec_lo, exec_lo, s8
	v_add_nc_u32_e32 v22, 56, v83
	s_delay_alu instid0(VALU_DEP_1) | instskip(SKIP_2) | instid1(VALU_DEP_3)
	v_mad_i64_i32 v[4:5], null, v22, s14, 0
	v_mad_i64_i32 v[20:21], null, v22, s9, 0
	v_cmp_gt_i32_e64 s8, s17, v22
	v_lshlrev_b64 v[4:5], 1, v[4:5]
	s_delay_alu instid0(VALU_DEP_2) | instskip(NEXT) | instid1(VALU_DEP_3)
	s_and_b32 s9, s0, s8
	v_lshlrev_b64 v[20:21], 1, v[20:21]
	s_delay_alu instid0(VALU_DEP_2) | instskip(NEXT) | instid1(VALU_DEP_3)
	v_add_co_u32 v22, vcc_lo, s12, v4
	v_add_co_ci_u32_e32 v23, vcc_lo, s13, v5, vcc_lo
	s_delay_alu instid0(VALU_DEP_3) | instskip(NEXT) | instid1(VALU_DEP_4)
	v_add_co_u32 v20, vcc_lo, s10, v20
	v_add_co_ci_u32_e32 v21, vcc_lo, s11, v21, vcc_lo
	s_and_saveexec_b32 s0, s9
	s_cbranch_execnz .LBB262_341
; %bb.333:
	s_or_b32 exec_lo, exec_lo, s0
	s_and_b32 s1, s1, s8
	s_delay_alu instid0(SALU_CYCLE_1)
	s_and_saveexec_b32 s0, s1
	s_cbranch_execnz .LBB262_345
.LBB262_334:
	s_or_b32 exec_lo, exec_lo, s0
	s_and_b32 s1, s2, s8
	s_delay_alu instid0(SALU_CYCLE_1)
	s_and_saveexec_b32 s0, s1
	s_cbranch_execnz .LBB262_349
.LBB262_335:
	s_or_b32 exec_lo, exec_lo, s0
	s_and_b32 s1, s3, s8
	s_delay_alu instid0(SALU_CYCLE_1)
	s_and_saveexec_b32 s0, s1
	s_cbranch_execnz .LBB262_353
.LBB262_336:
	s_or_b32 exec_lo, exec_lo, s0
	s_and_b32 s1, s4, s8
	s_delay_alu instid0(SALU_CYCLE_1)
	s_and_saveexec_b32 s0, s1
	s_cbranch_execnz .LBB262_357
.LBB262_337:
	s_or_b32 exec_lo, exec_lo, s0
	s_and_b32 s1, s5, s8
	s_delay_alu instid0(SALU_CYCLE_1)
	s_and_saveexec_b32 s0, s1
	s_cbranch_execnz .LBB262_361
.LBB262_338:
	s_or_b32 exec_lo, exec_lo, s0
	s_and_b32 s1, s6, s8
	s_delay_alu instid0(SALU_CYCLE_1)
	s_and_saveexec_b32 s0, s1
	s_cbranch_execnz .LBB262_365
.LBB262_339:
	s_or_b32 exec_lo, exec_lo, s0
	s_and_b32 s0, s7, s8
	s_delay_alu instid0(SALU_CYCLE_1)
	s_and_saveexec_b32 s1, s0
	s_cbranch_execnz .LBB262_369
.LBB262_340:
	s_nop 0
	s_sendmsg sendmsg(MSG_DEALLOC_VGPRS)
	s_endpgm
.LBB262_341:
	v_cmp_ne_u32_e32 vcc_lo, 1, v76
	v_lshlrev_b64 v[4:5], 1, v[32:33]
	s_cbranch_vccnz .LBB262_343
; %bb.342:
	s_delay_alu instid0(VALU_DEP_1) | instskip(NEXT) | instid1(VALU_DEP_2)
	v_add_co_u32 v24, vcc_lo, v22, v4
	v_add_co_ci_u32_e32 v25, vcc_lo, v23, v5, vcc_lo
	flat_load_u16 v24, v[24:25]
	s_waitcnt vmcnt(0) lgkmcnt(0)
	v_mul_f16_e32 v24, s19, v24
	s_branch .LBB262_344
.LBB262_343:
	v_mov_b32_e32 v24, 0
.LBB262_344:
	v_pk_add_f16 v16, v16, v6
	v_pk_max_f16 v25, v54, v54
	v_pk_add_f16 v17, v17, v7
	v_add_co_u32 v4, vcc_lo, v20, v4
	v_add_co_ci_u32_e32 v5, vcc_lo, v21, v5, vcc_lo
	s_delay_alu instid0(VALU_DEP_4) | instskip(NEXT) | instid1(VALU_DEP_1)
	v_pk_min_f16 v16, v25, v16
	v_pk_min_f16 v16, v16, v17
	s_delay_alu instid0(VALU_DEP_1) | instskip(NEXT) | instid1(VALU_DEP_1)
	v_lshrrev_b32_e32 v17, 16, v16
	v_min3_f16 v16, v24, v16, v17
	global_store_b16 v[4:5], v16, off
	s_or_b32 exec_lo, exec_lo, s0
	s_and_b32 s1, s1, s8
	s_delay_alu instid0(SALU_CYCLE_1)
	s_and_saveexec_b32 s0, s1
	s_cbranch_execz .LBB262_334
.LBB262_345:
	v_cmp_ne_u32_e32 vcc_lo, 1, v76
	v_lshlrev_b64 v[4:5], 1, v[34:35]
	s_cbranch_vccnz .LBB262_347
; %bb.346:
	s_delay_alu instid0(VALU_DEP_1) | instskip(NEXT) | instid1(VALU_DEP_2)
	v_add_co_u32 v16, vcc_lo, v22, v4
	v_add_co_ci_u32_e32 v17, vcc_lo, v23, v5, vcc_lo
	flat_load_u16 v16, v[16:17]
	s_waitcnt vmcnt(0) lgkmcnt(0)
	v_mul_f16_e32 v16, s19, v16
	s_branch .LBB262_348
.LBB262_347:
	v_mov_b32_e32 v16, 0
.LBB262_348:
	v_pk_add_f16 v17, v18, v6
	v_pk_max_f16 v18, v52, v52
	v_pk_add_f16 v19, v19, v7
	v_add_co_u32 v4, vcc_lo, v20, v4
	v_add_co_ci_u32_e32 v5, vcc_lo, v21, v5, vcc_lo
	s_delay_alu instid0(VALU_DEP_4) | instskip(NEXT) | instid1(VALU_DEP_1)
	v_pk_min_f16 v17, v18, v17
	v_pk_min_f16 v17, v17, v19
	s_delay_alu instid0(VALU_DEP_1) | instskip(NEXT) | instid1(VALU_DEP_1)
	v_lshrrev_b32_e32 v18, 16, v17
	v_min3_f16 v16, v16, v17, v18
	global_store_b16 v[4:5], v16, off
	s_or_b32 exec_lo, exec_lo, s0
	s_and_b32 s1, s2, s8
	s_delay_alu instid0(SALU_CYCLE_1)
	s_and_saveexec_b32 s0, s1
	s_cbranch_execz .LBB262_335
.LBB262_349:
	v_cmp_ne_u32_e32 vcc_lo, 1, v76
	v_lshlrev_b64 v[4:5], 1, v[36:37]
	s_cbranch_vccnz .LBB262_351
; %bb.350:
	s_delay_alu instid0(VALU_DEP_1) | instskip(NEXT) | instid1(VALU_DEP_2)
	v_add_co_u32 v16, vcc_lo, v22, v4
	v_add_co_ci_u32_e32 v17, vcc_lo, v23, v5, vcc_lo
	flat_load_u16 v16, v[16:17]
	s_waitcnt vmcnt(0) lgkmcnt(0)
	v_mul_f16_e32 v16, s19, v16
	s_branch .LBB262_352
.LBB262_351:
	v_mov_b32_e32 v16, 0
.LBB262_352:
	v_pk_add_f16 v12, v12, v6
	v_pk_max_f16 v17, v50, v50
	v_pk_add_f16 v13, v13, v7
	v_add_co_u32 v4, vcc_lo, v20, v4
	v_add_co_ci_u32_e32 v5, vcc_lo, v21, v5, vcc_lo
	s_delay_alu instid0(VALU_DEP_4) | instskip(NEXT) | instid1(VALU_DEP_1)
	v_pk_min_f16 v12, v17, v12
	v_pk_min_f16 v12, v12, v13
	s_delay_alu instid0(VALU_DEP_1) | instskip(NEXT) | instid1(VALU_DEP_1)
	v_lshrrev_b32_e32 v13, 16, v12
	v_min3_f16 v12, v16, v12, v13
	global_store_b16 v[4:5], v12, off
	s_or_b32 exec_lo, exec_lo, s0
	s_and_b32 s1, s3, s8
	s_delay_alu instid0(SALU_CYCLE_1)
	s_and_saveexec_b32 s0, s1
	s_cbranch_execz .LBB262_336
.LBB262_353:
	v_cmp_ne_u32_e32 vcc_lo, 1, v76
	v_lshlrev_b64 v[4:5], 1, v[38:39]
	s_cbranch_vccnz .LBB262_355
; %bb.354:
	s_delay_alu instid0(VALU_DEP_1) | instskip(NEXT) | instid1(VALU_DEP_2)
	v_add_co_u32 v12, vcc_lo, v22, v4
	v_add_co_ci_u32_e32 v13, vcc_lo, v23, v5, vcc_lo
	flat_load_u16 v12, v[12:13]
	s_waitcnt vmcnt(0) lgkmcnt(0)
	v_mul_f16_e32 v12, s19, v12
	s_branch .LBB262_356
.LBB262_355:
	v_mov_b32_e32 v12, 0
.LBB262_356:
	v_pk_add_f16 v13, v14, v6
	v_pk_max_f16 v14, v55, v55
	v_pk_add_f16 v15, v15, v7
	v_add_co_u32 v4, vcc_lo, v20, v4
	v_add_co_ci_u32_e32 v5, vcc_lo, v21, v5, vcc_lo
	s_delay_alu instid0(VALU_DEP_4) | instskip(NEXT) | instid1(VALU_DEP_1)
	v_pk_min_f16 v13, v14, v13
	v_pk_min_f16 v13, v13, v15
	s_delay_alu instid0(VALU_DEP_1) | instskip(NEXT) | instid1(VALU_DEP_1)
	v_lshrrev_b32_e32 v14, 16, v13
	v_min3_f16 v12, v12, v13, v14
	global_store_b16 v[4:5], v12, off
	s_or_b32 exec_lo, exec_lo, s0
	s_and_b32 s1, s4, s8
	s_delay_alu instid0(SALU_CYCLE_1)
	s_and_saveexec_b32 s0, s1
	s_cbranch_execz .LBB262_337
.LBB262_357:
	v_cmp_ne_u32_e32 vcc_lo, 1, v76
	v_lshlrev_b64 v[4:5], 1, v[40:41]
	s_cbranch_vccnz .LBB262_359
; %bb.358:
	s_delay_alu instid0(VALU_DEP_1) | instskip(NEXT) | instid1(VALU_DEP_2)
	v_add_co_u32 v12, vcc_lo, v22, v4
	v_add_co_ci_u32_e32 v13, vcc_lo, v23, v5, vcc_lo
	flat_load_u16 v12, v[12:13]
	s_waitcnt vmcnt(0) lgkmcnt(0)
	v_mul_f16_e32 v12, s19, v12
	s_branch .LBB262_360
.LBB262_359:
	v_mov_b32_e32 v12, 0
.LBB262_360:
	v_pk_add_f16 v8, v8, v6
	v_pk_max_f16 v13, v53, v53
	v_pk_add_f16 v9, v9, v7
	v_add_co_u32 v4, vcc_lo, v20, v4
	v_add_co_ci_u32_e32 v5, vcc_lo, v21, v5, vcc_lo
	s_delay_alu instid0(VALU_DEP_4) | instskip(NEXT) | instid1(VALU_DEP_1)
	v_pk_min_f16 v8, v13, v8
	v_pk_min_f16 v8, v8, v9
	s_delay_alu instid0(VALU_DEP_1) | instskip(NEXT) | instid1(VALU_DEP_1)
	v_lshrrev_b32_e32 v9, 16, v8
	v_min3_f16 v8, v12, v8, v9
	global_store_b16 v[4:5], v8, off
	s_or_b32 exec_lo, exec_lo, s0
	s_and_b32 s1, s5, s8
	s_delay_alu instid0(SALU_CYCLE_1)
	s_and_saveexec_b32 s0, s1
	s_cbranch_execz .LBB262_338
.LBB262_361:
	v_cmp_ne_u32_e32 vcc_lo, 1, v76
	v_lshlrev_b64 v[4:5], 1, v[42:43]
	s_cbranch_vccnz .LBB262_363
; %bb.362:
	s_delay_alu instid0(VALU_DEP_1) | instskip(NEXT) | instid1(VALU_DEP_2)
	v_add_co_u32 v8, vcc_lo, v22, v4
	v_add_co_ci_u32_e32 v9, vcc_lo, v23, v5, vcc_lo
	flat_load_u16 v8, v[8:9]
	s_waitcnt vmcnt(0) lgkmcnt(0)
	v_mul_f16_e32 v8, s19, v8
	s_branch .LBB262_364
.LBB262_363:
	v_mov_b32_e32 v8, 0
.LBB262_364:
	v_pk_add_f16 v9, v10, v6
	v_pk_max_f16 v10, v51, v51
	v_pk_add_f16 v11, v11, v7
	v_add_co_u32 v4, vcc_lo, v20, v4
	v_add_co_ci_u32_e32 v5, vcc_lo, v21, v5, vcc_lo
	s_delay_alu instid0(VALU_DEP_4) | instskip(NEXT) | instid1(VALU_DEP_1)
	v_pk_min_f16 v9, v10, v9
	v_pk_min_f16 v9, v9, v11
	s_delay_alu instid0(VALU_DEP_1) | instskip(NEXT) | instid1(VALU_DEP_1)
	v_lshrrev_b32_e32 v10, 16, v9
	v_min3_f16 v8, v8, v9, v10
	global_store_b16 v[4:5], v8, off
	s_or_b32 exec_lo, exec_lo, s0
	s_and_b32 s1, s6, s8
	s_delay_alu instid0(SALU_CYCLE_1)
	s_and_saveexec_b32 s0, s1
	s_cbranch_execz .LBB262_339
.LBB262_365:
	v_cmp_ne_u32_e32 vcc_lo, 1, v76
	v_lshlrev_b64 v[4:5], 1, v[44:45]
	s_cbranch_vccnz .LBB262_367
; %bb.366:
	s_delay_alu instid0(VALU_DEP_1) | instskip(NEXT) | instid1(VALU_DEP_2)
	v_add_co_u32 v8, vcc_lo, v22, v4
	v_add_co_ci_u32_e32 v9, vcc_lo, v23, v5, vcc_lo
	flat_load_u16 v8, v[8:9]
	s_waitcnt vmcnt(0) lgkmcnt(0)
	v_mul_f16_e32 v8, s19, v8
	s_branch .LBB262_368
.LBB262_367:
	v_mov_b32_e32 v8, 0
.LBB262_368:
	v_pk_add_f16 v0, v0, v6
	v_pk_max_f16 v9, v49, v49
	v_pk_add_f16 v1, v1, v7
	s_delay_alu instid0(VALU_DEP_2) | instskip(NEXT) | instid1(VALU_DEP_1)
	v_pk_min_f16 v0, v9, v0
	v_pk_min_f16 v0, v0, v1
	s_delay_alu instid0(VALU_DEP_1) | instskip(NEXT) | instid1(VALU_DEP_1)
	v_lshrrev_b32_e32 v1, 16, v0
	v_min3_f16 v8, v8, v0, v1
	v_add_co_u32 v0, vcc_lo, v20, v4
	v_add_co_ci_u32_e32 v1, vcc_lo, v21, v5, vcc_lo
	global_store_b16 v[0:1], v8, off
	s_or_b32 exec_lo, exec_lo, s0
	s_and_b32 s0, s7, s8
	s_delay_alu instid0(SALU_CYCLE_1)
	s_and_saveexec_b32 s1, s0
	s_cbranch_execz .LBB262_340
.LBB262_369:
	v_cmp_ne_u32_e32 vcc_lo, 1, v76
	v_lshlrev_b64 v[0:1], 1, v[46:47]
	s_cbranch_vccnz .LBB262_371
; %bb.370:
	s_delay_alu instid0(VALU_DEP_1) | instskip(NEXT) | instid1(VALU_DEP_2)
	v_add_co_u32 v4, vcc_lo, v22, v0
	v_add_co_ci_u32_e32 v5, vcc_lo, v23, v1, vcc_lo
	flat_load_u16 v4, v[4:5]
	s_waitcnt vmcnt(0) lgkmcnt(0)
	v_mul_f16_e32 v4, s19, v4
	s_branch .LBB262_372
.LBB262_371:
	v_mov_b32_e32 v4, 0
.LBB262_372:
	v_pk_add_f16 v2, v2, v6
	v_pk_max_f16 v5, v48, v48
	v_pk_add_f16 v3, v3, v7
	v_add_co_u32 v0, vcc_lo, v20, v0
	v_add_co_ci_u32_e32 v1, vcc_lo, v21, v1, vcc_lo
	s_delay_alu instid0(VALU_DEP_4) | instskip(NEXT) | instid1(VALU_DEP_1)
	v_pk_min_f16 v2, v5, v2
	v_pk_min_f16 v2, v2, v3
	s_delay_alu instid0(VALU_DEP_1) | instskip(NEXT) | instid1(VALU_DEP_1)
	v_lshrrev_b32_e32 v3, 16, v2
	v_min3_f16 v2, v4, v2, v3
	global_store_b16 v[0:1], v2, off
	s_nop 0
	s_sendmsg sendmsg(MSG_DEALLOC_VGPRS)
	s_endpgm
	.section	.rodata,"a",@progbits
	.p2align	6, 0x0
	.amdhsa_kernel _ZN12_GLOBAL__N_120geam_min_plus_kernelIDF16_Dv2_DF16_S1_Li32ELi8ELi256ELi64ELi4ELi64ELi4ELi4ELi64ELc78ELc78ELb1ELb1ELb1EDF16_KDF16_DF16_EEviiiT16_PT17_ilS5_ilS3_S5_ilPT18_ili26rocblas_geam_ex_operation_
		.amdhsa_group_segment_fixed_size 5120
		.amdhsa_private_segment_fixed_size 0
		.amdhsa_kernarg_size 128
		.amdhsa_user_sgpr_count 14
		.amdhsa_user_sgpr_dispatch_ptr 0
		.amdhsa_user_sgpr_queue_ptr 0
		.amdhsa_user_sgpr_kernarg_segment_ptr 1
		.amdhsa_user_sgpr_dispatch_id 0
		.amdhsa_user_sgpr_private_segment_size 0
		.amdhsa_wavefront_size32 1
		.amdhsa_uses_dynamic_stack 0
		.amdhsa_enable_private_segment 0
		.amdhsa_system_sgpr_workgroup_id_x 1
		.amdhsa_system_sgpr_workgroup_id_y 0
		.amdhsa_system_sgpr_workgroup_id_z 1
		.amdhsa_system_sgpr_workgroup_info 0
		.amdhsa_system_vgpr_workitem_id 1
		.amdhsa_next_free_vgpr 150
		.amdhsa_next_free_sgpr 29
		.amdhsa_reserve_vcc 1
		.amdhsa_float_round_mode_32 0
		.amdhsa_float_round_mode_16_64 0
		.amdhsa_float_denorm_mode_32 3
		.amdhsa_float_denorm_mode_16_64 3
		.amdhsa_dx10_clamp 1
		.amdhsa_ieee_mode 1
		.amdhsa_fp16_overflow 0
		.amdhsa_workgroup_processor_mode 1
		.amdhsa_memory_ordered 1
		.amdhsa_forward_progress 0
		.amdhsa_shared_vgpr_count 0
		.amdhsa_exception_fp_ieee_invalid_op 0
		.amdhsa_exception_fp_denorm_src 0
		.amdhsa_exception_fp_ieee_div_zero 0
		.amdhsa_exception_fp_ieee_overflow 0
		.amdhsa_exception_fp_ieee_underflow 0
		.amdhsa_exception_fp_ieee_inexact 0
		.amdhsa_exception_int_div_zero 0
	.end_amdhsa_kernel
	.section	.text._ZN12_GLOBAL__N_120geam_min_plus_kernelIDF16_Dv2_DF16_S1_Li32ELi8ELi256ELi64ELi4ELi64ELi4ELi4ELi64ELc78ELc78ELb1ELb1ELb1EDF16_KDF16_DF16_EEviiiT16_PT17_ilS5_ilS3_S5_ilPT18_ili26rocblas_geam_ex_operation_,"axG",@progbits,_ZN12_GLOBAL__N_120geam_min_plus_kernelIDF16_Dv2_DF16_S1_Li32ELi8ELi256ELi64ELi4ELi64ELi4ELi4ELi64ELc78ELc78ELb1ELb1ELb1EDF16_KDF16_DF16_EEviiiT16_PT17_ilS5_ilS3_S5_ilPT18_ili26rocblas_geam_ex_operation_,comdat
.Lfunc_end262:
	.size	_ZN12_GLOBAL__N_120geam_min_plus_kernelIDF16_Dv2_DF16_S1_Li32ELi8ELi256ELi64ELi4ELi64ELi4ELi4ELi64ELc78ELc78ELb1ELb1ELb1EDF16_KDF16_DF16_EEviiiT16_PT17_ilS5_ilS3_S5_ilPT18_ili26rocblas_geam_ex_operation_, .Lfunc_end262-_ZN12_GLOBAL__N_120geam_min_plus_kernelIDF16_Dv2_DF16_S1_Li32ELi8ELi256ELi64ELi4ELi64ELi4ELi4ELi64ELc78ELc78ELb1ELb1ELb1EDF16_KDF16_DF16_EEviiiT16_PT17_ilS5_ilS3_S5_ilPT18_ili26rocblas_geam_ex_operation_
                                        ; -- End function
	.section	.AMDGPU.csdata,"",@progbits
; Kernel info:
; codeLenInByte = 22956
; NumSgprs: 31
; NumVgprs: 150
; ScratchSize: 0
; MemoryBound: 0
; FloatMode: 240
; IeeeMode: 1
; LDSByteSize: 5120 bytes/workgroup (compile time only)
; SGPRBlocks: 3
; VGPRBlocks: 18
; NumSGPRsForWavesPerEU: 31
; NumVGPRsForWavesPerEU: 150
; Occupancy: 9
; WaveLimiterHint : 0
; COMPUTE_PGM_RSRC2:SCRATCH_EN: 0
; COMPUTE_PGM_RSRC2:USER_SGPR: 14
; COMPUTE_PGM_RSRC2:TRAP_HANDLER: 0
; COMPUTE_PGM_RSRC2:TGID_X_EN: 1
; COMPUTE_PGM_RSRC2:TGID_Y_EN: 0
; COMPUTE_PGM_RSRC2:TGID_Z_EN: 1
; COMPUTE_PGM_RSRC2:TIDIG_COMP_CNT: 1
	.section	.text._ZN12_GLOBAL__N_120geam_min_plus_kernelIDF16_Dv2_DF16_S1_Li32ELi8ELi256ELi64ELi4ELi64ELi4ELi4ELi64ELc78ELc78ELb0ELb1ELb1EDF16_KDF16_DF16_EEviiiT16_PT17_ilS5_ilS3_S5_ilPT18_ili26rocblas_geam_ex_operation_,"axG",@progbits,_ZN12_GLOBAL__N_120geam_min_plus_kernelIDF16_Dv2_DF16_S1_Li32ELi8ELi256ELi64ELi4ELi64ELi4ELi4ELi64ELc78ELc78ELb0ELb1ELb1EDF16_KDF16_DF16_EEviiiT16_PT17_ilS5_ilS3_S5_ilPT18_ili26rocblas_geam_ex_operation_,comdat
	.globl	_ZN12_GLOBAL__N_120geam_min_plus_kernelIDF16_Dv2_DF16_S1_Li32ELi8ELi256ELi64ELi4ELi64ELi4ELi4ELi64ELc78ELc78ELb0ELb1ELb1EDF16_KDF16_DF16_EEviiiT16_PT17_ilS5_ilS3_S5_ilPT18_ili26rocblas_geam_ex_operation_ ; -- Begin function _ZN12_GLOBAL__N_120geam_min_plus_kernelIDF16_Dv2_DF16_S1_Li32ELi8ELi256ELi64ELi4ELi64ELi4ELi4ELi64ELc78ELc78ELb0ELb1ELb1EDF16_KDF16_DF16_EEviiiT16_PT17_ilS5_ilS3_S5_ilPT18_ili26rocblas_geam_ex_operation_
	.p2align	8
	.type	_ZN12_GLOBAL__N_120geam_min_plus_kernelIDF16_Dv2_DF16_S1_Li32ELi8ELi256ELi64ELi4ELi64ELi4ELi4ELi64ELc78ELc78ELb0ELb1ELb1EDF16_KDF16_DF16_EEviiiT16_PT17_ilS5_ilS3_S5_ilPT18_ili26rocblas_geam_ex_operation_,@function
_ZN12_GLOBAL__N_120geam_min_plus_kernelIDF16_Dv2_DF16_S1_Li32ELi8ELi256ELi64ELi4ELi64ELi4ELi4ELi64ELc78ELc78ELb0ELb1ELb1EDF16_KDF16_DF16_EEviiiT16_PT17_ilS5_ilS3_S5_ilPT18_ili26rocblas_geam_ex_operation_: ; @_ZN12_GLOBAL__N_120geam_min_plus_kernelIDF16_Dv2_DF16_S1_Li32ELi8ELi256ELi64ELi4ELi64ELi4ELi4ELi64ELc78ELc78ELb0ELb1ELb1EDF16_KDF16_DF16_EEviiiT16_PT17_ilS5_ilS3_S5_ilPT18_ili26rocblas_geam_ex_operation_
; %bb.0:
	s_clause 0x1
	s_load_b128 s[16:19], s[0:1], 0x0
	s_load_b128 s[4:7], s[0:1], 0x20
	s_waitcnt lgkmcnt(0)
	v_cmp_eq_f16_e64 s2, s19, 0
	s_delay_alu instid0(VALU_DEP_1)
	s_and_b32 vcc_lo, exec_lo, s2
	s_cbranch_vccnz .LBB263_3
; %bb.1:
	s_load_b64 s[8:9], s[0:1], 0x10
	s_mul_i32 s3, s15, s5
	s_mul_hi_u32 s5, s15, s4
	s_mul_i32 s4, s15, s4
	s_add_i32 s5, s5, s3
	s_delay_alu instid0(SALU_CYCLE_1)
	s_lshl_b64 s[4:5], s[4:5], 1
	s_waitcnt lgkmcnt(0)
	s_add_u32 s20, s8, s4
	s_addc_u32 s21, s9, s5
	s_and_not1_b32 vcc_lo, exec_lo, s2
	s_cbranch_vccnz .LBB263_4
.LBB263_2:
	s_mov_b32 s26, 0
	s_mov_b64 s[22:23], 0
	s_cbranch_execz .LBB263_5
	s_branch .LBB263_6
.LBB263_3:
	s_mov_b64 s[20:21], 0
	s_and_not1_b32 vcc_lo, exec_lo, s2
	s_cbranch_vccz .LBB263_2
.LBB263_4:
	s_mov_b32 s26, -1
                                        ; implicit-def: $sgpr22_sgpr23
.LBB263_5:
	s_load_b64 s[2:3], s[0:1], 0x38
	s_mov_b32 s26, 0
	s_waitcnt lgkmcnt(0)
	s_mul_i32 s3, s15, s3
	s_mul_hi_u32 s4, s15, s2
	s_mul_i32 s2, s15, s2
	s_add_i32 s3, s4, s3
	s_delay_alu instid0(SALU_CYCLE_1) | instskip(NEXT) | instid1(SALU_CYCLE_1)
	s_lshl_b64 s[2:3], s[2:3], 1
	s_add_u32 s22, s6, s2
	s_addc_u32 s23, s7, s3
.LBB263_6:
	s_clause 0x1
	s_load_b32 s24, s[0:1], 0x40
	s_load_b128 s[8:11], s[0:1], 0x58
	s_waitcnt lgkmcnt(0)
	v_cmp_eq_f16_e64 s2, s24, 0
	v_cmp_neq_f16_e64 s25, s24, 0
	s_delay_alu instid0(VALU_DEP_2)
	s_and_b32 vcc_lo, exec_lo, s2
	s_cbranch_vccnz .LBB263_8
; %bb.7:
	s_load_b64 s[2:3], s[0:1], 0x48
	s_mul_i32 s4, s15, s9
	s_mul_hi_u32 s5, s15, s8
	s_delay_alu instid0(SALU_CYCLE_1) | instskip(SKIP_1) | instid1(SALU_CYCLE_1)
	s_add_i32 s4, s5, s4
	s_mul_i32 s5, s26, s8
	s_add_i32 s5, s4, s5
	s_mul_i32 s4, s15, s8
	s_delay_alu instid0(SALU_CYCLE_1)
	s_lshl_b64 s[4:5], s[4:5], 1
	s_waitcnt lgkmcnt(0)
	s_add_u32 s12, s2, s4
	s_addc_u32 s13, s3, s5
	s_branch .LBB263_9
.LBB263_8:
	s_mov_b64 s[12:13], 0
.LBB263_9:
	s_add_i32 s6, s16, -1
	v_and_b32_e32 v42, 0x3ff, v0
	s_ashr_i32 s2, s6, 31
	v_bfe_u32 v43, v0, 10, 10
	s_lshr_b32 s2, s2, 24
	s_load_b32 s9, s[0:1], 0x18
	s_add_i32 s2, s6, s2
	s_delay_alu instid0(VALU_DEP_1) | instskip(SKIP_1) | instid1(SALU_CYCLE_1)
	v_lshl_add_u32 v5, v43, 5, v42
	s_ashr_i32 s2, s2, 8
	s_add_i32 s3, s2, 1
	s_not_b32 s2, s2
	v_cvt_f32_u32_e32 v1, s3
	v_lshrrev_b32_e32 v44, 6, v5
	v_and_b32_e32 v0, 63, v5
	s_delay_alu instid0(VALU_DEP_3) | instskip(SKIP_2) | instid1(VALU_DEP_1)
	v_rcp_iflag_f32_e32 v1, v1
	s_waitcnt_depctr 0xfff
	v_mul_f32_e32 v1, 0x4f7ffffe, v1
	v_cvt_u32_f32_e32 v1, v1
	s_delay_alu instid0(VALU_DEP_1) | instskip(NEXT) | instid1(VALU_DEP_1)
	v_readfirstlane_b32 s4, v1
	s_mul_i32 s2, s2, s4
	s_delay_alu instid0(SALU_CYCLE_1) | instskip(NEXT) | instid1(SALU_CYCLE_1)
	s_mul_hi_u32 s2, s4, s2
	s_add_i32 s4, s4, s2
	s_delay_alu instid0(SALU_CYCLE_1) | instskip(NEXT) | instid1(SALU_CYCLE_1)
	s_mul_hi_u32 s2, s14, s4
	s_mul_i32 s4, s2, s3
	s_add_i32 s5, s2, 1
	s_sub_i32 s4, s14, s4
	s_delay_alu instid0(SALU_CYCLE_1)
	s_sub_i32 s7, s4, s3
	s_cmp_ge_u32 s4, s3
	s_cselect_b32 s2, s5, s2
	s_cselect_b32 s4, s7, s4
	s_add_i32 s5, s2, 1
	s_cmp_ge_u32 s4, s3
	s_cselect_b32 s7, s5, s2
	s_add_i32 s28, s18, -1
	s_mul_i32 s2, s7, s3
	v_min_i32_e32 v3, s28, v44
	s_sub_i32 s2, s14, s2
	v_cmp_le_i32_e64 s5, s18, v44
	s_lshl_b32 s8, s2, 8
	v_cmp_eq_f16_e64 s14, s19, 0
	s_waitcnt lgkmcnt(0)
	v_mad_i64_i32 v[1:2], null, s9, v3, 0
	v_or_b32_e32 v20, s8, v0
	s_delay_alu instid0(VALU_DEP_1) | instskip(NEXT) | instid1(VALU_DEP_3)
	v_cmp_le_i32_e32 vcc_lo, s16, v20
	v_lshlrev_b64 v[2:3], 1, v[1:2]
	v_ashrrev_i32_e32 v21, 31, v20
	s_or_b32 s3, vcc_lo, s5
	s_delay_alu instid0(VALU_DEP_2) | instskip(SKIP_1) | instid1(VALU_DEP_4)
	v_add_co_u32 v6, s2, s20, v2
	v_cndmask_b32_e64 v1, 0, 0x7c00, s3
	v_add_co_ci_u32_e64 v7, s2, s21, v3, s2
	s_or_b32 s2, s14, s3
	s_delay_alu instid0(SALU_CYCLE_1) | instskip(NEXT) | instid1(SALU_CYCLE_1)
	s_xor_b32 s2, s2, -1
	s_and_saveexec_b32 s3, s2
	s_cbranch_execz .LBB263_11
; %bb.10:
	v_lshlrev_b64 v[1:2], 1, v[20:21]
	s_delay_alu instid0(VALU_DEP_1) | instskip(NEXT) | instid1(VALU_DEP_1)
	v_add_co_u32 v1, s2, v6, v1
	v_add_co_ci_u32_e64 v2, s2, v7, v2, s2
	flat_load_u16 v1, v[1:2]
	s_waitcnt vmcnt(0) lgkmcnt(0)
	v_mul_f16_e32 v1, s19, v1
.LBB263_11:
	s_or_b32 exec_lo, exec_lo, s3
	v_or_b32_e32 v2, 64, v20
	s_delay_alu instid0(VALU_DEP_1) | instskip(SKIP_1) | instid1(VALU_DEP_2)
	v_cmp_le_i32_e64 s2, s16, v2
	v_min_i32_e32 v22, s6, v2
	s_or_b32 s3, s2, s5
	s_delay_alu instid0(VALU_DEP_1) | instskip(SKIP_2) | instid1(SALU_CYCLE_1)
	v_ashrrev_i32_e32 v23, 31, v22
	v_cndmask_b32_e64 v2, 0, 0x7c00, s3
	s_or_b32 s3, s14, s3
	s_xor_b32 s3, s3, -1
	s_delay_alu instid0(SALU_CYCLE_1)
	s_and_saveexec_b32 s4, s3
	s_cbranch_execz .LBB263_13
; %bb.12:
	v_lshlrev_b64 v[2:3], 1, v[22:23]
	s_delay_alu instid0(VALU_DEP_1) | instskip(NEXT) | instid1(VALU_DEP_1)
	v_add_co_u32 v2, s3, v6, v2
	v_add_co_ci_u32_e64 v3, s3, v7, v3, s3
	flat_load_u16 v2, v[2:3]
	s_waitcnt vmcnt(0) lgkmcnt(0)
	v_mul_f16_e32 v2, s19, v2
.LBB263_13:
	s_or_b32 exec_lo, exec_lo, s4
	v_or_b32_e32 v3, 0x80, v20
	s_delay_alu instid0(VALU_DEP_1) | instskip(SKIP_1) | instid1(VALU_DEP_2)
	v_cmp_le_i32_e64 s3, s16, v3
	v_min_i32_e32 v24, s6, v3
	s_or_b32 s4, s3, s5
	s_delay_alu instid0(VALU_DEP_1) | instskip(SKIP_2) | instid1(SALU_CYCLE_1)
	v_ashrrev_i32_e32 v25, 31, v24
	v_cndmask_b32_e64 v3, 0, 0x7c00, s4
	s_or_b32 s4, s14, s4
	s_xor_b32 s4, s4, -1
	s_delay_alu instid0(SALU_CYCLE_1)
	;; [unrolled: 23-line block ×3, first 2 shown]
	s_and_saveexec_b32 s6, s5
	s_cbranch_execz .LBB263_17
; %bb.16:
	v_lshlrev_b64 v[8:9], 1, v[26:27]
	s_delay_alu instid0(VALU_DEP_1) | instskip(NEXT) | instid1(VALU_DEP_1)
	v_add_co_u32 v6, s5, v6, v8
	v_add_co_ci_u32_e64 v7, s5, v7, v9, s5
	flat_load_u16 v4, v[6:7]
	s_waitcnt vmcnt(0) lgkmcnt(0)
	v_mul_f16_e32 v4, s19, v4
.LBB263_17:
	s_or_b32 exec_lo, exec_lo, s6
	v_lshrrev_b32_e32 v5, 2, v5
	s_load_b32 s29, s[0:1], 0x30
	s_lshl_b32 s27, s7, 6
	v_and_b32_e32 v47, 3, v42
	s_delay_alu instid0(VALU_DEP_2) | instskip(NEXT) | instid1(VALU_DEP_2)
	v_add_nc_u32_e32 v28, s27, v5
	v_cmp_le_i32_e64 s6, s18, v47
	s_delay_alu instid0(VALU_DEP_2) | instskip(NEXT) | instid1(VALU_DEP_1)
	v_cmp_le_i32_e64 s5, s17, v28
	s_or_b32 s6, s6, s5
	s_delay_alu instid0(SALU_CYCLE_1) | instskip(SKIP_1) | instid1(SALU_CYCLE_1)
	v_cndmask_b32_e64 v6, 0, 0x7c00, s6
	s_or_b32 s6, s14, s6
	s_xor_b32 s6, s6, -1
	s_delay_alu instid0(SALU_CYCLE_1)
	s_and_saveexec_b32 s7, s6
	s_cbranch_execz .LBB263_19
; %bb.18:
	s_waitcnt lgkmcnt(0)
	v_mad_i64_i32 v[6:7], null, v28, s29, 0
	v_min_u32_e32 v8, s28, v47
	s_delay_alu instid0(VALU_DEP_1) | instskip(NEXT) | instid1(VALU_DEP_3)
	v_lshlrev_b32_e32 v8, 1, v8
	v_lshlrev_b64 v[6:7], 1, v[6:7]
	s_delay_alu instid0(VALU_DEP_1) | instskip(NEXT) | instid1(VALU_DEP_1)
	v_add_co_u32 v6, s6, s22, v6
	v_add_co_ci_u32_e64 v7, s6, s23, v7, s6
	s_delay_alu instid0(VALU_DEP_2) | instskip(NEXT) | instid1(VALU_DEP_1)
	v_add_co_u32 v6, s6, v6, v8
	v_add_co_ci_u32_e64 v7, s6, 0, v7, s6
	flat_load_u16 v6, v[6:7]
	s_waitcnt vmcnt(0) lgkmcnt(0)
	v_mul_f16_e32 v6, s19, v6
.LBB263_19:
	s_or_b32 exec_lo, exec_lo, s7
	v_add_nc_u32_e32 v9, 4, v44
	s_delay_alu instid0(VALU_DEP_1) | instskip(SKIP_1) | instid1(VALU_DEP_2)
	v_min_i32_e32 v10, s28, v9
	v_cmp_le_i32_e64 s6, s18, v9
	v_mad_i64_i32 v[7:8], null, s9, v10, 0
	s_delay_alu instid0(VALU_DEP_1) | instskip(NEXT) | instid1(VALU_DEP_1)
	v_lshlrev_b64 v[7:8], 1, v[7:8]
	v_add_co_u32 v7, s7, s20, v7
	s_delay_alu instid0(VALU_DEP_1) | instskip(SKIP_1) | instid1(SALU_CYCLE_1)
	v_add_co_ci_u32_e64 v8, s7, s21, v8, s7
	s_or_b32 s7, vcc_lo, s6
	v_cndmask_b32_e64 v29, 0, 0x7c00, s7
	s_or_b32 s7, s14, s7
	s_delay_alu instid0(SALU_CYCLE_1) | instskip(NEXT) | instid1(SALU_CYCLE_1)
	s_xor_b32 s7, s7, -1
	s_and_saveexec_b32 s30, s7
	s_cbranch_execz .LBB263_21
; %bb.20:
	v_lshlrev_b64 v[9:10], 1, v[20:21]
	s_delay_alu instid0(VALU_DEP_1) | instskip(NEXT) | instid1(VALU_DEP_1)
	v_add_co_u32 v9, s7, v7, v9
	v_add_co_ci_u32_e64 v10, s7, v8, v10, s7
	flat_load_u16 v9, v[9:10]
	s_waitcnt vmcnt(0) lgkmcnt(0)
	v_mul_f16_e32 v29, s19, v9
.LBB263_21:
	s_or_b32 exec_lo, exec_lo, s30
	s_or_b32 s7, s2, s6
	s_delay_alu instid0(SALU_CYCLE_1) | instskip(SKIP_1) | instid1(SALU_CYCLE_1)
	v_cndmask_b32_e64 v30, 0, 0x7c00, s7
	s_or_b32 s7, s14, s7
	s_xor_b32 s7, s7, -1
	s_delay_alu instid0(SALU_CYCLE_1)
	s_and_saveexec_b32 s30, s7
	s_cbranch_execz .LBB263_23
; %bb.22:
	v_lshlrev_b64 v[9:10], 1, v[22:23]
	s_delay_alu instid0(VALU_DEP_1) | instskip(NEXT) | instid1(VALU_DEP_1)
	v_add_co_u32 v9, s7, v7, v9
	v_add_co_ci_u32_e64 v10, s7, v8, v10, s7
	flat_load_u16 v9, v[9:10]
	s_waitcnt vmcnt(0) lgkmcnt(0)
	v_mul_f16_e32 v30, s19, v9
.LBB263_23:
	s_or_b32 exec_lo, exec_lo, s30
	s_or_b32 s7, s3, s6
	s_delay_alu instid0(SALU_CYCLE_1) | instskip(SKIP_1) | instid1(SALU_CYCLE_1)
	v_cndmask_b32_e64 v31, 0, 0x7c00, s7
	s_or_b32 s7, s14, s7
	s_xor_b32 s7, s7, -1
	s_delay_alu instid0(SALU_CYCLE_1)
	;; [unrolled: 18-line block ×3, first 2 shown]
	s_and_saveexec_b32 s7, s6
	s_cbranch_execz .LBB263_27
; %bb.26:
	v_lshlrev_b64 v[9:10], 1, v[26:27]
	s_delay_alu instid0(VALU_DEP_1) | instskip(NEXT) | instid1(VALU_DEP_1)
	v_add_co_u32 v7, s6, v7, v9
	v_add_co_ci_u32_e64 v8, s6, v8, v10, s6
	flat_load_u16 v7, v[7:8]
	s_waitcnt vmcnt(0) lgkmcnt(0)
	v_mul_f16_e32 v32, s19, v7
.LBB263_27:
	s_or_b32 exec_lo, exec_lo, s7
	v_or_b32_e32 v7, 4, v47
	s_delay_alu instid0(VALU_DEP_1) | instskip(NEXT) | instid1(VALU_DEP_1)
	v_cmp_le_i32_e64 s6, s18, v7
	s_or_b32 s6, s6, s5
	s_delay_alu instid0(SALU_CYCLE_1) | instskip(SKIP_1) | instid1(SALU_CYCLE_1)
	v_cndmask_b32_e64 v33, 0, 0x7c00, s6
	s_or_b32 s6, s14, s6
	s_xor_b32 s6, s6, -1
	s_delay_alu instid0(SALU_CYCLE_1)
	s_and_saveexec_b32 s7, s6
	s_cbranch_execz .LBB263_29
; %bb.28:
	s_waitcnt lgkmcnt(0)
	v_mad_i64_i32 v[8:9], null, v28, s29, 0
	v_min_u32_e32 v10, s28, v7
	s_delay_alu instid0(VALU_DEP_2) | instskip(NEXT) | instid1(VALU_DEP_2)
	v_lshlrev_b64 v[7:8], 1, v[8:9]
	v_lshlrev_b32_e32 v9, 1, v10
	s_delay_alu instid0(VALU_DEP_2) | instskip(NEXT) | instid1(VALU_DEP_1)
	v_add_co_u32 v7, s6, s22, v7
	v_add_co_ci_u32_e64 v8, s6, s23, v8, s6
	s_delay_alu instid0(VALU_DEP_2) | instskip(NEXT) | instid1(VALU_DEP_1)
	v_add_co_u32 v7, s6, v7, v9
	v_add_co_ci_u32_e64 v8, s6, 0, v8, s6
	flat_load_u16 v7, v[7:8]
	s_waitcnt vmcnt(0) lgkmcnt(0)
	v_mul_f16_e32 v33, s19, v7
.LBB263_29:
	s_or_b32 exec_lo, exec_lo, s7
	v_lshlrev_b32_e32 v7, 1, v44
	v_lshlrev_b32_e32 v46, 3, v43
	v_lshlrev_b32_e32 v36, 1, v47
	v_lshlrev_b32_e32 v45, 3, v42
	s_cmp_lt_i32 s18, 9
	v_lshl_add_u32 v76, v0, 3, v7
	v_add_nc_u32_e32 v8, 0x1000, v46
	v_lshl_or_b32 v34, v5, 3, v36
	ds_store_b16 v76, v1
	ds_store_b16 v76, v2 offset:512
	ds_store_b16 v76, v3 offset:1024
	;; [unrolled: 1-line block ×4, first 2 shown]
	s_waitcnt lgkmcnt(0)
	s_barrier
	buffer_gl0_inv
	ds_load_2addr_b64 v[16:19], v45 offset1:32
	ds_load_2addr_b64 v[37:40], v8 offset1:8
	ds_load_2addr_b64 v[12:15], v45 offset0:64 offset1:96
	ds_load_2addr_b64 v[4:7], v45 offset0:128 offset1:160
	;; [unrolled: 1-line block ×6, first 2 shown]
	ds_store_b16 v76, v29 offset:2048
	ds_store_b16 v76, v30 offset:2560
	;; [unrolled: 1-line block ×5, first 2 shown]
	s_waitcnt lgkmcnt(0)
	s_barrier
	buffer_gl0_inv
	v_pk_add_f16 v35, v16, v37
	v_pk_add_f16 v41, v18, v37
	;; [unrolled: 1-line block ×10, first 2 shown]
	v_pk_min_f16 v85, 0x7c00, v83 op_sel_hi:[0,1]
	v_pk_add_f16 v83, v18, v52
	v_pk_min_f16 v115, 0x7c00, v84 op_sel_hi:[0,1]
	v_pk_add_f16 v84, v16, v54
	v_pk_min_f16 v116, 0x7c00, v86 op_sel_hi:[0,1]
	v_pk_min_f16 v117, 0x7c00, v87 op_sel_hi:[0,1]
	;; [unrolled: 1-line block ×3, first 2 shown]
	v_pk_add_f16 v83, v0, v52
	v_pk_add_f16 v86, v18, v54
	;; [unrolled: 1-line block ×3, first 2 shown]
	v_pk_min_f16 v120, 0x7c00, v84 op_sel_hi:[0,1]
	v_pk_add_f16 v84, v4, v54
	v_pk_min_f16 v119, 0x7c00, v83 op_sel_hi:[0,1]
	v_pk_add_f16 v83, v14, v54
	v_pk_min_f16 v121, 0x7c00, v86 op_sel_hi:[0,1]
	v_pk_min_f16 v122, 0x7c00, v87 op_sel_hi:[0,1]
	v_pk_add_f16 v86, v6, v54
	v_pk_add_f16 v87, v0, v54
	v_pk_min_f16 v123, 0x7c00, v83 op_sel_hi:[0,1]
	v_pk_min_f16 v124, 0x7c00, v84 op_sel_hi:[0,1]
	v_pk_add_f16 v83, v16, v8
	v_pk_add_f16 v84, v18, v8
	;; [unrolled: 1-line block ×5, first 2 shown]
	v_pk_min_f16 v35, 0x7c00, v35 op_sel_hi:[0,1]
	v_pk_add_f16 v61, v16, v39
	v_pk_add_f16 v62, v18, v39
	;; [unrolled: 1-line block ×24, first 2 shown]
	v_pk_min_f16 v118, 0x7c00, v88 op_sel_hi:[0,1]
	v_pk_add_f16 v52, v2, v52
	v_pk_add_f16 v54, v2, v54
	v_pk_min_f16 v125, 0x7c00, v86 op_sel_hi:[0,1]
	v_pk_min_f16 v126, 0x7c00, v87 op_sel_hi:[0,1]
	v_pk_add_f16 v86, v12, v8
	v_pk_add_f16 v87, v14, v8
	;; [unrolled: 1-line block ×3, first 2 shown]
	v_pk_min_f16 v127, 0x7c00, v83 op_sel_hi:[0,1]
	v_pk_min_f16 v128, 0x7c00, v84 op_sel_hi:[0,1]
	v_pk_add_f16 v83, v6, v8
	v_pk_add_f16 v84, v0, v8
	;; [unrolled: 1-line block ×12, first 2 shown]
	v_pk_min_f16 v41, 0x7c00, v41 op_sel_hi:[0,1]
	v_pk_min_f16 v58, 0x7c00, v58 op_sel_hi:[0,1]
	;; [unrolled: 1-line block ×3, first 2 shown]
	v_pk_add_f16 v83, v19, v38
	v_pk_min_f16 v113, v35, v10
	v_pk_add_f16 v10, v5, v38
	v_pk_min_f16 v59, 0x7c00, v59 op_sel_hi:[0,1]
	v_pk_min_f16 v37, 0x7c00, v37 op_sel_hi:[0,1]
	;; [unrolled: 1-line block ×5, first 2 shown]
	v_pk_add_f16 v84, v13, v38
	v_pk_add_f16 v86, v15, v38
	v_pk_min_f16 v112, v41, v83
	v_pk_add_f16 v35, v7, v38
	v_pk_add_f16 v41, v1, v38
	;; [unrolled: 1-line block ×3, first 2 shown]
	v_pk_min_f16 v109, v58, v10
	v_pk_add_f16 v10, v19, v40
	v_pk_min_f16 v63, 0x7c00, v63 op_sel_hi:[0,1]
	v_pk_min_f16 v64, 0x7c00, v64 op_sel_hi:[0,1]
	;; [unrolled: 1-line block ×4, first 2 shown]
	v_pk_min_f16 v108, v59, v35
	v_pk_min_f16 v106, v37, v38
	v_pk_add_f16 v35, v13, v40
	v_pk_add_f16 v37, v15, v40
	;; [unrolled: 1-line block ×3, first 2 shown]
	v_pk_min_f16 v104, v62, v10
	v_pk_add_f16 v10, v1, v40
	v_pk_min_f16 v39, 0x7c00, v39 op_sel_hi:[0,1]
	v_pk_min_f16 v68, 0x7c00, v68 op_sel_hi:[0,1]
	;; [unrolled: 1-line block ×4, first 2 shown]
	v_pk_min_f16 v103, v63, v35
	v_pk_min_f16 v102, v64, v37
	;; [unrolled: 1-line block ×3, first 2 shown]
	v_pk_add_f16 v35, v3, v40
	v_pk_add_f16 v37, v17, v49
	v_pk_add_f16 v38, v19, v49
	v_pk_min_f16 v99, v67, v10
	v_pk_add_f16 v10, v15, v49
	v_pk_min_f16 v72, 0x7c00, v72 op_sel_hi:[0,1]
	v_pk_min_f16 v73, 0x7c00, v73 op_sel_hi:[0,1]
	;; [unrolled: 1-line block ×5, first 2 shown]
	v_pk_min_f16 v98, v39, v35
	v_pk_min_f16 v97, v68, v37
	;; [unrolled: 1-line block ×3, first 2 shown]
	v_pk_add_f16 v35, v5, v49
	v_pk_add_f16 v37, v7, v49
	;; [unrolled: 1-line block ×4, first 2 shown]
	v_pk_min_f16 v94, v71, v10
	v_pk_add_f16 v10, v17, v51
	v_pk_min_f16 v56, 0x7c00, v56 op_sel_hi:[0,1]
	v_pk_min_f16 v57, 0x7c00, v57 op_sel_hi:[0,1]
	v_pk_min_f16 v77, 0x7c00, v77 op_sel_hi:[0,1]
	v_pk_min_f16 v78, 0x7c00, v78 op_sel_hi:[0,1]
	v_pk_min_f16 v79, 0x7c00, v79 op_sel_hi:[0,1]
	v_pk_min_f16 v80, 0x7c00, v80 op_sel_hi:[0,1]
	v_pk_min_f16 v81, 0x7c00, v81 op_sel_hi:[0,1]
	v_pk_min_f16 v93, v72, v35
	v_pk_min_f16 v92, v73, v37
	v_pk_min_f16 v91, v74, v38
	v_pk_min_f16 v90, v48, v39
	v_pk_add_f16 v35, v19, v51
	v_pk_add_f16 v37, v13, v51
	;; [unrolled: 1-line block ×4, first 2 shown]
	v_pk_min_f16 v89, v75, v10
	v_pk_add_f16 v10, v7, v51
	v_pk_min_f16 v82, 0x7c00, v82 op_sel_hi:[0,1]
	v_pk_min_f16 v50, 0x7c00, v50 op_sel_hi:[0,1]
	;; [unrolled: 1-line block ×4, first 2 shown]
	v_pk_min_f16 v111, v56, v84
	v_pk_min_f16 v110, v57, v86
	;; [unrolled: 1-line block ×6, first 2 shown]
	v_pk_add_f16 v35, v1, v51
	v_pk_add_f16 v37, v3, v51
	;; [unrolled: 1-line block ×4, first 2 shown]
	v_pk_min_f16 v83, v81, v10
	v_pk_add_f16 v10, v13, v53
	v_pk_min_f16 v60, 0x7c00, v60 op_sel_hi:[0,1]
	v_pk_min_f16 v52, 0x7c00, v52 op_sel_hi:[0,1]
	v_pk_min_f16 v82, v82, v35
	v_pk_min_f16 v81, v50, v37
	;; [unrolled: 1-line block ×4, first 2 shown]
	v_pk_add_f16 v35, v15, v53
	v_pk_add_f16 v37, v5, v53
	;; [unrolled: 1-line block ×4, first 2 shown]
	v_pk_min_f16 v78, v115, v10
	v_pk_add_f16 v10, v3, v53
	v_pk_min_f16 v70, 0x7c00, v70 op_sel_hi:[0,1]
	v_pk_add_f16 v56, v17, v40
	v_pk_min_f16 v107, v60, v41
	v_pk_add_f16 v41, v7, v40
	v_pk_add_f16 v40, v13, v49
	v_pk_min_f16 v77, v116, v35
	v_pk_min_f16 v75, v117, v37
	;; [unrolled: 1-line block ×4, first 2 shown]
	v_pk_add_f16 v35, v17, v55
	v_pk_add_f16 v37, v19, v55
	;; [unrolled: 1-line block ×4, first 2 shown]
	v_pk_min_f16 v72, v52, v10
	v_pk_add_f16 v10, v5, v55
	v_pk_min_f16 v66, 0x7c00, v66 op_sel_hi:[0,1]
	v_pk_min_f16 v54, 0x7c00, v54 op_sel_hi:[0,1]
	v_pk_min_f16 v95, v70, v40
	v_pk_min_f16 v71, v120, v35
	;; [unrolled: 1-line block ×5, first 2 shown]
	v_pk_add_f16 v35, v7, v55
	v_pk_add_f16 v37, v1, v55
	;; [unrolled: 1-line block ×4, first 2 shown]
	v_pk_min_f16 v67, v124, v10
	v_pk_add_f16 v10, v19, v9
	v_pk_min_f16 v61, 0x7c00, v61 op_sel_hi:[0,1]
	v_pk_min_f16 v8, 0x7c00, v8 op_sel_hi:[0,1]
	v_pk_min_f16 v100, v66, v41
	v_pk_min_f16 v66, v125, v35
	;; [unrolled: 1-line block ×5, first 2 shown]
	v_pk_add_f16 v35, v13, v9
	v_pk_add_f16 v37, v15, v9
	;; [unrolled: 1-line block ×4, first 2 shown]
	v_pk_min_f16 v62, v128, v10
	v_pk_add_f16 v10, v1, v9
	v_pk_add_f16 v9, v3, v9
	v_pk_min_f16 v16, 0x7c00, v16 op_sel_hi:[0,1]
	v_pk_min_f16 v18, 0x7c00, v18 op_sel_hi:[0,1]
	;; [unrolled: 1-line block ×8, first 2 shown]
	v_pk_min_f16 v105, v61, v56
	v_pk_add_f16 v17, v17, v11
	v_pk_add_f16 v19, v19, v11
	v_pk_add_f16 v13, v13, v11
	v_pk_min_f16 v56, v8, v9
	v_pk_add_f16 v8, v15, v11
	v_pk_add_f16 v5, v5, v11
	;; [unrolled: 1-line block ×5, first 2 shown]
	v_pk_min_f16 v61, v129, v35
	v_pk_min_f16 v60, v130, v37
	;; [unrolled: 1-line block ×13, first 2 shown]
	s_cbranch_scc1 .LBB263_52
; %bb.30:
	v_mad_i64_i32 v[0:1], null, s29, v28, 0
	v_add_nc_u32_e32 v85, 0x1000, v34
	v_add_nc_u32_e32 v116, 0x1200, v34
	v_lshlrev_b64 v[32:33], 1, v[20:21]
	v_lshlrev_b64 v[34:35], 1, v[22:23]
	;; [unrolled: 1-line block ×3, first 2 shown]
	v_add_nc_u32_e32 v114, 0x1000, v46
	v_lshlrev_b64 v[0:1], 1, v[0:1]
	v_add_nc_u32_e32 v115, 0x800, v76
	v_lshl_add_u32 v117, v42, 3, 0x800
	v_lshl_add_u32 v118, v43, 3, 0x1200
	s_delay_alu instid0(VALU_DEP_4) | instskip(NEXT) | instid1(VALU_DEP_1)
	v_add_co_u32 v0, s6, v0, v36
	v_add_co_ci_u32_e64 v1, s6, 0, v1, s6
	v_lshlrev_b64 v[36:37], 1, v[24:25]
	s_delay_alu instid0(VALU_DEP_3) | instskip(NEXT) | instid1(VALU_DEP_1)
	v_add_co_u32 v0, s6, v0, s22
	v_add_co_ci_u32_e64 v1, s6, s23, v1, s6
	s_add_i32 s22, s18, -8
	s_delay_alu instid0(VALU_DEP_2) | instskip(NEXT) | instid1(VALU_DEP_1)
	v_add_co_u32 v40, s6, v0, 24
	v_add_co_ci_u32_e64 v41, s6, 0, v1, s6
	s_mov_b32 s23, 0
	s_branch .LBB263_32
.LBB263_31:                             ;   in Loop: Header=BB263_32 Depth=1
	s_or_b32 exec_lo, exec_lo, s6
	ds_load_2addr_b64 v[123:126], v45 offset1:32
	ds_load_2addr_b64 v[87:90], v114 offset1:8
	ds_load_2addr_b64 v[127:130], v45 offset0:64 offset1:96
	ds_load_2addr_b64 v[131:134], v45 offset0:128 offset1:160
	ds_load_2addr_b64 v[135:138], v45 offset0:192 offset1:224
	ds_load_2addr_b64 v[139:142], v114 offset0:16 offset1:24
	ds_load_2addr_b64 v[143:146], v114 offset0:32 offset1:40
	ds_load_2addr_b64 v[147:150], v114 offset0:48 offset1:56
	v_pk_max_f16 v11, v86, v86
	v_pk_max_f16 v15, v83, v83
	;; [unrolled: 1-line block ×13, first 2 shown]
	s_waitcnt lgkmcnt(6)
	v_pk_add_f16 v82, v123, v87
	v_pk_add_f16 v83, v125, v87
	s_waitcnt lgkmcnt(5)
	v_pk_add_f16 v84, v127, v87
	v_pk_add_f16 v86, v129, v87
	s_waitcnt lgkmcnt(4)
	v_pk_add_f16 v91, v131, v87
	v_pk_min_f16 v11, v11, v82
	v_pk_min_f16 v15, v15, v83
	;; [unrolled: 1-line block ×3, first 2 shown]
	v_pk_add_f16 v82, v123, v89
	v_pk_add_f16 v83, v125, v89
	;; [unrolled: 1-line block ×4, first 2 shown]
	s_waitcnt lgkmcnt(3)
	v_pk_add_f16 v93, v135, v87
	v_pk_min_f16 v72, v72, v82
	v_pk_min_f16 v70, v70, v83
	;; [unrolled: 1-line block ×3, first 2 shown]
	v_pk_add_f16 v82, v133, v89
	v_pk_add_f16 v83, v135, v89
	;; [unrolled: 1-line block ×4, first 2 shown]
	v_pk_min_f16 v19, v19, v86
	v_pk_add_f16 v86, v129, v89
	v_pk_max_f16 v75, v75, v75
	v_pk_min_f16 v67, v67, v82
	v_pk_min_f16 v65, v65, v83
	;; [unrolled: 1-line block ×3, first 2 shown]
	s_waitcnt lgkmcnt(2)
	v_pk_add_f16 v82, v127, v139
	v_pk_max_f16 v62, v62, v62
	v_pk_add_f16 v83, v129, v139
	v_pk_max_f16 v60, v60, v60
	v_pk_add_f16 v84, v131, v139
	v_pk_max_f16 v68, v68, v68
	v_pk_min_f16 v78, v78, v87
	v_pk_add_f16 v87, v131, v89
	v_pk_max_f16 v74, v74, v74
	v_pk_min_f16 v75, v75, v86
	v_pk_add_f16 v86, v123, v139
	v_pk_max_f16 v71, v71, v71
	v_pk_min_f16 v62, v62, v82
	v_pk_min_f16 v60, v60, v83
	v_pk_min_f16 v68, v68, v84
	v_pk_add_f16 v82, v137, v139
	v_pk_max_f16 v57, v57, v57
	v_pk_add_f16 v83, v123, v141
	v_pk_max_f16 v55, v55, v55
	v_pk_add_f16 v84, v125, v141
	v_pk_max_f16 v63, v63, v63
	v_pk_min_f16 v74, v74, v87
	v_pk_add_f16 v87, v125, v139
	v_pk_max_f16 v69, v69, v69
	v_pk_min_f16 v71, v71, v86
	v_pk_add_f16 v86, v133, v139
	v_pk_max_f16 v66, v66, v66
	v_pk_min_f16 v57, v57, v82
	v_pk_min_f16 v55, v55, v83
	v_pk_min_f16 v63, v63, v84
	;; [unrolled: 15-line block ×3, first 2 shown]
	s_waitcnt lgkmcnt(1)
	v_pk_add_f16 v82, v125, v143
	v_pk_max_f16 v31, v31, v31
	v_pk_add_f16 v83, v127, v143
	v_pk_max_f16 v29, v29, v29
	v_pk_add_f16 v84, v129, v143
	v_pk_max_f16 v53, v53, v53
	v_pk_min_f16 v64, v64, v87
	v_pk_add_f16 v87, v129, v141
	v_pk_max_f16 v59, v59, v59
	v_pk_min_f16 v61, v61, v86
	v_pk_add_f16 v86, v137, v141
	v_pk_max_f16 v56, v56, v56
	v_pk_min_f16 v31, v31, v82
	v_pk_min_f16 v29, v29, v83
	v_pk_min_f16 v53, v53, v84
	v_pk_add_f16 v82, v135, v143
	v_pk_max_f16 v26, v26, v26
	v_pk_add_f16 v83, v137, v143
	v_pk_max_f16 v24, v24, v24
	v_pk_add_f16 v84, v123, v145
	v_pk_max_f16 v48, v48, v48
	v_pk_min_f16 v59, v59, v87
	v_pk_add_f16 v87, v123, v143
	v_pk_max_f16 v54, v54, v54
	v_pk_min_f16 v56, v56, v86
	v_pk_add_f16 v86, v131, v143
	v_pk_max_f16 v51, v51, v51
	v_pk_min_f16 v26, v26, v82
	v_pk_min_f16 v24, v24, v83
	v_pk_min_f16 v48, v48, v84
	;; [unrolled: 15-line block ×3, first 2 shown]
	s_waitcnt lgkmcnt(0)
	v_pk_add_f16 v82, v123, v147
	v_pk_max_f16 v14, v14, v14
	v_pk_add_f16 v83, v125, v147
	v_pk_max_f16 v10, v10, v10
	;; [unrolled: 2-line block ×3, first 2 shown]
	v_pk_min_f16 v49, v49, v87
	v_pk_add_f16 v87, v127, v145
	v_pk_max_f16 v28, v28, v28
	v_pk_min_f16 v30, v30, v86
	v_pk_add_f16 v86, v135, v145
	v_pk_max_f16 v25, v25, v25
	v_pk_min_f16 v14, v14, v82
	v_pk_min_f16 v10, v10, v83
	;; [unrolled: 1-line block ×3, first 2 shown]
	v_pk_add_f16 v82, v133, v147
	v_pk_max_f16 v8, v8, v8
	v_pk_add_f16 v83, v135, v147
	v_pk_max_f16 v6, v6, v6
	;; [unrolled: 2-line block ×3, first 2 shown]
	v_pk_min_f16 v28, v28, v87
	v_pk_add_f16 v87, v137, v145
	v_pk_max_f16 v23, v23, v23
	v_pk_min_f16 v25, v25, v86
	v_pk_add_f16 v86, v129, v147
	v_pk_max_f16 v20, v20, v20
	v_pk_min_f16 v8, v8, v82
	v_pk_min_f16 v6, v6, v83
	;; [unrolled: 1-line block ×3, first 2 shown]
	v_pk_add_f16 v82, v127, v149
	v_pk_max_f16 v4, v4, v4
	v_pk_add_f16 v83, v129, v149
	v_pk_max_f16 v2, v2, v2
	;; [unrolled: 2-line block ×3, first 2 shown]
	v_pk_max_f16 v79, v79, v79
	v_pk_min_f16 v23, v23, v87
	v_pk_add_f16 v87, v131, v147
	v_pk_max_f16 v16, v16, v16
	v_pk_min_f16 v20, v20, v86
	v_pk_add_f16 v86, v123, v149
	v_pk_max_f16 v12, v12, v12
	v_pk_min_f16 v4, v4, v82
	v_pk_min_f16 v2, v2, v83
	;; [unrolled: 1-line block ×3, first 2 shown]
	v_pk_add_f16 v82, v137, v149
	v_pk_max_f16 v1, v1, v1
	v_pk_add_f16 v83, v124, v88
	v_pk_add_f16 v84, v126, v88
	v_pk_min_f16 v79, v79, v91
	v_pk_min_f16 v80, v80, v92
	v_pk_min_f16 v16, v16, v87
	v_pk_add_f16 v87, v125, v149
	v_pk_max_f16 v9, v9, v9
	v_pk_min_f16 v12, v12, v86
	v_pk_add_f16 v86, v133, v149
	v_pk_max_f16 v5, v5, v5
	v_pk_min_f16 v1, v1, v82
	v_pk_min_f16 v113, v11, v83
	;; [unrolled: 1-line block ×3, first 2 shown]
	v_pk_add_f16 v11, v132, v88
	v_pk_add_f16 v15, v134, v88
	;; [unrolled: 1-line block ×3, first 2 shown]
	v_pk_min_f16 v9, v9, v87
	v_pk_add_f16 v87, v135, v149
	v_pk_max_f16 v3, v3, v3
	v_pk_min_f16 v5, v5, v86
	v_pk_add_f16 v86, v128, v88
	v_pk_min_f16 v109, v79, v11
	v_pk_min_f16 v108, v80, v15
	;; [unrolled: 1-line block ×3, first 2 shown]
	v_pk_add_f16 v11, v126, v90
	v_pk_add_f16 v15, v128, v90
	;; [unrolled: 1-line block ×3, first 2 shown]
	v_pk_min_f16 v81, v81, v93
	v_pk_min_f16 v3, v3, v87
	v_pk_add_f16 v87, v130, v88
	v_pk_min_f16 v111, v17, v86
	v_pk_add_f16 v17, v136, v88
	v_pk_min_f16 v104, v70, v11
	v_pk_min_f16 v103, v77, v15
	v_pk_min_f16 v100, v67, v72
	v_pk_add_f16 v11, v136, v90
	v_pk_add_f16 v15, v138, v90
	v_pk_add_f16 v67, v128, v140
	v_pk_min_f16 v110, v19, v87
	v_pk_add_f16 v19, v138, v88
	v_pk_min_f16 v107, v81, v17
	v_pk_add_f16 v17, v130, v90
	v_pk_min_f16 v99, v65, v11
	v_pk_min_f16 v98, v73, v15
	v_pk_min_f16 v95, v62, v67
	v_pk_add_f16 v11, v130, v140
	v_pk_add_f16 v15, v132, v140
	v_pk_add_f16 v62, v138, v140
	;; [unrolled: 10-line block ×8, first 2 shown]
	v_pk_add_f16 v18, v134, v148
	v_pk_min_f16 v74, v49, v19
	v_pk_add_f16 v19, v128, v146
	v_pk_min_f16 v70, v30, v17
	;; [unrolled: 2-line block ×3, first 2 shown]
	v_pk_min_f16 v61, v22, v14
	v_pk_min_f16 v60, v20, v15
	;; [unrolled: 1-line block ×3, first 2 shown]
	v_pk_add_f16 v8, v136, v148
	v_pk_add_f16 v10, v138, v148
	;; [unrolled: 1-line block ×4, first 2 shown]
	v_pk_min_f16 v69, v28, v19
	v_pk_add_f16 v19, v138, v146
	v_pk_min_f16 v65, v25, v17
	v_pk_add_f16 v17, v132, v148
	v_pk_add_f16 v11, v124, v150
	v_pk_min_f16 v57, v6, v8
	v_pk_min_f16 v56, v13, v10
	v_pk_min_f16 v52, v9, v14
	v_pk_min_f16 v50, v4, v15
	v_pk_add_f16 v4, v130, v150
	v_pk_add_f16 v6, v132, v150
	;; [unrolled: 1-line block ×5, first 2 shown]
	v_add_co_u32 v40, s6, v40, 16
	v_pk_min_f16 v64, v23, v19
	v_pk_min_f16 v59, v16, v17
	;; [unrolled: 1-line block ×8, first 2 shown]
	v_add_co_ci_u32_e64 v41, s6, 0, v41, s6
	s_add_i32 s23, s23, 8
	ds_store_b16 v115, v119
	ds_store_b16 v115, v120 offset:512
	ds_store_b16 v115, v121 offset:1024
	;; [unrolled: 1-line block ×3, first 2 shown]
	ds_store_b16 v116, v0
	s_cmp_ge_i32 s23, s22
	s_waitcnt lgkmcnt(0)
	s_barrier
	buffer_gl0_inv
	s_cbranch_scc1 .LBB263_52
.LBB263_32:                             ; =>This Inner Loop Header: Depth=1
	v_add_nc_u32_e32 v0, s23, v44
	s_delay_alu instid0(VALU_DEP_1) | instskip(NEXT) | instid1(VALU_DEP_1)
	v_add_nc_u32_e32 v3, 8, v0
	v_min_i32_e32 v4, s28, v3
	v_cmp_le_i32_e64 s6, s18, v3
	s_delay_alu instid0(VALU_DEP_2) | instskip(NEXT) | instid1(VALU_DEP_1)
	v_mad_i64_i32 v[1:2], null, v4, s9, 0
	v_lshlrev_b64 v[1:2], 1, v[1:2]
	s_delay_alu instid0(VALU_DEP_1) | instskip(NEXT) | instid1(VALU_DEP_1)
	v_add_co_u32 v1, s7, s20, v1
	v_add_co_ci_u32_e64 v2, s7, s21, v2, s7
	s_or_b32 s7, vcc_lo, s6
	s_delay_alu instid0(SALU_CYCLE_1) | instskip(SKIP_1) | instid1(SALU_CYCLE_1)
	v_cndmask_b32_e64 v119, 0, 0x7c00, s7
	s_or_b32 s7, s14, s7
	s_xor_b32 s7, s7, -1
	s_delay_alu instid0(SALU_CYCLE_1)
	s_and_saveexec_b32 s29, s7
	s_cbranch_execz .LBB263_34
; %bb.33:                               ;   in Loop: Header=BB263_32 Depth=1
	v_add_co_u32 v3, s7, v1, v32
	s_delay_alu instid0(VALU_DEP_1)
	v_add_co_ci_u32_e64 v4, s7, v2, v33, s7
	flat_load_u16 v3, v[3:4]
	s_waitcnt vmcnt(0) lgkmcnt(0)
	v_mul_f16_e32 v119, s19, v3
.LBB263_34:                             ;   in Loop: Header=BB263_32 Depth=1
	s_or_b32 exec_lo, exec_lo, s29
	s_or_b32 s7, s2, s6
	s_delay_alu instid0(SALU_CYCLE_1) | instskip(SKIP_1) | instid1(SALU_CYCLE_1)
	v_cndmask_b32_e64 v120, 0, 0x7c00, s7
	s_or_b32 s7, s14, s7
	s_xor_b32 s7, s7, -1
	s_delay_alu instid0(SALU_CYCLE_1)
	s_and_saveexec_b32 s29, s7
	s_cbranch_execz .LBB263_36
; %bb.35:                               ;   in Loop: Header=BB263_32 Depth=1
	v_add_co_u32 v3, s7, v1, v34
	s_delay_alu instid0(VALU_DEP_1)
	v_add_co_ci_u32_e64 v4, s7, v2, v35, s7
	flat_load_u16 v3, v[3:4]
	s_waitcnt vmcnt(0) lgkmcnt(0)
	v_mul_f16_e32 v120, s19, v3
.LBB263_36:                             ;   in Loop: Header=BB263_32 Depth=1
	s_or_b32 exec_lo, exec_lo, s29
	s_or_b32 s7, s3, s6
	;; [unrolled: 17-line block ×3, first 2 shown]
	s_delay_alu instid0(SALU_CYCLE_1) | instskip(SKIP_1) | instid1(SALU_CYCLE_1)
	v_cndmask_b32_e64 v122, 0, 0x7c00, s6
	s_or_b32 s6, s14, s6
	s_xor_b32 s6, s6, -1
	s_delay_alu instid0(SALU_CYCLE_1)
	s_and_saveexec_b32 s7, s6
	s_cbranch_execz .LBB263_40
; %bb.39:                               ;   in Loop: Header=BB263_32 Depth=1
	v_add_co_u32 v1, s6, v1, v38
	s_delay_alu instid0(VALU_DEP_1)
	v_add_co_ci_u32_e64 v2, s6, v2, v39, s6
	flat_load_u16 v1, v[1:2]
	s_waitcnt vmcnt(0) lgkmcnt(0)
	v_mul_f16_e32 v122, s19, v1
.LBB263_40:                             ;   in Loop: Header=BB263_32 Depth=1
	s_or_b32 exec_lo, exec_lo, s7
	v_add_nc_u32_e32 v123, s23, v47
	s_delay_alu instid0(VALU_DEP_1) | instskip(NEXT) | instid1(VALU_DEP_1)
	v_add_nc_u32_e32 v1, 8, v123
	v_cmp_le_i32_e64 s6, s18, v1
	s_delay_alu instid0(VALU_DEP_1) | instskip(NEXT) | instid1(SALU_CYCLE_1)
	s_or_b32 s6, s6, s5
	v_cndmask_b32_e64 v124, 0, 0x7c00, s6
	s_or_b32 s6, s14, s6
	s_delay_alu instid0(SALU_CYCLE_1) | instskip(NEXT) | instid1(SALU_CYCLE_1)
	s_xor_b32 s6, s6, -1
	s_and_saveexec_b32 s7, s6
	s_cbranch_execz .LBB263_42
; %bb.41:                               ;   in Loop: Header=BB263_32 Depth=1
	v_add_co_u32 v1, s6, -8, v40
	s_delay_alu instid0(VALU_DEP_1)
	v_add_co_ci_u32_e64 v2, s6, -1, v41, s6
	flat_load_u16 v1, v[1:2]
	s_waitcnt vmcnt(0) lgkmcnt(0)
	v_mul_f16_e32 v124, s19, v1
.LBB263_42:                             ;   in Loop: Header=BB263_32 Depth=1
	s_or_b32 exec_lo, exec_lo, s7
	v_add_nc_u32_e32 v127, 12, v0
	ds_load_2addr_b64 v[16:19], v117 offset1:32
	ds_load_2addr_b64 v[12:15], v117 offset0:64 offset1:96
	v_min_i32_e32 v0, s28, v127
	v_cmp_le_i32_e64 s6, s18, v127
	s_delay_alu instid0(VALU_DEP_2)
	v_mad_i64_i32 v[125:126], null, v0, s9, 0
	ds_load_2addr_b64 v[4:7], v117 offset0:128 offset1:160
	ds_load_2addr_b64 v[0:3], v117 offset0:192 offset1:224
	ds_load_2addr_b64 v[28:31], v118 offset1:8
	ds_load_2addr_b64 v[24:27], v118 offset0:16 offset1:24
	ds_load_2addr_b64 v[20:23], v118 offset0:32 offset1:40
	;; [unrolled: 1-line block ×3, first 2 shown]
	ds_store_b16 v76, v119
	ds_store_b16 v76, v120 offset:512
	ds_store_b16 v76, v121 offset:1024
	;; [unrolled: 1-line block ×3, first 2 shown]
	ds_store_b16 v85, v124
	s_waitcnt lgkmcnt(0)
	s_barrier
	buffer_gl0_inv
	v_lshlrev_b64 v[125:126], 1, v[125:126]
	s_delay_alu instid0(VALU_DEP_1) | instskip(NEXT) | instid1(VALU_DEP_1)
	v_add_co_u32 v124, s7, s20, v125
	v_add_co_ci_u32_e64 v125, s7, s21, v126, s7
	s_or_b32 s7, vcc_lo, s6
	s_delay_alu instid0(SALU_CYCLE_1) | instskip(SKIP_1) | instid1(SALU_CYCLE_1)
	v_cndmask_b32_e64 v119, 0, 0x7c00, s7
	s_or_b32 s7, s14, s7
	s_xor_b32 s7, s7, -1
	s_delay_alu instid0(SALU_CYCLE_1) | instskip(NEXT) | instid1(SALU_CYCLE_1)
	s_and_saveexec_b32 s29, s7
	s_xor_b32 s29, exec_lo, s29
	s_cbranch_execz .LBB263_44
; %bb.43:                               ;   in Loop: Header=BB263_32 Depth=1
	v_add_co_u32 v119, s7, v124, v32
	s_delay_alu instid0(VALU_DEP_1)
	v_add_co_ci_u32_e64 v120, s7, v125, v33, s7
	flat_load_u16 v119, v[119:120]
	s_waitcnt vmcnt(0) lgkmcnt(0)
	v_mul_f16_e32 v119, s19, v119
.LBB263_44:                             ;   in Loop: Header=BB263_32 Depth=1
	s_or_b32 exec_lo, exec_lo, s29
	s_or_b32 s7, s2, s6
	s_delay_alu instid0(SALU_CYCLE_1) | instskip(SKIP_1) | instid1(SALU_CYCLE_1)
	v_cndmask_b32_e64 v120, 0, 0x7c00, s7
	s_or_b32 s7, s14, s7
	s_xor_b32 s7, s7, -1
	s_delay_alu instid0(SALU_CYCLE_1)
	s_and_saveexec_b32 s29, s7
	s_cbranch_execz .LBB263_46
; %bb.45:                               ;   in Loop: Header=BB263_32 Depth=1
	v_add_co_u32 v120, s7, v124, v34
	s_delay_alu instid0(VALU_DEP_1)
	v_add_co_ci_u32_e64 v121, s7, v125, v35, s7
	flat_load_u16 v120, v[120:121]
	s_waitcnt vmcnt(0) lgkmcnt(0)
	v_mul_f16_e32 v120, s19, v120
.LBB263_46:                             ;   in Loop: Header=BB263_32 Depth=1
	s_or_b32 exec_lo, exec_lo, s29
	s_or_b32 s7, s3, s6
	s_delay_alu instid0(SALU_CYCLE_1) | instskip(SKIP_1) | instid1(SALU_CYCLE_1)
	v_cndmask_b32_e64 v121, 0, 0x7c00, s7
	s_or_b32 s7, s14, s7
	s_xor_b32 s7, s7, -1
	s_delay_alu instid0(SALU_CYCLE_1)
	s_and_saveexec_b32 s29, s7
	;; [unrolled: 17-line block ×3, first 2 shown]
	s_cbranch_execz .LBB263_50
; %bb.49:                               ;   in Loop: Header=BB263_32 Depth=1
	v_add_co_u32 v124, s6, v124, v38
	s_delay_alu instid0(VALU_DEP_1)
	v_add_co_ci_u32_e64 v125, s6, v125, v39, s6
	flat_load_u16 v122, v[124:125]
	s_waitcnt vmcnt(0) lgkmcnt(0)
	v_mul_f16_e32 v122, s19, v122
.LBB263_50:                             ;   in Loop: Header=BB263_32 Depth=1
	s_or_b32 exec_lo, exec_lo, s7
	v_pk_add_f16 v124, v16, v28
	v_pk_max_f16 v113, v113, v113
	v_pk_add_f16 v125, v18, v28
	v_pk_max_f16 v112, v112, v112
	;; [unrolled: 2-line block ×3, first 2 shown]
	v_pk_add_f16 v127, v14, v28
	v_pk_min_f16 v113, v113, v124
	v_pk_min_f16 v112, v112, v125
	v_pk_add_f16 v124, v4, v28
	v_pk_min_f16 v111, v111, v126
	v_pk_add_f16 v125, v6, v28
	v_pk_add_f16 v126, v0, v28
	;; [unrolled: 1-line block ×3, first 2 shown]
	v_pk_max_f16 v106, v106, v106
	v_pk_max_f16 v110, v110, v110
	;; [unrolled: 1-line block ×5, first 2 shown]
	v_pk_min_f16 v28, v106, v28
	v_pk_add_f16 v106, v18, v30
	v_pk_min_f16 v110, v110, v127
	v_pk_max_f16 v107, v107, v107
	v_pk_add_f16 v127, v16, v30
	v_pk_max_f16 v105, v105, v105
	v_pk_min_f16 v109, v109, v124
	v_pk_min_f16 v108, v108, v125
	v_pk_add_f16 v124, v12, v30
	v_pk_max_f16 v103, v103, v103
	v_pk_add_f16 v125, v14, v30
	v_pk_max_f16 v102, v102, v102
	v_pk_min_f16 v104, v104, v106
	v_pk_add_f16 v106, v0, v30
	v_pk_max_f16 v99, v99, v99
	v_pk_min_f16 v107, v107, v126
	v_pk_min_f16 v105, v105, v127
	v_pk_add_f16 v126, v4, v30
	v_pk_max_f16 v101, v101, v101
	v_pk_add_f16 v127, v6, v30
	v_pk_min_f16 v103, v103, v124
	v_pk_min_f16 v102, v102, v125
	v_pk_add_f16 v30, v2, v30
	v_pk_max_f16 v98, v98, v98
	v_pk_add_f16 v124, v16, v24
	v_pk_max_f16 v97, v97, v97
	;; [unrolled: 2-line block ×3, first 2 shown]
	v_pk_min_f16 v99, v99, v106
	v_pk_add_f16 v106, v4, v24
	v_pk_max_f16 v93, v93, v93
	v_pk_min_f16 v101, v101, v126
	v_pk_add_f16 v126, v12, v24
	v_pk_min_f16 v30, v98, v30
	v_pk_min_f16 v97, v97, v124
	;; [unrolled: 1-line block ×3, first 2 shown]
	v_pk_add_f16 v98, v14, v24
	v_pk_max_f16 v94, v94, v94
	v_pk_add_f16 v124, v6, v24
	v_pk_max_f16 v92, v92, v92
	v_pk_add_f16 v125, v0, v24
	v_pk_max_f16 v91, v91, v91
	v_pk_add_f16 v24, v2, v24
	v_pk_max_f16 v90, v90, v90
	v_pk_min_f16 v93, v93, v106
	v_pk_add_f16 v106, v12, v26
	v_pk_max_f16 v87, v87, v87
	v_pk_min_f16 v94, v94, v98
	v_pk_min_f16 v92, v92, v124
	;; [unrolled: 1-line block ×4, first 2 shown]
	v_pk_add_f16 v90, v16, v26
	v_pk_max_f16 v89, v89, v89
	v_pk_add_f16 v98, v18, v26
	v_pk_max_f16 v88, v88, v88
	;; [unrolled: 2-line block ×4, first 2 shown]
	v_pk_min_f16 v87, v87, v106
	v_pk_add_f16 v106, v16, v20
	v_pk_max_f16 v80, v80, v80
	v_pk_max_f16 v95, v95, v95
	v_pk_min_f16 v89, v89, v90
	v_pk_min_f16 v88, v88, v98
	;; [unrolled: 1-line block ×4, first 2 shown]
	v_pk_add_f16 v84, v6, v26
	v_pk_max_f16 v83, v83, v83
	v_pk_add_f16 v86, v0, v26
	v_pk_max_f16 v82, v82, v82
	;; [unrolled: 2-line block ×3, first 2 shown]
	v_pk_min_f16 v106, v80, v106
	v_pk_add_f16 v80, v14, v20
	v_pk_max_f16 v77, v77, v77
	v_pk_min_f16 v95, v95, v126
	v_pk_min_f16 v125, v83, v84
	;; [unrolled: 1-line block ×4, first 2 shown]
	v_pk_add_f16 v81, v4, v20
	v_pk_max_f16 v75, v75, v75
	v_pk_add_f16 v82, v6, v20
	v_pk_max_f16 v74, v74, v74
	v_pk_add_f16 v83, v0, v20
	v_pk_max_f16 v73, v73, v73
	v_pk_min_f16 v128, v77, v80
	v_pk_add_f16 v77, v14, v22
	v_pk_max_f16 v68, v68, v68
	v_pk_min_f16 v129, v75, v81
	v_pk_min_f16 v130, v74, v82
	;; [unrolled: 1-line block ×3, first 2 shown]
	v_pk_add_f16 v73, v16, v22
	v_pk_max_f16 v71, v71, v71
	v_pk_add_f16 v74, v18, v22
	v_pk_max_f16 v70, v70, v70
	;; [unrolled: 2-line block ×3, first 2 shown]
	v_pk_min_f16 v135, v68, v77
	v_pk_add_f16 v68, v4, v22
	v_pk_max_f16 v67, v67, v67
	v_pk_min_f16 v132, v71, v73
	v_pk_min_f16 v133, v70, v74
	;; [unrolled: 1-line block ×3, first 2 shown]
	v_pk_add_f16 v69, v6, v22
	v_pk_max_f16 v66, v66, v66
	v_pk_add_f16 v70, v0, v22
	v_pk_max_f16 v65, v65, v65
	;; [unrolled: 2-line block ×4, first 2 shown]
	v_pk_min_f16 v136, v67, v68
	v_pk_add_f16 v67, v6, v8
	v_pk_max_f16 v58, v58, v58
	v_pk_add_f16 v124, v18, v20
	v_pk_max_f16 v79, v79, v79
	v_pk_min_f16 v137, v66, v69
	v_pk_min_f16 v138, v65, v70
	;; [unrolled: 1-line block ×4, first 2 shown]
	v_pk_add_f16 v63, v18, v8
	v_pk_add_f16 v64, v12, v8
	;; [unrolled: 1-line block ×4, first 2 shown]
	v_pk_min_f16 v144, v58, v67
	v_pk_add_f16 v58, v0, v8
	v_pk_add_f16 v8, v2, v8
	v_pk_max_f16 v56, v56, v56
	v_pk_min_f16 v124, v79, v124
	v_pk_add_f16 v79, v12, v20
	v_pk_add_f16 v20, v2, v20
	;; [unrolled: 1-line block ×3, first 2 shown]
	v_pk_max_f16 v54, v54, v54
	v_pk_add_f16 v18, v18, v10
	v_pk_add_f16 v12, v12, v10
	v_pk_min_f16 v146, v56, v8
	v_pk_add_f16 v8, v14, v10
	v_pk_add_f16 v4, v4, v10
	;; [unrolled: 1-line block ×5, first 2 shown]
	v_pk_max_f16 v10, v48, v48
	v_pk_min_f16 v147, v54, v16
	v_pk_max_f16 v14, v53, v53
	v_pk_max_f16 v16, v51, v51
	;; [unrolled: 1-line block ×3, first 2 shown]
	v_pk_min_f16 v153, v10, v2
	v_pk_add_f16 v2, v17, v29
	v_pk_min_f16 v151, v14, v4
	v_pk_min_f16 v152, v16, v6
	v_pk_add_f16 v4, v19, v29
	v_pk_add_f16 v6, v13, v29
	v_pk_min_f16 v86, v113, v2
	v_pk_add_f16 v2, v7, v29
	v_pk_max_f16 v100, v100, v100
	v_pk_max_f16 v78, v78, v78
	v_pk_min_f16 v149, v50, v12
	v_pk_max_f16 v12, v55, v55
	v_pk_min_f16 v83, v112, v4
	v_pk_min_f16 v81, v111, v6
	v_pk_add_f16 v4, v1, v29
	v_pk_add_f16 v6, v3, v29
	v_pk_min_f16 v84, v108, v2
	v_pk_add_f16 v2, v13, v31
	v_pk_min_f16 v100, v100, v127
	v_pk_min_f16 v127, v78, v79
	;; [unrolled: 1-line block ×3, first 2 shown]
	v_pk_add_f16 v8, v15, v29
	v_pk_add_f16 v10, v5, v29
	v_pk_min_f16 v82, v107, v4
	v_pk_min_f16 v78, v28, v6
	v_pk_add_f16 v4, v15, v31
	v_pk_add_f16 v6, v5, v31
	v_pk_min_f16 v77, v103, v2
	v_pk_add_f16 v2, v3, v31
	v_pk_max_f16 v72, v72, v72
	v_pk_min_f16 v80, v110, v8
	v_pk_min_f16 v79, v109, v10
	v_pk_add_f16 v8, v17, v31
	v_pk_add_f16 v10, v19, v31
	v_pk_min_f16 v75, v102, v4
	v_pk_min_f16 v74, v101, v6
	v_pk_add_f16 v4, v17, v25
	v_pk_add_f16 v6, v19, v25
	v_pk_min_f16 v73, v30, v2
	v_pk_add_f16 v2, v5, v25
	v_pk_min_f16 v20, v72, v20
	v_pk_max_f16 v62, v62, v62
	v_pk_max_f16 v61, v61, v61
	;; [unrolled: 1-line block ×4, first 2 shown]
	v_pk_min_f16 v72, v105, v8
	v_pk_min_f16 v70, v104, v10
	v_pk_add_f16 v8, v7, v31
	v_pk_add_f16 v10, v1, v31
	v_pk_min_f16 v71, v97, v4
	v_pk_min_f16 v69, v96, v6
	v_pk_add_f16 v4, v7, v25
	v_pk_add_f16 v6, v1, v25
	v_pk_min_f16 v68, v93, v2
	v_pk_add_f16 v2, v19, v27
	v_pk_min_f16 v140, v62, v63
	v_pk_min_f16 v141, v61, v64
	;; [unrolled: 1-line block ×4, first 2 shown]
	v_pk_max_f16 v57, v57, v57
	v_pk_min_f16 v67, v100, v8
	v_pk_min_f16 v65, v99, v10
	v_pk_add_f16 v8, v13, v25
	v_pk_add_f16 v10, v15, v25
	v_pk_min_f16 v66, v92, v4
	v_pk_min_f16 v64, v91, v6
	v_pk_add_f16 v4, v13, v27
	v_pk_add_f16 v6, v15, v27
	v_pk_min_f16 v63, v88, v2
	v_pk_add_f16 v2, v1, v27
	v_pk_min_f16 v145, v57, v58
	v_pk_min_f16 v62, v95, v8
	;; [unrolled: 1-line block ×3, first 2 shown]
	v_pk_add_f16 v8, v3, v25
	v_pk_add_f16 v10, v17, v27
	v_pk_min_f16 v61, v87, v4
	v_pk_min_f16 v59, v90, v6
	v_pk_add_f16 v4, v3, v27
	v_pk_add_f16 v6, v17, v21
	v_pk_min_f16 v58, v126, v2
	v_pk_add_f16 v2, v15, v21
	v_pk_max_f16 v52, v52, v52
	v_pk_min_f16 v57, v24, v8
	v_pk_min_f16 v55, v89, v10
	v_pk_add_f16 v8, v5, v27
	v_pk_add_f16 v10, v7, v27
	v_pk_min_f16 v56, v26, v4
	v_pk_min_f16 v54, v106, v6
	v_pk_add_f16 v4, v5, v21
	v_pk_add_f16 v6, v7, v21
	v_pk_min_f16 v53, v128, v2
	v_pk_add_f16 v2, v17, v23
	v_pk_min_f16 v148, v52, v18
	v_pk_max_f16 v18, v49, v49
	v_pk_min_f16 v52, v98, v8
	v_pk_min_f16 v50, v125, v10
	v_pk_add_f16 v8, v19, v21
	v_pk_add_f16 v10, v13, v21
	v_pk_min_f16 v51, v129, v4
	v_pk_min_f16 v49, v130, v6
	v_pk_add_f16 v4, v19, v23
	v_pk_add_f16 v6, v13, v23
	v_pk_min_f16 v48, v132, v2
	v_pk_add_f16 v2, v7, v23
	v_pk_min_f16 v31, v124, v8
	v_pk_min_f16 v29, v127, v10
	v_pk_add_f16 v8, v1, v21
	v_pk_add_f16 v10, v3, v21
	v_pk_min_f16 v30, v133, v4
	v_pk_min_f16 v28, v134, v6
	v_pk_add_f16 v4, v1, v23
	v_pk_add_f16 v6, v3, v23
	v_pk_min_f16 v27, v137, v2
	v_pk_add_f16 v2, v13, v9
	v_pk_min_f16 v26, v131, v8
	v_pk_min_f16 v24, v20, v10
	v_pk_add_f16 v8, v15, v23
	v_pk_add_f16 v10, v5, v23
	v_pk_min_f16 v25, v138, v4
	v_pk_min_f16 v23, v22, v6
	v_pk_add_f16 v4, v15, v9
	v_pk_min_f16 v22, v141, v2
	v_pk_add_f16 v2, v3, v9
	v_pk_add_f16 v15, v15, v11
	v_pk_min_f16 v21, v135, v8
	v_pk_add_f16 v8, v17, v9
	v_pk_min_f16 v20, v142, v4
	v_pk_add_f16 v4, v17, v11
	v_pk_add_f16 v17, v13, v11
	v_pk_min_f16 v13, v146, v2
	v_pk_min_f16 v2, v150, v15
	v_add_nc_u32_e32 v15, 12, v123
	v_pk_add_f16 v6, v5, v9
	v_pk_add_f16 v12, v1, v9
	v_pk_min_f16 v0, v18, v0
	v_pk_min_f16 v18, v136, v10
	v_cmp_le_i32_e64 s6, s18, v15
	v_pk_add_f16 v10, v19, v9
	v_pk_min_f16 v14, v139, v8
	v_pk_add_f16 v8, v7, v9
	v_pk_min_f16 v16, v143, v6
	v_pk_min_f16 v6, v145, v12
	v_pk_add_f16 v9, v19, v11
	v_pk_min_f16 v12, v147, v4
	v_pk_min_f16 v4, v149, v17
	v_pk_add_f16 v5, v5, v11
	v_pk_add_f16 v17, v7, v11
	;; [unrolled: 1-line block ×4, first 2 shown]
	s_or_b32 s6, s6, s5
	v_pk_min_f16 v10, v140, v10
	v_pk_min_f16 v8, v144, v8
	;; [unrolled: 1-line block ×7, first 2 shown]
	v_cndmask_b32_e64 v0, 0, 0x7c00, s6
	s_or_b32 s6, s14, s6
	s_delay_alu instid0(SALU_CYCLE_1) | instskip(NEXT) | instid1(SALU_CYCLE_1)
	s_xor_b32 s7, s6, -1
	s_and_saveexec_b32 s6, s7
	s_cbranch_execz .LBB263_31
; %bb.51:                               ;   in Loop: Header=BB263_32 Depth=1
	flat_load_u16 v0, v[40:41]
	s_waitcnt vmcnt(0) lgkmcnt(0)
	v_mul_f16_e32 v0, s19, v0
	s_branch .LBB263_31
.LBB263_52:
	s_clause 0x2
	s_load_b64 s[2:3], s[0:1], 0x70
	s_load_b32 s14, s[0:1], 0x50
	s_load_b32 s9, s[0:1], 0x68
	v_add_nc_u32_e32 v0, 0x800, v45
	v_add_nc_u32_e32 v85, s27, v43
	;; [unrolled: 1-line block ×4, first 2 shown]
	ds_load_2addr_b64 v[16:19], v0 offset1:32
	ds_load_2addr_b64 v[12:15], v0 offset0:64 offset1:96
	ds_load_2addr_b64 v[8:11], v0 offset0:128 offset1:160
	;; [unrolled: 1-line block ×7, first 2 shown]
	v_cmp_gt_i32_e64 s8, s17, v85
	v_cndmask_b32_e64 v76, 0, 1, s25
	v_cmp_gt_i32_e64 s0, s16, v32
	v_ashrrev_i32_e32 v33, 31, v32
	s_waitcnt lgkmcnt(0)
	s_mul_i32 s1, s15, s3
	v_mad_i64_i32 v[34:35], null, v85, s14, 0
	v_mad_i64_i32 v[36:37], null, v85, s9, 0
	s_mul_hi_u32 s3, s15, s2
	s_mul_i32 s4, s26, s2
	s_add_i32 s1, s3, s1
	s_mul_i32 s2, s15, s2
	s_delay_alu instid0(VALU_DEP_2) | instskip(SKIP_1) | instid1(VALU_DEP_2)
	v_lshlrev_b64 v[34:35], 1, v[34:35]
	s_add_i32 s3, s1, s4
	v_lshlrev_b64 v[36:37], 1, v[36:37]
	s_lshl_b64 s[2:3], s[2:3], 1
	s_delay_alu instid0(SALU_CYCLE_1) | instskip(NEXT) | instid1(VALU_DEP_2)
	s_add_u32 s10, s10, s2
	v_add_co_u32 v116, vcc_lo, s12, v34
	v_add_co_ci_u32_e32 v117, vcc_lo, s13, v35, vcc_lo
	s_addc_u32 s11, s11, s3
	v_add_co_u32 v114, vcc_lo, s10, v36
	v_add_co_ci_u32_e32 v115, vcc_lo, s11, v37, vcc_lo
	s_and_b32 s1, s0, s8
	s_delay_alu instid0(SALU_CYCLE_1) | instskip(NEXT) | instid1(SALU_CYCLE_1)
	s_and_saveexec_b32 s2, s1
	s_xor_b32 s1, exec_lo, s2
	s_cbranch_execz .LBB263_57
; %bb.53:
	s_and_not1_b32 vcc_lo, exec_lo, s25
	s_cbranch_vccnz .LBB263_55
; %bb.54:
	v_lshlrev_b64 v[34:35], 1, v[32:33]
	s_delay_alu instid0(VALU_DEP_1) | instskip(NEXT) | instid1(VALU_DEP_2)
	v_add_co_u32 v34, vcc_lo, v116, v34
	v_add_co_ci_u32_e32 v35, vcc_lo, v117, v35, vcc_lo
	flat_load_u16 v34, v[34:35]
	s_waitcnt vmcnt(0) lgkmcnt(0)
	v_mul_f16_e32 v34, s24, v34
	s_branch .LBB263_56
.LBB263_55:
	v_mov_b32_e32 v34, 0
.LBB263_56:
	v_pk_add_f16 v35, v16, v28
	v_pk_max_f16 v36, v113, v113
	v_pk_add_f16 v37, v17, v29
	s_delay_alu instid0(VALU_DEP_2) | instskip(NEXT) | instid1(VALU_DEP_1)
	v_pk_min_f16 v35, v36, v35
	v_pk_min_f16 v37, v35, v37
	v_lshlrev_b64 v[35:36], 1, v[32:33]
	s_delay_alu instid0(VALU_DEP_2) | instskip(NEXT) | instid1(VALU_DEP_1)
	v_lshrrev_b32_e32 v38, 16, v37
	v_min3_f16 v37, v34, v37, v38
	s_delay_alu instid0(VALU_DEP_3) | instskip(NEXT) | instid1(VALU_DEP_4)
	v_add_co_u32 v34, vcc_lo, v114, v35
	v_add_co_ci_u32_e32 v35, vcc_lo, v115, v36, vcc_lo
	global_store_b16 v[34:35], v37, off
.LBB263_57:
	s_or_b32 exec_lo, exec_lo, s1
	v_add_nc_u32_e32 v34, 32, v32
	s_delay_alu instid0(VALU_DEP_1) | instskip(SKIP_1) | instid1(VALU_DEP_2)
	v_cmp_gt_i32_e64 s1, s16, v34
	v_ashrrev_i32_e32 v35, 31, v34
	s_and_b32 s3, s1, s8
	s_delay_alu instid0(SALU_CYCLE_1)
	s_and_saveexec_b32 s2, s3
	s_cbranch_execz .LBB263_62
; %bb.58:
	v_cmp_ne_u32_e32 vcc_lo, 1, v76
	s_cbranch_vccnz .LBB263_60
; %bb.59:
	v_lshlrev_b64 v[36:37], 1, v[34:35]
	s_delay_alu instid0(VALU_DEP_1) | instskip(NEXT) | instid1(VALU_DEP_2)
	v_add_co_u32 v36, vcc_lo, v116, v36
	v_add_co_ci_u32_e32 v37, vcc_lo, v117, v37, vcc_lo
	flat_load_u16 v36, v[36:37]
	s_waitcnt vmcnt(0) lgkmcnt(0)
	v_mul_f16_e32 v36, s24, v36
	s_branch .LBB263_61
.LBB263_60:
	v_mov_b32_e32 v36, 0
.LBB263_61:
	v_pk_add_f16 v37, v18, v28
	v_pk_max_f16 v38, v112, v112
	v_pk_add_f16 v39, v19, v29
	s_delay_alu instid0(VALU_DEP_2) | instskip(NEXT) | instid1(VALU_DEP_1)
	v_pk_min_f16 v37, v38, v37
	v_pk_min_f16 v39, v37, v39
	v_lshlrev_b64 v[37:38], 1, v[34:35]
	s_delay_alu instid0(VALU_DEP_2) | instskip(NEXT) | instid1(VALU_DEP_1)
	v_lshrrev_b32_e32 v40, 16, v39
	v_min3_f16 v39, v36, v39, v40
	s_delay_alu instid0(VALU_DEP_3) | instskip(NEXT) | instid1(VALU_DEP_4)
	v_add_co_u32 v36, vcc_lo, v114, v37
	v_add_co_ci_u32_e32 v37, vcc_lo, v115, v38, vcc_lo
	global_store_b16 v[36:37], v39, off
.LBB263_62:
	s_or_b32 exec_lo, exec_lo, s2
	v_add_nc_u32_e32 v36, 64, v32
	s_delay_alu instid0(VALU_DEP_1) | instskip(SKIP_1) | instid1(VALU_DEP_2)
	v_cmp_gt_i32_e64 s2, s16, v36
	v_ashrrev_i32_e32 v37, 31, v36
	s_and_b32 s4, s2, s8
	s_delay_alu instid0(SALU_CYCLE_1)
	s_and_saveexec_b32 s3, s4
	s_cbranch_execz .LBB263_67
; %bb.63:
	v_cmp_ne_u32_e32 vcc_lo, 1, v76
	s_cbranch_vccnz .LBB263_65
; %bb.64:
	v_lshlrev_b64 v[38:39], 1, v[36:37]
	s_delay_alu instid0(VALU_DEP_1) | instskip(NEXT) | instid1(VALU_DEP_2)
	v_add_co_u32 v38, vcc_lo, v116, v38
	v_add_co_ci_u32_e32 v39, vcc_lo, v117, v39, vcc_lo
	flat_load_u16 v38, v[38:39]
	s_waitcnt vmcnt(0) lgkmcnt(0)
	v_mul_f16_e32 v38, s24, v38
	s_branch .LBB263_66
.LBB263_65:
	v_mov_b32_e32 v38, 0
.LBB263_66:
	v_pk_add_f16 v39, v12, v28
	v_pk_max_f16 v40, v111, v111
	v_pk_add_f16 v41, v13, v29
	s_delay_alu instid0(VALU_DEP_2) | instskip(NEXT) | instid1(VALU_DEP_1)
	v_pk_min_f16 v39, v40, v39
	v_pk_min_f16 v41, v39, v41
	v_lshlrev_b64 v[39:40], 1, v[36:37]
	s_delay_alu instid0(VALU_DEP_2) | instskip(NEXT) | instid1(VALU_DEP_1)
	v_lshrrev_b32_e32 v42, 16, v41
	v_min3_f16 v41, v38, v41, v42
	s_delay_alu instid0(VALU_DEP_3) | instskip(NEXT) | instid1(VALU_DEP_4)
	v_add_co_u32 v38, vcc_lo, v114, v39
	v_add_co_ci_u32_e32 v39, vcc_lo, v115, v40, vcc_lo
	global_store_b16 v[38:39], v41, off
.LBB263_67:
	;; [unrolled: 39-line block ×6, first 2 shown]
	s_or_b32 exec_lo, exec_lo, s7
	v_add_nc_u32_e32 v46, 0xe0, v32
	s_delay_alu instid0(VALU_DEP_1) | instskip(SKIP_1) | instid1(VALU_DEP_2)
	v_cmp_gt_i32_e64 s7, s16, v46
	v_ashrrev_i32_e32 v47, 31, v46
	s_and_b32 s15, s7, s8
	s_delay_alu instid0(SALU_CYCLE_1)
	s_and_saveexec_b32 s8, s15
	s_cbranch_execz .LBB263_92
; %bb.88:
	v_cmp_ne_u32_e32 vcc_lo, 1, v76
	s_cbranch_vccnz .LBB263_90
; %bb.89:
	v_lshlrev_b64 v[107:108], 1, v[46:47]
	s_delay_alu instid0(VALU_DEP_1) | instskip(NEXT) | instid1(VALU_DEP_2)
	v_add_co_u32 v107, vcc_lo, v116, v107
	v_add_co_ci_u32_e32 v108, vcc_lo, v117, v108, vcc_lo
	flat_load_u16 v107, v[107:108]
	s_waitcnt vmcnt(0) lgkmcnt(0)
	v_mul_f16_e32 v107, s24, v107
	s_branch .LBB263_91
.LBB263_90:
	v_mov_b32_e32 v107, 0
.LBB263_91:
	v_pk_add_f16 v28, v2, v28
	v_pk_max_f16 v106, v106, v106
	v_pk_add_f16 v29, v3, v29
	s_delay_alu instid0(VALU_DEP_2) | instskip(NEXT) | instid1(VALU_DEP_1)
	v_pk_min_f16 v28, v106, v28
	v_pk_min_f16 v106, v28, v29
	v_lshlrev_b64 v[28:29], 1, v[46:47]
	s_delay_alu instid0(VALU_DEP_2) | instskip(NEXT) | instid1(VALU_DEP_2)
	v_lshrrev_b32_e32 v108, 16, v106
	v_add_co_u32 v28, vcc_lo, v114, v28
	s_delay_alu instid0(VALU_DEP_3) | instskip(NEXT) | instid1(VALU_DEP_3)
	v_add_co_ci_u32_e32 v29, vcc_lo, v115, v29, vcc_lo
	v_min3_f16 v106, v107, v106, v108
	global_store_b16 v[28:29], v106, off
.LBB263_92:
	s_or_b32 exec_lo, exec_lo, s8
	v_add_nc_u32_e32 v108, 8, v85
	s_delay_alu instid0(VALU_DEP_1) | instskip(SKIP_2) | instid1(VALU_DEP_3)
	v_mad_i64_i32 v[28:29], null, v108, s14, 0
	v_mad_i64_i32 v[106:107], null, v108, s9, 0
	v_cmp_gt_i32_e64 s8, s17, v108
	v_lshlrev_b64 v[28:29], 1, v[28:29]
	s_delay_alu instid0(VALU_DEP_2) | instskip(NEXT) | instid1(VALU_DEP_3)
	s_and_b32 s16, s0, s8
	v_lshlrev_b64 v[108:109], 1, v[106:107]
	s_delay_alu instid0(VALU_DEP_2) | instskip(NEXT) | instid1(VALU_DEP_3)
	v_add_co_u32 v106, vcc_lo, s12, v28
	v_add_co_ci_u32_e32 v107, vcc_lo, s13, v29, vcc_lo
	s_delay_alu instid0(VALU_DEP_3) | instskip(NEXT) | instid1(VALU_DEP_4)
	v_add_co_u32 v28, vcc_lo, s10, v108
	v_add_co_ci_u32_e32 v29, vcc_lo, s11, v109, vcc_lo
	s_and_saveexec_b32 s15, s16
	s_cbranch_execnz .LBB263_100
; %bb.93:
	s_or_b32 exec_lo, exec_lo, s15
	s_and_b32 s16, s1, s8
	s_delay_alu instid0(SALU_CYCLE_1)
	s_and_saveexec_b32 s15, s16
	s_cbranch_execnz .LBB263_104
.LBB263_94:
	s_or_b32 exec_lo, exec_lo, s15
	s_and_b32 s16, s2, s8
	s_delay_alu instid0(SALU_CYCLE_1)
	s_and_saveexec_b32 s15, s16
	s_cbranch_execnz .LBB263_108
.LBB263_95:
	s_or_b32 exec_lo, exec_lo, s15
	s_and_b32 s16, s3, s8
	s_delay_alu instid0(SALU_CYCLE_1)
	s_and_saveexec_b32 s15, s16
	s_cbranch_execnz .LBB263_112
.LBB263_96:
	s_or_b32 exec_lo, exec_lo, s15
	s_and_b32 s16, s4, s8
	s_delay_alu instid0(SALU_CYCLE_1)
	s_and_saveexec_b32 s15, s16
	s_cbranch_execnz .LBB263_116
.LBB263_97:
	s_or_b32 exec_lo, exec_lo, s15
	s_and_b32 s16, s5, s8
	s_delay_alu instid0(SALU_CYCLE_1)
	s_and_saveexec_b32 s15, s16
	s_cbranch_execnz .LBB263_120
.LBB263_98:
	s_or_b32 exec_lo, exec_lo, s15
	s_and_b32 s16, s6, s8
	s_delay_alu instid0(SALU_CYCLE_1)
	s_and_saveexec_b32 s15, s16
	s_cbranch_execnz .LBB263_124
.LBB263_99:
	s_or_b32 exec_lo, exec_lo, s15
	s_and_b32 s15, s7, s8
	s_delay_alu instid0(SALU_CYCLE_1)
	s_and_saveexec_b32 s8, s15
	s_cbranch_execnz .LBB263_128
	s_branch .LBB263_132
.LBB263_100:
	v_cmp_ne_u32_e32 vcc_lo, 1, v76
	s_cbranch_vccnz .LBB263_102
; %bb.101:
	v_lshlrev_b64 v[108:109], 1, v[32:33]
	s_delay_alu instid0(VALU_DEP_1) | instskip(NEXT) | instid1(VALU_DEP_2)
	v_add_co_u32 v108, vcc_lo, v106, v108
	v_add_co_ci_u32_e32 v109, vcc_lo, v107, v109, vcc_lo
	flat_load_u16 v108, v[108:109]
	s_waitcnt vmcnt(0) lgkmcnt(0)
	v_mul_f16_e32 v108, s24, v108
	s_branch .LBB263_103
.LBB263_102:
	v_mov_b32_e32 v108, 0
.LBB263_103:
	v_pk_add_f16 v109, v16, v30
	v_pk_max_f16 v105, v105, v105
	v_pk_add_f16 v110, v17, v31
	s_delay_alu instid0(VALU_DEP_2) | instskip(NEXT) | instid1(VALU_DEP_1)
	v_pk_min_f16 v105, v105, v109
	v_pk_min_f16 v105, v105, v110
	v_lshlrev_b64 v[109:110], 1, v[32:33]
	s_delay_alu instid0(VALU_DEP_2) | instskip(NEXT) | instid1(VALU_DEP_1)
	v_lshrrev_b32_e32 v111, 16, v105
	v_min3_f16 v105, v108, v105, v111
	s_delay_alu instid0(VALU_DEP_3) | instskip(NEXT) | instid1(VALU_DEP_4)
	v_add_co_u32 v108, vcc_lo, v28, v109
	v_add_co_ci_u32_e32 v109, vcc_lo, v29, v110, vcc_lo
	global_store_b16 v[108:109], v105, off
	s_or_b32 exec_lo, exec_lo, s15
	s_and_b32 s16, s1, s8
	s_delay_alu instid0(SALU_CYCLE_1)
	s_and_saveexec_b32 s15, s16
	s_cbranch_execz .LBB263_94
.LBB263_104:
	v_cmp_ne_u32_e32 vcc_lo, 1, v76
	s_cbranch_vccnz .LBB263_106
; %bb.105:
	v_lshlrev_b64 v[108:109], 1, v[34:35]
	s_delay_alu instid0(VALU_DEP_1) | instskip(NEXT) | instid1(VALU_DEP_2)
	v_add_co_u32 v108, vcc_lo, v106, v108
	v_add_co_ci_u32_e32 v109, vcc_lo, v107, v109, vcc_lo
	flat_load_u16 v105, v[108:109]
	s_waitcnt vmcnt(0) lgkmcnt(0)
	v_mul_f16_e32 v105, s24, v105
	s_branch .LBB263_107
.LBB263_106:
	v_mov_b32_e32 v105, 0
.LBB263_107:
	v_pk_add_f16 v108, v18, v30
	v_pk_max_f16 v104, v104, v104
	v_pk_add_f16 v109, v19, v31
	s_delay_alu instid0(VALU_DEP_2) | instskip(NEXT) | instid1(VALU_DEP_1)
	v_pk_min_f16 v104, v104, v108
	v_pk_min_f16 v104, v104, v109
	v_lshlrev_b64 v[108:109], 1, v[34:35]
	s_delay_alu instid0(VALU_DEP_2) | instskip(NEXT) | instid1(VALU_DEP_1)
	v_lshrrev_b32_e32 v110, 16, v104
	v_min3_f16 v110, v105, v104, v110
	s_delay_alu instid0(VALU_DEP_3) | instskip(NEXT) | instid1(VALU_DEP_4)
	v_add_co_u32 v104, vcc_lo, v28, v108
	v_add_co_ci_u32_e32 v105, vcc_lo, v29, v109, vcc_lo
	global_store_b16 v[104:105], v110, off
	s_or_b32 exec_lo, exec_lo, s15
	s_and_b32 s16, s2, s8
	s_delay_alu instid0(SALU_CYCLE_1)
	s_and_saveexec_b32 s15, s16
	s_cbranch_execz .LBB263_95
.LBB263_108:
	v_cmp_ne_u32_e32 vcc_lo, 1, v76
	s_cbranch_vccnz .LBB263_110
; %bb.109:
	v_lshlrev_b64 v[104:105], 1, v[36:37]
	s_delay_alu instid0(VALU_DEP_1) | instskip(NEXT) | instid1(VALU_DEP_2)
	v_add_co_u32 v104, vcc_lo, v106, v104
	v_add_co_ci_u32_e32 v105, vcc_lo, v107, v105, vcc_lo
	flat_load_u16 v104, v[104:105]
	s_waitcnt vmcnt(0) lgkmcnt(0)
	v_mul_f16_e32 v104, s24, v104
	s_branch .LBB263_111
.LBB263_110:
	v_mov_b32_e32 v104, 0
.LBB263_111:
	v_pk_add_f16 v105, v12, v30
	v_pk_max_f16 v103, v103, v103
	v_pk_add_f16 v108, v13, v31
	s_delay_alu instid0(VALU_DEP_2) | instskip(NEXT) | instid1(VALU_DEP_1)
	v_pk_min_f16 v103, v103, v105
	v_pk_min_f16 v103, v103, v108
	v_lshlrev_b64 v[108:109], 1, v[36:37]
	s_delay_alu instid0(VALU_DEP_2) | instskip(NEXT) | instid1(VALU_DEP_1)
	v_lshrrev_b32_e32 v105, 16, v103
	v_min3_f16 v105, v104, v103, v105
	s_delay_alu instid0(VALU_DEP_3) | instskip(NEXT) | instid1(VALU_DEP_4)
	v_add_co_u32 v103, vcc_lo, v28, v108
	v_add_co_ci_u32_e32 v104, vcc_lo, v29, v109, vcc_lo
	global_store_b16 v[103:104], v105, off
	s_or_b32 exec_lo, exec_lo, s15
	s_and_b32 s16, s3, s8
	s_delay_alu instid0(SALU_CYCLE_1)
	s_and_saveexec_b32 s15, s16
	s_cbranch_execz .LBB263_96
.LBB263_112:
	v_cmp_ne_u32_e32 vcc_lo, 1, v76
	s_cbranch_vccnz .LBB263_114
; %bb.113:
	v_lshlrev_b64 v[103:104], 1, v[38:39]
	s_delay_alu instid0(VALU_DEP_1) | instskip(NEXT) | instid1(VALU_DEP_2)
	v_add_co_u32 v103, vcc_lo, v106, v103
	v_add_co_ci_u32_e32 v104, vcc_lo, v107, v104, vcc_lo
	flat_load_u16 v103, v[103:104]
	s_waitcnt vmcnt(0) lgkmcnt(0)
	v_mul_f16_e32 v103, s24, v103
	s_branch .LBB263_115
.LBB263_114:
	v_mov_b32_e32 v103, 0
.LBB263_115:
	v_pk_add_f16 v104, v14, v30
	v_pk_max_f16 v102, v102, v102
	v_pk_add_f16 v105, v15, v31
	s_delay_alu instid0(VALU_DEP_2) | instskip(NEXT) | instid1(VALU_DEP_1)
	v_pk_min_f16 v102, v102, v104
	v_pk_min_f16 v102, v102, v105
	v_lshlrev_b64 v[104:105], 1, v[38:39]
	s_delay_alu instid0(VALU_DEP_2) | instskip(NEXT) | instid1(VALU_DEP_1)
	v_lshrrev_b32_e32 v108, 16, v102
	v_min3_f16 v108, v103, v102, v108
	s_delay_alu instid0(VALU_DEP_3) | instskip(NEXT) | instid1(VALU_DEP_4)
	v_add_co_u32 v102, vcc_lo, v28, v104
	v_add_co_ci_u32_e32 v103, vcc_lo, v29, v105, vcc_lo
	global_store_b16 v[102:103], v108, off
	s_or_b32 exec_lo, exec_lo, s15
	s_and_b32 s16, s4, s8
	s_delay_alu instid0(SALU_CYCLE_1)
	s_and_saveexec_b32 s15, s16
	s_cbranch_execz .LBB263_97
.LBB263_116:
	v_cmp_ne_u32_e32 vcc_lo, 1, v76
	s_cbranch_vccnz .LBB263_118
; %bb.117:
	v_lshlrev_b64 v[102:103], 1, v[40:41]
	s_delay_alu instid0(VALU_DEP_1) | instskip(NEXT) | instid1(VALU_DEP_2)
	v_add_co_u32 v102, vcc_lo, v106, v102
	v_add_co_ci_u32_e32 v103, vcc_lo, v107, v103, vcc_lo
	flat_load_u16 v102, v[102:103]
	s_waitcnt vmcnt(0) lgkmcnt(0)
	v_mul_f16_e32 v102, s24, v102
	s_branch .LBB263_119
.LBB263_118:
	v_mov_b32_e32 v102, 0
.LBB263_119:
	v_pk_add_f16 v103, v8, v30
	v_pk_max_f16 v101, v101, v101
	v_pk_add_f16 v104, v9, v31
	s_delay_alu instid0(VALU_DEP_2) | instskip(NEXT) | instid1(VALU_DEP_1)
	v_pk_min_f16 v101, v101, v103
	v_pk_min_f16 v101, v101, v104
	v_lshlrev_b64 v[103:104], 1, v[40:41]
	s_delay_alu instid0(VALU_DEP_2) | instskip(NEXT) | instid1(VALU_DEP_1)
	v_lshrrev_b32_e32 v105, 16, v101
	v_min3_f16 v105, v102, v101, v105
	s_delay_alu instid0(VALU_DEP_3) | instskip(NEXT) | instid1(VALU_DEP_4)
	v_add_co_u32 v101, vcc_lo, v28, v103
	v_add_co_ci_u32_e32 v102, vcc_lo, v29, v104, vcc_lo
	global_store_b16 v[101:102], v105, off
	s_or_b32 exec_lo, exec_lo, s15
	s_and_b32 s16, s5, s8
	s_delay_alu instid0(SALU_CYCLE_1)
	s_and_saveexec_b32 s15, s16
	s_cbranch_execz .LBB263_98
.LBB263_120:
	v_cmp_ne_u32_e32 vcc_lo, 1, v76
	s_cbranch_vccnz .LBB263_122
; %bb.121:
	v_lshlrev_b64 v[101:102], 1, v[42:43]
	s_delay_alu instid0(VALU_DEP_1) | instskip(NEXT) | instid1(VALU_DEP_2)
	v_add_co_u32 v101, vcc_lo, v106, v101
	v_add_co_ci_u32_e32 v102, vcc_lo, v107, v102, vcc_lo
	flat_load_u16 v101, v[101:102]
	s_waitcnt vmcnt(0) lgkmcnt(0)
	v_mul_f16_e32 v101, s24, v101
	s_branch .LBB263_123
.LBB263_122:
	v_mov_b32_e32 v101, 0
.LBB263_123:
	v_pk_add_f16 v102, v10, v30
	v_pk_max_f16 v100, v100, v100
	v_pk_add_f16 v103, v11, v31
	s_delay_alu instid0(VALU_DEP_2) | instskip(NEXT) | instid1(VALU_DEP_1)
	v_pk_min_f16 v100, v100, v102
	v_pk_min_f16 v100, v100, v103
	v_lshlrev_b64 v[102:103], 1, v[42:43]
	s_delay_alu instid0(VALU_DEP_2) | instskip(NEXT) | instid1(VALU_DEP_1)
	v_lshrrev_b32_e32 v104, 16, v100
	v_min3_f16 v104, v101, v100, v104
	s_delay_alu instid0(VALU_DEP_3) | instskip(NEXT) | instid1(VALU_DEP_4)
	v_add_co_u32 v100, vcc_lo, v28, v102
	v_add_co_ci_u32_e32 v101, vcc_lo, v29, v103, vcc_lo
	global_store_b16 v[100:101], v104, off
	s_or_b32 exec_lo, exec_lo, s15
	s_and_b32 s16, s6, s8
	s_delay_alu instid0(SALU_CYCLE_1)
	s_and_saveexec_b32 s15, s16
	s_cbranch_execz .LBB263_99
.LBB263_124:
	v_cmp_ne_u32_e32 vcc_lo, 1, v76
	s_cbranch_vccnz .LBB263_126
; %bb.125:
	v_lshlrev_b64 v[100:101], 1, v[44:45]
	s_delay_alu instid0(VALU_DEP_1) | instskip(NEXT) | instid1(VALU_DEP_2)
	v_add_co_u32 v100, vcc_lo, v106, v100
	v_add_co_ci_u32_e32 v101, vcc_lo, v107, v101, vcc_lo
	flat_load_u16 v100, v[100:101]
	s_waitcnt vmcnt(0) lgkmcnt(0)
	v_mul_f16_e32 v100, s24, v100
	s_branch .LBB263_127
.LBB263_126:
	v_mov_b32_e32 v100, 0
.LBB263_127:
	v_pk_add_f16 v101, v0, v30
	v_pk_max_f16 v99, v99, v99
	v_pk_add_f16 v102, v1, v31
	s_delay_alu instid0(VALU_DEP_2) | instskip(NEXT) | instid1(VALU_DEP_1)
	v_pk_min_f16 v99, v99, v101
	v_pk_min_f16 v99, v99, v102
	v_lshlrev_b64 v[101:102], 1, v[44:45]
	s_delay_alu instid0(VALU_DEP_2) | instskip(NEXT) | instid1(VALU_DEP_1)
	v_lshrrev_b32_e32 v103, 16, v99
	v_min3_f16 v103, v100, v99, v103
	s_delay_alu instid0(VALU_DEP_3) | instskip(NEXT) | instid1(VALU_DEP_4)
	v_add_co_u32 v99, vcc_lo, v28, v101
	v_add_co_ci_u32_e32 v100, vcc_lo, v29, v102, vcc_lo
	global_store_b16 v[99:100], v103, off
	s_or_b32 exec_lo, exec_lo, s15
	s_and_b32 s15, s7, s8
	s_delay_alu instid0(SALU_CYCLE_1)
	s_and_saveexec_b32 s8, s15
	s_cbranch_execz .LBB263_132
.LBB263_128:
	v_cmp_ne_u32_e32 vcc_lo, 1, v76
	s_cbranch_vccnz .LBB263_130
; %bb.129:
	v_lshlrev_b64 v[99:100], 1, v[46:47]
	s_delay_alu instid0(VALU_DEP_1) | instskip(NEXT) | instid1(VALU_DEP_2)
	v_add_co_u32 v99, vcc_lo, v106, v99
	v_add_co_ci_u32_e32 v100, vcc_lo, v107, v100, vcc_lo
	flat_load_u16 v99, v[99:100]
	s_waitcnt vmcnt(0) lgkmcnt(0)
	v_mul_f16_e32 v99, s24, v99
	s_branch .LBB263_131
.LBB263_130:
	v_mov_b32_e32 v99, 0
.LBB263_131:
	v_pk_add_f16 v30, v2, v30
	v_pk_max_f16 v98, v98, v98
	v_pk_add_f16 v31, v3, v31
	s_delay_alu instid0(VALU_DEP_2) | instskip(NEXT) | instid1(VALU_DEP_1)
	v_pk_min_f16 v30, v98, v30
	v_pk_min_f16 v98, v30, v31
	v_lshlrev_b64 v[30:31], 1, v[46:47]
	s_delay_alu instid0(VALU_DEP_2) | instskip(NEXT) | instid1(VALU_DEP_2)
	v_lshrrev_b32_e32 v100, 16, v98
	v_add_co_u32 v28, vcc_lo, v28, v30
	s_delay_alu instid0(VALU_DEP_3) | instskip(NEXT) | instid1(VALU_DEP_3)
	v_add_co_ci_u32_e32 v29, vcc_lo, v29, v31, vcc_lo
	v_min3_f16 v98, v99, v98, v100
	global_store_b16 v[28:29], v98, off
.LBB263_132:
	s_or_b32 exec_lo, exec_lo, s8
	v_add_nc_u32_e32 v98, 16, v85
	s_delay_alu instid0(VALU_DEP_1) | instskip(SKIP_2) | instid1(VALU_DEP_3)
	v_mad_i64_i32 v[28:29], null, v98, s14, 0
	v_mad_i64_i32 v[30:31], null, v98, s9, 0
	v_cmp_gt_i32_e64 s8, s17, v98
	v_lshlrev_b64 v[28:29], 1, v[28:29]
	s_delay_alu instid0(VALU_DEP_2) | instskip(NEXT) | instid1(VALU_DEP_3)
	s_and_b32 s16, s0, s8
	v_lshlrev_b64 v[98:99], 1, v[30:31]
	s_delay_alu instid0(VALU_DEP_2) | instskip(NEXT) | instid1(VALU_DEP_3)
	v_add_co_u32 v30, vcc_lo, s12, v28
	v_add_co_ci_u32_e32 v31, vcc_lo, s13, v29, vcc_lo
	s_delay_alu instid0(VALU_DEP_3) | instskip(NEXT) | instid1(VALU_DEP_4)
	v_add_co_u32 v28, vcc_lo, s10, v98
	v_add_co_ci_u32_e32 v29, vcc_lo, s11, v99, vcc_lo
	s_and_saveexec_b32 s15, s16
	s_cbranch_execnz .LBB263_140
; %bb.133:
	s_or_b32 exec_lo, exec_lo, s15
	s_and_b32 s16, s1, s8
	s_delay_alu instid0(SALU_CYCLE_1)
	s_and_saveexec_b32 s15, s16
	s_cbranch_execnz .LBB263_144
.LBB263_134:
	s_or_b32 exec_lo, exec_lo, s15
	s_and_b32 s16, s2, s8
	s_delay_alu instid0(SALU_CYCLE_1)
	s_and_saveexec_b32 s15, s16
	s_cbranch_execnz .LBB263_148
.LBB263_135:
	s_or_b32 exec_lo, exec_lo, s15
	s_and_b32 s16, s3, s8
	s_delay_alu instid0(SALU_CYCLE_1)
	s_and_saveexec_b32 s15, s16
	s_cbranch_execnz .LBB263_152
.LBB263_136:
	s_or_b32 exec_lo, exec_lo, s15
	s_and_b32 s16, s4, s8
	s_delay_alu instid0(SALU_CYCLE_1)
	s_and_saveexec_b32 s15, s16
	s_cbranch_execnz .LBB263_156
.LBB263_137:
	s_or_b32 exec_lo, exec_lo, s15
	s_and_b32 s16, s5, s8
	s_delay_alu instid0(SALU_CYCLE_1)
	s_and_saveexec_b32 s15, s16
	s_cbranch_execnz .LBB263_160
.LBB263_138:
	s_or_b32 exec_lo, exec_lo, s15
	s_and_b32 s16, s6, s8
	s_delay_alu instid0(SALU_CYCLE_1)
	s_and_saveexec_b32 s15, s16
	s_cbranch_execnz .LBB263_164
.LBB263_139:
	s_or_b32 exec_lo, exec_lo, s15
	s_and_b32 s15, s7, s8
	s_delay_alu instid0(SALU_CYCLE_1)
	s_and_saveexec_b32 s8, s15
	s_cbranch_execnz .LBB263_168
	s_branch .LBB263_172
.LBB263_140:
	v_cmp_ne_u32_e32 vcc_lo, 1, v76
	s_cbranch_vccnz .LBB263_142
; %bb.141:
	v_lshlrev_b64 v[98:99], 1, v[32:33]
	s_delay_alu instid0(VALU_DEP_1) | instskip(NEXT) | instid1(VALU_DEP_2)
	v_add_co_u32 v98, vcc_lo, v30, v98
	v_add_co_ci_u32_e32 v99, vcc_lo, v31, v99, vcc_lo
	flat_load_u16 v98, v[98:99]
	s_waitcnt vmcnt(0) lgkmcnt(0)
	v_mul_f16_e32 v98, s24, v98
	s_branch .LBB263_143
.LBB263_142:
	v_mov_b32_e32 v98, 0
.LBB263_143:
	v_pk_add_f16 v99, v16, v24
	v_pk_max_f16 v97, v97, v97
	v_pk_add_f16 v100, v17, v25
	s_delay_alu instid0(VALU_DEP_2) | instskip(NEXT) | instid1(VALU_DEP_1)
	v_pk_min_f16 v97, v97, v99
	v_pk_min_f16 v97, v97, v100
	v_lshlrev_b64 v[99:100], 1, v[32:33]
	s_delay_alu instid0(VALU_DEP_2) | instskip(NEXT) | instid1(VALU_DEP_1)
	v_lshrrev_b32_e32 v101, 16, v97
	v_min3_f16 v101, v98, v97, v101
	s_delay_alu instid0(VALU_DEP_3) | instskip(NEXT) | instid1(VALU_DEP_4)
	v_add_co_u32 v97, vcc_lo, v28, v99
	v_add_co_ci_u32_e32 v98, vcc_lo, v29, v100, vcc_lo
	global_store_b16 v[97:98], v101, off
	s_or_b32 exec_lo, exec_lo, s15
	s_and_b32 s16, s1, s8
	s_delay_alu instid0(SALU_CYCLE_1)
	s_and_saveexec_b32 s15, s16
	s_cbranch_execz .LBB263_134
.LBB263_144:
	v_cmp_ne_u32_e32 vcc_lo, 1, v76
	s_cbranch_vccnz .LBB263_146
; %bb.145:
	v_lshlrev_b64 v[97:98], 1, v[34:35]
	s_delay_alu instid0(VALU_DEP_1) | instskip(NEXT) | instid1(VALU_DEP_2)
	v_add_co_u32 v97, vcc_lo, v30, v97
	v_add_co_ci_u32_e32 v98, vcc_lo, v31, v98, vcc_lo
	flat_load_u16 v97, v[97:98]
	s_waitcnt vmcnt(0) lgkmcnt(0)
	v_mul_f16_e32 v97, s24, v97
	s_branch .LBB263_147
.LBB263_146:
	v_mov_b32_e32 v97, 0
.LBB263_147:
	v_pk_add_f16 v98, v18, v24
	v_pk_max_f16 v96, v96, v96
	v_pk_add_f16 v99, v19, v25
	s_delay_alu instid0(VALU_DEP_2) | instskip(NEXT) | instid1(VALU_DEP_1)
	v_pk_min_f16 v96, v96, v98
	v_pk_min_f16 v96, v96, v99
	v_lshlrev_b64 v[98:99], 1, v[34:35]
	s_delay_alu instid0(VALU_DEP_2) | instskip(NEXT) | instid1(VALU_DEP_1)
	v_lshrrev_b32_e32 v100, 16, v96
	v_min3_f16 v100, v97, v96, v100
	s_delay_alu instid0(VALU_DEP_3) | instskip(NEXT) | instid1(VALU_DEP_4)
	v_add_co_u32 v96, vcc_lo, v28, v98
	v_add_co_ci_u32_e32 v97, vcc_lo, v29, v99, vcc_lo
	global_store_b16 v[96:97], v100, off
	s_or_b32 exec_lo, exec_lo, s15
	s_and_b32 s16, s2, s8
	s_delay_alu instid0(SALU_CYCLE_1)
	s_and_saveexec_b32 s15, s16
	s_cbranch_execz .LBB263_135
.LBB263_148:
	v_cmp_ne_u32_e32 vcc_lo, 1, v76
	s_cbranch_vccnz .LBB263_150
; %bb.149:
	v_lshlrev_b64 v[96:97], 1, v[36:37]
	s_delay_alu instid0(VALU_DEP_1) | instskip(NEXT) | instid1(VALU_DEP_2)
	v_add_co_u32 v96, vcc_lo, v30, v96
	v_add_co_ci_u32_e32 v97, vcc_lo, v31, v97, vcc_lo
	flat_load_u16 v96, v[96:97]
	s_waitcnt vmcnt(0) lgkmcnt(0)
	v_mul_f16_e32 v96, s24, v96
	s_branch .LBB263_151
.LBB263_150:
	v_mov_b32_e32 v96, 0
.LBB263_151:
	v_pk_add_f16 v97, v12, v24
	v_pk_max_f16 v95, v95, v95
	v_pk_add_f16 v98, v13, v25
	s_delay_alu instid0(VALU_DEP_2) | instskip(NEXT) | instid1(VALU_DEP_1)
	v_pk_min_f16 v95, v95, v97
	v_pk_min_f16 v95, v95, v98
	v_lshlrev_b64 v[97:98], 1, v[36:37]
	s_delay_alu instid0(VALU_DEP_2) | instskip(NEXT) | instid1(VALU_DEP_1)
	v_lshrrev_b32_e32 v99, 16, v95
	v_min3_f16 v99, v96, v95, v99
	s_delay_alu instid0(VALU_DEP_3) | instskip(NEXT) | instid1(VALU_DEP_4)
	v_add_co_u32 v95, vcc_lo, v28, v97
	v_add_co_ci_u32_e32 v96, vcc_lo, v29, v98, vcc_lo
	global_store_b16 v[95:96], v99, off
	s_or_b32 exec_lo, exec_lo, s15
	s_and_b32 s16, s3, s8
	s_delay_alu instid0(SALU_CYCLE_1)
	s_and_saveexec_b32 s15, s16
	s_cbranch_execz .LBB263_136
.LBB263_152:
	v_cmp_ne_u32_e32 vcc_lo, 1, v76
	s_cbranch_vccnz .LBB263_154
; %bb.153:
	v_lshlrev_b64 v[95:96], 1, v[38:39]
	s_delay_alu instid0(VALU_DEP_1) | instskip(NEXT) | instid1(VALU_DEP_2)
	v_add_co_u32 v95, vcc_lo, v30, v95
	v_add_co_ci_u32_e32 v96, vcc_lo, v31, v96, vcc_lo
	flat_load_u16 v95, v[95:96]
	s_waitcnt vmcnt(0) lgkmcnt(0)
	v_mul_f16_e32 v95, s24, v95
	s_branch .LBB263_155
.LBB263_154:
	v_mov_b32_e32 v95, 0
.LBB263_155:
	v_pk_add_f16 v96, v14, v24
	v_pk_max_f16 v94, v94, v94
	v_pk_add_f16 v97, v15, v25
	s_delay_alu instid0(VALU_DEP_2) | instskip(NEXT) | instid1(VALU_DEP_1)
	v_pk_min_f16 v94, v94, v96
	v_pk_min_f16 v94, v94, v97
	v_lshlrev_b64 v[96:97], 1, v[38:39]
	s_delay_alu instid0(VALU_DEP_2) | instskip(NEXT) | instid1(VALU_DEP_1)
	v_lshrrev_b32_e32 v98, 16, v94
	v_min3_f16 v98, v95, v94, v98
	s_delay_alu instid0(VALU_DEP_3) | instskip(NEXT) | instid1(VALU_DEP_4)
	v_add_co_u32 v94, vcc_lo, v28, v96
	v_add_co_ci_u32_e32 v95, vcc_lo, v29, v97, vcc_lo
	global_store_b16 v[94:95], v98, off
	s_or_b32 exec_lo, exec_lo, s15
	s_and_b32 s16, s4, s8
	s_delay_alu instid0(SALU_CYCLE_1)
	s_and_saveexec_b32 s15, s16
	s_cbranch_execz .LBB263_137
.LBB263_156:
	v_cmp_ne_u32_e32 vcc_lo, 1, v76
	s_cbranch_vccnz .LBB263_158
; %bb.157:
	v_lshlrev_b64 v[94:95], 1, v[40:41]
	s_delay_alu instid0(VALU_DEP_1) | instskip(NEXT) | instid1(VALU_DEP_2)
	v_add_co_u32 v94, vcc_lo, v30, v94
	v_add_co_ci_u32_e32 v95, vcc_lo, v31, v95, vcc_lo
	flat_load_u16 v94, v[94:95]
	s_waitcnt vmcnt(0) lgkmcnt(0)
	v_mul_f16_e32 v94, s24, v94
	s_branch .LBB263_159
.LBB263_158:
	v_mov_b32_e32 v94, 0
.LBB263_159:
	v_pk_add_f16 v95, v8, v24
	v_pk_max_f16 v93, v93, v93
	v_pk_add_f16 v96, v9, v25
	s_delay_alu instid0(VALU_DEP_2) | instskip(NEXT) | instid1(VALU_DEP_1)
	v_pk_min_f16 v93, v93, v95
	v_pk_min_f16 v93, v93, v96
	v_lshlrev_b64 v[95:96], 1, v[40:41]
	s_delay_alu instid0(VALU_DEP_2) | instskip(NEXT) | instid1(VALU_DEP_1)
	v_lshrrev_b32_e32 v97, 16, v93
	v_min3_f16 v97, v94, v93, v97
	s_delay_alu instid0(VALU_DEP_3) | instskip(NEXT) | instid1(VALU_DEP_4)
	v_add_co_u32 v93, vcc_lo, v28, v95
	v_add_co_ci_u32_e32 v94, vcc_lo, v29, v96, vcc_lo
	global_store_b16 v[93:94], v97, off
	s_or_b32 exec_lo, exec_lo, s15
	s_and_b32 s16, s5, s8
	s_delay_alu instid0(SALU_CYCLE_1)
	s_and_saveexec_b32 s15, s16
	s_cbranch_execz .LBB263_138
.LBB263_160:
	v_cmp_ne_u32_e32 vcc_lo, 1, v76
	s_cbranch_vccnz .LBB263_162
; %bb.161:
	v_lshlrev_b64 v[93:94], 1, v[42:43]
	s_delay_alu instid0(VALU_DEP_1) | instskip(NEXT) | instid1(VALU_DEP_2)
	v_add_co_u32 v93, vcc_lo, v30, v93
	v_add_co_ci_u32_e32 v94, vcc_lo, v31, v94, vcc_lo
	flat_load_u16 v93, v[93:94]
	s_waitcnt vmcnt(0) lgkmcnt(0)
	v_mul_f16_e32 v93, s24, v93
	s_branch .LBB263_163
.LBB263_162:
	v_mov_b32_e32 v93, 0
.LBB263_163:
	v_pk_add_f16 v94, v10, v24
	v_pk_max_f16 v92, v92, v92
	v_pk_add_f16 v95, v11, v25
	s_delay_alu instid0(VALU_DEP_2) | instskip(NEXT) | instid1(VALU_DEP_1)
	v_pk_min_f16 v92, v92, v94
	v_pk_min_f16 v92, v92, v95
	v_lshlrev_b64 v[94:95], 1, v[42:43]
	s_delay_alu instid0(VALU_DEP_2) | instskip(NEXT) | instid1(VALU_DEP_1)
	v_lshrrev_b32_e32 v96, 16, v92
	v_min3_f16 v96, v93, v92, v96
	s_delay_alu instid0(VALU_DEP_3) | instskip(NEXT) | instid1(VALU_DEP_4)
	v_add_co_u32 v92, vcc_lo, v28, v94
	v_add_co_ci_u32_e32 v93, vcc_lo, v29, v95, vcc_lo
	global_store_b16 v[92:93], v96, off
	s_or_b32 exec_lo, exec_lo, s15
	s_and_b32 s16, s6, s8
	s_delay_alu instid0(SALU_CYCLE_1)
	s_and_saveexec_b32 s15, s16
	s_cbranch_execz .LBB263_139
.LBB263_164:
	v_cmp_ne_u32_e32 vcc_lo, 1, v76
	s_cbranch_vccnz .LBB263_166
; %bb.165:
	v_lshlrev_b64 v[92:93], 1, v[44:45]
	s_delay_alu instid0(VALU_DEP_1) | instskip(NEXT) | instid1(VALU_DEP_2)
	v_add_co_u32 v92, vcc_lo, v30, v92
	v_add_co_ci_u32_e32 v93, vcc_lo, v31, v93, vcc_lo
	flat_load_u16 v92, v[92:93]
	s_waitcnt vmcnt(0) lgkmcnt(0)
	v_mul_f16_e32 v92, s24, v92
	s_branch .LBB263_167
.LBB263_166:
	v_mov_b32_e32 v92, 0
.LBB263_167:
	v_pk_add_f16 v93, v0, v24
	v_pk_max_f16 v91, v91, v91
	v_pk_add_f16 v94, v1, v25
	s_delay_alu instid0(VALU_DEP_2) | instskip(NEXT) | instid1(VALU_DEP_1)
	v_pk_min_f16 v91, v91, v93
	v_pk_min_f16 v91, v91, v94
	v_lshlrev_b64 v[93:94], 1, v[44:45]
	s_delay_alu instid0(VALU_DEP_2) | instskip(NEXT) | instid1(VALU_DEP_1)
	v_lshrrev_b32_e32 v95, 16, v91
	v_min3_f16 v95, v92, v91, v95
	s_delay_alu instid0(VALU_DEP_3) | instskip(NEXT) | instid1(VALU_DEP_4)
	v_add_co_u32 v91, vcc_lo, v28, v93
	v_add_co_ci_u32_e32 v92, vcc_lo, v29, v94, vcc_lo
	global_store_b16 v[91:92], v95, off
	s_or_b32 exec_lo, exec_lo, s15
	s_and_b32 s15, s7, s8
	s_delay_alu instid0(SALU_CYCLE_1)
	s_and_saveexec_b32 s8, s15
	s_cbranch_execz .LBB263_172
.LBB263_168:
	v_cmp_ne_u32_e32 vcc_lo, 1, v76
	s_cbranch_vccnz .LBB263_170
; %bb.169:
	v_lshlrev_b64 v[91:92], 1, v[46:47]
	s_delay_alu instid0(VALU_DEP_1) | instskip(NEXT) | instid1(VALU_DEP_2)
	v_add_co_u32 v30, vcc_lo, v30, v91
	v_add_co_ci_u32_e32 v31, vcc_lo, v31, v92, vcc_lo
	flat_load_u16 v30, v[30:31]
	s_waitcnt vmcnt(0) lgkmcnt(0)
	v_mul_f16_e32 v30, s24, v30
	s_branch .LBB263_171
.LBB263_170:
	v_mov_b32_e32 v30, 0
.LBB263_171:
	v_pk_add_f16 v24, v2, v24
	v_pk_max_f16 v31, v90, v90
	v_pk_add_f16 v25, v3, v25
	s_delay_alu instid0(VALU_DEP_2) | instskip(NEXT) | instid1(VALU_DEP_1)
	v_pk_min_f16 v24, v31, v24
	v_pk_min_f16 v31, v24, v25
	v_lshlrev_b64 v[24:25], 1, v[46:47]
	s_delay_alu instid0(VALU_DEP_2) | instskip(NEXT) | instid1(VALU_DEP_2)
	v_lshrrev_b32_e32 v90, 16, v31
	v_add_co_u32 v24, vcc_lo, v28, v24
	s_delay_alu instid0(VALU_DEP_3) | instskip(NEXT) | instid1(VALU_DEP_3)
	v_add_co_ci_u32_e32 v25, vcc_lo, v29, v25, vcc_lo
	v_min3_f16 v30, v30, v31, v90
	global_store_b16 v[24:25], v30, off
.LBB263_172:
	s_or_b32 exec_lo, exec_lo, s8
	v_add_nc_u32_e32 v30, 24, v85
	s_delay_alu instid0(VALU_DEP_1) | instskip(SKIP_2) | instid1(VALU_DEP_3)
	v_mad_i64_i32 v[24:25], null, v30, s14, 0
	v_mad_i64_i32 v[28:29], null, v30, s9, 0
	v_cmp_gt_i32_e64 s8, s17, v30
	v_lshlrev_b64 v[24:25], 1, v[24:25]
	s_delay_alu instid0(VALU_DEP_2) | instskip(NEXT) | instid1(VALU_DEP_3)
	s_and_b32 s16, s0, s8
	v_lshlrev_b64 v[30:31], 1, v[28:29]
	s_delay_alu instid0(VALU_DEP_2) | instskip(NEXT) | instid1(VALU_DEP_3)
	v_add_co_u32 v28, vcc_lo, s12, v24
	v_add_co_ci_u32_e32 v29, vcc_lo, s13, v25, vcc_lo
	s_delay_alu instid0(VALU_DEP_3) | instskip(NEXT) | instid1(VALU_DEP_4)
	v_add_co_u32 v24, vcc_lo, s10, v30
	v_add_co_ci_u32_e32 v25, vcc_lo, s11, v31, vcc_lo
	s_and_saveexec_b32 s15, s16
	s_cbranch_execnz .LBB263_180
; %bb.173:
	s_or_b32 exec_lo, exec_lo, s15
	s_and_b32 s16, s1, s8
	s_delay_alu instid0(SALU_CYCLE_1)
	s_and_saveexec_b32 s15, s16
	s_cbranch_execnz .LBB263_184
.LBB263_174:
	s_or_b32 exec_lo, exec_lo, s15
	s_and_b32 s16, s2, s8
	s_delay_alu instid0(SALU_CYCLE_1)
	s_and_saveexec_b32 s15, s16
	s_cbranch_execnz .LBB263_188
.LBB263_175:
	s_or_b32 exec_lo, exec_lo, s15
	s_and_b32 s16, s3, s8
	s_delay_alu instid0(SALU_CYCLE_1)
	s_and_saveexec_b32 s15, s16
	s_cbranch_execnz .LBB263_192
.LBB263_176:
	s_or_b32 exec_lo, exec_lo, s15
	s_and_b32 s16, s4, s8
	s_delay_alu instid0(SALU_CYCLE_1)
	s_and_saveexec_b32 s15, s16
	s_cbranch_execnz .LBB263_196
.LBB263_177:
	s_or_b32 exec_lo, exec_lo, s15
	s_and_b32 s16, s5, s8
	s_delay_alu instid0(SALU_CYCLE_1)
	s_and_saveexec_b32 s15, s16
	s_cbranch_execnz .LBB263_200
.LBB263_178:
	s_or_b32 exec_lo, exec_lo, s15
	s_and_b32 s16, s6, s8
	s_delay_alu instid0(SALU_CYCLE_1)
	s_and_saveexec_b32 s15, s16
	s_cbranch_execnz .LBB263_204
.LBB263_179:
	s_or_b32 exec_lo, exec_lo, s15
	s_and_b32 s15, s7, s8
	s_delay_alu instid0(SALU_CYCLE_1)
	s_and_saveexec_b32 s8, s15
	s_cbranch_execnz .LBB263_208
	s_branch .LBB263_212
.LBB263_180:
	v_cmp_ne_u32_e32 vcc_lo, 1, v76
	s_cbranch_vccnz .LBB263_182
; %bb.181:
	v_lshlrev_b64 v[30:31], 1, v[32:33]
	s_delay_alu instid0(VALU_DEP_1) | instskip(NEXT) | instid1(VALU_DEP_2)
	v_add_co_u32 v30, vcc_lo, v28, v30
	v_add_co_ci_u32_e32 v31, vcc_lo, v29, v31, vcc_lo
	flat_load_u16 v30, v[30:31]
	s_waitcnt vmcnt(0) lgkmcnt(0)
	v_mul_f16_e32 v30, s24, v30
	s_branch .LBB263_183
.LBB263_182:
	v_mov_b32_e32 v30, 0
.LBB263_183:
	v_pk_add_f16 v31, v16, v26
	v_pk_max_f16 v89, v89, v89
	v_pk_add_f16 v90, v17, v27
	s_delay_alu instid0(VALU_DEP_2) | instskip(NEXT) | instid1(VALU_DEP_1)
	v_pk_min_f16 v31, v89, v31
	v_pk_min_f16 v31, v31, v90
	v_lshlrev_b64 v[89:90], 1, v[32:33]
	s_delay_alu instid0(VALU_DEP_2) | instskip(NEXT) | instid1(VALU_DEP_1)
	v_lshrrev_b32_e32 v91, 16, v31
	v_min3_f16 v91, v30, v31, v91
	s_delay_alu instid0(VALU_DEP_3) | instskip(NEXT) | instid1(VALU_DEP_4)
	v_add_co_u32 v30, vcc_lo, v24, v89
	v_add_co_ci_u32_e32 v31, vcc_lo, v25, v90, vcc_lo
	global_store_b16 v[30:31], v91, off
	s_or_b32 exec_lo, exec_lo, s15
	s_and_b32 s16, s1, s8
	s_delay_alu instid0(SALU_CYCLE_1)
	s_and_saveexec_b32 s15, s16
	s_cbranch_execz .LBB263_174
.LBB263_184:
	v_cmp_ne_u32_e32 vcc_lo, 1, v76
	s_cbranch_vccnz .LBB263_186
; %bb.185:
	v_lshlrev_b64 v[30:31], 1, v[34:35]
	s_delay_alu instid0(VALU_DEP_1) | instskip(NEXT) | instid1(VALU_DEP_2)
	v_add_co_u32 v30, vcc_lo, v28, v30
	v_add_co_ci_u32_e32 v31, vcc_lo, v29, v31, vcc_lo
	flat_load_u16 v30, v[30:31]
	s_waitcnt vmcnt(0) lgkmcnt(0)
	v_mul_f16_e32 v30, s24, v30
	s_branch .LBB263_187
.LBB263_186:
	v_mov_b32_e32 v30, 0
.LBB263_187:
	v_pk_add_f16 v31, v18, v26
	v_pk_max_f16 v88, v88, v88
	v_pk_add_f16 v89, v19, v27
	s_delay_alu instid0(VALU_DEP_2) | instskip(NEXT) | instid1(VALU_DEP_1)
	v_pk_min_f16 v31, v88, v31
	v_pk_min_f16 v31, v31, v89
	v_lshlrev_b64 v[88:89], 1, v[34:35]
	s_delay_alu instid0(VALU_DEP_2) | instskip(NEXT) | instid1(VALU_DEP_1)
	v_lshrrev_b32_e32 v90, 16, v31
	v_min3_f16 v90, v30, v31, v90
	s_delay_alu instid0(VALU_DEP_3) | instskip(NEXT) | instid1(VALU_DEP_4)
	v_add_co_u32 v30, vcc_lo, v24, v88
	v_add_co_ci_u32_e32 v31, vcc_lo, v25, v89, vcc_lo
	global_store_b16 v[30:31], v90, off
	s_or_b32 exec_lo, exec_lo, s15
	s_and_b32 s16, s2, s8
	s_delay_alu instid0(SALU_CYCLE_1)
	s_and_saveexec_b32 s15, s16
	s_cbranch_execz .LBB263_175
.LBB263_188:
	v_cmp_ne_u32_e32 vcc_lo, 1, v76
	s_cbranch_vccnz .LBB263_190
; %bb.189:
	v_lshlrev_b64 v[30:31], 1, v[36:37]
	s_delay_alu instid0(VALU_DEP_1) | instskip(NEXT) | instid1(VALU_DEP_2)
	v_add_co_u32 v30, vcc_lo, v28, v30
	v_add_co_ci_u32_e32 v31, vcc_lo, v29, v31, vcc_lo
	flat_load_u16 v30, v[30:31]
	s_waitcnt vmcnt(0) lgkmcnt(0)
	v_mul_f16_e32 v30, s24, v30
	s_branch .LBB263_191
.LBB263_190:
	v_mov_b32_e32 v30, 0
.LBB263_191:
	v_pk_add_f16 v31, v12, v26
	v_pk_max_f16 v87, v87, v87
	v_pk_add_f16 v88, v13, v27
	s_delay_alu instid0(VALU_DEP_2) | instskip(NEXT) | instid1(VALU_DEP_1)
	v_pk_min_f16 v31, v87, v31
	v_pk_min_f16 v31, v31, v88
	v_lshlrev_b64 v[87:88], 1, v[36:37]
	s_delay_alu instid0(VALU_DEP_2) | instskip(NEXT) | instid1(VALU_DEP_1)
	v_lshrrev_b32_e32 v89, 16, v31
	v_min3_f16 v89, v30, v31, v89
	s_delay_alu instid0(VALU_DEP_3) | instskip(NEXT) | instid1(VALU_DEP_4)
	v_add_co_u32 v30, vcc_lo, v24, v87
	v_add_co_ci_u32_e32 v31, vcc_lo, v25, v88, vcc_lo
	global_store_b16 v[30:31], v89, off
	s_or_b32 exec_lo, exec_lo, s15
	s_and_b32 s16, s3, s8
	s_delay_alu instid0(SALU_CYCLE_1)
	s_and_saveexec_b32 s15, s16
	s_cbranch_execz .LBB263_176
.LBB263_192:
	v_cmp_ne_u32_e32 vcc_lo, 1, v76
	s_cbranch_vccnz .LBB263_194
; %bb.193:
	v_lshlrev_b64 v[30:31], 1, v[38:39]
	s_delay_alu instid0(VALU_DEP_1) | instskip(NEXT) | instid1(VALU_DEP_2)
	v_add_co_u32 v30, vcc_lo, v28, v30
	v_add_co_ci_u32_e32 v31, vcc_lo, v29, v31, vcc_lo
	flat_load_u16 v30, v[30:31]
	s_waitcnt vmcnt(0) lgkmcnt(0)
	v_mul_f16_e32 v30, s24, v30
	s_branch .LBB263_195
.LBB263_194:
	v_mov_b32_e32 v30, 0
.LBB263_195:
	v_pk_add_f16 v31, v14, v26
	v_pk_max_f16 v86, v86, v86
	v_pk_add_f16 v87, v15, v27
	s_delay_alu instid0(VALU_DEP_2) | instskip(NEXT) | instid1(VALU_DEP_1)
	v_pk_min_f16 v31, v86, v31
	v_pk_min_f16 v31, v31, v87
	v_lshlrev_b64 v[86:87], 1, v[38:39]
	s_delay_alu instid0(VALU_DEP_2) | instskip(NEXT) | instid1(VALU_DEP_1)
	v_lshrrev_b32_e32 v88, 16, v31
	v_min3_f16 v88, v30, v31, v88
	s_delay_alu instid0(VALU_DEP_3) | instskip(NEXT) | instid1(VALU_DEP_4)
	v_add_co_u32 v30, vcc_lo, v24, v86
	v_add_co_ci_u32_e32 v31, vcc_lo, v25, v87, vcc_lo
	global_store_b16 v[30:31], v88, off
	s_or_b32 exec_lo, exec_lo, s15
	s_and_b32 s16, s4, s8
	s_delay_alu instid0(SALU_CYCLE_1)
	s_and_saveexec_b32 s15, s16
	s_cbranch_execz .LBB263_177
.LBB263_196:
	v_cmp_ne_u32_e32 vcc_lo, 1, v76
	s_cbranch_vccnz .LBB263_198
; %bb.197:
	v_lshlrev_b64 v[30:31], 1, v[40:41]
	s_delay_alu instid0(VALU_DEP_1) | instskip(NEXT) | instid1(VALU_DEP_2)
	v_add_co_u32 v30, vcc_lo, v28, v30
	v_add_co_ci_u32_e32 v31, vcc_lo, v29, v31, vcc_lo
	flat_load_u16 v30, v[30:31]
	s_waitcnt vmcnt(0) lgkmcnt(0)
	v_mul_f16_e32 v30, s24, v30
	s_branch .LBB263_199
.LBB263_198:
	v_mov_b32_e32 v30, 0
.LBB263_199:
	v_pk_add_f16 v31, v8, v26
	v_pk_max_f16 v84, v84, v84
	v_pk_add_f16 v86, v9, v27
	s_delay_alu instid0(VALU_DEP_2) | instskip(NEXT) | instid1(VALU_DEP_1)
	v_pk_min_f16 v31, v84, v31
	v_pk_min_f16 v31, v31, v86
	v_lshlrev_b64 v[86:87], 1, v[40:41]
	s_delay_alu instid0(VALU_DEP_2) | instskip(NEXT) | instid1(VALU_DEP_1)
	v_lshrrev_b32_e32 v84, 16, v31
	v_min3_f16 v84, v30, v31, v84
	s_delay_alu instid0(VALU_DEP_3) | instskip(NEXT) | instid1(VALU_DEP_4)
	v_add_co_u32 v30, vcc_lo, v24, v86
	v_add_co_ci_u32_e32 v31, vcc_lo, v25, v87, vcc_lo
	global_store_b16 v[30:31], v84, off
	s_or_b32 exec_lo, exec_lo, s15
	s_and_b32 s16, s5, s8
	s_delay_alu instid0(SALU_CYCLE_1)
	s_and_saveexec_b32 s15, s16
	s_cbranch_execz .LBB263_178
.LBB263_200:
	v_cmp_ne_u32_e32 vcc_lo, 1, v76
	s_cbranch_vccnz .LBB263_202
; %bb.201:
	v_lshlrev_b64 v[30:31], 1, v[42:43]
	s_delay_alu instid0(VALU_DEP_1) | instskip(NEXT) | instid1(VALU_DEP_2)
	v_add_co_u32 v30, vcc_lo, v28, v30
	v_add_co_ci_u32_e32 v31, vcc_lo, v29, v31, vcc_lo
	flat_load_u16 v30, v[30:31]
	s_waitcnt vmcnt(0) lgkmcnt(0)
	v_mul_f16_e32 v30, s24, v30
	s_branch .LBB263_203
.LBB263_202:
	v_mov_b32_e32 v30, 0
.LBB263_203:
	v_pk_add_f16 v31, v10, v26
	v_pk_max_f16 v83, v83, v83
	v_pk_add_f16 v84, v11, v27
	s_delay_alu instid0(VALU_DEP_2) | instskip(NEXT) | instid1(VALU_DEP_1)
	v_pk_min_f16 v31, v83, v31
	v_pk_min_f16 v31, v31, v84
	v_lshlrev_b64 v[83:84], 1, v[42:43]
	s_delay_alu instid0(VALU_DEP_2) | instskip(NEXT) | instid1(VALU_DEP_1)
	v_lshrrev_b32_e32 v86, 16, v31
	v_min3_f16 v86, v30, v31, v86
	s_delay_alu instid0(VALU_DEP_3) | instskip(NEXT) | instid1(VALU_DEP_4)
	v_add_co_u32 v30, vcc_lo, v24, v83
	v_add_co_ci_u32_e32 v31, vcc_lo, v25, v84, vcc_lo
	global_store_b16 v[30:31], v86, off
	s_or_b32 exec_lo, exec_lo, s15
	s_and_b32 s16, s6, s8
	s_delay_alu instid0(SALU_CYCLE_1)
	s_and_saveexec_b32 s15, s16
	s_cbranch_execz .LBB263_179
.LBB263_204:
	v_cmp_ne_u32_e32 vcc_lo, 1, v76
	s_cbranch_vccnz .LBB263_206
; %bb.205:
	v_lshlrev_b64 v[30:31], 1, v[44:45]
	s_delay_alu instid0(VALU_DEP_1) | instskip(NEXT) | instid1(VALU_DEP_2)
	v_add_co_u32 v30, vcc_lo, v28, v30
	v_add_co_ci_u32_e32 v31, vcc_lo, v29, v31, vcc_lo
	flat_load_u16 v30, v[30:31]
	s_waitcnt vmcnt(0) lgkmcnt(0)
	v_mul_f16_e32 v30, s24, v30
	s_branch .LBB263_207
.LBB263_206:
	v_mov_b32_e32 v30, 0
.LBB263_207:
	v_pk_add_f16 v31, v0, v26
	v_pk_max_f16 v82, v82, v82
	v_pk_add_f16 v83, v1, v27
	s_delay_alu instid0(VALU_DEP_2) | instskip(NEXT) | instid1(VALU_DEP_1)
	v_pk_min_f16 v31, v82, v31
	v_pk_min_f16 v31, v31, v83
	v_lshlrev_b64 v[82:83], 1, v[44:45]
	s_delay_alu instid0(VALU_DEP_2) | instskip(NEXT) | instid1(VALU_DEP_1)
	v_lshrrev_b32_e32 v84, 16, v31
	v_min3_f16 v84, v30, v31, v84
	s_delay_alu instid0(VALU_DEP_3) | instskip(NEXT) | instid1(VALU_DEP_4)
	v_add_co_u32 v30, vcc_lo, v24, v82
	v_add_co_ci_u32_e32 v31, vcc_lo, v25, v83, vcc_lo
	global_store_b16 v[30:31], v84, off
	s_or_b32 exec_lo, exec_lo, s15
	s_and_b32 s15, s7, s8
	s_delay_alu instid0(SALU_CYCLE_1)
	s_and_saveexec_b32 s8, s15
	s_cbranch_execz .LBB263_212
.LBB263_208:
	v_cmp_ne_u32_e32 vcc_lo, 1, v76
	s_cbranch_vccnz .LBB263_210
; %bb.209:
	v_lshlrev_b64 v[30:31], 1, v[46:47]
	s_delay_alu instid0(VALU_DEP_1) | instskip(NEXT) | instid1(VALU_DEP_2)
	v_add_co_u32 v28, vcc_lo, v28, v30
	v_add_co_ci_u32_e32 v29, vcc_lo, v29, v31, vcc_lo
	flat_load_u16 v28, v[28:29]
	s_waitcnt vmcnt(0) lgkmcnt(0)
	v_mul_f16_e32 v28, s24, v28
	s_branch .LBB263_211
.LBB263_210:
	v_mov_b32_e32 v28, 0
.LBB263_211:
	v_pk_add_f16 v26, v2, v26
	v_pk_max_f16 v29, v81, v81
	v_pk_add_f16 v27, v3, v27
	s_delay_alu instid0(VALU_DEP_2) | instskip(NEXT) | instid1(VALU_DEP_1)
	v_pk_min_f16 v26, v29, v26
	v_pk_min_f16 v29, v26, v27
	v_lshlrev_b64 v[26:27], 1, v[46:47]
	s_delay_alu instid0(VALU_DEP_2) | instskip(NEXT) | instid1(VALU_DEP_2)
	v_lshrrev_b32_e32 v30, 16, v29
	v_add_co_u32 v24, vcc_lo, v24, v26
	s_delay_alu instid0(VALU_DEP_3) | instskip(NEXT) | instid1(VALU_DEP_3)
	v_add_co_ci_u32_e32 v25, vcc_lo, v25, v27, vcc_lo
	v_min3_f16 v28, v28, v29, v30
	global_store_b16 v[24:25], v28, off
.LBB263_212:
	s_or_b32 exec_lo, exec_lo, s8
	v_add_nc_u32_e32 v28, 32, v85
	s_delay_alu instid0(VALU_DEP_1) | instskip(SKIP_2) | instid1(VALU_DEP_3)
	v_mad_i64_i32 v[24:25], null, v28, s14, 0
	v_mad_i64_i32 v[26:27], null, v28, s9, 0
	v_cmp_gt_i32_e64 s8, s17, v28
	v_lshlrev_b64 v[24:25], 1, v[24:25]
	s_delay_alu instid0(VALU_DEP_2) | instskip(NEXT) | instid1(VALU_DEP_3)
	s_and_b32 s16, s0, s8
	v_lshlrev_b64 v[28:29], 1, v[26:27]
	s_delay_alu instid0(VALU_DEP_2) | instskip(NEXT) | instid1(VALU_DEP_3)
	v_add_co_u32 v26, vcc_lo, s12, v24
	v_add_co_ci_u32_e32 v27, vcc_lo, s13, v25, vcc_lo
	s_delay_alu instid0(VALU_DEP_3) | instskip(NEXT) | instid1(VALU_DEP_4)
	v_add_co_u32 v24, vcc_lo, s10, v28
	v_add_co_ci_u32_e32 v25, vcc_lo, s11, v29, vcc_lo
	s_and_saveexec_b32 s15, s16
	s_cbranch_execnz .LBB263_220
; %bb.213:
	s_or_b32 exec_lo, exec_lo, s15
	s_and_b32 s16, s1, s8
	s_delay_alu instid0(SALU_CYCLE_1)
	s_and_saveexec_b32 s15, s16
	s_cbranch_execnz .LBB263_224
.LBB263_214:
	s_or_b32 exec_lo, exec_lo, s15
	s_and_b32 s16, s2, s8
	s_delay_alu instid0(SALU_CYCLE_1)
	s_and_saveexec_b32 s15, s16
	s_cbranch_execnz .LBB263_228
.LBB263_215:
	s_or_b32 exec_lo, exec_lo, s15
	s_and_b32 s16, s3, s8
	s_delay_alu instid0(SALU_CYCLE_1)
	s_and_saveexec_b32 s15, s16
	s_cbranch_execnz .LBB263_232
.LBB263_216:
	s_or_b32 exec_lo, exec_lo, s15
	s_and_b32 s16, s4, s8
	s_delay_alu instid0(SALU_CYCLE_1)
	s_and_saveexec_b32 s15, s16
	s_cbranch_execnz .LBB263_236
.LBB263_217:
	s_or_b32 exec_lo, exec_lo, s15
	s_and_b32 s16, s5, s8
	s_delay_alu instid0(SALU_CYCLE_1)
	s_and_saveexec_b32 s15, s16
	s_cbranch_execnz .LBB263_240
.LBB263_218:
	s_or_b32 exec_lo, exec_lo, s15
	s_and_b32 s16, s6, s8
	s_delay_alu instid0(SALU_CYCLE_1)
	s_and_saveexec_b32 s15, s16
	s_cbranch_execnz .LBB263_244
.LBB263_219:
	s_or_b32 exec_lo, exec_lo, s15
	s_and_b32 s15, s7, s8
	s_delay_alu instid0(SALU_CYCLE_1)
	s_and_saveexec_b32 s8, s15
	s_cbranch_execnz .LBB263_248
	s_branch .LBB263_252
.LBB263_220:
	v_cmp_ne_u32_e32 vcc_lo, 1, v76
	s_cbranch_vccnz .LBB263_222
; %bb.221:
	v_lshlrev_b64 v[28:29], 1, v[32:33]
	s_delay_alu instid0(VALU_DEP_1) | instskip(NEXT) | instid1(VALU_DEP_2)
	v_add_co_u32 v28, vcc_lo, v26, v28
	v_add_co_ci_u32_e32 v29, vcc_lo, v27, v29, vcc_lo
	flat_load_u16 v28, v[28:29]
	s_waitcnt vmcnt(0) lgkmcnt(0)
	v_mul_f16_e32 v28, s24, v28
	s_branch .LBB263_223
.LBB263_222:
	v_mov_b32_e32 v28, 0
.LBB263_223:
	v_pk_add_f16 v29, v16, v20
	v_pk_max_f16 v30, v80, v80
	v_pk_add_f16 v31, v17, v21
	s_delay_alu instid0(VALU_DEP_2) | instskip(NEXT) | instid1(VALU_DEP_1)
	v_pk_min_f16 v29, v30, v29
	v_pk_min_f16 v31, v29, v31
	v_lshlrev_b64 v[29:30], 1, v[32:33]
	s_delay_alu instid0(VALU_DEP_2) | instskip(NEXT) | instid1(VALU_DEP_1)
	v_lshrrev_b32_e32 v80, 16, v31
	v_min3_f16 v31, v28, v31, v80
	s_delay_alu instid0(VALU_DEP_3) | instskip(NEXT) | instid1(VALU_DEP_4)
	v_add_co_u32 v28, vcc_lo, v24, v29
	v_add_co_ci_u32_e32 v29, vcc_lo, v25, v30, vcc_lo
	global_store_b16 v[28:29], v31, off
	s_or_b32 exec_lo, exec_lo, s15
	s_and_b32 s16, s1, s8
	s_delay_alu instid0(SALU_CYCLE_1)
	s_and_saveexec_b32 s15, s16
	s_cbranch_execz .LBB263_214
.LBB263_224:
	v_cmp_ne_u32_e32 vcc_lo, 1, v76
	s_cbranch_vccnz .LBB263_226
; %bb.225:
	v_lshlrev_b64 v[28:29], 1, v[34:35]
	s_delay_alu instid0(VALU_DEP_1) | instskip(NEXT) | instid1(VALU_DEP_2)
	v_add_co_u32 v28, vcc_lo, v26, v28
	v_add_co_ci_u32_e32 v29, vcc_lo, v27, v29, vcc_lo
	flat_load_u16 v28, v[28:29]
	s_waitcnt vmcnt(0) lgkmcnt(0)
	v_mul_f16_e32 v28, s24, v28
	s_branch .LBB263_227
.LBB263_226:
	v_mov_b32_e32 v28, 0
.LBB263_227:
	v_pk_add_f16 v29, v18, v20
	v_pk_max_f16 v30, v79, v79
	v_pk_add_f16 v31, v19, v21
	s_delay_alu instid0(VALU_DEP_2) | instskip(NEXT) | instid1(VALU_DEP_1)
	v_pk_min_f16 v29, v30, v29
	v_pk_min_f16 v31, v29, v31
	v_lshlrev_b64 v[29:30], 1, v[34:35]
	s_delay_alu instid0(VALU_DEP_2) | instskip(NEXT) | instid1(VALU_DEP_1)
	v_lshrrev_b32_e32 v79, 16, v31
	v_min3_f16 v31, v28, v31, v79
	s_delay_alu instid0(VALU_DEP_3) | instskip(NEXT) | instid1(VALU_DEP_4)
	v_add_co_u32 v28, vcc_lo, v24, v29
	v_add_co_ci_u32_e32 v29, vcc_lo, v25, v30, vcc_lo
	global_store_b16 v[28:29], v31, off
	s_or_b32 exec_lo, exec_lo, s15
	s_and_b32 s16, s2, s8
	s_delay_alu instid0(SALU_CYCLE_1)
	s_and_saveexec_b32 s15, s16
	s_cbranch_execz .LBB263_215
.LBB263_228:
	v_cmp_ne_u32_e32 vcc_lo, 1, v76
	s_cbranch_vccnz .LBB263_230
; %bb.229:
	v_lshlrev_b64 v[28:29], 1, v[36:37]
	s_delay_alu instid0(VALU_DEP_1) | instskip(NEXT) | instid1(VALU_DEP_2)
	v_add_co_u32 v28, vcc_lo, v26, v28
	v_add_co_ci_u32_e32 v29, vcc_lo, v27, v29, vcc_lo
	flat_load_u16 v28, v[28:29]
	s_waitcnt vmcnt(0) lgkmcnt(0)
	v_mul_f16_e32 v28, s24, v28
	s_branch .LBB263_231
.LBB263_230:
	v_mov_b32_e32 v28, 0
.LBB263_231:
	v_pk_add_f16 v29, v12, v20
	v_pk_max_f16 v30, v78, v78
	v_pk_add_f16 v31, v13, v21
	s_delay_alu instid0(VALU_DEP_2) | instskip(NEXT) | instid1(VALU_DEP_1)
	v_pk_min_f16 v29, v30, v29
	v_pk_min_f16 v31, v29, v31
	v_lshlrev_b64 v[29:30], 1, v[36:37]
	s_delay_alu instid0(VALU_DEP_2) | instskip(NEXT) | instid1(VALU_DEP_1)
	v_lshrrev_b32_e32 v78, 16, v31
	v_min3_f16 v31, v28, v31, v78
	s_delay_alu instid0(VALU_DEP_3) | instskip(NEXT) | instid1(VALU_DEP_4)
	v_add_co_u32 v28, vcc_lo, v24, v29
	v_add_co_ci_u32_e32 v29, vcc_lo, v25, v30, vcc_lo
	global_store_b16 v[28:29], v31, off
	s_or_b32 exec_lo, exec_lo, s15
	s_and_b32 s16, s3, s8
	s_delay_alu instid0(SALU_CYCLE_1)
	s_and_saveexec_b32 s15, s16
	s_cbranch_execz .LBB263_216
.LBB263_232:
	v_cmp_ne_u32_e32 vcc_lo, 1, v76
	s_cbranch_vccnz .LBB263_234
; %bb.233:
	v_lshlrev_b64 v[28:29], 1, v[38:39]
	s_delay_alu instid0(VALU_DEP_1) | instskip(NEXT) | instid1(VALU_DEP_2)
	v_add_co_u32 v28, vcc_lo, v26, v28
	v_add_co_ci_u32_e32 v29, vcc_lo, v27, v29, vcc_lo
	flat_load_u16 v28, v[28:29]
	s_waitcnt vmcnt(0) lgkmcnt(0)
	v_mul_f16_e32 v28, s24, v28
	s_branch .LBB263_235
.LBB263_234:
	v_mov_b32_e32 v28, 0
.LBB263_235:
	v_pk_add_f16 v29, v14, v20
	v_pk_max_f16 v30, v77, v77
	v_pk_add_f16 v31, v15, v21
	s_delay_alu instid0(VALU_DEP_2) | instskip(NEXT) | instid1(VALU_DEP_1)
	v_pk_min_f16 v29, v30, v29
	v_pk_min_f16 v31, v29, v31
	v_lshlrev_b64 v[29:30], 1, v[38:39]
	s_delay_alu instid0(VALU_DEP_2) | instskip(NEXT) | instid1(VALU_DEP_1)
	v_lshrrev_b32_e32 v77, 16, v31
	v_min3_f16 v31, v28, v31, v77
	s_delay_alu instid0(VALU_DEP_3) | instskip(NEXT) | instid1(VALU_DEP_4)
	v_add_co_u32 v28, vcc_lo, v24, v29
	v_add_co_ci_u32_e32 v29, vcc_lo, v25, v30, vcc_lo
	global_store_b16 v[28:29], v31, off
	s_or_b32 exec_lo, exec_lo, s15
	s_and_b32 s16, s4, s8
	s_delay_alu instid0(SALU_CYCLE_1)
	s_and_saveexec_b32 s15, s16
	s_cbranch_execz .LBB263_217
.LBB263_236:
	v_cmp_ne_u32_e32 vcc_lo, 1, v76
	s_cbranch_vccnz .LBB263_238
; %bb.237:
	v_lshlrev_b64 v[28:29], 1, v[40:41]
	s_delay_alu instid0(VALU_DEP_1) | instskip(NEXT) | instid1(VALU_DEP_2)
	v_add_co_u32 v28, vcc_lo, v26, v28
	v_add_co_ci_u32_e32 v29, vcc_lo, v27, v29, vcc_lo
	flat_load_u16 v28, v[28:29]
	s_waitcnt vmcnt(0) lgkmcnt(0)
	v_mul_f16_e32 v28, s24, v28
	s_branch .LBB263_239
.LBB263_238:
	v_mov_b32_e32 v28, 0
.LBB263_239:
	v_pk_add_f16 v29, v8, v20
	v_pk_max_f16 v30, v75, v75
	v_pk_add_f16 v31, v9, v21
	s_delay_alu instid0(VALU_DEP_2) | instskip(NEXT) | instid1(VALU_DEP_1)
	v_pk_min_f16 v29, v30, v29
	v_pk_min_f16 v31, v29, v31
	v_lshlrev_b64 v[29:30], 1, v[40:41]
	s_delay_alu instid0(VALU_DEP_2) | instskip(NEXT) | instid1(VALU_DEP_1)
	v_lshrrev_b32_e32 v75, 16, v31
	v_min3_f16 v31, v28, v31, v75
	s_delay_alu instid0(VALU_DEP_3) | instskip(NEXT) | instid1(VALU_DEP_4)
	v_add_co_u32 v28, vcc_lo, v24, v29
	v_add_co_ci_u32_e32 v29, vcc_lo, v25, v30, vcc_lo
	global_store_b16 v[28:29], v31, off
	s_or_b32 exec_lo, exec_lo, s15
	s_and_b32 s16, s5, s8
	s_delay_alu instid0(SALU_CYCLE_1)
	s_and_saveexec_b32 s15, s16
	s_cbranch_execz .LBB263_218
.LBB263_240:
	v_cmp_ne_u32_e32 vcc_lo, 1, v76
	s_cbranch_vccnz .LBB263_242
; %bb.241:
	v_lshlrev_b64 v[28:29], 1, v[42:43]
	s_delay_alu instid0(VALU_DEP_1) | instskip(NEXT) | instid1(VALU_DEP_2)
	v_add_co_u32 v28, vcc_lo, v26, v28
	v_add_co_ci_u32_e32 v29, vcc_lo, v27, v29, vcc_lo
	flat_load_u16 v28, v[28:29]
	s_waitcnt vmcnt(0) lgkmcnt(0)
	v_mul_f16_e32 v28, s24, v28
	s_branch .LBB263_243
.LBB263_242:
	v_mov_b32_e32 v28, 0
.LBB263_243:
	v_pk_add_f16 v29, v10, v20
	v_pk_max_f16 v30, v74, v74
	v_pk_add_f16 v31, v11, v21
	s_delay_alu instid0(VALU_DEP_2) | instskip(NEXT) | instid1(VALU_DEP_1)
	v_pk_min_f16 v29, v30, v29
	v_pk_min_f16 v31, v29, v31
	v_lshlrev_b64 v[29:30], 1, v[42:43]
	s_delay_alu instid0(VALU_DEP_2) | instskip(NEXT) | instid1(VALU_DEP_1)
	v_lshrrev_b32_e32 v74, 16, v31
	v_min3_f16 v31, v28, v31, v74
	s_delay_alu instid0(VALU_DEP_3) | instskip(NEXT) | instid1(VALU_DEP_4)
	v_add_co_u32 v28, vcc_lo, v24, v29
	v_add_co_ci_u32_e32 v29, vcc_lo, v25, v30, vcc_lo
	global_store_b16 v[28:29], v31, off
	s_or_b32 exec_lo, exec_lo, s15
	s_and_b32 s16, s6, s8
	s_delay_alu instid0(SALU_CYCLE_1)
	s_and_saveexec_b32 s15, s16
	s_cbranch_execz .LBB263_219
.LBB263_244:
	v_cmp_ne_u32_e32 vcc_lo, 1, v76
	s_cbranch_vccnz .LBB263_246
; %bb.245:
	v_lshlrev_b64 v[28:29], 1, v[44:45]
	s_delay_alu instid0(VALU_DEP_1) | instskip(NEXT) | instid1(VALU_DEP_2)
	v_add_co_u32 v28, vcc_lo, v26, v28
	v_add_co_ci_u32_e32 v29, vcc_lo, v27, v29, vcc_lo
	flat_load_u16 v28, v[28:29]
	s_waitcnt vmcnt(0) lgkmcnt(0)
	v_mul_f16_e32 v28, s24, v28
	s_branch .LBB263_247
.LBB263_246:
	v_mov_b32_e32 v28, 0
.LBB263_247:
	v_pk_add_f16 v29, v0, v20
	v_pk_max_f16 v30, v73, v73
	v_pk_add_f16 v31, v1, v21
	s_delay_alu instid0(VALU_DEP_2) | instskip(NEXT) | instid1(VALU_DEP_1)
	v_pk_min_f16 v29, v30, v29
	v_pk_min_f16 v31, v29, v31
	v_lshlrev_b64 v[29:30], 1, v[44:45]
	s_delay_alu instid0(VALU_DEP_2) | instskip(NEXT) | instid1(VALU_DEP_1)
	v_lshrrev_b32_e32 v73, 16, v31
	v_min3_f16 v31, v28, v31, v73
	s_delay_alu instid0(VALU_DEP_3) | instskip(NEXT) | instid1(VALU_DEP_4)
	v_add_co_u32 v28, vcc_lo, v24, v29
	v_add_co_ci_u32_e32 v29, vcc_lo, v25, v30, vcc_lo
	global_store_b16 v[28:29], v31, off
	s_or_b32 exec_lo, exec_lo, s15
	s_and_b32 s15, s7, s8
	s_delay_alu instid0(SALU_CYCLE_1)
	s_and_saveexec_b32 s8, s15
	s_cbranch_execz .LBB263_252
.LBB263_248:
	v_cmp_ne_u32_e32 vcc_lo, 1, v76
	s_cbranch_vccnz .LBB263_250
; %bb.249:
	v_lshlrev_b64 v[28:29], 1, v[46:47]
	s_delay_alu instid0(VALU_DEP_1) | instskip(NEXT) | instid1(VALU_DEP_2)
	v_add_co_u32 v26, vcc_lo, v26, v28
	v_add_co_ci_u32_e32 v27, vcc_lo, v27, v29, vcc_lo
	flat_load_u16 v26, v[26:27]
	s_waitcnt vmcnt(0) lgkmcnt(0)
	v_mul_f16_e32 v26, s24, v26
	s_branch .LBB263_251
.LBB263_250:
	v_mov_b32_e32 v26, 0
.LBB263_251:
	v_pk_add_f16 v20, v2, v20
	v_pk_max_f16 v27, v72, v72
	v_pk_add_f16 v21, v3, v21
	s_delay_alu instid0(VALU_DEP_2) | instskip(NEXT) | instid1(VALU_DEP_1)
	v_pk_min_f16 v20, v27, v20
	v_pk_min_f16 v27, v20, v21
	v_lshlrev_b64 v[20:21], 1, v[46:47]
	s_delay_alu instid0(VALU_DEP_2) | instskip(NEXT) | instid1(VALU_DEP_2)
	v_lshrrev_b32_e32 v28, 16, v27
	v_add_co_u32 v20, vcc_lo, v24, v20
	s_delay_alu instid0(VALU_DEP_3) | instskip(NEXT) | instid1(VALU_DEP_3)
	v_add_co_ci_u32_e32 v21, vcc_lo, v25, v21, vcc_lo
	v_min3_f16 v26, v26, v27, v28
	global_store_b16 v[20:21], v26, off
.LBB263_252:
	s_or_b32 exec_lo, exec_lo, s8
	v_add_nc_u32_e32 v26, 40, v85
	s_delay_alu instid0(VALU_DEP_1) | instskip(SKIP_2) | instid1(VALU_DEP_3)
	v_mad_i64_i32 v[20:21], null, v26, s14, 0
	v_mad_i64_i32 v[24:25], null, v26, s9, 0
	v_cmp_gt_i32_e64 s8, s17, v26
	v_lshlrev_b64 v[20:21], 1, v[20:21]
	s_delay_alu instid0(VALU_DEP_2) | instskip(NEXT) | instid1(VALU_DEP_3)
	s_and_b32 s16, s0, s8
	v_lshlrev_b64 v[26:27], 1, v[24:25]
	s_delay_alu instid0(VALU_DEP_2) | instskip(NEXT) | instid1(VALU_DEP_3)
	v_add_co_u32 v24, vcc_lo, s12, v20
	v_add_co_ci_u32_e32 v25, vcc_lo, s13, v21, vcc_lo
	s_delay_alu instid0(VALU_DEP_3) | instskip(NEXT) | instid1(VALU_DEP_4)
	v_add_co_u32 v20, vcc_lo, s10, v26
	v_add_co_ci_u32_e32 v21, vcc_lo, s11, v27, vcc_lo
	s_and_saveexec_b32 s15, s16
	s_cbranch_execnz .LBB263_260
; %bb.253:
	s_or_b32 exec_lo, exec_lo, s15
	s_and_b32 s16, s1, s8
	s_delay_alu instid0(SALU_CYCLE_1)
	s_and_saveexec_b32 s15, s16
	s_cbranch_execnz .LBB263_264
.LBB263_254:
	s_or_b32 exec_lo, exec_lo, s15
	s_and_b32 s16, s2, s8
	s_delay_alu instid0(SALU_CYCLE_1)
	s_and_saveexec_b32 s15, s16
	s_cbranch_execnz .LBB263_268
.LBB263_255:
	s_or_b32 exec_lo, exec_lo, s15
	s_and_b32 s16, s3, s8
	s_delay_alu instid0(SALU_CYCLE_1)
	s_and_saveexec_b32 s15, s16
	s_cbranch_execnz .LBB263_272
.LBB263_256:
	s_or_b32 exec_lo, exec_lo, s15
	s_and_b32 s16, s4, s8
	s_delay_alu instid0(SALU_CYCLE_1)
	s_and_saveexec_b32 s15, s16
	s_cbranch_execnz .LBB263_276
.LBB263_257:
	s_or_b32 exec_lo, exec_lo, s15
	s_and_b32 s16, s5, s8
	s_delay_alu instid0(SALU_CYCLE_1)
	s_and_saveexec_b32 s15, s16
	s_cbranch_execnz .LBB263_280
.LBB263_258:
	s_or_b32 exec_lo, exec_lo, s15
	s_and_b32 s16, s6, s8
	s_delay_alu instid0(SALU_CYCLE_1)
	s_and_saveexec_b32 s15, s16
	s_cbranch_execnz .LBB263_284
.LBB263_259:
	s_or_b32 exec_lo, exec_lo, s15
	s_and_b32 s15, s7, s8
	s_delay_alu instid0(SALU_CYCLE_1)
	s_and_saveexec_b32 s8, s15
	s_cbranch_execnz .LBB263_288
	s_branch .LBB263_292
.LBB263_260:
	v_cmp_ne_u32_e32 vcc_lo, 1, v76
	s_cbranch_vccnz .LBB263_262
; %bb.261:
	v_lshlrev_b64 v[26:27], 1, v[32:33]
	s_delay_alu instid0(VALU_DEP_1) | instskip(NEXT) | instid1(VALU_DEP_2)
	v_add_co_u32 v26, vcc_lo, v24, v26
	v_add_co_ci_u32_e32 v27, vcc_lo, v25, v27, vcc_lo
	flat_load_u16 v26, v[26:27]
	s_waitcnt vmcnt(0) lgkmcnt(0)
	v_mul_f16_e32 v26, s24, v26
	s_branch .LBB263_263
.LBB263_262:
	v_mov_b32_e32 v26, 0
.LBB263_263:
	v_pk_add_f16 v27, v16, v22
	v_pk_max_f16 v28, v71, v71
	v_pk_add_f16 v29, v17, v23
	s_delay_alu instid0(VALU_DEP_2) | instskip(NEXT) | instid1(VALU_DEP_1)
	v_pk_min_f16 v27, v28, v27
	v_pk_min_f16 v29, v27, v29
	v_lshlrev_b64 v[27:28], 1, v[32:33]
	s_delay_alu instid0(VALU_DEP_2) | instskip(NEXT) | instid1(VALU_DEP_1)
	v_lshrrev_b32_e32 v30, 16, v29
	v_min3_f16 v29, v26, v29, v30
	s_delay_alu instid0(VALU_DEP_3) | instskip(NEXT) | instid1(VALU_DEP_4)
	v_add_co_u32 v26, vcc_lo, v20, v27
	v_add_co_ci_u32_e32 v27, vcc_lo, v21, v28, vcc_lo
	global_store_b16 v[26:27], v29, off
	s_or_b32 exec_lo, exec_lo, s15
	s_and_b32 s16, s1, s8
	s_delay_alu instid0(SALU_CYCLE_1)
	s_and_saveexec_b32 s15, s16
	s_cbranch_execz .LBB263_254
.LBB263_264:
	v_cmp_ne_u32_e32 vcc_lo, 1, v76
	s_cbranch_vccnz .LBB263_266
; %bb.265:
	v_lshlrev_b64 v[26:27], 1, v[34:35]
	s_delay_alu instid0(VALU_DEP_1) | instskip(NEXT) | instid1(VALU_DEP_2)
	v_add_co_u32 v26, vcc_lo, v24, v26
	v_add_co_ci_u32_e32 v27, vcc_lo, v25, v27, vcc_lo
	flat_load_u16 v26, v[26:27]
	s_waitcnt vmcnt(0) lgkmcnt(0)
	v_mul_f16_e32 v26, s24, v26
	s_branch .LBB263_267
.LBB263_266:
	v_mov_b32_e32 v26, 0
.LBB263_267:
	v_pk_add_f16 v27, v18, v22
	v_pk_max_f16 v28, v70, v70
	v_pk_add_f16 v29, v19, v23
	s_delay_alu instid0(VALU_DEP_2) | instskip(NEXT) | instid1(VALU_DEP_1)
	v_pk_min_f16 v27, v28, v27
	v_pk_min_f16 v29, v27, v29
	v_lshlrev_b64 v[27:28], 1, v[34:35]
	s_delay_alu instid0(VALU_DEP_2) | instskip(NEXT) | instid1(VALU_DEP_1)
	v_lshrrev_b32_e32 v30, 16, v29
	v_min3_f16 v29, v26, v29, v30
	s_delay_alu instid0(VALU_DEP_3) | instskip(NEXT) | instid1(VALU_DEP_4)
	v_add_co_u32 v26, vcc_lo, v20, v27
	v_add_co_ci_u32_e32 v27, vcc_lo, v21, v28, vcc_lo
	global_store_b16 v[26:27], v29, off
	s_or_b32 exec_lo, exec_lo, s15
	s_and_b32 s16, s2, s8
	s_delay_alu instid0(SALU_CYCLE_1)
	s_and_saveexec_b32 s15, s16
	s_cbranch_execz .LBB263_255
.LBB263_268:
	v_cmp_ne_u32_e32 vcc_lo, 1, v76
	s_cbranch_vccnz .LBB263_270
; %bb.269:
	v_lshlrev_b64 v[26:27], 1, v[36:37]
	s_delay_alu instid0(VALU_DEP_1) | instskip(NEXT) | instid1(VALU_DEP_2)
	v_add_co_u32 v26, vcc_lo, v24, v26
	v_add_co_ci_u32_e32 v27, vcc_lo, v25, v27, vcc_lo
	flat_load_u16 v26, v[26:27]
	s_waitcnt vmcnt(0) lgkmcnt(0)
	v_mul_f16_e32 v26, s24, v26
	s_branch .LBB263_271
.LBB263_270:
	v_mov_b32_e32 v26, 0
.LBB263_271:
	v_pk_add_f16 v27, v12, v22
	v_pk_max_f16 v28, v69, v69
	v_pk_add_f16 v29, v13, v23
	s_delay_alu instid0(VALU_DEP_2) | instskip(NEXT) | instid1(VALU_DEP_1)
	v_pk_min_f16 v27, v28, v27
	v_pk_min_f16 v29, v27, v29
	v_lshlrev_b64 v[27:28], 1, v[36:37]
	s_delay_alu instid0(VALU_DEP_2) | instskip(NEXT) | instid1(VALU_DEP_1)
	v_lshrrev_b32_e32 v30, 16, v29
	v_min3_f16 v29, v26, v29, v30
	s_delay_alu instid0(VALU_DEP_3) | instskip(NEXT) | instid1(VALU_DEP_4)
	v_add_co_u32 v26, vcc_lo, v20, v27
	v_add_co_ci_u32_e32 v27, vcc_lo, v21, v28, vcc_lo
	global_store_b16 v[26:27], v29, off
	s_or_b32 exec_lo, exec_lo, s15
	s_and_b32 s16, s3, s8
	s_delay_alu instid0(SALU_CYCLE_1)
	s_and_saveexec_b32 s15, s16
	s_cbranch_execz .LBB263_256
.LBB263_272:
	v_cmp_ne_u32_e32 vcc_lo, 1, v76
	s_cbranch_vccnz .LBB263_274
; %bb.273:
	v_lshlrev_b64 v[26:27], 1, v[38:39]
	s_delay_alu instid0(VALU_DEP_1) | instskip(NEXT) | instid1(VALU_DEP_2)
	v_add_co_u32 v26, vcc_lo, v24, v26
	v_add_co_ci_u32_e32 v27, vcc_lo, v25, v27, vcc_lo
	flat_load_u16 v26, v[26:27]
	s_waitcnt vmcnt(0) lgkmcnt(0)
	v_mul_f16_e32 v26, s24, v26
	s_branch .LBB263_275
.LBB263_274:
	v_mov_b32_e32 v26, 0
.LBB263_275:
	v_pk_add_f16 v27, v14, v22
	v_pk_max_f16 v28, v68, v68
	v_pk_add_f16 v29, v15, v23
	s_delay_alu instid0(VALU_DEP_2) | instskip(NEXT) | instid1(VALU_DEP_1)
	v_pk_min_f16 v27, v28, v27
	v_pk_min_f16 v29, v27, v29
	v_lshlrev_b64 v[27:28], 1, v[38:39]
	s_delay_alu instid0(VALU_DEP_2) | instskip(NEXT) | instid1(VALU_DEP_1)
	v_lshrrev_b32_e32 v30, 16, v29
	v_min3_f16 v29, v26, v29, v30
	s_delay_alu instid0(VALU_DEP_3) | instskip(NEXT) | instid1(VALU_DEP_4)
	v_add_co_u32 v26, vcc_lo, v20, v27
	v_add_co_ci_u32_e32 v27, vcc_lo, v21, v28, vcc_lo
	global_store_b16 v[26:27], v29, off
	s_or_b32 exec_lo, exec_lo, s15
	s_and_b32 s16, s4, s8
	s_delay_alu instid0(SALU_CYCLE_1)
	s_and_saveexec_b32 s15, s16
	s_cbranch_execz .LBB263_257
.LBB263_276:
	v_cmp_ne_u32_e32 vcc_lo, 1, v76
	s_cbranch_vccnz .LBB263_278
; %bb.277:
	v_lshlrev_b64 v[26:27], 1, v[40:41]
	s_delay_alu instid0(VALU_DEP_1) | instskip(NEXT) | instid1(VALU_DEP_2)
	v_add_co_u32 v26, vcc_lo, v24, v26
	v_add_co_ci_u32_e32 v27, vcc_lo, v25, v27, vcc_lo
	flat_load_u16 v26, v[26:27]
	s_waitcnt vmcnt(0) lgkmcnt(0)
	v_mul_f16_e32 v26, s24, v26
	s_branch .LBB263_279
.LBB263_278:
	v_mov_b32_e32 v26, 0
.LBB263_279:
	v_pk_add_f16 v27, v8, v22
	v_pk_max_f16 v28, v67, v67
	v_pk_add_f16 v29, v9, v23
	s_delay_alu instid0(VALU_DEP_2) | instskip(NEXT) | instid1(VALU_DEP_1)
	v_pk_min_f16 v27, v28, v27
	v_pk_min_f16 v29, v27, v29
	v_lshlrev_b64 v[27:28], 1, v[40:41]
	s_delay_alu instid0(VALU_DEP_2) | instskip(NEXT) | instid1(VALU_DEP_1)
	v_lshrrev_b32_e32 v30, 16, v29
	v_min3_f16 v29, v26, v29, v30
	s_delay_alu instid0(VALU_DEP_3) | instskip(NEXT) | instid1(VALU_DEP_4)
	v_add_co_u32 v26, vcc_lo, v20, v27
	v_add_co_ci_u32_e32 v27, vcc_lo, v21, v28, vcc_lo
	global_store_b16 v[26:27], v29, off
	s_or_b32 exec_lo, exec_lo, s15
	s_and_b32 s16, s5, s8
	s_delay_alu instid0(SALU_CYCLE_1)
	s_and_saveexec_b32 s15, s16
	s_cbranch_execz .LBB263_258
.LBB263_280:
	v_cmp_ne_u32_e32 vcc_lo, 1, v76
	s_cbranch_vccnz .LBB263_282
; %bb.281:
	v_lshlrev_b64 v[26:27], 1, v[42:43]
	s_delay_alu instid0(VALU_DEP_1) | instskip(NEXT) | instid1(VALU_DEP_2)
	v_add_co_u32 v26, vcc_lo, v24, v26
	v_add_co_ci_u32_e32 v27, vcc_lo, v25, v27, vcc_lo
	flat_load_u16 v26, v[26:27]
	s_waitcnt vmcnt(0) lgkmcnt(0)
	v_mul_f16_e32 v26, s24, v26
	s_branch .LBB263_283
.LBB263_282:
	v_mov_b32_e32 v26, 0
.LBB263_283:
	v_pk_add_f16 v27, v10, v22
	v_pk_max_f16 v28, v66, v66
	v_pk_add_f16 v29, v11, v23
	s_delay_alu instid0(VALU_DEP_2) | instskip(NEXT) | instid1(VALU_DEP_1)
	v_pk_min_f16 v27, v28, v27
	v_pk_min_f16 v29, v27, v29
	v_lshlrev_b64 v[27:28], 1, v[42:43]
	s_delay_alu instid0(VALU_DEP_2) | instskip(NEXT) | instid1(VALU_DEP_1)
	v_lshrrev_b32_e32 v30, 16, v29
	v_min3_f16 v29, v26, v29, v30
	s_delay_alu instid0(VALU_DEP_3) | instskip(NEXT) | instid1(VALU_DEP_4)
	v_add_co_u32 v26, vcc_lo, v20, v27
	v_add_co_ci_u32_e32 v27, vcc_lo, v21, v28, vcc_lo
	global_store_b16 v[26:27], v29, off
	s_or_b32 exec_lo, exec_lo, s15
	s_and_b32 s16, s6, s8
	s_delay_alu instid0(SALU_CYCLE_1)
	s_and_saveexec_b32 s15, s16
	s_cbranch_execz .LBB263_259
.LBB263_284:
	v_cmp_ne_u32_e32 vcc_lo, 1, v76
	s_cbranch_vccnz .LBB263_286
; %bb.285:
	v_lshlrev_b64 v[26:27], 1, v[44:45]
	s_delay_alu instid0(VALU_DEP_1) | instskip(NEXT) | instid1(VALU_DEP_2)
	v_add_co_u32 v26, vcc_lo, v24, v26
	v_add_co_ci_u32_e32 v27, vcc_lo, v25, v27, vcc_lo
	flat_load_u16 v26, v[26:27]
	s_waitcnt vmcnt(0) lgkmcnt(0)
	v_mul_f16_e32 v26, s24, v26
	s_branch .LBB263_287
.LBB263_286:
	v_mov_b32_e32 v26, 0
.LBB263_287:
	v_pk_add_f16 v27, v0, v22
	v_pk_max_f16 v28, v65, v65
	v_pk_add_f16 v29, v1, v23
	s_delay_alu instid0(VALU_DEP_2) | instskip(NEXT) | instid1(VALU_DEP_1)
	v_pk_min_f16 v27, v28, v27
	v_pk_min_f16 v29, v27, v29
	v_lshlrev_b64 v[27:28], 1, v[44:45]
	s_delay_alu instid0(VALU_DEP_2) | instskip(NEXT) | instid1(VALU_DEP_1)
	v_lshrrev_b32_e32 v30, 16, v29
	v_min3_f16 v29, v26, v29, v30
	s_delay_alu instid0(VALU_DEP_3) | instskip(NEXT) | instid1(VALU_DEP_4)
	v_add_co_u32 v26, vcc_lo, v20, v27
	v_add_co_ci_u32_e32 v27, vcc_lo, v21, v28, vcc_lo
	global_store_b16 v[26:27], v29, off
	s_or_b32 exec_lo, exec_lo, s15
	s_and_b32 s15, s7, s8
	s_delay_alu instid0(SALU_CYCLE_1)
	s_and_saveexec_b32 s8, s15
	s_cbranch_execz .LBB263_292
.LBB263_288:
	v_cmp_ne_u32_e32 vcc_lo, 1, v76
	s_cbranch_vccnz .LBB263_290
; %bb.289:
	v_lshlrev_b64 v[26:27], 1, v[46:47]
	s_delay_alu instid0(VALU_DEP_1) | instskip(NEXT) | instid1(VALU_DEP_2)
	v_add_co_u32 v24, vcc_lo, v24, v26
	v_add_co_ci_u32_e32 v25, vcc_lo, v25, v27, vcc_lo
	flat_load_u16 v24, v[24:25]
	s_waitcnt vmcnt(0) lgkmcnt(0)
	v_mul_f16_e32 v24, s24, v24
	s_branch .LBB263_291
.LBB263_290:
	v_mov_b32_e32 v24, 0
.LBB263_291:
	v_pk_add_f16 v22, v2, v22
	v_pk_max_f16 v25, v64, v64
	v_pk_add_f16 v23, v3, v23
	s_delay_alu instid0(VALU_DEP_2) | instskip(NEXT) | instid1(VALU_DEP_1)
	v_pk_min_f16 v22, v25, v22
	v_pk_min_f16 v25, v22, v23
	v_lshlrev_b64 v[22:23], 1, v[46:47]
	s_delay_alu instid0(VALU_DEP_2) | instskip(NEXT) | instid1(VALU_DEP_2)
	v_lshrrev_b32_e32 v26, 16, v25
	v_add_co_u32 v20, vcc_lo, v20, v22
	s_delay_alu instid0(VALU_DEP_3) | instskip(NEXT) | instid1(VALU_DEP_3)
	v_add_co_ci_u32_e32 v21, vcc_lo, v21, v23, vcc_lo
	v_min3_f16 v24, v24, v25, v26
	global_store_b16 v[20:21], v24, off
.LBB263_292:
	s_or_b32 exec_lo, exec_lo, s8
	v_add_nc_u32_e32 v24, 48, v85
	s_delay_alu instid0(VALU_DEP_1) | instskip(SKIP_2) | instid1(VALU_DEP_3)
	v_mad_i64_i32 v[20:21], null, v24, s14, 0
	v_mad_i64_i32 v[22:23], null, v24, s9, 0
	v_cmp_gt_i32_e64 s8, s17, v24
	v_lshlrev_b64 v[20:21], 1, v[20:21]
	s_delay_alu instid0(VALU_DEP_2) | instskip(NEXT) | instid1(VALU_DEP_3)
	s_and_b32 s16, s0, s8
	v_lshlrev_b64 v[24:25], 1, v[22:23]
	s_delay_alu instid0(VALU_DEP_2) | instskip(NEXT) | instid1(VALU_DEP_3)
	v_add_co_u32 v22, vcc_lo, s12, v20
	v_add_co_ci_u32_e32 v23, vcc_lo, s13, v21, vcc_lo
	s_delay_alu instid0(VALU_DEP_3) | instskip(NEXT) | instid1(VALU_DEP_4)
	v_add_co_u32 v20, vcc_lo, s10, v24
	v_add_co_ci_u32_e32 v21, vcc_lo, s11, v25, vcc_lo
	s_and_saveexec_b32 s15, s16
	s_cbranch_execnz .LBB263_300
; %bb.293:
	s_or_b32 exec_lo, exec_lo, s15
	s_and_b32 s16, s1, s8
	s_delay_alu instid0(SALU_CYCLE_1)
	s_and_saveexec_b32 s15, s16
	s_cbranch_execnz .LBB263_304
.LBB263_294:
	s_or_b32 exec_lo, exec_lo, s15
	s_and_b32 s16, s2, s8
	s_delay_alu instid0(SALU_CYCLE_1)
	s_and_saveexec_b32 s15, s16
	s_cbranch_execnz .LBB263_308
.LBB263_295:
	s_or_b32 exec_lo, exec_lo, s15
	s_and_b32 s16, s3, s8
	s_delay_alu instid0(SALU_CYCLE_1)
	s_and_saveexec_b32 s15, s16
	s_cbranch_execnz .LBB263_312
.LBB263_296:
	s_or_b32 exec_lo, exec_lo, s15
	s_and_b32 s16, s4, s8
	s_delay_alu instid0(SALU_CYCLE_1)
	s_and_saveexec_b32 s15, s16
	s_cbranch_execnz .LBB263_316
.LBB263_297:
	s_or_b32 exec_lo, exec_lo, s15
	s_and_b32 s16, s5, s8
	s_delay_alu instid0(SALU_CYCLE_1)
	s_and_saveexec_b32 s15, s16
	s_cbranch_execnz .LBB263_320
.LBB263_298:
	s_or_b32 exec_lo, exec_lo, s15
	s_and_b32 s16, s6, s8
	s_delay_alu instid0(SALU_CYCLE_1)
	s_and_saveexec_b32 s15, s16
	s_cbranch_execnz .LBB263_324
.LBB263_299:
	s_or_b32 exec_lo, exec_lo, s15
	s_and_b32 s15, s7, s8
	s_delay_alu instid0(SALU_CYCLE_1)
	s_and_saveexec_b32 s8, s15
	s_cbranch_execnz .LBB263_328
	s_branch .LBB263_332
.LBB263_300:
	v_cmp_ne_u32_e32 vcc_lo, 1, v76
	s_cbranch_vccnz .LBB263_302
; %bb.301:
	v_lshlrev_b64 v[24:25], 1, v[32:33]
	s_delay_alu instid0(VALU_DEP_1) | instskip(NEXT) | instid1(VALU_DEP_2)
	v_add_co_u32 v24, vcc_lo, v22, v24
	v_add_co_ci_u32_e32 v25, vcc_lo, v23, v25, vcc_lo
	flat_load_u16 v24, v[24:25]
	s_waitcnt vmcnt(0) lgkmcnt(0)
	v_mul_f16_e32 v24, s24, v24
	s_branch .LBB263_303
.LBB263_302:
	v_mov_b32_e32 v24, 0
.LBB263_303:
	v_pk_add_f16 v25, v16, v4
	v_pk_max_f16 v26, v63, v63
	v_pk_add_f16 v27, v17, v5
	s_delay_alu instid0(VALU_DEP_2) | instskip(NEXT) | instid1(VALU_DEP_1)
	v_pk_min_f16 v25, v26, v25
	v_pk_min_f16 v27, v25, v27
	v_lshlrev_b64 v[25:26], 1, v[32:33]
	s_delay_alu instid0(VALU_DEP_2) | instskip(NEXT) | instid1(VALU_DEP_1)
	v_lshrrev_b32_e32 v28, 16, v27
	v_min3_f16 v27, v24, v27, v28
	s_delay_alu instid0(VALU_DEP_3) | instskip(NEXT) | instid1(VALU_DEP_4)
	v_add_co_u32 v24, vcc_lo, v20, v25
	v_add_co_ci_u32_e32 v25, vcc_lo, v21, v26, vcc_lo
	global_store_b16 v[24:25], v27, off
	s_or_b32 exec_lo, exec_lo, s15
	s_and_b32 s16, s1, s8
	s_delay_alu instid0(SALU_CYCLE_1)
	s_and_saveexec_b32 s15, s16
	s_cbranch_execz .LBB263_294
.LBB263_304:
	v_cmp_ne_u32_e32 vcc_lo, 1, v76
	s_cbranch_vccnz .LBB263_306
; %bb.305:
	v_lshlrev_b64 v[24:25], 1, v[34:35]
	s_delay_alu instid0(VALU_DEP_1) | instskip(NEXT) | instid1(VALU_DEP_2)
	v_add_co_u32 v24, vcc_lo, v22, v24
	v_add_co_ci_u32_e32 v25, vcc_lo, v23, v25, vcc_lo
	flat_load_u16 v24, v[24:25]
	s_waitcnt vmcnt(0) lgkmcnt(0)
	v_mul_f16_e32 v24, s24, v24
	s_branch .LBB263_307
.LBB263_306:
	v_mov_b32_e32 v24, 0
.LBB263_307:
	v_pk_add_f16 v25, v18, v4
	v_pk_max_f16 v26, v62, v62
	v_pk_add_f16 v27, v19, v5
	s_delay_alu instid0(VALU_DEP_2) | instskip(NEXT) | instid1(VALU_DEP_1)
	v_pk_min_f16 v25, v26, v25
	v_pk_min_f16 v27, v25, v27
	v_lshlrev_b64 v[25:26], 1, v[34:35]
	s_delay_alu instid0(VALU_DEP_2) | instskip(NEXT) | instid1(VALU_DEP_1)
	v_lshrrev_b32_e32 v28, 16, v27
	v_min3_f16 v27, v24, v27, v28
	s_delay_alu instid0(VALU_DEP_3) | instskip(NEXT) | instid1(VALU_DEP_4)
	v_add_co_u32 v24, vcc_lo, v20, v25
	v_add_co_ci_u32_e32 v25, vcc_lo, v21, v26, vcc_lo
	global_store_b16 v[24:25], v27, off
	s_or_b32 exec_lo, exec_lo, s15
	s_and_b32 s16, s2, s8
	s_delay_alu instid0(SALU_CYCLE_1)
	s_and_saveexec_b32 s15, s16
	s_cbranch_execz .LBB263_295
.LBB263_308:
	v_cmp_ne_u32_e32 vcc_lo, 1, v76
	s_cbranch_vccnz .LBB263_310
; %bb.309:
	v_lshlrev_b64 v[24:25], 1, v[36:37]
	s_delay_alu instid0(VALU_DEP_1) | instskip(NEXT) | instid1(VALU_DEP_2)
	v_add_co_u32 v24, vcc_lo, v22, v24
	v_add_co_ci_u32_e32 v25, vcc_lo, v23, v25, vcc_lo
	flat_load_u16 v24, v[24:25]
	s_waitcnt vmcnt(0) lgkmcnt(0)
	v_mul_f16_e32 v24, s24, v24
	s_branch .LBB263_311
.LBB263_310:
	v_mov_b32_e32 v24, 0
.LBB263_311:
	v_pk_add_f16 v25, v12, v4
	v_pk_max_f16 v26, v61, v61
	v_pk_add_f16 v27, v13, v5
	s_delay_alu instid0(VALU_DEP_2) | instskip(NEXT) | instid1(VALU_DEP_1)
	v_pk_min_f16 v25, v26, v25
	v_pk_min_f16 v27, v25, v27
	v_lshlrev_b64 v[25:26], 1, v[36:37]
	s_delay_alu instid0(VALU_DEP_2) | instskip(NEXT) | instid1(VALU_DEP_1)
	v_lshrrev_b32_e32 v28, 16, v27
	v_min3_f16 v27, v24, v27, v28
	s_delay_alu instid0(VALU_DEP_3) | instskip(NEXT) | instid1(VALU_DEP_4)
	v_add_co_u32 v24, vcc_lo, v20, v25
	v_add_co_ci_u32_e32 v25, vcc_lo, v21, v26, vcc_lo
	global_store_b16 v[24:25], v27, off
	s_or_b32 exec_lo, exec_lo, s15
	s_and_b32 s16, s3, s8
	s_delay_alu instid0(SALU_CYCLE_1)
	s_and_saveexec_b32 s15, s16
	s_cbranch_execz .LBB263_296
.LBB263_312:
	v_cmp_ne_u32_e32 vcc_lo, 1, v76
	s_cbranch_vccnz .LBB263_314
; %bb.313:
	v_lshlrev_b64 v[24:25], 1, v[38:39]
	s_delay_alu instid0(VALU_DEP_1) | instskip(NEXT) | instid1(VALU_DEP_2)
	v_add_co_u32 v24, vcc_lo, v22, v24
	v_add_co_ci_u32_e32 v25, vcc_lo, v23, v25, vcc_lo
	flat_load_u16 v24, v[24:25]
	s_waitcnt vmcnt(0) lgkmcnt(0)
	v_mul_f16_e32 v24, s24, v24
	s_branch .LBB263_315
.LBB263_314:
	v_mov_b32_e32 v24, 0
.LBB263_315:
	v_pk_add_f16 v25, v14, v4
	v_pk_max_f16 v26, v60, v60
	v_pk_add_f16 v27, v15, v5
	s_delay_alu instid0(VALU_DEP_2) | instskip(NEXT) | instid1(VALU_DEP_1)
	v_pk_min_f16 v25, v26, v25
	v_pk_min_f16 v27, v25, v27
	v_lshlrev_b64 v[25:26], 1, v[38:39]
	s_delay_alu instid0(VALU_DEP_2) | instskip(NEXT) | instid1(VALU_DEP_1)
	v_lshrrev_b32_e32 v28, 16, v27
	v_min3_f16 v27, v24, v27, v28
	s_delay_alu instid0(VALU_DEP_3) | instskip(NEXT) | instid1(VALU_DEP_4)
	v_add_co_u32 v24, vcc_lo, v20, v25
	v_add_co_ci_u32_e32 v25, vcc_lo, v21, v26, vcc_lo
	global_store_b16 v[24:25], v27, off
	s_or_b32 exec_lo, exec_lo, s15
	s_and_b32 s16, s4, s8
	s_delay_alu instid0(SALU_CYCLE_1)
	s_and_saveexec_b32 s15, s16
	s_cbranch_execz .LBB263_297
.LBB263_316:
	v_cmp_ne_u32_e32 vcc_lo, 1, v76
	s_cbranch_vccnz .LBB263_318
; %bb.317:
	v_lshlrev_b64 v[24:25], 1, v[40:41]
	s_delay_alu instid0(VALU_DEP_1) | instskip(NEXT) | instid1(VALU_DEP_2)
	v_add_co_u32 v24, vcc_lo, v22, v24
	v_add_co_ci_u32_e32 v25, vcc_lo, v23, v25, vcc_lo
	flat_load_u16 v24, v[24:25]
	s_waitcnt vmcnt(0) lgkmcnt(0)
	v_mul_f16_e32 v24, s24, v24
	s_branch .LBB263_319
.LBB263_318:
	v_mov_b32_e32 v24, 0
.LBB263_319:
	v_pk_add_f16 v25, v8, v4
	v_pk_max_f16 v26, v59, v59
	v_pk_add_f16 v27, v9, v5
	s_delay_alu instid0(VALU_DEP_2) | instskip(NEXT) | instid1(VALU_DEP_1)
	v_pk_min_f16 v25, v26, v25
	v_pk_min_f16 v27, v25, v27
	v_lshlrev_b64 v[25:26], 1, v[40:41]
	s_delay_alu instid0(VALU_DEP_2) | instskip(NEXT) | instid1(VALU_DEP_1)
	v_lshrrev_b32_e32 v28, 16, v27
	v_min3_f16 v27, v24, v27, v28
	s_delay_alu instid0(VALU_DEP_3) | instskip(NEXT) | instid1(VALU_DEP_4)
	v_add_co_u32 v24, vcc_lo, v20, v25
	v_add_co_ci_u32_e32 v25, vcc_lo, v21, v26, vcc_lo
	global_store_b16 v[24:25], v27, off
	s_or_b32 exec_lo, exec_lo, s15
	s_and_b32 s16, s5, s8
	s_delay_alu instid0(SALU_CYCLE_1)
	s_and_saveexec_b32 s15, s16
	s_cbranch_execz .LBB263_298
.LBB263_320:
	v_cmp_ne_u32_e32 vcc_lo, 1, v76
	s_cbranch_vccnz .LBB263_322
; %bb.321:
	v_lshlrev_b64 v[24:25], 1, v[42:43]
	s_delay_alu instid0(VALU_DEP_1) | instskip(NEXT) | instid1(VALU_DEP_2)
	v_add_co_u32 v24, vcc_lo, v22, v24
	v_add_co_ci_u32_e32 v25, vcc_lo, v23, v25, vcc_lo
	flat_load_u16 v24, v[24:25]
	s_waitcnt vmcnt(0) lgkmcnt(0)
	v_mul_f16_e32 v24, s24, v24
	s_branch .LBB263_323
.LBB263_322:
	v_mov_b32_e32 v24, 0
.LBB263_323:
	v_pk_add_f16 v25, v10, v4
	v_pk_max_f16 v26, v58, v58
	v_pk_add_f16 v27, v11, v5
	s_delay_alu instid0(VALU_DEP_2) | instskip(NEXT) | instid1(VALU_DEP_1)
	v_pk_min_f16 v25, v26, v25
	v_pk_min_f16 v27, v25, v27
	v_lshlrev_b64 v[25:26], 1, v[42:43]
	s_delay_alu instid0(VALU_DEP_2) | instskip(NEXT) | instid1(VALU_DEP_1)
	v_lshrrev_b32_e32 v28, 16, v27
	v_min3_f16 v27, v24, v27, v28
	s_delay_alu instid0(VALU_DEP_3) | instskip(NEXT) | instid1(VALU_DEP_4)
	v_add_co_u32 v24, vcc_lo, v20, v25
	v_add_co_ci_u32_e32 v25, vcc_lo, v21, v26, vcc_lo
	global_store_b16 v[24:25], v27, off
	s_or_b32 exec_lo, exec_lo, s15
	s_and_b32 s16, s6, s8
	s_delay_alu instid0(SALU_CYCLE_1)
	s_and_saveexec_b32 s15, s16
	s_cbranch_execz .LBB263_299
.LBB263_324:
	v_cmp_ne_u32_e32 vcc_lo, 1, v76
	s_cbranch_vccnz .LBB263_326
; %bb.325:
	v_lshlrev_b64 v[24:25], 1, v[44:45]
	s_delay_alu instid0(VALU_DEP_1) | instskip(NEXT) | instid1(VALU_DEP_2)
	v_add_co_u32 v24, vcc_lo, v22, v24
	v_add_co_ci_u32_e32 v25, vcc_lo, v23, v25, vcc_lo
	flat_load_u16 v24, v[24:25]
	s_waitcnt vmcnt(0) lgkmcnt(0)
	v_mul_f16_e32 v24, s24, v24
	s_branch .LBB263_327
.LBB263_326:
	v_mov_b32_e32 v24, 0
.LBB263_327:
	v_pk_add_f16 v25, v0, v4
	v_pk_max_f16 v26, v57, v57
	v_pk_add_f16 v27, v1, v5
	s_delay_alu instid0(VALU_DEP_2) | instskip(NEXT) | instid1(VALU_DEP_1)
	v_pk_min_f16 v25, v26, v25
	v_pk_min_f16 v27, v25, v27
	v_lshlrev_b64 v[25:26], 1, v[44:45]
	s_delay_alu instid0(VALU_DEP_2) | instskip(NEXT) | instid1(VALU_DEP_1)
	v_lshrrev_b32_e32 v28, 16, v27
	v_min3_f16 v27, v24, v27, v28
	s_delay_alu instid0(VALU_DEP_3) | instskip(NEXT) | instid1(VALU_DEP_4)
	v_add_co_u32 v24, vcc_lo, v20, v25
	v_add_co_ci_u32_e32 v25, vcc_lo, v21, v26, vcc_lo
	global_store_b16 v[24:25], v27, off
	s_or_b32 exec_lo, exec_lo, s15
	s_and_b32 s15, s7, s8
	s_delay_alu instid0(SALU_CYCLE_1)
	s_and_saveexec_b32 s8, s15
	s_cbranch_execz .LBB263_332
.LBB263_328:
	v_cmp_ne_u32_e32 vcc_lo, 1, v76
	s_cbranch_vccnz .LBB263_330
; %bb.329:
	v_lshlrev_b64 v[24:25], 1, v[46:47]
	s_delay_alu instid0(VALU_DEP_1) | instskip(NEXT) | instid1(VALU_DEP_2)
	v_add_co_u32 v22, vcc_lo, v22, v24
	v_add_co_ci_u32_e32 v23, vcc_lo, v23, v25, vcc_lo
	flat_load_u16 v22, v[22:23]
	s_waitcnt vmcnt(0) lgkmcnt(0)
	v_mul_f16_e32 v22, s24, v22
	s_branch .LBB263_331
.LBB263_330:
	v_mov_b32_e32 v22, 0
.LBB263_331:
	v_pk_add_f16 v4, v2, v4
	v_pk_max_f16 v23, v56, v56
	v_pk_add_f16 v5, v3, v5
	s_delay_alu instid0(VALU_DEP_2) | instskip(NEXT) | instid1(VALU_DEP_1)
	v_pk_min_f16 v4, v23, v4
	v_pk_min_f16 v23, v4, v5
	v_lshlrev_b64 v[4:5], 1, v[46:47]
	s_delay_alu instid0(VALU_DEP_2) | instskip(NEXT) | instid1(VALU_DEP_2)
	v_lshrrev_b32_e32 v24, 16, v23
	v_add_co_u32 v4, vcc_lo, v20, v4
	s_delay_alu instid0(VALU_DEP_3) | instskip(NEXT) | instid1(VALU_DEP_3)
	v_add_co_ci_u32_e32 v5, vcc_lo, v21, v5, vcc_lo
	v_min3_f16 v22, v22, v23, v24
	global_store_b16 v[4:5], v22, off
.LBB263_332:
	s_or_b32 exec_lo, exec_lo, s8
	v_add_nc_u32_e32 v22, 56, v85
	s_delay_alu instid0(VALU_DEP_1) | instskip(SKIP_2) | instid1(VALU_DEP_3)
	v_mad_i64_i32 v[4:5], null, v22, s14, 0
	v_mad_i64_i32 v[20:21], null, v22, s9, 0
	v_cmp_gt_i32_e64 s8, s17, v22
	v_lshlrev_b64 v[4:5], 1, v[4:5]
	s_delay_alu instid0(VALU_DEP_2) | instskip(NEXT) | instid1(VALU_DEP_3)
	s_and_b32 s9, s0, s8
	v_lshlrev_b64 v[20:21], 1, v[20:21]
	s_delay_alu instid0(VALU_DEP_2) | instskip(NEXT) | instid1(VALU_DEP_3)
	v_add_co_u32 v22, vcc_lo, s12, v4
	v_add_co_ci_u32_e32 v23, vcc_lo, s13, v5, vcc_lo
	s_delay_alu instid0(VALU_DEP_3) | instskip(NEXT) | instid1(VALU_DEP_4)
	v_add_co_u32 v20, vcc_lo, s10, v20
	v_add_co_ci_u32_e32 v21, vcc_lo, s11, v21, vcc_lo
	s_and_saveexec_b32 s0, s9
	s_cbranch_execnz .LBB263_341
; %bb.333:
	s_or_b32 exec_lo, exec_lo, s0
	s_and_b32 s1, s1, s8
	s_delay_alu instid0(SALU_CYCLE_1)
	s_and_saveexec_b32 s0, s1
	s_cbranch_execnz .LBB263_345
.LBB263_334:
	s_or_b32 exec_lo, exec_lo, s0
	s_and_b32 s1, s2, s8
	s_delay_alu instid0(SALU_CYCLE_1)
	s_and_saveexec_b32 s0, s1
	s_cbranch_execnz .LBB263_349
.LBB263_335:
	s_or_b32 exec_lo, exec_lo, s0
	s_and_b32 s1, s3, s8
	s_delay_alu instid0(SALU_CYCLE_1)
	s_and_saveexec_b32 s0, s1
	s_cbranch_execnz .LBB263_353
.LBB263_336:
	s_or_b32 exec_lo, exec_lo, s0
	s_and_b32 s1, s4, s8
	s_delay_alu instid0(SALU_CYCLE_1)
	s_and_saveexec_b32 s0, s1
	s_cbranch_execnz .LBB263_357
.LBB263_337:
	s_or_b32 exec_lo, exec_lo, s0
	s_and_b32 s1, s5, s8
	s_delay_alu instid0(SALU_CYCLE_1)
	s_and_saveexec_b32 s0, s1
	s_cbranch_execnz .LBB263_361
.LBB263_338:
	s_or_b32 exec_lo, exec_lo, s0
	s_and_b32 s1, s6, s8
	s_delay_alu instid0(SALU_CYCLE_1)
	s_and_saveexec_b32 s0, s1
	s_cbranch_execnz .LBB263_365
.LBB263_339:
	s_or_b32 exec_lo, exec_lo, s0
	s_and_b32 s0, s7, s8
	s_delay_alu instid0(SALU_CYCLE_1)
	s_and_saveexec_b32 s1, s0
	s_cbranch_execnz .LBB263_369
.LBB263_340:
	s_nop 0
	s_sendmsg sendmsg(MSG_DEALLOC_VGPRS)
	s_endpgm
.LBB263_341:
	v_cmp_ne_u32_e32 vcc_lo, 1, v76
	v_lshlrev_b64 v[4:5], 1, v[32:33]
	s_cbranch_vccnz .LBB263_343
; %bb.342:
	s_delay_alu instid0(VALU_DEP_1) | instskip(NEXT) | instid1(VALU_DEP_2)
	v_add_co_u32 v24, vcc_lo, v22, v4
	v_add_co_ci_u32_e32 v25, vcc_lo, v23, v5, vcc_lo
	flat_load_u16 v24, v[24:25]
	s_waitcnt vmcnt(0) lgkmcnt(0)
	v_mul_f16_e32 v24, s24, v24
	s_branch .LBB263_344
.LBB263_343:
	v_mov_b32_e32 v24, 0
.LBB263_344:
	v_pk_add_f16 v16, v16, v6
	v_pk_max_f16 v25, v54, v54
	v_pk_add_f16 v17, v17, v7
	v_add_co_u32 v4, vcc_lo, v20, v4
	v_add_co_ci_u32_e32 v5, vcc_lo, v21, v5, vcc_lo
	s_delay_alu instid0(VALU_DEP_4) | instskip(NEXT) | instid1(VALU_DEP_1)
	v_pk_min_f16 v16, v25, v16
	v_pk_min_f16 v16, v16, v17
	s_delay_alu instid0(VALU_DEP_1) | instskip(NEXT) | instid1(VALU_DEP_1)
	v_lshrrev_b32_e32 v17, 16, v16
	v_min3_f16 v16, v24, v16, v17
	global_store_b16 v[4:5], v16, off
	s_or_b32 exec_lo, exec_lo, s0
	s_and_b32 s1, s1, s8
	s_delay_alu instid0(SALU_CYCLE_1)
	s_and_saveexec_b32 s0, s1
	s_cbranch_execz .LBB263_334
.LBB263_345:
	v_cmp_ne_u32_e32 vcc_lo, 1, v76
	v_lshlrev_b64 v[4:5], 1, v[34:35]
	s_cbranch_vccnz .LBB263_347
; %bb.346:
	s_delay_alu instid0(VALU_DEP_1) | instskip(NEXT) | instid1(VALU_DEP_2)
	v_add_co_u32 v16, vcc_lo, v22, v4
	v_add_co_ci_u32_e32 v17, vcc_lo, v23, v5, vcc_lo
	flat_load_u16 v16, v[16:17]
	s_waitcnt vmcnt(0) lgkmcnt(0)
	v_mul_f16_e32 v16, s24, v16
	s_branch .LBB263_348
.LBB263_347:
	v_mov_b32_e32 v16, 0
.LBB263_348:
	v_pk_add_f16 v17, v18, v6
	v_pk_max_f16 v18, v52, v52
	v_pk_add_f16 v19, v19, v7
	v_add_co_u32 v4, vcc_lo, v20, v4
	v_add_co_ci_u32_e32 v5, vcc_lo, v21, v5, vcc_lo
	s_delay_alu instid0(VALU_DEP_4) | instskip(NEXT) | instid1(VALU_DEP_1)
	v_pk_min_f16 v17, v18, v17
	v_pk_min_f16 v17, v17, v19
	s_delay_alu instid0(VALU_DEP_1) | instskip(NEXT) | instid1(VALU_DEP_1)
	v_lshrrev_b32_e32 v18, 16, v17
	v_min3_f16 v16, v16, v17, v18
	global_store_b16 v[4:5], v16, off
	s_or_b32 exec_lo, exec_lo, s0
	s_and_b32 s1, s2, s8
	s_delay_alu instid0(SALU_CYCLE_1)
	s_and_saveexec_b32 s0, s1
	s_cbranch_execz .LBB263_335
.LBB263_349:
	v_cmp_ne_u32_e32 vcc_lo, 1, v76
	v_lshlrev_b64 v[4:5], 1, v[36:37]
	s_cbranch_vccnz .LBB263_351
; %bb.350:
	s_delay_alu instid0(VALU_DEP_1) | instskip(NEXT) | instid1(VALU_DEP_2)
	v_add_co_u32 v16, vcc_lo, v22, v4
	v_add_co_ci_u32_e32 v17, vcc_lo, v23, v5, vcc_lo
	flat_load_u16 v16, v[16:17]
	s_waitcnt vmcnt(0) lgkmcnt(0)
	v_mul_f16_e32 v16, s24, v16
	s_branch .LBB263_352
.LBB263_351:
	v_mov_b32_e32 v16, 0
.LBB263_352:
	v_pk_add_f16 v12, v12, v6
	v_pk_max_f16 v17, v50, v50
	v_pk_add_f16 v13, v13, v7
	v_add_co_u32 v4, vcc_lo, v20, v4
	v_add_co_ci_u32_e32 v5, vcc_lo, v21, v5, vcc_lo
	s_delay_alu instid0(VALU_DEP_4) | instskip(NEXT) | instid1(VALU_DEP_1)
	v_pk_min_f16 v12, v17, v12
	v_pk_min_f16 v12, v12, v13
	s_delay_alu instid0(VALU_DEP_1) | instskip(NEXT) | instid1(VALU_DEP_1)
	v_lshrrev_b32_e32 v13, 16, v12
	v_min3_f16 v12, v16, v12, v13
	global_store_b16 v[4:5], v12, off
	s_or_b32 exec_lo, exec_lo, s0
	s_and_b32 s1, s3, s8
	s_delay_alu instid0(SALU_CYCLE_1)
	s_and_saveexec_b32 s0, s1
	s_cbranch_execz .LBB263_336
.LBB263_353:
	v_cmp_ne_u32_e32 vcc_lo, 1, v76
	v_lshlrev_b64 v[4:5], 1, v[38:39]
	s_cbranch_vccnz .LBB263_355
; %bb.354:
	s_delay_alu instid0(VALU_DEP_1) | instskip(NEXT) | instid1(VALU_DEP_2)
	v_add_co_u32 v12, vcc_lo, v22, v4
	v_add_co_ci_u32_e32 v13, vcc_lo, v23, v5, vcc_lo
	flat_load_u16 v12, v[12:13]
	s_waitcnt vmcnt(0) lgkmcnt(0)
	v_mul_f16_e32 v12, s24, v12
	s_branch .LBB263_356
.LBB263_355:
	v_mov_b32_e32 v12, 0
.LBB263_356:
	v_pk_add_f16 v13, v14, v6
	v_pk_max_f16 v14, v55, v55
	v_pk_add_f16 v15, v15, v7
	v_add_co_u32 v4, vcc_lo, v20, v4
	v_add_co_ci_u32_e32 v5, vcc_lo, v21, v5, vcc_lo
	s_delay_alu instid0(VALU_DEP_4) | instskip(NEXT) | instid1(VALU_DEP_1)
	v_pk_min_f16 v13, v14, v13
	v_pk_min_f16 v13, v13, v15
	s_delay_alu instid0(VALU_DEP_1) | instskip(NEXT) | instid1(VALU_DEP_1)
	v_lshrrev_b32_e32 v14, 16, v13
	v_min3_f16 v12, v12, v13, v14
	global_store_b16 v[4:5], v12, off
	s_or_b32 exec_lo, exec_lo, s0
	s_and_b32 s1, s4, s8
	s_delay_alu instid0(SALU_CYCLE_1)
	s_and_saveexec_b32 s0, s1
	s_cbranch_execz .LBB263_337
.LBB263_357:
	v_cmp_ne_u32_e32 vcc_lo, 1, v76
	v_lshlrev_b64 v[4:5], 1, v[40:41]
	s_cbranch_vccnz .LBB263_359
; %bb.358:
	s_delay_alu instid0(VALU_DEP_1) | instskip(NEXT) | instid1(VALU_DEP_2)
	v_add_co_u32 v12, vcc_lo, v22, v4
	v_add_co_ci_u32_e32 v13, vcc_lo, v23, v5, vcc_lo
	flat_load_u16 v12, v[12:13]
	s_waitcnt vmcnt(0) lgkmcnt(0)
	v_mul_f16_e32 v12, s24, v12
	s_branch .LBB263_360
.LBB263_359:
	v_mov_b32_e32 v12, 0
.LBB263_360:
	v_pk_add_f16 v8, v8, v6
	v_pk_max_f16 v13, v53, v53
	v_pk_add_f16 v9, v9, v7
	v_add_co_u32 v4, vcc_lo, v20, v4
	v_add_co_ci_u32_e32 v5, vcc_lo, v21, v5, vcc_lo
	s_delay_alu instid0(VALU_DEP_4) | instskip(NEXT) | instid1(VALU_DEP_1)
	v_pk_min_f16 v8, v13, v8
	v_pk_min_f16 v8, v8, v9
	s_delay_alu instid0(VALU_DEP_1) | instskip(NEXT) | instid1(VALU_DEP_1)
	v_lshrrev_b32_e32 v9, 16, v8
	v_min3_f16 v8, v12, v8, v9
	global_store_b16 v[4:5], v8, off
	s_or_b32 exec_lo, exec_lo, s0
	s_and_b32 s1, s5, s8
	s_delay_alu instid0(SALU_CYCLE_1)
	s_and_saveexec_b32 s0, s1
	s_cbranch_execz .LBB263_338
.LBB263_361:
	v_cmp_ne_u32_e32 vcc_lo, 1, v76
	v_lshlrev_b64 v[4:5], 1, v[42:43]
	s_cbranch_vccnz .LBB263_363
; %bb.362:
	s_delay_alu instid0(VALU_DEP_1) | instskip(NEXT) | instid1(VALU_DEP_2)
	v_add_co_u32 v8, vcc_lo, v22, v4
	v_add_co_ci_u32_e32 v9, vcc_lo, v23, v5, vcc_lo
	flat_load_u16 v8, v[8:9]
	s_waitcnt vmcnt(0) lgkmcnt(0)
	v_mul_f16_e32 v8, s24, v8
	s_branch .LBB263_364
.LBB263_363:
	v_mov_b32_e32 v8, 0
.LBB263_364:
	v_pk_add_f16 v9, v10, v6
	v_pk_max_f16 v10, v51, v51
	v_pk_add_f16 v11, v11, v7
	v_add_co_u32 v4, vcc_lo, v20, v4
	v_add_co_ci_u32_e32 v5, vcc_lo, v21, v5, vcc_lo
	s_delay_alu instid0(VALU_DEP_4) | instskip(NEXT) | instid1(VALU_DEP_1)
	v_pk_min_f16 v9, v10, v9
	v_pk_min_f16 v9, v9, v11
	s_delay_alu instid0(VALU_DEP_1) | instskip(NEXT) | instid1(VALU_DEP_1)
	v_lshrrev_b32_e32 v10, 16, v9
	v_min3_f16 v8, v8, v9, v10
	global_store_b16 v[4:5], v8, off
	s_or_b32 exec_lo, exec_lo, s0
	s_and_b32 s1, s6, s8
	s_delay_alu instid0(SALU_CYCLE_1)
	s_and_saveexec_b32 s0, s1
	s_cbranch_execz .LBB263_339
.LBB263_365:
	v_cmp_ne_u32_e32 vcc_lo, 1, v76
	v_lshlrev_b64 v[4:5], 1, v[44:45]
	s_cbranch_vccnz .LBB263_367
; %bb.366:
	s_delay_alu instid0(VALU_DEP_1) | instskip(NEXT) | instid1(VALU_DEP_2)
	v_add_co_u32 v8, vcc_lo, v22, v4
	v_add_co_ci_u32_e32 v9, vcc_lo, v23, v5, vcc_lo
	flat_load_u16 v8, v[8:9]
	s_waitcnt vmcnt(0) lgkmcnt(0)
	v_mul_f16_e32 v8, s24, v8
	s_branch .LBB263_368
.LBB263_367:
	v_mov_b32_e32 v8, 0
.LBB263_368:
	v_pk_add_f16 v0, v0, v6
	v_pk_max_f16 v9, v49, v49
	v_pk_add_f16 v1, v1, v7
	s_delay_alu instid0(VALU_DEP_2) | instskip(NEXT) | instid1(VALU_DEP_1)
	v_pk_min_f16 v0, v9, v0
	v_pk_min_f16 v0, v0, v1
	s_delay_alu instid0(VALU_DEP_1) | instskip(NEXT) | instid1(VALU_DEP_1)
	v_lshrrev_b32_e32 v1, 16, v0
	v_min3_f16 v8, v8, v0, v1
	v_add_co_u32 v0, vcc_lo, v20, v4
	v_add_co_ci_u32_e32 v1, vcc_lo, v21, v5, vcc_lo
	global_store_b16 v[0:1], v8, off
	s_or_b32 exec_lo, exec_lo, s0
	s_and_b32 s0, s7, s8
	s_delay_alu instid0(SALU_CYCLE_1)
	s_and_saveexec_b32 s1, s0
	s_cbranch_execz .LBB263_340
.LBB263_369:
	v_cmp_ne_u32_e32 vcc_lo, 1, v76
	v_lshlrev_b64 v[0:1], 1, v[46:47]
	s_cbranch_vccnz .LBB263_371
; %bb.370:
	s_delay_alu instid0(VALU_DEP_1) | instskip(NEXT) | instid1(VALU_DEP_2)
	v_add_co_u32 v4, vcc_lo, v22, v0
	v_add_co_ci_u32_e32 v5, vcc_lo, v23, v1, vcc_lo
	flat_load_u16 v4, v[4:5]
	s_waitcnt vmcnt(0) lgkmcnt(0)
	v_mul_f16_e32 v4, s24, v4
	s_branch .LBB263_372
.LBB263_371:
	v_mov_b32_e32 v4, 0
.LBB263_372:
	v_pk_add_f16 v2, v2, v6
	v_pk_max_f16 v5, v48, v48
	v_pk_add_f16 v3, v3, v7
	v_add_co_u32 v0, vcc_lo, v20, v0
	v_add_co_ci_u32_e32 v1, vcc_lo, v21, v1, vcc_lo
	s_delay_alu instid0(VALU_DEP_4) | instskip(NEXT) | instid1(VALU_DEP_1)
	v_pk_min_f16 v2, v5, v2
	v_pk_min_f16 v2, v2, v3
	s_delay_alu instid0(VALU_DEP_1) | instskip(NEXT) | instid1(VALU_DEP_1)
	v_lshrrev_b32_e32 v3, 16, v2
	v_min3_f16 v2, v4, v2, v3
	global_store_b16 v[0:1], v2, off
	s_nop 0
	s_sendmsg sendmsg(MSG_DEALLOC_VGPRS)
	s_endpgm
	.section	.rodata,"a",@progbits
	.p2align	6, 0x0
	.amdhsa_kernel _ZN12_GLOBAL__N_120geam_min_plus_kernelIDF16_Dv2_DF16_S1_Li32ELi8ELi256ELi64ELi4ELi64ELi4ELi4ELi64ELc78ELc78ELb0ELb1ELb1EDF16_KDF16_DF16_EEviiiT16_PT17_ilS5_ilS3_S5_ilPT18_ili26rocblas_geam_ex_operation_
		.amdhsa_group_segment_fixed_size 5120
		.amdhsa_private_segment_fixed_size 0
		.amdhsa_kernarg_size 128
		.amdhsa_user_sgpr_count 14
		.amdhsa_user_sgpr_dispatch_ptr 0
		.amdhsa_user_sgpr_queue_ptr 0
		.amdhsa_user_sgpr_kernarg_segment_ptr 1
		.amdhsa_user_sgpr_dispatch_id 0
		.amdhsa_user_sgpr_private_segment_size 0
		.amdhsa_wavefront_size32 1
		.amdhsa_uses_dynamic_stack 0
		.amdhsa_enable_private_segment 0
		.amdhsa_system_sgpr_workgroup_id_x 1
		.amdhsa_system_sgpr_workgroup_id_y 0
		.amdhsa_system_sgpr_workgroup_id_z 1
		.amdhsa_system_sgpr_workgroup_info 0
		.amdhsa_system_vgpr_workitem_id 1
		.amdhsa_next_free_vgpr 154
		.amdhsa_next_free_sgpr 31
		.amdhsa_reserve_vcc 1
		.amdhsa_float_round_mode_32 0
		.amdhsa_float_round_mode_16_64 0
		.amdhsa_float_denorm_mode_32 3
		.amdhsa_float_denorm_mode_16_64 3
		.amdhsa_dx10_clamp 1
		.amdhsa_ieee_mode 1
		.amdhsa_fp16_overflow 0
		.amdhsa_workgroup_processor_mode 1
		.amdhsa_memory_ordered 1
		.amdhsa_forward_progress 0
		.amdhsa_shared_vgpr_count 0
		.amdhsa_exception_fp_ieee_invalid_op 0
		.amdhsa_exception_fp_denorm_src 0
		.amdhsa_exception_fp_ieee_div_zero 0
		.amdhsa_exception_fp_ieee_overflow 0
		.amdhsa_exception_fp_ieee_underflow 0
		.amdhsa_exception_fp_ieee_inexact 0
		.amdhsa_exception_int_div_zero 0
	.end_amdhsa_kernel
	.section	.text._ZN12_GLOBAL__N_120geam_min_plus_kernelIDF16_Dv2_DF16_S1_Li32ELi8ELi256ELi64ELi4ELi64ELi4ELi4ELi64ELc78ELc78ELb0ELb1ELb1EDF16_KDF16_DF16_EEviiiT16_PT17_ilS5_ilS3_S5_ilPT18_ili26rocblas_geam_ex_operation_,"axG",@progbits,_ZN12_GLOBAL__N_120geam_min_plus_kernelIDF16_Dv2_DF16_S1_Li32ELi8ELi256ELi64ELi4ELi64ELi4ELi4ELi64ELc78ELc78ELb0ELb1ELb1EDF16_KDF16_DF16_EEviiiT16_PT17_ilS5_ilS3_S5_ilPT18_ili26rocblas_geam_ex_operation_,comdat
.Lfunc_end263:
	.size	_ZN12_GLOBAL__N_120geam_min_plus_kernelIDF16_Dv2_DF16_S1_Li32ELi8ELi256ELi64ELi4ELi64ELi4ELi4ELi64ELc78ELc78ELb0ELb1ELb1EDF16_KDF16_DF16_EEviiiT16_PT17_ilS5_ilS3_S5_ilPT18_ili26rocblas_geam_ex_operation_, .Lfunc_end263-_ZN12_GLOBAL__N_120geam_min_plus_kernelIDF16_Dv2_DF16_S1_Li32ELi8ELi256ELi64ELi4ELi64ELi4ELi4ELi64ELc78ELc78ELb0ELb1ELb1EDF16_KDF16_DF16_EEviiiT16_PT17_ilS5_ilS3_S5_ilPT18_ili26rocblas_geam_ex_operation_
                                        ; -- End function
	.section	.AMDGPU.csdata,"",@progbits
; Kernel info:
; codeLenInByte = 23432
; NumSgprs: 33
; NumVgprs: 154
; ScratchSize: 0
; MemoryBound: 0
; FloatMode: 240
; IeeeMode: 1
; LDSByteSize: 5120 bytes/workgroup (compile time only)
; SGPRBlocks: 4
; VGPRBlocks: 19
; NumSGPRsForWavesPerEU: 33
; NumVGPRsForWavesPerEU: 154
; Occupancy: 9
; WaveLimiterHint : 0
; COMPUTE_PGM_RSRC2:SCRATCH_EN: 0
; COMPUTE_PGM_RSRC2:USER_SGPR: 14
; COMPUTE_PGM_RSRC2:TRAP_HANDLER: 0
; COMPUTE_PGM_RSRC2:TGID_X_EN: 1
; COMPUTE_PGM_RSRC2:TGID_Y_EN: 0
; COMPUTE_PGM_RSRC2:TGID_Z_EN: 1
; COMPUTE_PGM_RSRC2:TIDIG_COMP_CNT: 1
	.section	.text._ZN12_GLOBAL__N_120geam_min_plus_kernelIDF16_Dv2_DF16_S1_Li32ELi8ELi128ELi128ELi4ELi4ELi64ELi4ELi64ELc84ELc78ELb0ELb0ELb1EPKDF16_S2_DF16_EEviiiT16_PT17_ilS6_ilS4_S6_ilPT18_ili26rocblas_geam_ex_operation_,"axG",@progbits,_ZN12_GLOBAL__N_120geam_min_plus_kernelIDF16_Dv2_DF16_S1_Li32ELi8ELi128ELi128ELi4ELi4ELi64ELi4ELi64ELc84ELc78ELb0ELb0ELb1EPKDF16_S2_DF16_EEviiiT16_PT17_ilS6_ilS4_S6_ilPT18_ili26rocblas_geam_ex_operation_,comdat
	.globl	_ZN12_GLOBAL__N_120geam_min_plus_kernelIDF16_Dv2_DF16_S1_Li32ELi8ELi128ELi128ELi4ELi4ELi64ELi4ELi64ELc84ELc78ELb0ELb0ELb1EPKDF16_S2_DF16_EEviiiT16_PT17_ilS6_ilS4_S6_ilPT18_ili26rocblas_geam_ex_operation_ ; -- Begin function _ZN12_GLOBAL__N_120geam_min_plus_kernelIDF16_Dv2_DF16_S1_Li32ELi8ELi128ELi128ELi4ELi4ELi64ELi4ELi64ELc84ELc78ELb0ELb0ELb1EPKDF16_S2_DF16_EEviiiT16_PT17_ilS6_ilS4_S6_ilPT18_ili26rocblas_geam_ex_operation_
	.p2align	8
	.type	_ZN12_GLOBAL__N_120geam_min_plus_kernelIDF16_Dv2_DF16_S1_Li32ELi8ELi128ELi128ELi4ELi4ELi64ELi4ELi64ELc84ELc78ELb0ELb0ELb1EPKDF16_S2_DF16_EEviiiT16_PT17_ilS6_ilS4_S6_ilPT18_ili26rocblas_geam_ex_operation_,@function
_ZN12_GLOBAL__N_120geam_min_plus_kernelIDF16_Dv2_DF16_S1_Li32ELi8ELi128ELi128ELi4ELi4ELi64ELi4ELi64ELc84ELc78ELb0ELb0ELb1EPKDF16_S2_DF16_EEviiiT16_PT17_ilS6_ilS4_S6_ilPT18_ili26rocblas_geam_ex_operation_: ; @_ZN12_GLOBAL__N_120geam_min_plus_kernelIDF16_Dv2_DF16_S1_Li32ELi8ELi128ELi128ELi4ELi4ELi64ELi4ELi64ELc84ELc78ELb0ELb0ELb1EPKDF16_S2_DF16_EEviiiT16_PT17_ilS6_ilS4_S6_ilPT18_ili26rocblas_geam_ex_operation_
; %bb.0:
	s_clause 0x1
	s_load_b128 s[4:7], s[0:1], 0x10
	s_load_b128 s[8:11], s[0:1], 0x28
	s_mov_b32 s12, s15
	s_mov_b32 s13, 0
	v_mov_b32_e32 v1, 0
	s_lshl_b64 s[2:3], s[12:13], 1
	s_mov_b64 s[20:21], 0
	s_waitcnt lgkmcnt(0)
	s_add_u32 s4, s4, s2
	s_addc_u32 s5, s5, s3
	global_load_u16 v42, v1, s[4:5]
	s_clause 0x1
	s_load_b128 s[16:19], s[0:1], 0x40
	s_load_b64 s[22:23], s[0:1], 0x50
	s_waitcnt lgkmcnt(0)
	s_add_u32 s2, s18, s2
	s_addc_u32 s3, s19, s3
	s_mov_b64 s[18:19], 0
	s_waitcnt vmcnt(0)
	v_cmp_eq_f16_e32 vcc_lo, 0, v42
	v_cmp_neq_f16_e64 s4, 0, v42
	s_cbranch_vccnz .LBB264_2
; %bb.1:
	s_mul_i32 s5, s12, s9
	s_mul_hi_u32 s9, s12, s8
	s_mul_i32 s8, s12, s8
	s_add_i32 s9, s9, s5
	s_delay_alu instid0(SALU_CYCLE_1) | instskip(NEXT) | instid1(SALU_CYCLE_1)
	s_lshl_b64 s[8:9], s[8:9], 1
	s_add_u32 s18, s6, s8
	s_addc_u32 s19, s7, s9
.LBB264_2:
	global_load_u16 v48, v1, s[2:3]
	v_cndmask_b32_e64 v1, 0, 1, s4
	s_and_not1_b32 vcc_lo, exec_lo, s4
	s_delay_alu instid0(VALU_DEP_1)
	v_cmp_ne_u32_e64 s3, 1, v1
	s_cbranch_vccnz .LBB264_4
; %bb.3:
	s_mul_i32 s2, s12, s17
	s_mul_hi_u32 s5, s12, s16
	s_mul_i32 s6, s12, s16
	s_add_i32 s7, s5, s2
	s_delay_alu instid0(SALU_CYCLE_1) | instskip(NEXT) | instid1(SALU_CYCLE_1)
	s_lshl_b64 s[6:7], s[6:7], 1
	s_add_u32 s20, s10, s6
	s_addc_u32 s21, s11, s7
.LBB264_4:
	s_load_b128 s[8:11], s[0:1], 0x60
	s_waitcnt vmcnt(0)
	v_cmp_eq_f16_e32 vcc_lo, 0, v48
	s_and_b32 s2, exec_lo, vcc_lo
	s_delay_alu instid0(SALU_CYCLE_1)
	s_mov_b32 vcc_lo, s2
	s_cbranch_vccnz .LBB264_6
; %bb.5:
	s_waitcnt lgkmcnt(0)
	s_mul_i32 s5, s12, s9
	s_mul_hi_u32 s6, s12, s8
	s_delay_alu instid0(SALU_CYCLE_1) | instskip(SKIP_1) | instid1(SALU_CYCLE_1)
	s_add_i32 s7, s6, s5
	s_mul_i32 s6, s12, s8
	s_lshl_b64 s[6:7], s[6:7], 1
	s_delay_alu instid0(SALU_CYCLE_1)
	s_add_u32 s6, s22, s6
	s_addc_u32 s7, s23, s7
	s_branch .LBB264_7
.LBB264_6:
	s_mov_b64 s[6:7], 0
.LBB264_7:
	s_waitcnt lgkmcnt(0)
	s_clause 0x1
	s_load_b32 s8, s[0:1], 0x0
	s_load_b32 s5, s[0:1], 0x20
	v_and_b32_e32 v40, 0x3ff, v0
	v_bfe_u32 v41, v0, 10, 10
	s_delay_alu instid0(VALU_DEP_1) | instskip(NEXT) | instid1(VALU_DEP_1)
	v_lshl_add_u32 v0, v41, 5, v40
	v_lshrrev_b32_e32 v8, 2, v0
	s_waitcnt lgkmcnt(0)
	s_add_i32 s8, s8, -1
	s_delay_alu instid0(SALU_CYCLE_1) | instskip(NEXT) | instid1(SALU_CYCLE_1)
	s_ashr_i32 s9, s8, 31
	s_lshr_b32 s9, s9, 25
	s_delay_alu instid0(SALU_CYCLE_1) | instskip(NEXT) | instid1(SALU_CYCLE_1)
	s_add_i32 s8, s8, s9
	s_ashr_i32 s8, s8, 7
	s_delay_alu instid0(SALU_CYCLE_1) | instskip(SKIP_2) | instid1(VALU_DEP_1)
	s_add_i32 s13, s8, 1
	s_not_b32 s8, s8
	v_cvt_f32_u32_e32 v1, s13
	v_rcp_iflag_f32_e32 v1, v1
	s_waitcnt_depctr 0xfff
	v_mul_f32_e32 v1, 0x4f7ffffe, v1
	s_delay_alu instid0(VALU_DEP_1) | instskip(NEXT) | instid1(VALU_DEP_1)
	v_cvt_u32_f32_e32 v1, v1
	v_readfirstlane_b32 s9, v1
	v_and_b32_e32 v1, 3, v40
	s_delay_alu instid0(VALU_DEP_2) | instskip(NEXT) | instid1(VALU_DEP_1)
	s_mul_i32 s8, s8, s9
	v_lshlrev_b32_e32 v44, 1, v1
	s_mul_hi_u32 s8, s9, s8
	s_delay_alu instid0(SALU_CYCLE_1) | instskip(NEXT) | instid1(SALU_CYCLE_1)
	s_add_i32 s9, s9, s8
	s_mul_hi_u32 s8, s14, s9
	s_delay_alu instid0(SALU_CYCLE_1) | instskip(SKIP_2) | instid1(SALU_CYCLE_1)
	s_mul_i32 s9, s8, s13
	s_add_i32 s15, s8, 1
	s_sub_i32 s9, s14, s9
	s_sub_i32 s16, s9, s13
	s_cmp_ge_u32 s9, s13
	s_cselect_b32 s8, s15, s8
	s_cselect_b32 s9, s16, s9
	s_add_i32 s15, s8, 1
	s_cmp_ge_u32 s9, s13
	s_cselect_b32 s9, s15, s8
	s_and_b32 vcc_lo, exec_lo, s3
	s_mul_i32 s8, s9, s13
	s_delay_alu instid0(SALU_CYCLE_1) | instskip(NEXT) | instid1(SALU_CYCLE_1)
	s_sub_i32 s8, s14, s8
	s_lshl_b32 s8, s8, 7
	s_delay_alu instid0(SALU_CYCLE_1) | instskip(NEXT) | instid1(VALU_DEP_1)
	v_add_nc_u32_e32 v0, s8, v8
	v_add_nc_u32_e32 v1, 64, v0
	s_cbranch_vccnz .LBB264_9
; %bb.8:
	v_mad_i64_i32 v[2:3], null, v0, s5, 0
	s_delay_alu instid0(VALU_DEP_2) | instskip(SKIP_1) | instid1(VALU_DEP_1)
	v_mad_i64_i32 v[4:5], null, v1, s5, 0
	v_add_co_u32 v6, s13, s18, v44
	v_add_co_ci_u32_e64 v7, null, s19, 0, s13
	s_delay_alu instid0(VALU_DEP_4) | instskip(NEXT) | instid1(VALU_DEP_4)
	v_lshlrev_b64 v[2:3], 1, v[2:3]
	v_lshlrev_b64 v[4:5], 1, v[4:5]
	s_delay_alu instid0(VALU_DEP_2) | instskip(NEXT) | instid1(VALU_DEP_3)
	v_add_co_u32 v2, vcc_lo, v6, v2
	v_add_co_ci_u32_e32 v3, vcc_lo, v7, v3, vcc_lo
	s_delay_alu instid0(VALU_DEP_3) | instskip(NEXT) | instid1(VALU_DEP_4)
	v_add_co_u32 v4, vcc_lo, v6, v4
	v_add_co_ci_u32_e32 v5, vcc_lo, v7, v5, vcc_lo
	s_clause 0x1
	flat_load_u16 v2, v[2:3]
	flat_load_u16 v3, v[4:5]
	s_waitcnt vmcnt(1) lgkmcnt(1)
	v_mul_f16_e32 v9, v42, v2
	s_waitcnt vmcnt(0) lgkmcnt(0)
	v_mul_f16_e32 v10, v42, v3
	s_branch .LBB264_10
.LBB264_9:
	v_dual_mov_b32 v9, 0 :: v_dual_mov_b32 v10, 0
.LBB264_10:
	s_load_b32 s13, s[0:1], 0x38
	s_lshl_b32 s9, s9, 7
	s_and_b32 vcc_lo, exec_lo, s3
	v_add_nc_u32_e32 v2, s9, v8
	s_delay_alu instid0(VALU_DEP_1)
	v_add_nc_u32_e32 v3, 64, v2
	s_cbranch_vccnz .LBB264_14
; %bb.11:
	s_waitcnt lgkmcnt(0)
	v_mad_i64_i32 v[4:5], null, v2, s13, 0
	s_delay_alu instid0(VALU_DEP_2) | instskip(SKIP_1) | instid1(VALU_DEP_1)
	v_mad_i64_i32 v[6:7], null, v3, s13, 0
	v_add_co_u32 v11, s14, s20, v44
	v_add_co_ci_u32_e64 v12, null, s21, 0, s14
	s_delay_alu instid0(VALU_DEP_4) | instskip(NEXT) | instid1(VALU_DEP_4)
	v_lshlrev_b64 v[4:5], 1, v[4:5]
	v_lshlrev_b64 v[6:7], 1, v[6:7]
	s_delay_alu instid0(VALU_DEP_2) | instskip(NEXT) | instid1(VALU_DEP_3)
	v_add_co_u32 v4, vcc_lo, v11, v4
	v_add_co_ci_u32_e32 v5, vcc_lo, v12, v5, vcc_lo
	s_delay_alu instid0(VALU_DEP_3) | instskip(NEXT) | instid1(VALU_DEP_4)
	v_add_co_u32 v6, vcc_lo, v11, v6
	v_add_co_ci_u32_e32 v7, vcc_lo, v12, v7, vcc_lo
	s_clause 0x1
	flat_load_u16 v4, v[4:5]
	flat_load_u16 v5, v[6:7]
	s_waitcnt vmcnt(1) lgkmcnt(1)
	v_mul_f16_e32 v11, v42, v4
	s_waitcnt vmcnt(0) lgkmcnt(0)
	v_mul_f16_e32 v12, v42, v5
	s_and_b32 vcc_lo, exec_lo, s3
	s_cbranch_vccnz .LBB264_15
.LBB264_12:
	v_mad_i64_i32 v[4:5], null, v0, s5, 0
	v_mad_i64_i32 v[6:7], null, v1, s5, 0
	v_add_co_u32 v13, s14, s18, v44
	s_delay_alu instid0(VALU_DEP_1) | instskip(NEXT) | instid1(VALU_DEP_4)
	v_add_co_ci_u32_e64 v14, null, s19, 0, s14
	v_lshlrev_b64 v[4:5], 1, v[4:5]
	s_delay_alu instid0(VALU_DEP_4) | instskip(NEXT) | instid1(VALU_DEP_2)
	v_lshlrev_b64 v[6:7], 1, v[6:7]
	v_add_co_u32 v4, vcc_lo, v13, v4
	s_delay_alu instid0(VALU_DEP_3) | instskip(NEXT) | instid1(VALU_DEP_3)
	v_add_co_ci_u32_e32 v5, vcc_lo, v14, v5, vcc_lo
	v_add_co_u32 v6, vcc_lo, v13, v6
	s_delay_alu instid0(VALU_DEP_4)
	v_add_co_ci_u32_e32 v7, vcc_lo, v14, v7, vcc_lo
	s_clause 0x1
	flat_load_u16 v4, v[4:5] offset:8
	flat_load_u16 v5, v[6:7] offset:8
	s_waitcnt vmcnt(1) lgkmcnt(0)
	v_mul_f16_e32 v4, v42, v4
	s_waitcnt vmcnt(0)
	v_mul_f16_e32 v5, v42, v5
	s_and_b32 vcc_lo, exec_lo, s3
	s_cbranch_vccnz .LBB264_16
.LBB264_13:
	s_waitcnt lgkmcnt(0)
	v_mad_i64_i32 v[6:7], null, v2, s13, 0
	v_mad_i64_i32 v[13:14], null, v3, s13, 0
	v_add_co_u32 v15, s14, s20, v44
	s_delay_alu instid0(VALU_DEP_1) | instskip(NEXT) | instid1(VALU_DEP_4)
	v_add_co_ci_u32_e64 v16, null, s21, 0, s14
	v_lshlrev_b64 v[6:7], 1, v[6:7]
	s_delay_alu instid0(VALU_DEP_4) | instskip(NEXT) | instid1(VALU_DEP_2)
	v_lshlrev_b64 v[13:14], 1, v[13:14]
	v_add_co_u32 v6, vcc_lo, v15, v6
	s_delay_alu instid0(VALU_DEP_3) | instskip(NEXT) | instid1(VALU_DEP_3)
	v_add_co_ci_u32_e32 v7, vcc_lo, v16, v7, vcc_lo
	v_add_co_u32 v13, vcc_lo, v15, v13
	s_delay_alu instid0(VALU_DEP_4)
	v_add_co_ci_u32_e32 v14, vcc_lo, v16, v14, vcc_lo
	s_clause 0x1
	flat_load_u16 v6, v[6:7] offset:8
	flat_load_u16 v7, v[13:14] offset:8
	s_waitcnt vmcnt(1) lgkmcnt(1)
	v_mul_f16_e32 v6, v42, v6
	s_waitcnt vmcnt(0) lgkmcnt(0)
	v_mul_f16_e32 v7, v42, v7
	s_branch .LBB264_17
.LBB264_14:
	v_dual_mov_b32 v11, 0 :: v_dual_mov_b32 v12, 0
	s_and_b32 vcc_lo, exec_lo, s3
	s_cbranch_vccz .LBB264_12
.LBB264_15:
	v_dual_mov_b32 v4, 0 :: v_dual_mov_b32 v5, 0
	s_and_b32 vcc_lo, exec_lo, s3
	s_cbranch_vccz .LBB264_13
.LBB264_16:
	v_dual_mov_b32 v6, 0 :: v_dual_mov_b32 v7, 0
.LBB264_17:
	v_lshlrev_b32_e32 v43, 3, v41
	v_lshl_or_b32 v45, v8, 3, v44
	v_lshlrev_b32_e32 v87, 3, v40
	s_load_b32 s14, s[0:1], 0x8
	ds_store_b16 v45, v9
	ds_store_b16 v45, v10 offset:512
	ds_store_b16 v45, v11 offset:2048
	;; [unrolled: 1-line block ×3, first 2 shown]
	v_add_nc_u32_e32 v46, 0x800, v43
	s_waitcnt lgkmcnt(0)
	s_barrier
	buffer_gl0_inv
	ds_load_2addr_b64 v[8:11], v87 offset1:32
	ds_load_2addr_b64 v[12:15], v46 offset1:8
	ds_load_2addr_b64 v[16:19], v87 offset0:64 offset1:96
	ds_load_2addr_b64 v[20:23], v46 offset0:16 offset1:24
	;; [unrolled: 1-line block ×7, first 2 shown]
	s_cmp_lt_i32 s14, 9
	s_waitcnt lgkmcnt(4)
	v_pk_add_f16 v64, v8, v24
	v_pk_add_f16 v47, v8, v12
	;; [unrolled: 1-line block ×10, first 2 shown]
	v_pk_min_f16 v12, 0x7c00, v12 op_sel_hi:[0,1]
	v_pk_add_f16 v81, v9, v13
	v_pk_add_f16 v82, v11, v13
	;; [unrolled: 1-line block ×5, first 2 shown]
	v_pk_min_f16 v14, 0x7c00, v14 op_sel_hi:[0,1]
	v_pk_min_f16 v58, 0x7c00, v58 op_sel_hi:[0,1]
	v_pk_add_f16 v60, v16, v20
	v_pk_add_f16 v20, v18, v20
	;; [unrolled: 1-line block ×6, first 2 shown]
	v_pk_min_f16 v122, v12, v13
	v_pk_add_f16 v12, v9, v21
	v_pk_min_f16 v59, 0x7c00, v59 op_sel_hi:[0,1]
	v_pk_add_f16 v61, v8, v22
	v_pk_add_f16 v62, v10, v22
	;; [unrolled: 1-line block ×3, first 2 shown]
	v_pk_min_f16 v60, 0x7c00, v60 op_sel_hi:[0,1]
	v_pk_min_f16 v20, 0x7c00, v20 op_sel_hi:[0,1]
	v_pk_add_f16 v13, v11, v21
	v_pk_min_f16 v107, v14, v15
	v_pk_add_f16 v14, v17, v21
	v_pk_min_f16 v106, v58, v12
	v_pk_add_f16 v12, v19, v21
	v_pk_min_f16 v61, 0x7c00, v61 op_sel_hi:[0,1]
	v_pk_min_f16 v62, 0x7c00, v62 op_sel_hi:[0,1]
	;; [unrolled: 1-line block ×3, first 2 shown]
	v_pk_add_f16 v22, v18, v22
	v_pk_add_f16 v65, v10, v24
	;; [unrolled: 1-line block ×3, first 2 shown]
	v_pk_min_f16 v105, v59, v13
	v_pk_add_f16 v13, v9, v23
	v_pk_min_f16 v104, v60, v14
	v_pk_add_f16 v14, v11, v23
	;; [unrolled: 2-line block ×3, first 2 shown]
	v_pk_min_f16 v22, 0x7c00, v22 op_sel_hi:[0,1]
	v_pk_min_f16 v64, 0x7c00, v64 op_sel_hi:[0,1]
	;; [unrolled: 1-line block ×4, first 2 shown]
	v_pk_add_f16 v67, v8, v26
	v_pk_add_f16 v68, v10, v26
	;; [unrolled: 1-line block ×4, first 2 shown]
	v_pk_min_f16 v102, v61, v13
	v_pk_min_f16 v101, v62, v14
	;; [unrolled: 1-line block ×3, first 2 shown]
	v_pk_add_f16 v12, v19, v23
	v_pk_add_f16 v13, v9, v25
	;; [unrolled: 1-line block ×4, first 2 shown]
	s_waitcnt lgkmcnt(3)
	v_pk_add_f16 v70, v8, v28
	v_pk_min_f16 v67, 0x7c00, v67 op_sel_hi:[0,1]
	v_pk_min_f16 v68, 0x7c00, v68 op_sel_hi:[0,1]
	;; [unrolled: 1-line block ×4, first 2 shown]
	v_pk_add_f16 v71, v10, v28
	v_pk_add_f16 v72, v16, v28
	;; [unrolled: 1-line block ×4, first 2 shown]
	v_pk_min_f16 v99, v22, v12
	v_pk_min_f16 v98, v64, v13
	;; [unrolled: 1-line block ×4, first 2 shown]
	v_pk_add_f16 v12, v9, v27
	v_pk_add_f16 v13, v11, v27
	;; [unrolled: 1-line block ×4, first 2 shown]
	v_pk_min_f16 v56, 0x7c00, v56 op_sel_hi:[0,1]
	v_pk_min_f16 v57, 0x7c00, v57 op_sel_hi:[0,1]
	v_pk_add_f16 v24, v18, v24
	v_pk_min_f16 v70, 0x7c00, v70 op_sel_hi:[0,1]
	v_pk_add_f16 v74, v10, v30
	v_pk_min_f16 v71, 0x7c00, v71 op_sel_hi:[0,1]
	v_pk_min_f16 v72, 0x7c00, v72 op_sel_hi:[0,1]
	;; [unrolled: 1-line block ×4, first 2 shown]
	v_pk_add_f16 v22, v9, v29
	v_pk_min_f16 v94, v67, v12
	v_pk_min_f16 v93, v68, v13
	v_pk_min_f16 v92, v69, v14
	v_pk_min_f16 v91, v26, v15
	v_pk_add_f16 v12, v11, v29
	v_pk_add_f16 v13, v17, v29
	;; [unrolled: 1-line block ×4, first 2 shown]
	v_pk_min_f16 v54, 0x7c00, v54 op_sel_hi:[0,1]
	v_pk_min_f16 v24, 0x7c00, v24 op_sel_hi:[0,1]
	;; [unrolled: 1-line block ×3, first 2 shown]
	v_pk_add_f16 v75, v16, v30
	v_pk_add_f16 v30, v18, v30
	v_pk_min_f16 v109, v56, v85
	v_pk_min_f16 v108, v57, v86
	v_pk_add_f16 v23, v19, v25
	v_pk_min_f16 v90, v70, v22
	v_pk_add_f16 v22, v11, v31
	v_pk_min_f16 v89, v71, v12
	v_pk_min_f16 v88, v72, v13
	;; [unrolled: 1-line block ×4, first 2 shown]
	ds_load_2addr_b64 v[12:15], v46 offset0:112 offset1:120
	v_pk_min_f16 v53, 0x7c00, v53 op_sel_hi:[0,1]
	v_pk_min_f16 v55, 0x7c00, v55 op_sel_hi:[0,1]
	s_waitcnt lgkmcnt(3)
	v_pk_add_f16 v76, v8, v32
	v_pk_add_f16 v77, v10, v32
	;; [unrolled: 1-line block ×8, first 2 shown]
	s_waitcnt lgkmcnt(2)
	v_pk_add_f16 v111, v8, v36
	v_pk_min_f16 v123, v54, v83
	v_pk_add_f16 v20, v16, v38
	v_pk_min_f16 v95, v24, v23
	v_pk_min_f16 v83, v74, v22
	v_pk_add_f16 v22, v17, v31
	v_pk_add_f16 v23, v19, v31
	v_pk_min_f16 v46, 0x7c00, v75 op_sel_hi:[0,1]
	v_pk_min_f16 v30, 0x7c00, v30 op_sel_hi:[0,1]
	;; [unrolled: 1-line block ×3, first 2 shown]
	v_pk_min_f16 v124, v53, v82
	v_pk_min_f16 v113, v55, v84
	v_pk_add_f16 v21, v18, v38
	v_pk_add_f16 v24, v9, v33
	v_pk_add_f16 v25, v11, v33
	v_pk_add_f16 v26, v17, v33
	v_pk_add_f16 v27, v19, v33
	v_pk_add_f16 v28, v9, v35
	v_pk_add_f16 v29, v11, v35
	v_pk_add_f16 v31, v17, v35
	v_pk_add_f16 v33, v19, v35
	v_pk_add_f16 v35, v9, v37
	v_pk_add_f16 v59, v17, v39
	v_pk_min_f16 v60, 0x7c00, v76 op_sel_hi:[0,1]
	v_pk_min_f16 v61, 0x7c00, v77 op_sel_hi:[0,1]
	;; [unrolled: 1-line block ×6, first 2 shown]
	v_pk_min_f16 v84, v46, v22
	s_waitcnt lgkmcnt(1)
	v_pk_add_f16 v22, v8, v49
	v_pk_min_f16 v82, v30, v23
	v_pk_add_f16 v23, v10, v49
	v_pk_min_f16 v20, 0x7c00, v20 op_sel_hi:[0,1]
	v_pk_min_f16 v125, v47, v81
	v_pk_add_f16 v57, v9, v39
	v_pk_add_f16 v58, v11, v39
	;; [unrolled: 1-line block ×3, first 2 shown]
	v_pk_min_f16 v63, 0x7c00, v79 op_sel_hi:[0,1]
	v_pk_min_f16 v64, 0x7c00, v80 op_sel_hi:[0,1]
	;; [unrolled: 1-line block ×3, first 2 shown]
	v_pk_min_f16 v81, v60, v24
	v_pk_add_f16 v24, v16, v49
	v_pk_min_f16 v21, 0x7c00, v21 op_sel_hi:[0,1]
	v_pk_min_f16 v22, 0x7c00, v22 op_sel_hi:[0,1]
	v_pk_min_f16 v23, 0x7c00, v23 op_sel_hi:[0,1]
	v_pk_min_f16 v79, v61, v25
	v_pk_add_f16 v25, v18, v49
	v_pk_min_f16 v78, v62, v26
	v_pk_add_f16 v26, v8, v51
	v_pk_min_f16 v77, v32, v27
	v_pk_add_f16 v27, v10, v51
	v_pk_min_f16 v73, v34, v33
	v_pk_min_f16 v72, v66, v35
	v_pk_add_f16 v33, v9, v50
	v_pk_min_f16 v66, v20, v59
	v_pk_add_f16 v20, v11, v50
	v_pk_add_f16 v47, v10, v36
	;; [unrolled: 1-line block ×6, first 2 shown]
	v_pk_min_f16 v24, 0x7c00, v24 op_sel_hi:[0,1]
	v_pk_min_f16 v76, v63, v28
	v_pk_add_f16 v28, v16, v51
	v_pk_min_f16 v75, v64, v29
	v_pk_add_f16 v29, v18, v51
	v_pk_min_f16 v25, 0x7c00, v25 op_sel_hi:[0,1]
	v_pk_min_f16 v26, 0x7c00, v26 op_sel_hi:[0,1]
	;; [unrolled: 1-line block ×3, first 2 shown]
	v_pk_min_f16 v74, v65, v31
	s_waitcnt lgkmcnt(0)
	v_pk_add_f16 v30, v8, v12
	v_pk_add_f16 v31, v10, v12
	;; [unrolled: 1-line block ×6, first 2 shown]
	v_pk_min_f16 v65, v21, v39
	v_pk_min_f16 v64, v22, v33
	v_pk_add_f16 v21, v17, v50
	v_pk_add_f16 v22, v19, v50
	;; [unrolled: 1-line block ×3, first 2 shown]
	v_pk_min_f16 v63, v23, v20
	v_pk_add_f16 v14, v18, v14
	v_pk_add_f16 v18, v9, v52
	;; [unrolled: 1-line block ×6, first 2 shown]
	v_pk_min_f16 v47, 0x7c00, v47 op_sel_hi:[0,1]
	v_pk_min_f16 v53, 0x7c00, v53 op_sel_hi:[0,1]
	;; [unrolled: 1-line block ×12, first 2 shown]
	v_pk_min_f16 v62, v24, v21
	v_pk_min_f16 v61, v25, v22
	v_pk_min_f16 v10, 0x7c00, v10 op_sel_hi:[0,1]
	v_pk_min_f16 v16, 0x7c00, v16 op_sel_hi:[0,1]
	;; [unrolled: 1-line block ×3, first 2 shown]
	v_pk_min_f16 v60, v26, v18
	v_pk_min_f16 v59, v27, v20
	v_pk_add_f16 v18, v17, v52
	v_pk_add_f16 v20, v19, v52
	v_pk_add_f16 v21, v9, v13
	v_pk_add_f16 v22, v11, v13
	v_pk_add_f16 v23, v17, v13
	v_pk_add_f16 v13, v19, v13
	v_pk_add_f16 v9, v9, v15
	v_pk_add_f16 v11, v11, v15
	v_pk_add_f16 v17, v17, v15
	v_pk_add_f16 v15, v19, v15
	v_pk_min_f16 v71, v47, v38
	v_pk_min_f16 v70, v53, v56
	;; [unrolled: 1-line block ×15, first 2 shown]
	ds_store_b16 v45, v4 offset:1024
	ds_store_b16 v45, v5 offset:1536
	;; [unrolled: 1-line block ×4, first 2 shown]
	s_waitcnt lgkmcnt(0)
	s_barrier
	buffer_gl0_inv
	s_cbranch_scc1 .LBB264_31
; %bb.18:
	v_mad_i64_i32 v[4:5], null, s13, v3, 0
	v_mad_i64_i32 v[6:7], null, s13, v2, 0
	;; [unrolled: 1-line block ×3, first 2 shown]
	v_add_nc_u32_e32 v46, 0x800, v45
	v_add_nc_u32_e32 v47, 0x800, v43
	v_lshlrev_b64 v[2:3], 1, v[4:5]
	v_mad_i64_i32 v[4:5], null, s5, v1, 0
	v_lshlrev_b64 v[6:7], 1, v[6:7]
	v_add_nc_u32_e32 v80, 0x400, v45
	v_add_nc_u32_e32 v110, 0xc00, v45
	v_add_co_u32 v114, vcc_lo, s20, v2
	v_add_co_ci_u32_e32 v115, vcc_lo, s21, v3, vcc_lo
	v_lshlrev_b64 v[0:1], 1, v[4:5]
	v_add_co_u32 v116, vcc_lo, s20, v6
	v_lshlrev_b64 v[2:3], 1, v[8:9]
	v_add_co_ci_u32_e32 v117, vcc_lo, s21, v7, vcc_lo
	s_delay_alu instid0(VALU_DEP_4) | instskip(SKIP_1) | instid1(VALU_DEP_4)
	v_add_co_u32 v118, vcc_lo, s18, v0
	v_add_co_ci_u32_e32 v119, vcc_lo, s19, v1, vcc_lo
	v_add_co_u32 v120, vcc_lo, s18, v2
	v_lshl_add_u32 v111, v40, 3, 0x400
	v_lshl_add_u32 v112, v41, 3, 0xc00
	v_add_co_ci_u32_e32 v121, vcc_lo, s19, v3, vcc_lo
	s_add_i32 s5, s14, -8
	s_mov_b32 s13, 0
	s_and_b32 s4, exec_lo, s4
	s_branch .LBB264_21
.LBB264_19:                             ;   in Loop: Header=BB264_21 Depth=1
	v_add_co_u32 v0, vcc_lo, v116, v44
	v_add_co_ci_u32_e32 v1, vcc_lo, 0, v117, vcc_lo
	v_add_co_u32 v76, vcc_lo, v114, v44
	v_add_co_ci_u32_e32 v77, vcc_lo, 0, v115, vcc_lo
	flat_load_u16 v0, v[0:1] offset:24
	flat_load_u16 v1, v[76:77] offset:24
	s_waitcnt vmcnt(1) lgkmcnt(1)
	v_mul_f16_e32 v0, v42, v0
	s_waitcnt vmcnt(0) lgkmcnt(0)
	v_mul_f16_e32 v1, v42, v1
.LBB264_20:                             ;   in Loop: Header=BB264_21 Depth=1
	ds_load_2addr_b64 v[128:131], v87 offset1:32
	ds_load_2addr_b64 v[76:79], v47 offset1:8
	ds_load_2addr_b64 v[132:135], v87 offset0:64 offset1:96
	ds_load_2addr_b64 v[81:84], v47 offset0:16 offset1:24
	;; [unrolled: 1-line block ×8, first 2 shown]
	v_pk_max_f16 v11, v74, v74
	v_pk_max_f16 v74, v75, v75
	;; [unrolled: 1-line block ×11, first 2 shown]
	s_waitcnt lgkmcnt(8)
	v_pk_add_f16 v75, v128, v76
	v_pk_add_f16 v85, v130, v76
	s_waitcnt lgkmcnt(7)
	v_pk_add_f16 v86, v132, v76
	v_pk_add_f16 v76, v134, v76
	;; [unrolled: 1-line block ×3, first 2 shown]
	v_pk_min_f16 v11, v11, v75
	v_pk_add_f16 v75, v134, v78
	v_pk_add_f16 v93, v130, v78
	;; [unrolled: 1-line block ×3, first 2 shown]
	v_pk_min_f16 v70, v70, v76
	s_waitcnt lgkmcnt(6)
	v_pk_add_f16 v76, v130, v81
	v_pk_min_f16 v67, v67, v75
	v_pk_add_f16 v75, v128, v81
	v_pk_add_f16 v78, v132, v81
	;; [unrolled: 1-line block ×3, first 2 shown]
	v_pk_min_f16 v68, v68, v76
	v_pk_add_f16 v76, v132, v83
	v_pk_min_f16 v61, v61, v75
	v_pk_min_f16 v66, v66, v78
	;; [unrolled: 1-line block ×3, first 2 shown]
	v_pk_add_f16 v75, v130, v83
	v_pk_add_f16 v78, v134, v83
	s_waitcnt lgkmcnt(5)
	v_pk_add_f16 v81, v128, v88
	v_pk_max_f16 v60, v60, v60
	v_pk_min_f16 v64, v64, v76
	v_pk_min_f16 v56, v56, v75
	v_pk_min_f16 v62, v62, v78
	v_pk_add_f16 v75, v132, v88
	v_pk_min_f16 v60, v60, v81
	v_pk_max_f16 v51, v51, v51
	v_pk_add_f16 v76, v134, v88
	v_pk_max_f16 v59, v59, v59
	v_pk_add_f16 v78, v128, v90
	;; [unrolled: 2-line block ×3, first 2 shown]
	v_pk_max_f16 v55, v55, v55
	v_pk_min_f16 v51, v51, v75
	v_pk_min_f16 v59, v59, v76
	;; [unrolled: 1-line block ×3, first 2 shown]
	v_pk_add_f16 v75, v134, v90
	v_pk_min_f16 v55, v55, v81
	v_pk_max_f16 v37, v37, v37
	s_waitcnt lgkmcnt(4)
	v_pk_add_f16 v76, v128, v136
	v_pk_max_f16 v54, v54, v54
	v_pk_add_f16 v78, v130, v136
	v_pk_max_f16 v52, v52, v52
	;; [unrolled: 2-line block ×3, first 2 shown]
	v_pk_min_f16 v37, v37, v75
	v_pk_min_f16 v54, v54, v76
	;; [unrolled: 1-line block ×3, first 2 shown]
	v_pk_add_f16 v75, v128, v138
	v_pk_min_f16 v50, v50, v81
	v_pk_max_f16 v32, v32, v32
	v_pk_add_f16 v76, v130, v138
	v_pk_max_f16 v49, v49, v49
	v_pk_add_f16 v78, v132, v138
	;; [unrolled: 2-line block ×3, first 2 shown]
	v_pk_max_f16 v36, v36, v36
	v_pk_min_f16 v32, v32, v75
	v_pk_min_f16 v49, v49, v76
	;; [unrolled: 1-line block ×3, first 2 shown]
	s_waitcnt lgkmcnt(3)
	v_pk_add_f16 v75, v130, v140
	v_pk_min_f16 v36, v36, v81
	v_pk_max_f16 v27, v27, v27
	v_pk_add_f16 v76, v132, v140
	v_pk_max_f16 v35, v35, v35
	v_pk_add_f16 v78, v134, v140
	;; [unrolled: 2-line block ×3, first 2 shown]
	v_pk_max_f16 v31, v31, v31
	v_pk_min_f16 v27, v27, v75
	v_pk_min_f16 v35, v35, v76
	;; [unrolled: 1-line block ×3, first 2 shown]
	v_pk_add_f16 v75, v132, v142
	v_pk_min_f16 v31, v31, v81
	v_pk_max_f16 v22, v22, v22
	v_pk_add_f16 v76, v134, v142
	v_pk_max_f16 v30, v30, v30
	s_waitcnt lgkmcnt(2)
	v_pk_add_f16 v78, v128, v144
	v_pk_max_f16 v28, v28, v28
	v_pk_add_f16 v81, v130, v144
	v_pk_max_f16 v26, v26, v26
	v_pk_max_f16 v72, v72, v72
	v_pk_min_f16 v22, v22, v75
	v_pk_min_f16 v30, v30, v76
	;; [unrolled: 1-line block ×4, first 2 shown]
	v_pk_add_f16 v75, v134, v144
	v_pk_max_f16 v17, v17, v17
	v_pk_add_f16 v76, v128, v146
	v_pk_max_f16 v25, v25, v25
	;; [unrolled: 2-line block ×4, first 2 shown]
	v_pk_min_f16 v72, v72, v85
	v_pk_add_f16 v85, v128, v83
	v_pk_add_f16 v83, v130, v88
	v_pk_max_f16 v58, v58, v58
	v_pk_min_f16 v17, v17, v75
	v_pk_min_f16 v25, v25, v76
	;; [unrolled: 1-line block ×4, first 2 shown]
	s_waitcnt lgkmcnt(1)
	v_pk_add_f16 v75, v128, v148
	v_pk_max_f16 v12, v12, v12
	v_pk_add_f16 v76, v130, v148
	v_pk_max_f16 v20, v20, v20
	;; [unrolled: 2-line block ×4, first 2 shown]
	v_pk_min_f16 v58, v58, v83
	v_pk_add_f16 v83, v132, v90
	v_pk_max_f16 v53, v53, v53
	v_pk_min_f16 v12, v12, v75
	v_pk_min_f16 v20, v20, v76
	;; [unrolled: 1-line block ×4, first 2 shown]
	v_pk_add_f16 v75, v130, v150
	v_pk_max_f16 v6, v6, v6
	v_pk_add_f16 v76, v132, v150
	v_pk_max_f16 v15, v15, v15
	;; [unrolled: 2-line block ×3, first 2 shown]
	s_waitcnt lgkmcnt(0)
	v_pk_add_f16 v81, v128, v152
	v_pk_max_f16 v10, v10, v10
	v_pk_max_f16 v71, v71, v71
	v_pk_min_f16 v53, v53, v83
	v_pk_add_f16 v83, v134, v136
	v_pk_max_f16 v39, v39, v39
	v_pk_min_f16 v6, v6, v75
	v_pk_min_f16 v15, v15, v76
	;; [unrolled: 1-line block ×4, first 2 shown]
	v_pk_add_f16 v75, v132, v152
	v_pk_max_f16 v4, v4, v4
	v_pk_add_f16 v76, v134, v152
	v_pk_max_f16 v9, v9, v9
	;; [unrolled: 2-line block ×4, first 2 shown]
	v_pk_max_f16 v73, v73, v73
	v_pk_min_f16 v71, v71, v86
	v_pk_max_f16 v69, v69, v69
	v_pk_min_f16 v39, v39, v83
	v_pk_add_f16 v83, v128, v140
	v_pk_max_f16 v34, v34, v34
	v_pk_min_f16 v4, v4, v75
	v_pk_min_f16 v9, v9, v76
	;; [unrolled: 1-line block ×4, first 2 shown]
	v_pk_add_f16 v75, v134, v154
	v_pk_max_f16 v2, v2, v2
	v_pk_add_f16 v76, v129, v77
	v_pk_add_f16 v78, v131, v77
	;; [unrolled: 1-line block ×4, first 2 shown]
	v_pk_min_f16 v74, v74, v92
	v_pk_min_f16 v73, v73, v93
	;; [unrolled: 1-line block ×3, first 2 shown]
	v_pk_max_f16 v63, v63, v63
	v_pk_min_f16 v34, v34, v83
	v_pk_add_f16 v83, v130, v142
	v_pk_max_f16 v29, v29, v29
	v_pk_min_f16 v2, v2, v75
	v_pk_min_f16 v125, v11, v76
	;; [unrolled: 1-line block ×5, first 2 shown]
	v_pk_add_f16 v11, v129, v79
	v_pk_add_f16 v70, v131, v79
	;; [unrolled: 1-line block ×5, first 2 shown]
	v_pk_min_f16 v63, v63, v85
	v_pk_min_f16 v29, v29, v83
	v_pk_add_f16 v83, v132, v144
	v_pk_max_f16 v24, v24, v24
	v_pk_min_f16 v113, v74, v11
	v_pk_min_f16 v109, v73, v70
	v_pk_min_f16 v108, v69, v71
	v_pk_min_f16 v107, v67, v72
	v_pk_min_f16 v106, v61, v75
	v_pk_add_f16 v11, v131, v82
	v_pk_add_f16 v61, v133, v82
	v_pk_add_f16 v67, v135, v82
	v_pk_add_f16 v69, v129, v84
	v_pk_add_f16 v70, v131, v84
	v_pk_min_f16 v24, v24, v83
	v_pk_add_f16 v83, v134, v146
	v_pk_max_f16 v19, v19, v19
	v_pk_min_f16 v105, v68, v11
	v_pk_min_f16 v104, v66, v61
	v_pk_min_f16 v103, v65, v67
	v_pk_min_f16 v102, v63, v69
	v_pk_min_f16 v101, v56, v70
	v_pk_add_f16 v11, v133, v84
	v_pk_add_f16 v56, v135, v84
	v_pk_add_f16 v61, v129, v89
	v_pk_add_f16 v63, v131, v89
	v_pk_add_f16 v65, v133, v89
	;; [unrolled: 13-line block ×5, first 2 shown]
	v_pk_min_f16 v3, v3, v83
	v_pk_min_f16 v83, v49, v11
	;; [unrolled: 1-line block ×6, first 2 shown]
	v_pk_add_f16 v11, v133, v141
	v_pk_add_f16 v27, v135, v141
	v_pk_add_f16 v32, v129, v143
	v_pk_add_f16 v34, v131, v143
	v_pk_add_f16 v36, v133, v143
	v_pk_min_f16 v78, v35, v11
	v_pk_min_f16 v77, v33, v27
	v_pk_min_f16 v76, v31, v32
	v_pk_min_f16 v75, v29, v34
	v_pk_min_f16 v74, v22, v36
	v_pk_add_f16 v11, v135, v143
	v_pk_add_f16 v22, v129, v145
	v_pk_add_f16 v27, v131, v145
	v_pk_add_f16 v29, v133, v145
	v_pk_add_f16 v31, v135, v145
	v_pk_min_f16 v73, v30, v11
	v_pk_min_f16 v72, v28, v22
	v_pk_min_f16 v71, v26, v27
	v_pk_min_f16 v70, v24, v29
	v_pk_min_f16 v69, v17, v31
	;; [unrolled: 10-line block ×3, first 2 shown]
	v_pk_add_f16 v11, v131, v149
	v_pk_add_f16 v12, v133, v149
	;; [unrolled: 1-line block ×5, first 2 shown]
	v_add_co_u32 v114, vcc_lo, v114, 16
	v_pk_min_f16 v63, v20, v11
	v_pk_min_f16 v62, v18, v12
	;; [unrolled: 1-line block ×5, first 2 shown]
	v_pk_add_f16 v6, v133, v151
	v_pk_add_f16 v11, v135, v151
	;; [unrolled: 1-line block ×5, first 2 shown]
	v_add_co_ci_u32_e32 v115, vcc_lo, 0, v115, vcc_lo
	v_add_co_u32 v116, vcc_lo, v116, 16
	v_add_co_ci_u32_e32 v117, vcc_lo, 0, v117, vcc_lo
	v_pk_min_f16 v58, v15, v6
	v_pk_min_f16 v57, v13, v11
	;; [unrolled: 1-line block ×5, first 2 shown]
	v_pk_add_f16 v4, v135, v153
	v_pk_add_f16 v6, v129, v155
	;; [unrolled: 1-line block ×5, first 2 shown]
	v_add_co_u32 v118, vcc_lo, v118, 16
	v_add_co_ci_u32_e32 v119, vcc_lo, 0, v119, vcc_lo
	v_add_co_u32 v120, vcc_lo, v120, 16
	v_pk_min_f16 v53, v9, v4
	v_pk_min_f16 v52, v7, v6
	;; [unrolled: 1-line block ×5, first 2 shown]
	v_add_co_ci_u32_e32 v121, vcc_lo, 0, v121, vcc_lo
	s_add_i32 s13, s13, 8
	ds_store_b16 v80, v126
	ds_store_b16 v80, v127 offset:512
	ds_store_b16 v110, v0
	ds_store_b16 v110, v1 offset:512
	s_cmp_ge_i32 s13, s5
	s_waitcnt lgkmcnt(0)
	s_barrier
	buffer_gl0_inv
	s_cbranch_scc1 .LBB264_31
.LBB264_21:                             ; =>This Inner Loop Header: Depth=1
	s_and_b32 vcc_lo, exec_lo, s3
	s_cbranch_vccnz .LBB264_24
; %bb.22:                               ;   in Loop: Header=BB264_21 Depth=1
	v_add_co_u32 v0, vcc_lo, v120, v44
	v_add_co_ci_u32_e32 v1, vcc_lo, 0, v121, vcc_lo
	v_add_co_u32 v2, vcc_lo, v118, v44
	v_add_co_ci_u32_e32 v3, vcc_lo, 0, v119, vcc_lo
	flat_load_u16 v0, v[0:1] offset:16
	flat_load_u16 v1, v[2:3] offset:16
	s_waitcnt vmcnt(1) lgkmcnt(1)
	v_mul_f16_e32 v126, v42, v0
	s_waitcnt vmcnt(0) lgkmcnt(0)
	v_mul_f16_e32 v127, v42, v1
	s_and_b32 vcc_lo, exec_lo, s3
	s_cbranch_vccnz .LBB264_25
.LBB264_23:                             ;   in Loop: Header=BB264_21 Depth=1
	v_add_co_u32 v0, vcc_lo, v116, v44
	v_add_co_ci_u32_e32 v1, vcc_lo, 0, v117, vcc_lo
	v_add_co_u32 v2, vcc_lo, v114, v44
	v_add_co_ci_u32_e32 v3, vcc_lo, 0, v115, vcc_lo
	flat_load_u16 v0, v[0:1] offset:16
	flat_load_u16 v1, v[2:3] offset:16
	s_waitcnt vmcnt(1) lgkmcnt(1)
	v_mul_f16_e64 v128, v42, v0
	s_waitcnt vmcnt(0) lgkmcnt(0)
	v_mul_f16_e64 v129, v42, v1
	s_branch .LBB264_26
.LBB264_24:                             ;   in Loop: Header=BB264_21 Depth=1
	v_dual_mov_b32 v126, 0 :: v_dual_mov_b32 v127, 0
	s_and_b32 vcc_lo, exec_lo, s3
	s_cbranch_vccz .LBB264_23
.LBB264_25:                             ;   in Loop: Header=BB264_21 Depth=1
	v_dual_mov_b32 v128, 0 :: v_dual_mov_b32 v129, 0
.LBB264_26:                             ;   in Loop: Header=BB264_21 Depth=1
	ds_load_2addr_b64 v[4:7], v111 offset1:32
	ds_load_2addr_b64 v[0:3], v111 offset0:64 offset1:96
	ds_load_2addr_b64 v[36:39], v112 offset1:8
	ds_load_2addr_b64 v[32:35], v112 offset0:16 offset1:24
	ds_load_2addr_b64 v[28:31], v112 offset0:32 offset1:40
	;; [unrolled: 1-line block ×7, first 2 shown]
	s_mov_b32 vcc_lo, s4
	ds_store_b16 v45, v126
	ds_store_b16 v45, v127 offset:512
	ds_store_b16 v46, v128
	ds_store_b16 v46, v129 offset:512
	s_waitcnt lgkmcnt(0)
	s_barrier
	buffer_gl0_inv
	s_cbranch_vccz .LBB264_28
; %bb.27:                               ;   in Loop: Header=BB264_21 Depth=1
	v_add_co_u32 v126, vcc_lo, v120, v44
	v_add_co_ci_u32_e32 v127, vcc_lo, 0, v121, vcc_lo
	v_add_co_u32 v128, vcc_lo, v118, v44
	v_add_co_ci_u32_e32 v129, vcc_lo, 0, v119, vcc_lo
	flat_load_u16 v126, v[126:127] offset:24
	flat_load_u16 v127, v[128:129] offset:24
	s_waitcnt vmcnt(1) lgkmcnt(1)
	v_mul_f16_e32 v126, v42, v126
	s_waitcnt vmcnt(0) lgkmcnt(0)
	v_mul_f16_e32 v127, v42, v127
	s_branch .LBB264_29
.LBB264_28:                             ;   in Loop: Header=BB264_21 Depth=1
	v_dual_mov_b32 v126, 0 :: v_dual_mov_b32 v127, 0
.LBB264_29:                             ;   in Loop: Header=BB264_21 Depth=1
	v_pk_add_f16 v128, v4, v36
	v_pk_max_f16 v125, v125, v125
	v_pk_add_f16 v129, v6, v36
	v_pk_max_f16 v124, v124, v124
	;; [unrolled: 2-line block ×3, first 2 shown]
	v_pk_min_f16 v125, v125, v128
	v_pk_add_f16 v36, v2, v36
	v_pk_min_f16 v124, v124, v129
	v_pk_max_f16 v122, v122, v122
	v_pk_min_f16 v123, v123, v130
	v_pk_add_f16 v128, v4, v38
	v_pk_max_f16 v113, v113, v113
	v_pk_add_f16 v129, v6, v38
	v_pk_add_f16 v130, v0, v38
	;; [unrolled: 1-line block ×3, first 2 shown]
	v_pk_max_f16 v107, v107, v107
	v_pk_max_f16 v109, v109, v109
	v_pk_min_f16 v36, v122, v36
	v_pk_min_f16 v113, v113, v128
	v_pk_max_f16 v106, v106, v106
	v_pk_min_f16 v38, v107, v38
	v_pk_add_f16 v107, v4, v32
	v_pk_add_f16 v122, v6, v32
	;; [unrolled: 1-line block ×4, first 2 shown]
	v_pk_max_f16 v103, v103, v103
	v_pk_min_f16 v109, v109, v129
	v_pk_max_f16 v105, v105, v105
	v_pk_max_f16 v104, v104, v104
	v_pk_add_f16 v129, v4, v34
	v_pk_min_f16 v106, v106, v107
	v_pk_min_f16 v32, v103, v32
	v_pk_add_f16 v103, v6, v34
	v_pk_max_f16 v101, v101, v101
	v_pk_add_f16 v107, v0, v34
	v_pk_add_f16 v34, v2, v34
	v_pk_max_f16 v99, v99, v99
	v_pk_min_f16 v105, v105, v122
	v_pk_min_f16 v104, v104, v128
	v_pk_max_f16 v100, v100, v100
	v_pk_add_f16 v122, v4, v28
	v_pk_max_f16 v98, v98, v98
	v_pk_add_f16 v128, v6, v28
	v_pk_min_f16 v101, v101, v103
	v_pk_min_f16 v34, v99, v34
	v_pk_add_f16 v99, v0, v28
	v_pk_max_f16 v96, v96, v96
	v_pk_add_f16 v28, v2, v28
	v_pk_max_f16 v95, v95, v95
	;; [unrolled: 2-line block ×3, first 2 shown]
	v_pk_min_f16 v100, v100, v107
	v_pk_min_f16 v98, v98, v122
	v_pk_add_f16 v107, v6, v30
	v_pk_add_f16 v122, v0, v30
	v_pk_min_f16 v96, v96, v99
	v_pk_min_f16 v28, v95, v28
	;; [unrolled: 1-line block ×3, first 2 shown]
	v_pk_add_f16 v30, v2, v30
	v_pk_max_f16 v91, v91, v91
	v_pk_add_f16 v95, v4, v24
	v_pk_max_f16 v90, v90, v90
	v_pk_add_f16 v99, v6, v24
	v_pk_add_f16 v103, v0, v24
	v_pk_add_f16 v24, v2, v24
	v_pk_max_f16 v86, v86, v86
	v_pk_max_f16 v89, v89, v89
	v_pk_min_f16 v30, v91, v30
	v_pk_min_f16 v90, v90, v95
	v_pk_max_f16 v85, v85, v85
	v_pk_min_f16 v24, v86, v24
	v_pk_add_f16 v86, v4, v26
	v_pk_add_f16 v91, v6, v26
	v_pk_max_f16 v83, v83, v83
	v_pk_add_f16 v95, v0, v26
	v_pk_max_f16 v84, v84, v84
	;; [unrolled: 2-line block ×3, first 2 shown]
	v_pk_min_f16 v89, v89, v99
	v_pk_add_f16 v99, v4, v20
	v_pk_min_f16 v85, v85, v86
	v_pk_min_f16 v83, v83, v91
	;; [unrolled: 1-line block ×4, first 2 shown]
	v_pk_add_f16 v82, v6, v20
	v_pk_add_f16 v86, v0, v20
	v_pk_max_f16 v78, v78, v78
	v_pk_add_f16 v20, v2, v20
	v_pk_max_f16 v77, v77, v77
	;; [unrolled: 2-line block ×4, first 2 shown]
	v_pk_max_f16 v81, v81, v81
	v_pk_max_f16 v79, v79, v79
	v_pk_min_f16 v78, v78, v86
	v_pk_min_f16 v20, v77, v20
	;; [unrolled: 1-line block ×4, first 2 shown]
	v_pk_add_f16 v75, v0, v22
	v_pk_add_f16 v22, v2, v22
	v_pk_max_f16 v73, v73, v73
	v_pk_add_f16 v86, v6, v16
	v_pk_max_f16 v71, v71, v71
	;; [unrolled: 2-line block ×3, first 2 shown]
	v_pk_max_f16 v92, v92, v92
	v_pk_min_f16 v81, v81, v99
	v_pk_min_f16 v79, v79, v82
	v_pk_add_f16 v82, v4, v16
	v_pk_min_f16 v99, v73, v22
	v_pk_min_f16 v86, v71, v86
	;; [unrolled: 1-line block ×3, first 2 shown]
	v_pk_add_f16 v16, v2, v16
	v_pk_max_f16 v22, v69, v69
	v_pk_add_f16 v69, v4, v18
	v_pk_add_f16 v70, v6, v18
	;; [unrolled: 1-line block ×3, first 2 shown]
	v_pk_max_f16 v66, v66, v66
	v_pk_add_f16 v18, v2, v18
	v_pk_max_f16 v65, v65, v65
	v_pk_max_f16 v97, v97, v97
	;; [unrolled: 1-line block ×3, first 2 shown]
	v_pk_min_f16 v92, v92, v122
	v_pk_max_f16 v67, v67, v67
	v_pk_min_f16 v16, v22, v16
	v_pk_min_f16 v122, v66, v71
	;; [unrolled: 1-line block ×3, first 2 shown]
	v_pk_add_f16 v22, v4, v12
	v_pk_max_f16 v64, v64, v64
	v_pk_add_f16 v65, v6, v12
	v_pk_add_f16 v66, v0, v12
	;; [unrolled: 1-line block ×3, first 2 shown]
	v_pk_max_f16 v61, v61, v61
	v_pk_min_f16 v97, v97, v128
	v_pk_min_f16 v93, v93, v107
	v_pk_min_f16 v107, v67, v70
	v_pk_add_f16 v67, v4, v14
	v_pk_max_f16 v60, v60, v60
	v_pk_min_f16 v128, v64, v22
	v_pk_min_f16 v131, v61, v12
	v_pk_add_f16 v12, v6, v14
	v_pk_max_f16 v22, v59, v59
	v_pk_min_f16 v132, v60, v67
	v_pk_add_f16 v60, v4, v8
	v_pk_add_f16 v61, v6, v8
	v_pk_max_f16 v108, v108, v108
	v_pk_min_f16 v133, v22, v12
	v_pk_add_f16 v12, v0, v8
	v_pk_add_f16 v8, v2, v8
	v_pk_max_f16 v22, v53, v53
	v_pk_max_f16 v72, v72, v72
	v_pk_add_f16 v59, v0, v14
	v_pk_add_f16 v14, v2, v14
	v_pk_max_f16 v57, v57, v57
	v_pk_add_f16 v4, v4, v10
	v_pk_max_f16 v52, v52, v52
	;; [unrolled: 2-line block ×3, first 2 shown]
	v_pk_min_f16 v139, v22, v8
	v_pk_add_f16 v8, v7, v37
	v_pk_min_f16 v108, v108, v130
	v_pk_max_f16 v88, v88, v88
	v_pk_max_f16 v74, v74, v74
	v_pk_min_f16 v82, v72, v82
	v_pk_max_f16 v68, v68, v68
	v_pk_min_f16 v135, v57, v14
	v_pk_max_f16 v14, v54, v54
	v_pk_add_f16 v0, v0, v10
	v_pk_min_f16 v140, v52, v4
	v_pk_min_f16 v141, v51, v6
	v_pk_add_f16 v2, v2, v10
	v_pk_max_f16 v4, v49, v49
	v_pk_add_f16 v6, v5, v37
	v_pk_add_f16 v10, v1, v37
	v_pk_min_f16 v72, v124, v8
	v_pk_add_f16 v8, v1, v39
	v_pk_max_f16 v102, v102, v102
	v_pk_min_f16 v88, v88, v103
	v_pk_min_f16 v95, v74, v75
	;; [unrolled: 1-line block ×3, first 2 shown]
	v_pk_max_f16 v63, v63, v63
	v_pk_min_f16 v138, v14, v12
	v_pk_add_f16 v12, v3, v37
	v_pk_min_f16 v2, v4, v2
	v_pk_min_f16 v74, v125, v6
	;; [unrolled: 1-line block ×3, first 2 shown]
	v_pk_add_f16 v4, v5, v39
	v_pk_add_f16 v6, v7, v39
	;; [unrolled: 1-line block ×3, first 2 shown]
	v_pk_min_f16 v69, v108, v8
	v_pk_add_f16 v8, v3, v33
	v_pk_min_f16 v102, v102, v129
	v_pk_max_f16 v62, v62, v62
	v_pk_min_f16 v129, v63, v65
	v_pk_max_f16 v56, v56, v56
	v_pk_max_f16 v55, v55, v55
	v_pk_min_f16 v70, v36, v12
	v_pk_add_f16 v12, v5, v33
	v_pk_min_f16 v75, v113, v4
	v_pk_min_f16 v73, v109, v6
	;; [unrolled: 1-line block ×3, first 2 shown]
	v_pk_add_f16 v4, v7, v33
	v_pk_add_f16 v6, v1, v33
	;; [unrolled: 1-line block ×3, first 2 shown]
	v_pk_min_f16 v65, v32, v8
	v_pk_add_f16 v8, v5, v29
	v_pk_min_f16 v130, v62, v66
	v_pk_max_f16 v58, v58, v58
	v_pk_min_f16 v136, v56, v60
	v_pk_min_f16 v137, v55, v61
	;; [unrolled: 1-line block ×3, first 2 shown]
	v_pk_add_f16 v12, v7, v35
	v_pk_min_f16 v68, v105, v4
	v_pk_min_f16 v66, v104, v6
	;; [unrolled: 1-line block ×3, first 2 shown]
	v_pk_add_f16 v4, v1, v35
	v_pk_add_f16 v6, v3, v35
	;; [unrolled: 1-line block ×3, first 2 shown]
	v_pk_min_f16 v60, v98, v8
	v_pk_add_f16 v8, v7, v31
	v_pk_min_f16 v134, v58, v59
	v_pk_max_f16 v50, v50, v50
	v_pk_min_f16 v56, v101, v12
	v_pk_add_f16 v12, v1, v29
	v_pk_min_f16 v64, v100, v4
	v_pk_min_f16 v62, v34, v6
	v_pk_min_f16 v58, v97, v10
	v_pk_add_f16 v4, v3, v29
	v_pk_add_f16 v6, v5, v31
	;; [unrolled: 1-line block ×3, first 2 shown]
	v_pk_min_f16 v55, v93, v8
	v_pk_add_f16 v8, v1, v25
	v_pk_min_f16 v0, v50, v0
	v_pk_min_f16 v51, v96, v12
	v_pk_add_f16 v12, v3, v31
	v_pk_min_f16 v59, v28, v4
	v_pk_min_f16 v57, v94, v6
	v_pk_min_f16 v53, v92, v10
	v_pk_add_f16 v4, v5, v25
	v_pk_add_f16 v6, v7, v25
	v_pk_add_f16 v10, v3, v25
	v_pk_min_f16 v50, v88, v8
	v_pk_add_f16 v8, v3, v27
	v_pk_min_f16 v37, v30, v12
	v_pk_add_f16 v12, v5, v27
	v_pk_min_f16 v54, v90, v4
	v_pk_min_f16 v52, v89, v6
	v_pk_min_f16 v39, v24, v10
	v_pk_add_f16 v4, v7, v27
	v_pk_add_f16 v6, v1, v27
	v_pk_add_f16 v10, v5, v21
	v_pk_min_f16 v36, v26, v8
	v_pk_add_f16 v8, v5, v23
	;; [unrolled: 10-line block ×5, first 2 shown]
	v_pk_min_f16 v17, v16, v12
	v_pk_add_f16 v12, v5, v13
	v_pk_min_f16 v25, v103, v4
	v_pk_min_f16 v23, v107, v6
	;; [unrolled: 1-line block ×3, first 2 shown]
	v_pk_add_f16 v4, v7, v13
	v_pk_add_f16 v6, v1, v13
	;; [unrolled: 1-line block ×4, first 2 shown]
	v_pk_min_f16 v16, v131, v8
	v_pk_add_f16 v8, v3, v15
	v_pk_add_f16 v76, v7, v9
	v_pk_min_f16 v20, v129, v4
	v_pk_min_f16 v18, v130, v6
	;; [unrolled: 1-line block ×4, first 2 shown]
	v_pk_add_f16 v4, v1, v15
	v_pk_add_f16 v10, v5, v9
	;; [unrolled: 1-line block ×3, first 2 shown]
	v_pk_min_f16 v13, v135, v8
	v_pk_min_f16 v8, v137, v76
	v_pk_add_f16 v9, v3, v9
	v_pk_add_f16 v5, v5, v11
	;; [unrolled: 1-line block ×5, first 2 shown]
	v_pk_min_f16 v12, v128, v12
	v_pk_min_f16 v15, v134, v4
	;; [unrolled: 1-line block ×9, first 2 shown]
	s_and_b32 vcc_lo, exec_lo, s3
	s_cbranch_vccz .LBB264_19
; %bb.30:                               ;   in Loop: Header=BB264_21 Depth=1
	v_dual_mov_b32 v0, 0 :: v_dual_mov_b32 v1, 0
	s_branch .LBB264_20
.LBB264_31:
	s_load_b32 s5, s[0:1], 0x58
	v_dual_mov_b32 v41, 0 :: v_dual_add_nc_u32 v80, s9, v41
	ds_load_b64 v[36:37], v87 offset:1024
	ds_load_b64 v[46:47], v43 offset:3072
	v_add_nc_u32_e32 v44, s8, v40
	v_cmp_neq_f16_e64 s3, 0, v48
	v_mov_b32_e32 v40, 0
	s_delay_alu instid0(VALU_DEP_3) | instskip(NEXT) | instid1(VALU_DEP_3)
	v_ashrrev_i32_e32 v45, 31, v44
	s_and_b32 vcc_lo, exec_lo, s3
	s_delay_alu instid0(VALU_DEP_1) | instskip(SKIP_2) | instid1(VALU_DEP_1)
	v_lshlrev_b64 v[38:39], 1, v[44:45]
	s_waitcnt lgkmcnt(0)
	v_mad_i64_i32 v[0:1], null, v80, s5, 0
	v_lshlrev_b64 v[0:1], 1, v[0:1]
	s_delay_alu instid0(VALU_DEP_1) | instskip(NEXT) | instid1(VALU_DEP_1)
	v_add_co_u32 v110, s4, s6, v0
	v_add_co_ci_u32_e64 v111, s4, s7, v1, s4
	s_cbranch_vccz .LBB264_33
; %bb.32:
	s_delay_alu instid0(VALU_DEP_2) | instskip(NEXT) | instid1(VALU_DEP_2)
	v_add_co_u32 v0, vcc_lo, v110, v38
	v_add_co_ci_u32_e32 v1, vcc_lo, v111, v39, vcc_lo
	flat_load_u16 v0, v[0:1]
	s_waitcnt vmcnt(0) lgkmcnt(0)
	v_mul_f16_e32 v41, v48, v0
.LBB264_33:
	s_clause 0x1
	s_load_b32 s4, s[0:1], 0x70
	s_load_b64 s[8:9], s[0:1], 0x78
	v_add_nc_u32_e32 v4, 0x800, v43
	ds_load_2addr_b64 v[0:3], v87 offset0:160 offset1:192
	ds_load_b64 v[32:33], v87 offset:1792
	ds_load_b64 v[34:35], v43 offset:4032
	v_pk_add_f16 v43, v36, v46
	v_pk_max_f16 v45, v125, v125
	ds_load_2addr_b64 v[28:31], v4 offset0:136 offset1:144
	ds_load_2addr_b64 v[24:27], v4 offset0:152 offset1:160
	;; [unrolled: 1-line block ×7, first 2 shown]
	v_pk_add_f16 v87, v37, v47
	v_add_nc_u32_e32 v42, 32, v44
	v_cndmask_b32_e64 v112, 0, 1, s3
	v_pk_min_f16 v45, v45, v43
	s_delay_alu instid0(VALU_DEP_3) | instskip(NEXT) | instid1(VALU_DEP_3)
	v_ashrrev_i32_e32 v43, 31, v42
	v_cmp_ne_u32_e64 s0, 1, v112
	s_delay_alu instid0(VALU_DEP_3) | instskip(NEXT) | instid1(VALU_DEP_3)
	v_pk_min_f16 v45, v45, v87
	v_lshlrev_b64 v[42:43], 1, v[42:43]
	s_waitcnt lgkmcnt(0)
	v_mad_i64_i32 v[114:115], null, v80, s4, 0
	s_mul_i32 s1, s12, s9
	s_mul_hi_u32 s9, s12, s8
	s_mul_i32 s8, s12, s8
	s_add_i32 s9, s9, s1
	v_lshrrev_b32_e32 v116, 16, v45
	s_lshl_b64 s[8:9], s[8:9], 1
	s_delay_alu instid0(VALU_DEP_2) | instskip(SKIP_3) | instid1(VALU_DEP_2)
	v_lshlrev_b64 v[114:115], 1, v[114:115]
	s_add_u32 s1, s10, s8
	s_addc_u32 s8, s11, s9
	v_min3_f16 v41, v41, v45, v116
	v_add_co_u32 v87, vcc_lo, s1, v114
	s_delay_alu instid0(VALU_DEP_3) | instskip(NEXT) | instid1(VALU_DEP_2)
	v_add_co_ci_u32_e32 v112, vcc_lo, s8, v115, vcc_lo
	v_add_co_u32 v114, vcc_lo, v87, v38
	s_delay_alu instid0(VALU_DEP_2)
	v_add_co_ci_u32_e32 v115, vcc_lo, v112, v39, vcc_lo
	s_and_not1_b32 vcc_lo, exec_lo, s3
	global_store_b16 v[114:115], v41, off
	s_cbranch_vccnz .LBB264_35
; %bb.34:
	v_add_co_u32 v40, vcc_lo, v110, v42
	v_add_co_ci_u32_e32 v41, vcc_lo, v111, v43, vcc_lo
	flat_load_u16 v40, v[40:41]
	s_waitcnt vmcnt(0) lgkmcnt(0)
	v_mul_f16_e32 v40, v48, v40
.LBB264_35:
	v_pk_add_f16 v41, v0, v46
	v_pk_max_f16 v45, v124, v124
	v_pk_add_f16 v114, v1, v47
	v_add_nc_u32_e32 v115, 64, v44
	v_add_co_u32 v117, vcc_lo, v87, v42
	s_delay_alu instid0(VALU_DEP_4) | instskip(SKIP_2) | instid1(VALU_DEP_2)
	v_pk_min_f16 v41, v45, v41
	v_add_co_ci_u32_e32 v118, vcc_lo, v112, v43, vcc_lo
	s_and_b32 vcc_lo, exec_lo, s0
	v_pk_min_f16 v41, v41, v114
	v_mov_b32_e32 v114, 0
	v_ashrrev_i32_e32 v116, 31, v115
	s_delay_alu instid0(VALU_DEP_3) | instskip(NEXT) | instid1(VALU_DEP_1)
	v_lshrrev_b32_e32 v45, 16, v41
	v_min3_f16 v119, v40, v41, v45
	s_delay_alu instid0(VALU_DEP_3)
	v_lshlrev_b64 v[40:41], 1, v[115:116]
	v_mov_b32_e32 v45, 0
	global_store_b16 v[117:118], v119, off
	s_cbranch_vccnz .LBB264_37
; %bb.36:
	v_add_co_u32 v115, vcc_lo, v110, v40
	v_add_co_ci_u32_e32 v116, vcc_lo, v111, v41, vcc_lo
	flat_load_u16 v45, v[115:116]
	s_waitcnt vmcnt(0) lgkmcnt(0)
	v_mul_f16_e32 v45, v48, v45
.LBB264_37:
	v_pk_add_f16 v115, v2, v46
	v_pk_max_f16 v116, v123, v123
	v_pk_add_f16 v117, v3, v47
	s_delay_alu instid0(VALU_DEP_2) | instskip(SKIP_1) | instid1(VALU_DEP_2)
	v_pk_min_f16 v116, v116, v115
	v_add_nc_u32_e32 v115, 0x60, v44
	v_pk_min_f16 v44, v116, v117
	s_delay_alu instid0(VALU_DEP_2) | instskip(SKIP_2) | instid1(VALU_DEP_4)
	v_ashrrev_i32_e32 v116, 31, v115
	v_add_co_u32 v117, vcc_lo, v87, v40
	v_add_co_ci_u32_e32 v118, vcc_lo, v112, v41, vcc_lo
	v_lshrrev_b32_e32 v119, 16, v44
	s_and_b32 vcc_lo, exec_lo, s0
	s_delay_alu instid0(VALU_DEP_1)
	v_min3_f16 v119, v45, v44, v119
	v_lshlrev_b64 v[44:45], 1, v[115:116]
	global_store_b16 v[117:118], v119, off
	s_cbranch_vccnz .LBB264_39
; %bb.38:
	v_add_co_u32 v110, vcc_lo, v110, v44
	v_add_co_ci_u32_e32 v111, vcc_lo, v111, v45, vcc_lo
	flat_load_u16 v110, v[110:111]
	s_waitcnt vmcnt(0) lgkmcnt(0)
	v_mul_f16_e32 v114, v48, v110
.LBB264_39:
	v_add_nc_u32_e32 v110, 8, v80
	v_pk_add_f16 v46, v32, v46
	v_pk_max_f16 v111, v122, v122
	v_pk_add_f16 v47, v33, v47
	s_delay_alu instid0(VALU_DEP_4) | instskip(NEXT) | instid1(VALU_DEP_3)
	v_mad_i64_i32 v[115:116], null, v110, s5, 0
	v_pk_min_f16 v46, v111, v46
	s_delay_alu instid0(VALU_DEP_1) | instskip(NEXT) | instid1(VALU_DEP_3)
	v_pk_min_f16 v111, v46, v47
	v_lshlrev_b64 v[46:47], 1, v[115:116]
	v_add_co_u32 v115, vcc_lo, v87, v44
	v_add_co_ci_u32_e32 v116, vcc_lo, v112, v45, vcc_lo
	s_delay_alu instid0(VALU_DEP_4) | instskip(NEXT) | instid1(VALU_DEP_4)
	v_lshrrev_b32_e32 v87, 16, v111
	v_add_co_u32 v46, vcc_lo, s6, v46
	v_add_co_ci_u32_e32 v47, vcc_lo, s7, v47, vcc_lo
	s_delay_alu instid0(VALU_DEP_3)
	v_min3_f16 v87, v114, v111, v87
	v_dual_mov_b32 v111, 0 :: v_dual_mov_b32 v112, 0
	s_and_b32 vcc_lo, exec_lo, s0
	global_store_b16 v[115:116], v87, off
	s_cbranch_vccnz .LBB264_41
; %bb.40:
	v_add_co_u32 v114, vcc_lo, v46, v38
	v_add_co_ci_u32_e32 v115, vcc_lo, v47, v39, vcc_lo
	flat_load_u16 v87, v[114:115]
	s_waitcnt vmcnt(0) lgkmcnt(0)
	v_mul_f16_e32 v112, v48, v87
.LBB264_41:
	v_pk_add_f16 v87, v36, v28
	v_pk_max_f16 v115, v113, v113
	v_mad_i64_i32 v[113:114], null, v110, s4, 0
	v_pk_add_f16 v110, v37, v29
	s_delay_alu instid0(VALU_DEP_3) | instskip(NEXT) | instid1(VALU_DEP_3)
	v_pk_min_f16 v87, v115, v87
	v_lshlrev_b64 v[113:114], 1, v[113:114]
	s_delay_alu instid0(VALU_DEP_2) | instskip(NEXT) | instid1(VALU_DEP_2)
	v_pk_min_f16 v115, v87, v110
	v_add_co_u32 v87, vcc_lo, s1, v113
	s_delay_alu instid0(VALU_DEP_2) | instskip(NEXT) | instid1(VALU_DEP_4)
	v_lshrrev_b32_e32 v116, 16, v115
	v_add_co_ci_u32_e32 v110, vcc_lo, s8, v114, vcc_lo
	s_delay_alu instid0(VALU_DEP_2) | instskip(NEXT) | instid1(VALU_DEP_4)
	v_min3_f16 v114, v112, v115, v116
	v_add_co_u32 v112, vcc_lo, v87, v38
	s_delay_alu instid0(VALU_DEP_3)
	v_add_co_ci_u32_e32 v113, vcc_lo, v110, v39, vcc_lo
	s_and_b32 vcc_lo, exec_lo, s0
	global_store_b16 v[112:113], v114, off
	s_cbranch_vccnz .LBB264_43
; %bb.42:
	v_add_co_u32 v111, vcc_lo, v46, v42
	v_add_co_ci_u32_e32 v112, vcc_lo, v47, v43, vcc_lo
	flat_load_u16 v111, v[111:112]
	s_waitcnt vmcnt(0) lgkmcnt(0)
	v_mul_f16_e32 v111, v48, v111
.LBB264_43:
	v_pk_add_f16 v112, v0, v28
	v_pk_max_f16 v109, v109, v109
	v_pk_add_f16 v113, v1, v29
	s_delay_alu instid0(VALU_DEP_2) | instskip(SKIP_1) | instid1(VALU_DEP_2)
	v_pk_min_f16 v109, v109, v112
	v_add_co_u32 v112, vcc_lo, v87, v42
	v_pk_min_f16 v109, v109, v113
	v_add_co_ci_u32_e32 v113, vcc_lo, v110, v43, vcc_lo
	s_and_b32 vcc_lo, exec_lo, s0
	s_delay_alu instid0(VALU_DEP_2) | instskip(NEXT) | instid1(VALU_DEP_1)
	v_lshrrev_b32_e32 v114, 16, v109
	v_min3_f16 v114, v111, v109, v114
	v_mov_b32_e32 v109, 0
	v_mov_b32_e32 v111, 0
	global_store_b16 v[112:113], v114, off
	s_cbranch_vccnz .LBB264_45
; %bb.44:
	v_add_co_u32 v111, vcc_lo, v46, v40
	v_add_co_ci_u32_e32 v112, vcc_lo, v47, v41, vcc_lo
	flat_load_u16 v111, v[111:112]
	s_waitcnt vmcnt(0) lgkmcnt(0)
	v_mul_f16_e32 v111, v48, v111
.LBB264_45:
	v_pk_add_f16 v112, v2, v28
	v_pk_max_f16 v108, v108, v108
	v_pk_add_f16 v113, v3, v29
	s_delay_alu instid0(VALU_DEP_2) | instskip(NEXT) | instid1(VALU_DEP_1)
	v_pk_min_f16 v108, v108, v112
	v_pk_min_f16 v108, v108, v113
	s_delay_alu instid0(VALU_DEP_1) | instskip(NEXT) | instid1(VALU_DEP_1)
	v_lshrrev_b32_e32 v112, 16, v108
	v_min3_f16 v108, v111, v108, v112
	v_add_co_u32 v111, vcc_lo, v87, v40
	v_add_co_ci_u32_e32 v112, vcc_lo, v110, v41, vcc_lo
	s_and_b32 vcc_lo, exec_lo, s0
	global_store_b16 v[111:112], v108, off
	s_cbranch_vccnz .LBB264_47
; %bb.46:
	v_add_co_u32 v46, vcc_lo, v46, v44
	v_add_co_ci_u32_e32 v47, vcc_lo, v47, v45, vcc_lo
	flat_load_u16 v46, v[46:47]
	s_waitcnt vmcnt(0) lgkmcnt(0)
	v_mul_f16_e32 v109, v48, v46
.LBB264_47:
	v_pk_add_f16 v28, v32, v28
	v_pk_max_f16 v47, v107, v107
	v_pk_add_f16 v29, v33, v29
	v_add_nc_u32_e32 v46, 16, v80
	v_add_co_u32 v111, vcc_lo, v87, v44
	s_delay_alu instid0(VALU_DEP_4) | instskip(SKIP_1) | instid1(VALU_DEP_2)
	v_pk_min_f16 v28, v47, v28
	v_add_co_ci_u32_e32 v112, vcc_lo, v110, v45, vcc_lo
	v_pk_min_f16 v47, v28, v29
	s_delay_alu instid0(VALU_DEP_1) | instskip(NEXT) | instid1(VALU_DEP_1)
	v_lshrrev_b32_e32 v87, 16, v47
	v_min3_f16 v47, v109, v47, v87
	v_mov_b32_e32 v87, 0
	v_mad_i64_i32 v[107:108], null, v46, s5, 0
	global_store_b16 v[111:112], v47, off
	v_lshlrev_b64 v[28:29], 1, v[107:108]
	v_mov_b32_e32 v107, 0
	s_delay_alu instid0(VALU_DEP_2) | instskip(NEXT) | instid1(VALU_DEP_3)
	v_add_co_u32 v28, vcc_lo, s6, v28
	v_add_co_ci_u32_e32 v29, vcc_lo, s7, v29, vcc_lo
	s_and_b32 vcc_lo, exec_lo, s0
	s_cbranch_vccnz .LBB264_49
; %bb.48:
	s_delay_alu instid0(VALU_DEP_2) | instskip(NEXT) | instid1(VALU_DEP_2)
	v_add_co_u32 v107, vcc_lo, v28, v38
	v_add_co_ci_u32_e32 v108, vcc_lo, v29, v39, vcc_lo
	flat_load_u16 v47, v[107:108]
	s_waitcnt vmcnt(0) lgkmcnt(0)
	v_mul_f16_e32 v107, v48, v47
.LBB264_49:
	v_pk_add_f16 v47, v36, v30
	v_pk_max_f16 v106, v106, v106
	v_mad_i64_i32 v[108:109], null, v46, s4, 0
	v_pk_add_f16 v46, v37, v31
	s_delay_alu instid0(VALU_DEP_3) | instskip(NEXT) | instid1(VALU_DEP_1)
	v_pk_min_f16 v47, v106, v47
	v_pk_min_f16 v106, v47, v46
	s_delay_alu instid0(VALU_DEP_4) | instskip(NEXT) | instid1(VALU_DEP_2)
	v_lshlrev_b64 v[46:47], 1, v[108:109]
	v_lshrrev_b32_e32 v108, 16, v106
	s_delay_alu instid0(VALU_DEP_2) | instskip(NEXT) | instid1(VALU_DEP_3)
	v_add_co_u32 v46, vcc_lo, s1, v46
	v_add_co_ci_u32_e32 v47, vcc_lo, s8, v47, vcc_lo
	s_delay_alu instid0(VALU_DEP_3) | instskip(NEXT) | instid1(VALU_DEP_3)
	v_min3_f16 v108, v107, v106, v108
	v_add_co_u32 v106, vcc_lo, v46, v38
	s_delay_alu instid0(VALU_DEP_3)
	v_add_co_ci_u32_e32 v107, vcc_lo, v47, v39, vcc_lo
	s_and_b32 vcc_lo, exec_lo, s0
	global_store_b16 v[106:107], v108, off
	s_cbranch_vccnz .LBB264_51
; %bb.50:
	v_add_co_u32 v106, vcc_lo, v28, v42
	v_add_co_ci_u32_e32 v107, vcc_lo, v29, v43, vcc_lo
	flat_load_u16 v87, v[106:107]
	s_waitcnt vmcnt(0) lgkmcnt(0)
	v_mul_f16_e32 v87, v48, v87
.LBB264_51:
	v_pk_add_f16 v106, v0, v30
	v_pk_max_f16 v105, v105, v105
	v_pk_add_f16 v107, v1, v31
	s_delay_alu instid0(VALU_DEP_2) | instskip(SKIP_1) | instid1(VALU_DEP_2)
	v_pk_min_f16 v105, v105, v106
	v_add_co_u32 v106, vcc_lo, v46, v42
	v_pk_min_f16 v105, v105, v107
	v_add_co_ci_u32_e32 v107, vcc_lo, v47, v43, vcc_lo
	s_and_b32 vcc_lo, exec_lo, s0
	s_delay_alu instid0(VALU_DEP_2) | instskip(NEXT) | instid1(VALU_DEP_1)
	v_lshrrev_b32_e32 v108, 16, v105
	v_min3_f16 v108, v87, v105, v108
	v_mov_b32_e32 v87, 0
	v_mov_b32_e32 v105, 0
	global_store_b16 v[106:107], v108, off
	s_cbranch_vccnz .LBB264_53
; %bb.52:
	v_add_co_u32 v105, vcc_lo, v28, v40
	v_add_co_ci_u32_e32 v106, vcc_lo, v29, v41, vcc_lo
	flat_load_u16 v105, v[105:106]
	s_waitcnt vmcnt(0) lgkmcnt(0)
	v_mul_f16_e32 v105, v48, v105
.LBB264_53:
	v_pk_add_f16 v106, v2, v30
	v_pk_max_f16 v104, v104, v104
	v_pk_add_f16 v107, v3, v31
	s_delay_alu instid0(VALU_DEP_2) | instskip(NEXT) | instid1(VALU_DEP_1)
	v_pk_min_f16 v104, v104, v106
	v_pk_min_f16 v104, v104, v107
	s_delay_alu instid0(VALU_DEP_1) | instskip(NEXT) | instid1(VALU_DEP_1)
	v_lshrrev_b32_e32 v106, 16, v104
	v_min3_f16 v106, v105, v104, v106
	v_add_co_u32 v104, vcc_lo, v46, v40
	v_add_co_ci_u32_e32 v105, vcc_lo, v47, v41, vcc_lo
	s_and_b32 vcc_lo, exec_lo, s0
	global_store_b16 v[104:105], v106, off
	s_cbranch_vccnz .LBB264_55
; %bb.54:
	v_add_co_u32 v28, vcc_lo, v28, v44
	v_add_co_ci_u32_e32 v29, vcc_lo, v29, v45, vcc_lo
	flat_load_u16 v28, v[28:29]
	s_waitcnt vmcnt(0) lgkmcnt(0)
	v_mul_f16_e32 v87, v48, v28
.LBB264_55:
	v_pk_add_f16 v30, v32, v30
	v_pk_max_f16 v103, v103, v103
	v_pk_add_f16 v31, v33, v31
	v_add_nc_u32_e32 v104, 24, v80
	s_delay_alu instid0(VALU_DEP_3) | instskip(NEXT) | instid1(VALU_DEP_1)
	v_pk_min_f16 v30, v103, v30
	v_pk_min_f16 v103, v30, v31
	v_add_co_u32 v30, vcc_lo, v46, v44
	v_add_co_ci_u32_e32 v31, vcc_lo, v47, v45, vcc_lo
	v_mov_b32_e32 v47, 0
	v_mad_i64_i32 v[28:29], null, v104, s5, 0
	v_lshrrev_b32_e32 v46, 16, v103
	s_delay_alu instid0(VALU_DEP_1) | instskip(NEXT) | instid1(VALU_DEP_3)
	v_min3_f16 v87, v87, v103, v46
	v_lshlrev_b64 v[28:29], 1, v[28:29]
	v_mov_b32_e32 v46, 0
	global_store_b16 v[30:31], v87, off
	v_add_co_u32 v28, vcc_lo, s6, v28
	v_add_co_ci_u32_e32 v29, vcc_lo, s7, v29, vcc_lo
	s_and_b32 vcc_lo, exec_lo, s0
	s_cbranch_vccnz .LBB264_57
; %bb.56:
	s_delay_alu instid0(VALU_DEP_2) | instskip(NEXT) | instid1(VALU_DEP_2)
	v_add_co_u32 v30, vcc_lo, v28, v38
	v_add_co_ci_u32_e32 v31, vcc_lo, v29, v39, vcc_lo
	flat_load_u16 v30, v[30:31]
	s_waitcnt vmcnt(0) lgkmcnt(0)
	v_mul_f16_e32 v47, v48, v30
.LBB264_57:
	v_pk_add_f16 v87, v36, v24
	v_pk_max_f16 v102, v102, v102
	v_mad_i64_i32 v[30:31], null, v104, s4, 0
	v_pk_add_f16 v103, v37, v25
	s_delay_alu instid0(VALU_DEP_3) | instskip(NEXT) | instid1(VALU_DEP_3)
	v_pk_min_f16 v87, v102, v87
	v_lshlrev_b64 v[30:31], 1, v[30:31]
	s_delay_alu instid0(VALU_DEP_2) | instskip(NEXT) | instid1(VALU_DEP_2)
	v_pk_min_f16 v87, v87, v103
	v_add_co_u32 v30, vcc_lo, s1, v30
	s_delay_alu instid0(VALU_DEP_2) | instskip(NEXT) | instid1(VALU_DEP_4)
	v_lshrrev_b32_e32 v102, 16, v87
	v_add_co_ci_u32_e32 v31, vcc_lo, s8, v31, vcc_lo
	s_delay_alu instid0(VALU_DEP_2) | instskip(NEXT) | instid1(VALU_DEP_4)
	v_min3_f16 v47, v47, v87, v102
	v_add_co_u32 v102, vcc_lo, v30, v38
	s_delay_alu instid0(VALU_DEP_3)
	v_add_co_ci_u32_e32 v103, vcc_lo, v31, v39, vcc_lo
	s_and_b32 vcc_lo, exec_lo, s0
	global_store_b16 v[102:103], v47, off
	s_cbranch_vccnz .LBB264_59
; %bb.58:
	v_add_co_u32 v46, vcc_lo, v28, v42
	v_add_co_ci_u32_e32 v47, vcc_lo, v29, v43, vcc_lo
	flat_load_u16 v46, v[46:47]
	s_waitcnt vmcnt(0) lgkmcnt(0)
	v_mul_f16_e32 v46, v48, v46
.LBB264_59:
	v_pk_add_f16 v47, v0, v24
	v_pk_max_f16 v87, v101, v101
	v_pk_add_f16 v101, v1, v25
	s_delay_alu instid0(VALU_DEP_2) | instskip(NEXT) | instid1(VALU_DEP_1)
	v_pk_min_f16 v47, v87, v47
	v_pk_min_f16 v47, v47, v101
	v_add_co_u32 v101, vcc_lo, v30, v42
	v_add_co_ci_u32_e32 v102, vcc_lo, v31, v43, vcc_lo
	s_delay_alu instid0(VALU_DEP_3) | instskip(SKIP_1) | instid1(VALU_DEP_1)
	v_lshrrev_b32_e32 v87, 16, v47
	s_and_b32 vcc_lo, exec_lo, s0
	v_min3_f16 v87, v46, v47, v87
	v_dual_mov_b32 v46, 0 :: v_dual_mov_b32 v47, 0
	global_store_b16 v[101:102], v87, off
	s_cbranch_vccnz .LBB264_61
; %bb.60:
	v_add_co_u32 v101, vcc_lo, v28, v40
	v_add_co_ci_u32_e32 v102, vcc_lo, v29, v41, vcc_lo
	flat_load_u16 v47, v[101:102]
	s_waitcnt vmcnt(0) lgkmcnt(0)
	v_mul_f16_e32 v47, v48, v47
.LBB264_61:
	v_pk_add_f16 v87, v2, v24
	v_pk_max_f16 v100, v100, v100
	v_pk_add_f16 v101, v3, v25
	s_delay_alu instid0(VALU_DEP_2) | instskip(NEXT) | instid1(VALU_DEP_1)
	v_pk_min_f16 v87, v100, v87
	v_pk_min_f16 v87, v87, v101
	s_delay_alu instid0(VALU_DEP_1) | instskip(NEXT) | instid1(VALU_DEP_1)
	v_lshrrev_b32_e32 v100, 16, v87
	v_min3_f16 v47, v47, v87, v100
	v_add_co_u32 v100, vcc_lo, v30, v40
	v_add_co_ci_u32_e32 v101, vcc_lo, v31, v41, vcc_lo
	s_and_b32 vcc_lo, exec_lo, s0
	global_store_b16 v[100:101], v47, off
	s_cbranch_vccnz .LBB264_63
; %bb.62:
	v_add_co_u32 v28, vcc_lo, v28, v44
	v_add_co_ci_u32_e32 v29, vcc_lo, v29, v45, vcc_lo
	flat_load_u16 v28, v[28:29]
	s_waitcnt vmcnt(0) lgkmcnt(0)
	v_mul_f16_e32 v46, v48, v28
.LBB264_63:
	v_add_nc_u32_e32 v28, 32, v80
	v_pk_add_f16 v24, v32, v24
	v_pk_max_f16 v29, v99, v99
	v_pk_add_f16 v25, v33, v25
	s_delay_alu instid0(VALU_DEP_4) | instskip(NEXT) | instid1(VALU_DEP_3)
	v_mad_i64_i32 v[99:100], null, v28, s5, 0
	v_pk_min_f16 v24, v29, v24
	s_delay_alu instid0(VALU_DEP_1) | instskip(NEXT) | instid1(VALU_DEP_3)
	v_pk_min_f16 v29, v24, v25
	v_lshlrev_b64 v[24:25], 1, v[99:100]
	v_add_co_u32 v99, vcc_lo, v30, v44
	v_add_co_ci_u32_e32 v100, vcc_lo, v31, v45, vcc_lo
	v_mov_b32_e32 v31, 0
	v_lshrrev_b32_e32 v30, 16, v29
	v_add_co_u32 v24, vcc_lo, s6, v24
	v_add_co_ci_u32_e32 v25, vcc_lo, s7, v25, vcc_lo
	s_delay_alu instid0(VALU_DEP_3)
	v_min3_f16 v29, v46, v29, v30
	v_mov_b32_e32 v30, 0
	s_and_b32 vcc_lo, exec_lo, s0
	global_store_b16 v[99:100], v29, off
	s_cbranch_vccnz .LBB264_65
; %bb.64:
	v_add_co_u32 v46, vcc_lo, v24, v38
	v_add_co_ci_u32_e32 v47, vcc_lo, v25, v39, vcc_lo
	flat_load_u16 v29, v[46:47]
	s_waitcnt vmcnt(0) lgkmcnt(0)
	v_mul_f16_e32 v31, v48, v29
.LBB264_65:
	v_pk_add_f16 v29, v36, v26
	v_pk_max_f16 v87, v98, v98
	v_mad_i64_i32 v[46:47], null, v28, s4, 0
	v_pk_add_f16 v28, v37, v27
	s_delay_alu instid0(VALU_DEP_3) | instskip(NEXT) | instid1(VALU_DEP_1)
	v_pk_min_f16 v29, v87, v29
	v_pk_min_f16 v87, v29, v28
	s_delay_alu instid0(VALU_DEP_4) | instskip(NEXT) | instid1(VALU_DEP_2)
	v_lshlrev_b64 v[28:29], 1, v[46:47]
	v_lshrrev_b32_e32 v46, 16, v87
	s_delay_alu instid0(VALU_DEP_2) | instskip(NEXT) | instid1(VALU_DEP_3)
	v_add_co_u32 v28, vcc_lo, s1, v28
	v_add_co_ci_u32_e32 v29, vcc_lo, s8, v29, vcc_lo
	s_delay_alu instid0(VALU_DEP_3) | instskip(NEXT) | instid1(VALU_DEP_3)
	v_min3_f16 v31, v31, v87, v46
	v_add_co_u32 v46, vcc_lo, v28, v38
	s_delay_alu instid0(VALU_DEP_3)
	v_add_co_ci_u32_e32 v47, vcc_lo, v29, v39, vcc_lo
	s_and_b32 vcc_lo, exec_lo, s0
	global_store_b16 v[46:47], v31, off
	s_cbranch_vccnz .LBB264_67
; %bb.66:
	v_add_co_u32 v30, vcc_lo, v24, v42
	v_add_co_ci_u32_e32 v31, vcc_lo, v25, v43, vcc_lo
	flat_load_u16 v30, v[30:31]
	s_waitcnt vmcnt(0) lgkmcnt(0)
	v_mul_f16_e32 v30, v48, v30
.LBB264_67:
	v_pk_add_f16 v31, v0, v26
	v_pk_max_f16 v46, v97, v97
	v_pk_add_f16 v47, v1, v27
	s_delay_alu instid0(VALU_DEP_2) | instskip(SKIP_1) | instid1(VALU_DEP_2)
	v_pk_min_f16 v31, v46, v31
	v_add_co_u32 v46, vcc_lo, v28, v42
	v_pk_min_f16 v31, v31, v47
	v_add_co_ci_u32_e32 v47, vcc_lo, v29, v43, vcc_lo
	s_and_b32 vcc_lo, exec_lo, s0
	s_delay_alu instid0(VALU_DEP_2) | instskip(NEXT) | instid1(VALU_DEP_1)
	v_lshrrev_b32_e32 v87, 16, v31
	v_min3_f16 v87, v30, v31, v87
	v_dual_mov_b32 v30, 0 :: v_dual_mov_b32 v31, 0
	global_store_b16 v[46:47], v87, off
	s_cbranch_vccnz .LBB264_69
; %bb.68:
	v_add_co_u32 v46, vcc_lo, v24, v40
	v_add_co_ci_u32_e32 v47, vcc_lo, v25, v41, vcc_lo
	flat_load_u16 v31, v[46:47]
	s_waitcnt vmcnt(0) lgkmcnt(0)
	v_mul_f16_e32 v31, v48, v31
.LBB264_69:
	v_pk_add_f16 v46, v2, v26
	v_pk_max_f16 v47, v96, v96
	v_pk_add_f16 v87, v3, v27
	s_delay_alu instid0(VALU_DEP_2) | instskip(NEXT) | instid1(VALU_DEP_1)
	v_pk_min_f16 v46, v47, v46
	v_pk_min_f16 v46, v46, v87
	s_delay_alu instid0(VALU_DEP_1) | instskip(NEXT) | instid1(VALU_DEP_1)
	v_lshrrev_b32_e32 v47, 16, v46
	v_min3_f16 v31, v31, v46, v47
	v_add_co_u32 v46, vcc_lo, v28, v40
	v_add_co_ci_u32_e32 v47, vcc_lo, v29, v41, vcc_lo
	s_and_b32 vcc_lo, exec_lo, s0
	global_store_b16 v[46:47], v31, off
	s_cbranch_vccnz .LBB264_71
; %bb.70:
	v_add_co_u32 v24, vcc_lo, v24, v44
	v_add_co_ci_u32_e32 v25, vcc_lo, v25, v45, vcc_lo
	flat_load_u16 v24, v[24:25]
	s_waitcnt vmcnt(0) lgkmcnt(0)
	v_mul_f16_e32 v30, v48, v24
.LBB264_71:
	v_pk_add_f16 v26, v32, v26
	v_pk_max_f16 v46, v95, v95
	v_pk_add_f16 v27, v33, v27
	v_add_nc_u32_e32 v31, 40, v80
	s_delay_alu instid0(VALU_DEP_3) | instskip(NEXT) | instid1(VALU_DEP_1)
	v_pk_min_f16 v26, v46, v26
	v_pk_min_f16 v46, v26, v27
	v_add_co_u32 v26, vcc_lo, v28, v44
	v_add_co_ci_u32_e32 v27, vcc_lo, v29, v45, vcc_lo
	s_delay_alu instid0(VALU_DEP_3) | instskip(SKIP_1) | instid1(VALU_DEP_2)
	v_lshrrev_b32_e32 v28, 16, v46
	v_mov_b32_e32 v29, 0
	v_min3_f16 v30, v30, v46, v28
	v_mov_b32_e32 v28, 0
	v_mad_i64_i32 v[24:25], null, v31, s5, 0
	global_store_b16 v[26:27], v30, off
	v_lshlrev_b64 v[24:25], 1, v[24:25]
	s_delay_alu instid0(VALU_DEP_1) | instskip(NEXT) | instid1(VALU_DEP_2)
	v_add_co_u32 v24, vcc_lo, s6, v24
	v_add_co_ci_u32_e32 v25, vcc_lo, s7, v25, vcc_lo
	s_and_b32 vcc_lo, exec_lo, s0
	s_cbranch_vccnz .LBB264_73
; %bb.72:
	s_delay_alu instid0(VALU_DEP_2) | instskip(NEXT) | instid1(VALU_DEP_2)
	v_add_co_u32 v26, vcc_lo, v24, v38
	v_add_co_ci_u32_e32 v27, vcc_lo, v25, v39, vcc_lo
	flat_load_u16 v26, v[26:27]
	s_waitcnt vmcnt(0) lgkmcnt(0)
	v_mul_f16_e32 v29, v48, v26
.LBB264_73:
	v_pk_add_f16 v30, v36, v20
	v_pk_max_f16 v46, v94, v94
	v_mad_i64_i32 v[26:27], null, v31, s4, 0
	v_pk_add_f16 v31, v37, v21
	s_delay_alu instid0(VALU_DEP_3) | instskip(NEXT) | instid1(VALU_DEP_3)
	v_pk_min_f16 v30, v46, v30
	v_lshlrev_b64 v[26:27], 1, v[26:27]
	s_delay_alu instid0(VALU_DEP_2) | instskip(NEXT) | instid1(VALU_DEP_2)
	v_pk_min_f16 v30, v30, v31
	v_add_co_u32 v26, vcc_lo, s1, v26
	s_delay_alu instid0(VALU_DEP_2) | instskip(NEXT) | instid1(VALU_DEP_4)
	v_lshrrev_b32_e32 v31, 16, v30
	v_add_co_ci_u32_e32 v27, vcc_lo, s8, v27, vcc_lo
	s_delay_alu instid0(VALU_DEP_2) | instskip(NEXT) | instid1(VALU_DEP_4)
	v_min3_f16 v31, v29, v30, v31
	v_add_co_u32 v29, vcc_lo, v26, v38
	s_delay_alu instid0(VALU_DEP_3)
	v_add_co_ci_u32_e32 v30, vcc_lo, v27, v39, vcc_lo
	s_and_b32 vcc_lo, exec_lo, s0
	global_store_b16 v[29:30], v31, off
	s_cbranch_vccnz .LBB264_75
; %bb.74:
	v_add_co_u32 v28, vcc_lo, v24, v42
	v_add_co_ci_u32_e32 v29, vcc_lo, v25, v43, vcc_lo
	flat_load_u16 v28, v[28:29]
	s_waitcnt vmcnt(0) lgkmcnt(0)
	v_mul_f16_e32 v28, v48, v28
.LBB264_75:
	v_pk_add_f16 v29, v0, v20
	v_pk_max_f16 v30, v93, v93
	v_pk_add_f16 v31, v1, v21
	s_delay_alu instid0(VALU_DEP_2) | instskip(SKIP_1) | instid1(VALU_DEP_2)
	v_pk_min_f16 v29, v30, v29
	v_add_co_u32 v30, vcc_lo, v26, v42
	v_pk_min_f16 v29, v29, v31
	v_add_co_ci_u32_e32 v31, vcc_lo, v27, v43, vcc_lo
	s_and_b32 vcc_lo, exec_lo, s0
	s_delay_alu instid0(VALU_DEP_2) | instskip(NEXT) | instid1(VALU_DEP_1)
	v_lshrrev_b32_e32 v46, 16, v29
	v_min3_f16 v46, v28, v29, v46
	v_dual_mov_b32 v28, 0 :: v_dual_mov_b32 v29, 0
	global_store_b16 v[30:31], v46, off
	s_cbranch_vccnz .LBB264_77
; %bb.76:
	v_add_co_u32 v29, vcc_lo, v24, v40
	v_add_co_ci_u32_e32 v30, vcc_lo, v25, v41, vcc_lo
	flat_load_u16 v29, v[29:30]
	s_waitcnt vmcnt(0) lgkmcnt(0)
	v_mul_f16_e32 v29, v48, v29
.LBB264_77:
	v_pk_add_f16 v30, v2, v20
	v_pk_max_f16 v31, v92, v92
	v_pk_add_f16 v46, v3, v21
	s_delay_alu instid0(VALU_DEP_2) | instskip(NEXT) | instid1(VALU_DEP_1)
	v_pk_min_f16 v30, v31, v30
	v_pk_min_f16 v30, v30, v46
	s_delay_alu instid0(VALU_DEP_1) | instskip(NEXT) | instid1(VALU_DEP_1)
	v_lshrrev_b32_e32 v31, 16, v30
	v_min3_f16 v31, v29, v30, v31
	v_add_co_u32 v29, vcc_lo, v26, v40
	v_add_co_ci_u32_e32 v30, vcc_lo, v27, v41, vcc_lo
	s_and_b32 vcc_lo, exec_lo, s0
	global_store_b16 v[29:30], v31, off
	s_cbranch_vccnz .LBB264_79
; %bb.78:
	v_add_co_u32 v24, vcc_lo, v24, v44
	v_add_co_ci_u32_e32 v25, vcc_lo, v25, v45, vcc_lo
	flat_load_u16 v24, v[24:25]
	s_waitcnt vmcnt(0) lgkmcnt(0)
	v_mul_f16_e32 v28, v48, v24
.LBB264_79:
	v_add_nc_u32_e32 v24, 48, v80
	v_pk_add_f16 v20, v32, v20
	v_pk_max_f16 v25, v91, v91
	v_pk_add_f16 v21, v33, v21
	s_delay_alu instid0(VALU_DEP_4) | instskip(NEXT) | instid1(VALU_DEP_3)
	v_mad_i64_i32 v[29:30], null, v24, s5, 0
	v_pk_min_f16 v20, v25, v20
	s_delay_alu instid0(VALU_DEP_1) | instskip(NEXT) | instid1(VALU_DEP_3)
	v_pk_min_f16 v25, v20, v21
	v_lshlrev_b64 v[20:21], 1, v[29:30]
	v_add_co_u32 v29, vcc_lo, v26, v44
	v_add_co_ci_u32_e32 v30, vcc_lo, v27, v45, vcc_lo
	v_mov_b32_e32 v27, 0
	v_lshrrev_b32_e32 v26, 16, v25
	v_add_co_u32 v20, vcc_lo, s6, v20
	v_add_co_ci_u32_e32 v21, vcc_lo, s7, v21, vcc_lo
	s_delay_alu instid0(VALU_DEP_3)
	v_min3_f16 v25, v28, v25, v26
	v_mov_b32_e32 v26, 0
	s_and_b32 vcc_lo, exec_lo, s0
	global_store_b16 v[29:30], v25, off
	s_cbranch_vccnz .LBB264_81
; %bb.80:
	v_add_co_u32 v27, vcc_lo, v20, v38
	v_add_co_ci_u32_e32 v28, vcc_lo, v21, v39, vcc_lo
	flat_load_u16 v25, v[27:28]
	s_waitcnt vmcnt(0) lgkmcnt(0)
	v_mul_f16_e32 v27, v48, v25
.LBB264_81:
	v_pk_add_f16 v25, v36, v22
	v_pk_max_f16 v30, v90, v90
	v_mad_i64_i32 v[28:29], null, v24, s4, 0
	v_pk_add_f16 v24, v37, v23
	s_delay_alu instid0(VALU_DEP_3) | instskip(NEXT) | instid1(VALU_DEP_1)
	v_pk_min_f16 v25, v30, v25
	v_pk_min_f16 v30, v25, v24
	s_delay_alu instid0(VALU_DEP_4) | instskip(NEXT) | instid1(VALU_DEP_2)
	v_lshlrev_b64 v[24:25], 1, v[28:29]
	v_lshrrev_b32_e32 v28, 16, v30
	s_delay_alu instid0(VALU_DEP_2) | instskip(NEXT) | instid1(VALU_DEP_3)
	v_add_co_u32 v24, vcc_lo, s1, v24
	v_add_co_ci_u32_e32 v25, vcc_lo, s8, v25, vcc_lo
	s_delay_alu instid0(VALU_DEP_3) | instskip(NEXT) | instid1(VALU_DEP_3)
	v_min3_f16 v29, v27, v30, v28
	v_add_co_u32 v27, vcc_lo, v24, v38
	s_delay_alu instid0(VALU_DEP_3)
	v_add_co_ci_u32_e32 v28, vcc_lo, v25, v39, vcc_lo
	s_and_b32 vcc_lo, exec_lo, s0
	global_store_b16 v[27:28], v29, off
	s_cbranch_vccnz .LBB264_83
; %bb.82:
	v_add_co_u32 v26, vcc_lo, v20, v42
	v_add_co_ci_u32_e32 v27, vcc_lo, v21, v43, vcc_lo
	flat_load_u16 v26, v[26:27]
	s_waitcnt vmcnt(0) lgkmcnt(0)
	v_mul_f16_e32 v26, v48, v26
.LBB264_83:
	v_pk_add_f16 v27, v0, v22
	v_pk_max_f16 v28, v89, v89
	v_pk_add_f16 v29, v1, v23
	s_delay_alu instid0(VALU_DEP_2) | instskip(SKIP_1) | instid1(VALU_DEP_2)
	v_pk_min_f16 v27, v28, v27
	v_add_co_u32 v28, vcc_lo, v24, v42
	v_pk_min_f16 v27, v27, v29
	v_add_co_ci_u32_e32 v29, vcc_lo, v25, v43, vcc_lo
	s_and_b32 vcc_lo, exec_lo, s0
	s_delay_alu instid0(VALU_DEP_2) | instskip(NEXT) | instid1(VALU_DEP_1)
	v_lshrrev_b32_e32 v30, 16, v27
	v_min3_f16 v30, v26, v27, v30
	v_dual_mov_b32 v26, 0 :: v_dual_mov_b32 v27, 0
	global_store_b16 v[28:29], v30, off
	s_cbranch_vccnz .LBB264_85
; %bb.84:
	v_add_co_u32 v27, vcc_lo, v20, v40
	v_add_co_ci_u32_e32 v28, vcc_lo, v21, v41, vcc_lo
	flat_load_u16 v27, v[27:28]
	s_waitcnt vmcnt(0) lgkmcnt(0)
	v_mul_f16_e32 v27, v48, v27
.LBB264_85:
	v_pk_add_f16 v28, v2, v22
	v_pk_max_f16 v29, v88, v88
	v_pk_add_f16 v30, v3, v23
	s_delay_alu instid0(VALU_DEP_2) | instskip(NEXT) | instid1(VALU_DEP_1)
	v_pk_min_f16 v28, v29, v28
	v_pk_min_f16 v28, v28, v30
	s_delay_alu instid0(VALU_DEP_1) | instskip(NEXT) | instid1(VALU_DEP_1)
	v_lshrrev_b32_e32 v29, 16, v28
	v_min3_f16 v29, v27, v28, v29
	v_add_co_u32 v27, vcc_lo, v24, v40
	v_add_co_ci_u32_e32 v28, vcc_lo, v25, v41, vcc_lo
	s_and_b32 vcc_lo, exec_lo, s0
	global_store_b16 v[27:28], v29, off
	s_cbranch_vccnz .LBB264_87
; %bb.86:
	v_add_co_u32 v20, vcc_lo, v20, v44
	v_add_co_ci_u32_e32 v21, vcc_lo, v21, v45, vcc_lo
	flat_load_u16 v20, v[20:21]
	s_waitcnt vmcnt(0) lgkmcnt(0)
	v_mul_f16_e32 v26, v48, v20
.LBB264_87:
	v_pk_add_f16 v22, v32, v22
	v_pk_max_f16 v28, v86, v86
	v_pk_add_f16 v23, v33, v23
	v_add_nc_u32_e32 v27, 56, v80
	s_delay_alu instid0(VALU_DEP_3) | instskip(NEXT) | instid1(VALU_DEP_1)
	v_pk_min_f16 v22, v28, v22
	v_pk_min_f16 v28, v22, v23
	v_add_co_u32 v22, vcc_lo, v24, v44
	v_add_co_ci_u32_e32 v23, vcc_lo, v25, v45, vcc_lo
	s_delay_alu instid0(VALU_DEP_3) | instskip(SKIP_1) | instid1(VALU_DEP_2)
	v_lshrrev_b32_e32 v24, 16, v28
	v_mov_b32_e32 v25, 0
	v_min3_f16 v26, v26, v28, v24
	v_mov_b32_e32 v24, 0
	v_mad_i64_i32 v[20:21], null, v27, s5, 0
	global_store_b16 v[22:23], v26, off
	v_lshlrev_b64 v[20:21], 1, v[20:21]
	s_delay_alu instid0(VALU_DEP_1) | instskip(NEXT) | instid1(VALU_DEP_2)
	v_add_co_u32 v20, vcc_lo, s6, v20
	v_add_co_ci_u32_e32 v21, vcc_lo, s7, v21, vcc_lo
	s_and_b32 vcc_lo, exec_lo, s0
	s_cbranch_vccnz .LBB264_89
; %bb.88:
	s_delay_alu instid0(VALU_DEP_2) | instskip(NEXT) | instid1(VALU_DEP_2)
	v_add_co_u32 v22, vcc_lo, v20, v38
	v_add_co_ci_u32_e32 v23, vcc_lo, v21, v39, vcc_lo
	flat_load_u16 v22, v[22:23]
	s_waitcnt vmcnt(0) lgkmcnt(0)
	v_mul_f16_e32 v25, v48, v22
.LBB264_89:
	v_pk_add_f16 v26, v36, v16
	v_pk_max_f16 v28, v85, v85
	v_mad_i64_i32 v[22:23], null, v27, s4, 0
	v_pk_add_f16 v27, v37, v17
	s_delay_alu instid0(VALU_DEP_3) | instskip(NEXT) | instid1(VALU_DEP_3)
	v_pk_min_f16 v26, v28, v26
	v_lshlrev_b64 v[22:23], 1, v[22:23]
	s_delay_alu instid0(VALU_DEP_2) | instskip(NEXT) | instid1(VALU_DEP_2)
	v_pk_min_f16 v26, v26, v27
	v_add_co_u32 v22, vcc_lo, s1, v22
	s_delay_alu instid0(VALU_DEP_2) | instskip(NEXT) | instid1(VALU_DEP_4)
	v_lshrrev_b32_e32 v27, 16, v26
	v_add_co_ci_u32_e32 v23, vcc_lo, s8, v23, vcc_lo
	s_delay_alu instid0(VALU_DEP_2) | instskip(NEXT) | instid1(VALU_DEP_4)
	v_min3_f16 v27, v25, v26, v27
	v_add_co_u32 v25, vcc_lo, v22, v38
	s_delay_alu instid0(VALU_DEP_3)
	v_add_co_ci_u32_e32 v26, vcc_lo, v23, v39, vcc_lo
	s_and_b32 vcc_lo, exec_lo, s0
	global_store_b16 v[25:26], v27, off
	s_cbranch_vccnz .LBB264_91
; %bb.90:
	v_add_co_u32 v24, vcc_lo, v20, v42
	v_add_co_ci_u32_e32 v25, vcc_lo, v21, v43, vcc_lo
	flat_load_u16 v24, v[24:25]
	s_waitcnt vmcnt(0) lgkmcnt(0)
	v_mul_f16_e32 v24, v48, v24
.LBB264_91:
	v_pk_add_f16 v25, v0, v16
	v_pk_max_f16 v26, v83, v83
	v_pk_add_f16 v27, v1, v17
	s_delay_alu instid0(VALU_DEP_2) | instskip(SKIP_1) | instid1(VALU_DEP_2)
	v_pk_min_f16 v25, v26, v25
	v_add_co_u32 v26, vcc_lo, v22, v42
	v_pk_min_f16 v25, v25, v27
	v_add_co_ci_u32_e32 v27, vcc_lo, v23, v43, vcc_lo
	s_and_b32 vcc_lo, exec_lo, s0
	s_delay_alu instid0(VALU_DEP_2) | instskip(NEXT) | instid1(VALU_DEP_1)
	v_lshrrev_b32_e32 v28, 16, v25
	v_min3_f16 v28, v24, v25, v28
	v_dual_mov_b32 v24, 0 :: v_dual_mov_b32 v25, 0
	global_store_b16 v[26:27], v28, off
	s_cbranch_vccnz .LBB264_93
; %bb.92:
	v_add_co_u32 v25, vcc_lo, v20, v40
	v_add_co_ci_u32_e32 v26, vcc_lo, v21, v41, vcc_lo
	flat_load_u16 v25, v[25:26]
	s_waitcnt vmcnt(0) lgkmcnt(0)
	v_mul_f16_e32 v25, v48, v25
.LBB264_93:
	v_pk_add_f16 v26, v2, v16
	v_pk_max_f16 v27, v84, v84
	v_pk_add_f16 v28, v3, v17
	s_delay_alu instid0(VALU_DEP_2) | instskip(NEXT) | instid1(VALU_DEP_1)
	v_pk_min_f16 v26, v27, v26
	v_pk_min_f16 v26, v26, v28
	s_delay_alu instid0(VALU_DEP_1) | instskip(NEXT) | instid1(VALU_DEP_1)
	v_lshrrev_b32_e32 v27, 16, v26
	v_min3_f16 v27, v25, v26, v27
	v_add_co_u32 v25, vcc_lo, v22, v40
	v_add_co_ci_u32_e32 v26, vcc_lo, v23, v41, vcc_lo
	s_and_b32 vcc_lo, exec_lo, s0
	global_store_b16 v[25:26], v27, off
	s_cbranch_vccnz .LBB264_95
; %bb.94:
	v_add_co_u32 v20, vcc_lo, v20, v44
	v_add_co_ci_u32_e32 v21, vcc_lo, v21, v45, vcc_lo
	flat_load_u16 v20, v[20:21]
	s_waitcnt vmcnt(0) lgkmcnt(0)
	v_mul_f16_e32 v24, v48, v20
.LBB264_95:
	v_add_nc_u32_e32 v20, 64, v80
	v_pk_add_f16 v16, v32, v16
	v_pk_max_f16 v21, v82, v82
	v_pk_add_f16 v17, v33, v17
	s_delay_alu instid0(VALU_DEP_4) | instskip(NEXT) | instid1(VALU_DEP_3)
	v_mad_i64_i32 v[25:26], null, v20, s5, 0
	v_pk_min_f16 v16, v21, v16
	s_delay_alu instid0(VALU_DEP_1) | instskip(NEXT) | instid1(VALU_DEP_3)
	v_pk_min_f16 v21, v16, v17
	v_lshlrev_b64 v[16:17], 1, v[25:26]
	v_add_co_u32 v25, vcc_lo, v22, v44
	v_add_co_ci_u32_e32 v26, vcc_lo, v23, v45, vcc_lo
	v_mov_b32_e32 v23, 0
	v_lshrrev_b32_e32 v22, 16, v21
	v_add_co_u32 v16, vcc_lo, s6, v16
	v_add_co_ci_u32_e32 v17, vcc_lo, s7, v17, vcc_lo
	s_delay_alu instid0(VALU_DEP_3)
	v_min3_f16 v21, v24, v21, v22
	v_mov_b32_e32 v22, 0
	s_and_b32 vcc_lo, exec_lo, s0
	global_store_b16 v[25:26], v21, off
	s_cbranch_vccnz .LBB264_97
; %bb.96:
	v_add_co_u32 v23, vcc_lo, v16, v38
	v_add_co_ci_u32_e32 v24, vcc_lo, v17, v39, vcc_lo
	flat_load_u16 v21, v[23:24]
	s_waitcnt vmcnt(0) lgkmcnt(0)
	v_mul_f16_e32 v23, v48, v21
.LBB264_97:
	v_pk_add_f16 v21, v36, v18
	v_pk_max_f16 v26, v81, v81
	v_mad_i64_i32 v[24:25], null, v20, s4, 0
	v_pk_add_f16 v20, v37, v19
	s_delay_alu instid0(VALU_DEP_3) | instskip(NEXT) | instid1(VALU_DEP_1)
	v_pk_min_f16 v21, v26, v21
	v_pk_min_f16 v26, v21, v20
	s_delay_alu instid0(VALU_DEP_4) | instskip(NEXT) | instid1(VALU_DEP_2)
	v_lshlrev_b64 v[20:21], 1, v[24:25]
	v_lshrrev_b32_e32 v24, 16, v26
	s_delay_alu instid0(VALU_DEP_2) | instskip(NEXT) | instid1(VALU_DEP_3)
	v_add_co_u32 v20, vcc_lo, s1, v20
	v_add_co_ci_u32_e32 v21, vcc_lo, s8, v21, vcc_lo
	s_delay_alu instid0(VALU_DEP_3) | instskip(NEXT) | instid1(VALU_DEP_3)
	v_min3_f16 v25, v23, v26, v24
	v_add_co_u32 v23, vcc_lo, v20, v38
	s_delay_alu instid0(VALU_DEP_3)
	v_add_co_ci_u32_e32 v24, vcc_lo, v21, v39, vcc_lo
	s_and_b32 vcc_lo, exec_lo, s0
	global_store_b16 v[23:24], v25, off
	s_cbranch_vccnz .LBB264_99
; %bb.98:
	v_add_co_u32 v22, vcc_lo, v16, v42
	v_add_co_ci_u32_e32 v23, vcc_lo, v17, v43, vcc_lo
	flat_load_u16 v22, v[22:23]
	s_waitcnt vmcnt(0) lgkmcnt(0)
	v_mul_f16_e32 v22, v48, v22
.LBB264_99:
	v_pk_add_f16 v23, v0, v18
	v_pk_max_f16 v24, v79, v79
	v_pk_add_f16 v25, v1, v19
	s_delay_alu instid0(VALU_DEP_2) | instskip(SKIP_1) | instid1(VALU_DEP_2)
	v_pk_min_f16 v23, v24, v23
	v_add_co_u32 v24, vcc_lo, v20, v42
	v_pk_min_f16 v23, v23, v25
	v_add_co_ci_u32_e32 v25, vcc_lo, v21, v43, vcc_lo
	s_and_b32 vcc_lo, exec_lo, s0
	s_delay_alu instid0(VALU_DEP_2) | instskip(NEXT) | instid1(VALU_DEP_1)
	v_lshrrev_b32_e32 v26, 16, v23
	v_min3_f16 v26, v22, v23, v26
	v_dual_mov_b32 v22, 0 :: v_dual_mov_b32 v23, 0
	global_store_b16 v[24:25], v26, off
	s_cbranch_vccnz .LBB264_101
; %bb.100:
	v_add_co_u32 v23, vcc_lo, v16, v40
	v_add_co_ci_u32_e32 v24, vcc_lo, v17, v41, vcc_lo
	flat_load_u16 v23, v[23:24]
	s_waitcnt vmcnt(0) lgkmcnt(0)
	v_mul_f16_e32 v23, v48, v23
.LBB264_101:
	v_pk_add_f16 v24, v2, v18
	v_pk_max_f16 v25, v78, v78
	v_pk_add_f16 v26, v3, v19
	s_delay_alu instid0(VALU_DEP_2) | instskip(NEXT) | instid1(VALU_DEP_1)
	v_pk_min_f16 v24, v25, v24
	v_pk_min_f16 v24, v24, v26
	s_delay_alu instid0(VALU_DEP_1) | instskip(NEXT) | instid1(VALU_DEP_1)
	v_lshrrev_b32_e32 v25, 16, v24
	v_min3_f16 v25, v23, v24, v25
	v_add_co_u32 v23, vcc_lo, v20, v40
	v_add_co_ci_u32_e32 v24, vcc_lo, v21, v41, vcc_lo
	s_and_b32 vcc_lo, exec_lo, s0
	global_store_b16 v[23:24], v25, off
	s_cbranch_vccnz .LBB264_103
; %bb.102:
	v_add_co_u32 v16, vcc_lo, v16, v44
	v_add_co_ci_u32_e32 v17, vcc_lo, v17, v45, vcc_lo
	flat_load_u16 v16, v[16:17]
	s_waitcnt vmcnt(0) lgkmcnt(0)
	v_mul_f16_e32 v22, v48, v16
.LBB264_103:
	v_pk_add_f16 v18, v32, v18
	v_pk_max_f16 v24, v77, v77
	v_pk_add_f16 v19, v33, v19
	v_add_nc_u32_e32 v23, 0x48, v80
	s_delay_alu instid0(VALU_DEP_3) | instskip(NEXT) | instid1(VALU_DEP_1)
	v_pk_min_f16 v18, v24, v18
	v_pk_min_f16 v24, v18, v19
	v_add_co_u32 v18, vcc_lo, v20, v44
	v_add_co_ci_u32_e32 v19, vcc_lo, v21, v45, vcc_lo
	s_delay_alu instid0(VALU_DEP_3) | instskip(SKIP_1) | instid1(VALU_DEP_2)
	v_lshrrev_b32_e32 v20, 16, v24
	v_mov_b32_e32 v21, 0
	v_min3_f16 v22, v22, v24, v20
	v_mov_b32_e32 v20, 0
	v_mad_i64_i32 v[16:17], null, v23, s5, 0
	global_store_b16 v[18:19], v22, off
	v_lshlrev_b64 v[16:17], 1, v[16:17]
	s_delay_alu instid0(VALU_DEP_1) | instskip(NEXT) | instid1(VALU_DEP_2)
	v_add_co_u32 v16, vcc_lo, s6, v16
	v_add_co_ci_u32_e32 v17, vcc_lo, s7, v17, vcc_lo
	s_and_b32 vcc_lo, exec_lo, s0
	s_cbranch_vccnz .LBB264_105
; %bb.104:
	s_delay_alu instid0(VALU_DEP_2) | instskip(NEXT) | instid1(VALU_DEP_2)
	v_add_co_u32 v18, vcc_lo, v16, v38
	v_add_co_ci_u32_e32 v19, vcc_lo, v17, v39, vcc_lo
	flat_load_u16 v18, v[18:19]
	s_waitcnt vmcnt(0) lgkmcnt(0)
	v_mul_f16_e32 v21, v48, v18
.LBB264_105:
	v_pk_add_f16 v22, v36, v12
	v_pk_max_f16 v24, v76, v76
	v_mad_i64_i32 v[18:19], null, v23, s4, 0
	v_pk_add_f16 v23, v37, v13
	s_delay_alu instid0(VALU_DEP_3) | instskip(NEXT) | instid1(VALU_DEP_3)
	v_pk_min_f16 v22, v24, v22
	v_lshlrev_b64 v[18:19], 1, v[18:19]
	s_delay_alu instid0(VALU_DEP_2) | instskip(NEXT) | instid1(VALU_DEP_2)
	v_pk_min_f16 v22, v22, v23
	v_add_co_u32 v18, vcc_lo, s1, v18
	s_delay_alu instid0(VALU_DEP_2) | instskip(NEXT) | instid1(VALU_DEP_4)
	v_lshrrev_b32_e32 v23, 16, v22
	v_add_co_ci_u32_e32 v19, vcc_lo, s8, v19, vcc_lo
	s_delay_alu instid0(VALU_DEP_2) | instskip(NEXT) | instid1(VALU_DEP_4)
	v_min3_f16 v23, v21, v22, v23
	v_add_co_u32 v21, vcc_lo, v18, v38
	s_delay_alu instid0(VALU_DEP_3)
	v_add_co_ci_u32_e32 v22, vcc_lo, v19, v39, vcc_lo
	s_and_b32 vcc_lo, exec_lo, s0
	global_store_b16 v[21:22], v23, off
	s_cbranch_vccnz .LBB264_107
; %bb.106:
	v_add_co_u32 v20, vcc_lo, v16, v42
	v_add_co_ci_u32_e32 v21, vcc_lo, v17, v43, vcc_lo
	flat_load_u16 v20, v[20:21]
	s_waitcnt vmcnt(0) lgkmcnt(0)
	v_mul_f16_e32 v20, v48, v20
.LBB264_107:
	v_pk_add_f16 v21, v0, v12
	v_pk_max_f16 v22, v75, v75
	v_pk_add_f16 v23, v1, v13
	s_delay_alu instid0(VALU_DEP_2) | instskip(SKIP_1) | instid1(VALU_DEP_2)
	v_pk_min_f16 v21, v22, v21
	v_add_co_u32 v22, vcc_lo, v18, v42
	v_pk_min_f16 v21, v21, v23
	v_add_co_ci_u32_e32 v23, vcc_lo, v19, v43, vcc_lo
	s_and_b32 vcc_lo, exec_lo, s0
	s_delay_alu instid0(VALU_DEP_2) | instskip(NEXT) | instid1(VALU_DEP_1)
	v_lshrrev_b32_e32 v24, 16, v21
	v_min3_f16 v24, v20, v21, v24
	v_dual_mov_b32 v20, 0 :: v_dual_mov_b32 v21, 0
	global_store_b16 v[22:23], v24, off
	s_cbranch_vccnz .LBB264_109
; %bb.108:
	v_add_co_u32 v21, vcc_lo, v16, v40
	v_add_co_ci_u32_e32 v22, vcc_lo, v17, v41, vcc_lo
	flat_load_u16 v21, v[21:22]
	s_waitcnt vmcnt(0) lgkmcnt(0)
	v_mul_f16_e32 v21, v48, v21
.LBB264_109:
	v_pk_add_f16 v22, v2, v12
	v_pk_max_f16 v23, v74, v74
	v_pk_add_f16 v24, v3, v13
	s_delay_alu instid0(VALU_DEP_2) | instskip(NEXT) | instid1(VALU_DEP_1)
	v_pk_min_f16 v22, v23, v22
	v_pk_min_f16 v22, v22, v24
	s_delay_alu instid0(VALU_DEP_1) | instskip(NEXT) | instid1(VALU_DEP_1)
	v_lshrrev_b32_e32 v23, 16, v22
	v_min3_f16 v23, v21, v22, v23
	v_add_co_u32 v21, vcc_lo, v18, v40
	v_add_co_ci_u32_e32 v22, vcc_lo, v19, v41, vcc_lo
	s_and_b32 vcc_lo, exec_lo, s0
	global_store_b16 v[21:22], v23, off
	s_cbranch_vccnz .LBB264_111
; %bb.110:
	v_add_co_u32 v16, vcc_lo, v16, v44
	v_add_co_ci_u32_e32 v17, vcc_lo, v17, v45, vcc_lo
	flat_load_u16 v16, v[16:17]
	s_waitcnt vmcnt(0) lgkmcnt(0)
	v_mul_f16_e32 v20, v48, v16
.LBB264_111:
	v_add_nc_u32_e32 v16, 0x50, v80
	v_pk_add_f16 v12, v32, v12
	v_pk_max_f16 v17, v73, v73
	v_pk_add_f16 v13, v33, v13
	s_delay_alu instid0(VALU_DEP_4) | instskip(NEXT) | instid1(VALU_DEP_3)
	v_mad_i64_i32 v[21:22], null, v16, s5, 0
	v_pk_min_f16 v12, v17, v12
	s_delay_alu instid0(VALU_DEP_1) | instskip(NEXT) | instid1(VALU_DEP_3)
	v_pk_min_f16 v17, v12, v13
	v_lshlrev_b64 v[12:13], 1, v[21:22]
	v_add_co_u32 v21, vcc_lo, v18, v44
	v_add_co_ci_u32_e32 v22, vcc_lo, v19, v45, vcc_lo
	v_mov_b32_e32 v19, 0
	v_lshrrev_b32_e32 v18, 16, v17
	v_add_co_u32 v12, vcc_lo, s6, v12
	v_add_co_ci_u32_e32 v13, vcc_lo, s7, v13, vcc_lo
	s_delay_alu instid0(VALU_DEP_3)
	v_min3_f16 v17, v20, v17, v18
	v_mov_b32_e32 v18, 0
	s_and_b32 vcc_lo, exec_lo, s0
	global_store_b16 v[21:22], v17, off
	s_cbranch_vccnz .LBB264_113
; %bb.112:
	v_add_co_u32 v19, vcc_lo, v12, v38
	v_add_co_ci_u32_e32 v20, vcc_lo, v13, v39, vcc_lo
	flat_load_u16 v17, v[19:20]
	s_waitcnt vmcnt(0) lgkmcnt(0)
	v_mul_f16_e32 v19, v48, v17
.LBB264_113:
	v_pk_add_f16 v17, v36, v14
	v_pk_max_f16 v22, v72, v72
	v_mad_i64_i32 v[20:21], null, v16, s4, 0
	v_pk_add_f16 v16, v37, v15
	s_delay_alu instid0(VALU_DEP_3) | instskip(NEXT) | instid1(VALU_DEP_1)
	v_pk_min_f16 v17, v22, v17
	v_pk_min_f16 v22, v17, v16
	s_delay_alu instid0(VALU_DEP_4) | instskip(NEXT) | instid1(VALU_DEP_2)
	v_lshlrev_b64 v[16:17], 1, v[20:21]
	v_lshrrev_b32_e32 v20, 16, v22
	s_delay_alu instid0(VALU_DEP_2) | instskip(NEXT) | instid1(VALU_DEP_3)
	v_add_co_u32 v16, vcc_lo, s1, v16
	v_add_co_ci_u32_e32 v17, vcc_lo, s8, v17, vcc_lo
	s_delay_alu instid0(VALU_DEP_3) | instskip(NEXT) | instid1(VALU_DEP_3)
	v_min3_f16 v21, v19, v22, v20
	v_add_co_u32 v19, vcc_lo, v16, v38
	s_delay_alu instid0(VALU_DEP_3)
	v_add_co_ci_u32_e32 v20, vcc_lo, v17, v39, vcc_lo
	s_and_b32 vcc_lo, exec_lo, s0
	global_store_b16 v[19:20], v21, off
	s_cbranch_vccnz .LBB264_115
; %bb.114:
	v_add_co_u32 v18, vcc_lo, v12, v42
	v_add_co_ci_u32_e32 v19, vcc_lo, v13, v43, vcc_lo
	flat_load_u16 v18, v[18:19]
	s_waitcnt vmcnt(0) lgkmcnt(0)
	v_mul_f16_e32 v18, v48, v18
.LBB264_115:
	v_pk_add_f16 v19, v0, v14
	v_pk_max_f16 v20, v71, v71
	v_pk_add_f16 v21, v1, v15
	s_delay_alu instid0(VALU_DEP_2) | instskip(SKIP_1) | instid1(VALU_DEP_2)
	v_pk_min_f16 v19, v20, v19
	v_add_co_u32 v20, vcc_lo, v16, v42
	v_pk_min_f16 v19, v19, v21
	v_add_co_ci_u32_e32 v21, vcc_lo, v17, v43, vcc_lo
	s_and_b32 vcc_lo, exec_lo, s0
	s_delay_alu instid0(VALU_DEP_2) | instskip(NEXT) | instid1(VALU_DEP_1)
	v_lshrrev_b32_e32 v22, 16, v19
	v_min3_f16 v22, v18, v19, v22
	v_dual_mov_b32 v18, 0 :: v_dual_mov_b32 v19, 0
	global_store_b16 v[20:21], v22, off
	s_cbranch_vccnz .LBB264_117
; %bb.116:
	v_add_co_u32 v19, vcc_lo, v12, v40
	v_add_co_ci_u32_e32 v20, vcc_lo, v13, v41, vcc_lo
	flat_load_u16 v19, v[19:20]
	s_waitcnt vmcnt(0) lgkmcnt(0)
	v_mul_f16_e32 v19, v48, v19
.LBB264_117:
	v_pk_add_f16 v20, v2, v14
	v_pk_max_f16 v21, v70, v70
	v_pk_add_f16 v22, v3, v15
	s_delay_alu instid0(VALU_DEP_2) | instskip(NEXT) | instid1(VALU_DEP_1)
	v_pk_min_f16 v20, v21, v20
	v_pk_min_f16 v20, v20, v22
	s_delay_alu instid0(VALU_DEP_1) | instskip(NEXT) | instid1(VALU_DEP_1)
	v_lshrrev_b32_e32 v21, 16, v20
	v_min3_f16 v21, v19, v20, v21
	v_add_co_u32 v19, vcc_lo, v16, v40
	v_add_co_ci_u32_e32 v20, vcc_lo, v17, v41, vcc_lo
	s_and_b32 vcc_lo, exec_lo, s0
	global_store_b16 v[19:20], v21, off
	s_cbranch_vccnz .LBB264_119
; %bb.118:
	v_add_co_u32 v12, vcc_lo, v12, v44
	v_add_co_ci_u32_e32 v13, vcc_lo, v13, v45, vcc_lo
	flat_load_u16 v12, v[12:13]
	s_waitcnt vmcnt(0) lgkmcnt(0)
	v_mul_f16_e32 v18, v48, v12
.LBB264_119:
	v_pk_add_f16 v14, v32, v14
	v_pk_max_f16 v20, v69, v69
	v_pk_add_f16 v15, v33, v15
	v_add_nc_u32_e32 v19, 0x58, v80
	s_delay_alu instid0(VALU_DEP_3) | instskip(NEXT) | instid1(VALU_DEP_1)
	v_pk_min_f16 v14, v20, v14
	v_pk_min_f16 v20, v14, v15
	v_add_co_u32 v14, vcc_lo, v16, v44
	v_add_co_ci_u32_e32 v15, vcc_lo, v17, v45, vcc_lo
	s_delay_alu instid0(VALU_DEP_3) | instskip(SKIP_1) | instid1(VALU_DEP_2)
	v_lshrrev_b32_e32 v16, 16, v20
	v_mov_b32_e32 v17, 0
	v_min3_f16 v18, v18, v20, v16
	v_mov_b32_e32 v16, 0
	v_mad_i64_i32 v[12:13], null, v19, s5, 0
	global_store_b16 v[14:15], v18, off
	v_lshlrev_b64 v[12:13], 1, v[12:13]
	s_delay_alu instid0(VALU_DEP_1) | instskip(NEXT) | instid1(VALU_DEP_2)
	v_add_co_u32 v12, vcc_lo, s6, v12
	v_add_co_ci_u32_e32 v13, vcc_lo, s7, v13, vcc_lo
	s_and_b32 vcc_lo, exec_lo, s0
	s_cbranch_vccnz .LBB264_121
; %bb.120:
	s_delay_alu instid0(VALU_DEP_2) | instskip(NEXT) | instid1(VALU_DEP_2)
	v_add_co_u32 v14, vcc_lo, v12, v38
	v_add_co_ci_u32_e32 v15, vcc_lo, v13, v39, vcc_lo
	flat_load_u16 v14, v[14:15]
	s_waitcnt vmcnt(0) lgkmcnt(0)
	v_mul_f16_e32 v17, v48, v14
.LBB264_121:
	v_pk_add_f16 v18, v36, v8
	v_pk_max_f16 v20, v68, v68
	v_mad_i64_i32 v[14:15], null, v19, s4, 0
	v_pk_add_f16 v19, v37, v9
	s_delay_alu instid0(VALU_DEP_3) | instskip(NEXT) | instid1(VALU_DEP_3)
	v_pk_min_f16 v18, v20, v18
	v_lshlrev_b64 v[14:15], 1, v[14:15]
	s_delay_alu instid0(VALU_DEP_2) | instskip(NEXT) | instid1(VALU_DEP_2)
	v_pk_min_f16 v18, v18, v19
	v_add_co_u32 v14, vcc_lo, s1, v14
	s_delay_alu instid0(VALU_DEP_2) | instskip(NEXT) | instid1(VALU_DEP_4)
	v_lshrrev_b32_e32 v19, 16, v18
	v_add_co_ci_u32_e32 v15, vcc_lo, s8, v15, vcc_lo
	s_delay_alu instid0(VALU_DEP_2) | instskip(NEXT) | instid1(VALU_DEP_4)
	v_min3_f16 v19, v17, v18, v19
	v_add_co_u32 v17, vcc_lo, v14, v38
	s_delay_alu instid0(VALU_DEP_3)
	v_add_co_ci_u32_e32 v18, vcc_lo, v15, v39, vcc_lo
	s_and_b32 vcc_lo, exec_lo, s0
	global_store_b16 v[17:18], v19, off
	s_cbranch_vccnz .LBB264_123
; %bb.122:
	v_add_co_u32 v16, vcc_lo, v12, v42
	v_add_co_ci_u32_e32 v17, vcc_lo, v13, v43, vcc_lo
	flat_load_u16 v16, v[16:17]
	s_waitcnt vmcnt(0) lgkmcnt(0)
	v_mul_f16_e32 v16, v48, v16
.LBB264_123:
	v_pk_add_f16 v17, v0, v8
	v_pk_max_f16 v18, v67, v67
	v_pk_add_f16 v19, v1, v9
	s_delay_alu instid0(VALU_DEP_2) | instskip(SKIP_1) | instid1(VALU_DEP_2)
	v_pk_min_f16 v17, v18, v17
	v_add_co_u32 v18, vcc_lo, v14, v42
	v_pk_min_f16 v17, v17, v19
	v_add_co_ci_u32_e32 v19, vcc_lo, v15, v43, vcc_lo
	s_and_b32 vcc_lo, exec_lo, s0
	s_delay_alu instid0(VALU_DEP_2) | instskip(NEXT) | instid1(VALU_DEP_1)
	v_lshrrev_b32_e32 v20, 16, v17
	v_min3_f16 v20, v16, v17, v20
	v_dual_mov_b32 v16, 0 :: v_dual_mov_b32 v17, 0
	global_store_b16 v[18:19], v20, off
	s_cbranch_vccnz .LBB264_125
; %bb.124:
	v_add_co_u32 v17, vcc_lo, v12, v40
	v_add_co_ci_u32_e32 v18, vcc_lo, v13, v41, vcc_lo
	flat_load_u16 v17, v[17:18]
	s_waitcnt vmcnt(0) lgkmcnt(0)
	v_mul_f16_e32 v17, v48, v17
.LBB264_125:
	v_pk_add_f16 v18, v2, v8
	v_pk_max_f16 v19, v66, v66
	v_pk_add_f16 v20, v3, v9
	s_delay_alu instid0(VALU_DEP_2) | instskip(NEXT) | instid1(VALU_DEP_1)
	v_pk_min_f16 v18, v19, v18
	v_pk_min_f16 v18, v18, v20
	s_delay_alu instid0(VALU_DEP_1) | instskip(NEXT) | instid1(VALU_DEP_1)
	v_lshrrev_b32_e32 v19, 16, v18
	v_min3_f16 v19, v17, v18, v19
	v_add_co_u32 v17, vcc_lo, v14, v40
	v_add_co_ci_u32_e32 v18, vcc_lo, v15, v41, vcc_lo
	s_and_b32 vcc_lo, exec_lo, s0
	global_store_b16 v[17:18], v19, off
	s_cbranch_vccnz .LBB264_127
; %bb.126:
	v_add_co_u32 v12, vcc_lo, v12, v44
	v_add_co_ci_u32_e32 v13, vcc_lo, v13, v45, vcc_lo
	flat_load_u16 v12, v[12:13]
	s_waitcnt vmcnt(0) lgkmcnt(0)
	v_mul_f16_e32 v16, v48, v12
.LBB264_127:
	v_add_nc_u32_e32 v12, 0x60, v80
	v_pk_add_f16 v8, v32, v8
	v_pk_max_f16 v13, v65, v65
	v_pk_add_f16 v9, v33, v9
	s_delay_alu instid0(VALU_DEP_4) | instskip(NEXT) | instid1(VALU_DEP_3)
	v_mad_i64_i32 v[17:18], null, v12, s5, 0
	v_pk_min_f16 v8, v13, v8
	s_delay_alu instid0(VALU_DEP_1) | instskip(NEXT) | instid1(VALU_DEP_3)
	v_pk_min_f16 v13, v8, v9
	v_lshlrev_b64 v[8:9], 1, v[17:18]
	v_add_co_u32 v17, vcc_lo, v14, v44
	v_add_co_ci_u32_e32 v18, vcc_lo, v15, v45, vcc_lo
	v_mov_b32_e32 v15, 0
	v_lshrrev_b32_e32 v14, 16, v13
	v_add_co_u32 v8, vcc_lo, s6, v8
	v_add_co_ci_u32_e32 v9, vcc_lo, s7, v9, vcc_lo
	s_delay_alu instid0(VALU_DEP_3)
	v_min3_f16 v13, v16, v13, v14
	v_mov_b32_e32 v14, 0
	s_and_b32 vcc_lo, exec_lo, s0
	global_store_b16 v[17:18], v13, off
	s_cbranch_vccnz .LBB264_129
; %bb.128:
	v_add_co_u32 v15, vcc_lo, v8, v38
	v_add_co_ci_u32_e32 v16, vcc_lo, v9, v39, vcc_lo
	flat_load_u16 v13, v[15:16]
	s_waitcnt vmcnt(0) lgkmcnt(0)
	v_mul_f16_e32 v15, v48, v13
.LBB264_129:
	v_pk_add_f16 v13, v36, v10
	v_pk_max_f16 v18, v64, v64
	v_mad_i64_i32 v[16:17], null, v12, s4, 0
	v_pk_add_f16 v12, v37, v11
	s_delay_alu instid0(VALU_DEP_3) | instskip(NEXT) | instid1(VALU_DEP_1)
	v_pk_min_f16 v13, v18, v13
	v_pk_min_f16 v18, v13, v12
	s_delay_alu instid0(VALU_DEP_4) | instskip(NEXT) | instid1(VALU_DEP_2)
	v_lshlrev_b64 v[12:13], 1, v[16:17]
	v_lshrrev_b32_e32 v16, 16, v18
	s_delay_alu instid0(VALU_DEP_2) | instskip(NEXT) | instid1(VALU_DEP_3)
	v_add_co_u32 v12, vcc_lo, s1, v12
	v_add_co_ci_u32_e32 v13, vcc_lo, s8, v13, vcc_lo
	s_delay_alu instid0(VALU_DEP_3) | instskip(NEXT) | instid1(VALU_DEP_3)
	v_min3_f16 v17, v15, v18, v16
	v_add_co_u32 v15, vcc_lo, v12, v38
	s_delay_alu instid0(VALU_DEP_3)
	v_add_co_ci_u32_e32 v16, vcc_lo, v13, v39, vcc_lo
	s_and_b32 vcc_lo, exec_lo, s0
	global_store_b16 v[15:16], v17, off
	s_cbranch_vccnz .LBB264_131
; %bb.130:
	v_add_co_u32 v14, vcc_lo, v8, v42
	v_add_co_ci_u32_e32 v15, vcc_lo, v9, v43, vcc_lo
	flat_load_u16 v14, v[14:15]
	s_waitcnt vmcnt(0) lgkmcnt(0)
	v_mul_f16_e32 v14, v48, v14
.LBB264_131:
	v_pk_add_f16 v15, v0, v10
	v_pk_max_f16 v16, v63, v63
	v_pk_add_f16 v17, v1, v11
	s_delay_alu instid0(VALU_DEP_2) | instskip(SKIP_1) | instid1(VALU_DEP_2)
	v_pk_min_f16 v15, v16, v15
	v_add_co_u32 v16, vcc_lo, v12, v42
	v_pk_min_f16 v15, v15, v17
	v_add_co_ci_u32_e32 v17, vcc_lo, v13, v43, vcc_lo
	s_and_b32 vcc_lo, exec_lo, s0
	s_delay_alu instid0(VALU_DEP_2) | instskip(NEXT) | instid1(VALU_DEP_1)
	v_lshrrev_b32_e32 v18, 16, v15
	v_min3_f16 v18, v14, v15, v18
	v_dual_mov_b32 v14, 0 :: v_dual_mov_b32 v15, 0
	global_store_b16 v[16:17], v18, off
	s_cbranch_vccnz .LBB264_133
; %bb.132:
	v_add_co_u32 v15, vcc_lo, v8, v40
	v_add_co_ci_u32_e32 v16, vcc_lo, v9, v41, vcc_lo
	flat_load_u16 v15, v[15:16]
	s_waitcnt vmcnt(0) lgkmcnt(0)
	v_mul_f16_e32 v15, v48, v15
.LBB264_133:
	v_pk_add_f16 v16, v2, v10
	v_pk_max_f16 v17, v62, v62
	v_pk_add_f16 v18, v3, v11
	s_delay_alu instid0(VALU_DEP_2) | instskip(NEXT) | instid1(VALU_DEP_1)
	v_pk_min_f16 v16, v17, v16
	v_pk_min_f16 v16, v16, v18
	s_delay_alu instid0(VALU_DEP_1) | instskip(NEXT) | instid1(VALU_DEP_1)
	v_lshrrev_b32_e32 v17, 16, v16
	v_min3_f16 v17, v15, v16, v17
	v_add_co_u32 v15, vcc_lo, v12, v40
	v_add_co_ci_u32_e32 v16, vcc_lo, v13, v41, vcc_lo
	s_and_b32 vcc_lo, exec_lo, s0
	global_store_b16 v[15:16], v17, off
	s_cbranch_vccnz .LBB264_135
; %bb.134:
	v_add_co_u32 v8, vcc_lo, v8, v44
	v_add_co_ci_u32_e32 v9, vcc_lo, v9, v45, vcc_lo
	flat_load_u16 v8, v[8:9]
	s_waitcnt vmcnt(0) lgkmcnt(0)
	v_mul_f16_e32 v14, v48, v8
.LBB264_135:
	v_pk_add_f16 v10, v32, v10
	v_pk_max_f16 v16, v61, v61
	v_pk_add_f16 v11, v33, v11
	v_add_nc_u32_e32 v15, 0x68, v80
	s_delay_alu instid0(VALU_DEP_3) | instskip(NEXT) | instid1(VALU_DEP_1)
	v_pk_min_f16 v10, v16, v10
	v_pk_min_f16 v16, v10, v11
	v_add_co_u32 v10, vcc_lo, v12, v44
	v_add_co_ci_u32_e32 v11, vcc_lo, v13, v45, vcc_lo
	s_delay_alu instid0(VALU_DEP_3) | instskip(SKIP_1) | instid1(VALU_DEP_2)
	v_lshrrev_b32_e32 v12, 16, v16
	v_mov_b32_e32 v13, 0
	v_min3_f16 v14, v14, v16, v12
	v_mov_b32_e32 v12, 0
	v_mad_i64_i32 v[8:9], null, v15, s5, 0
	global_store_b16 v[10:11], v14, off
	v_lshlrev_b64 v[8:9], 1, v[8:9]
	s_delay_alu instid0(VALU_DEP_1) | instskip(NEXT) | instid1(VALU_DEP_2)
	v_add_co_u32 v8, vcc_lo, s6, v8
	v_add_co_ci_u32_e32 v9, vcc_lo, s7, v9, vcc_lo
	s_and_b32 vcc_lo, exec_lo, s0
	s_cbranch_vccnz .LBB264_137
; %bb.136:
	s_delay_alu instid0(VALU_DEP_2) | instskip(NEXT) | instid1(VALU_DEP_2)
	v_add_co_u32 v10, vcc_lo, v8, v38
	v_add_co_ci_u32_e32 v11, vcc_lo, v9, v39, vcc_lo
	flat_load_u16 v10, v[10:11]
	s_waitcnt vmcnt(0) lgkmcnt(0)
	v_mul_f16_e32 v13, v48, v10
.LBB264_137:
	v_pk_add_f16 v14, v36, v4
	v_pk_max_f16 v16, v60, v60
	v_mad_i64_i32 v[10:11], null, v15, s4, 0
	v_pk_add_f16 v15, v37, v5
	s_delay_alu instid0(VALU_DEP_3) | instskip(NEXT) | instid1(VALU_DEP_3)
	v_pk_min_f16 v14, v16, v14
	v_lshlrev_b64 v[10:11], 1, v[10:11]
	s_delay_alu instid0(VALU_DEP_2) | instskip(NEXT) | instid1(VALU_DEP_2)
	v_pk_min_f16 v14, v14, v15
	v_add_co_u32 v10, vcc_lo, s1, v10
	s_delay_alu instid0(VALU_DEP_2) | instskip(NEXT) | instid1(VALU_DEP_4)
	v_lshrrev_b32_e32 v15, 16, v14
	v_add_co_ci_u32_e32 v11, vcc_lo, s8, v11, vcc_lo
	s_delay_alu instid0(VALU_DEP_2) | instskip(NEXT) | instid1(VALU_DEP_4)
	v_min3_f16 v15, v13, v14, v15
	v_add_co_u32 v13, vcc_lo, v10, v38
	s_delay_alu instid0(VALU_DEP_3)
	v_add_co_ci_u32_e32 v14, vcc_lo, v11, v39, vcc_lo
	s_and_b32 vcc_lo, exec_lo, s0
	global_store_b16 v[13:14], v15, off
	s_cbranch_vccnz .LBB264_139
; %bb.138:
	v_add_co_u32 v12, vcc_lo, v8, v42
	v_add_co_ci_u32_e32 v13, vcc_lo, v9, v43, vcc_lo
	flat_load_u16 v12, v[12:13]
	s_waitcnt vmcnt(0) lgkmcnt(0)
	v_mul_f16_e32 v12, v48, v12
.LBB264_139:
	v_pk_add_f16 v13, v0, v4
	v_pk_max_f16 v14, v59, v59
	v_pk_add_f16 v15, v1, v5
	s_delay_alu instid0(VALU_DEP_2) | instskip(SKIP_1) | instid1(VALU_DEP_2)
	v_pk_min_f16 v13, v14, v13
	v_add_co_u32 v14, vcc_lo, v10, v42
	v_pk_min_f16 v13, v13, v15
	v_add_co_ci_u32_e32 v15, vcc_lo, v11, v43, vcc_lo
	s_and_b32 vcc_lo, exec_lo, s0
	s_delay_alu instid0(VALU_DEP_2) | instskip(NEXT) | instid1(VALU_DEP_1)
	v_lshrrev_b32_e32 v16, 16, v13
	v_min3_f16 v16, v12, v13, v16
	v_dual_mov_b32 v12, 0 :: v_dual_mov_b32 v13, 0
	global_store_b16 v[14:15], v16, off
	s_cbranch_vccnz .LBB264_141
; %bb.140:
	v_add_co_u32 v13, vcc_lo, v8, v40
	v_add_co_ci_u32_e32 v14, vcc_lo, v9, v41, vcc_lo
	flat_load_u16 v13, v[13:14]
	s_waitcnt vmcnt(0) lgkmcnt(0)
	v_mul_f16_e32 v13, v48, v13
.LBB264_141:
	v_pk_add_f16 v14, v2, v4
	v_pk_max_f16 v15, v58, v58
	v_pk_add_f16 v16, v3, v5
	s_delay_alu instid0(VALU_DEP_2) | instskip(NEXT) | instid1(VALU_DEP_1)
	v_pk_min_f16 v14, v15, v14
	v_pk_min_f16 v14, v14, v16
	s_delay_alu instid0(VALU_DEP_1) | instskip(NEXT) | instid1(VALU_DEP_1)
	v_lshrrev_b32_e32 v15, 16, v14
	v_min3_f16 v15, v13, v14, v15
	v_add_co_u32 v13, vcc_lo, v10, v40
	v_add_co_ci_u32_e32 v14, vcc_lo, v11, v41, vcc_lo
	s_and_b32 vcc_lo, exec_lo, s0
	global_store_b16 v[13:14], v15, off
	s_cbranch_vccnz .LBB264_143
; %bb.142:
	v_add_co_u32 v8, vcc_lo, v8, v44
	v_add_co_ci_u32_e32 v9, vcc_lo, v9, v45, vcc_lo
	flat_load_u16 v8, v[8:9]
	s_waitcnt vmcnt(0) lgkmcnt(0)
	v_mul_f16_e32 v12, v48, v8
.LBB264_143:
	v_add_nc_u32_e32 v8, 0x70, v80
	v_pk_add_f16 v4, v32, v4
	v_pk_max_f16 v9, v57, v57
	v_pk_add_f16 v5, v33, v5
	s_delay_alu instid0(VALU_DEP_4) | instskip(NEXT) | instid1(VALU_DEP_3)
	v_mad_i64_i32 v[13:14], null, v8, s5, 0
	v_pk_min_f16 v4, v9, v4
	s_delay_alu instid0(VALU_DEP_1) | instskip(NEXT) | instid1(VALU_DEP_3)
	v_pk_min_f16 v9, v4, v5
	v_lshlrev_b64 v[4:5], 1, v[13:14]
	v_add_co_u32 v13, vcc_lo, v10, v44
	v_add_co_ci_u32_e32 v14, vcc_lo, v11, v45, vcc_lo
	v_mov_b32_e32 v11, 0
	v_lshrrev_b32_e32 v10, 16, v9
	v_add_co_u32 v4, vcc_lo, s6, v4
	v_add_co_ci_u32_e32 v5, vcc_lo, s7, v5, vcc_lo
	s_delay_alu instid0(VALU_DEP_3)
	v_min3_f16 v9, v12, v9, v10
	v_mov_b32_e32 v10, 0
	s_and_b32 vcc_lo, exec_lo, s0
	global_store_b16 v[13:14], v9, off
	s_cbranch_vccnz .LBB264_145
; %bb.144:
	v_add_co_u32 v11, vcc_lo, v4, v38
	v_add_co_ci_u32_e32 v12, vcc_lo, v5, v39, vcc_lo
	flat_load_u16 v9, v[11:12]
	s_waitcnt vmcnt(0) lgkmcnt(0)
	v_mul_f16_e32 v11, v48, v9
.LBB264_145:
	v_pk_add_f16 v9, v36, v6
	v_pk_max_f16 v14, v56, v56
	v_mad_i64_i32 v[12:13], null, v8, s4, 0
	v_pk_add_f16 v8, v37, v7
	s_delay_alu instid0(VALU_DEP_3) | instskip(NEXT) | instid1(VALU_DEP_1)
	v_pk_min_f16 v9, v14, v9
	v_pk_min_f16 v14, v9, v8
	s_delay_alu instid0(VALU_DEP_4) | instskip(NEXT) | instid1(VALU_DEP_2)
	v_lshlrev_b64 v[8:9], 1, v[12:13]
	v_lshrrev_b32_e32 v12, 16, v14
	s_delay_alu instid0(VALU_DEP_2) | instskip(NEXT) | instid1(VALU_DEP_3)
	v_add_co_u32 v8, vcc_lo, s1, v8
	v_add_co_ci_u32_e32 v9, vcc_lo, s8, v9, vcc_lo
	s_delay_alu instid0(VALU_DEP_3) | instskip(NEXT) | instid1(VALU_DEP_3)
	v_min3_f16 v13, v11, v14, v12
	v_add_co_u32 v11, vcc_lo, v8, v38
	s_delay_alu instid0(VALU_DEP_3)
	v_add_co_ci_u32_e32 v12, vcc_lo, v9, v39, vcc_lo
	s_and_b32 vcc_lo, exec_lo, s0
	global_store_b16 v[11:12], v13, off
	s_cbranch_vccnz .LBB264_147
; %bb.146:
	v_add_co_u32 v10, vcc_lo, v4, v42
	v_add_co_ci_u32_e32 v11, vcc_lo, v5, v43, vcc_lo
	flat_load_u16 v10, v[10:11]
	s_waitcnt vmcnt(0) lgkmcnt(0)
	v_mul_f16_e32 v10, v48, v10
.LBB264_147:
	v_pk_add_f16 v11, v0, v6
	v_pk_max_f16 v12, v55, v55
	v_pk_add_f16 v13, v1, v7
	s_delay_alu instid0(VALU_DEP_2) | instskip(SKIP_1) | instid1(VALU_DEP_2)
	v_pk_min_f16 v11, v12, v11
	v_add_co_u32 v12, vcc_lo, v8, v42
	v_pk_min_f16 v11, v11, v13
	v_add_co_ci_u32_e32 v13, vcc_lo, v9, v43, vcc_lo
	s_and_b32 vcc_lo, exec_lo, s0
	s_delay_alu instid0(VALU_DEP_2) | instskip(NEXT) | instid1(VALU_DEP_1)
	v_lshrrev_b32_e32 v14, 16, v11
	v_min3_f16 v14, v10, v11, v14
	v_dual_mov_b32 v10, 0 :: v_dual_mov_b32 v11, 0
	global_store_b16 v[12:13], v14, off
	s_cbranch_vccnz .LBB264_149
; %bb.148:
	v_add_co_u32 v11, vcc_lo, v4, v40
	v_add_co_ci_u32_e32 v12, vcc_lo, v5, v41, vcc_lo
	flat_load_u16 v11, v[11:12]
	s_waitcnt vmcnt(0) lgkmcnt(0)
	v_mul_f16_e32 v11, v48, v11
.LBB264_149:
	v_pk_add_f16 v12, v2, v6
	v_pk_max_f16 v13, v54, v54
	v_pk_add_f16 v14, v3, v7
	s_delay_alu instid0(VALU_DEP_2) | instskip(NEXT) | instid1(VALU_DEP_1)
	v_pk_min_f16 v12, v13, v12
	v_pk_min_f16 v12, v12, v14
	s_delay_alu instid0(VALU_DEP_1) | instskip(NEXT) | instid1(VALU_DEP_1)
	v_lshrrev_b32_e32 v13, 16, v12
	v_min3_f16 v13, v11, v12, v13
	v_add_co_u32 v11, vcc_lo, v8, v40
	v_add_co_ci_u32_e32 v12, vcc_lo, v9, v41, vcc_lo
	s_and_b32 vcc_lo, exec_lo, s0
	global_store_b16 v[11:12], v13, off
	s_cbranch_vccnz .LBB264_151
; %bb.150:
	v_add_co_u32 v4, vcc_lo, v4, v44
	v_add_co_ci_u32_e32 v5, vcc_lo, v5, v45, vcc_lo
	flat_load_u16 v4, v[4:5]
	s_waitcnt vmcnt(0) lgkmcnt(0)
	v_mul_f16_e32 v10, v48, v4
.LBB264_151:
	v_pk_add_f16 v6, v32, v6
	v_pk_max_f16 v12, v53, v53
	v_pk_add_f16 v7, v33, v7
	v_add_nc_u32_e32 v11, 0x78, v80
	s_delay_alu instid0(VALU_DEP_3) | instskip(NEXT) | instid1(VALU_DEP_1)
	v_pk_min_f16 v6, v12, v6
	v_pk_min_f16 v12, v6, v7
	v_add_co_u32 v6, vcc_lo, v8, v44
	v_add_co_ci_u32_e32 v7, vcc_lo, v9, v45, vcc_lo
	s_delay_alu instid0(VALU_DEP_3) | instskip(SKIP_1) | instid1(VALU_DEP_2)
	v_lshrrev_b32_e32 v8, 16, v12
	v_mov_b32_e32 v9, 0
	v_min3_f16 v10, v10, v12, v8
	v_mov_b32_e32 v8, 0
	v_mad_i64_i32 v[4:5], null, v11, s5, 0
	global_store_b16 v[6:7], v10, off
	v_lshlrev_b64 v[4:5], 1, v[4:5]
	s_delay_alu instid0(VALU_DEP_1) | instskip(NEXT) | instid1(VALU_DEP_2)
	v_add_co_u32 v4, vcc_lo, s6, v4
	v_add_co_ci_u32_e32 v5, vcc_lo, s7, v5, vcc_lo
	s_and_b32 vcc_lo, exec_lo, s0
	s_cbranch_vccnz .LBB264_153
; %bb.152:
	s_delay_alu instid0(VALU_DEP_2) | instskip(NEXT) | instid1(VALU_DEP_2)
	v_add_co_u32 v6, vcc_lo, v4, v38
	v_add_co_ci_u32_e32 v7, vcc_lo, v5, v39, vcc_lo
	flat_load_u16 v6, v[6:7]
	s_waitcnt vmcnt(0) lgkmcnt(0)
	v_mul_f16_e32 v9, v48, v6
.LBB264_153:
	v_pk_add_f16 v10, v36, v34
	v_pk_max_f16 v12, v52, v52
	v_mad_i64_i32 v[6:7], null, v11, s4, 0
	v_pk_add_f16 v11, v37, v35
	s_delay_alu instid0(VALU_DEP_3) | instskip(NEXT) | instid1(VALU_DEP_3)
	v_pk_min_f16 v10, v12, v10
	v_lshlrev_b64 v[6:7], 1, v[6:7]
	s_delay_alu instid0(VALU_DEP_2) | instskip(NEXT) | instid1(VALU_DEP_2)
	v_pk_min_f16 v10, v10, v11
	v_add_co_u32 v6, vcc_lo, s1, v6
	s_delay_alu instid0(VALU_DEP_2) | instskip(NEXT) | instid1(VALU_DEP_4)
	v_lshrrev_b32_e32 v11, 16, v10
	v_add_co_ci_u32_e32 v7, vcc_lo, s8, v7, vcc_lo
	s_delay_alu instid0(VALU_DEP_2) | instskip(NEXT) | instid1(VALU_DEP_4)
	v_min3_f16 v11, v9, v10, v11
	v_add_co_u32 v9, vcc_lo, v6, v38
	s_delay_alu instid0(VALU_DEP_3)
	v_add_co_ci_u32_e32 v10, vcc_lo, v7, v39, vcc_lo
	s_and_b32 vcc_lo, exec_lo, s0
	global_store_b16 v[9:10], v11, off
	s_cbranch_vccnz .LBB264_155
; %bb.154:
	v_add_co_u32 v8, vcc_lo, v4, v42
	v_add_co_ci_u32_e32 v9, vcc_lo, v5, v43, vcc_lo
	flat_load_u16 v8, v[8:9]
	s_waitcnt vmcnt(0) lgkmcnt(0)
	v_mul_f16_e32 v8, v48, v8
.LBB264_155:
	v_pk_add_f16 v0, v0, v34
	v_pk_max_f16 v9, v51, v51
	v_pk_add_f16 v2, v2, v34
	v_pk_max_f16 v10, v50, v50
	v_pk_add_f16 v1, v1, v35
	v_pk_add_f16 v3, v3, v35
	v_pk_min_f16 v0, v9, v0
	s_delay_alu instid0(VALU_DEP_4) | instskip(NEXT) | instid1(VALU_DEP_2)
	v_pk_min_f16 v2, v10, v2
	v_pk_min_f16 v0, v0, v1
	s_delay_alu instid0(VALU_DEP_2) | instskip(NEXT) | instid1(VALU_DEP_2)
	v_pk_min_f16 v1, v2, v3
	v_lshrrev_b32_e32 v2, 16, v0
	s_delay_alu instid0(VALU_DEP_2) | instskip(NEXT) | instid1(VALU_DEP_2)
	v_lshrrev_b32_e32 v3, 16, v1
	v_min3_f16 v8, v8, v0, v2
	s_delay_alu instid0(VALU_DEP_2) | instskip(SKIP_2) | instid1(VALU_DEP_3)
	v_min_f16_e32 v0, v1, v3
	v_add_co_u32 v1, vcc_lo, v6, v42
	v_add_co_ci_u32_e32 v2, vcc_lo, v7, v43, vcc_lo
	v_max_f16_e32 v0, v0, v0
	s_mov_b32 vcc_lo, s2
	global_store_b16 v[1:2], v8, off
	s_cbranch_vccz .LBB264_158
; %bb.156:
	v_add_co_u32 v1, vcc_lo, v6, v40
	v_min_f16_e32 v3, 0, v0
	v_add_co_ci_u32_e32 v2, vcc_lo, v7, v41, vcc_lo
	s_mov_b32 s0, 0
	global_store_b16 v[1:2], v3, off
	s_cbranch_execz .LBB264_159
; %bb.157:
	v_mov_b32_e32 v0, s0
	s_branch .LBB264_160
.LBB264_158:
	s_mov_b32 s0, -1
.LBB264_159:
	v_add_co_u32 v1, vcc_lo, v4, v40
	v_add_co_ci_u32_e32 v2, vcc_lo, v5, v41, vcc_lo
	flat_load_u16 v1, v[1:2]
	s_waitcnt vmcnt(0) lgkmcnt(0)
	v_mul_f16_e32 v3, v48, v1
	v_add_co_u32 v1, vcc_lo, v6, v40
	v_add_co_ci_u32_e32 v2, vcc_lo, v7, v41, vcc_lo
	s_delay_alu instid0(VALU_DEP_3)
	v_min_f16_e32 v0, v3, v0
	v_add_co_u32 v3, vcc_lo, v4, v44
	v_add_co_ci_u32_e32 v4, vcc_lo, v5, v45, vcc_lo
	global_store_b16 v[1:2], v0, off
	flat_load_u16 v0, v[3:4]
	s_waitcnt vmcnt(0) lgkmcnt(0)
	v_mul_f16_e32 v0, v48, v0
.LBB264_160:
	v_pk_add_f16 v1, v32, v34
	v_pk_max_f16 v2, v49, v49
	v_pk_add_f16 v3, v33, v35
	s_delay_alu instid0(VALU_DEP_2) | instskip(NEXT) | instid1(VALU_DEP_1)
	v_pk_min_f16 v1, v2, v1
	v_pk_min_f16 v1, v1, v3
	s_delay_alu instid0(VALU_DEP_1) | instskip(NEXT) | instid1(VALU_DEP_1)
	v_lshrrev_b32_e32 v2, 16, v1
	v_min3_f16 v2, v0, v1, v2
	v_add_co_u32 v0, vcc_lo, v6, v44
	v_add_co_ci_u32_e32 v1, vcc_lo, v7, v45, vcc_lo
	global_store_b16 v[0:1], v2, off
	s_nop 0
	s_sendmsg sendmsg(MSG_DEALLOC_VGPRS)
	s_endpgm
	.section	.rodata,"a",@progbits
	.p2align	6, 0x0
	.amdhsa_kernel _ZN12_GLOBAL__N_120geam_min_plus_kernelIDF16_Dv2_DF16_S1_Li32ELi8ELi128ELi128ELi4ELi4ELi64ELi4ELi64ELc84ELc78ELb0ELb0ELb1EPKDF16_S2_DF16_EEviiiT16_PT17_ilS6_ilS4_S6_ilPT18_ili26rocblas_geam_ex_operation_
		.amdhsa_group_segment_fixed_size 4096
		.amdhsa_private_segment_fixed_size 0
		.amdhsa_kernarg_size 136
		.amdhsa_user_sgpr_count 14
		.amdhsa_user_sgpr_dispatch_ptr 0
		.amdhsa_user_sgpr_queue_ptr 0
		.amdhsa_user_sgpr_kernarg_segment_ptr 1
		.amdhsa_user_sgpr_dispatch_id 0
		.amdhsa_user_sgpr_private_segment_size 0
		.amdhsa_wavefront_size32 1
		.amdhsa_uses_dynamic_stack 0
		.amdhsa_enable_private_segment 0
		.amdhsa_system_sgpr_workgroup_id_x 1
		.amdhsa_system_sgpr_workgroup_id_y 0
		.amdhsa_system_sgpr_workgroup_id_z 1
		.amdhsa_system_sgpr_workgroup_info 0
		.amdhsa_system_vgpr_workitem_id 1
		.amdhsa_next_free_vgpr 156
		.amdhsa_next_free_sgpr 24
		.amdhsa_reserve_vcc 1
		.amdhsa_float_round_mode_32 0
		.amdhsa_float_round_mode_16_64 0
		.amdhsa_float_denorm_mode_32 3
		.amdhsa_float_denorm_mode_16_64 3
		.amdhsa_dx10_clamp 1
		.amdhsa_ieee_mode 1
		.amdhsa_fp16_overflow 0
		.amdhsa_workgroup_processor_mode 1
		.amdhsa_memory_ordered 1
		.amdhsa_forward_progress 0
		.amdhsa_shared_vgpr_count 0
		.amdhsa_exception_fp_ieee_invalid_op 0
		.amdhsa_exception_fp_denorm_src 0
		.amdhsa_exception_fp_ieee_div_zero 0
		.amdhsa_exception_fp_ieee_overflow 0
		.amdhsa_exception_fp_ieee_underflow 0
		.amdhsa_exception_fp_ieee_inexact 0
		.amdhsa_exception_int_div_zero 0
	.end_amdhsa_kernel
	.section	.text._ZN12_GLOBAL__N_120geam_min_plus_kernelIDF16_Dv2_DF16_S1_Li32ELi8ELi128ELi128ELi4ELi4ELi64ELi4ELi64ELc84ELc78ELb0ELb0ELb1EPKDF16_S2_DF16_EEviiiT16_PT17_ilS6_ilS4_S6_ilPT18_ili26rocblas_geam_ex_operation_,"axG",@progbits,_ZN12_GLOBAL__N_120geam_min_plus_kernelIDF16_Dv2_DF16_S1_Li32ELi8ELi128ELi128ELi4ELi4ELi64ELi4ELi64ELc84ELc78ELb0ELb0ELb1EPKDF16_S2_DF16_EEviiiT16_PT17_ilS6_ilS4_S6_ilPT18_ili26rocblas_geam_ex_operation_,comdat
.Lfunc_end264:
	.size	_ZN12_GLOBAL__N_120geam_min_plus_kernelIDF16_Dv2_DF16_S1_Li32ELi8ELi128ELi128ELi4ELi4ELi64ELi4ELi64ELc84ELc78ELb0ELb0ELb1EPKDF16_S2_DF16_EEviiiT16_PT17_ilS6_ilS4_S6_ilPT18_ili26rocblas_geam_ex_operation_, .Lfunc_end264-_ZN12_GLOBAL__N_120geam_min_plus_kernelIDF16_Dv2_DF16_S1_Li32ELi8ELi128ELi128ELi4ELi4ELi64ELi4ELi64ELc84ELc78ELb0ELb0ELb1EPKDF16_S2_DF16_EEviiiT16_PT17_ilS6_ilS4_S6_ilPT18_ili26rocblas_geam_ex_operation_
                                        ; -- End function
	.section	.AMDGPU.csdata,"",@progbits
; Kernel info:
; codeLenInByte = 18956
; NumSgprs: 26
; NumVgprs: 156
; ScratchSize: 0
; MemoryBound: 0
; FloatMode: 240
; IeeeMode: 1
; LDSByteSize: 4096 bytes/workgroup (compile time only)
; SGPRBlocks: 3
; VGPRBlocks: 19
; NumSGPRsForWavesPerEU: 26
; NumVGPRsForWavesPerEU: 156
; Occupancy: 9
; WaveLimiterHint : 0
; COMPUTE_PGM_RSRC2:SCRATCH_EN: 0
; COMPUTE_PGM_RSRC2:USER_SGPR: 14
; COMPUTE_PGM_RSRC2:TRAP_HANDLER: 0
; COMPUTE_PGM_RSRC2:TGID_X_EN: 1
; COMPUTE_PGM_RSRC2:TGID_Y_EN: 0
; COMPUTE_PGM_RSRC2:TGID_Z_EN: 1
; COMPUTE_PGM_RSRC2:TIDIG_COMP_CNT: 1
	.section	.text._ZN12_GLOBAL__N_120geam_min_plus_kernelIDF16_Dv2_DF16_S1_Li32ELi8ELi128ELi128ELi4ELi4ELi64ELi4ELi64ELc84ELc78ELb1ELb0ELb1EDF16_KDF16_DF16_EEviiiT16_PT17_ilS5_ilS3_S5_ilPT18_ili26rocblas_geam_ex_operation_,"axG",@progbits,_ZN12_GLOBAL__N_120geam_min_plus_kernelIDF16_Dv2_DF16_S1_Li32ELi8ELi128ELi128ELi4ELi4ELi64ELi4ELi64ELc84ELc78ELb1ELb0ELb1EDF16_KDF16_DF16_EEviiiT16_PT17_ilS5_ilS3_S5_ilPT18_ili26rocblas_geam_ex_operation_,comdat
	.globl	_ZN12_GLOBAL__N_120geam_min_plus_kernelIDF16_Dv2_DF16_S1_Li32ELi8ELi128ELi128ELi4ELi4ELi64ELi4ELi64ELc84ELc78ELb1ELb0ELb1EDF16_KDF16_DF16_EEviiiT16_PT17_ilS5_ilS3_S5_ilPT18_ili26rocblas_geam_ex_operation_ ; -- Begin function _ZN12_GLOBAL__N_120geam_min_plus_kernelIDF16_Dv2_DF16_S1_Li32ELi8ELi128ELi128ELi4ELi4ELi64ELi4ELi64ELc84ELc78ELb1ELb0ELb1EDF16_KDF16_DF16_EEviiiT16_PT17_ilS5_ilS3_S5_ilPT18_ili26rocblas_geam_ex_operation_
	.p2align	8
	.type	_ZN12_GLOBAL__N_120geam_min_plus_kernelIDF16_Dv2_DF16_S1_Li32ELi8ELi128ELi128ELi4ELi4ELi64ELi4ELi64ELc84ELc78ELb1ELb0ELb1EDF16_KDF16_DF16_EEviiiT16_PT17_ilS5_ilS3_S5_ilPT18_ili26rocblas_geam_ex_operation_,@function
_ZN12_GLOBAL__N_120geam_min_plus_kernelIDF16_Dv2_DF16_S1_Li32ELi8ELi128ELi128ELi4ELi4ELi64ELi4ELi64ELc84ELc78ELb1ELb0ELb1EDF16_KDF16_DF16_EEviiiT16_PT17_ilS5_ilS3_S5_ilPT18_ili26rocblas_geam_ex_operation_: ; @_ZN12_GLOBAL__N_120geam_min_plus_kernelIDF16_Dv2_DF16_S1_Li32ELi8ELi128ELi128ELi4ELi4ELi64ELi4ELi64ELc84ELc78ELb1ELb0ELb1EDF16_KDF16_DF16_EEviiiT16_PT17_ilS5_ilS3_S5_ilPT18_ili26rocblas_geam_ex_operation_
; %bb.0:
	s_clause 0x1
	s_load_b64 s[8:9], s[0:1], 0x8
	s_load_b128 s[4:7], s[0:1], 0x20
	s_waitcnt lgkmcnt(0)
	v_cmp_eq_f16_e64 s2, s9, 0
	s_delay_alu instid0(VALU_DEP_1)
	s_and_b32 vcc_lo, exec_lo, s2
	s_cbranch_vccnz .LBB265_3
; %bb.1:
	s_load_b64 s[10:11], s[0:1], 0x10
	s_mul_i32 s3, s15, s5
	s_mul_hi_u32 s5, s15, s4
	s_mul_i32 s4, s15, s4
	s_add_i32 s5, s5, s3
	s_delay_alu instid0(SALU_CYCLE_1)
	s_lshl_b64 s[4:5], s[4:5], 1
	s_waitcnt lgkmcnt(0)
	s_add_u32 s10, s10, s4
	s_addc_u32 s11, s11, s5
	s_and_not1_b32 vcc_lo, exec_lo, s2
	s_cbranch_vccnz .LBB265_4
.LBB265_2:
	s_mov_b32 s16, 0
	s_mov_b64 s[12:13], 0
	s_cbranch_execz .LBB265_5
	s_branch .LBB265_6
.LBB265_3:
	s_mov_b64 s[10:11], 0
	s_and_not1_b32 vcc_lo, exec_lo, s2
	s_cbranch_vccz .LBB265_2
.LBB265_4:
	s_mov_b32 s16, -1
                                        ; implicit-def: $sgpr12_sgpr13
.LBB265_5:
	s_load_b64 s[2:3], s[0:1], 0x38
	s_mov_b32 s16, 0
	s_waitcnt lgkmcnt(0)
	s_mul_i32 s3, s15, s3
	s_mul_hi_u32 s4, s15, s2
	s_mul_i32 s2, s15, s2
	s_add_i32 s3, s4, s3
	s_delay_alu instid0(SALU_CYCLE_1) | instskip(NEXT) | instid1(SALU_CYCLE_1)
	s_lshl_b64 s[2:3], s[2:3], 1
	s_add_u32 s12, s6, s2
	s_addc_u32 s13, s7, s3
.LBB265_6:
	s_clause 0x1
	s_load_b32 s9, s[0:1], 0x40
	s_load_b128 s[4:7], s[0:1], 0x58
	s_waitcnt lgkmcnt(0)
	v_cmp_eq_f16_e64 s2, s9, 0
	s_delay_alu instid0(VALU_DEP_1) | instskip(NEXT) | instid1(SALU_CYCLE_1)
	s_and_b32 s2, exec_lo, s2
	s_mov_b32 vcc_lo, s2
	s_cbranch_vccnz .LBB265_8
; %bb.7:
	s_load_b64 s[18:19], s[0:1], 0x48
	s_mul_i32 s3, s15, s5
	s_mul_hi_u32 s5, s15, s4
	s_delay_alu instid0(SALU_CYCLE_1) | instskip(SKIP_3) | instid1(SALU_CYCLE_1)
	s_add_i32 s3, s5, s3
	s_mul_i32 s5, s16, s4
	s_mul_i32 s4, s15, s4
	s_add_i32 s5, s3, s5
	s_lshl_b64 s[4:5], s[4:5], 1
	s_waitcnt lgkmcnt(0)
	s_add_u32 s4, s18, s4
	s_addc_u32 s5, s19, s5
	s_branch .LBB265_9
.LBB265_8:
	s_mov_b64 s[4:5], 0
.LBB265_9:
	s_clause 0x2
	s_load_b32 s3, s[0:1], 0x0
	s_load_b32 s17, s[0:1], 0x18
	;; [unrolled: 1-line block ×3, first 2 shown]
	v_and_b32_e32 v40, 0x3ff, v0
	v_bfe_u32 v41, v0, 10, 10
	s_delay_alu instid0(VALU_DEP_2) | instskip(NEXT) | instid1(VALU_DEP_2)
	v_lshlrev_b32_e32 v42, 3, v40
	v_lshl_add_u32 v0, v41, 5, v40
	v_lshlrev_b32_e32 v43, 3, v41
	s_delay_alu instid0(VALU_DEP_2) | instskip(SKIP_2) | instid1(SALU_CYCLE_1)
	v_lshrrev_b32_e32 v8, 2, v0
	s_waitcnt lgkmcnt(0)
	s_add_i32 s3, s3, -1
	s_ashr_i32 s19, s3, 31
	s_delay_alu instid0(SALU_CYCLE_1) | instskip(NEXT) | instid1(SALU_CYCLE_1)
	s_lshr_b32 s19, s19, 25
	s_add_i32 s3, s3, s19
	s_delay_alu instid0(SALU_CYCLE_1) | instskip(NEXT) | instid1(SALU_CYCLE_1)
	s_ashr_i32 s3, s3, 7
	s_add_i32 s19, s3, 1
	s_not_b32 s3, s3
	v_cvt_f32_u32_e32 v1, s19
	s_delay_alu instid0(VALU_DEP_1) | instskip(SKIP_2) | instid1(VALU_DEP_1)
	v_rcp_iflag_f32_e32 v1, v1
	s_waitcnt_depctr 0xfff
	v_mul_f32_e32 v1, 0x4f7ffffe, v1
	v_cvt_u32_f32_e32 v1, v1
	s_delay_alu instid0(VALU_DEP_1) | instskip(SKIP_1) | instid1(VALU_DEP_2)
	v_readfirstlane_b32 s20, v1
	v_and_b32_e32 v1, 3, v40
	s_mul_i32 s3, s3, s20
	s_delay_alu instid0(VALU_DEP_1) | instskip(SKIP_1) | instid1(SALU_CYCLE_1)
	v_lshlrev_b32_e32 v44, 1, v1
	s_mul_hi_u32 s3, s20, s3
	s_add_i32 s20, s20, s3
	s_delay_alu instid0(VALU_DEP_1) | instskip(SKIP_1) | instid1(SALU_CYCLE_1)
	v_lshl_or_b32 v45, v8, 3, v44
	s_mul_hi_u32 s3, s14, s20
	s_mul_i32 s20, s3, s19
	s_add_i32 s21, s3, 1
	s_sub_i32 s20, s14, s20
	s_delay_alu instid0(SALU_CYCLE_1)
	s_sub_i32 s22, s20, s19
	s_cmp_ge_u32 s20, s19
	s_cselect_b32 s3, s21, s3
	s_cselect_b32 s20, s22, s20
	s_add_i32 s21, s3, 1
	s_cmp_ge_u32 s20, s19
	s_cselect_b32 s20, s21, s3
	s_delay_alu instid0(SALU_CYCLE_1)
	s_mul_i32 s3, s20, s19
	v_add_co_u32 v4, s19, s10, v44
	s_sub_i32 s3, s14, s3
	s_lshl_b32 s14, s20, 7
	s_lshl_b32 s3, s3, 7
	v_add_co_ci_u32_e64 v5, null, s11, 0, s19
	v_add_nc_u32_e32 v2, s3, v8
	s_cmp_lt_i32 s8, 9
	s_delay_alu instid0(VALU_DEP_1) | instskip(SKIP_1) | instid1(VALU_DEP_2)
	v_add_nc_u32_e32 v6, 64, v2
	v_mad_i64_i32 v[0:1], null, v2, s17, 0
	v_mad_i64_i32 v[2:3], null, v6, s17, 0
	v_add_nc_u32_e32 v6, s14, v8
	v_add_co_u32 v11, s17, s12, v44
	s_delay_alu instid0(VALU_DEP_4)
	v_lshlrev_b64 v[20:21], 1, v[0:1]
	v_add_co_ci_u32_e64 v12, null, s13, 0, s17
	v_lshlrev_b64 v[22:23], 1, v[2:3]
	v_add_nc_u32_e32 v14, 64, v6
	v_add_nc_u32_e32 v8, 0x800, v43
	v_add_co_u32 v0, vcc_lo, v4, v20
	v_add_co_ci_u32_e32 v1, vcc_lo, v5, v21, vcc_lo
	v_add_co_u32 v2, vcc_lo, v4, v22
	v_add_co_ci_u32_e32 v3, vcc_lo, v5, v23, vcc_lo
	v_mad_i64_i32 v[4:5], null, v6, s18, 0
	v_mad_i64_i32 v[6:7], null, v14, s18, 0
	s_clause 0x1
	flat_load_u16 v9, v[0:1]
	flat_load_u16 v10, v[2:3]
	v_lshlrev_b64 v[24:25], 1, v[4:5]
	v_lshlrev_b64 v[26:27], 1, v[6:7]
	s_delay_alu instid0(VALU_DEP_2) | instskip(NEXT) | instid1(VALU_DEP_3)
	v_add_co_u32 v4, vcc_lo, v11, v24
	v_add_co_ci_u32_e32 v5, vcc_lo, v12, v25, vcc_lo
	s_delay_alu instid0(VALU_DEP_3) | instskip(NEXT) | instid1(VALU_DEP_4)
	v_add_co_u32 v6, vcc_lo, v11, v26
	v_add_co_ci_u32_e32 v7, vcc_lo, v12, v27, vcc_lo
	s_clause 0x1
	flat_load_u16 v13, v[4:5]
	flat_load_u16 v11, v[6:7]
	s_clause 0x1
	flat_load_u16 v29, v[0:1] offset:8
	flat_load_u16 v30, v[2:3] offset:8
	s_clause 0x1
	flat_load_u16 v31, v[4:5] offset:8
	flat_load_u16 v32, v[6:7] offset:8
	s_waitcnt vmcnt(7) lgkmcnt(7)
	ds_store_b16 v45, v9
	s_waitcnt vmcnt(6) lgkmcnt(7)
	ds_store_b16 v45, v10 offset:512
	s_waitcnt vmcnt(5) lgkmcnt(7)
	ds_store_b16 v45, v13 offset:2048
	;; [unrolled: 2-line block ×3, first 2 shown]
	s_waitcnt vmcnt(0) lgkmcnt(0)
	s_barrier
	buffer_gl0_inv
	ds_load_2addr_b64 v[4:7], v42 offset1:32
	ds_load_2addr_b64 v[0:3], v42 offset0:64 offset1:96
	ds_load_2addr_b64 v[33:36], v8 offset1:8
	ds_load_2addr_b64 v[46:49], v8 offset0:16 offset1:24
	ds_load_2addr_b64 v[50:53], v8 offset0:32 offset1:40
	;; [unrolled: 1-line block ×7, first 2 shown]
	ds_store_b16 v45, v29 offset:1024
	ds_store_b16 v45, v30 offset:1536
	;; [unrolled: 1-line block ×4, first 2 shown]
	s_waitcnt lgkmcnt(0)
	s_barrier
	buffer_gl0_inv
	v_pk_add_f16 v82, v4, v58
	v_pk_add_f16 v28, v4, v33
	;; [unrolled: 1-line block ×5, first 2 shown]
	v_pk_min_f16 v110, 0x7c00, v82 op_sel_hi:[0,1]
	v_pk_add_f16 v82, v6, v58
	v_pk_add_f16 v69, v0, v48
	;; [unrolled: 1-line block ×5, first 2 shown]
	v_pk_min_f16 v111, 0x7c00, v82 op_sel_hi:[0,1]
	v_pk_add_f16 v82, v0, v58
	v_pk_add_f16 v81, v0, v56
	v_pk_min_f16 v28, 0x7c00, v28 op_sel_hi:[0,1]
	v_pk_add_f16 v37, v6, v33
	v_pk_add_f16 v33, v2, v33
	;; [unrolled: 3-line block ×3, first 2 shown]
	v_pk_add_f16 v62, v6, v35
	v_pk_add_f16 v35, v2, v35
	v_pk_add_f16 v64, v4, v46
	v_pk_min_f16 v113, 0x7c00, v82 op_sel_hi:[0,1]
	v_pk_add_f16 v82, v6, v60
	v_pk_add_f16 v65, v6, v46
	v_pk_add_f16 v46, v2, v46
	v_pk_add_f16 v67, v4, v48
	v_pk_add_f16 v68, v6, v48
	v_pk_min_f16 v114, 0x7c00, v82 op_sel_hi:[0,1]
	v_pk_add_f16 v82, v0, v60
	v_pk_add_f16 v48, v2, v48
	;; [unrolled: 6-line block ×5, first 2 shown]
	v_pk_add_f16 v58, v2, v58
	v_pk_add_f16 v60, v2, v60
	;; [unrolled: 1-line block ×3, first 2 shown]
	v_pk_min_f16 v118, 0x7c00, v82 op_sel_hi:[0,1]
	v_pk_add_f16 v82, v4, v18
	v_pk_min_f16 v37, 0x7c00, v37 op_sel_hi:[0,1]
	v_pk_min_f16 v38, 0x7c00, v38 op_sel_hi:[0,1]
	v_pk_min_f16 v33, 0x7c00, v33 op_sel_hi:[0,1]
	v_pk_min_f16 v39, 0x7c00, v39 op_sel_hi:[0,1]
	v_pk_min_f16 v119, 0x7c00, v82 op_sel_hi:[0,1]
	v_pk_add_f16 v82, v6, v18
	v_pk_min_f16 v62, 0x7c00, v62 op_sel_hi:[0,1]
	v_pk_min_f16 v63, 0x7c00, v63 op_sel_hi:[0,1]
	v_pk_min_f16 v35, 0x7c00, v35 op_sel_hi:[0,1]
	v_pk_min_f16 v64, 0x7c00, v64 op_sel_hi:[0,1]
	v_pk_min_f16 v120, 0x7c00, v82 op_sel_hi:[0,1]
	v_pk_add_f16 v82, v0, v18
	v_pk_add_f16 v18, v2, v18
	v_pk_min_f16 v65, 0x7c00, v65 op_sel_hi:[0,1]
	v_pk_min_f16 v66, 0x7c00, v66 op_sel_hi:[0,1]
	v_pk_min_f16 v46, 0x7c00, v46 op_sel_hi:[0,1]
	v_pk_min_f16 v121, 0x7c00, v82 op_sel_hi:[0,1]
	v_pk_add_f16 v82, v4, v12
	v_pk_min_f16 v67, 0x7c00, v67 op_sel_hi:[0,1]
	v_pk_min_f16 v68, 0x7c00, v68 op_sel_hi:[0,1]
	v_pk_min_f16 v69, 0x7c00, v69 op_sel_hi:[0,1]
	v_pk_min_f16 v48, 0x7c00, v48 op_sel_hi:[0,1]
	v_pk_min_f16 v122, 0x7c00, v82 op_sel_hi:[0,1]
	v_pk_add_f16 v82, v6, v12
	v_pk_min_f16 v70, 0x7c00, v70 op_sel_hi:[0,1]
	v_pk_min_f16 v71, 0x7c00, v71 op_sel_hi:[0,1]
	v_pk_min_f16 v72, 0x7c00, v72 op_sel_hi:[0,1]
	v_pk_min_f16 v50, 0x7c00, v50 op_sel_hi:[0,1]
	v_pk_min_f16 v123, 0x7c00, v82 op_sel_hi:[0,1]
	v_pk_add_f16 v82, v0, v12
	v_pk_add_f16 v12, v2, v12
	v_pk_min_f16 v73, 0x7c00, v73 op_sel_hi:[0,1]
	v_pk_min_f16 v74, 0x7c00, v74 op_sel_hi:[0,1]
	v_pk_min_f16 v75, 0x7c00, v75 op_sel_hi:[0,1]
	;; [unrolled: 18-line block ×3, first 2 shown]
	v_pk_min_f16 v127, 0x7c00, v82 op_sel_hi:[0,1]
	v_pk_add_f16 v82, v4, v8
	v_pk_min_f16 v16, 0x7c00, v16 op_sel_hi:[0,1]
	v_pk_min_f16 v18, 0x7c00, v18 op_sel_hi:[0,1]
	;; [unrolled: 1-line block ×5, first 2 shown]
	v_pk_add_f16 v82, v6, v8
	v_pk_add_f16 v4, v4, v10
	;; [unrolled: 1-line block ×3, first 2 shown]
	s_delay_alu instid0(VALU_DEP_3)
	v_pk_min_f16 v129, 0x7c00, v82 op_sel_hi:[0,1]
	v_pk_add_f16 v82, v0, v8
	v_pk_add_f16 v0, v0, v10
	v_pk_add_f16 v8, v2, v8
	v_pk_min_f16 v4, 0x7c00, v4 op_sel_hi:[0,1]
	v_pk_min_f16 v6, 0x7c00, v6 op_sel_hi:[0,1]
	;; [unrolled: 1-line block ×4, first 2 shown]
	v_pk_add_f16 v0, v2, v10
	v_pk_add_f16 v2, v5, v34
	v_pk_min_f16 v8, 0x7c00, v8 op_sel_hi:[0,1]
	s_delay_alu instid0(VALU_DEP_3) | instskip(NEXT) | instid1(VALU_DEP_3)
	v_pk_min_f16 v0, 0x7c00, v0 op_sel_hi:[0,1]
	v_pk_min_f16 v28, v28, v2
	v_pk_add_f16 v2, v7, v34
	s_delay_alu instid0(VALU_DEP_1) | instskip(SKIP_1) | instid1(VALU_DEP_1)
	v_pk_min_f16 v109, v37, v2
	v_pk_add_f16 v2, v1, v34
	v_pk_min_f16 v108, v38, v2
	v_pk_add_f16 v2, v3, v34
	s_delay_alu instid0(VALU_DEP_1) | instskip(SKIP_1) | instid1(VALU_DEP_1)
	v_pk_min_f16 v106, v33, v2
	v_pk_add_f16 v2, v5, v36
	;; [unrolled: 5-line block ×28, first 2 shown]
	v_pk_min_f16 v56, v128, v2
	v_pk_add_f16 v2, v7, v9
	s_delay_alu instid0(VALU_DEP_1) | instskip(SKIP_2) | instid1(VALU_DEP_2)
	v_pk_min_f16 v53, v129, v2
	v_pk_add_f16 v2, v1, v9
	v_pk_add_f16 v1, v1, v11
	v_pk_min_f16 v51, v130, v2
	v_pk_add_f16 v2, v3, v9
	s_delay_alu instid0(VALU_DEP_3) | instskip(SKIP_1) | instid1(VALU_DEP_3)
	v_pk_min_f16 v54, v131, v1
	v_pk_add_f16 v1, v3, v11
	v_pk_min_f16 v49, v8, v2
	v_pk_add_f16 v2, v5, v11
	s_delay_alu instid0(VALU_DEP_3) | instskip(NEXT) | instid1(VALU_DEP_2)
	v_pk_min_f16 v122, v0, v1
	v_pk_min_f16 v50, v4, v2
	v_pk_add_f16 v2, v7, v11
	s_delay_alu instid0(VALU_DEP_1)
	v_pk_min_f16 v48, v6, v2
	s_cbranch_scc1 .LBB265_12
; %bb.10:
	v_add_co_u32 v114, vcc_lo, s12, v26
	v_add_co_ci_u32_e32 v115, vcc_lo, s13, v27, vcc_lo
	v_add_co_u32 v116, vcc_lo, s12, v24
	v_add_co_ci_u32_e32 v117, vcc_lo, s13, v25, vcc_lo
	;; [unrolled: 2-line block ×3, first 2 shown]
	v_add_co_u32 v120, vcc_lo, s10, v20
	v_add_nc_u32_e32 v46, 0x800, v45
	v_add_nc_u32_e32 v47, 0x800, v43
	;; [unrolled: 1-line block ×4, first 2 shown]
	v_lshl_add_u32 v112, v40, 3, 0x400
	v_lshl_add_u32 v113, v41, 3, 0xc00
	v_add_co_ci_u32_e32 v121, vcc_lo, s11, v21, vcc_lo
	s_add_i32 s8, s8, -8
	s_mov_b32 s10, 0
.LBB265_11:                             ; =>This Inner Loop Header: Depth=1
	v_add_co_u32 v37, vcc_lo, v114, v44
	v_add_co_ci_u32_e32 v38, vcc_lo, 0, v115, vcc_lo
	v_add_co_u32 v124, vcc_lo, v116, v44
	v_add_co_ci_u32_e32 v125, vcc_lo, 0, v117, vcc_lo
	;; [unrolled: 2-line block ×4, first 2 shown]
	flat_load_u16 v126, v[131:132] offset:16
	flat_load_u16 v123, v[124:125] offset:16
	flat_load_u16 v39, v[37:38] offset:16
	flat_load_u16 v135, v[133:134] offset:16
	ds_load_2addr_b64 v[0:3], v112 offset1:32
	ds_load_2addr_b64 v[8:11], v112 offset0:64 offset1:96
	ds_load_2addr_b64 v[4:7], v113 offset1:8
	ds_load_2addr_b64 v[12:15], v113 offset0:16 offset1:24
	ds_load_2addr_b64 v[16:19], v113 offset0:32 offset1:40
	;; [unrolled: 1-line block ×7, first 2 shown]
	v_add_co_u32 v114, vcc_lo, v114, 16
	v_add_co_ci_u32_e32 v115, vcc_lo, 0, v115, vcc_lo
	v_add_co_u32 v116, vcc_lo, v116, 16
	v_add_co_ci_u32_e32 v117, vcc_lo, 0, v117, vcc_lo
	;; [unrolled: 2-line block ×4, first 2 shown]
	s_add_i32 s10, s10, 8
	s_waitcnt vmcnt(0) lgkmcnt(10)
	ds_store_b16 v45, v135
	ds_store_b16 v45, v126 offset:512
	ds_store_b16 v46, v123
	ds_store_b16 v46, v39 offset:512
	s_waitcnt lgkmcnt(0)
	s_barrier
	buffer_gl0_inv
	flat_load_u16 v123, v[37:38] offset:24
	flat_load_u16 v124, v[124:125] offset:24
	;; [unrolled: 1-line block ×4, first 2 shown]
	v_pk_add_f16 v37, v10, v129
	v_pk_max_f16 v38, v122, v122
	s_cmp_ge_i32 s10, s8
	s_delay_alu instid0(VALU_DEP_1) | instskip(SKIP_1) | instid1(VALU_DEP_1)
	v_pk_min_f16 v37, v38, v37
	v_pk_add_f16 v38, v11, v130
	v_pk_min_f16 v122, v37, v38
	v_pk_add_f16 v37, v8, v129
	v_pk_max_f16 v38, v54, v54
	s_delay_alu instid0(VALU_DEP_1) | instskip(SKIP_1) | instid1(VALU_DEP_1)
	v_pk_min_f16 v37, v38, v37
	v_pk_add_f16 v38, v9, v130
	v_pk_min_f16 v54, v37, v38
	v_pk_add_f16 v37, v2, v129
	v_pk_max_f16 v38, v48, v48
	;; [unrolled: 6-line block ×10, first 2 shown]
	v_pk_add_f16 v35, v0, v35
	s_delay_alu instid0(VALU_DEP_2) | instskip(SKIP_2) | instid1(VALU_DEP_2)
	v_pk_min_f16 v37, v38, v37
	v_pk_add_f16 v38, v3, v36
	v_pk_add_f16 v36, v1, v36
	v_pk_min_f16 v57, v37, v38
	v_pk_max_f16 v37, v58, v58
	s_delay_alu instid0(VALU_DEP_1) | instskip(NEXT) | instid1(VALU_DEP_1)
	v_pk_min_f16 v35, v37, v35
	v_pk_min_f16 v58, v35, v36
	v_pk_add_f16 v35, v10, v33
	v_pk_max_f16 v36, v59, v59
	s_delay_alu instid0(VALU_DEP_1) | instskip(SKIP_1) | instid1(VALU_DEP_1)
	v_pk_min_f16 v35, v36, v35
	v_pk_add_f16 v36, v11, v34
	v_pk_min_f16 v59, v35, v36
	v_pk_add_f16 v35, v8, v33
	v_pk_max_f16 v36, v61, v61
	s_delay_alu instid0(VALU_DEP_1) | instskip(SKIP_1) | instid1(VALU_DEP_1)
	v_pk_min_f16 v35, v36, v35
	v_pk_add_f16 v36, v9, v34
	v_pk_min_f16 v61, v35, v36
	v_pk_add_f16 v35, v2, v33
	v_pk_max_f16 v36, v62, v62
	v_pk_add_f16 v33, v0, v33
	s_delay_alu instid0(VALU_DEP_2) | instskip(SKIP_2) | instid1(VALU_DEP_2)
	v_pk_min_f16 v35, v36, v35
	v_pk_add_f16 v36, v3, v34
	v_pk_add_f16 v34, v1, v34
	v_pk_min_f16 v62, v35, v36
	v_pk_max_f16 v35, v65, v65
	s_delay_alu instid0(VALU_DEP_1) | instskip(NEXT) | instid1(VALU_DEP_1)
	v_pk_min_f16 v33, v35, v33
	v_pk_min_f16 v65, v33, v34
	v_pk_add_f16 v33, v10, v31
	v_pk_max_f16 v34, v60, v60
	s_delay_alu instid0(VALU_DEP_1) | instskip(SKIP_1) | instid1(VALU_DEP_1)
	v_pk_min_f16 v33, v34, v33
	v_pk_add_f16 v34, v11, v32
	v_pk_min_f16 v60, v33, v34
	v_pk_add_f16 v33, v8, v31
	v_pk_max_f16 v34, v63, v63
	s_delay_alu instid0(VALU_DEP_1) | instskip(SKIP_1) | instid1(VALU_DEP_1)
	v_pk_min_f16 v33, v34, v33
	v_pk_add_f16 v34, v9, v32
	v_pk_min_f16 v63, v33, v34
	v_pk_add_f16 v33, v2, v31
	v_pk_max_f16 v34, v64, v64
	;; [unrolled: 24-line block ×12, first 2 shown]
	v_pk_add_f16 v6, v0, v6
	v_pk_add_f16 v2, v2, v4
	;; [unrolled: 1-line block ×3, first 2 shown]
	s_delay_alu instid0(VALU_DEP_4) | instskip(SKIP_4) | instid1(VALU_DEP_4)
	v_pk_min_f16 v12, v13, v12
	v_pk_add_f16 v13, v3, v7
	v_pk_add_f16 v7, v1, v7
	;; [unrolled: 1-line block ×4, first 2 shown]
	v_pk_min_f16 v105, v12, v13
	v_pk_max_f16 v12, v107, v107
	s_delay_alu instid0(VALU_DEP_1) | instskip(NEXT) | instid1(VALU_DEP_1)
	v_pk_min_f16 v6, v12, v6
	v_pk_min_f16 v107, v6, v7
	v_pk_add_f16 v6, v10, v4
	v_pk_max_f16 v7, v106, v106
	s_delay_alu instid0(VALU_DEP_1) | instskip(SKIP_1) | instid1(VALU_DEP_1)
	v_pk_min_f16 v6, v7, v6
	v_pk_add_f16 v7, v11, v5
	v_pk_min_f16 v106, v6, v7
	v_pk_add_f16 v6, v8, v4
	v_pk_max_f16 v7, v108, v108
	s_delay_alu instid0(VALU_DEP_1) | instskip(SKIP_1) | instid1(VALU_DEP_1)
	v_pk_min_f16 v6, v7, v6
	v_pk_add_f16 v7, v9, v5
	v_pk_min_f16 v108, v6, v7
	v_pk_max_f16 v6, v109, v109
	s_delay_alu instid0(VALU_DEP_1) | instskip(NEXT) | instid1(VALU_DEP_1)
	v_pk_min_f16 v2, v6, v2
	v_pk_min_f16 v109, v2, v3
	v_pk_max_f16 v2, v28, v28
	s_delay_alu instid0(VALU_DEP_1) | instskip(NEXT) | instid1(VALU_DEP_1)
	v_pk_min_f16 v0, v2, v0
	v_pk_min_f16 v127, v0, v1
	ds_load_2addr_b64 v[8:11], v42 offset1:32
	ds_load_2addr_b64 v[0:3], v42 offset0:64 offset1:96
	ds_load_2addr_b64 v[36:39], v47 offset1:8
	ds_load_2addr_b64 v[32:35], v47 offset0:16 offset1:24
	ds_load_2addr_b64 v[28:31], v47 offset0:32 offset1:40
	;; [unrolled: 1-line block ×7, first 2 shown]
	s_waitcnt vmcnt(0) lgkmcnt(10)
	ds_store_b16 v110, v126
	ds_store_b16 v110, v125 offset:512
	ds_store_b16 v111, v124
	ds_store_b16 v111, v123 offset:512
	s_waitcnt lgkmcnt(0)
	s_barrier
	buffer_gl0_inv
	v_pk_add_f16 v128, v8, v36
	s_delay_alu instid0(VALU_DEP_1) | instskip(SKIP_1) | instid1(VALU_DEP_1)
	v_pk_min_f16 v127, v127, v128
	v_pk_add_f16 v128, v10, v36
	v_pk_min_f16 v109, v109, v128
	v_pk_add_f16 v128, v0, v36
	v_pk_add_f16 v36, v2, v36
	s_delay_alu instid0(VALU_DEP_2) | instskip(NEXT) | instid1(VALU_DEP_2)
	v_pk_min_f16 v108, v108, v128
	v_pk_min_f16 v106, v106, v36
	v_pk_add_f16 v36, v8, v38
	s_delay_alu instid0(VALU_DEP_1) | instskip(SKIP_1) | instid1(VALU_DEP_1)
	v_pk_min_f16 v107, v107, v36
	v_pk_add_f16 v36, v10, v38
	v_pk_min_f16 v105, v105, v36
	v_pk_add_f16 v36, v0, v38
	s_delay_alu instid0(VALU_DEP_1) | instskip(SKIP_1) | instid1(VALU_DEP_1)
	v_pk_min_f16 v103, v103, v36
	v_pk_add_f16 v36, v2, v38
	v_pk_min_f16 v101, v101, v36
	v_pk_add_f16 v36, v8, v32
	s_delay_alu instid0(VALU_DEP_1) | instskip(SKIP_1) | instid1(VALU_DEP_1)
	v_pk_min_f16 v104, v104, v36
	v_pk_add_f16 v36, v10, v32
	v_pk_min_f16 v102, v102, v36
	v_pk_add_f16 v36, v0, v32
	v_pk_add_f16 v32, v2, v32
	s_delay_alu instid0(VALU_DEP_2) | instskip(NEXT) | instid1(VALU_DEP_2)
	v_pk_min_f16 v100, v100, v36
	v_pk_min_f16 v99, v99, v32
	v_pk_add_f16 v32, v8, v34
	s_delay_alu instid0(VALU_DEP_1) | instskip(SKIP_1) | instid1(VALU_DEP_1)
	v_pk_min_f16 v98, v98, v32
	v_pk_add_f16 v32, v10, v34
	v_pk_min_f16 v97, v97, v32
	v_pk_add_f16 v32, v0, v34
	s_delay_alu instid0(VALU_DEP_1) | instskip(SKIP_1) | instid1(VALU_DEP_1)
	v_pk_min_f16 v95, v95, v32
	v_pk_add_f16 v32, v2, v34
	v_pk_min_f16 v93, v93, v32
	;; [unrolled: 20-line block ×7, first 2 shown]
	v_pk_add_f16 v12, v8, v4
	s_delay_alu instid0(VALU_DEP_1) | instskip(SKIP_1) | instid1(VALU_DEP_1)
	v_pk_min_f16 v20, v56, v12
	v_pk_add_f16 v12, v10, v4
	v_pk_min_f16 v14, v53, v12
	v_pk_add_f16 v12, v0, v4
	v_pk_add_f16 v4, v2, v4
	;; [unrolled: 1-line block ×3, first 2 shown]
	s_delay_alu instid0(VALU_DEP_3) | instskip(NEXT) | instid1(VALU_DEP_3)
	v_pk_min_f16 v16, v51, v12
	v_pk_min_f16 v18, v49, v4
	v_pk_add_f16 v4, v8, v6
	s_delay_alu instid0(VALU_DEP_1) | instskip(SKIP_1) | instid1(VALU_DEP_1)
	v_pk_min_f16 v12, v50, v4
	v_pk_add_f16 v4, v10, v6
	v_pk_min_f16 v8, v48, v4
	v_pk_min_f16 v4, v54, v0
	v_pk_add_f16 v0, v2, v6
	v_pk_add_f16 v2, v9, v37
	s_delay_alu instid0(VALU_DEP_2) | instskip(NEXT) | instid1(VALU_DEP_2)
	v_pk_min_f16 v0, v122, v0
	v_pk_min_f16 v28, v127, v2
	v_pk_add_f16 v2, v11, v37
	s_delay_alu instid0(VALU_DEP_1) | instskip(SKIP_1) | instid1(VALU_DEP_1)
	v_pk_min_f16 v109, v109, v2
	v_pk_add_f16 v2, v1, v37
	v_pk_min_f16 v108, v108, v2
	v_pk_add_f16 v2, v3, v37
	s_delay_alu instid0(VALU_DEP_1) | instskip(SKIP_1) | instid1(VALU_DEP_1)
	v_pk_min_f16 v106, v106, v2
	v_pk_add_f16 v2, v9, v39
	;; [unrolled: 5-line block ×28, first 2 shown]
	v_pk_min_f16 v56, v20, v2
	v_pk_add_f16 v2, v11, v5
	s_delay_alu instid0(VALU_DEP_1) | instskip(SKIP_2) | instid1(VALU_DEP_2)
	v_pk_min_f16 v53, v14, v2
	v_pk_add_f16 v2, v1, v5
	v_pk_add_f16 v1, v1, v7
	v_pk_min_f16 v51, v16, v2
	v_pk_add_f16 v2, v3, v5
	s_delay_alu instid0(VALU_DEP_3) | instskip(SKIP_1) | instid1(VALU_DEP_3)
	v_pk_min_f16 v54, v4, v1
	v_pk_add_f16 v1, v3, v7
	v_pk_min_f16 v49, v18, v2
	v_pk_add_f16 v2, v9, v7
	s_delay_alu instid0(VALU_DEP_3) | instskip(NEXT) | instid1(VALU_DEP_2)
	v_pk_min_f16 v122, v0, v1
	v_pk_min_f16 v50, v12, v2
	v_pk_add_f16 v2, v11, v7
	s_delay_alu instid0(VALU_DEP_1)
	v_pk_min_f16 v48, v8, v2
	s_cbranch_scc0 .LBB265_11
.LBB265_12:
	s_load_b32 s8, s[0:1], 0x50
	v_dual_mov_b32 v41, 0 :: v_dual_add_nc_u32 v110, s14, v41
	ds_load_b64 v[36:37], v42 offset:1024
	ds_load_b64 v[46:47], v43 offset:3072
	v_add_nc_u32_e32 v44, s3, v40
	v_cmp_neq_f16_e64 s10, s9, 0
	v_mov_b32_e32 v40, 0
	s_delay_alu instid0(VALU_DEP_3) | instskip(NEXT) | instid1(VALU_DEP_3)
	v_ashrrev_i32_e32 v45, 31, v44
	s_and_b32 vcc_lo, exec_lo, s10
	s_delay_alu instid0(VALU_DEP_1) | instskip(SKIP_2) | instid1(VALU_DEP_1)
	v_lshlrev_b64 v[38:39], 1, v[44:45]
	s_waitcnt lgkmcnt(0)
	v_mad_i64_i32 v[0:1], null, v110, s8, 0
	v_lshlrev_b64 v[0:1], 1, v[0:1]
	s_delay_alu instid0(VALU_DEP_1) | instskip(NEXT) | instid1(VALU_DEP_1)
	v_add_co_u32 v111, s3, s4, v0
	v_add_co_ci_u32_e64 v112, s3, s5, v1, s3
	s_cbranch_vccz .LBB265_14
; %bb.13:
	s_delay_alu instid0(VALU_DEP_2) | instskip(NEXT) | instid1(VALU_DEP_2)
	v_add_co_u32 v0, vcc_lo, v111, v38
	v_add_co_ci_u32_e32 v1, vcc_lo, v112, v39, vcc_lo
	flat_load_u16 v0, v[0:1]
	s_waitcnt vmcnt(0) lgkmcnt(0)
	v_mul_f16_e32 v41, s9, v0
.LBB265_14:
	s_clause 0x1
	s_load_b64 s[12:13], s[0:1], 0x70
	s_load_b32 s1, s[0:1], 0x68
	v_add_nc_u32_e32 v4, 0x800, v43
	v_pk_add_f16 v5, v36, v46
	v_pk_max_f16 v6, v28, v28
	ds_load_2addr_b64 v[0:3], v42 offset0:160 offset1:192
	ds_load_b64 v[32:33], v42 offset:1792
	ds_load_b64 v[34:35], v43 offset:4032
	ds_load_2addr_b64 v[28:31], v4 offset0:136 offset1:144
	ds_load_2addr_b64 v[24:27], v4 offset0:152 offset1:160
	;; [unrolled: 1-line block ×6, first 2 shown]
	v_pk_add_f16 v43, v37, v47
	v_pk_min_f16 v45, v6, v5
	ds_load_2addr_b64 v[4:7], v4 offset0:232 offset1:240
	v_add_nc_u32_e32 v42, 32, v44
	v_cndmask_b32_e64 v116, 0, 1, s10
	v_pk_min_f16 v45, v45, v43
	s_delay_alu instid0(VALU_DEP_3) | instskip(NEXT) | instid1(VALU_DEP_2)
	v_ashrrev_i32_e32 v43, 31, v42
	v_lshrrev_b32_e32 v115, 16, v45
	s_waitcnt lgkmcnt(0)
	s_mul_i32 s0, s15, s13
	v_mad_i64_i32 v[113:114], null, v110, s1, 0
	s_mul_hi_u32 s3, s15, s12
	s_mul_i32 s11, s16, s12
	s_add_i32 s0, s3, s0
	s_mul_i32 s12, s15, s12
	s_add_i32 s13, s0, s11
	v_min3_f16 v41, v41, v45, v115
	s_delay_alu instid0(VALU_DEP_2)
	v_lshlrev_b64 v[113:114], 1, v[113:114]
	s_lshl_b64 s[12:13], s[12:13], 1
	v_lshlrev_b64 v[42:43], 1, v[42:43]
	s_add_u32 s3, s6, s12
	s_addc_u32 s6, s7, s13
	v_cmp_ne_u32_e64 s0, 1, v116
	v_add_co_u32 v113, vcc_lo, s3, v113
	v_add_co_ci_u32_e32 v114, vcc_lo, s6, v114, vcc_lo
	s_delay_alu instid0(VALU_DEP_2) | instskip(NEXT) | instid1(VALU_DEP_2)
	v_add_co_u32 v115, vcc_lo, v113, v38
	v_add_co_ci_u32_e32 v116, vcc_lo, v114, v39, vcc_lo
	s_and_not1_b32 vcc_lo, exec_lo, s10
	global_store_b16 v[115:116], v41, off
	s_cbranch_vccnz .LBB265_16
; %bb.15:
	v_add_co_u32 v40, vcc_lo, v111, v42
	v_add_co_ci_u32_e32 v41, vcc_lo, v112, v43, vcc_lo
	flat_load_u16 v40, v[40:41]
	s_waitcnt vmcnt(0) lgkmcnt(0)
	v_mul_f16_e32 v40, s9, v40
.LBB265_16:
	v_pk_add_f16 v41, v0, v46
	v_pk_max_f16 v45, v109, v109
	v_pk_add_f16 v109, v1, v47
	v_add_nc_u32_e32 v115, 64, v44
	v_add_co_u32 v117, vcc_lo, v113, v42
	s_delay_alu instid0(VALU_DEP_4) | instskip(SKIP_1) | instid1(VALU_DEP_4)
	v_pk_min_f16 v41, v45, v41
	v_add_co_ci_u32_e32 v118, vcc_lo, v114, v43, vcc_lo
	v_ashrrev_i32_e32 v116, 31, v115
	s_and_b32 vcc_lo, exec_lo, s0
	s_delay_alu instid0(VALU_DEP_3) | instskip(SKIP_1) | instid1(VALU_DEP_2)
	v_pk_min_f16 v41, v41, v109
	v_mov_b32_e32 v109, 0
	v_lshrrev_b32_e32 v45, 16, v41
	s_delay_alu instid0(VALU_DEP_1)
	v_min3_f16 v119, v40, v41, v45
	v_lshlrev_b64 v[40:41], 1, v[115:116]
	v_mov_b32_e32 v45, 0
	global_store_b16 v[117:118], v119, off
	s_cbranch_vccnz .LBB265_18
; %bb.17:
	v_add_co_u32 v115, vcc_lo, v111, v40
	v_add_co_ci_u32_e32 v116, vcc_lo, v112, v41, vcc_lo
	flat_load_u16 v45, v[115:116]
	s_waitcnt vmcnt(0) lgkmcnt(0)
	v_mul_f16_e32 v45, s9, v45
.LBB265_18:
	v_pk_add_f16 v115, v2, v46
	v_pk_max_f16 v108, v108, v108
	v_pk_add_f16 v116, v3, v47
	v_add_co_u32 v117, vcc_lo, v113, v40
	v_add_co_ci_u32_e32 v118, vcc_lo, v114, v41, vcc_lo
	s_delay_alu instid0(VALU_DEP_4) | instskip(SKIP_2) | instid1(VALU_DEP_2)
	v_pk_min_f16 v108, v108, v115
	v_add_nc_u32_e32 v115, 0x60, v44
	s_and_b32 vcc_lo, exec_lo, s0
	v_pk_min_f16 v44, v108, v116
	s_delay_alu instid0(VALU_DEP_2) | instskip(NEXT) | instid1(VALU_DEP_2)
	v_ashrrev_i32_e32 v116, 31, v115
	v_lshrrev_b32_e32 v108, 16, v44
	s_delay_alu instid0(VALU_DEP_1) | instskip(NEXT) | instid1(VALU_DEP_3)
	v_min3_f16 v108, v45, v44, v108
	v_lshlrev_b64 v[44:45], 1, v[115:116]
	global_store_b16 v[117:118], v108, off
	s_cbranch_vccnz .LBB265_20
; %bb.19:
	v_add_co_u32 v108, vcc_lo, v111, v44
	v_add_co_ci_u32_e32 v109, vcc_lo, v112, v45, vcc_lo
	flat_load_u16 v108, v[108:109]
	s_waitcnt vmcnt(0) lgkmcnt(0)
	v_mul_f16_e32 v109, s9, v108
.LBB265_20:
	v_pk_add_f16 v46, v32, v46
	v_pk_max_f16 v106, v106, v106
	v_pk_add_f16 v47, v33, v47
	v_add_nc_u32_e32 v111, 8, v110
	v_add_co_u32 v112, vcc_lo, v113, v44
	s_delay_alu instid0(VALU_DEP_4) | instskip(SKIP_1) | instid1(VALU_DEP_2)
	v_pk_min_f16 v46, v106, v46
	v_add_co_ci_u32_e32 v113, vcc_lo, v114, v45, vcc_lo
	v_pk_min_f16 v106, v46, v47
	s_delay_alu instid0(VALU_DEP_1) | instskip(NEXT) | instid1(VALU_DEP_1)
	v_lshrrev_b32_e32 v108, 16, v106
	v_min3_f16 v106, v109, v106, v108
	v_mov_b32_e32 v108, 0
	v_mad_i64_i32 v[115:116], null, v111, s8, 0
	v_mov_b32_e32 v109, 0
	global_store_b16 v[112:113], v106, off
	v_lshlrev_b64 v[46:47], 1, v[115:116]
	s_delay_alu instid0(VALU_DEP_1) | instskip(NEXT) | instid1(VALU_DEP_2)
	v_add_co_u32 v46, vcc_lo, s4, v46
	v_add_co_ci_u32_e32 v47, vcc_lo, s5, v47, vcc_lo
	s_and_b32 vcc_lo, exec_lo, s0
	s_cbranch_vccnz .LBB265_22
; %bb.21:
	s_delay_alu instid0(VALU_DEP_2) | instskip(NEXT) | instid1(VALU_DEP_2)
	v_add_co_u32 v112, vcc_lo, v46, v38
	v_add_co_ci_u32_e32 v113, vcc_lo, v47, v39, vcc_lo
	flat_load_u16 v106, v[112:113]
	s_waitcnt vmcnt(0) lgkmcnt(0)
	v_mul_f16_e32 v109, s9, v106
.LBB265_22:
	v_pk_add_f16 v112, v36, v28
	v_pk_max_f16 v113, v107, v107
	v_mad_i64_i32 v[106:107], null, v111, s1, 0
	v_pk_add_f16 v111, v37, v29
	s_delay_alu instid0(VALU_DEP_3) | instskip(NEXT) | instid1(VALU_DEP_3)
	v_pk_min_f16 v112, v113, v112
	v_lshlrev_b64 v[106:107], 1, v[106:107]
	s_delay_alu instid0(VALU_DEP_2) | instskip(NEXT) | instid1(VALU_DEP_2)
	v_pk_min_f16 v111, v112, v111
	v_add_co_u32 v106, vcc_lo, s3, v106
	s_delay_alu instid0(VALU_DEP_2) | instskip(NEXT) | instid1(VALU_DEP_4)
	v_lshrrev_b32_e32 v112, 16, v111
	v_add_co_ci_u32_e32 v107, vcc_lo, s6, v107, vcc_lo
	s_delay_alu instid0(VALU_DEP_2) | instskip(NEXT) | instid1(VALU_DEP_4)
	v_min3_f16 v109, v109, v111, v112
	v_add_co_u32 v111, vcc_lo, v106, v38
	s_delay_alu instid0(VALU_DEP_3)
	v_add_co_ci_u32_e32 v112, vcc_lo, v107, v39, vcc_lo
	s_and_b32 vcc_lo, exec_lo, s0
	global_store_b16 v[111:112], v109, off
	s_cbranch_vccnz .LBB265_24
; %bb.23:
	v_add_co_u32 v108, vcc_lo, v46, v42
	v_add_co_ci_u32_e32 v109, vcc_lo, v47, v43, vcc_lo
	flat_load_u16 v108, v[108:109]
	s_waitcnt vmcnt(0) lgkmcnt(0)
	v_mul_f16_e32 v108, s9, v108
.LBB265_24:
	v_pk_add_f16 v109, v0, v28
	v_pk_max_f16 v105, v105, v105
	v_pk_add_f16 v111, v1, v29
	s_delay_alu instid0(VALU_DEP_2) | instskip(NEXT) | instid1(VALU_DEP_1)
	v_pk_min_f16 v105, v105, v109
	v_pk_min_f16 v105, v105, v111
	v_add_co_u32 v111, vcc_lo, v106, v42
	v_add_co_ci_u32_e32 v112, vcc_lo, v107, v43, vcc_lo
	s_delay_alu instid0(VALU_DEP_3) | instskip(SKIP_1) | instid1(VALU_DEP_1)
	v_lshrrev_b32_e32 v109, 16, v105
	s_and_b32 vcc_lo, exec_lo, s0
	v_min3_f16 v109, v108, v105, v109
	v_dual_mov_b32 v105, 0 :: v_dual_mov_b32 v108, 0
	global_store_b16 v[111:112], v109, off
	s_cbranch_vccnz .LBB265_26
; %bb.25:
	v_add_co_u32 v108, vcc_lo, v46, v40
	v_add_co_ci_u32_e32 v109, vcc_lo, v47, v41, vcc_lo
	flat_load_u16 v108, v[108:109]
	s_waitcnt vmcnt(0) lgkmcnt(0)
	v_mul_f16_e32 v108, s9, v108
.LBB265_26:
	v_pk_add_f16 v109, v2, v28
	v_pk_max_f16 v103, v103, v103
	v_pk_add_f16 v111, v3, v29
	s_delay_alu instid0(VALU_DEP_2) | instskip(NEXT) | instid1(VALU_DEP_1)
	v_pk_min_f16 v103, v103, v109
	v_pk_min_f16 v103, v103, v111
	s_delay_alu instid0(VALU_DEP_1) | instskip(NEXT) | instid1(VALU_DEP_1)
	v_lshrrev_b32_e32 v109, 16, v103
	v_min3_f16 v103, v108, v103, v109
	v_add_co_u32 v108, vcc_lo, v106, v40
	v_add_co_ci_u32_e32 v109, vcc_lo, v107, v41, vcc_lo
	s_and_b32 vcc_lo, exec_lo, s0
	global_store_b16 v[108:109], v103, off
	s_cbranch_vccnz .LBB265_28
; %bb.27:
	v_add_co_u32 v46, vcc_lo, v46, v44
	v_add_co_ci_u32_e32 v47, vcc_lo, v47, v45, vcc_lo
	flat_load_u16 v46, v[46:47]
	s_waitcnt vmcnt(0) lgkmcnt(0)
	v_mul_f16_e32 v105, s9, v46
.LBB265_28:
	v_pk_add_f16 v28, v32, v28
	v_pk_max_f16 v47, v101, v101
	v_pk_add_f16 v29, v33, v29
	v_add_nc_u32_e32 v46, 16, v110
	v_add_co_u32 v106, vcc_lo, v106, v44
	s_delay_alu instid0(VALU_DEP_4) | instskip(SKIP_2) | instid1(VALU_DEP_3)
	v_pk_min_f16 v28, v47, v28
	v_add_co_ci_u32_e32 v107, vcc_lo, v107, v45, vcc_lo
	v_mov_b32_e32 v103, 0
	v_pk_min_f16 v47, v28, v29
	s_delay_alu instid0(VALU_DEP_1) | instskip(NEXT) | instid1(VALU_DEP_1)
	v_lshrrev_b32_e32 v101, 16, v47
	v_min3_f16 v47, v105, v47, v101
	v_mov_b32_e32 v101, 0
	v_mad_i64_i32 v[108:109], null, v46, s8, 0
	global_store_b16 v[106:107], v47, off
	v_lshlrev_b64 v[28:29], 1, v[108:109]
	s_delay_alu instid0(VALU_DEP_1) | instskip(NEXT) | instid1(VALU_DEP_2)
	v_add_co_u32 v28, vcc_lo, s4, v28
	v_add_co_ci_u32_e32 v29, vcc_lo, s5, v29, vcc_lo
	s_and_b32 vcc_lo, exec_lo, s0
	s_cbranch_vccnz .LBB265_30
; %bb.29:
	s_delay_alu instid0(VALU_DEP_2) | instskip(NEXT) | instid1(VALU_DEP_2)
	v_add_co_u32 v105, vcc_lo, v28, v38
	v_add_co_ci_u32_e32 v106, vcc_lo, v29, v39, vcc_lo
	flat_load_u16 v47, v[105:106]
	s_waitcnt vmcnt(0) lgkmcnt(0)
	v_mul_f16_e32 v103, s9, v47
.LBB265_30:
	v_pk_add_f16 v47, v36, v30
	v_pk_max_f16 v106, v104, v104
	v_mad_i64_i32 v[104:105], null, v46, s1, 0
	v_pk_add_f16 v46, v37, v31
	s_delay_alu instid0(VALU_DEP_3) | instskip(NEXT) | instid1(VALU_DEP_1)
	v_pk_min_f16 v47, v106, v47
	v_pk_min_f16 v106, v47, v46
	s_delay_alu instid0(VALU_DEP_4) | instskip(NEXT) | instid1(VALU_DEP_2)
	v_lshlrev_b64 v[46:47], 1, v[104:105]
	v_lshrrev_b32_e32 v104, 16, v106
	s_delay_alu instid0(VALU_DEP_2) | instskip(NEXT) | instid1(VALU_DEP_3)
	v_add_co_u32 v46, vcc_lo, s3, v46
	v_add_co_ci_u32_e32 v47, vcc_lo, s6, v47, vcc_lo
	s_delay_alu instid0(VALU_DEP_3) | instskip(NEXT) | instid1(VALU_DEP_3)
	v_min3_f16 v105, v103, v106, v104
	v_add_co_u32 v103, vcc_lo, v46, v38
	s_delay_alu instid0(VALU_DEP_3)
	v_add_co_ci_u32_e32 v104, vcc_lo, v47, v39, vcc_lo
	s_and_b32 vcc_lo, exec_lo, s0
	global_store_b16 v[103:104], v105, off
	s_cbranch_vccnz .LBB265_32
; %bb.31:
	v_add_co_u32 v103, vcc_lo, v28, v42
	v_add_co_ci_u32_e32 v104, vcc_lo, v29, v43, vcc_lo
	flat_load_u16 v101, v[103:104]
	s_waitcnt vmcnt(0) lgkmcnt(0)
	v_mul_f16_e32 v101, s9, v101
.LBB265_32:
	v_pk_add_f16 v103, v0, v30
	v_pk_max_f16 v102, v102, v102
	v_pk_add_f16 v104, v1, v31
	s_delay_alu instid0(VALU_DEP_2) | instskip(SKIP_1) | instid1(VALU_DEP_2)
	v_pk_min_f16 v102, v102, v103
	v_add_co_u32 v103, vcc_lo, v46, v42
	v_pk_min_f16 v102, v102, v104
	v_add_co_ci_u32_e32 v104, vcc_lo, v47, v43, vcc_lo
	s_and_b32 vcc_lo, exec_lo, s0
	s_delay_alu instid0(VALU_DEP_2) | instskip(NEXT) | instid1(VALU_DEP_1)
	v_lshrrev_b32_e32 v105, 16, v102
	v_min3_f16 v105, v101, v102, v105
	v_dual_mov_b32 v101, 0 :: v_dual_mov_b32 v102, 0
	global_store_b16 v[103:104], v105, off
	s_cbranch_vccnz .LBB265_34
; %bb.33:
	v_add_co_u32 v102, vcc_lo, v28, v40
	v_add_co_ci_u32_e32 v103, vcc_lo, v29, v41, vcc_lo
	flat_load_u16 v102, v[102:103]
	s_waitcnt vmcnt(0) lgkmcnt(0)
	v_mul_f16_e32 v102, s9, v102
.LBB265_34:
	v_pk_add_f16 v103, v2, v30
	v_pk_max_f16 v100, v100, v100
	v_pk_add_f16 v104, v3, v31
	s_delay_alu instid0(VALU_DEP_2) | instskip(NEXT) | instid1(VALU_DEP_1)
	v_pk_min_f16 v100, v100, v103
	v_pk_min_f16 v100, v100, v104
	s_delay_alu instid0(VALU_DEP_1) | instskip(NEXT) | instid1(VALU_DEP_1)
	v_lshrrev_b32_e32 v103, 16, v100
	v_min3_f16 v100, v102, v100, v103
	v_add_co_u32 v102, vcc_lo, v46, v40
	v_add_co_ci_u32_e32 v103, vcc_lo, v47, v41, vcc_lo
	s_and_b32 vcc_lo, exec_lo, s0
	global_store_b16 v[102:103], v100, off
	s_cbranch_vccnz .LBB265_36
; %bb.35:
	v_add_co_u32 v28, vcc_lo, v28, v44
	v_add_co_ci_u32_e32 v29, vcc_lo, v29, v45, vcc_lo
	flat_load_u16 v28, v[28:29]
	s_waitcnt vmcnt(0) lgkmcnt(0)
	v_mul_f16_e32 v101, s9, v28
.LBB265_36:
	v_pk_add_f16 v30, v32, v30
	v_pk_max_f16 v99, v99, v99
	v_pk_add_f16 v31, v33, v31
	v_add_nc_u32_e32 v100, 24, v110
	s_delay_alu instid0(VALU_DEP_3) | instskip(NEXT) | instid1(VALU_DEP_1)
	v_pk_min_f16 v30, v99, v30
	v_pk_min_f16 v99, v30, v31
	v_add_co_u32 v30, vcc_lo, v46, v44
	v_add_co_ci_u32_e32 v31, vcc_lo, v47, v45, vcc_lo
	v_mov_b32_e32 v47, 0
	v_mad_i64_i32 v[28:29], null, v100, s8, 0
	v_lshrrev_b32_e32 v46, 16, v99
	s_delay_alu instid0(VALU_DEP_1) | instskip(NEXT) | instid1(VALU_DEP_3)
	v_min3_f16 v99, v101, v99, v46
	v_lshlrev_b64 v[28:29], 1, v[28:29]
	v_mov_b32_e32 v46, 0
	global_store_b16 v[30:31], v99, off
	v_add_co_u32 v28, vcc_lo, s4, v28
	v_add_co_ci_u32_e32 v29, vcc_lo, s5, v29, vcc_lo
	s_and_b32 vcc_lo, exec_lo, s0
	s_cbranch_vccnz .LBB265_38
; %bb.37:
	s_delay_alu instid0(VALU_DEP_2) | instskip(NEXT) | instid1(VALU_DEP_2)
	v_add_co_u32 v30, vcc_lo, v28, v38
	v_add_co_ci_u32_e32 v31, vcc_lo, v29, v39, vcc_lo
	flat_load_u16 v30, v[30:31]
	s_waitcnt vmcnt(0) lgkmcnt(0)
	v_mul_f16_e32 v47, s9, v30
.LBB265_38:
	v_pk_add_f16 v99, v36, v24
	v_pk_max_f16 v98, v98, v98
	v_mad_i64_i32 v[30:31], null, v100, s1, 0
	v_pk_add_f16 v100, v37, v25
	s_delay_alu instid0(VALU_DEP_3) | instskip(NEXT) | instid1(VALU_DEP_3)
	v_pk_min_f16 v98, v98, v99
	v_lshlrev_b64 v[30:31], 1, v[30:31]
	s_delay_alu instid0(VALU_DEP_2) | instskip(NEXT) | instid1(VALU_DEP_2)
	v_pk_min_f16 v98, v98, v100
	v_add_co_u32 v30, vcc_lo, s3, v30
	s_delay_alu instid0(VALU_DEP_2) | instskip(NEXT) | instid1(VALU_DEP_4)
	v_lshrrev_b32_e32 v99, 16, v98
	v_add_co_ci_u32_e32 v31, vcc_lo, s6, v31, vcc_lo
	s_delay_alu instid0(VALU_DEP_2) | instskip(NEXT) | instid1(VALU_DEP_4)
	v_min3_f16 v47, v47, v98, v99
	v_add_co_u32 v98, vcc_lo, v30, v38
	s_delay_alu instid0(VALU_DEP_3)
	v_add_co_ci_u32_e32 v99, vcc_lo, v31, v39, vcc_lo
	s_and_b32 vcc_lo, exec_lo, s0
	global_store_b16 v[98:99], v47, off
	s_cbranch_vccnz .LBB265_40
; %bb.39:
	v_add_co_u32 v46, vcc_lo, v28, v42
	v_add_co_ci_u32_e32 v47, vcc_lo, v29, v43, vcc_lo
	flat_load_u16 v46, v[46:47]
	s_waitcnt vmcnt(0) lgkmcnt(0)
	v_mul_f16_e32 v46, s9, v46
.LBB265_40:
	v_pk_add_f16 v47, v0, v24
	v_pk_max_f16 v97, v97, v97
	v_pk_add_f16 v98, v1, v25
	s_delay_alu instid0(VALU_DEP_2) | instskip(SKIP_1) | instid1(VALU_DEP_2)
	v_pk_min_f16 v47, v97, v47
	v_add_co_u32 v97, vcc_lo, v30, v42
	v_pk_min_f16 v47, v47, v98
	v_add_co_ci_u32_e32 v98, vcc_lo, v31, v43, vcc_lo
	s_and_b32 vcc_lo, exec_lo, s0
	s_delay_alu instid0(VALU_DEP_2) | instskip(NEXT) | instid1(VALU_DEP_1)
	v_lshrrev_b32_e32 v99, 16, v47
	v_min3_f16 v99, v46, v47, v99
	v_dual_mov_b32 v46, 0 :: v_dual_mov_b32 v47, 0
	global_store_b16 v[97:98], v99, off
	s_cbranch_vccnz .LBB265_42
; %bb.41:
	v_add_co_u32 v97, vcc_lo, v28, v40
	v_add_co_ci_u32_e32 v98, vcc_lo, v29, v41, vcc_lo
	flat_load_u16 v47, v[97:98]
	s_waitcnt vmcnt(0) lgkmcnt(0)
	v_mul_f16_e32 v47, s9, v47
.LBB265_42:
	v_pk_add_f16 v97, v2, v24
	v_pk_max_f16 v95, v95, v95
	v_pk_add_f16 v98, v3, v25
	s_delay_alu instid0(VALU_DEP_2) | instskip(NEXT) | instid1(VALU_DEP_1)
	v_pk_min_f16 v95, v95, v97
	v_pk_min_f16 v95, v95, v98
	s_delay_alu instid0(VALU_DEP_1) | instskip(NEXT) | instid1(VALU_DEP_1)
	v_lshrrev_b32_e32 v97, 16, v95
	v_min3_f16 v47, v47, v95, v97
	v_add_co_u32 v97, vcc_lo, v30, v40
	v_add_co_ci_u32_e32 v98, vcc_lo, v31, v41, vcc_lo
	s_and_b32 vcc_lo, exec_lo, s0
	global_store_b16 v[97:98], v47, off
	s_cbranch_vccnz .LBB265_44
; %bb.43:
	v_add_co_u32 v28, vcc_lo, v28, v44
	v_add_co_ci_u32_e32 v29, vcc_lo, v29, v45, vcc_lo
	flat_load_u16 v28, v[28:29]
	s_waitcnt vmcnt(0) lgkmcnt(0)
	v_mul_f16_e32 v46, s9, v28
.LBB265_44:
	v_add_nc_u32_e32 v28, 32, v110
	v_pk_add_f16 v24, v32, v24
	v_pk_max_f16 v29, v93, v93
	v_pk_add_f16 v25, v33, v25
	s_delay_alu instid0(VALU_DEP_4) | instskip(NEXT) | instid1(VALU_DEP_3)
	v_mad_i64_i32 v[97:98], null, v28, s8, 0
	v_pk_min_f16 v24, v29, v24
	s_delay_alu instid0(VALU_DEP_1) | instskip(NEXT) | instid1(VALU_DEP_3)
	v_pk_min_f16 v29, v24, v25
	v_lshlrev_b64 v[24:25], 1, v[97:98]
	v_add_co_u32 v97, vcc_lo, v30, v44
	v_add_co_ci_u32_e32 v98, vcc_lo, v31, v45, vcc_lo
	v_mov_b32_e32 v31, 0
	v_lshrrev_b32_e32 v30, 16, v29
	v_add_co_u32 v24, vcc_lo, s4, v24
	v_add_co_ci_u32_e32 v25, vcc_lo, s5, v25, vcc_lo
	s_delay_alu instid0(VALU_DEP_3)
	v_min3_f16 v29, v46, v29, v30
	v_mov_b32_e32 v30, 0
	s_and_b32 vcc_lo, exec_lo, s0
	global_store_b16 v[97:98], v29, off
	s_cbranch_vccnz .LBB265_46
; %bb.45:
	v_add_co_u32 v46, vcc_lo, v24, v38
	v_add_co_ci_u32_e32 v47, vcc_lo, v25, v39, vcc_lo
	flat_load_u16 v29, v[46:47]
	s_waitcnt vmcnt(0) lgkmcnt(0)
	v_mul_f16_e32 v31, s9, v29
.LBB265_46:
	v_pk_add_f16 v29, v36, v26
	v_pk_max_f16 v93, v96, v96
	v_mad_i64_i32 v[46:47], null, v28, s1, 0
	v_pk_add_f16 v28, v37, v27
	s_delay_alu instid0(VALU_DEP_3) | instskip(NEXT) | instid1(VALU_DEP_1)
	v_pk_min_f16 v29, v93, v29
	v_pk_min_f16 v93, v29, v28
	s_delay_alu instid0(VALU_DEP_4) | instskip(NEXT) | instid1(VALU_DEP_2)
	v_lshlrev_b64 v[28:29], 1, v[46:47]
	v_lshrrev_b32_e32 v46, 16, v93
	s_delay_alu instid0(VALU_DEP_2) | instskip(NEXT) | instid1(VALU_DEP_3)
	v_add_co_u32 v28, vcc_lo, s3, v28
	v_add_co_ci_u32_e32 v29, vcc_lo, s6, v29, vcc_lo
	s_delay_alu instid0(VALU_DEP_3) | instskip(NEXT) | instid1(VALU_DEP_3)
	v_min3_f16 v31, v31, v93, v46
	v_add_co_u32 v46, vcc_lo, v28, v38
	s_delay_alu instid0(VALU_DEP_3)
	v_add_co_ci_u32_e32 v47, vcc_lo, v29, v39, vcc_lo
	s_and_b32 vcc_lo, exec_lo, s0
	global_store_b16 v[46:47], v31, off
	s_cbranch_vccnz .LBB265_48
; %bb.47:
	v_add_co_u32 v30, vcc_lo, v24, v42
	v_add_co_ci_u32_e32 v31, vcc_lo, v25, v43, vcc_lo
	flat_load_u16 v30, v[30:31]
	s_waitcnt vmcnt(0) lgkmcnt(0)
	v_mul_f16_e32 v30, s9, v30
.LBB265_48:
	v_pk_add_f16 v31, v0, v26
	v_pk_max_f16 v46, v94, v94
	v_pk_add_f16 v47, v1, v27
	s_delay_alu instid0(VALU_DEP_2) | instskip(SKIP_1) | instid1(VALU_DEP_2)
	v_pk_min_f16 v31, v46, v31
	v_add_co_u32 v46, vcc_lo, v28, v42
	v_pk_min_f16 v31, v31, v47
	v_add_co_ci_u32_e32 v47, vcc_lo, v29, v43, vcc_lo
	s_and_b32 vcc_lo, exec_lo, s0
	s_delay_alu instid0(VALU_DEP_2) | instskip(NEXT) | instid1(VALU_DEP_1)
	v_lshrrev_b32_e32 v93, 16, v31
	v_min3_f16 v93, v30, v31, v93
	v_dual_mov_b32 v30, 0 :: v_dual_mov_b32 v31, 0
	global_store_b16 v[46:47], v93, off
	s_cbranch_vccnz .LBB265_50
; %bb.49:
	v_add_co_u32 v46, vcc_lo, v24, v40
	v_add_co_ci_u32_e32 v47, vcc_lo, v25, v41, vcc_lo
	flat_load_u16 v31, v[46:47]
	s_waitcnt vmcnt(0) lgkmcnt(0)
	v_mul_f16_e32 v31, s9, v31
.LBB265_50:
	v_pk_add_f16 v46, v2, v26
	v_pk_max_f16 v47, v92, v92
	v_pk_add_f16 v92, v3, v27
	s_delay_alu instid0(VALU_DEP_2) | instskip(NEXT) | instid1(VALU_DEP_1)
	v_pk_min_f16 v46, v47, v46
	v_pk_min_f16 v46, v46, v92
	s_delay_alu instid0(VALU_DEP_1) | instskip(NEXT) | instid1(VALU_DEP_1)
	v_lshrrev_b32_e32 v47, 16, v46
	v_min3_f16 v31, v31, v46, v47
	v_add_co_u32 v46, vcc_lo, v28, v40
	v_add_co_ci_u32_e32 v47, vcc_lo, v29, v41, vcc_lo
	s_and_b32 vcc_lo, exec_lo, s0
	global_store_b16 v[46:47], v31, off
	s_cbranch_vccnz .LBB265_52
; %bb.51:
	v_add_co_u32 v24, vcc_lo, v24, v44
	v_add_co_ci_u32_e32 v25, vcc_lo, v25, v45, vcc_lo
	flat_load_u16 v24, v[24:25]
	s_waitcnt vmcnt(0) lgkmcnt(0)
	v_mul_f16_e32 v30, s9, v24
.LBB265_52:
	v_pk_add_f16 v26, v32, v26
	v_pk_max_f16 v46, v91, v91
	v_pk_add_f16 v27, v33, v27
	v_add_nc_u32_e32 v31, 40, v110
	s_delay_alu instid0(VALU_DEP_3) | instskip(NEXT) | instid1(VALU_DEP_1)
	v_pk_min_f16 v26, v46, v26
	v_pk_min_f16 v46, v26, v27
	v_add_co_u32 v26, vcc_lo, v28, v44
	v_add_co_ci_u32_e32 v27, vcc_lo, v29, v45, vcc_lo
	s_delay_alu instid0(VALU_DEP_3) | instskip(SKIP_1) | instid1(VALU_DEP_2)
	v_lshrrev_b32_e32 v28, 16, v46
	v_mov_b32_e32 v29, 0
	v_min3_f16 v30, v30, v46, v28
	v_mov_b32_e32 v28, 0
	v_mad_i64_i32 v[24:25], null, v31, s8, 0
	global_store_b16 v[26:27], v30, off
	v_lshlrev_b64 v[24:25], 1, v[24:25]
	s_delay_alu instid0(VALU_DEP_1) | instskip(NEXT) | instid1(VALU_DEP_2)
	v_add_co_u32 v24, vcc_lo, s4, v24
	v_add_co_ci_u32_e32 v25, vcc_lo, s5, v25, vcc_lo
	s_and_b32 vcc_lo, exec_lo, s0
	s_cbranch_vccnz .LBB265_54
; %bb.53:
	s_delay_alu instid0(VALU_DEP_2) | instskip(NEXT) | instid1(VALU_DEP_2)
	v_add_co_u32 v26, vcc_lo, v24, v38
	v_add_co_ci_u32_e32 v27, vcc_lo, v25, v39, vcc_lo
	flat_load_u16 v26, v[26:27]
	s_waitcnt vmcnt(0) lgkmcnt(0)
	v_mul_f16_e32 v29, s9, v26
.LBB265_54:
	v_pk_add_f16 v30, v36, v20
	v_pk_max_f16 v46, v90, v90
	v_mad_i64_i32 v[26:27], null, v31, s1, 0
	v_pk_add_f16 v31, v37, v21
	s_delay_alu instid0(VALU_DEP_3) | instskip(NEXT) | instid1(VALU_DEP_3)
	v_pk_min_f16 v30, v46, v30
	v_lshlrev_b64 v[26:27], 1, v[26:27]
	s_delay_alu instid0(VALU_DEP_2) | instskip(NEXT) | instid1(VALU_DEP_2)
	v_pk_min_f16 v30, v30, v31
	v_add_co_u32 v26, vcc_lo, s3, v26
	s_delay_alu instid0(VALU_DEP_2) | instskip(NEXT) | instid1(VALU_DEP_4)
	v_lshrrev_b32_e32 v31, 16, v30
	v_add_co_ci_u32_e32 v27, vcc_lo, s6, v27, vcc_lo
	s_delay_alu instid0(VALU_DEP_2) | instskip(NEXT) | instid1(VALU_DEP_4)
	v_min3_f16 v31, v29, v30, v31
	v_add_co_u32 v29, vcc_lo, v26, v38
	s_delay_alu instid0(VALU_DEP_3)
	v_add_co_ci_u32_e32 v30, vcc_lo, v27, v39, vcc_lo
	s_and_b32 vcc_lo, exec_lo, s0
	global_store_b16 v[29:30], v31, off
	s_cbranch_vccnz .LBB265_56
; %bb.55:
	v_add_co_u32 v28, vcc_lo, v24, v42
	v_add_co_ci_u32_e32 v29, vcc_lo, v25, v43, vcc_lo
	flat_load_u16 v28, v[28:29]
	s_waitcnt vmcnt(0) lgkmcnt(0)
	v_mul_f16_e32 v28, s9, v28
.LBB265_56:
	v_pk_add_f16 v29, v0, v20
	v_pk_max_f16 v30, v89, v89
	v_pk_add_f16 v31, v1, v21
	s_delay_alu instid0(VALU_DEP_2) | instskip(SKIP_1) | instid1(VALU_DEP_2)
	v_pk_min_f16 v29, v30, v29
	v_add_co_u32 v30, vcc_lo, v26, v42
	v_pk_min_f16 v29, v29, v31
	v_add_co_ci_u32_e32 v31, vcc_lo, v27, v43, vcc_lo
	s_and_b32 vcc_lo, exec_lo, s0
	s_delay_alu instid0(VALU_DEP_2) | instskip(NEXT) | instid1(VALU_DEP_1)
	v_lshrrev_b32_e32 v46, 16, v29
	v_min3_f16 v46, v28, v29, v46
	v_dual_mov_b32 v28, 0 :: v_dual_mov_b32 v29, 0
	global_store_b16 v[30:31], v46, off
	s_cbranch_vccnz .LBB265_58
; %bb.57:
	v_add_co_u32 v29, vcc_lo, v24, v40
	v_add_co_ci_u32_e32 v30, vcc_lo, v25, v41, vcc_lo
	flat_load_u16 v29, v[29:30]
	s_waitcnt vmcnt(0) lgkmcnt(0)
	v_mul_f16_e32 v29, s9, v29
.LBB265_58:
	v_pk_add_f16 v30, v2, v20
	v_pk_max_f16 v31, v87, v87
	v_pk_add_f16 v46, v3, v21
	s_delay_alu instid0(VALU_DEP_2) | instskip(NEXT) | instid1(VALU_DEP_1)
	v_pk_min_f16 v30, v31, v30
	v_pk_min_f16 v30, v30, v46
	s_delay_alu instid0(VALU_DEP_1) | instskip(NEXT) | instid1(VALU_DEP_1)
	v_lshrrev_b32_e32 v31, 16, v30
	v_min3_f16 v31, v29, v30, v31
	v_add_co_u32 v29, vcc_lo, v26, v40
	v_add_co_ci_u32_e32 v30, vcc_lo, v27, v41, vcc_lo
	s_and_b32 vcc_lo, exec_lo, s0
	global_store_b16 v[29:30], v31, off
	s_cbranch_vccnz .LBB265_60
; %bb.59:
	v_add_co_u32 v24, vcc_lo, v24, v44
	v_add_co_ci_u32_e32 v25, vcc_lo, v25, v45, vcc_lo
	flat_load_u16 v24, v[24:25]
	s_waitcnt vmcnt(0) lgkmcnt(0)
	v_mul_f16_e32 v28, s9, v24
.LBB265_60:
	v_add_nc_u32_e32 v24, 48, v110
	v_pk_add_f16 v20, v32, v20
	v_pk_max_f16 v25, v85, v85
	v_pk_add_f16 v21, v33, v21
	s_delay_alu instid0(VALU_DEP_4) | instskip(NEXT) | instid1(VALU_DEP_3)
	v_mad_i64_i32 v[29:30], null, v24, s8, 0
	v_pk_min_f16 v20, v25, v20
	s_delay_alu instid0(VALU_DEP_1) | instskip(NEXT) | instid1(VALU_DEP_3)
	v_pk_min_f16 v25, v20, v21
	v_lshlrev_b64 v[20:21], 1, v[29:30]
	v_add_co_u32 v29, vcc_lo, v26, v44
	v_add_co_ci_u32_e32 v30, vcc_lo, v27, v45, vcc_lo
	v_mov_b32_e32 v27, 0
	v_lshrrev_b32_e32 v26, 16, v25
	v_add_co_u32 v20, vcc_lo, s4, v20
	v_add_co_ci_u32_e32 v21, vcc_lo, s5, v21, vcc_lo
	s_delay_alu instid0(VALU_DEP_3)
	v_min3_f16 v25, v28, v25, v26
	v_mov_b32_e32 v26, 0
	s_and_b32 vcc_lo, exec_lo, s0
	global_store_b16 v[29:30], v25, off
	s_cbranch_vccnz .LBB265_62
; %bb.61:
	v_add_co_u32 v27, vcc_lo, v20, v38
	v_add_co_ci_u32_e32 v28, vcc_lo, v21, v39, vcc_lo
	flat_load_u16 v25, v[27:28]
	s_waitcnt vmcnt(0) lgkmcnt(0)
	v_mul_f16_e32 v27, s9, v25
.LBB265_62:
	v_pk_add_f16 v25, v36, v22
	v_pk_max_f16 v30, v88, v88
	v_mad_i64_i32 v[28:29], null, v24, s1, 0
	v_pk_add_f16 v24, v37, v23
	s_delay_alu instid0(VALU_DEP_3) | instskip(NEXT) | instid1(VALU_DEP_1)
	v_pk_min_f16 v25, v30, v25
	v_pk_min_f16 v30, v25, v24
	s_delay_alu instid0(VALU_DEP_4) | instskip(NEXT) | instid1(VALU_DEP_2)
	v_lshlrev_b64 v[24:25], 1, v[28:29]
	v_lshrrev_b32_e32 v28, 16, v30
	s_delay_alu instid0(VALU_DEP_2) | instskip(NEXT) | instid1(VALU_DEP_3)
	v_add_co_u32 v24, vcc_lo, s3, v24
	v_add_co_ci_u32_e32 v25, vcc_lo, s6, v25, vcc_lo
	s_delay_alu instid0(VALU_DEP_3) | instskip(NEXT) | instid1(VALU_DEP_3)
	v_min3_f16 v29, v27, v30, v28
	v_add_co_u32 v27, vcc_lo, v24, v38
	s_delay_alu instid0(VALU_DEP_3)
	v_add_co_ci_u32_e32 v28, vcc_lo, v25, v39, vcc_lo
	s_and_b32 vcc_lo, exec_lo, s0
	global_store_b16 v[27:28], v29, off
	s_cbranch_vccnz .LBB265_64
; %bb.63:
	v_add_co_u32 v26, vcc_lo, v20, v42
	v_add_co_ci_u32_e32 v27, vcc_lo, v21, v43, vcc_lo
	flat_load_u16 v26, v[26:27]
	s_waitcnt vmcnt(0) lgkmcnt(0)
	v_mul_f16_e32 v26, s9, v26
.LBB265_64:
	v_pk_add_f16 v27, v0, v22
	v_pk_max_f16 v28, v86, v86
	v_pk_add_f16 v29, v1, v23
	s_delay_alu instid0(VALU_DEP_2) | instskip(SKIP_1) | instid1(VALU_DEP_2)
	v_pk_min_f16 v27, v28, v27
	v_add_co_u32 v28, vcc_lo, v24, v42
	v_pk_min_f16 v27, v27, v29
	v_add_co_ci_u32_e32 v29, vcc_lo, v25, v43, vcc_lo
	s_and_b32 vcc_lo, exec_lo, s0
	s_delay_alu instid0(VALU_DEP_2) | instskip(NEXT) | instid1(VALU_DEP_1)
	v_lshrrev_b32_e32 v30, 16, v27
	v_min3_f16 v30, v26, v27, v30
	v_dual_mov_b32 v26, 0 :: v_dual_mov_b32 v27, 0
	global_store_b16 v[28:29], v30, off
	s_cbranch_vccnz .LBB265_66
; %bb.65:
	v_add_co_u32 v27, vcc_lo, v20, v40
	v_add_co_ci_u32_e32 v28, vcc_lo, v21, v41, vcc_lo
	flat_load_u16 v27, v[27:28]
	s_waitcnt vmcnt(0) lgkmcnt(0)
	v_mul_f16_e32 v27, s9, v27
.LBB265_66:
	v_pk_add_f16 v28, v2, v22
	v_pk_max_f16 v29, v84, v84
	v_pk_add_f16 v30, v3, v23
	s_delay_alu instid0(VALU_DEP_2) | instskip(NEXT) | instid1(VALU_DEP_1)
	v_pk_min_f16 v28, v29, v28
	v_pk_min_f16 v28, v28, v30
	s_delay_alu instid0(VALU_DEP_1) | instskip(NEXT) | instid1(VALU_DEP_1)
	v_lshrrev_b32_e32 v29, 16, v28
	v_min3_f16 v29, v27, v28, v29
	v_add_co_u32 v27, vcc_lo, v24, v40
	v_add_co_ci_u32_e32 v28, vcc_lo, v25, v41, vcc_lo
	s_and_b32 vcc_lo, exec_lo, s0
	global_store_b16 v[27:28], v29, off
	s_cbranch_vccnz .LBB265_68
; %bb.67:
	v_add_co_u32 v20, vcc_lo, v20, v44
	v_add_co_ci_u32_e32 v21, vcc_lo, v21, v45, vcc_lo
	flat_load_u16 v20, v[20:21]
	s_waitcnt vmcnt(0) lgkmcnt(0)
	v_mul_f16_e32 v26, s9, v20
.LBB265_68:
	v_pk_add_f16 v22, v32, v22
	v_pk_max_f16 v28, v83, v83
	v_pk_add_f16 v23, v33, v23
	v_add_nc_u32_e32 v27, 56, v110
	s_delay_alu instid0(VALU_DEP_3) | instskip(NEXT) | instid1(VALU_DEP_1)
	v_pk_min_f16 v22, v28, v22
	v_pk_min_f16 v28, v22, v23
	v_add_co_u32 v22, vcc_lo, v24, v44
	v_add_co_ci_u32_e32 v23, vcc_lo, v25, v45, vcc_lo
	s_delay_alu instid0(VALU_DEP_3) | instskip(SKIP_1) | instid1(VALU_DEP_2)
	v_lshrrev_b32_e32 v24, 16, v28
	v_mov_b32_e32 v25, 0
	v_min3_f16 v26, v26, v28, v24
	v_mov_b32_e32 v24, 0
	v_mad_i64_i32 v[20:21], null, v27, s8, 0
	global_store_b16 v[22:23], v26, off
	v_lshlrev_b64 v[20:21], 1, v[20:21]
	s_delay_alu instid0(VALU_DEP_1) | instskip(NEXT) | instid1(VALU_DEP_2)
	v_add_co_u32 v20, vcc_lo, s4, v20
	v_add_co_ci_u32_e32 v21, vcc_lo, s5, v21, vcc_lo
	s_and_b32 vcc_lo, exec_lo, s0
	s_cbranch_vccnz .LBB265_70
; %bb.69:
	s_delay_alu instid0(VALU_DEP_2) | instskip(NEXT) | instid1(VALU_DEP_2)
	v_add_co_u32 v22, vcc_lo, v20, v38
	v_add_co_ci_u32_e32 v23, vcc_lo, v21, v39, vcc_lo
	flat_load_u16 v22, v[22:23]
	s_waitcnt vmcnt(0) lgkmcnt(0)
	v_mul_f16_e32 v25, s9, v22
.LBB265_70:
	v_pk_add_f16 v26, v36, v16
	v_pk_max_f16 v28, v82, v82
	v_mad_i64_i32 v[22:23], null, v27, s1, 0
	v_pk_add_f16 v27, v37, v17
	s_delay_alu instid0(VALU_DEP_3) | instskip(NEXT) | instid1(VALU_DEP_3)
	v_pk_min_f16 v26, v28, v26
	v_lshlrev_b64 v[22:23], 1, v[22:23]
	s_delay_alu instid0(VALU_DEP_2) | instskip(NEXT) | instid1(VALU_DEP_2)
	v_pk_min_f16 v26, v26, v27
	v_add_co_u32 v22, vcc_lo, s3, v22
	s_delay_alu instid0(VALU_DEP_2) | instskip(NEXT) | instid1(VALU_DEP_4)
	v_lshrrev_b32_e32 v27, 16, v26
	v_add_co_ci_u32_e32 v23, vcc_lo, s6, v23, vcc_lo
	s_delay_alu instid0(VALU_DEP_2) | instskip(NEXT) | instid1(VALU_DEP_4)
	v_min3_f16 v27, v25, v26, v27
	v_add_co_u32 v25, vcc_lo, v22, v38
	s_delay_alu instid0(VALU_DEP_3)
	v_add_co_ci_u32_e32 v26, vcc_lo, v23, v39, vcc_lo
	s_and_b32 vcc_lo, exec_lo, s0
	global_store_b16 v[25:26], v27, off
	s_cbranch_vccnz .LBB265_72
; %bb.71:
	v_add_co_u32 v24, vcc_lo, v20, v42
	v_add_co_ci_u32_e32 v25, vcc_lo, v21, v43, vcc_lo
	flat_load_u16 v24, v[24:25]
	s_waitcnt vmcnt(0) lgkmcnt(0)
	v_mul_f16_e32 v24, s9, v24
.LBB265_72:
	v_pk_add_f16 v25, v0, v16
	v_pk_max_f16 v26, v80, v80
	v_pk_add_f16 v27, v1, v17
	s_delay_alu instid0(VALU_DEP_2) | instskip(SKIP_1) | instid1(VALU_DEP_2)
	v_pk_min_f16 v25, v26, v25
	v_add_co_u32 v26, vcc_lo, v22, v42
	v_pk_min_f16 v25, v25, v27
	v_add_co_ci_u32_e32 v27, vcc_lo, v23, v43, vcc_lo
	s_and_b32 vcc_lo, exec_lo, s0
	s_delay_alu instid0(VALU_DEP_2) | instskip(NEXT) | instid1(VALU_DEP_1)
	v_lshrrev_b32_e32 v28, 16, v25
	v_min3_f16 v28, v24, v25, v28
	v_dual_mov_b32 v24, 0 :: v_dual_mov_b32 v25, 0
	global_store_b16 v[26:27], v28, off
	s_cbranch_vccnz .LBB265_74
; %bb.73:
	v_add_co_u32 v25, vcc_lo, v20, v40
	v_add_co_ci_u32_e32 v26, vcc_lo, v21, v41, vcc_lo
	flat_load_u16 v25, v[25:26]
	s_waitcnt vmcnt(0) lgkmcnt(0)
	v_mul_f16_e32 v25, s9, v25
.LBB265_74:
	v_pk_add_f16 v26, v2, v16
	v_pk_max_f16 v27, v79, v79
	v_pk_add_f16 v28, v3, v17
	s_delay_alu instid0(VALU_DEP_2) | instskip(NEXT) | instid1(VALU_DEP_1)
	v_pk_min_f16 v26, v27, v26
	v_pk_min_f16 v26, v26, v28
	s_delay_alu instid0(VALU_DEP_1) | instskip(NEXT) | instid1(VALU_DEP_1)
	v_lshrrev_b32_e32 v27, 16, v26
	v_min3_f16 v27, v25, v26, v27
	v_add_co_u32 v25, vcc_lo, v22, v40
	v_add_co_ci_u32_e32 v26, vcc_lo, v23, v41, vcc_lo
	s_and_b32 vcc_lo, exec_lo, s0
	global_store_b16 v[25:26], v27, off
	s_cbranch_vccnz .LBB265_76
; %bb.75:
	v_add_co_u32 v20, vcc_lo, v20, v44
	v_add_co_ci_u32_e32 v21, vcc_lo, v21, v45, vcc_lo
	flat_load_u16 v20, v[20:21]
	s_waitcnt vmcnt(0) lgkmcnt(0)
	v_mul_f16_e32 v24, s9, v20
.LBB265_76:
	v_add_nc_u32_e32 v20, 64, v110
	v_pk_add_f16 v16, v32, v16
	v_pk_max_f16 v21, v76, v76
	v_pk_add_f16 v17, v33, v17
	s_delay_alu instid0(VALU_DEP_4) | instskip(NEXT) | instid1(VALU_DEP_3)
	v_mad_i64_i32 v[25:26], null, v20, s8, 0
	v_pk_min_f16 v16, v21, v16
	s_delay_alu instid0(VALU_DEP_1) | instskip(NEXT) | instid1(VALU_DEP_3)
	v_pk_min_f16 v21, v16, v17
	v_lshlrev_b64 v[16:17], 1, v[25:26]
	v_add_co_u32 v25, vcc_lo, v22, v44
	v_add_co_ci_u32_e32 v26, vcc_lo, v23, v45, vcc_lo
	v_mov_b32_e32 v23, 0
	v_lshrrev_b32_e32 v22, 16, v21
	v_add_co_u32 v16, vcc_lo, s4, v16
	v_add_co_ci_u32_e32 v17, vcc_lo, s5, v17, vcc_lo
	s_delay_alu instid0(VALU_DEP_3)
	v_min3_f16 v21, v24, v21, v22
	v_mov_b32_e32 v22, 0
	s_and_b32 vcc_lo, exec_lo, s0
	global_store_b16 v[25:26], v21, off
	s_cbranch_vccnz .LBB265_78
; %bb.77:
	v_add_co_u32 v23, vcc_lo, v16, v38
	v_add_co_ci_u32_e32 v24, vcc_lo, v17, v39, vcc_lo
	flat_load_u16 v21, v[23:24]
	s_waitcnt vmcnt(0) lgkmcnt(0)
	v_mul_f16_e32 v23, s9, v21
.LBB265_78:
	v_pk_add_f16 v21, v36, v18
	v_pk_max_f16 v26, v81, v81
	v_mad_i64_i32 v[24:25], null, v20, s1, 0
	v_pk_add_f16 v20, v37, v19
	s_delay_alu instid0(VALU_DEP_3) | instskip(NEXT) | instid1(VALU_DEP_1)
	v_pk_min_f16 v21, v26, v21
	v_pk_min_f16 v26, v21, v20
	s_delay_alu instid0(VALU_DEP_4) | instskip(NEXT) | instid1(VALU_DEP_2)
	v_lshlrev_b64 v[20:21], 1, v[24:25]
	v_lshrrev_b32_e32 v24, 16, v26
	s_delay_alu instid0(VALU_DEP_2) | instskip(NEXT) | instid1(VALU_DEP_3)
	v_add_co_u32 v20, vcc_lo, s3, v20
	v_add_co_ci_u32_e32 v21, vcc_lo, s6, v21, vcc_lo
	s_delay_alu instid0(VALU_DEP_3) | instskip(NEXT) | instid1(VALU_DEP_3)
	v_min3_f16 v25, v23, v26, v24
	v_add_co_u32 v23, vcc_lo, v20, v38
	s_delay_alu instid0(VALU_DEP_3)
	v_add_co_ci_u32_e32 v24, vcc_lo, v21, v39, vcc_lo
	s_and_b32 vcc_lo, exec_lo, s0
	global_store_b16 v[23:24], v25, off
	s_cbranch_vccnz .LBB265_80
; %bb.79:
	v_add_co_u32 v22, vcc_lo, v16, v42
	v_add_co_ci_u32_e32 v23, vcc_lo, v17, v43, vcc_lo
	flat_load_u16 v22, v[22:23]
	s_waitcnt vmcnt(0) lgkmcnt(0)
	v_mul_f16_e32 v22, s9, v22
.LBB265_80:
	v_pk_add_f16 v23, v0, v18
	v_pk_max_f16 v24, v78, v78
	v_pk_add_f16 v25, v1, v19
	s_delay_alu instid0(VALU_DEP_2) | instskip(SKIP_1) | instid1(VALU_DEP_2)
	v_pk_min_f16 v23, v24, v23
	v_add_co_u32 v24, vcc_lo, v20, v42
	v_pk_min_f16 v23, v23, v25
	v_add_co_ci_u32_e32 v25, vcc_lo, v21, v43, vcc_lo
	s_and_b32 vcc_lo, exec_lo, s0
	s_delay_alu instid0(VALU_DEP_2) | instskip(NEXT) | instid1(VALU_DEP_1)
	v_lshrrev_b32_e32 v26, 16, v23
	v_min3_f16 v26, v22, v23, v26
	v_dual_mov_b32 v22, 0 :: v_dual_mov_b32 v23, 0
	global_store_b16 v[24:25], v26, off
	s_cbranch_vccnz .LBB265_82
; %bb.81:
	v_add_co_u32 v23, vcc_lo, v16, v40
	v_add_co_ci_u32_e32 v24, vcc_lo, v17, v41, vcc_lo
	flat_load_u16 v23, v[23:24]
	s_waitcnt vmcnt(0) lgkmcnt(0)
	v_mul_f16_e32 v23, s9, v23
.LBB265_82:
	v_pk_add_f16 v24, v2, v18
	v_pk_max_f16 v25, v77, v77
	v_pk_add_f16 v26, v3, v19
	s_delay_alu instid0(VALU_DEP_2) | instskip(NEXT) | instid1(VALU_DEP_1)
	v_pk_min_f16 v24, v25, v24
	v_pk_min_f16 v24, v24, v26
	s_delay_alu instid0(VALU_DEP_1) | instskip(NEXT) | instid1(VALU_DEP_1)
	v_lshrrev_b32_e32 v25, 16, v24
	v_min3_f16 v25, v23, v24, v25
	v_add_co_u32 v23, vcc_lo, v20, v40
	v_add_co_ci_u32_e32 v24, vcc_lo, v21, v41, vcc_lo
	s_and_b32 vcc_lo, exec_lo, s0
	global_store_b16 v[23:24], v25, off
	s_cbranch_vccnz .LBB265_84
; %bb.83:
	v_add_co_u32 v16, vcc_lo, v16, v44
	v_add_co_ci_u32_e32 v17, vcc_lo, v17, v45, vcc_lo
	flat_load_u16 v16, v[16:17]
	s_waitcnt vmcnt(0) lgkmcnt(0)
	v_mul_f16_e32 v22, s9, v16
.LBB265_84:
	v_pk_add_f16 v18, v32, v18
	v_pk_max_f16 v24, v75, v75
	v_pk_add_f16 v19, v33, v19
	v_add_nc_u32_e32 v23, 0x48, v110
	s_delay_alu instid0(VALU_DEP_3) | instskip(NEXT) | instid1(VALU_DEP_1)
	v_pk_min_f16 v18, v24, v18
	v_pk_min_f16 v24, v18, v19
	v_add_co_u32 v18, vcc_lo, v20, v44
	v_add_co_ci_u32_e32 v19, vcc_lo, v21, v45, vcc_lo
	s_delay_alu instid0(VALU_DEP_3) | instskip(SKIP_1) | instid1(VALU_DEP_2)
	v_lshrrev_b32_e32 v20, 16, v24
	v_mov_b32_e32 v21, 0
	v_min3_f16 v22, v22, v24, v20
	v_mov_b32_e32 v20, 0
	v_mad_i64_i32 v[16:17], null, v23, s8, 0
	global_store_b16 v[18:19], v22, off
	v_lshlrev_b64 v[16:17], 1, v[16:17]
	s_delay_alu instid0(VALU_DEP_1) | instskip(NEXT) | instid1(VALU_DEP_2)
	v_add_co_u32 v16, vcc_lo, s4, v16
	v_add_co_ci_u32_e32 v17, vcc_lo, s5, v17, vcc_lo
	s_and_b32 vcc_lo, exec_lo, s0
	s_cbranch_vccnz .LBB265_86
; %bb.85:
	s_delay_alu instid0(VALU_DEP_2) | instskip(NEXT) | instid1(VALU_DEP_2)
	v_add_co_u32 v18, vcc_lo, v16, v38
	v_add_co_ci_u32_e32 v19, vcc_lo, v17, v39, vcc_lo
	flat_load_u16 v18, v[18:19]
	s_waitcnt vmcnt(0) lgkmcnt(0)
	v_mul_f16_e32 v21, s9, v18
.LBB265_86:
	v_pk_add_f16 v22, v36, v12
	v_pk_max_f16 v24, v74, v74
	v_mad_i64_i32 v[18:19], null, v23, s1, 0
	v_pk_add_f16 v23, v37, v13
	s_delay_alu instid0(VALU_DEP_3) | instskip(NEXT) | instid1(VALU_DEP_3)
	v_pk_min_f16 v22, v24, v22
	v_lshlrev_b64 v[18:19], 1, v[18:19]
	s_delay_alu instid0(VALU_DEP_2) | instskip(NEXT) | instid1(VALU_DEP_2)
	v_pk_min_f16 v22, v22, v23
	v_add_co_u32 v18, vcc_lo, s3, v18
	s_delay_alu instid0(VALU_DEP_2) | instskip(NEXT) | instid1(VALU_DEP_4)
	v_lshrrev_b32_e32 v23, 16, v22
	v_add_co_ci_u32_e32 v19, vcc_lo, s6, v19, vcc_lo
	s_delay_alu instid0(VALU_DEP_2) | instskip(NEXT) | instid1(VALU_DEP_4)
	v_min3_f16 v23, v21, v22, v23
	v_add_co_u32 v21, vcc_lo, v18, v38
	s_delay_alu instid0(VALU_DEP_3)
	v_add_co_ci_u32_e32 v22, vcc_lo, v19, v39, vcc_lo
	s_and_b32 vcc_lo, exec_lo, s0
	global_store_b16 v[21:22], v23, off
	s_cbranch_vccnz .LBB265_88
; %bb.87:
	v_add_co_u32 v20, vcc_lo, v16, v42
	v_add_co_ci_u32_e32 v21, vcc_lo, v17, v43, vcc_lo
	flat_load_u16 v20, v[20:21]
	s_waitcnt vmcnt(0) lgkmcnt(0)
	v_mul_f16_e32 v20, s9, v20
.LBB265_88:
	v_pk_add_f16 v21, v0, v12
	v_pk_max_f16 v22, v72, v72
	v_pk_add_f16 v23, v1, v13
	s_delay_alu instid0(VALU_DEP_2) | instskip(SKIP_1) | instid1(VALU_DEP_2)
	v_pk_min_f16 v21, v22, v21
	v_add_co_u32 v22, vcc_lo, v18, v42
	v_pk_min_f16 v21, v21, v23
	v_add_co_ci_u32_e32 v23, vcc_lo, v19, v43, vcc_lo
	s_and_b32 vcc_lo, exec_lo, s0
	s_delay_alu instid0(VALU_DEP_2) | instskip(NEXT) | instid1(VALU_DEP_1)
	v_lshrrev_b32_e32 v24, 16, v21
	v_min3_f16 v24, v20, v21, v24
	v_dual_mov_b32 v20, 0 :: v_dual_mov_b32 v21, 0
	global_store_b16 v[22:23], v24, off
	s_cbranch_vccnz .LBB265_90
; %bb.89:
	v_add_co_u32 v21, vcc_lo, v16, v40
	v_add_co_ci_u32_e32 v22, vcc_lo, v17, v41, vcc_lo
	flat_load_u16 v21, v[21:22]
	s_waitcnt vmcnt(0) lgkmcnt(0)
	v_mul_f16_e32 v21, s9, v21
.LBB265_90:
	v_pk_add_f16 v22, v2, v12
	v_pk_max_f16 v23, v71, v71
	v_pk_add_f16 v24, v3, v13
	s_delay_alu instid0(VALU_DEP_2) | instskip(NEXT) | instid1(VALU_DEP_1)
	v_pk_min_f16 v22, v23, v22
	v_pk_min_f16 v22, v22, v24
	s_delay_alu instid0(VALU_DEP_1) | instskip(NEXT) | instid1(VALU_DEP_1)
	v_lshrrev_b32_e32 v23, 16, v22
	v_min3_f16 v23, v21, v22, v23
	v_add_co_u32 v21, vcc_lo, v18, v40
	v_add_co_ci_u32_e32 v22, vcc_lo, v19, v41, vcc_lo
	s_and_b32 vcc_lo, exec_lo, s0
	global_store_b16 v[21:22], v23, off
	s_cbranch_vccnz .LBB265_92
; %bb.91:
	v_add_co_u32 v16, vcc_lo, v16, v44
	v_add_co_ci_u32_e32 v17, vcc_lo, v17, v45, vcc_lo
	flat_load_u16 v16, v[16:17]
	s_waitcnt vmcnt(0) lgkmcnt(0)
	v_mul_f16_e32 v20, s9, v16
.LBB265_92:
	v_add_nc_u32_e32 v16, 0x50, v110
	v_pk_add_f16 v12, v32, v12
	v_pk_max_f16 v17, v68, v68
	v_pk_add_f16 v13, v33, v13
	s_delay_alu instid0(VALU_DEP_4) | instskip(NEXT) | instid1(VALU_DEP_3)
	v_mad_i64_i32 v[21:22], null, v16, s8, 0
	v_pk_min_f16 v12, v17, v12
	s_delay_alu instid0(VALU_DEP_1) | instskip(NEXT) | instid1(VALU_DEP_3)
	v_pk_min_f16 v17, v12, v13
	v_lshlrev_b64 v[12:13], 1, v[21:22]
	v_add_co_u32 v21, vcc_lo, v18, v44
	v_add_co_ci_u32_e32 v22, vcc_lo, v19, v45, vcc_lo
	v_mov_b32_e32 v19, 0
	v_lshrrev_b32_e32 v18, 16, v17
	v_add_co_u32 v12, vcc_lo, s4, v12
	v_add_co_ci_u32_e32 v13, vcc_lo, s5, v13, vcc_lo
	s_delay_alu instid0(VALU_DEP_3)
	v_min3_f16 v17, v20, v17, v18
	v_mov_b32_e32 v18, 0
	s_and_b32 vcc_lo, exec_lo, s0
	global_store_b16 v[21:22], v17, off
	s_cbranch_vccnz .LBB265_94
; %bb.93:
	v_add_co_u32 v19, vcc_lo, v12, v38
	v_add_co_ci_u32_e32 v20, vcc_lo, v13, v39, vcc_lo
	flat_load_u16 v17, v[19:20]
	s_waitcnt vmcnt(0) lgkmcnt(0)
	v_mul_f16_e32 v19, s9, v17
.LBB265_94:
	v_pk_add_f16 v17, v36, v14
	v_pk_max_f16 v22, v73, v73
	v_mad_i64_i32 v[20:21], null, v16, s1, 0
	v_pk_add_f16 v16, v37, v15
	s_delay_alu instid0(VALU_DEP_3) | instskip(NEXT) | instid1(VALU_DEP_1)
	v_pk_min_f16 v17, v22, v17
	v_pk_min_f16 v22, v17, v16
	s_delay_alu instid0(VALU_DEP_4) | instskip(NEXT) | instid1(VALU_DEP_2)
	v_lshlrev_b64 v[16:17], 1, v[20:21]
	v_lshrrev_b32_e32 v20, 16, v22
	s_delay_alu instid0(VALU_DEP_2) | instskip(NEXT) | instid1(VALU_DEP_3)
	v_add_co_u32 v16, vcc_lo, s3, v16
	v_add_co_ci_u32_e32 v17, vcc_lo, s6, v17, vcc_lo
	s_delay_alu instid0(VALU_DEP_3) | instskip(NEXT) | instid1(VALU_DEP_3)
	v_min3_f16 v21, v19, v22, v20
	v_add_co_u32 v19, vcc_lo, v16, v38
	s_delay_alu instid0(VALU_DEP_3)
	v_add_co_ci_u32_e32 v20, vcc_lo, v17, v39, vcc_lo
	s_and_b32 vcc_lo, exec_lo, s0
	global_store_b16 v[19:20], v21, off
	s_cbranch_vccnz .LBB265_96
; %bb.95:
	v_add_co_u32 v18, vcc_lo, v12, v42
	v_add_co_ci_u32_e32 v19, vcc_lo, v13, v43, vcc_lo
	flat_load_u16 v18, v[18:19]
	s_waitcnt vmcnt(0) lgkmcnt(0)
	v_mul_f16_e32 v18, s9, v18
.LBB265_96:
	v_pk_add_f16 v19, v0, v14
	v_pk_max_f16 v20, v70, v70
	v_pk_add_f16 v21, v1, v15
	s_delay_alu instid0(VALU_DEP_2) | instskip(SKIP_1) | instid1(VALU_DEP_2)
	v_pk_min_f16 v19, v20, v19
	v_add_co_u32 v20, vcc_lo, v16, v42
	v_pk_min_f16 v19, v19, v21
	v_add_co_ci_u32_e32 v21, vcc_lo, v17, v43, vcc_lo
	s_and_b32 vcc_lo, exec_lo, s0
	s_delay_alu instid0(VALU_DEP_2) | instskip(NEXT) | instid1(VALU_DEP_1)
	v_lshrrev_b32_e32 v22, 16, v19
	v_min3_f16 v22, v18, v19, v22
	v_dual_mov_b32 v18, 0 :: v_dual_mov_b32 v19, 0
	global_store_b16 v[20:21], v22, off
	s_cbranch_vccnz .LBB265_98
; %bb.97:
	v_add_co_u32 v19, vcc_lo, v12, v40
	v_add_co_ci_u32_e32 v20, vcc_lo, v13, v41, vcc_lo
	flat_load_u16 v19, v[19:20]
	s_waitcnt vmcnt(0) lgkmcnt(0)
	v_mul_f16_e32 v19, s9, v19
.LBB265_98:
	v_pk_add_f16 v20, v2, v14
	v_pk_max_f16 v21, v69, v69
	v_pk_add_f16 v22, v3, v15
	s_delay_alu instid0(VALU_DEP_2) | instskip(NEXT) | instid1(VALU_DEP_1)
	v_pk_min_f16 v20, v21, v20
	v_pk_min_f16 v20, v20, v22
	s_delay_alu instid0(VALU_DEP_1) | instskip(NEXT) | instid1(VALU_DEP_1)
	v_lshrrev_b32_e32 v21, 16, v20
	v_min3_f16 v21, v19, v20, v21
	v_add_co_u32 v19, vcc_lo, v16, v40
	v_add_co_ci_u32_e32 v20, vcc_lo, v17, v41, vcc_lo
	s_and_b32 vcc_lo, exec_lo, s0
	global_store_b16 v[19:20], v21, off
	s_cbranch_vccnz .LBB265_100
; %bb.99:
	v_add_co_u32 v12, vcc_lo, v12, v44
	v_add_co_ci_u32_e32 v13, vcc_lo, v13, v45, vcc_lo
	flat_load_u16 v12, v[12:13]
	s_waitcnt vmcnt(0) lgkmcnt(0)
	v_mul_f16_e32 v18, s9, v12
.LBB265_100:
	v_pk_add_f16 v14, v32, v14
	v_pk_max_f16 v20, v67, v67
	v_pk_add_f16 v15, v33, v15
	v_add_nc_u32_e32 v19, 0x58, v110
	s_delay_alu instid0(VALU_DEP_3) | instskip(NEXT) | instid1(VALU_DEP_1)
	v_pk_min_f16 v14, v20, v14
	v_pk_min_f16 v20, v14, v15
	v_add_co_u32 v14, vcc_lo, v16, v44
	v_add_co_ci_u32_e32 v15, vcc_lo, v17, v45, vcc_lo
	s_delay_alu instid0(VALU_DEP_3) | instskip(SKIP_1) | instid1(VALU_DEP_2)
	v_lshrrev_b32_e32 v16, 16, v20
	v_mov_b32_e32 v17, 0
	v_min3_f16 v18, v18, v20, v16
	v_mov_b32_e32 v16, 0
	v_mad_i64_i32 v[12:13], null, v19, s8, 0
	global_store_b16 v[14:15], v18, off
	v_lshlrev_b64 v[12:13], 1, v[12:13]
	s_delay_alu instid0(VALU_DEP_1) | instskip(NEXT) | instid1(VALU_DEP_2)
	v_add_co_u32 v12, vcc_lo, s4, v12
	v_add_co_ci_u32_e32 v13, vcc_lo, s5, v13, vcc_lo
	s_and_b32 vcc_lo, exec_lo, s0
	s_cbranch_vccnz .LBB265_102
; %bb.101:
	s_delay_alu instid0(VALU_DEP_2) | instskip(NEXT) | instid1(VALU_DEP_2)
	v_add_co_u32 v14, vcc_lo, v12, v38
	v_add_co_ci_u32_e32 v15, vcc_lo, v13, v39, vcc_lo
	flat_load_u16 v14, v[14:15]
	s_waitcnt vmcnt(0) lgkmcnt(0)
	v_mul_f16_e32 v17, s9, v14
.LBB265_102:
	v_pk_add_f16 v18, v36, v8
	v_pk_max_f16 v20, v66, v66
	v_mad_i64_i32 v[14:15], null, v19, s1, 0
	v_pk_add_f16 v19, v37, v9
	s_delay_alu instid0(VALU_DEP_3) | instskip(NEXT) | instid1(VALU_DEP_3)
	v_pk_min_f16 v18, v20, v18
	v_lshlrev_b64 v[14:15], 1, v[14:15]
	s_delay_alu instid0(VALU_DEP_2) | instskip(NEXT) | instid1(VALU_DEP_2)
	v_pk_min_f16 v18, v18, v19
	v_add_co_u32 v14, vcc_lo, s3, v14
	s_delay_alu instid0(VALU_DEP_2) | instskip(NEXT) | instid1(VALU_DEP_4)
	v_lshrrev_b32_e32 v19, 16, v18
	v_add_co_ci_u32_e32 v15, vcc_lo, s6, v15, vcc_lo
	s_delay_alu instid0(VALU_DEP_2) | instskip(NEXT) | instid1(VALU_DEP_4)
	v_min3_f16 v19, v17, v18, v19
	v_add_co_u32 v17, vcc_lo, v14, v38
	s_delay_alu instid0(VALU_DEP_3)
	v_add_co_ci_u32_e32 v18, vcc_lo, v15, v39, vcc_lo
	s_and_b32 vcc_lo, exec_lo, s0
	global_store_b16 v[17:18], v19, off
	s_cbranch_vccnz .LBB265_104
; %bb.103:
	v_add_co_u32 v16, vcc_lo, v12, v42
	v_add_co_ci_u32_e32 v17, vcc_lo, v13, v43, vcc_lo
	flat_load_u16 v16, v[16:17]
	s_waitcnt vmcnt(0) lgkmcnt(0)
	v_mul_f16_e32 v16, s9, v16
.LBB265_104:
	v_pk_add_f16 v17, v0, v8
	v_pk_max_f16 v18, v64, v64
	v_pk_add_f16 v19, v1, v9
	s_delay_alu instid0(VALU_DEP_2) | instskip(SKIP_1) | instid1(VALU_DEP_2)
	v_pk_min_f16 v17, v18, v17
	v_add_co_u32 v18, vcc_lo, v14, v42
	v_pk_min_f16 v17, v17, v19
	v_add_co_ci_u32_e32 v19, vcc_lo, v15, v43, vcc_lo
	s_and_b32 vcc_lo, exec_lo, s0
	s_delay_alu instid0(VALU_DEP_2) | instskip(NEXT) | instid1(VALU_DEP_1)
	v_lshrrev_b32_e32 v20, 16, v17
	v_min3_f16 v20, v16, v17, v20
	v_dual_mov_b32 v16, 0 :: v_dual_mov_b32 v17, 0
	global_store_b16 v[18:19], v20, off
	s_cbranch_vccnz .LBB265_106
; %bb.105:
	v_add_co_u32 v17, vcc_lo, v12, v40
	v_add_co_ci_u32_e32 v18, vcc_lo, v13, v41, vcc_lo
	flat_load_u16 v17, v[17:18]
	s_waitcnt vmcnt(0) lgkmcnt(0)
	v_mul_f16_e32 v17, s9, v17
.LBB265_106:
	v_pk_add_f16 v18, v2, v8
	v_pk_max_f16 v19, v63, v63
	v_pk_add_f16 v20, v3, v9
	s_delay_alu instid0(VALU_DEP_2) | instskip(NEXT) | instid1(VALU_DEP_1)
	v_pk_min_f16 v18, v19, v18
	v_pk_min_f16 v18, v18, v20
	s_delay_alu instid0(VALU_DEP_1) | instskip(NEXT) | instid1(VALU_DEP_1)
	v_lshrrev_b32_e32 v19, 16, v18
	v_min3_f16 v19, v17, v18, v19
	v_add_co_u32 v17, vcc_lo, v14, v40
	v_add_co_ci_u32_e32 v18, vcc_lo, v15, v41, vcc_lo
	s_and_b32 vcc_lo, exec_lo, s0
	global_store_b16 v[17:18], v19, off
	s_cbranch_vccnz .LBB265_108
; %bb.107:
	v_add_co_u32 v12, vcc_lo, v12, v44
	v_add_co_ci_u32_e32 v13, vcc_lo, v13, v45, vcc_lo
	flat_load_u16 v12, v[12:13]
	s_waitcnt vmcnt(0) lgkmcnt(0)
	v_mul_f16_e32 v16, s9, v12
.LBB265_108:
	v_add_nc_u32_e32 v12, 0x60, v110
	v_pk_add_f16 v8, v32, v8
	v_pk_max_f16 v13, v60, v60
	v_pk_add_f16 v9, v33, v9
	s_delay_alu instid0(VALU_DEP_4) | instskip(NEXT) | instid1(VALU_DEP_3)
	v_mad_i64_i32 v[17:18], null, v12, s8, 0
	v_pk_min_f16 v8, v13, v8
	s_delay_alu instid0(VALU_DEP_1) | instskip(NEXT) | instid1(VALU_DEP_3)
	v_pk_min_f16 v13, v8, v9
	v_lshlrev_b64 v[8:9], 1, v[17:18]
	v_add_co_u32 v17, vcc_lo, v14, v44
	v_add_co_ci_u32_e32 v18, vcc_lo, v15, v45, vcc_lo
	v_mov_b32_e32 v15, 0
	v_lshrrev_b32_e32 v14, 16, v13
	v_add_co_u32 v8, vcc_lo, s4, v8
	v_add_co_ci_u32_e32 v9, vcc_lo, s5, v9, vcc_lo
	s_delay_alu instid0(VALU_DEP_3)
	v_min3_f16 v13, v16, v13, v14
	v_mov_b32_e32 v14, 0
	s_and_b32 vcc_lo, exec_lo, s0
	global_store_b16 v[17:18], v13, off
	s_cbranch_vccnz .LBB265_110
; %bb.109:
	v_add_co_u32 v15, vcc_lo, v8, v38
	v_add_co_ci_u32_e32 v16, vcc_lo, v9, v39, vcc_lo
	flat_load_u16 v13, v[15:16]
	s_waitcnt vmcnt(0) lgkmcnt(0)
	v_mul_f16_e32 v15, s9, v13
.LBB265_110:
	v_pk_add_f16 v13, v36, v10
	v_pk_max_f16 v18, v65, v65
	v_mad_i64_i32 v[16:17], null, v12, s1, 0
	v_pk_add_f16 v12, v37, v11
	s_delay_alu instid0(VALU_DEP_3) | instskip(NEXT) | instid1(VALU_DEP_1)
	v_pk_min_f16 v13, v18, v13
	v_pk_min_f16 v18, v13, v12
	s_delay_alu instid0(VALU_DEP_4) | instskip(NEXT) | instid1(VALU_DEP_2)
	v_lshlrev_b64 v[12:13], 1, v[16:17]
	v_lshrrev_b32_e32 v16, 16, v18
	s_delay_alu instid0(VALU_DEP_2) | instskip(NEXT) | instid1(VALU_DEP_3)
	v_add_co_u32 v12, vcc_lo, s3, v12
	v_add_co_ci_u32_e32 v13, vcc_lo, s6, v13, vcc_lo
	s_delay_alu instid0(VALU_DEP_3) | instskip(NEXT) | instid1(VALU_DEP_3)
	v_min3_f16 v17, v15, v18, v16
	v_add_co_u32 v15, vcc_lo, v12, v38
	s_delay_alu instid0(VALU_DEP_3)
	v_add_co_ci_u32_e32 v16, vcc_lo, v13, v39, vcc_lo
	s_and_b32 vcc_lo, exec_lo, s0
	global_store_b16 v[15:16], v17, off
	s_cbranch_vccnz .LBB265_112
; %bb.111:
	v_add_co_u32 v14, vcc_lo, v8, v42
	v_add_co_ci_u32_e32 v15, vcc_lo, v9, v43, vcc_lo
	flat_load_u16 v14, v[14:15]
	s_waitcnt vmcnt(0) lgkmcnt(0)
	v_mul_f16_e32 v14, s9, v14
.LBB265_112:
	v_pk_add_f16 v15, v0, v10
	v_pk_max_f16 v16, v62, v62
	v_pk_add_f16 v17, v1, v11
	s_delay_alu instid0(VALU_DEP_2) | instskip(SKIP_1) | instid1(VALU_DEP_2)
	v_pk_min_f16 v15, v16, v15
	v_add_co_u32 v16, vcc_lo, v12, v42
	v_pk_min_f16 v15, v15, v17
	v_add_co_ci_u32_e32 v17, vcc_lo, v13, v43, vcc_lo
	s_and_b32 vcc_lo, exec_lo, s0
	s_delay_alu instid0(VALU_DEP_2) | instskip(NEXT) | instid1(VALU_DEP_1)
	v_lshrrev_b32_e32 v18, 16, v15
	v_min3_f16 v18, v14, v15, v18
	v_dual_mov_b32 v14, 0 :: v_dual_mov_b32 v15, 0
	global_store_b16 v[16:17], v18, off
	s_cbranch_vccnz .LBB265_114
; %bb.113:
	v_add_co_u32 v15, vcc_lo, v8, v40
	v_add_co_ci_u32_e32 v16, vcc_lo, v9, v41, vcc_lo
	flat_load_u16 v15, v[15:16]
	s_waitcnt vmcnt(0) lgkmcnt(0)
	v_mul_f16_e32 v15, s9, v15
.LBB265_114:
	v_pk_add_f16 v16, v2, v10
	v_pk_max_f16 v17, v61, v61
	v_pk_add_f16 v18, v3, v11
	s_delay_alu instid0(VALU_DEP_2) | instskip(NEXT) | instid1(VALU_DEP_1)
	v_pk_min_f16 v16, v17, v16
	v_pk_min_f16 v16, v16, v18
	s_delay_alu instid0(VALU_DEP_1) | instskip(NEXT) | instid1(VALU_DEP_1)
	v_lshrrev_b32_e32 v17, 16, v16
	v_min3_f16 v17, v15, v16, v17
	v_add_co_u32 v15, vcc_lo, v12, v40
	v_add_co_ci_u32_e32 v16, vcc_lo, v13, v41, vcc_lo
	s_and_b32 vcc_lo, exec_lo, s0
	global_store_b16 v[15:16], v17, off
	s_cbranch_vccnz .LBB265_116
; %bb.115:
	v_add_co_u32 v8, vcc_lo, v8, v44
	v_add_co_ci_u32_e32 v9, vcc_lo, v9, v45, vcc_lo
	flat_load_u16 v8, v[8:9]
	s_waitcnt vmcnt(0) lgkmcnt(0)
	v_mul_f16_e32 v14, s9, v8
.LBB265_116:
	v_pk_add_f16 v10, v32, v10
	v_pk_max_f16 v16, v59, v59
	v_pk_add_f16 v11, v33, v11
	v_add_nc_u32_e32 v15, 0x68, v110
	s_delay_alu instid0(VALU_DEP_3) | instskip(NEXT) | instid1(VALU_DEP_1)
	v_pk_min_f16 v10, v16, v10
	v_pk_min_f16 v16, v10, v11
	v_add_co_u32 v10, vcc_lo, v12, v44
	v_add_co_ci_u32_e32 v11, vcc_lo, v13, v45, vcc_lo
	s_delay_alu instid0(VALU_DEP_3) | instskip(SKIP_1) | instid1(VALU_DEP_2)
	v_lshrrev_b32_e32 v12, 16, v16
	v_mov_b32_e32 v13, 0
	v_min3_f16 v14, v14, v16, v12
	v_mov_b32_e32 v12, 0
	v_mad_i64_i32 v[8:9], null, v15, s8, 0
	global_store_b16 v[10:11], v14, off
	v_lshlrev_b64 v[8:9], 1, v[8:9]
	s_delay_alu instid0(VALU_DEP_1) | instskip(NEXT) | instid1(VALU_DEP_2)
	v_add_co_u32 v8, vcc_lo, s4, v8
	v_add_co_ci_u32_e32 v9, vcc_lo, s5, v9, vcc_lo
	s_and_b32 vcc_lo, exec_lo, s0
	s_cbranch_vccnz .LBB265_118
; %bb.117:
	s_delay_alu instid0(VALU_DEP_2) | instskip(NEXT) | instid1(VALU_DEP_2)
	v_add_co_u32 v10, vcc_lo, v8, v38
	v_add_co_ci_u32_e32 v11, vcc_lo, v9, v39, vcc_lo
	flat_load_u16 v10, v[10:11]
	s_waitcnt vmcnt(0) lgkmcnt(0)
	v_mul_f16_e32 v13, s9, v10
.LBB265_118:
	v_pk_add_f16 v14, v36, v4
	v_pk_max_f16 v16, v58, v58
	v_mad_i64_i32 v[10:11], null, v15, s1, 0
	v_pk_add_f16 v15, v37, v5
	s_delay_alu instid0(VALU_DEP_3) | instskip(NEXT) | instid1(VALU_DEP_3)
	v_pk_min_f16 v14, v16, v14
	v_lshlrev_b64 v[10:11], 1, v[10:11]
	s_delay_alu instid0(VALU_DEP_2) | instskip(NEXT) | instid1(VALU_DEP_2)
	v_pk_min_f16 v14, v14, v15
	v_add_co_u32 v10, vcc_lo, s3, v10
	s_delay_alu instid0(VALU_DEP_2) | instskip(NEXT) | instid1(VALU_DEP_4)
	v_lshrrev_b32_e32 v15, 16, v14
	v_add_co_ci_u32_e32 v11, vcc_lo, s6, v11, vcc_lo
	s_delay_alu instid0(VALU_DEP_2) | instskip(NEXT) | instid1(VALU_DEP_4)
	v_min3_f16 v15, v13, v14, v15
	v_add_co_u32 v13, vcc_lo, v10, v38
	s_delay_alu instid0(VALU_DEP_3)
	v_add_co_ci_u32_e32 v14, vcc_lo, v11, v39, vcc_lo
	s_and_b32 vcc_lo, exec_lo, s0
	global_store_b16 v[13:14], v15, off
	s_cbranch_vccnz .LBB265_120
; %bb.119:
	v_add_co_u32 v12, vcc_lo, v8, v42
	v_add_co_ci_u32_e32 v13, vcc_lo, v9, v43, vcc_lo
	flat_load_u16 v12, v[12:13]
	s_waitcnt vmcnt(0) lgkmcnt(0)
	v_mul_f16_e32 v12, s9, v12
.LBB265_120:
	v_pk_add_f16 v13, v0, v4
	v_pk_max_f16 v14, v57, v57
	v_pk_add_f16 v15, v1, v5
	s_delay_alu instid0(VALU_DEP_2) | instskip(SKIP_1) | instid1(VALU_DEP_2)
	v_pk_min_f16 v13, v14, v13
	v_add_co_u32 v14, vcc_lo, v10, v42
	v_pk_min_f16 v13, v13, v15
	v_add_co_ci_u32_e32 v15, vcc_lo, v11, v43, vcc_lo
	s_and_b32 vcc_lo, exec_lo, s0
	s_delay_alu instid0(VALU_DEP_2) | instskip(NEXT) | instid1(VALU_DEP_1)
	v_lshrrev_b32_e32 v16, 16, v13
	v_min3_f16 v16, v12, v13, v16
	v_dual_mov_b32 v12, 0 :: v_dual_mov_b32 v13, 0
	global_store_b16 v[14:15], v16, off
	s_cbranch_vccnz .LBB265_122
; %bb.121:
	v_add_co_u32 v13, vcc_lo, v8, v40
	v_add_co_ci_u32_e32 v14, vcc_lo, v9, v41, vcc_lo
	flat_load_u16 v13, v[13:14]
	s_waitcnt vmcnt(0) lgkmcnt(0)
	v_mul_f16_e32 v13, s9, v13
.LBB265_122:
	v_pk_add_f16 v14, v2, v4
	v_pk_max_f16 v15, v55, v55
	v_pk_add_f16 v16, v3, v5
	s_delay_alu instid0(VALU_DEP_2) | instskip(NEXT) | instid1(VALU_DEP_1)
	v_pk_min_f16 v14, v15, v14
	v_pk_min_f16 v14, v14, v16
	s_delay_alu instid0(VALU_DEP_1) | instskip(NEXT) | instid1(VALU_DEP_1)
	v_lshrrev_b32_e32 v15, 16, v14
	v_min3_f16 v15, v13, v14, v15
	v_add_co_u32 v13, vcc_lo, v10, v40
	v_add_co_ci_u32_e32 v14, vcc_lo, v11, v41, vcc_lo
	s_and_b32 vcc_lo, exec_lo, s0
	global_store_b16 v[13:14], v15, off
	s_cbranch_vccnz .LBB265_124
; %bb.123:
	v_add_co_u32 v8, vcc_lo, v8, v44
	v_add_co_ci_u32_e32 v9, vcc_lo, v9, v45, vcc_lo
	flat_load_u16 v8, v[8:9]
	s_waitcnt vmcnt(0) lgkmcnt(0)
	v_mul_f16_e32 v12, s9, v8
.LBB265_124:
	v_add_nc_u32_e32 v8, 0x70, v110
	v_pk_add_f16 v4, v32, v4
	v_pk_max_f16 v9, v52, v52
	v_pk_add_f16 v5, v33, v5
	s_delay_alu instid0(VALU_DEP_4) | instskip(NEXT) | instid1(VALU_DEP_3)
	v_mad_i64_i32 v[13:14], null, v8, s8, 0
	v_pk_min_f16 v4, v9, v4
	s_delay_alu instid0(VALU_DEP_1) | instskip(NEXT) | instid1(VALU_DEP_3)
	v_pk_min_f16 v9, v4, v5
	v_lshlrev_b64 v[4:5], 1, v[13:14]
	v_add_co_u32 v13, vcc_lo, v10, v44
	v_add_co_ci_u32_e32 v14, vcc_lo, v11, v45, vcc_lo
	v_mov_b32_e32 v11, 0
	v_lshrrev_b32_e32 v10, 16, v9
	v_add_co_u32 v4, vcc_lo, s4, v4
	v_add_co_ci_u32_e32 v5, vcc_lo, s5, v5, vcc_lo
	s_delay_alu instid0(VALU_DEP_3)
	v_min3_f16 v9, v12, v9, v10
	v_mov_b32_e32 v10, 0
	s_and_b32 vcc_lo, exec_lo, s0
	global_store_b16 v[13:14], v9, off
	s_cbranch_vccnz .LBB265_126
; %bb.125:
	v_add_co_u32 v11, vcc_lo, v4, v38
	v_add_co_ci_u32_e32 v12, vcc_lo, v5, v39, vcc_lo
	flat_load_u16 v9, v[11:12]
	s_waitcnt vmcnt(0) lgkmcnt(0)
	v_mul_f16_e32 v11, s9, v9
.LBB265_126:
	v_pk_add_f16 v9, v36, v6
	v_pk_max_f16 v14, v56, v56
	v_mad_i64_i32 v[12:13], null, v8, s1, 0
	v_pk_add_f16 v8, v37, v7
	s_delay_alu instid0(VALU_DEP_3) | instskip(NEXT) | instid1(VALU_DEP_1)
	v_pk_min_f16 v9, v14, v9
	v_pk_min_f16 v14, v9, v8
	s_delay_alu instid0(VALU_DEP_4) | instskip(NEXT) | instid1(VALU_DEP_2)
	v_lshlrev_b64 v[8:9], 1, v[12:13]
	v_lshrrev_b32_e32 v12, 16, v14
	s_delay_alu instid0(VALU_DEP_2) | instskip(NEXT) | instid1(VALU_DEP_3)
	v_add_co_u32 v8, vcc_lo, s3, v8
	v_add_co_ci_u32_e32 v9, vcc_lo, s6, v9, vcc_lo
	s_delay_alu instid0(VALU_DEP_3) | instskip(NEXT) | instid1(VALU_DEP_3)
	v_min3_f16 v13, v11, v14, v12
	v_add_co_u32 v11, vcc_lo, v8, v38
	s_delay_alu instid0(VALU_DEP_3)
	v_add_co_ci_u32_e32 v12, vcc_lo, v9, v39, vcc_lo
	s_and_b32 vcc_lo, exec_lo, s0
	global_store_b16 v[11:12], v13, off
	s_cbranch_vccnz .LBB265_128
; %bb.127:
	v_add_co_u32 v10, vcc_lo, v4, v42
	v_add_co_ci_u32_e32 v11, vcc_lo, v5, v43, vcc_lo
	flat_load_u16 v10, v[10:11]
	s_waitcnt vmcnt(0) lgkmcnt(0)
	v_mul_f16_e32 v10, s9, v10
.LBB265_128:
	v_pk_add_f16 v11, v0, v6
	v_pk_max_f16 v12, v53, v53
	v_pk_add_f16 v13, v1, v7
	s_delay_alu instid0(VALU_DEP_2) | instskip(SKIP_1) | instid1(VALU_DEP_2)
	v_pk_min_f16 v11, v12, v11
	v_add_co_u32 v12, vcc_lo, v8, v42
	v_pk_min_f16 v11, v11, v13
	v_add_co_ci_u32_e32 v13, vcc_lo, v9, v43, vcc_lo
	s_and_b32 vcc_lo, exec_lo, s0
	s_delay_alu instid0(VALU_DEP_2) | instskip(NEXT) | instid1(VALU_DEP_1)
	v_lshrrev_b32_e32 v14, 16, v11
	v_min3_f16 v14, v10, v11, v14
	v_dual_mov_b32 v10, 0 :: v_dual_mov_b32 v11, 0
	global_store_b16 v[12:13], v14, off
	s_cbranch_vccnz .LBB265_130
; %bb.129:
	v_add_co_u32 v11, vcc_lo, v4, v40
	v_add_co_ci_u32_e32 v12, vcc_lo, v5, v41, vcc_lo
	flat_load_u16 v11, v[11:12]
	s_waitcnt vmcnt(0) lgkmcnt(0)
	v_mul_f16_e32 v11, s9, v11
.LBB265_130:
	v_pk_add_f16 v12, v2, v6
	v_pk_max_f16 v13, v51, v51
	v_pk_add_f16 v14, v3, v7
	s_delay_alu instid0(VALU_DEP_2) | instskip(NEXT) | instid1(VALU_DEP_1)
	v_pk_min_f16 v12, v13, v12
	v_pk_min_f16 v12, v12, v14
	s_delay_alu instid0(VALU_DEP_1) | instskip(NEXT) | instid1(VALU_DEP_1)
	v_lshrrev_b32_e32 v13, 16, v12
	v_min3_f16 v13, v11, v12, v13
	v_add_co_u32 v11, vcc_lo, v8, v40
	v_add_co_ci_u32_e32 v12, vcc_lo, v9, v41, vcc_lo
	s_and_b32 vcc_lo, exec_lo, s0
	global_store_b16 v[11:12], v13, off
	s_cbranch_vccnz .LBB265_132
; %bb.131:
	v_add_co_u32 v4, vcc_lo, v4, v44
	v_add_co_ci_u32_e32 v5, vcc_lo, v5, v45, vcc_lo
	flat_load_u16 v4, v[4:5]
	s_waitcnt vmcnt(0) lgkmcnt(0)
	v_mul_f16_e32 v10, s9, v4
.LBB265_132:
	v_pk_add_f16 v6, v32, v6
	v_pk_max_f16 v12, v49, v49
	v_pk_add_f16 v7, v33, v7
	v_add_nc_u32_e32 v11, 0x78, v110
	s_delay_alu instid0(VALU_DEP_3) | instskip(NEXT) | instid1(VALU_DEP_1)
	v_pk_min_f16 v6, v12, v6
	v_pk_min_f16 v12, v6, v7
	v_add_co_u32 v6, vcc_lo, v8, v44
	v_add_co_ci_u32_e32 v7, vcc_lo, v9, v45, vcc_lo
	s_delay_alu instid0(VALU_DEP_3) | instskip(SKIP_1) | instid1(VALU_DEP_2)
	v_lshrrev_b32_e32 v8, 16, v12
	v_mov_b32_e32 v9, 0
	v_min3_f16 v10, v10, v12, v8
	v_mov_b32_e32 v8, 0
	v_mad_i64_i32 v[4:5], null, v11, s8, 0
	global_store_b16 v[6:7], v10, off
	v_lshlrev_b64 v[4:5], 1, v[4:5]
	s_delay_alu instid0(VALU_DEP_1) | instskip(NEXT) | instid1(VALU_DEP_2)
	v_add_co_u32 v4, vcc_lo, s4, v4
	v_add_co_ci_u32_e32 v5, vcc_lo, s5, v5, vcc_lo
	s_and_b32 vcc_lo, exec_lo, s0
	s_cbranch_vccnz .LBB265_134
; %bb.133:
	s_delay_alu instid0(VALU_DEP_2) | instskip(NEXT) | instid1(VALU_DEP_2)
	v_add_co_u32 v6, vcc_lo, v4, v38
	v_add_co_ci_u32_e32 v7, vcc_lo, v5, v39, vcc_lo
	flat_load_u16 v6, v[6:7]
	s_waitcnt vmcnt(0) lgkmcnt(0)
	v_mul_f16_e32 v9, s9, v6
.LBB265_134:
	v_pk_add_f16 v10, v36, v34
	v_pk_max_f16 v12, v50, v50
	v_mad_i64_i32 v[6:7], null, v11, s1, 0
	v_pk_add_f16 v11, v37, v35
	s_delay_alu instid0(VALU_DEP_3) | instskip(NEXT) | instid1(VALU_DEP_3)
	v_pk_min_f16 v10, v12, v10
	v_lshlrev_b64 v[6:7], 1, v[6:7]
	s_delay_alu instid0(VALU_DEP_2) | instskip(NEXT) | instid1(VALU_DEP_2)
	v_pk_min_f16 v10, v10, v11
	v_add_co_u32 v6, vcc_lo, s3, v6
	s_delay_alu instid0(VALU_DEP_2) | instskip(NEXT) | instid1(VALU_DEP_4)
	v_lshrrev_b32_e32 v11, 16, v10
	v_add_co_ci_u32_e32 v7, vcc_lo, s6, v7, vcc_lo
	s_delay_alu instid0(VALU_DEP_2) | instskip(NEXT) | instid1(VALU_DEP_4)
	v_min3_f16 v11, v9, v10, v11
	v_add_co_u32 v9, vcc_lo, v6, v38
	s_delay_alu instid0(VALU_DEP_3)
	v_add_co_ci_u32_e32 v10, vcc_lo, v7, v39, vcc_lo
	s_and_b32 vcc_lo, exec_lo, s0
	global_store_b16 v[9:10], v11, off
	s_cbranch_vccnz .LBB265_136
; %bb.135:
	v_add_co_u32 v8, vcc_lo, v4, v42
	v_add_co_ci_u32_e32 v9, vcc_lo, v5, v43, vcc_lo
	flat_load_u16 v8, v[8:9]
	s_waitcnt vmcnt(0) lgkmcnt(0)
	v_mul_f16_e32 v8, s9, v8
.LBB265_136:
	v_pk_add_f16 v0, v0, v34
	v_pk_max_f16 v9, v48, v48
	v_pk_add_f16 v2, v2, v34
	v_pk_max_f16 v10, v54, v54
	v_pk_add_f16 v1, v1, v35
	v_pk_add_f16 v3, v3, v35
	v_pk_min_f16 v0, v9, v0
	s_delay_alu instid0(VALU_DEP_4) | instskip(NEXT) | instid1(VALU_DEP_2)
	v_pk_min_f16 v2, v10, v2
	v_pk_min_f16 v0, v0, v1
	s_delay_alu instid0(VALU_DEP_2) | instskip(NEXT) | instid1(VALU_DEP_2)
	v_pk_min_f16 v1, v2, v3
	v_lshrrev_b32_e32 v2, 16, v0
	s_delay_alu instid0(VALU_DEP_2) | instskip(NEXT) | instid1(VALU_DEP_2)
	v_lshrrev_b32_e32 v3, 16, v1
	v_min3_f16 v8, v8, v0, v2
	s_delay_alu instid0(VALU_DEP_2) | instskip(SKIP_2) | instid1(VALU_DEP_3)
	v_min_f16_e32 v0, v1, v3
	v_add_co_u32 v1, vcc_lo, v6, v42
	v_add_co_ci_u32_e32 v2, vcc_lo, v7, v43, vcc_lo
	v_max_f16_e32 v0, v0, v0
	s_mov_b32 vcc_lo, s2
	global_store_b16 v[1:2], v8, off
	s_cbranch_vccz .LBB265_139
; %bb.137:
	v_add_co_u32 v1, vcc_lo, v6, v40
	v_min_f16_e32 v3, 0, v0
	v_add_co_ci_u32_e32 v2, vcc_lo, v7, v41, vcc_lo
	s_mov_b32 s0, 0
	global_store_b16 v[1:2], v3, off
	s_cbranch_execz .LBB265_140
; %bb.138:
	v_mov_b32_e32 v0, s0
	s_branch .LBB265_141
.LBB265_139:
	s_mov_b32 s0, -1
.LBB265_140:
	v_add_co_u32 v1, vcc_lo, v4, v40
	v_add_co_ci_u32_e32 v2, vcc_lo, v5, v41, vcc_lo
	flat_load_u16 v1, v[1:2]
	s_waitcnt vmcnt(0) lgkmcnt(0)
	v_mul_f16_e32 v3, s9, v1
	v_add_co_u32 v1, vcc_lo, v6, v40
	v_add_co_ci_u32_e32 v2, vcc_lo, v7, v41, vcc_lo
	s_delay_alu instid0(VALU_DEP_3)
	v_min_f16_e32 v0, v3, v0
	v_add_co_u32 v3, vcc_lo, v4, v44
	v_add_co_ci_u32_e32 v4, vcc_lo, v5, v45, vcc_lo
	global_store_b16 v[1:2], v0, off
	flat_load_u16 v0, v[3:4]
	s_waitcnt vmcnt(0) lgkmcnt(0)
	v_mul_f16_e32 v0, s9, v0
.LBB265_141:
	v_pk_add_f16 v1, v32, v34
	v_pk_max_f16 v2, v122, v122
	v_pk_add_f16 v3, v33, v35
	s_delay_alu instid0(VALU_DEP_2) | instskip(NEXT) | instid1(VALU_DEP_1)
	v_pk_min_f16 v1, v2, v1
	v_pk_min_f16 v1, v1, v3
	s_delay_alu instid0(VALU_DEP_1) | instskip(NEXT) | instid1(VALU_DEP_1)
	v_lshrrev_b32_e32 v2, 16, v1
	v_min3_f16 v2, v0, v1, v2
	v_add_co_u32 v0, vcc_lo, v6, v44
	v_add_co_ci_u32_e32 v1, vcc_lo, v7, v45, vcc_lo
	global_store_b16 v[0:1], v2, off
	s_nop 0
	s_sendmsg sendmsg(MSG_DEALLOC_VGPRS)
	s_endpgm
	.section	.rodata,"a",@progbits
	.p2align	6, 0x0
	.amdhsa_kernel _ZN12_GLOBAL__N_120geam_min_plus_kernelIDF16_Dv2_DF16_S1_Li32ELi8ELi128ELi128ELi4ELi4ELi64ELi4ELi64ELc84ELc78ELb1ELb0ELb1EDF16_KDF16_DF16_EEviiiT16_PT17_ilS5_ilS3_S5_ilPT18_ili26rocblas_geam_ex_operation_
		.amdhsa_group_segment_fixed_size 4096
		.amdhsa_private_segment_fixed_size 0
		.amdhsa_kernarg_size 128
		.amdhsa_user_sgpr_count 14
		.amdhsa_user_sgpr_dispatch_ptr 0
		.amdhsa_user_sgpr_queue_ptr 0
		.amdhsa_user_sgpr_kernarg_segment_ptr 1
		.amdhsa_user_sgpr_dispatch_id 0
		.amdhsa_user_sgpr_private_segment_size 0
		.amdhsa_wavefront_size32 1
		.amdhsa_uses_dynamic_stack 0
		.amdhsa_enable_private_segment 0
		.amdhsa_system_sgpr_workgroup_id_x 1
		.amdhsa_system_sgpr_workgroup_id_y 0
		.amdhsa_system_sgpr_workgroup_id_z 1
		.amdhsa_system_sgpr_workgroup_info 0
		.amdhsa_system_vgpr_workitem_id 1
		.amdhsa_next_free_vgpr 136
		.amdhsa_next_free_sgpr 23
		.amdhsa_reserve_vcc 1
		.amdhsa_float_round_mode_32 0
		.amdhsa_float_round_mode_16_64 0
		.amdhsa_float_denorm_mode_32 3
		.amdhsa_float_denorm_mode_16_64 3
		.amdhsa_dx10_clamp 1
		.amdhsa_ieee_mode 1
		.amdhsa_fp16_overflow 0
		.amdhsa_workgroup_processor_mode 1
		.amdhsa_memory_ordered 1
		.amdhsa_forward_progress 0
		.amdhsa_shared_vgpr_count 0
		.amdhsa_exception_fp_ieee_invalid_op 0
		.amdhsa_exception_fp_denorm_src 0
		.amdhsa_exception_fp_ieee_div_zero 0
		.amdhsa_exception_fp_ieee_overflow 0
		.amdhsa_exception_fp_ieee_underflow 0
		.amdhsa_exception_fp_ieee_inexact 0
		.amdhsa_exception_int_div_zero 0
	.end_amdhsa_kernel
	.section	.text._ZN12_GLOBAL__N_120geam_min_plus_kernelIDF16_Dv2_DF16_S1_Li32ELi8ELi128ELi128ELi4ELi4ELi64ELi4ELi64ELc84ELc78ELb1ELb0ELb1EDF16_KDF16_DF16_EEviiiT16_PT17_ilS5_ilS3_S5_ilPT18_ili26rocblas_geam_ex_operation_,"axG",@progbits,_ZN12_GLOBAL__N_120geam_min_plus_kernelIDF16_Dv2_DF16_S1_Li32ELi8ELi128ELi128ELi4ELi4ELi64ELi4ELi64ELc84ELc78ELb1ELb0ELb1EDF16_KDF16_DF16_EEviiiT16_PT17_ilS5_ilS3_S5_ilPT18_ili26rocblas_geam_ex_operation_,comdat
.Lfunc_end265:
	.size	_ZN12_GLOBAL__N_120geam_min_plus_kernelIDF16_Dv2_DF16_S1_Li32ELi8ELi128ELi128ELi4ELi4ELi64ELi4ELi64ELc84ELc78ELb1ELb0ELb1EDF16_KDF16_DF16_EEviiiT16_PT17_ilS5_ilS3_S5_ilPT18_ili26rocblas_geam_ex_operation_, .Lfunc_end265-_ZN12_GLOBAL__N_120geam_min_plus_kernelIDF16_Dv2_DF16_S1_Li32ELi8ELi128ELi128ELi4ELi4ELi64ELi4ELi64ELc84ELc78ELb1ELb0ELb1EDF16_KDF16_DF16_EEviiiT16_PT17_ilS5_ilS3_S5_ilPT18_ili26rocblas_geam_ex_operation_
                                        ; -- End function
	.section	.AMDGPU.csdata,"",@progbits
; Kernel info:
; codeLenInByte = 18396
; NumSgprs: 25
; NumVgprs: 136
; ScratchSize: 0
; MemoryBound: 0
; FloatMode: 240
; IeeeMode: 1
; LDSByteSize: 4096 bytes/workgroup (compile time only)
; SGPRBlocks: 3
; VGPRBlocks: 16
; NumSGPRsForWavesPerEU: 25
; NumVGPRsForWavesPerEU: 136
; Occupancy: 10
; WaveLimiterHint : 0
; COMPUTE_PGM_RSRC2:SCRATCH_EN: 0
; COMPUTE_PGM_RSRC2:USER_SGPR: 14
; COMPUTE_PGM_RSRC2:TRAP_HANDLER: 0
; COMPUTE_PGM_RSRC2:TGID_X_EN: 1
; COMPUTE_PGM_RSRC2:TGID_Y_EN: 0
; COMPUTE_PGM_RSRC2:TGID_Z_EN: 1
; COMPUTE_PGM_RSRC2:TIDIG_COMP_CNT: 1
	.section	.text._ZN12_GLOBAL__N_120geam_min_plus_kernelIDF16_Dv2_DF16_S1_Li32ELi8ELi128ELi128ELi4ELi4ELi64ELi4ELi64ELc84ELc78ELb0ELb0ELb1EDF16_KDF16_DF16_EEviiiT16_PT17_ilS5_ilS3_S5_ilPT18_ili26rocblas_geam_ex_operation_,"axG",@progbits,_ZN12_GLOBAL__N_120geam_min_plus_kernelIDF16_Dv2_DF16_S1_Li32ELi8ELi128ELi128ELi4ELi4ELi64ELi4ELi64ELc84ELc78ELb0ELb0ELb1EDF16_KDF16_DF16_EEviiiT16_PT17_ilS5_ilS3_S5_ilPT18_ili26rocblas_geam_ex_operation_,comdat
	.globl	_ZN12_GLOBAL__N_120geam_min_plus_kernelIDF16_Dv2_DF16_S1_Li32ELi8ELi128ELi128ELi4ELi4ELi64ELi4ELi64ELc84ELc78ELb0ELb0ELb1EDF16_KDF16_DF16_EEviiiT16_PT17_ilS5_ilS3_S5_ilPT18_ili26rocblas_geam_ex_operation_ ; -- Begin function _ZN12_GLOBAL__N_120geam_min_plus_kernelIDF16_Dv2_DF16_S1_Li32ELi8ELi128ELi128ELi4ELi4ELi64ELi4ELi64ELc84ELc78ELb0ELb0ELb1EDF16_KDF16_DF16_EEviiiT16_PT17_ilS5_ilS3_S5_ilPT18_ili26rocblas_geam_ex_operation_
	.p2align	8
	.type	_ZN12_GLOBAL__N_120geam_min_plus_kernelIDF16_Dv2_DF16_S1_Li32ELi8ELi128ELi128ELi4ELi4ELi64ELi4ELi64ELc84ELc78ELb0ELb0ELb1EDF16_KDF16_DF16_EEviiiT16_PT17_ilS5_ilS3_S5_ilPT18_ili26rocblas_geam_ex_operation_,@function
_ZN12_GLOBAL__N_120geam_min_plus_kernelIDF16_Dv2_DF16_S1_Li32ELi8ELi128ELi128ELi4ELi4ELi64ELi4ELi64ELc84ELc78ELb0ELb0ELb1EDF16_KDF16_DF16_EEviiiT16_PT17_ilS5_ilS3_S5_ilPT18_ili26rocblas_geam_ex_operation_: ; @_ZN12_GLOBAL__N_120geam_min_plus_kernelIDF16_Dv2_DF16_S1_Li32ELi8ELi128ELi128ELi4ELi4ELi64ELi4ELi64ELc84ELc78ELb0ELb0ELb1EDF16_KDF16_DF16_EEviiiT16_PT17_ilS5_ilS3_S5_ilPT18_ili26rocblas_geam_ex_operation_
; %bb.0:
	s_clause 0x1
	s_load_b64 s[10:11], s[0:1], 0x8
	s_load_b128 s[4:7], s[0:1], 0x20
	s_waitcnt lgkmcnt(0)
	v_cmp_eq_f16_e64 s2, s11, 0
	s_delay_alu instid0(VALU_DEP_1)
	s_and_b32 vcc_lo, exec_lo, s2
	s_cbranch_vccnz .LBB266_3
; %bb.1:
	s_load_b64 s[8:9], s[0:1], 0x10
	s_mul_i32 s3, s15, s5
	s_mul_hi_u32 s5, s15, s4
	s_mul_i32 s4, s15, s4
	s_add_i32 s5, s5, s3
	s_delay_alu instid0(SALU_CYCLE_1)
	s_lshl_b64 s[4:5], s[4:5], 1
	s_waitcnt lgkmcnt(0)
	s_add_u32 s12, s8, s4
	s_addc_u32 s13, s9, s5
	s_and_not1_b32 vcc_lo, exec_lo, s2
	s_cbranch_vccnz .LBB266_4
.LBB266_2:
	s_mov_b32 s19, 0
	s_mov_b64 s[16:17], 0
	s_cbranch_execz .LBB266_5
	s_branch .LBB266_6
.LBB266_3:
	s_mov_b64 s[12:13], 0
	s_and_not1_b32 vcc_lo, exec_lo, s2
	s_cbranch_vccz .LBB266_2
.LBB266_4:
	s_mov_b32 s19, -1
                                        ; implicit-def: $sgpr16_sgpr17
.LBB266_5:
	s_load_b64 s[2:3], s[0:1], 0x38
	s_mov_b32 s19, 0
	s_waitcnt lgkmcnt(0)
	s_mul_i32 s3, s15, s3
	s_mul_hi_u32 s4, s15, s2
	s_mul_i32 s2, s15, s2
	s_add_i32 s3, s4, s3
	s_delay_alu instid0(SALU_CYCLE_1) | instskip(NEXT) | instid1(SALU_CYCLE_1)
	s_lshl_b64 s[2:3], s[2:3], 1
	s_add_u32 s16, s6, s2
	s_addc_u32 s17, s7, s3
.LBB266_6:
	s_clause 0x1
	s_load_b32 s18, s[0:1], 0x40
	s_load_b128 s[4:7], s[0:1], 0x58
	v_cmp_neq_f16_e64 s20, s11, 0
	s_waitcnt lgkmcnt(0)
	v_cmp_eq_f16_e64 s2, s18, 0
	s_delay_alu instid0(VALU_DEP_1) | instskip(NEXT) | instid1(SALU_CYCLE_1)
	s_and_b32 s2, exec_lo, s2
	s_mov_b32 vcc_lo, s2
	s_cbranch_vccnz .LBB266_8
; %bb.7:
	s_load_b64 s[8:9], s[0:1], 0x48
	s_mul_i32 s3, s15, s5
	s_mul_hi_u32 s5, s15, s4
	s_delay_alu instid0(SALU_CYCLE_1) | instskip(SKIP_3) | instid1(SALU_CYCLE_1)
	s_add_i32 s3, s5, s3
	s_mul_i32 s5, s19, s4
	s_mul_i32 s4, s15, s4
	s_add_i32 s5, s3, s5
	s_lshl_b64 s[4:5], s[4:5], 1
	s_waitcnt lgkmcnt(0)
	s_add_u32 s8, s8, s4
	s_addc_u32 s9, s9, s5
	s_branch .LBB266_9
.LBB266_8:
	s_mov_b64 s[8:9], 0
.LBB266_9:
	s_clause 0x1
	s_load_b32 s3, s[0:1], 0x0
	s_load_b32 s4, s[0:1], 0x18
	v_and_b32_e32 v40, 0x3ff, v0
	v_bfe_u32 v41, v0, 10, 10
	s_delay_alu instid0(VALU_DEP_2) | instskip(NEXT) | instid1(VALU_DEP_2)
	v_and_b32_e32 v2, 3, v40
	v_lshl_add_u32 v0, v41, 5, v40
	s_delay_alu instid0(VALU_DEP_2) | instskip(NEXT) | instid1(VALU_DEP_2)
	v_lshlrev_b32_e32 v44, 1, v2
	v_lshrrev_b32_e32 v8, 2, v0
	s_waitcnt lgkmcnt(0)
	s_add_i32 s3, s3, -1
	s_delay_alu instid0(SALU_CYCLE_1) | instskip(NEXT) | instid1(SALU_CYCLE_1)
	s_ashr_i32 s5, s3, 31
	s_lshr_b32 s5, s5, 25
	s_delay_alu instid0(SALU_CYCLE_1) | instskip(NEXT) | instid1(SALU_CYCLE_1)
	s_add_i32 s3, s3, s5
	s_ashr_i32 s3, s3, 7
	s_delay_alu instid0(SALU_CYCLE_1) | instskip(SKIP_2) | instid1(VALU_DEP_1)
	s_add_i32 s5, s3, 1
	s_not_b32 s3, s3
	v_cvt_f32_u32_e32 v1, s5
	v_rcp_iflag_f32_e32 v1, v1
	s_waitcnt_depctr 0xfff
	v_mul_f32_e32 v1, 0x4f7ffffe, v1
	s_delay_alu instid0(VALU_DEP_1) | instskip(NEXT) | instid1(VALU_DEP_1)
	v_cvt_u32_f32_e32 v1, v1
	v_readfirstlane_b32 s21, v1
	v_cndmask_b32_e64 v1, 0, 1, s20
	s_delay_alu instid0(VALU_DEP_2) | instskip(NEXT) | instid1(SALU_CYCLE_1)
	s_mul_i32 s3, s3, s21
	s_mul_hi_u32 s3, s21, s3
	s_delay_alu instid0(SALU_CYCLE_1) | instskip(NEXT) | instid1(SALU_CYCLE_1)
	s_add_i32 s21, s21, s3
	s_mul_hi_u32 s3, s14, s21
	s_delay_alu instid0(SALU_CYCLE_1) | instskip(SKIP_2) | instid1(SALU_CYCLE_1)
	s_mul_i32 s21, s3, s5
	s_add_i32 s22, s3, 1
	s_sub_i32 s21, s14, s21
	s_sub_i32 s23, s21, s5
	s_cmp_ge_u32 s21, s5
	s_cselect_b32 s3, s22, s3
	s_cselect_b32 s21, s23, s21
	s_add_i32 s22, s3, 1
	s_cmp_ge_u32 s21, s5
	s_cselect_b32 s22, s22, s3
	s_and_not1_b32 vcc_lo, exec_lo, s20
	s_mul_i32 s3, s22, s5
	s_delay_alu instid0(SALU_CYCLE_1) | instskip(NEXT) | instid1(SALU_CYCLE_1)
	s_sub_i32 s3, s14, s3
	s_lshl_b32 s5, s3, 7
	v_cmp_ne_u32_e64 s3, 1, v1
	v_add_nc_u32_e32 v0, s5, v8
	s_delay_alu instid0(VALU_DEP_1)
	v_add_nc_u32_e32 v1, 64, v0
	s_cbranch_vccnz .LBB266_11
; %bb.10:
	v_mad_i64_i32 v[2:3], null, v0, s4, 0
	s_delay_alu instid0(VALU_DEP_2) | instskip(SKIP_1) | instid1(VALU_DEP_1)
	v_mad_i64_i32 v[4:5], null, v1, s4, 0
	v_add_co_u32 v6, s14, s12, v44
	v_add_co_ci_u32_e64 v7, null, s13, 0, s14
	s_delay_alu instid0(VALU_DEP_4) | instskip(NEXT) | instid1(VALU_DEP_4)
	v_lshlrev_b64 v[2:3], 1, v[2:3]
	v_lshlrev_b64 v[4:5], 1, v[4:5]
	s_delay_alu instid0(VALU_DEP_2) | instskip(NEXT) | instid1(VALU_DEP_3)
	v_add_co_u32 v2, vcc_lo, v6, v2
	v_add_co_ci_u32_e32 v3, vcc_lo, v7, v3, vcc_lo
	s_delay_alu instid0(VALU_DEP_3) | instskip(NEXT) | instid1(VALU_DEP_4)
	v_add_co_u32 v4, vcc_lo, v6, v4
	v_add_co_ci_u32_e32 v5, vcc_lo, v7, v5, vcc_lo
	s_clause 0x1
	flat_load_u16 v2, v[2:3]
	flat_load_u16 v3, v[4:5]
	s_waitcnt vmcnt(1) lgkmcnt(1)
	v_mul_f16_e32 v9, s11, v2
	s_waitcnt vmcnt(0) lgkmcnt(0)
	v_mul_f16_e32 v10, s11, v3
	s_branch .LBB266_12
.LBB266_11:
	v_dual_mov_b32 v9, 0 :: v_dual_mov_b32 v10, 0
.LBB266_12:
	s_load_b32 s21, s[0:1], 0x30
	s_lshl_b32 s14, s22, 7
	s_and_b32 vcc_lo, exec_lo, s3
	v_add_nc_u32_e32 v2, s14, v8
	s_delay_alu instid0(VALU_DEP_1)
	v_add_nc_u32_e32 v3, 64, v2
	s_cbranch_vccnz .LBB266_16
; %bb.13:
	s_waitcnt lgkmcnt(0)
	v_mad_i64_i32 v[4:5], null, v2, s21, 0
	s_delay_alu instid0(VALU_DEP_2) | instskip(SKIP_1) | instid1(VALU_DEP_1)
	v_mad_i64_i32 v[6:7], null, v3, s21, 0
	v_add_co_u32 v11, s22, s16, v44
	v_add_co_ci_u32_e64 v12, null, s17, 0, s22
	s_delay_alu instid0(VALU_DEP_4) | instskip(NEXT) | instid1(VALU_DEP_4)
	v_lshlrev_b64 v[4:5], 1, v[4:5]
	v_lshlrev_b64 v[6:7], 1, v[6:7]
	s_delay_alu instid0(VALU_DEP_2) | instskip(NEXT) | instid1(VALU_DEP_3)
	v_add_co_u32 v4, vcc_lo, v11, v4
	v_add_co_ci_u32_e32 v5, vcc_lo, v12, v5, vcc_lo
	s_delay_alu instid0(VALU_DEP_3) | instskip(NEXT) | instid1(VALU_DEP_4)
	v_add_co_u32 v6, vcc_lo, v11, v6
	v_add_co_ci_u32_e32 v7, vcc_lo, v12, v7, vcc_lo
	s_clause 0x1
	flat_load_u16 v4, v[4:5]
	flat_load_u16 v5, v[6:7]
	s_waitcnt vmcnt(1) lgkmcnt(1)
	v_mul_f16_e32 v11, s11, v4
	s_waitcnt vmcnt(0) lgkmcnt(0)
	v_mul_f16_e32 v12, s11, v5
	s_and_b32 vcc_lo, exec_lo, s3
	s_cbranch_vccnz .LBB266_17
.LBB266_14:
	v_mad_i64_i32 v[4:5], null, v0, s4, 0
	v_mad_i64_i32 v[6:7], null, v1, s4, 0
	v_add_co_u32 v13, s22, s12, v44
	s_delay_alu instid0(VALU_DEP_1) | instskip(NEXT) | instid1(VALU_DEP_4)
	v_add_co_ci_u32_e64 v14, null, s13, 0, s22
	v_lshlrev_b64 v[4:5], 1, v[4:5]
	s_delay_alu instid0(VALU_DEP_4) | instskip(NEXT) | instid1(VALU_DEP_2)
	v_lshlrev_b64 v[6:7], 1, v[6:7]
	v_add_co_u32 v4, vcc_lo, v13, v4
	s_delay_alu instid0(VALU_DEP_3) | instskip(NEXT) | instid1(VALU_DEP_3)
	v_add_co_ci_u32_e32 v5, vcc_lo, v14, v5, vcc_lo
	v_add_co_u32 v6, vcc_lo, v13, v6
	s_delay_alu instid0(VALU_DEP_4)
	v_add_co_ci_u32_e32 v7, vcc_lo, v14, v7, vcc_lo
	s_clause 0x1
	flat_load_u16 v4, v[4:5] offset:8
	flat_load_u16 v5, v[6:7] offset:8
	s_waitcnt vmcnt(1) lgkmcnt(0)
	v_mul_f16_e32 v4, s11, v4
	s_waitcnt vmcnt(0)
	v_mul_f16_e32 v5, s11, v5
	s_and_b32 vcc_lo, exec_lo, s3
	s_cbranch_vccnz .LBB266_18
.LBB266_15:
	s_waitcnt lgkmcnt(0)
	v_mad_i64_i32 v[6:7], null, v2, s21, 0
	v_mad_i64_i32 v[13:14], null, v3, s21, 0
	v_add_co_u32 v15, s22, s16, v44
	s_delay_alu instid0(VALU_DEP_1) | instskip(NEXT) | instid1(VALU_DEP_4)
	v_add_co_ci_u32_e64 v16, null, s17, 0, s22
	v_lshlrev_b64 v[6:7], 1, v[6:7]
	s_delay_alu instid0(VALU_DEP_4) | instskip(NEXT) | instid1(VALU_DEP_2)
	v_lshlrev_b64 v[13:14], 1, v[13:14]
	v_add_co_u32 v6, vcc_lo, v15, v6
	s_delay_alu instid0(VALU_DEP_3) | instskip(NEXT) | instid1(VALU_DEP_3)
	v_add_co_ci_u32_e32 v7, vcc_lo, v16, v7, vcc_lo
	v_add_co_u32 v13, vcc_lo, v15, v13
	s_delay_alu instid0(VALU_DEP_4)
	v_add_co_ci_u32_e32 v14, vcc_lo, v16, v14, vcc_lo
	s_clause 0x1
	flat_load_u16 v6, v[6:7] offset:8
	flat_load_u16 v7, v[13:14] offset:8
	s_waitcnt vmcnt(1) lgkmcnt(1)
	v_mul_f16_e32 v6, s11, v6
	s_waitcnt vmcnt(0) lgkmcnt(0)
	v_mul_f16_e32 v7, s11, v7
	s_branch .LBB266_19
.LBB266_16:
	v_dual_mov_b32 v11, 0 :: v_dual_mov_b32 v12, 0
	s_and_b32 vcc_lo, exec_lo, s3
	s_cbranch_vccz .LBB266_14
.LBB266_17:
	v_dual_mov_b32 v4, 0 :: v_dual_mov_b32 v5, 0
	s_and_b32 vcc_lo, exec_lo, s3
	s_cbranch_vccz .LBB266_15
.LBB266_18:
	v_dual_mov_b32 v6, 0 :: v_dual_mov_b32 v7, 0
.LBB266_19:
	v_lshlrev_b32_e32 v42, 3, v41
	v_lshl_or_b32 v45, v8, 3, v44
	v_lshlrev_b32_e32 v43, 3, v40
	s_cmp_lt_i32 s10, 9
	ds_store_b16 v45, v9
	ds_store_b16 v45, v10 offset:512
	ds_store_b16 v45, v11 offset:2048
	ds_store_b16 v45, v12 offset:2560
	v_add_nc_u32_e32 v50, 0x800, v42
	s_waitcnt lgkmcnt(0)
	s_barrier
	buffer_gl0_inv
	ds_load_2addr_b64 v[8:11], v43 offset1:32
	ds_load_2addr_b64 v[12:15], v50 offset1:8
	ds_load_2addr_b64 v[16:19], v43 offset0:64 offset1:96
	ds_load_2addr_b64 v[20:23], v50 offset0:16 offset1:24
	ds_load_2addr_b64 v[24:27], v50 offset0:32 offset1:40
	ds_load_2addr_b64 v[28:31], v50 offset0:48 offset1:56
	ds_load_2addr_b64 v[32:35], v50 offset0:64 offset1:72
	ds_load_2addr_b64 v[36:39], v50 offset0:80 offset1:88
	ds_load_2addr_b64 v[46:49], v50 offset0:96 offset1:104
	s_waitcnt lgkmcnt(7)
	v_pk_add_f16 v51, v8, v12
	v_pk_add_f16 v52, v10, v12
	s_waitcnt lgkmcnt(6)
	v_pk_add_f16 v53, v16, v12
	v_pk_add_f16 v12, v18, v12
	;; [unrolled: 1-line block ×6, first 2 shown]
	s_waitcnt lgkmcnt(5)
	v_pk_add_f16 v57, v8, v20
	v_pk_min_f16 v12, 0x7c00, v12 op_sel_hi:[0,1]
	v_pk_add_f16 v80, v9, v13
	v_pk_add_f16 v81, v11, v13
	;; [unrolled: 1-line block ×5, first 2 shown]
	v_pk_min_f16 v14, 0x7c00, v14 op_sel_hi:[0,1]
	v_pk_min_f16 v57, 0x7c00, v57 op_sel_hi:[0,1]
	v_pk_add_f16 v59, v16, v20
	v_pk_add_f16 v20, v18, v20
	;; [unrolled: 1-line block ×6, first 2 shown]
	v_pk_min_f16 v120, v12, v13
	v_pk_add_f16 v12, v9, v21
	v_pk_min_f16 v58, 0x7c00, v58 op_sel_hi:[0,1]
	v_pk_add_f16 v60, v8, v22
	v_pk_add_f16 v61, v10, v22
	;; [unrolled: 1-line block ×3, first 2 shown]
	v_pk_min_f16 v59, 0x7c00, v59 op_sel_hi:[0,1]
	v_pk_min_f16 v20, 0x7c00, v20 op_sel_hi:[0,1]
	v_pk_add_f16 v13, v11, v21
	v_pk_min_f16 v105, v14, v15
	v_pk_add_f16 v14, v17, v21
	v_pk_min_f16 v104, v57, v12
	v_pk_add_f16 v12, v19, v21
	v_pk_min_f16 v60, 0x7c00, v60 op_sel_hi:[0,1]
	v_pk_min_f16 v61, 0x7c00, v61 op_sel_hi:[0,1]
	;; [unrolled: 1-line block ×3, first 2 shown]
	v_pk_add_f16 v22, v18, v22
	s_waitcnt lgkmcnt(4)
	v_pk_add_f16 v63, v8, v24
	v_pk_add_f16 v64, v10, v24
	;; [unrolled: 1-line block ×3, first 2 shown]
	v_pk_min_f16 v103, v58, v13
	v_pk_add_f16 v13, v9, v23
	v_pk_min_f16 v102, v59, v14
	v_pk_add_f16 v14, v11, v23
	;; [unrolled: 2-line block ×3, first 2 shown]
	v_pk_min_f16 v22, 0x7c00, v22 op_sel_hi:[0,1]
	v_pk_min_f16 v63, 0x7c00, v63 op_sel_hi:[0,1]
	;; [unrolled: 1-line block ×4, first 2 shown]
	v_pk_add_f16 v66, v8, v26
	v_pk_add_f16 v67, v10, v26
	;; [unrolled: 1-line block ×4, first 2 shown]
	v_pk_min_f16 v100, v60, v13
	v_pk_min_f16 v99, v61, v14
	;; [unrolled: 1-line block ×3, first 2 shown]
	v_pk_add_f16 v12, v19, v23
	v_pk_add_f16 v13, v9, v25
	;; [unrolled: 1-line block ×4, first 2 shown]
	s_waitcnt lgkmcnt(3)
	v_pk_add_f16 v69, v8, v28
	v_pk_min_f16 v66, 0x7c00, v66 op_sel_hi:[0,1]
	v_pk_min_f16 v67, 0x7c00, v67 op_sel_hi:[0,1]
	;; [unrolled: 1-line block ×4, first 2 shown]
	v_pk_add_f16 v70, v10, v28
	v_pk_add_f16 v71, v16, v28
	;; [unrolled: 1-line block ×4, first 2 shown]
	v_pk_min_f16 v97, v22, v12
	v_pk_min_f16 v96, v63, v13
	;; [unrolled: 1-line block ×4, first 2 shown]
	v_pk_add_f16 v12, v9, v27
	v_pk_add_f16 v13, v11, v27
	;; [unrolled: 1-line block ×4, first 2 shown]
	v_pk_min_f16 v55, 0x7c00, v55 op_sel_hi:[0,1]
	v_pk_min_f16 v56, 0x7c00, v56 op_sel_hi:[0,1]
	v_pk_add_f16 v24, v18, v24
	v_pk_min_f16 v69, 0x7c00, v69 op_sel_hi:[0,1]
	v_pk_add_f16 v73, v10, v30
	v_pk_min_f16 v70, 0x7c00, v70 op_sel_hi:[0,1]
	v_pk_min_f16 v71, 0x7c00, v71 op_sel_hi:[0,1]
	v_pk_min_f16 v28, 0x7c00, v28 op_sel_hi:[0,1]
	v_pk_min_f16 v72, 0x7c00, v72 op_sel_hi:[0,1]
	v_pk_add_f16 v22, v9, v29
	v_pk_min_f16 v92, v66, v12
	v_pk_min_f16 v91, v67, v13
	;; [unrolled: 1-line block ×4, first 2 shown]
	v_pk_add_f16 v12, v11, v29
	v_pk_add_f16 v13, v17, v29
	;; [unrolled: 1-line block ×4, first 2 shown]
	v_pk_min_f16 v53, 0x7c00, v53 op_sel_hi:[0,1]
	v_pk_min_f16 v24, 0x7c00, v24 op_sel_hi:[0,1]
	;; [unrolled: 1-line block ×3, first 2 shown]
	v_pk_add_f16 v74, v16, v30
	v_pk_add_f16 v30, v18, v30
	v_pk_min_f16 v107, v55, v84
	v_pk_min_f16 v106, v56, v85
	v_pk_add_f16 v23, v19, v25
	v_pk_min_f16 v88, v69, v22
	v_pk_add_f16 v22, v11, v31
	v_pk_min_f16 v87, v70, v12
	v_pk_min_f16 v86, v71, v13
	;; [unrolled: 1-line block ×4, first 2 shown]
	ds_load_2addr_b64 v[12:15], v50 offset0:112 offset1:120
	v_pk_min_f16 v52, 0x7c00, v52 op_sel_hi:[0,1]
	v_pk_min_f16 v54, 0x7c00, v54 op_sel_hi:[0,1]
	s_waitcnt lgkmcnt(3)
	v_pk_add_f16 v75, v8, v32
	v_pk_add_f16 v76, v10, v32
	;; [unrolled: 1-line block ×8, first 2 shown]
	s_waitcnt lgkmcnt(2)
	v_pk_add_f16 v109, v8, v36
	v_pk_min_f16 v121, v53, v82
	v_pk_add_f16 v20, v16, v38
	v_pk_min_f16 v93, v24, v23
	v_pk_min_f16 v82, v73, v22
	v_pk_add_f16 v22, v17, v31
	v_pk_add_f16 v23, v19, v31
	v_pk_min_f16 v50, 0x7c00, v74 op_sel_hi:[0,1]
	v_pk_min_f16 v30, 0x7c00, v30 op_sel_hi:[0,1]
	;; [unrolled: 1-line block ×3, first 2 shown]
	v_pk_min_f16 v122, v52, v81
	v_pk_min_f16 v111, v54, v83
	v_pk_add_f16 v21, v18, v38
	v_pk_add_f16 v24, v9, v33
	;; [unrolled: 1-line block ×11, first 2 shown]
	v_pk_min_f16 v59, 0x7c00, v75 op_sel_hi:[0,1]
	v_pk_min_f16 v60, 0x7c00, v76 op_sel_hi:[0,1]
	;; [unrolled: 1-line block ×6, first 2 shown]
	v_pk_min_f16 v83, v50, v22
	s_waitcnt lgkmcnt(1)
	v_pk_add_f16 v22, v8, v46
	v_pk_min_f16 v81, v30, v23
	v_pk_add_f16 v23, v10, v46
	v_pk_min_f16 v20, 0x7c00, v20 op_sel_hi:[0,1]
	v_pk_min_f16 v123, v51, v80
	v_pk_add_f16 v56, v9, v39
	v_pk_add_f16 v57, v11, v39
	;; [unrolled: 1-line block ×3, first 2 shown]
	v_pk_min_f16 v62, 0x7c00, v78 op_sel_hi:[0,1]
	v_pk_min_f16 v63, 0x7c00, v79 op_sel_hi:[0,1]
	;; [unrolled: 1-line block ×3, first 2 shown]
	v_pk_min_f16 v80, v59, v24
	v_pk_add_f16 v24, v16, v46
	v_pk_min_f16 v21, 0x7c00, v21 op_sel_hi:[0,1]
	v_pk_min_f16 v22, 0x7c00, v22 op_sel_hi:[0,1]
	;; [unrolled: 1-line block ×3, first 2 shown]
	v_pk_min_f16 v78, v60, v25
	v_pk_add_f16 v25, v18, v46
	v_pk_min_f16 v77, v61, v26
	v_pk_add_f16 v26, v8, v48
	;; [unrolled: 2-line block ×3, first 2 shown]
	v_pk_min_f16 v72, v34, v33
	v_pk_min_f16 v71, v65, v35
	v_pk_add_f16 v33, v9, v47
	v_pk_min_f16 v65, v20, v58
	v_pk_add_f16 v20, v11, v47
	v_pk_add_f16 v51, v10, v36
	;; [unrolled: 1-line block ×6, first 2 shown]
	v_pk_min_f16 v24, 0x7c00, v24 op_sel_hi:[0,1]
	v_pk_min_f16 v75, v62, v28
	v_pk_add_f16 v28, v16, v48
	v_pk_min_f16 v74, v63, v29
	v_pk_add_f16 v29, v18, v48
	v_pk_min_f16 v25, 0x7c00, v25 op_sel_hi:[0,1]
	v_pk_min_f16 v26, 0x7c00, v26 op_sel_hi:[0,1]
	;; [unrolled: 1-line block ×3, first 2 shown]
	v_pk_min_f16 v73, v64, v31
	s_waitcnt lgkmcnt(0)
	v_pk_add_f16 v30, v8, v12
	v_pk_add_f16 v31, v10, v12
	;; [unrolled: 1-line block ×6, first 2 shown]
	v_pk_min_f16 v64, v21, v39
	v_pk_min_f16 v63, v22, v33
	v_pk_add_f16 v21, v17, v47
	v_pk_add_f16 v22, v19, v47
	v_pk_add_f16 v16, v16, v14
	v_pk_min_f16 v62, v23, v20
	v_pk_add_f16 v14, v18, v14
	v_pk_add_f16 v18, v9, v49
	;; [unrolled: 1-line block ×6, first 2 shown]
	v_pk_min_f16 v51, 0x7c00, v51 op_sel_hi:[0,1]
	v_pk_min_f16 v52, 0x7c00, v52 op_sel_hi:[0,1]
	;; [unrolled: 1-line block ×12, first 2 shown]
	v_pk_min_f16 v61, v24, v21
	v_pk_min_f16 v60, v25, v22
	v_pk_min_f16 v10, 0x7c00, v10 op_sel_hi:[0,1]
	v_pk_min_f16 v16, 0x7c00, v16 op_sel_hi:[0,1]
	v_pk_min_f16 v14, 0x7c00, v14 op_sel_hi:[0,1]
	v_pk_min_f16 v59, v26, v18
	v_pk_min_f16 v58, v27, v20
	v_pk_add_f16 v18, v17, v49
	v_pk_add_f16 v20, v19, v49
	;; [unrolled: 1-line block ×10, first 2 shown]
	v_pk_min_f16 v70, v51, v38
	v_pk_min_f16 v69, v52, v55
	;; [unrolled: 1-line block ×15, first 2 shown]
	ds_store_b16 v45, v4 offset:1024
	ds_store_b16 v45, v5 offset:1536
	;; [unrolled: 1-line block ×4, first 2 shown]
	s_waitcnt lgkmcnt(0)
	s_barrier
	buffer_gl0_inv
	s_cbranch_scc1 .LBB266_33
; %bb.20:
	v_mad_i64_i32 v[4:5], null, s21, v3, 0
	v_mad_i64_i32 v[6:7], null, s21, v2, 0
	;; [unrolled: 1-line block ×3, first 2 shown]
	v_add_nc_u32_e32 v46, 0x800, v45
	v_add_nc_u32_e32 v47, 0x800, v42
	v_lshlrev_b64 v[2:3], 1, v[4:5]
	v_mad_i64_i32 v[4:5], null, s4, v1, 0
	v_lshlrev_b64 v[6:7], 1, v[6:7]
	v_add_nc_u32_e32 v79, 0x400, v45
	v_add_nc_u32_e32 v108, 0xc00, v45
	v_add_co_u32 v112, vcc_lo, s16, v2
	v_add_co_ci_u32_e32 v113, vcc_lo, s17, v3, vcc_lo
	v_lshlrev_b64 v[0:1], 1, v[4:5]
	v_add_co_u32 v114, vcc_lo, s16, v6
	v_lshlrev_b64 v[2:3], 1, v[8:9]
	v_add_co_ci_u32_e32 v115, vcc_lo, s17, v7, vcc_lo
	s_delay_alu instid0(VALU_DEP_4) | instskip(SKIP_1) | instid1(VALU_DEP_4)
	v_add_co_u32 v116, vcc_lo, s12, v0
	v_add_co_ci_u32_e32 v117, vcc_lo, s13, v1, vcc_lo
	v_add_co_u32 v118, vcc_lo, s12, v2
	v_lshl_add_u32 v109, v40, 3, 0x400
	v_lshl_add_u32 v110, v41, 3, 0xc00
	v_add_co_ci_u32_e32 v119, vcc_lo, s13, v3, vcc_lo
	s_add_i32 s10, s10, -8
	s_mov_b32 s12, 0
	s_and_b32 s4, exec_lo, s20
	s_branch .LBB266_23
.LBB266_21:                             ;   in Loop: Header=BB266_23 Depth=1
	v_add_co_u32 v0, vcc_lo, v114, v44
	v_add_co_ci_u32_e32 v1, vcc_lo, 0, v115, vcc_lo
	v_add_co_u32 v75, vcc_lo, v112, v44
	v_add_co_ci_u32_e32 v76, vcc_lo, 0, v113, vcc_lo
	flat_load_u16 v0, v[0:1] offset:24
	flat_load_u16 v1, v[75:76] offset:24
	s_waitcnt vmcnt(1) lgkmcnt(1)
	v_mul_f16_e32 v0, s11, v0
	s_waitcnt vmcnt(0) lgkmcnt(0)
	v_mul_f16_e32 v1, s11, v1
.LBB266_22:                             ;   in Loop: Header=BB266_23 Depth=1
	ds_load_2addr_b64 v[126:129], v43 offset1:32
	ds_load_2addr_b64 v[75:78], v47 offset1:8
	ds_load_2addr_b64 v[130:133], v43 offset0:64 offset1:96
	ds_load_2addr_b64 v[80:83], v47 offset0:16 offset1:24
	;; [unrolled: 1-line block ×8, first 2 shown]
	v_pk_max_f16 v11, v73, v73
	v_pk_max_f16 v73, v74, v74
	;; [unrolled: 1-line block ×11, first 2 shown]
	s_waitcnt lgkmcnt(8)
	v_pk_add_f16 v74, v126, v75
	v_pk_add_f16 v88, v128, v75
	s_waitcnt lgkmcnt(7)
	v_pk_add_f16 v89, v130, v75
	v_pk_add_f16 v75, v132, v75
	;; [unrolled: 1-line block ×3, first 2 shown]
	v_pk_min_f16 v11, v11, v74
	v_pk_add_f16 v74, v132, v77
	v_pk_add_f16 v91, v128, v77
	;; [unrolled: 1-line block ×3, first 2 shown]
	v_pk_min_f16 v69, v69, v75
	s_waitcnt lgkmcnt(6)
	v_pk_add_f16 v75, v128, v80
	v_pk_min_f16 v66, v66, v74
	v_pk_add_f16 v74, v126, v80
	v_pk_add_f16 v77, v130, v80
	;; [unrolled: 1-line block ×3, first 2 shown]
	v_pk_min_f16 v67, v67, v75
	v_pk_add_f16 v75, v130, v82
	v_pk_min_f16 v60, v60, v74
	v_pk_min_f16 v65, v65, v77
	;; [unrolled: 1-line block ×3, first 2 shown]
	v_pk_add_f16 v74, v128, v82
	v_pk_add_f16 v77, v132, v82
	s_waitcnt lgkmcnt(5)
	v_pk_add_f16 v80, v126, v84
	v_pk_max_f16 v59, v59, v59
	v_pk_min_f16 v63, v63, v75
	v_pk_min_f16 v55, v55, v74
	;; [unrolled: 1-line block ×3, first 2 shown]
	v_pk_add_f16 v74, v130, v84
	v_pk_min_f16 v59, v59, v80
	v_pk_max_f16 v50, v50, v50
	v_pk_add_f16 v75, v132, v84
	v_pk_max_f16 v58, v58, v58
	v_pk_add_f16 v77, v126, v86
	;; [unrolled: 2-line block ×3, first 2 shown]
	v_pk_max_f16 v54, v54, v54
	v_pk_min_f16 v50, v50, v74
	v_pk_min_f16 v58, v58, v75
	;; [unrolled: 1-line block ×3, first 2 shown]
	v_pk_add_f16 v74, v132, v86
	v_pk_min_f16 v54, v54, v80
	v_pk_max_f16 v37, v37, v37
	s_waitcnt lgkmcnt(4)
	v_pk_add_f16 v75, v126, v134
	v_pk_max_f16 v53, v53, v53
	v_pk_add_f16 v77, v128, v134
	v_pk_max_f16 v51, v51, v51
	;; [unrolled: 2-line block ×3, first 2 shown]
	v_pk_min_f16 v37, v37, v74
	v_pk_min_f16 v53, v53, v75
	;; [unrolled: 1-line block ×3, first 2 shown]
	v_pk_add_f16 v74, v126, v136
	v_pk_min_f16 v49, v49, v80
	v_pk_max_f16 v32, v32, v32
	v_pk_add_f16 v75, v128, v136
	v_pk_max_f16 v48, v48, v48
	v_pk_add_f16 v77, v130, v136
	;; [unrolled: 2-line block ×3, first 2 shown]
	v_pk_max_f16 v36, v36, v36
	v_pk_min_f16 v32, v32, v74
	v_pk_min_f16 v48, v48, v75
	v_pk_min_f16 v38, v38, v77
	s_waitcnt lgkmcnt(3)
	v_pk_add_f16 v74, v128, v138
	v_pk_min_f16 v36, v36, v80
	v_pk_max_f16 v27, v27, v27
	v_pk_add_f16 v75, v130, v138
	v_pk_max_f16 v35, v35, v35
	v_pk_add_f16 v77, v132, v138
	;; [unrolled: 2-line block ×3, first 2 shown]
	v_pk_max_f16 v31, v31, v31
	v_pk_min_f16 v27, v27, v74
	v_pk_min_f16 v35, v35, v75
	;; [unrolled: 1-line block ×3, first 2 shown]
	v_pk_add_f16 v74, v130, v140
	v_pk_min_f16 v31, v31, v80
	v_pk_max_f16 v22, v22, v22
	v_pk_add_f16 v75, v132, v140
	v_pk_max_f16 v30, v30, v30
	s_waitcnt lgkmcnt(2)
	v_pk_add_f16 v77, v126, v142
	v_pk_max_f16 v28, v28, v28
	v_pk_add_f16 v80, v128, v142
	v_pk_max_f16 v26, v26, v26
	v_pk_max_f16 v71, v71, v71
	v_pk_min_f16 v22, v22, v74
	v_pk_min_f16 v30, v30, v75
	;; [unrolled: 1-line block ×4, first 2 shown]
	v_pk_add_f16 v74, v132, v142
	v_pk_max_f16 v17, v17, v17
	v_pk_add_f16 v75, v126, v144
	v_pk_max_f16 v25, v25, v25
	;; [unrolled: 2-line block ×4, first 2 shown]
	v_pk_min_f16 v71, v71, v88
	v_pk_add_f16 v88, v126, v82
	v_pk_add_f16 v82, v128, v84
	v_pk_max_f16 v57, v57, v57
	v_pk_min_f16 v17, v17, v74
	v_pk_min_f16 v25, v25, v75
	;; [unrolled: 1-line block ×4, first 2 shown]
	s_waitcnt lgkmcnt(1)
	v_pk_add_f16 v74, v126, v146
	v_pk_max_f16 v12, v12, v12
	v_pk_add_f16 v75, v128, v146
	v_pk_max_f16 v20, v20, v20
	;; [unrolled: 2-line block ×4, first 2 shown]
	v_pk_min_f16 v57, v57, v82
	v_pk_add_f16 v82, v130, v86
	v_pk_max_f16 v52, v52, v52
	v_pk_min_f16 v12, v12, v74
	v_pk_min_f16 v20, v20, v75
	v_pk_min_f16 v18, v18, v77
	v_pk_min_f16 v16, v16, v80
	v_pk_add_f16 v74, v128, v148
	v_pk_max_f16 v6, v6, v6
	v_pk_add_f16 v75, v130, v148
	v_pk_max_f16 v15, v15, v15
	;; [unrolled: 2-line block ×3, first 2 shown]
	s_waitcnt lgkmcnt(0)
	v_pk_add_f16 v80, v126, v150
	v_pk_max_f16 v10, v10, v10
	v_pk_max_f16 v70, v70, v70
	v_pk_min_f16 v52, v52, v82
	v_pk_add_f16 v82, v132, v134
	v_pk_max_f16 v39, v39, v39
	v_pk_min_f16 v6, v6, v74
	v_pk_min_f16 v15, v15, v75
	;; [unrolled: 1-line block ×4, first 2 shown]
	v_pk_add_f16 v74, v130, v150
	v_pk_max_f16 v4, v4, v4
	v_pk_add_f16 v75, v132, v150
	v_pk_max_f16 v9, v9, v9
	;; [unrolled: 2-line block ×4, first 2 shown]
	v_pk_max_f16 v72, v72, v72
	v_pk_min_f16 v70, v70, v89
	v_pk_max_f16 v68, v68, v68
	v_pk_min_f16 v39, v39, v82
	v_pk_add_f16 v82, v126, v138
	v_pk_max_f16 v34, v34, v34
	v_pk_min_f16 v4, v4, v74
	v_pk_min_f16 v9, v9, v75
	;; [unrolled: 1-line block ×4, first 2 shown]
	v_pk_add_f16 v74, v132, v152
	v_pk_max_f16 v2, v2, v2
	v_pk_add_f16 v75, v127, v76
	v_pk_add_f16 v77, v129, v76
	;; [unrolled: 1-line block ×4, first 2 shown]
	v_pk_min_f16 v73, v73, v90
	v_pk_min_f16 v72, v72, v91
	;; [unrolled: 1-line block ×3, first 2 shown]
	v_pk_max_f16 v62, v62, v62
	v_pk_min_f16 v34, v34, v82
	v_pk_add_f16 v82, v128, v140
	v_pk_max_f16 v29, v29, v29
	v_pk_min_f16 v2, v2, v74
	v_pk_min_f16 v123, v11, v75
	;; [unrolled: 1-line block ×5, first 2 shown]
	v_pk_add_f16 v11, v127, v78
	v_pk_add_f16 v69, v129, v78
	;; [unrolled: 1-line block ×5, first 2 shown]
	v_pk_min_f16 v62, v62, v88
	v_pk_min_f16 v29, v29, v82
	v_pk_add_f16 v82, v130, v142
	v_pk_max_f16 v24, v24, v24
	v_pk_min_f16 v111, v73, v11
	v_pk_min_f16 v107, v72, v69
	v_pk_min_f16 v106, v68, v70
	v_pk_min_f16 v105, v66, v71
	v_pk_min_f16 v104, v60, v74
	v_pk_add_f16 v11, v129, v81
	v_pk_add_f16 v60, v131, v81
	v_pk_add_f16 v66, v133, v81
	v_pk_add_f16 v68, v127, v83
	v_pk_add_f16 v69, v129, v83
	v_pk_min_f16 v24, v24, v82
	v_pk_add_f16 v82, v132, v144
	v_pk_max_f16 v19, v19, v19
	v_pk_min_f16 v103, v67, v11
	v_pk_min_f16 v102, v65, v60
	v_pk_min_f16 v101, v64, v66
	v_pk_min_f16 v100, v62, v68
	v_pk_min_f16 v99, v55, v69
	v_pk_add_f16 v11, v131, v83
	v_pk_add_f16 v55, v133, v83
	v_pk_add_f16 v60, v127, v85
	v_pk_add_f16 v62, v129, v85
	v_pk_add_f16 v64, v131, v85
	;; [unrolled: 13-line block ×5, first 2 shown]
	v_pk_min_f16 v3, v3, v82
	v_pk_min_f16 v82, v48, v11
	;; [unrolled: 1-line block ×6, first 2 shown]
	v_pk_add_f16 v11, v131, v139
	v_pk_add_f16 v27, v133, v139
	v_pk_add_f16 v32, v127, v141
	v_pk_add_f16 v34, v129, v141
	v_pk_add_f16 v36, v131, v141
	v_pk_min_f16 v77, v35, v11
	v_pk_min_f16 v76, v33, v27
	v_pk_min_f16 v75, v31, v32
	v_pk_min_f16 v74, v29, v34
	v_pk_min_f16 v73, v22, v36
	v_pk_add_f16 v11, v133, v141
	v_pk_add_f16 v22, v127, v143
	v_pk_add_f16 v27, v129, v143
	v_pk_add_f16 v29, v131, v143
	v_pk_add_f16 v31, v133, v143
	v_pk_min_f16 v72, v30, v11
	v_pk_min_f16 v71, v28, v22
	v_pk_min_f16 v70, v26, v27
	v_pk_min_f16 v69, v24, v29
	v_pk_min_f16 v68, v17, v31
	;; [unrolled: 10-line block ×3, first 2 shown]
	v_pk_add_f16 v11, v129, v147
	v_pk_add_f16 v12, v131, v147
	;; [unrolled: 1-line block ×5, first 2 shown]
	v_add_co_u32 v112, vcc_lo, v112, 16
	v_pk_min_f16 v62, v20, v11
	v_pk_min_f16 v61, v18, v12
	;; [unrolled: 1-line block ×5, first 2 shown]
	v_pk_add_f16 v6, v131, v149
	v_pk_add_f16 v11, v133, v149
	;; [unrolled: 1-line block ×5, first 2 shown]
	v_add_co_ci_u32_e32 v113, vcc_lo, 0, v113, vcc_lo
	v_add_co_u32 v114, vcc_lo, v114, 16
	v_add_co_ci_u32_e32 v115, vcc_lo, 0, v115, vcc_lo
	v_pk_min_f16 v57, v15, v6
	v_pk_min_f16 v56, v13, v11
	;; [unrolled: 1-line block ×5, first 2 shown]
	v_pk_add_f16 v4, v133, v151
	v_pk_add_f16 v6, v127, v153
	;; [unrolled: 1-line block ×5, first 2 shown]
	v_add_co_u32 v116, vcc_lo, v116, 16
	v_add_co_ci_u32_e32 v117, vcc_lo, 0, v117, vcc_lo
	v_add_co_u32 v118, vcc_lo, v118, 16
	v_pk_min_f16 v52, v9, v4
	v_pk_min_f16 v51, v7, v6
	;; [unrolled: 1-line block ×5, first 2 shown]
	v_add_co_ci_u32_e32 v119, vcc_lo, 0, v119, vcc_lo
	s_add_i32 s12, s12, 8
	ds_store_b16 v79, v124
	ds_store_b16 v79, v125 offset:512
	ds_store_b16 v108, v0
	ds_store_b16 v108, v1 offset:512
	s_cmp_ge_i32 s12, s10
	s_waitcnt lgkmcnt(0)
	s_barrier
	buffer_gl0_inv
	s_cbranch_scc1 .LBB266_33
.LBB266_23:                             ; =>This Inner Loop Header: Depth=1
	s_and_b32 vcc_lo, exec_lo, s3
	s_cbranch_vccnz .LBB266_26
; %bb.24:                               ;   in Loop: Header=BB266_23 Depth=1
	v_add_co_u32 v0, vcc_lo, v118, v44
	v_add_co_ci_u32_e32 v1, vcc_lo, 0, v119, vcc_lo
	v_add_co_u32 v2, vcc_lo, v116, v44
	v_add_co_ci_u32_e32 v3, vcc_lo, 0, v117, vcc_lo
	flat_load_u16 v0, v[0:1] offset:16
	flat_load_u16 v1, v[2:3] offset:16
	s_waitcnt vmcnt(1) lgkmcnt(1)
	v_mul_f16_e32 v124, s11, v0
	s_waitcnt vmcnt(0) lgkmcnt(0)
	v_mul_f16_e32 v125, s11, v1
	s_and_b32 vcc_lo, exec_lo, s3
	s_cbranch_vccnz .LBB266_27
.LBB266_25:                             ;   in Loop: Header=BB266_23 Depth=1
	v_add_co_u32 v0, vcc_lo, v114, v44
	v_add_co_ci_u32_e32 v1, vcc_lo, 0, v115, vcc_lo
	v_add_co_u32 v2, vcc_lo, v112, v44
	v_add_co_ci_u32_e32 v3, vcc_lo, 0, v113, vcc_lo
	flat_load_u16 v0, v[0:1] offset:16
	flat_load_u16 v1, v[2:3] offset:16
	s_waitcnt vmcnt(1) lgkmcnt(1)
	v_mul_f16_e32 v126, s11, v0
	s_waitcnt vmcnt(0) lgkmcnt(0)
	v_mul_f16_e32 v127, s11, v1
	s_branch .LBB266_28
.LBB266_26:                             ;   in Loop: Header=BB266_23 Depth=1
	v_dual_mov_b32 v124, 0 :: v_dual_mov_b32 v125, 0
	s_and_b32 vcc_lo, exec_lo, s3
	s_cbranch_vccz .LBB266_25
.LBB266_27:                             ;   in Loop: Header=BB266_23 Depth=1
	v_dual_mov_b32 v126, 0 :: v_dual_mov_b32 v127, 0
.LBB266_28:                             ;   in Loop: Header=BB266_23 Depth=1
	ds_load_2addr_b64 v[4:7], v109 offset1:32
	ds_load_2addr_b64 v[0:3], v109 offset0:64 offset1:96
	ds_load_2addr_b64 v[36:39], v110 offset1:8
	ds_load_2addr_b64 v[32:35], v110 offset0:16 offset1:24
	ds_load_2addr_b64 v[28:31], v110 offset0:32 offset1:40
	;; [unrolled: 1-line block ×7, first 2 shown]
	s_mov_b32 vcc_lo, s4
	ds_store_b16 v45, v124
	ds_store_b16 v45, v125 offset:512
	ds_store_b16 v46, v126
	ds_store_b16 v46, v127 offset:512
	s_waitcnt lgkmcnt(0)
	s_barrier
	buffer_gl0_inv
	s_cbranch_vccz .LBB266_30
; %bb.29:                               ;   in Loop: Header=BB266_23 Depth=1
	v_add_co_u32 v124, vcc_lo, v118, v44
	v_add_co_ci_u32_e32 v125, vcc_lo, 0, v119, vcc_lo
	v_add_co_u32 v126, vcc_lo, v116, v44
	v_add_co_ci_u32_e32 v127, vcc_lo, 0, v117, vcc_lo
	flat_load_u16 v124, v[124:125] offset:24
	flat_load_u16 v125, v[126:127] offset:24
	s_waitcnt vmcnt(1) lgkmcnt(1)
	v_mul_f16_e32 v124, s11, v124
	s_waitcnt vmcnt(0) lgkmcnt(0)
	v_mul_f16_e32 v125, s11, v125
	s_branch .LBB266_31
.LBB266_30:                             ;   in Loop: Header=BB266_23 Depth=1
	v_dual_mov_b32 v124, 0 :: v_dual_mov_b32 v125, 0
.LBB266_31:                             ;   in Loop: Header=BB266_23 Depth=1
	v_pk_add_f16 v126, v4, v36
	v_pk_max_f16 v123, v123, v123
	v_pk_add_f16 v127, v6, v36
	v_pk_max_f16 v122, v122, v122
	;; [unrolled: 2-line block ×3, first 2 shown]
	v_pk_min_f16 v123, v123, v126
	v_pk_add_f16 v36, v2, v36
	v_pk_min_f16 v122, v122, v127
	v_pk_max_f16 v120, v120, v120
	v_pk_min_f16 v121, v121, v128
	v_pk_add_f16 v126, v4, v38
	v_pk_max_f16 v111, v111, v111
	v_pk_add_f16 v127, v6, v38
	v_pk_add_f16 v128, v0, v38
	;; [unrolled: 1-line block ×3, first 2 shown]
	v_pk_max_f16 v105, v105, v105
	v_pk_max_f16 v107, v107, v107
	v_pk_min_f16 v36, v120, v36
	v_pk_min_f16 v111, v111, v126
	v_pk_max_f16 v104, v104, v104
	v_pk_min_f16 v38, v105, v38
	v_pk_add_f16 v105, v4, v32
	v_pk_add_f16 v120, v6, v32
	;; [unrolled: 1-line block ×4, first 2 shown]
	v_pk_max_f16 v101, v101, v101
	v_pk_min_f16 v107, v107, v127
	v_pk_max_f16 v103, v103, v103
	v_pk_max_f16 v102, v102, v102
	v_pk_add_f16 v127, v4, v34
	v_pk_min_f16 v104, v104, v105
	v_pk_min_f16 v32, v101, v32
	v_pk_add_f16 v101, v6, v34
	v_pk_max_f16 v99, v99, v99
	v_pk_add_f16 v105, v0, v34
	v_pk_add_f16 v34, v2, v34
	v_pk_max_f16 v97, v97, v97
	v_pk_min_f16 v103, v103, v120
	v_pk_min_f16 v102, v102, v126
	v_pk_max_f16 v98, v98, v98
	v_pk_add_f16 v120, v4, v28
	v_pk_max_f16 v96, v96, v96
	v_pk_add_f16 v126, v6, v28
	v_pk_min_f16 v99, v99, v101
	v_pk_min_f16 v34, v97, v34
	v_pk_add_f16 v97, v0, v28
	v_pk_max_f16 v94, v94, v94
	v_pk_add_f16 v28, v2, v28
	v_pk_max_f16 v93, v93, v93
	;; [unrolled: 2-line block ×3, first 2 shown]
	v_pk_min_f16 v98, v98, v105
	v_pk_min_f16 v96, v96, v120
	v_pk_add_f16 v105, v6, v30
	v_pk_add_f16 v120, v0, v30
	v_pk_min_f16 v94, v94, v97
	v_pk_min_f16 v28, v93, v28
	;; [unrolled: 1-line block ×3, first 2 shown]
	v_pk_add_f16 v30, v2, v30
	v_pk_max_f16 v89, v89, v89
	v_pk_add_f16 v93, v4, v24
	v_pk_max_f16 v88, v88, v88
	v_pk_add_f16 v97, v6, v24
	v_pk_add_f16 v101, v0, v24
	;; [unrolled: 1-line block ×3, first 2 shown]
	v_pk_max_f16 v85, v85, v85
	v_pk_max_f16 v87, v87, v87
	v_pk_min_f16 v30, v89, v30
	v_pk_min_f16 v88, v88, v93
	v_pk_max_f16 v84, v84, v84
	v_pk_min_f16 v24, v85, v24
	v_pk_add_f16 v85, v4, v26
	v_pk_add_f16 v89, v6, v26
	v_pk_max_f16 v82, v82, v82
	v_pk_add_f16 v93, v0, v26
	v_pk_max_f16 v83, v83, v83
	;; [unrolled: 2-line block ×3, first 2 shown]
	v_pk_min_f16 v87, v87, v97
	v_pk_add_f16 v97, v4, v20
	v_pk_min_f16 v84, v84, v85
	v_pk_min_f16 v82, v82, v89
	;; [unrolled: 1-line block ×4, first 2 shown]
	v_pk_add_f16 v81, v6, v20
	v_pk_add_f16 v85, v0, v20
	v_pk_max_f16 v77, v77, v77
	v_pk_add_f16 v20, v2, v20
	v_pk_max_f16 v76, v76, v76
	;; [unrolled: 2-line block ×4, first 2 shown]
	v_pk_max_f16 v80, v80, v80
	v_pk_max_f16 v78, v78, v78
	v_pk_min_f16 v77, v77, v85
	v_pk_min_f16 v20, v76, v20
	;; [unrolled: 1-line block ×4, first 2 shown]
	v_pk_add_f16 v74, v0, v22
	v_pk_add_f16 v22, v2, v22
	v_pk_max_f16 v72, v72, v72
	v_pk_add_f16 v85, v6, v16
	v_pk_max_f16 v70, v70, v70
	;; [unrolled: 2-line block ×3, first 2 shown]
	v_pk_max_f16 v90, v90, v90
	v_pk_min_f16 v80, v80, v97
	v_pk_min_f16 v78, v78, v81
	v_pk_add_f16 v81, v4, v16
	v_pk_min_f16 v97, v72, v22
	v_pk_min_f16 v85, v70, v85
	;; [unrolled: 1-line block ×3, first 2 shown]
	v_pk_add_f16 v16, v2, v16
	v_pk_max_f16 v22, v68, v68
	v_pk_add_f16 v68, v4, v18
	v_pk_add_f16 v69, v6, v18
	;; [unrolled: 1-line block ×3, first 2 shown]
	v_pk_max_f16 v65, v65, v65
	v_pk_add_f16 v18, v2, v18
	v_pk_max_f16 v64, v64, v64
	v_pk_max_f16 v95, v95, v95
	;; [unrolled: 1-line block ×3, first 2 shown]
	v_pk_min_f16 v90, v90, v120
	v_pk_max_f16 v66, v66, v66
	v_pk_min_f16 v16, v22, v16
	v_pk_min_f16 v120, v65, v70
	;; [unrolled: 1-line block ×3, first 2 shown]
	v_pk_add_f16 v22, v4, v12
	v_pk_max_f16 v63, v63, v63
	v_pk_add_f16 v64, v6, v12
	v_pk_add_f16 v65, v0, v12
	;; [unrolled: 1-line block ×3, first 2 shown]
	v_pk_max_f16 v60, v60, v60
	v_pk_min_f16 v95, v95, v126
	v_pk_min_f16 v91, v91, v105
	;; [unrolled: 1-line block ×3, first 2 shown]
	v_pk_add_f16 v66, v4, v14
	v_pk_max_f16 v59, v59, v59
	v_pk_min_f16 v126, v63, v22
	v_pk_min_f16 v129, v60, v12
	v_pk_add_f16 v12, v6, v14
	v_pk_max_f16 v22, v58, v58
	v_pk_min_f16 v130, v59, v66
	v_pk_add_f16 v59, v4, v8
	v_pk_add_f16 v60, v6, v8
	v_pk_max_f16 v106, v106, v106
	v_pk_min_f16 v131, v22, v12
	v_pk_add_f16 v12, v0, v8
	v_pk_add_f16 v8, v2, v8
	v_pk_max_f16 v22, v52, v52
	v_pk_max_f16 v71, v71, v71
	v_pk_add_f16 v58, v0, v14
	v_pk_add_f16 v14, v2, v14
	v_pk_max_f16 v56, v56, v56
	v_pk_add_f16 v4, v4, v10
	v_pk_max_f16 v51, v51, v51
	;; [unrolled: 2-line block ×3, first 2 shown]
	v_pk_min_f16 v137, v22, v8
	v_pk_add_f16 v8, v7, v37
	v_pk_min_f16 v106, v106, v128
	v_pk_max_f16 v86, v86, v86
	v_pk_max_f16 v73, v73, v73
	v_pk_min_f16 v81, v71, v81
	v_pk_max_f16 v67, v67, v67
	v_pk_min_f16 v133, v56, v14
	v_pk_max_f16 v14, v53, v53
	v_pk_add_f16 v0, v0, v10
	v_pk_min_f16 v138, v51, v4
	v_pk_min_f16 v139, v50, v6
	v_pk_add_f16 v2, v2, v10
	v_pk_max_f16 v4, v48, v48
	v_pk_add_f16 v6, v5, v37
	v_pk_add_f16 v10, v1, v37
	v_pk_min_f16 v71, v122, v8
	v_pk_add_f16 v8, v1, v39
	v_pk_max_f16 v100, v100, v100
	v_pk_min_f16 v86, v86, v101
	v_pk_min_f16 v93, v73, v74
	;; [unrolled: 1-line block ×3, first 2 shown]
	v_pk_max_f16 v62, v62, v62
	v_pk_min_f16 v136, v14, v12
	v_pk_add_f16 v12, v3, v37
	v_pk_min_f16 v2, v4, v2
	v_pk_min_f16 v73, v123, v6
	v_pk_min_f16 v70, v121, v10
	v_pk_add_f16 v4, v5, v39
	v_pk_add_f16 v6, v7, v39
	;; [unrolled: 1-line block ×3, first 2 shown]
	v_pk_min_f16 v68, v106, v8
	v_pk_add_f16 v8, v3, v33
	v_pk_min_f16 v100, v100, v127
	v_pk_max_f16 v61, v61, v61
	v_pk_min_f16 v127, v62, v64
	v_pk_max_f16 v55, v55, v55
	v_pk_max_f16 v54, v54, v54
	v_pk_min_f16 v69, v36, v12
	v_pk_add_f16 v12, v5, v33
	v_pk_min_f16 v74, v111, v4
	v_pk_min_f16 v72, v107, v6
	;; [unrolled: 1-line block ×3, first 2 shown]
	v_pk_add_f16 v4, v7, v33
	v_pk_add_f16 v6, v1, v33
	;; [unrolled: 1-line block ×3, first 2 shown]
	v_pk_min_f16 v64, v32, v8
	v_pk_add_f16 v8, v5, v29
	v_pk_min_f16 v128, v61, v65
	v_pk_max_f16 v57, v57, v57
	v_pk_min_f16 v134, v55, v59
	v_pk_min_f16 v135, v54, v60
	;; [unrolled: 1-line block ×3, first 2 shown]
	v_pk_add_f16 v12, v7, v35
	v_pk_min_f16 v67, v103, v4
	v_pk_min_f16 v65, v102, v6
	;; [unrolled: 1-line block ×3, first 2 shown]
	v_pk_add_f16 v4, v1, v35
	v_pk_add_f16 v6, v3, v35
	v_pk_add_f16 v10, v7, v29
	v_pk_min_f16 v59, v96, v8
	v_pk_add_f16 v8, v7, v31
	v_pk_min_f16 v132, v57, v58
	v_pk_max_f16 v49, v49, v49
	v_pk_min_f16 v55, v99, v12
	v_pk_add_f16 v12, v1, v29
	v_pk_min_f16 v63, v98, v4
	v_pk_min_f16 v61, v34, v6
	;; [unrolled: 1-line block ×3, first 2 shown]
	v_pk_add_f16 v4, v3, v29
	v_pk_add_f16 v6, v5, v31
	;; [unrolled: 1-line block ×3, first 2 shown]
	v_pk_min_f16 v54, v91, v8
	v_pk_add_f16 v8, v1, v25
	v_pk_min_f16 v0, v49, v0
	v_pk_min_f16 v50, v94, v12
	v_pk_add_f16 v12, v3, v31
	v_pk_min_f16 v58, v28, v4
	v_pk_min_f16 v56, v92, v6
	v_pk_min_f16 v52, v90, v10
	v_pk_add_f16 v4, v5, v25
	v_pk_add_f16 v6, v7, v25
	v_pk_add_f16 v10, v3, v25
	v_pk_min_f16 v49, v86, v8
	v_pk_add_f16 v8, v3, v27
	v_pk_min_f16 v37, v30, v12
	v_pk_add_f16 v12, v5, v27
	v_pk_min_f16 v53, v88, v4
	v_pk_min_f16 v51, v87, v6
	v_pk_min_f16 v39, v24, v10
	v_pk_add_f16 v4, v7, v27
	v_pk_add_f16 v6, v1, v27
	v_pk_add_f16 v10, v5, v21
	v_pk_min_f16 v36, v26, v8
	v_pk_add_f16 v8, v5, v23
	;; [unrolled: 10-line block ×5, first 2 shown]
	v_pk_min_f16 v17, v16, v12
	v_pk_add_f16 v12, v5, v13
	v_pk_min_f16 v25, v101, v4
	v_pk_min_f16 v23, v105, v6
	;; [unrolled: 1-line block ×3, first 2 shown]
	v_pk_add_f16 v4, v7, v13
	v_pk_add_f16 v6, v1, v13
	v_pk_add_f16 v10, v5, v15
	v_pk_add_f16 v13, v7, v15
	v_pk_min_f16 v16, v129, v8
	v_pk_add_f16 v8, v3, v15
	v_pk_add_f16 v75, v7, v9
	v_pk_min_f16 v20, v127, v4
	v_pk_min_f16 v18, v128, v6
	;; [unrolled: 1-line block ×4, first 2 shown]
	v_pk_add_f16 v4, v1, v15
	v_pk_add_f16 v10, v5, v9
	;; [unrolled: 1-line block ×3, first 2 shown]
	v_pk_min_f16 v13, v133, v8
	v_pk_min_f16 v8, v135, v75
	v_pk_add_f16 v9, v3, v9
	v_pk_add_f16 v5, v5, v11
	;; [unrolled: 1-line block ×5, first 2 shown]
	v_pk_min_f16 v12, v126, v12
	v_pk_min_f16 v15, v132, v4
	;; [unrolled: 1-line block ×9, first 2 shown]
	s_and_b32 vcc_lo, exec_lo, s3
	s_cbranch_vccz .LBB266_21
; %bb.32:                               ;   in Loop: Header=BB266_23 Depth=1
	v_dual_mov_b32 v0, 0 :: v_dual_mov_b32 v1, 0
	s_branch .LBB266_22
.LBB266_33:
	s_load_b32 s4, s[0:1], 0x50
	v_add_nc_u32_e32 v79, s14, v41
	v_dual_mov_b32 v41, 0 :: v_dual_add_nc_u32 v44, s5, v40
	v_mov_b32_e32 v40, 0
	ds_load_b64 v[36:37], v43 offset:1024
	ds_load_b64 v[46:47], v42 offset:3072
	v_ashrrev_i32_e32 v45, 31, v44
	v_cmp_neq_f16_e64 s10, s18, 0
	s_delay_alu instid0(VALU_DEP_2) | instskip(NEXT) | instid1(VALU_DEP_2)
	v_lshlrev_b64 v[38:39], 1, v[44:45]
	s_and_b32 vcc_lo, exec_lo, s10
	s_waitcnt lgkmcnt(0)
	v_mad_i64_i32 v[0:1], null, v79, s4, 0
	s_delay_alu instid0(VALU_DEP_1) | instskip(NEXT) | instid1(VALU_DEP_1)
	v_lshlrev_b64 v[0:1], 1, v[0:1]
	v_add_co_u32 v108, s3, s8, v0
	s_delay_alu instid0(VALU_DEP_1)
	v_add_co_ci_u32_e64 v109, s3, s9, v1, s3
	s_cbranch_vccz .LBB266_35
; %bb.34:
	s_delay_alu instid0(VALU_DEP_2) | instskip(NEXT) | instid1(VALU_DEP_2)
	v_add_co_u32 v0, vcc_lo, v108, v38
	v_add_co_ci_u32_e32 v1, vcc_lo, v109, v39, vcc_lo
	flat_load_u16 v0, v[0:1]
	s_waitcnt vmcnt(0) lgkmcnt(0)
	v_mul_f16_e32 v41, s18, v0
.LBB266_35:
	s_clause 0x1
	s_load_b64 s[12:13], s[0:1], 0x70
	s_load_b32 s1, s[0:1], 0x68
	v_add_nc_u32_e32 v4, 0x800, v42
	v_pk_add_f16 v5, v36, v46
	v_pk_max_f16 v6, v123, v123
	ds_load_2addr_b64 v[0:3], v43 offset0:160 offset1:192
	ds_load_b64 v[32:33], v43 offset:1792
	ds_load_b64 v[34:35], v42 offset:4032
	ds_load_2addr_b64 v[28:31], v4 offset0:136 offset1:144
	ds_load_2addr_b64 v[24:27], v4 offset0:152 offset1:160
	ds_load_2addr_b64 v[20:23], v4 offset0:168 offset1:176
	ds_load_2addr_b64 v[16:19], v4 offset0:184 offset1:192
	ds_load_2addr_b64 v[12:15], v4 offset0:200 offset1:208
	ds_load_2addr_b64 v[8:11], v4 offset0:216 offset1:224
	v_pk_add_f16 v43, v37, v47
	v_pk_min_f16 v45, v6, v5
	ds_load_2addr_b64 v[4:7], v4 offset0:232 offset1:240
	v_add_nc_u32_e32 v42, 32, v44
	v_cndmask_b32_e64 v115, 0, 1, s10
	v_pk_min_f16 v45, v45, v43
	s_delay_alu instid0(VALU_DEP_3) | instskip(NEXT) | instid1(VALU_DEP_2)
	v_ashrrev_i32_e32 v43, 31, v42
	v_lshrrev_b32_e32 v114, 16, v45
	s_waitcnt lgkmcnt(0)
	s_mul_i32 s0, s15, s13
	v_mad_i64_i32 v[112:113], null, v79, s1, 0
	s_mul_hi_u32 s3, s15, s12
	s_mul_i32 s5, s19, s12
	s_add_i32 s0, s3, s0
	s_mul_i32 s12, s15, s12
	s_add_i32 s13, s0, s5
	v_lshlrev_b64 v[42:43], 1, v[42:43]
	s_delay_alu instid0(VALU_DEP_2)
	v_lshlrev_b64 v[112:113], 1, v[112:113]
	s_lshl_b64 s[12:13], s[12:13], 1
	v_min3_f16 v41, v41, v45, v114
	s_add_u32 s3, s6, s12
	s_addc_u32 s5, s7, s13
	v_cmp_ne_u32_e64 s0, 1, v115
	v_add_co_u32 v110, vcc_lo, s3, v112
	v_add_co_ci_u32_e32 v112, vcc_lo, s5, v113, vcc_lo
	s_delay_alu instid0(VALU_DEP_2) | instskip(NEXT) | instid1(VALU_DEP_2)
	v_add_co_u32 v113, vcc_lo, v110, v38
	v_add_co_ci_u32_e32 v114, vcc_lo, v112, v39, vcc_lo
	s_and_not1_b32 vcc_lo, exec_lo, s10
	global_store_b16 v[113:114], v41, off
	s_cbranch_vccnz .LBB266_37
; %bb.36:
	v_add_co_u32 v40, vcc_lo, v108, v42
	v_add_co_ci_u32_e32 v41, vcc_lo, v109, v43, vcc_lo
	flat_load_u16 v40, v[40:41]
	s_waitcnt vmcnt(0) lgkmcnt(0)
	v_mul_f16_e32 v40, s18, v40
.LBB266_37:
	v_pk_add_f16 v41, v0, v46
	v_pk_max_f16 v45, v122, v122
	v_pk_add_f16 v113, v1, v47
	v_add_nc_u32_e32 v114, 64, v44
	v_add_co_u32 v116, vcc_lo, v110, v42
	s_delay_alu instid0(VALU_DEP_4) | instskip(SKIP_2) | instid1(VALU_DEP_2)
	v_pk_min_f16 v41, v45, v41
	v_add_co_ci_u32_e32 v117, vcc_lo, v112, v43, vcc_lo
	s_and_b32 vcc_lo, exec_lo, s0
	v_pk_min_f16 v41, v41, v113
	v_mov_b32_e32 v113, 0
	v_ashrrev_i32_e32 v115, 31, v114
	s_delay_alu instid0(VALU_DEP_3) | instskip(NEXT) | instid1(VALU_DEP_1)
	v_lshrrev_b32_e32 v45, 16, v41
	v_min3_f16 v118, v40, v41, v45
	s_delay_alu instid0(VALU_DEP_3)
	v_lshlrev_b64 v[40:41], 1, v[114:115]
	v_mov_b32_e32 v45, 0
	global_store_b16 v[116:117], v118, off
	s_cbranch_vccnz .LBB266_39
; %bb.38:
	v_add_co_u32 v114, vcc_lo, v108, v40
	v_add_co_ci_u32_e32 v115, vcc_lo, v109, v41, vcc_lo
	flat_load_u16 v45, v[114:115]
	s_waitcnt vmcnt(0) lgkmcnt(0)
	v_mul_f16_e32 v45, s18, v45
.LBB266_39:
	v_pk_add_f16 v114, v2, v46
	v_pk_max_f16 v115, v121, v121
	v_pk_add_f16 v116, v3, v47
	s_delay_alu instid0(VALU_DEP_2) | instskip(SKIP_1) | instid1(VALU_DEP_2)
	v_pk_min_f16 v115, v115, v114
	v_add_nc_u32_e32 v114, 0x60, v44
	v_pk_min_f16 v44, v115, v116
	s_delay_alu instid0(VALU_DEP_2) | instskip(SKIP_2) | instid1(VALU_DEP_4)
	v_ashrrev_i32_e32 v115, 31, v114
	v_add_co_u32 v116, vcc_lo, v110, v40
	v_add_co_ci_u32_e32 v117, vcc_lo, v112, v41, vcc_lo
	v_lshrrev_b32_e32 v118, 16, v44
	s_and_b32 vcc_lo, exec_lo, s0
	s_delay_alu instid0(VALU_DEP_1)
	v_min3_f16 v118, v45, v44, v118
	v_lshlrev_b64 v[44:45], 1, v[114:115]
	global_store_b16 v[116:117], v118, off
	s_cbranch_vccnz .LBB266_41
; %bb.40:
	v_add_co_u32 v108, vcc_lo, v108, v44
	v_add_co_ci_u32_e32 v109, vcc_lo, v109, v45, vcc_lo
	flat_load_u16 v108, v[108:109]
	s_waitcnt vmcnt(0) lgkmcnt(0)
	v_mul_f16_e32 v113, s18, v108
.LBB266_41:
	v_add_nc_u32_e32 v108, 8, v79
	v_pk_add_f16 v46, v32, v46
	v_pk_max_f16 v109, v120, v120
	v_pk_add_f16 v47, v33, v47
	s_delay_alu instid0(VALU_DEP_4) | instskip(NEXT) | instid1(VALU_DEP_3)
	v_mad_i64_i32 v[114:115], null, v108, s4, 0
	v_pk_min_f16 v46, v109, v46
	s_delay_alu instid0(VALU_DEP_1) | instskip(NEXT) | instid1(VALU_DEP_3)
	v_pk_min_f16 v109, v46, v47
	v_lshlrev_b64 v[46:47], 1, v[114:115]
	v_add_co_u32 v114, vcc_lo, v110, v44
	v_add_co_ci_u32_e32 v115, vcc_lo, v112, v45, vcc_lo
	s_delay_alu instid0(VALU_DEP_4) | instskip(NEXT) | instid1(VALU_DEP_4)
	v_lshrrev_b32_e32 v110, 16, v109
	v_add_co_u32 v46, vcc_lo, s8, v46
	v_add_co_ci_u32_e32 v47, vcc_lo, s9, v47, vcc_lo
	s_delay_alu instid0(VALU_DEP_3)
	v_min3_f16 v109, v113, v109, v110
	v_mov_b32_e32 v110, 0
	v_mov_b32_e32 v112, 0
	s_and_b32 vcc_lo, exec_lo, s0
	global_store_b16 v[114:115], v109, off
	s_cbranch_vccnz .LBB266_43
; %bb.42:
	v_add_co_u32 v112, vcc_lo, v46, v38
	v_add_co_ci_u32_e32 v113, vcc_lo, v47, v39, vcc_lo
	flat_load_u16 v109, v[112:113]
	s_waitcnt vmcnt(0) lgkmcnt(0)
	v_mul_f16_e32 v112, s18, v109
.LBB266_43:
	v_pk_add_f16 v109, v36, v28
	v_pk_max_f16 v111, v111, v111
	v_mad_i64_i32 v[113:114], null, v108, s1, 0
	v_pk_add_f16 v108, v37, v29
	s_delay_alu instid0(VALU_DEP_3) | instskip(NEXT) | instid1(VALU_DEP_1)
	v_pk_min_f16 v109, v111, v109
	v_pk_min_f16 v111, v109, v108
	s_delay_alu instid0(VALU_DEP_4) | instskip(NEXT) | instid1(VALU_DEP_2)
	v_lshlrev_b64 v[108:109], 1, v[113:114]
	v_lshrrev_b32_e32 v113, 16, v111
	s_delay_alu instid0(VALU_DEP_2) | instskip(NEXT) | instid1(VALU_DEP_3)
	v_add_co_u32 v108, vcc_lo, s3, v108
	v_add_co_ci_u32_e32 v109, vcc_lo, s5, v109, vcc_lo
	s_delay_alu instid0(VALU_DEP_3) | instskip(NEXT) | instid1(VALU_DEP_3)
	v_min3_f16 v113, v112, v111, v113
	v_add_co_u32 v111, vcc_lo, v108, v38
	s_delay_alu instid0(VALU_DEP_3)
	v_add_co_ci_u32_e32 v112, vcc_lo, v109, v39, vcc_lo
	s_and_b32 vcc_lo, exec_lo, s0
	global_store_b16 v[111:112], v113, off
	s_cbranch_vccnz .LBB266_45
; %bb.44:
	v_add_co_u32 v110, vcc_lo, v46, v42
	v_add_co_ci_u32_e32 v111, vcc_lo, v47, v43, vcc_lo
	flat_load_u16 v110, v[110:111]
	s_waitcnt vmcnt(0) lgkmcnt(0)
	v_mul_f16_e32 v110, s18, v110
.LBB266_45:
	v_pk_add_f16 v111, v0, v28
	v_pk_max_f16 v107, v107, v107
	v_pk_add_f16 v112, v1, v29
	s_delay_alu instid0(VALU_DEP_2) | instskip(SKIP_1) | instid1(VALU_DEP_2)
	v_pk_min_f16 v107, v107, v111
	v_add_co_u32 v111, vcc_lo, v108, v42
	v_pk_min_f16 v107, v107, v112
	v_add_co_ci_u32_e32 v112, vcc_lo, v109, v43, vcc_lo
	s_and_b32 vcc_lo, exec_lo, s0
	s_delay_alu instid0(VALU_DEP_2) | instskip(NEXT) | instid1(VALU_DEP_1)
	v_lshrrev_b32_e32 v113, 16, v107
	v_min3_f16 v113, v110, v107, v113
	v_dual_mov_b32 v107, 0 :: v_dual_mov_b32 v110, 0
	global_store_b16 v[111:112], v113, off
	s_cbranch_vccnz .LBB266_47
; %bb.46:
	v_add_co_u32 v110, vcc_lo, v46, v40
	v_add_co_ci_u32_e32 v111, vcc_lo, v47, v41, vcc_lo
	flat_load_u16 v110, v[110:111]
	s_waitcnt vmcnt(0) lgkmcnt(0)
	v_mul_f16_e32 v110, s18, v110
.LBB266_47:
	v_pk_add_f16 v111, v2, v28
	v_pk_max_f16 v106, v106, v106
	v_pk_add_f16 v112, v3, v29
	s_delay_alu instid0(VALU_DEP_2) | instskip(NEXT) | instid1(VALU_DEP_1)
	v_pk_min_f16 v106, v106, v111
	v_pk_min_f16 v106, v106, v112
	s_delay_alu instid0(VALU_DEP_1) | instskip(NEXT) | instid1(VALU_DEP_1)
	v_lshrrev_b32_e32 v111, 16, v106
	v_min3_f16 v106, v110, v106, v111
	v_add_co_u32 v110, vcc_lo, v108, v40
	v_add_co_ci_u32_e32 v111, vcc_lo, v109, v41, vcc_lo
	s_and_b32 vcc_lo, exec_lo, s0
	global_store_b16 v[110:111], v106, off
	s_cbranch_vccnz .LBB266_49
; %bb.48:
	v_add_co_u32 v46, vcc_lo, v46, v44
	v_add_co_ci_u32_e32 v47, vcc_lo, v47, v45, vcc_lo
	flat_load_u16 v46, v[46:47]
	s_waitcnt vmcnt(0) lgkmcnt(0)
	v_mul_f16_e32 v107, s18, v46
.LBB266_49:
	v_add_nc_u32_e32 v46, 16, v79
	v_pk_add_f16 v28, v32, v28
	v_pk_max_f16 v47, v105, v105
	v_pk_add_f16 v29, v33, v29
	v_add_co_u32 v108, vcc_lo, v108, v44
	v_mad_i64_i32 v[105:106], null, v46, s4, 0
	s_delay_alu instid0(VALU_DEP_4) | instskip(SKIP_1) | instid1(VALU_DEP_2)
	v_pk_min_f16 v28, v47, v28
	v_add_co_ci_u32_e32 v109, vcc_lo, v109, v45, vcc_lo
	v_pk_min_f16 v47, v28, v29
	s_delay_alu instid0(VALU_DEP_4) | instskip(SKIP_1) | instid1(VALU_DEP_3)
	v_lshlrev_b64 v[28:29], 1, v[105:106]
	v_mov_b32_e32 v106, 0
	v_lshrrev_b32_e32 v105, 16, v47
	s_delay_alu instid0(VALU_DEP_3) | instskip(NEXT) | instid1(VALU_DEP_4)
	v_add_co_u32 v28, vcc_lo, s8, v28
	v_add_co_ci_u32_e32 v29, vcc_lo, s9, v29, vcc_lo
	s_delay_alu instid0(VALU_DEP_3)
	v_min3_f16 v47, v107, v47, v105
	v_mov_b32_e32 v105, 0
	s_and_b32 vcc_lo, exec_lo, s0
	global_store_b16 v[108:109], v47, off
	s_cbranch_vccnz .LBB266_51
; %bb.50:
	v_add_co_u32 v106, vcc_lo, v28, v38
	v_add_co_ci_u32_e32 v107, vcc_lo, v29, v39, vcc_lo
	flat_load_u16 v47, v[106:107]
	s_waitcnt vmcnt(0) lgkmcnt(0)
	v_mul_f16_e32 v106, s18, v47
.LBB266_51:
	v_pk_add_f16 v47, v36, v30
	v_pk_max_f16 v104, v104, v104
	v_mad_i64_i32 v[107:108], null, v46, s1, 0
	v_pk_add_f16 v46, v37, v31
	s_delay_alu instid0(VALU_DEP_3) | instskip(NEXT) | instid1(VALU_DEP_1)
	v_pk_min_f16 v47, v104, v47
	v_pk_min_f16 v104, v47, v46
	s_delay_alu instid0(VALU_DEP_4) | instskip(NEXT) | instid1(VALU_DEP_2)
	v_lshlrev_b64 v[46:47], 1, v[107:108]
	v_lshrrev_b32_e32 v107, 16, v104
	s_delay_alu instid0(VALU_DEP_2) | instskip(NEXT) | instid1(VALU_DEP_3)
	v_add_co_u32 v46, vcc_lo, s3, v46
	v_add_co_ci_u32_e32 v47, vcc_lo, s5, v47, vcc_lo
	s_delay_alu instid0(VALU_DEP_3) | instskip(NEXT) | instid1(VALU_DEP_3)
	v_min3_f16 v104, v106, v104, v107
	v_add_co_u32 v106, vcc_lo, v46, v38
	s_delay_alu instid0(VALU_DEP_3)
	v_add_co_ci_u32_e32 v107, vcc_lo, v47, v39, vcc_lo
	s_and_b32 vcc_lo, exec_lo, s0
	global_store_b16 v[106:107], v104, off
	s_cbranch_vccnz .LBB266_53
; %bb.52:
	v_add_co_u32 v104, vcc_lo, v28, v42
	v_add_co_ci_u32_e32 v105, vcc_lo, v29, v43, vcc_lo
	flat_load_u16 v104, v[104:105]
	s_waitcnt vmcnt(0) lgkmcnt(0)
	v_mul_f16_e32 v105, s18, v104
.LBB266_53:
	v_pk_add_f16 v104, v0, v30
	v_pk_max_f16 v103, v103, v103
	v_pk_add_f16 v106, v1, v31
	s_delay_alu instid0(VALU_DEP_2) | instskip(NEXT) | instid1(VALU_DEP_1)
	v_pk_min_f16 v103, v103, v104
	v_pk_min_f16 v103, v103, v106
	v_add_co_u32 v106, vcc_lo, v46, v42
	v_add_co_ci_u32_e32 v107, vcc_lo, v47, v43, vcc_lo
	s_delay_alu instid0(VALU_DEP_3) | instskip(SKIP_1) | instid1(VALU_DEP_1)
	v_lshrrev_b32_e32 v104, 16, v103
	s_and_b32 vcc_lo, exec_lo, s0
	v_min3_f16 v105, v105, v103, v104
	v_dual_mov_b32 v103, 0 :: v_dual_mov_b32 v104, 0
	global_store_b16 v[106:107], v105, off
	s_cbranch_vccnz .LBB266_55
; %bb.54:
	v_add_co_u32 v104, vcc_lo, v28, v40
	v_add_co_ci_u32_e32 v105, vcc_lo, v29, v41, vcc_lo
	flat_load_u16 v104, v[104:105]
	s_waitcnt vmcnt(0) lgkmcnt(0)
	v_mul_f16_e32 v104, s18, v104
.LBB266_55:
	v_pk_add_f16 v105, v2, v30
	v_pk_max_f16 v102, v102, v102
	v_pk_add_f16 v106, v3, v31
	s_delay_alu instid0(VALU_DEP_2) | instskip(NEXT) | instid1(VALU_DEP_1)
	v_pk_min_f16 v102, v102, v105
	v_pk_min_f16 v102, v102, v106
	s_delay_alu instid0(VALU_DEP_1) | instskip(NEXT) | instid1(VALU_DEP_1)
	v_lshrrev_b32_e32 v105, 16, v102
	v_min3_f16 v102, v104, v102, v105
	v_add_co_u32 v104, vcc_lo, v46, v40
	v_add_co_ci_u32_e32 v105, vcc_lo, v47, v41, vcc_lo
	s_and_b32 vcc_lo, exec_lo, s0
	global_store_b16 v[104:105], v102, off
	s_cbranch_vccnz .LBB266_57
; %bb.56:
	v_add_co_u32 v28, vcc_lo, v28, v44
	v_add_co_ci_u32_e32 v29, vcc_lo, v29, v45, vcc_lo
	flat_load_u16 v28, v[28:29]
	s_waitcnt vmcnt(0) lgkmcnt(0)
	v_mul_f16_e32 v103, s18, v28
.LBB266_57:
	v_pk_add_f16 v30, v32, v30
	v_pk_max_f16 v101, v101, v101
	v_pk_add_f16 v31, v33, v31
	v_add_nc_u32_e32 v102, 24, v79
	s_delay_alu instid0(VALU_DEP_3) | instskip(NEXT) | instid1(VALU_DEP_1)
	v_pk_min_f16 v30, v101, v30
	v_pk_min_f16 v101, v30, v31
	v_add_co_u32 v30, vcc_lo, v46, v44
	v_add_co_ci_u32_e32 v31, vcc_lo, v47, v45, vcc_lo
	v_mov_b32_e32 v47, 0
	v_mad_i64_i32 v[28:29], null, v102, s4, 0
	v_lshrrev_b32_e32 v46, 16, v101
	s_delay_alu instid0(VALU_DEP_1) | instskip(NEXT) | instid1(VALU_DEP_3)
	v_min3_f16 v101, v103, v101, v46
	v_lshlrev_b64 v[28:29], 1, v[28:29]
	v_mov_b32_e32 v46, 0
	global_store_b16 v[30:31], v101, off
	v_add_co_u32 v28, vcc_lo, s8, v28
	v_add_co_ci_u32_e32 v29, vcc_lo, s9, v29, vcc_lo
	s_and_b32 vcc_lo, exec_lo, s0
	s_cbranch_vccnz .LBB266_59
; %bb.58:
	s_delay_alu instid0(VALU_DEP_2) | instskip(NEXT) | instid1(VALU_DEP_2)
	v_add_co_u32 v30, vcc_lo, v28, v38
	v_add_co_ci_u32_e32 v31, vcc_lo, v29, v39, vcc_lo
	flat_load_u16 v30, v[30:31]
	s_waitcnt vmcnt(0) lgkmcnt(0)
	v_mul_f16_e32 v47, s18, v30
.LBB266_59:
	v_pk_add_f16 v101, v36, v24
	v_pk_max_f16 v100, v100, v100
	v_mad_i64_i32 v[30:31], null, v102, s1, 0
	v_pk_add_f16 v102, v37, v25
	s_delay_alu instid0(VALU_DEP_3) | instskip(NEXT) | instid1(VALU_DEP_3)
	v_pk_min_f16 v100, v100, v101
	v_lshlrev_b64 v[30:31], 1, v[30:31]
	s_delay_alu instid0(VALU_DEP_2) | instskip(NEXT) | instid1(VALU_DEP_2)
	v_pk_min_f16 v100, v100, v102
	v_add_co_u32 v30, vcc_lo, s3, v30
	s_delay_alu instid0(VALU_DEP_2) | instskip(NEXT) | instid1(VALU_DEP_4)
	v_lshrrev_b32_e32 v101, 16, v100
	v_add_co_ci_u32_e32 v31, vcc_lo, s5, v31, vcc_lo
	s_delay_alu instid0(VALU_DEP_2) | instskip(NEXT) | instid1(VALU_DEP_4)
	v_min3_f16 v47, v47, v100, v101
	v_add_co_u32 v100, vcc_lo, v30, v38
	s_delay_alu instid0(VALU_DEP_3)
	v_add_co_ci_u32_e32 v101, vcc_lo, v31, v39, vcc_lo
	s_and_b32 vcc_lo, exec_lo, s0
	global_store_b16 v[100:101], v47, off
	s_cbranch_vccnz .LBB266_61
; %bb.60:
	v_add_co_u32 v46, vcc_lo, v28, v42
	v_add_co_ci_u32_e32 v47, vcc_lo, v29, v43, vcc_lo
	flat_load_u16 v46, v[46:47]
	s_waitcnt vmcnt(0) lgkmcnt(0)
	v_mul_f16_e32 v46, s18, v46
.LBB266_61:
	v_pk_add_f16 v47, v0, v24
	v_pk_max_f16 v99, v99, v99
	v_pk_add_f16 v100, v1, v25
	s_delay_alu instid0(VALU_DEP_2) | instskip(SKIP_1) | instid1(VALU_DEP_2)
	v_pk_min_f16 v47, v99, v47
	v_add_co_u32 v99, vcc_lo, v30, v42
	v_pk_min_f16 v47, v47, v100
	v_add_co_ci_u32_e32 v100, vcc_lo, v31, v43, vcc_lo
	s_and_b32 vcc_lo, exec_lo, s0
	s_delay_alu instid0(VALU_DEP_2) | instskip(NEXT) | instid1(VALU_DEP_1)
	v_lshrrev_b32_e32 v101, 16, v47
	v_min3_f16 v101, v46, v47, v101
	v_dual_mov_b32 v46, 0 :: v_dual_mov_b32 v47, 0
	global_store_b16 v[99:100], v101, off
	s_cbranch_vccnz .LBB266_63
; %bb.62:
	v_add_co_u32 v99, vcc_lo, v28, v40
	v_add_co_ci_u32_e32 v100, vcc_lo, v29, v41, vcc_lo
	flat_load_u16 v47, v[99:100]
	s_waitcnt vmcnt(0) lgkmcnt(0)
	v_mul_f16_e32 v47, s18, v47
.LBB266_63:
	v_pk_add_f16 v99, v2, v24
	v_pk_max_f16 v98, v98, v98
	v_pk_add_f16 v100, v3, v25
	s_delay_alu instid0(VALU_DEP_2) | instskip(NEXT) | instid1(VALU_DEP_1)
	v_pk_min_f16 v98, v98, v99
	v_pk_min_f16 v98, v98, v100
	s_delay_alu instid0(VALU_DEP_1) | instskip(NEXT) | instid1(VALU_DEP_1)
	v_lshrrev_b32_e32 v99, 16, v98
	v_min3_f16 v47, v47, v98, v99
	v_add_co_u32 v98, vcc_lo, v30, v40
	v_add_co_ci_u32_e32 v99, vcc_lo, v31, v41, vcc_lo
	s_and_b32 vcc_lo, exec_lo, s0
	global_store_b16 v[98:99], v47, off
	s_cbranch_vccnz .LBB266_65
; %bb.64:
	v_add_co_u32 v28, vcc_lo, v28, v44
	v_add_co_ci_u32_e32 v29, vcc_lo, v29, v45, vcc_lo
	flat_load_u16 v28, v[28:29]
	s_waitcnt vmcnt(0) lgkmcnt(0)
	v_mul_f16_e32 v46, s18, v28
.LBB266_65:
	v_add_nc_u32_e32 v28, 32, v79
	v_pk_add_f16 v24, v32, v24
	v_pk_max_f16 v29, v97, v97
	v_pk_add_f16 v25, v33, v25
	s_delay_alu instid0(VALU_DEP_4) | instskip(NEXT) | instid1(VALU_DEP_3)
	v_mad_i64_i32 v[97:98], null, v28, s4, 0
	v_pk_min_f16 v24, v29, v24
	s_delay_alu instid0(VALU_DEP_1) | instskip(NEXT) | instid1(VALU_DEP_3)
	v_pk_min_f16 v29, v24, v25
	v_lshlrev_b64 v[24:25], 1, v[97:98]
	v_add_co_u32 v97, vcc_lo, v30, v44
	v_add_co_ci_u32_e32 v98, vcc_lo, v31, v45, vcc_lo
	v_mov_b32_e32 v31, 0
	v_lshrrev_b32_e32 v30, 16, v29
	v_add_co_u32 v24, vcc_lo, s8, v24
	v_add_co_ci_u32_e32 v25, vcc_lo, s9, v25, vcc_lo
	s_delay_alu instid0(VALU_DEP_3)
	v_min3_f16 v29, v46, v29, v30
	v_mov_b32_e32 v30, 0
	s_and_b32 vcc_lo, exec_lo, s0
	global_store_b16 v[97:98], v29, off
	s_cbranch_vccnz .LBB266_67
; %bb.66:
	v_add_co_u32 v46, vcc_lo, v24, v38
	v_add_co_ci_u32_e32 v47, vcc_lo, v25, v39, vcc_lo
	flat_load_u16 v29, v[46:47]
	s_waitcnt vmcnt(0) lgkmcnt(0)
	v_mul_f16_e32 v31, s18, v29
.LBB266_67:
	v_pk_add_f16 v29, v36, v26
	v_pk_max_f16 v96, v96, v96
	v_mad_i64_i32 v[46:47], null, v28, s1, 0
	v_pk_add_f16 v28, v37, v27
	s_delay_alu instid0(VALU_DEP_3) | instskip(NEXT) | instid1(VALU_DEP_1)
	v_pk_min_f16 v29, v96, v29
	v_pk_min_f16 v96, v29, v28
	s_delay_alu instid0(VALU_DEP_4) | instskip(NEXT) | instid1(VALU_DEP_2)
	v_lshlrev_b64 v[28:29], 1, v[46:47]
	v_lshrrev_b32_e32 v46, 16, v96
	s_delay_alu instid0(VALU_DEP_2) | instskip(NEXT) | instid1(VALU_DEP_3)
	v_add_co_u32 v28, vcc_lo, s3, v28
	v_add_co_ci_u32_e32 v29, vcc_lo, s5, v29, vcc_lo
	s_delay_alu instid0(VALU_DEP_3) | instskip(NEXT) | instid1(VALU_DEP_3)
	v_min3_f16 v31, v31, v96, v46
	v_add_co_u32 v46, vcc_lo, v28, v38
	s_delay_alu instid0(VALU_DEP_3)
	v_add_co_ci_u32_e32 v47, vcc_lo, v29, v39, vcc_lo
	s_and_b32 vcc_lo, exec_lo, s0
	global_store_b16 v[46:47], v31, off
	s_cbranch_vccnz .LBB266_69
; %bb.68:
	v_add_co_u32 v30, vcc_lo, v24, v42
	v_add_co_ci_u32_e32 v31, vcc_lo, v25, v43, vcc_lo
	flat_load_u16 v30, v[30:31]
	s_waitcnt vmcnt(0) lgkmcnt(0)
	v_mul_f16_e32 v30, s18, v30
.LBB266_69:
	v_pk_add_f16 v31, v0, v26
	v_pk_max_f16 v46, v95, v95
	v_pk_add_f16 v47, v1, v27
	s_delay_alu instid0(VALU_DEP_2) | instskip(SKIP_1) | instid1(VALU_DEP_2)
	v_pk_min_f16 v31, v46, v31
	v_add_co_u32 v46, vcc_lo, v28, v42
	v_pk_min_f16 v31, v31, v47
	v_add_co_ci_u32_e32 v47, vcc_lo, v29, v43, vcc_lo
	s_and_b32 vcc_lo, exec_lo, s0
	s_delay_alu instid0(VALU_DEP_2) | instskip(NEXT) | instid1(VALU_DEP_1)
	v_lshrrev_b32_e32 v95, 16, v31
	v_min3_f16 v95, v30, v31, v95
	v_dual_mov_b32 v30, 0 :: v_dual_mov_b32 v31, 0
	global_store_b16 v[46:47], v95, off
	s_cbranch_vccnz .LBB266_71
; %bb.70:
	v_add_co_u32 v46, vcc_lo, v24, v40
	v_add_co_ci_u32_e32 v47, vcc_lo, v25, v41, vcc_lo
	flat_load_u16 v31, v[46:47]
	s_waitcnt vmcnt(0) lgkmcnt(0)
	v_mul_f16_e32 v31, s18, v31
.LBB266_71:
	v_pk_add_f16 v46, v2, v26
	v_pk_max_f16 v47, v94, v94
	v_pk_add_f16 v94, v3, v27
	s_delay_alu instid0(VALU_DEP_2) | instskip(NEXT) | instid1(VALU_DEP_1)
	v_pk_min_f16 v46, v47, v46
	v_pk_min_f16 v46, v46, v94
	s_delay_alu instid0(VALU_DEP_1) | instskip(NEXT) | instid1(VALU_DEP_1)
	v_lshrrev_b32_e32 v47, 16, v46
	v_min3_f16 v31, v31, v46, v47
	v_add_co_u32 v46, vcc_lo, v28, v40
	v_add_co_ci_u32_e32 v47, vcc_lo, v29, v41, vcc_lo
	s_and_b32 vcc_lo, exec_lo, s0
	global_store_b16 v[46:47], v31, off
	s_cbranch_vccnz .LBB266_73
; %bb.72:
	v_add_co_u32 v24, vcc_lo, v24, v44
	v_add_co_ci_u32_e32 v25, vcc_lo, v25, v45, vcc_lo
	flat_load_u16 v24, v[24:25]
	s_waitcnt vmcnt(0) lgkmcnt(0)
	v_mul_f16_e32 v30, s18, v24
.LBB266_73:
	v_pk_add_f16 v26, v32, v26
	v_pk_max_f16 v46, v93, v93
	v_pk_add_f16 v27, v33, v27
	v_add_nc_u32_e32 v31, 40, v79
	s_delay_alu instid0(VALU_DEP_3) | instskip(NEXT) | instid1(VALU_DEP_1)
	v_pk_min_f16 v26, v46, v26
	v_pk_min_f16 v46, v26, v27
	v_add_co_u32 v26, vcc_lo, v28, v44
	v_add_co_ci_u32_e32 v27, vcc_lo, v29, v45, vcc_lo
	s_delay_alu instid0(VALU_DEP_3) | instskip(SKIP_1) | instid1(VALU_DEP_2)
	v_lshrrev_b32_e32 v28, 16, v46
	v_mov_b32_e32 v29, 0
	v_min3_f16 v30, v30, v46, v28
	v_mov_b32_e32 v28, 0
	v_mad_i64_i32 v[24:25], null, v31, s4, 0
	global_store_b16 v[26:27], v30, off
	v_lshlrev_b64 v[24:25], 1, v[24:25]
	s_delay_alu instid0(VALU_DEP_1) | instskip(NEXT) | instid1(VALU_DEP_2)
	v_add_co_u32 v24, vcc_lo, s8, v24
	v_add_co_ci_u32_e32 v25, vcc_lo, s9, v25, vcc_lo
	s_and_b32 vcc_lo, exec_lo, s0
	s_cbranch_vccnz .LBB266_75
; %bb.74:
	s_delay_alu instid0(VALU_DEP_2) | instskip(NEXT) | instid1(VALU_DEP_2)
	v_add_co_u32 v26, vcc_lo, v24, v38
	v_add_co_ci_u32_e32 v27, vcc_lo, v25, v39, vcc_lo
	flat_load_u16 v26, v[26:27]
	s_waitcnt vmcnt(0) lgkmcnt(0)
	v_mul_f16_e32 v29, s18, v26
.LBB266_75:
	v_pk_add_f16 v30, v36, v20
	v_pk_max_f16 v46, v92, v92
	v_mad_i64_i32 v[26:27], null, v31, s1, 0
	v_pk_add_f16 v31, v37, v21
	s_delay_alu instid0(VALU_DEP_3) | instskip(NEXT) | instid1(VALU_DEP_3)
	v_pk_min_f16 v30, v46, v30
	v_lshlrev_b64 v[26:27], 1, v[26:27]
	s_delay_alu instid0(VALU_DEP_2) | instskip(NEXT) | instid1(VALU_DEP_2)
	v_pk_min_f16 v30, v30, v31
	v_add_co_u32 v26, vcc_lo, s3, v26
	s_delay_alu instid0(VALU_DEP_2) | instskip(NEXT) | instid1(VALU_DEP_4)
	v_lshrrev_b32_e32 v31, 16, v30
	v_add_co_ci_u32_e32 v27, vcc_lo, s5, v27, vcc_lo
	s_delay_alu instid0(VALU_DEP_2) | instskip(NEXT) | instid1(VALU_DEP_4)
	v_min3_f16 v31, v29, v30, v31
	v_add_co_u32 v29, vcc_lo, v26, v38
	s_delay_alu instid0(VALU_DEP_3)
	v_add_co_ci_u32_e32 v30, vcc_lo, v27, v39, vcc_lo
	s_and_b32 vcc_lo, exec_lo, s0
	global_store_b16 v[29:30], v31, off
	s_cbranch_vccnz .LBB266_77
; %bb.76:
	v_add_co_u32 v28, vcc_lo, v24, v42
	v_add_co_ci_u32_e32 v29, vcc_lo, v25, v43, vcc_lo
	flat_load_u16 v28, v[28:29]
	s_waitcnt vmcnt(0) lgkmcnt(0)
	v_mul_f16_e32 v28, s18, v28
.LBB266_77:
	v_pk_add_f16 v29, v0, v20
	v_pk_max_f16 v30, v91, v91
	v_pk_add_f16 v31, v1, v21
	s_delay_alu instid0(VALU_DEP_2) | instskip(SKIP_1) | instid1(VALU_DEP_2)
	v_pk_min_f16 v29, v30, v29
	v_add_co_u32 v30, vcc_lo, v26, v42
	v_pk_min_f16 v29, v29, v31
	v_add_co_ci_u32_e32 v31, vcc_lo, v27, v43, vcc_lo
	s_and_b32 vcc_lo, exec_lo, s0
	s_delay_alu instid0(VALU_DEP_2) | instskip(NEXT) | instid1(VALU_DEP_1)
	v_lshrrev_b32_e32 v46, 16, v29
	v_min3_f16 v46, v28, v29, v46
	v_dual_mov_b32 v28, 0 :: v_dual_mov_b32 v29, 0
	global_store_b16 v[30:31], v46, off
	s_cbranch_vccnz .LBB266_79
; %bb.78:
	v_add_co_u32 v29, vcc_lo, v24, v40
	v_add_co_ci_u32_e32 v30, vcc_lo, v25, v41, vcc_lo
	flat_load_u16 v29, v[29:30]
	s_waitcnt vmcnt(0) lgkmcnt(0)
	v_mul_f16_e32 v29, s18, v29
.LBB266_79:
	v_pk_add_f16 v30, v2, v20
	v_pk_max_f16 v31, v90, v90
	v_pk_add_f16 v46, v3, v21
	s_delay_alu instid0(VALU_DEP_2) | instskip(NEXT) | instid1(VALU_DEP_1)
	v_pk_min_f16 v30, v31, v30
	v_pk_min_f16 v30, v30, v46
	s_delay_alu instid0(VALU_DEP_1) | instskip(NEXT) | instid1(VALU_DEP_1)
	v_lshrrev_b32_e32 v31, 16, v30
	v_min3_f16 v31, v29, v30, v31
	v_add_co_u32 v29, vcc_lo, v26, v40
	v_add_co_ci_u32_e32 v30, vcc_lo, v27, v41, vcc_lo
	s_and_b32 vcc_lo, exec_lo, s0
	global_store_b16 v[29:30], v31, off
	s_cbranch_vccnz .LBB266_81
; %bb.80:
	v_add_co_u32 v24, vcc_lo, v24, v44
	v_add_co_ci_u32_e32 v25, vcc_lo, v25, v45, vcc_lo
	flat_load_u16 v24, v[24:25]
	s_waitcnt vmcnt(0) lgkmcnt(0)
	v_mul_f16_e32 v28, s18, v24
.LBB266_81:
	v_add_nc_u32_e32 v24, 48, v79
	v_pk_add_f16 v20, v32, v20
	v_pk_max_f16 v25, v89, v89
	v_pk_add_f16 v21, v33, v21
	s_delay_alu instid0(VALU_DEP_4) | instskip(NEXT) | instid1(VALU_DEP_3)
	v_mad_i64_i32 v[29:30], null, v24, s4, 0
	v_pk_min_f16 v20, v25, v20
	s_delay_alu instid0(VALU_DEP_1) | instskip(NEXT) | instid1(VALU_DEP_3)
	v_pk_min_f16 v25, v20, v21
	v_lshlrev_b64 v[20:21], 1, v[29:30]
	v_add_co_u32 v29, vcc_lo, v26, v44
	v_add_co_ci_u32_e32 v30, vcc_lo, v27, v45, vcc_lo
	v_mov_b32_e32 v27, 0
	v_lshrrev_b32_e32 v26, 16, v25
	v_add_co_u32 v20, vcc_lo, s8, v20
	v_add_co_ci_u32_e32 v21, vcc_lo, s9, v21, vcc_lo
	s_delay_alu instid0(VALU_DEP_3)
	v_min3_f16 v25, v28, v25, v26
	v_mov_b32_e32 v26, 0
	s_and_b32 vcc_lo, exec_lo, s0
	global_store_b16 v[29:30], v25, off
	s_cbranch_vccnz .LBB266_83
; %bb.82:
	v_add_co_u32 v27, vcc_lo, v20, v38
	v_add_co_ci_u32_e32 v28, vcc_lo, v21, v39, vcc_lo
	flat_load_u16 v25, v[27:28]
	s_waitcnt vmcnt(0) lgkmcnt(0)
	v_mul_f16_e32 v27, s18, v25
.LBB266_83:
	v_pk_add_f16 v25, v36, v22
	v_pk_max_f16 v30, v88, v88
	v_mad_i64_i32 v[28:29], null, v24, s1, 0
	v_pk_add_f16 v24, v37, v23
	s_delay_alu instid0(VALU_DEP_3) | instskip(NEXT) | instid1(VALU_DEP_1)
	v_pk_min_f16 v25, v30, v25
	v_pk_min_f16 v30, v25, v24
	s_delay_alu instid0(VALU_DEP_4) | instskip(NEXT) | instid1(VALU_DEP_2)
	v_lshlrev_b64 v[24:25], 1, v[28:29]
	v_lshrrev_b32_e32 v28, 16, v30
	s_delay_alu instid0(VALU_DEP_2) | instskip(NEXT) | instid1(VALU_DEP_3)
	v_add_co_u32 v24, vcc_lo, s3, v24
	v_add_co_ci_u32_e32 v25, vcc_lo, s5, v25, vcc_lo
	s_delay_alu instid0(VALU_DEP_3) | instskip(NEXT) | instid1(VALU_DEP_3)
	v_min3_f16 v29, v27, v30, v28
	v_add_co_u32 v27, vcc_lo, v24, v38
	s_delay_alu instid0(VALU_DEP_3)
	v_add_co_ci_u32_e32 v28, vcc_lo, v25, v39, vcc_lo
	s_and_b32 vcc_lo, exec_lo, s0
	global_store_b16 v[27:28], v29, off
	s_cbranch_vccnz .LBB266_85
; %bb.84:
	v_add_co_u32 v26, vcc_lo, v20, v42
	v_add_co_ci_u32_e32 v27, vcc_lo, v21, v43, vcc_lo
	flat_load_u16 v26, v[26:27]
	s_waitcnt vmcnt(0) lgkmcnt(0)
	v_mul_f16_e32 v26, s18, v26
.LBB266_85:
	v_pk_add_f16 v27, v0, v22
	v_pk_max_f16 v28, v87, v87
	v_pk_add_f16 v29, v1, v23
	s_delay_alu instid0(VALU_DEP_2) | instskip(SKIP_1) | instid1(VALU_DEP_2)
	v_pk_min_f16 v27, v28, v27
	v_add_co_u32 v28, vcc_lo, v24, v42
	v_pk_min_f16 v27, v27, v29
	v_add_co_ci_u32_e32 v29, vcc_lo, v25, v43, vcc_lo
	s_and_b32 vcc_lo, exec_lo, s0
	s_delay_alu instid0(VALU_DEP_2) | instskip(NEXT) | instid1(VALU_DEP_1)
	v_lshrrev_b32_e32 v30, 16, v27
	v_min3_f16 v30, v26, v27, v30
	v_dual_mov_b32 v26, 0 :: v_dual_mov_b32 v27, 0
	global_store_b16 v[28:29], v30, off
	s_cbranch_vccnz .LBB266_87
; %bb.86:
	v_add_co_u32 v27, vcc_lo, v20, v40
	v_add_co_ci_u32_e32 v28, vcc_lo, v21, v41, vcc_lo
	flat_load_u16 v27, v[27:28]
	s_waitcnt vmcnt(0) lgkmcnt(0)
	v_mul_f16_e32 v27, s18, v27
.LBB266_87:
	v_pk_add_f16 v28, v2, v22
	v_pk_max_f16 v29, v86, v86
	v_pk_add_f16 v30, v3, v23
	s_delay_alu instid0(VALU_DEP_2) | instskip(NEXT) | instid1(VALU_DEP_1)
	v_pk_min_f16 v28, v29, v28
	v_pk_min_f16 v28, v28, v30
	s_delay_alu instid0(VALU_DEP_1) | instskip(NEXT) | instid1(VALU_DEP_1)
	v_lshrrev_b32_e32 v29, 16, v28
	v_min3_f16 v29, v27, v28, v29
	v_add_co_u32 v27, vcc_lo, v24, v40
	v_add_co_ci_u32_e32 v28, vcc_lo, v25, v41, vcc_lo
	s_and_b32 vcc_lo, exec_lo, s0
	global_store_b16 v[27:28], v29, off
	s_cbranch_vccnz .LBB266_89
; %bb.88:
	v_add_co_u32 v20, vcc_lo, v20, v44
	v_add_co_ci_u32_e32 v21, vcc_lo, v21, v45, vcc_lo
	flat_load_u16 v20, v[20:21]
	s_waitcnt vmcnt(0) lgkmcnt(0)
	v_mul_f16_e32 v26, s18, v20
.LBB266_89:
	v_pk_add_f16 v22, v32, v22
	v_pk_max_f16 v28, v85, v85
	v_pk_add_f16 v23, v33, v23
	v_add_nc_u32_e32 v27, 56, v79
	s_delay_alu instid0(VALU_DEP_3) | instskip(NEXT) | instid1(VALU_DEP_1)
	v_pk_min_f16 v22, v28, v22
	v_pk_min_f16 v28, v22, v23
	v_add_co_u32 v22, vcc_lo, v24, v44
	v_add_co_ci_u32_e32 v23, vcc_lo, v25, v45, vcc_lo
	s_delay_alu instid0(VALU_DEP_3) | instskip(SKIP_1) | instid1(VALU_DEP_2)
	v_lshrrev_b32_e32 v24, 16, v28
	v_mov_b32_e32 v25, 0
	v_min3_f16 v26, v26, v28, v24
	v_mov_b32_e32 v24, 0
	v_mad_i64_i32 v[20:21], null, v27, s4, 0
	global_store_b16 v[22:23], v26, off
	v_lshlrev_b64 v[20:21], 1, v[20:21]
	s_delay_alu instid0(VALU_DEP_1) | instskip(NEXT) | instid1(VALU_DEP_2)
	v_add_co_u32 v20, vcc_lo, s8, v20
	v_add_co_ci_u32_e32 v21, vcc_lo, s9, v21, vcc_lo
	s_and_b32 vcc_lo, exec_lo, s0
	s_cbranch_vccnz .LBB266_91
; %bb.90:
	s_delay_alu instid0(VALU_DEP_2) | instskip(NEXT) | instid1(VALU_DEP_2)
	v_add_co_u32 v22, vcc_lo, v20, v38
	v_add_co_ci_u32_e32 v23, vcc_lo, v21, v39, vcc_lo
	flat_load_u16 v22, v[22:23]
	s_waitcnt vmcnt(0) lgkmcnt(0)
	v_mul_f16_e32 v25, s18, v22
.LBB266_91:
	v_pk_add_f16 v26, v36, v16
	v_pk_max_f16 v28, v84, v84
	v_mad_i64_i32 v[22:23], null, v27, s1, 0
	v_pk_add_f16 v27, v37, v17
	s_delay_alu instid0(VALU_DEP_3) | instskip(NEXT) | instid1(VALU_DEP_3)
	v_pk_min_f16 v26, v28, v26
	v_lshlrev_b64 v[22:23], 1, v[22:23]
	s_delay_alu instid0(VALU_DEP_2) | instskip(NEXT) | instid1(VALU_DEP_2)
	v_pk_min_f16 v26, v26, v27
	v_add_co_u32 v22, vcc_lo, s3, v22
	s_delay_alu instid0(VALU_DEP_2) | instskip(NEXT) | instid1(VALU_DEP_4)
	v_lshrrev_b32_e32 v27, 16, v26
	v_add_co_ci_u32_e32 v23, vcc_lo, s5, v23, vcc_lo
	s_delay_alu instid0(VALU_DEP_2) | instskip(NEXT) | instid1(VALU_DEP_4)
	v_min3_f16 v27, v25, v26, v27
	v_add_co_u32 v25, vcc_lo, v22, v38
	s_delay_alu instid0(VALU_DEP_3)
	v_add_co_ci_u32_e32 v26, vcc_lo, v23, v39, vcc_lo
	s_and_b32 vcc_lo, exec_lo, s0
	global_store_b16 v[25:26], v27, off
	s_cbranch_vccnz .LBB266_93
; %bb.92:
	v_add_co_u32 v24, vcc_lo, v20, v42
	v_add_co_ci_u32_e32 v25, vcc_lo, v21, v43, vcc_lo
	flat_load_u16 v24, v[24:25]
	s_waitcnt vmcnt(0) lgkmcnt(0)
	v_mul_f16_e32 v24, s18, v24
.LBB266_93:
	v_pk_add_f16 v25, v0, v16
	v_pk_max_f16 v26, v82, v82
	v_pk_add_f16 v27, v1, v17
	s_delay_alu instid0(VALU_DEP_2) | instskip(SKIP_1) | instid1(VALU_DEP_2)
	v_pk_min_f16 v25, v26, v25
	v_add_co_u32 v26, vcc_lo, v22, v42
	v_pk_min_f16 v25, v25, v27
	v_add_co_ci_u32_e32 v27, vcc_lo, v23, v43, vcc_lo
	s_and_b32 vcc_lo, exec_lo, s0
	s_delay_alu instid0(VALU_DEP_2) | instskip(NEXT) | instid1(VALU_DEP_1)
	v_lshrrev_b32_e32 v28, 16, v25
	v_min3_f16 v28, v24, v25, v28
	v_dual_mov_b32 v24, 0 :: v_dual_mov_b32 v25, 0
	global_store_b16 v[26:27], v28, off
	s_cbranch_vccnz .LBB266_95
; %bb.94:
	v_add_co_u32 v25, vcc_lo, v20, v40
	v_add_co_ci_u32_e32 v26, vcc_lo, v21, v41, vcc_lo
	flat_load_u16 v25, v[25:26]
	s_waitcnt vmcnt(0) lgkmcnt(0)
	v_mul_f16_e32 v25, s18, v25
.LBB266_95:
	v_pk_add_f16 v26, v2, v16
	v_pk_max_f16 v27, v83, v83
	v_pk_add_f16 v28, v3, v17
	s_delay_alu instid0(VALU_DEP_2) | instskip(NEXT) | instid1(VALU_DEP_1)
	v_pk_min_f16 v26, v27, v26
	v_pk_min_f16 v26, v26, v28
	s_delay_alu instid0(VALU_DEP_1) | instskip(NEXT) | instid1(VALU_DEP_1)
	v_lshrrev_b32_e32 v27, 16, v26
	v_min3_f16 v27, v25, v26, v27
	v_add_co_u32 v25, vcc_lo, v22, v40
	v_add_co_ci_u32_e32 v26, vcc_lo, v23, v41, vcc_lo
	s_and_b32 vcc_lo, exec_lo, s0
	global_store_b16 v[25:26], v27, off
	s_cbranch_vccnz .LBB266_97
; %bb.96:
	v_add_co_u32 v20, vcc_lo, v20, v44
	v_add_co_ci_u32_e32 v21, vcc_lo, v21, v45, vcc_lo
	flat_load_u16 v20, v[20:21]
	s_waitcnt vmcnt(0) lgkmcnt(0)
	v_mul_f16_e32 v24, s18, v20
.LBB266_97:
	v_add_nc_u32_e32 v20, 64, v79
	v_pk_add_f16 v16, v32, v16
	v_pk_max_f16 v21, v81, v81
	v_pk_add_f16 v17, v33, v17
	s_delay_alu instid0(VALU_DEP_4) | instskip(NEXT) | instid1(VALU_DEP_3)
	v_mad_i64_i32 v[25:26], null, v20, s4, 0
	v_pk_min_f16 v16, v21, v16
	s_delay_alu instid0(VALU_DEP_1) | instskip(NEXT) | instid1(VALU_DEP_3)
	v_pk_min_f16 v21, v16, v17
	v_lshlrev_b64 v[16:17], 1, v[25:26]
	v_add_co_u32 v25, vcc_lo, v22, v44
	v_add_co_ci_u32_e32 v26, vcc_lo, v23, v45, vcc_lo
	v_mov_b32_e32 v23, 0
	v_lshrrev_b32_e32 v22, 16, v21
	v_add_co_u32 v16, vcc_lo, s8, v16
	v_add_co_ci_u32_e32 v17, vcc_lo, s9, v17, vcc_lo
	s_delay_alu instid0(VALU_DEP_3)
	v_min3_f16 v21, v24, v21, v22
	v_mov_b32_e32 v22, 0
	s_and_b32 vcc_lo, exec_lo, s0
	global_store_b16 v[25:26], v21, off
	s_cbranch_vccnz .LBB266_99
; %bb.98:
	v_add_co_u32 v23, vcc_lo, v16, v38
	v_add_co_ci_u32_e32 v24, vcc_lo, v17, v39, vcc_lo
	flat_load_u16 v21, v[23:24]
	s_waitcnt vmcnt(0) lgkmcnt(0)
	v_mul_f16_e32 v23, s18, v21
.LBB266_99:
	v_pk_add_f16 v21, v36, v18
	v_pk_max_f16 v26, v80, v80
	v_mad_i64_i32 v[24:25], null, v20, s1, 0
	v_pk_add_f16 v20, v37, v19
	s_delay_alu instid0(VALU_DEP_3) | instskip(NEXT) | instid1(VALU_DEP_1)
	v_pk_min_f16 v21, v26, v21
	v_pk_min_f16 v26, v21, v20
	s_delay_alu instid0(VALU_DEP_4) | instskip(NEXT) | instid1(VALU_DEP_2)
	v_lshlrev_b64 v[20:21], 1, v[24:25]
	v_lshrrev_b32_e32 v24, 16, v26
	s_delay_alu instid0(VALU_DEP_2) | instskip(NEXT) | instid1(VALU_DEP_3)
	v_add_co_u32 v20, vcc_lo, s3, v20
	v_add_co_ci_u32_e32 v21, vcc_lo, s5, v21, vcc_lo
	s_delay_alu instid0(VALU_DEP_3) | instskip(NEXT) | instid1(VALU_DEP_3)
	v_min3_f16 v25, v23, v26, v24
	v_add_co_u32 v23, vcc_lo, v20, v38
	s_delay_alu instid0(VALU_DEP_3)
	v_add_co_ci_u32_e32 v24, vcc_lo, v21, v39, vcc_lo
	s_and_b32 vcc_lo, exec_lo, s0
	global_store_b16 v[23:24], v25, off
	s_cbranch_vccnz .LBB266_101
; %bb.100:
	v_add_co_u32 v22, vcc_lo, v16, v42
	v_add_co_ci_u32_e32 v23, vcc_lo, v17, v43, vcc_lo
	flat_load_u16 v22, v[22:23]
	s_waitcnt vmcnt(0) lgkmcnt(0)
	v_mul_f16_e32 v22, s18, v22
.LBB266_101:
	v_pk_add_f16 v23, v0, v18
	v_pk_max_f16 v24, v78, v78
	v_pk_add_f16 v25, v1, v19
	s_delay_alu instid0(VALU_DEP_2) | instskip(SKIP_1) | instid1(VALU_DEP_2)
	v_pk_min_f16 v23, v24, v23
	v_add_co_u32 v24, vcc_lo, v20, v42
	v_pk_min_f16 v23, v23, v25
	v_add_co_ci_u32_e32 v25, vcc_lo, v21, v43, vcc_lo
	s_and_b32 vcc_lo, exec_lo, s0
	s_delay_alu instid0(VALU_DEP_2) | instskip(NEXT) | instid1(VALU_DEP_1)
	v_lshrrev_b32_e32 v26, 16, v23
	v_min3_f16 v26, v22, v23, v26
	v_dual_mov_b32 v22, 0 :: v_dual_mov_b32 v23, 0
	global_store_b16 v[24:25], v26, off
	s_cbranch_vccnz .LBB266_103
; %bb.102:
	v_add_co_u32 v23, vcc_lo, v16, v40
	v_add_co_ci_u32_e32 v24, vcc_lo, v17, v41, vcc_lo
	flat_load_u16 v23, v[23:24]
	s_waitcnt vmcnt(0) lgkmcnt(0)
	v_mul_f16_e32 v23, s18, v23
.LBB266_103:
	v_pk_add_f16 v24, v2, v18
	v_pk_max_f16 v25, v77, v77
	v_pk_add_f16 v26, v3, v19
	s_delay_alu instid0(VALU_DEP_2) | instskip(NEXT) | instid1(VALU_DEP_1)
	v_pk_min_f16 v24, v25, v24
	v_pk_min_f16 v24, v24, v26
	s_delay_alu instid0(VALU_DEP_1) | instskip(NEXT) | instid1(VALU_DEP_1)
	v_lshrrev_b32_e32 v25, 16, v24
	v_min3_f16 v25, v23, v24, v25
	v_add_co_u32 v23, vcc_lo, v20, v40
	v_add_co_ci_u32_e32 v24, vcc_lo, v21, v41, vcc_lo
	s_and_b32 vcc_lo, exec_lo, s0
	global_store_b16 v[23:24], v25, off
	s_cbranch_vccnz .LBB266_105
; %bb.104:
	v_add_co_u32 v16, vcc_lo, v16, v44
	v_add_co_ci_u32_e32 v17, vcc_lo, v17, v45, vcc_lo
	flat_load_u16 v16, v[16:17]
	s_waitcnt vmcnt(0) lgkmcnt(0)
	v_mul_f16_e32 v22, s18, v16
.LBB266_105:
	v_pk_add_f16 v18, v32, v18
	v_pk_max_f16 v24, v76, v76
	v_pk_add_f16 v19, v33, v19
	v_add_nc_u32_e32 v23, 0x48, v79
	s_delay_alu instid0(VALU_DEP_3) | instskip(NEXT) | instid1(VALU_DEP_1)
	v_pk_min_f16 v18, v24, v18
	v_pk_min_f16 v24, v18, v19
	v_add_co_u32 v18, vcc_lo, v20, v44
	v_add_co_ci_u32_e32 v19, vcc_lo, v21, v45, vcc_lo
	s_delay_alu instid0(VALU_DEP_3) | instskip(SKIP_1) | instid1(VALU_DEP_2)
	v_lshrrev_b32_e32 v20, 16, v24
	v_mov_b32_e32 v21, 0
	v_min3_f16 v22, v22, v24, v20
	v_mov_b32_e32 v20, 0
	v_mad_i64_i32 v[16:17], null, v23, s4, 0
	global_store_b16 v[18:19], v22, off
	v_lshlrev_b64 v[16:17], 1, v[16:17]
	s_delay_alu instid0(VALU_DEP_1) | instskip(NEXT) | instid1(VALU_DEP_2)
	v_add_co_u32 v16, vcc_lo, s8, v16
	v_add_co_ci_u32_e32 v17, vcc_lo, s9, v17, vcc_lo
	s_and_b32 vcc_lo, exec_lo, s0
	s_cbranch_vccnz .LBB266_107
; %bb.106:
	s_delay_alu instid0(VALU_DEP_2) | instskip(NEXT) | instid1(VALU_DEP_2)
	v_add_co_u32 v18, vcc_lo, v16, v38
	v_add_co_ci_u32_e32 v19, vcc_lo, v17, v39, vcc_lo
	flat_load_u16 v18, v[18:19]
	s_waitcnt vmcnt(0) lgkmcnt(0)
	v_mul_f16_e32 v21, s18, v18
.LBB266_107:
	v_pk_add_f16 v22, v36, v12
	v_pk_max_f16 v24, v75, v75
	v_mad_i64_i32 v[18:19], null, v23, s1, 0
	v_pk_add_f16 v23, v37, v13
	s_delay_alu instid0(VALU_DEP_3) | instskip(NEXT) | instid1(VALU_DEP_3)
	v_pk_min_f16 v22, v24, v22
	v_lshlrev_b64 v[18:19], 1, v[18:19]
	s_delay_alu instid0(VALU_DEP_2) | instskip(NEXT) | instid1(VALU_DEP_2)
	v_pk_min_f16 v22, v22, v23
	v_add_co_u32 v18, vcc_lo, s3, v18
	s_delay_alu instid0(VALU_DEP_2) | instskip(NEXT) | instid1(VALU_DEP_4)
	v_lshrrev_b32_e32 v23, 16, v22
	v_add_co_ci_u32_e32 v19, vcc_lo, s5, v19, vcc_lo
	s_delay_alu instid0(VALU_DEP_2) | instskip(NEXT) | instid1(VALU_DEP_4)
	v_min3_f16 v23, v21, v22, v23
	v_add_co_u32 v21, vcc_lo, v18, v38
	s_delay_alu instid0(VALU_DEP_3)
	v_add_co_ci_u32_e32 v22, vcc_lo, v19, v39, vcc_lo
	s_and_b32 vcc_lo, exec_lo, s0
	global_store_b16 v[21:22], v23, off
	s_cbranch_vccnz .LBB266_109
; %bb.108:
	v_add_co_u32 v20, vcc_lo, v16, v42
	v_add_co_ci_u32_e32 v21, vcc_lo, v17, v43, vcc_lo
	flat_load_u16 v20, v[20:21]
	s_waitcnt vmcnt(0) lgkmcnt(0)
	v_mul_f16_e32 v20, s18, v20
.LBB266_109:
	v_pk_add_f16 v21, v0, v12
	v_pk_max_f16 v22, v74, v74
	v_pk_add_f16 v23, v1, v13
	s_delay_alu instid0(VALU_DEP_2) | instskip(SKIP_1) | instid1(VALU_DEP_2)
	v_pk_min_f16 v21, v22, v21
	v_add_co_u32 v22, vcc_lo, v18, v42
	v_pk_min_f16 v21, v21, v23
	v_add_co_ci_u32_e32 v23, vcc_lo, v19, v43, vcc_lo
	s_and_b32 vcc_lo, exec_lo, s0
	s_delay_alu instid0(VALU_DEP_2) | instskip(NEXT) | instid1(VALU_DEP_1)
	v_lshrrev_b32_e32 v24, 16, v21
	v_min3_f16 v24, v20, v21, v24
	v_dual_mov_b32 v20, 0 :: v_dual_mov_b32 v21, 0
	global_store_b16 v[22:23], v24, off
	s_cbranch_vccnz .LBB266_111
; %bb.110:
	v_add_co_u32 v21, vcc_lo, v16, v40
	v_add_co_ci_u32_e32 v22, vcc_lo, v17, v41, vcc_lo
	flat_load_u16 v21, v[21:22]
	s_waitcnt vmcnt(0) lgkmcnt(0)
	v_mul_f16_e32 v21, s18, v21
.LBB266_111:
	v_pk_add_f16 v22, v2, v12
	v_pk_max_f16 v23, v73, v73
	v_pk_add_f16 v24, v3, v13
	s_delay_alu instid0(VALU_DEP_2) | instskip(NEXT) | instid1(VALU_DEP_1)
	v_pk_min_f16 v22, v23, v22
	v_pk_min_f16 v22, v22, v24
	s_delay_alu instid0(VALU_DEP_1) | instskip(NEXT) | instid1(VALU_DEP_1)
	v_lshrrev_b32_e32 v23, 16, v22
	v_min3_f16 v23, v21, v22, v23
	v_add_co_u32 v21, vcc_lo, v18, v40
	v_add_co_ci_u32_e32 v22, vcc_lo, v19, v41, vcc_lo
	s_and_b32 vcc_lo, exec_lo, s0
	global_store_b16 v[21:22], v23, off
	s_cbranch_vccnz .LBB266_113
; %bb.112:
	v_add_co_u32 v16, vcc_lo, v16, v44
	v_add_co_ci_u32_e32 v17, vcc_lo, v17, v45, vcc_lo
	flat_load_u16 v16, v[16:17]
	s_waitcnt vmcnt(0) lgkmcnt(0)
	v_mul_f16_e32 v20, s18, v16
.LBB266_113:
	v_add_nc_u32_e32 v16, 0x50, v79
	v_pk_add_f16 v12, v32, v12
	v_pk_max_f16 v17, v72, v72
	v_pk_add_f16 v13, v33, v13
	s_delay_alu instid0(VALU_DEP_4) | instskip(NEXT) | instid1(VALU_DEP_3)
	v_mad_i64_i32 v[21:22], null, v16, s4, 0
	v_pk_min_f16 v12, v17, v12
	s_delay_alu instid0(VALU_DEP_1) | instskip(NEXT) | instid1(VALU_DEP_3)
	v_pk_min_f16 v17, v12, v13
	v_lshlrev_b64 v[12:13], 1, v[21:22]
	v_add_co_u32 v21, vcc_lo, v18, v44
	v_add_co_ci_u32_e32 v22, vcc_lo, v19, v45, vcc_lo
	v_mov_b32_e32 v19, 0
	v_lshrrev_b32_e32 v18, 16, v17
	v_add_co_u32 v12, vcc_lo, s8, v12
	v_add_co_ci_u32_e32 v13, vcc_lo, s9, v13, vcc_lo
	s_delay_alu instid0(VALU_DEP_3)
	v_min3_f16 v17, v20, v17, v18
	v_mov_b32_e32 v18, 0
	s_and_b32 vcc_lo, exec_lo, s0
	global_store_b16 v[21:22], v17, off
	s_cbranch_vccnz .LBB266_115
; %bb.114:
	v_add_co_u32 v19, vcc_lo, v12, v38
	v_add_co_ci_u32_e32 v20, vcc_lo, v13, v39, vcc_lo
	flat_load_u16 v17, v[19:20]
	s_waitcnt vmcnt(0) lgkmcnt(0)
	v_mul_f16_e32 v19, s18, v17
.LBB266_115:
	v_pk_add_f16 v17, v36, v14
	v_pk_max_f16 v22, v71, v71
	v_mad_i64_i32 v[20:21], null, v16, s1, 0
	v_pk_add_f16 v16, v37, v15
	s_delay_alu instid0(VALU_DEP_3) | instskip(NEXT) | instid1(VALU_DEP_1)
	v_pk_min_f16 v17, v22, v17
	v_pk_min_f16 v22, v17, v16
	s_delay_alu instid0(VALU_DEP_4) | instskip(NEXT) | instid1(VALU_DEP_2)
	v_lshlrev_b64 v[16:17], 1, v[20:21]
	v_lshrrev_b32_e32 v20, 16, v22
	s_delay_alu instid0(VALU_DEP_2) | instskip(NEXT) | instid1(VALU_DEP_3)
	v_add_co_u32 v16, vcc_lo, s3, v16
	v_add_co_ci_u32_e32 v17, vcc_lo, s5, v17, vcc_lo
	s_delay_alu instid0(VALU_DEP_3) | instskip(NEXT) | instid1(VALU_DEP_3)
	v_min3_f16 v21, v19, v22, v20
	v_add_co_u32 v19, vcc_lo, v16, v38
	s_delay_alu instid0(VALU_DEP_3)
	v_add_co_ci_u32_e32 v20, vcc_lo, v17, v39, vcc_lo
	s_and_b32 vcc_lo, exec_lo, s0
	global_store_b16 v[19:20], v21, off
	s_cbranch_vccnz .LBB266_117
; %bb.116:
	v_add_co_u32 v18, vcc_lo, v12, v42
	v_add_co_ci_u32_e32 v19, vcc_lo, v13, v43, vcc_lo
	flat_load_u16 v18, v[18:19]
	s_waitcnt vmcnt(0) lgkmcnt(0)
	v_mul_f16_e32 v18, s18, v18
.LBB266_117:
	v_pk_add_f16 v19, v0, v14
	v_pk_max_f16 v20, v70, v70
	v_pk_add_f16 v21, v1, v15
	s_delay_alu instid0(VALU_DEP_2) | instskip(SKIP_1) | instid1(VALU_DEP_2)
	v_pk_min_f16 v19, v20, v19
	v_add_co_u32 v20, vcc_lo, v16, v42
	v_pk_min_f16 v19, v19, v21
	v_add_co_ci_u32_e32 v21, vcc_lo, v17, v43, vcc_lo
	s_and_b32 vcc_lo, exec_lo, s0
	s_delay_alu instid0(VALU_DEP_2) | instskip(NEXT) | instid1(VALU_DEP_1)
	v_lshrrev_b32_e32 v22, 16, v19
	v_min3_f16 v22, v18, v19, v22
	v_dual_mov_b32 v18, 0 :: v_dual_mov_b32 v19, 0
	global_store_b16 v[20:21], v22, off
	s_cbranch_vccnz .LBB266_119
; %bb.118:
	v_add_co_u32 v19, vcc_lo, v12, v40
	v_add_co_ci_u32_e32 v20, vcc_lo, v13, v41, vcc_lo
	flat_load_u16 v19, v[19:20]
	s_waitcnt vmcnt(0) lgkmcnt(0)
	v_mul_f16_e32 v19, s18, v19
.LBB266_119:
	v_pk_add_f16 v20, v2, v14
	v_pk_max_f16 v21, v69, v69
	v_pk_add_f16 v22, v3, v15
	s_delay_alu instid0(VALU_DEP_2) | instskip(NEXT) | instid1(VALU_DEP_1)
	v_pk_min_f16 v20, v21, v20
	v_pk_min_f16 v20, v20, v22
	s_delay_alu instid0(VALU_DEP_1) | instskip(NEXT) | instid1(VALU_DEP_1)
	v_lshrrev_b32_e32 v21, 16, v20
	v_min3_f16 v21, v19, v20, v21
	v_add_co_u32 v19, vcc_lo, v16, v40
	v_add_co_ci_u32_e32 v20, vcc_lo, v17, v41, vcc_lo
	s_and_b32 vcc_lo, exec_lo, s0
	global_store_b16 v[19:20], v21, off
	s_cbranch_vccnz .LBB266_121
; %bb.120:
	v_add_co_u32 v12, vcc_lo, v12, v44
	v_add_co_ci_u32_e32 v13, vcc_lo, v13, v45, vcc_lo
	flat_load_u16 v12, v[12:13]
	s_waitcnt vmcnt(0) lgkmcnt(0)
	v_mul_f16_e32 v18, s18, v12
.LBB266_121:
	v_pk_add_f16 v14, v32, v14
	v_pk_max_f16 v20, v68, v68
	v_pk_add_f16 v15, v33, v15
	v_add_nc_u32_e32 v19, 0x58, v79
	s_delay_alu instid0(VALU_DEP_3) | instskip(NEXT) | instid1(VALU_DEP_1)
	v_pk_min_f16 v14, v20, v14
	v_pk_min_f16 v20, v14, v15
	v_add_co_u32 v14, vcc_lo, v16, v44
	v_add_co_ci_u32_e32 v15, vcc_lo, v17, v45, vcc_lo
	s_delay_alu instid0(VALU_DEP_3) | instskip(SKIP_1) | instid1(VALU_DEP_2)
	v_lshrrev_b32_e32 v16, 16, v20
	v_mov_b32_e32 v17, 0
	v_min3_f16 v18, v18, v20, v16
	v_mov_b32_e32 v16, 0
	v_mad_i64_i32 v[12:13], null, v19, s4, 0
	global_store_b16 v[14:15], v18, off
	v_lshlrev_b64 v[12:13], 1, v[12:13]
	s_delay_alu instid0(VALU_DEP_1) | instskip(NEXT) | instid1(VALU_DEP_2)
	v_add_co_u32 v12, vcc_lo, s8, v12
	v_add_co_ci_u32_e32 v13, vcc_lo, s9, v13, vcc_lo
	s_and_b32 vcc_lo, exec_lo, s0
	s_cbranch_vccnz .LBB266_123
; %bb.122:
	s_delay_alu instid0(VALU_DEP_2) | instskip(NEXT) | instid1(VALU_DEP_2)
	v_add_co_u32 v14, vcc_lo, v12, v38
	v_add_co_ci_u32_e32 v15, vcc_lo, v13, v39, vcc_lo
	flat_load_u16 v14, v[14:15]
	s_waitcnt vmcnt(0) lgkmcnt(0)
	v_mul_f16_e32 v17, s18, v14
.LBB266_123:
	v_pk_add_f16 v18, v36, v8
	v_pk_max_f16 v20, v67, v67
	v_mad_i64_i32 v[14:15], null, v19, s1, 0
	v_pk_add_f16 v19, v37, v9
	s_delay_alu instid0(VALU_DEP_3) | instskip(NEXT) | instid1(VALU_DEP_3)
	v_pk_min_f16 v18, v20, v18
	v_lshlrev_b64 v[14:15], 1, v[14:15]
	s_delay_alu instid0(VALU_DEP_2) | instskip(NEXT) | instid1(VALU_DEP_2)
	v_pk_min_f16 v18, v18, v19
	v_add_co_u32 v14, vcc_lo, s3, v14
	s_delay_alu instid0(VALU_DEP_2) | instskip(NEXT) | instid1(VALU_DEP_4)
	v_lshrrev_b32_e32 v19, 16, v18
	v_add_co_ci_u32_e32 v15, vcc_lo, s5, v15, vcc_lo
	s_delay_alu instid0(VALU_DEP_2) | instskip(NEXT) | instid1(VALU_DEP_4)
	v_min3_f16 v19, v17, v18, v19
	v_add_co_u32 v17, vcc_lo, v14, v38
	s_delay_alu instid0(VALU_DEP_3)
	v_add_co_ci_u32_e32 v18, vcc_lo, v15, v39, vcc_lo
	s_and_b32 vcc_lo, exec_lo, s0
	global_store_b16 v[17:18], v19, off
	s_cbranch_vccnz .LBB266_125
; %bb.124:
	v_add_co_u32 v16, vcc_lo, v12, v42
	v_add_co_ci_u32_e32 v17, vcc_lo, v13, v43, vcc_lo
	flat_load_u16 v16, v[16:17]
	s_waitcnt vmcnt(0) lgkmcnt(0)
	v_mul_f16_e32 v16, s18, v16
.LBB266_125:
	v_pk_add_f16 v17, v0, v8
	v_pk_max_f16 v18, v66, v66
	v_pk_add_f16 v19, v1, v9
	s_delay_alu instid0(VALU_DEP_2) | instskip(SKIP_1) | instid1(VALU_DEP_2)
	v_pk_min_f16 v17, v18, v17
	v_add_co_u32 v18, vcc_lo, v14, v42
	v_pk_min_f16 v17, v17, v19
	v_add_co_ci_u32_e32 v19, vcc_lo, v15, v43, vcc_lo
	s_and_b32 vcc_lo, exec_lo, s0
	s_delay_alu instid0(VALU_DEP_2) | instskip(NEXT) | instid1(VALU_DEP_1)
	v_lshrrev_b32_e32 v20, 16, v17
	v_min3_f16 v20, v16, v17, v20
	v_dual_mov_b32 v16, 0 :: v_dual_mov_b32 v17, 0
	global_store_b16 v[18:19], v20, off
	s_cbranch_vccnz .LBB266_127
; %bb.126:
	v_add_co_u32 v17, vcc_lo, v12, v40
	v_add_co_ci_u32_e32 v18, vcc_lo, v13, v41, vcc_lo
	flat_load_u16 v17, v[17:18]
	s_waitcnt vmcnt(0) lgkmcnt(0)
	v_mul_f16_e32 v17, s18, v17
.LBB266_127:
	v_pk_add_f16 v18, v2, v8
	v_pk_max_f16 v19, v65, v65
	v_pk_add_f16 v20, v3, v9
	s_delay_alu instid0(VALU_DEP_2) | instskip(NEXT) | instid1(VALU_DEP_1)
	v_pk_min_f16 v18, v19, v18
	v_pk_min_f16 v18, v18, v20
	s_delay_alu instid0(VALU_DEP_1) | instskip(NEXT) | instid1(VALU_DEP_1)
	v_lshrrev_b32_e32 v19, 16, v18
	v_min3_f16 v19, v17, v18, v19
	v_add_co_u32 v17, vcc_lo, v14, v40
	v_add_co_ci_u32_e32 v18, vcc_lo, v15, v41, vcc_lo
	s_and_b32 vcc_lo, exec_lo, s0
	global_store_b16 v[17:18], v19, off
	s_cbranch_vccnz .LBB266_129
; %bb.128:
	v_add_co_u32 v12, vcc_lo, v12, v44
	v_add_co_ci_u32_e32 v13, vcc_lo, v13, v45, vcc_lo
	flat_load_u16 v12, v[12:13]
	s_waitcnt vmcnt(0) lgkmcnt(0)
	v_mul_f16_e32 v16, s18, v12
.LBB266_129:
	v_add_nc_u32_e32 v12, 0x60, v79
	v_pk_add_f16 v8, v32, v8
	v_pk_max_f16 v13, v64, v64
	v_pk_add_f16 v9, v33, v9
	s_delay_alu instid0(VALU_DEP_4) | instskip(NEXT) | instid1(VALU_DEP_3)
	v_mad_i64_i32 v[17:18], null, v12, s4, 0
	v_pk_min_f16 v8, v13, v8
	s_delay_alu instid0(VALU_DEP_1) | instskip(NEXT) | instid1(VALU_DEP_3)
	v_pk_min_f16 v13, v8, v9
	v_lshlrev_b64 v[8:9], 1, v[17:18]
	v_add_co_u32 v17, vcc_lo, v14, v44
	v_add_co_ci_u32_e32 v18, vcc_lo, v15, v45, vcc_lo
	v_mov_b32_e32 v15, 0
	v_lshrrev_b32_e32 v14, 16, v13
	v_add_co_u32 v8, vcc_lo, s8, v8
	v_add_co_ci_u32_e32 v9, vcc_lo, s9, v9, vcc_lo
	s_delay_alu instid0(VALU_DEP_3)
	v_min3_f16 v13, v16, v13, v14
	v_mov_b32_e32 v14, 0
	s_and_b32 vcc_lo, exec_lo, s0
	global_store_b16 v[17:18], v13, off
	s_cbranch_vccnz .LBB266_131
; %bb.130:
	v_add_co_u32 v15, vcc_lo, v8, v38
	v_add_co_ci_u32_e32 v16, vcc_lo, v9, v39, vcc_lo
	flat_load_u16 v13, v[15:16]
	s_waitcnt vmcnt(0) lgkmcnt(0)
	v_mul_f16_e32 v15, s18, v13
.LBB266_131:
	v_pk_add_f16 v13, v36, v10
	v_pk_max_f16 v18, v63, v63
	v_mad_i64_i32 v[16:17], null, v12, s1, 0
	v_pk_add_f16 v12, v37, v11
	s_delay_alu instid0(VALU_DEP_3) | instskip(NEXT) | instid1(VALU_DEP_1)
	v_pk_min_f16 v13, v18, v13
	v_pk_min_f16 v18, v13, v12
	s_delay_alu instid0(VALU_DEP_4) | instskip(NEXT) | instid1(VALU_DEP_2)
	v_lshlrev_b64 v[12:13], 1, v[16:17]
	v_lshrrev_b32_e32 v16, 16, v18
	s_delay_alu instid0(VALU_DEP_2) | instskip(NEXT) | instid1(VALU_DEP_3)
	v_add_co_u32 v12, vcc_lo, s3, v12
	v_add_co_ci_u32_e32 v13, vcc_lo, s5, v13, vcc_lo
	s_delay_alu instid0(VALU_DEP_3) | instskip(NEXT) | instid1(VALU_DEP_3)
	v_min3_f16 v17, v15, v18, v16
	v_add_co_u32 v15, vcc_lo, v12, v38
	s_delay_alu instid0(VALU_DEP_3)
	v_add_co_ci_u32_e32 v16, vcc_lo, v13, v39, vcc_lo
	s_and_b32 vcc_lo, exec_lo, s0
	global_store_b16 v[15:16], v17, off
	s_cbranch_vccnz .LBB266_133
; %bb.132:
	v_add_co_u32 v14, vcc_lo, v8, v42
	v_add_co_ci_u32_e32 v15, vcc_lo, v9, v43, vcc_lo
	flat_load_u16 v14, v[14:15]
	s_waitcnt vmcnt(0) lgkmcnt(0)
	v_mul_f16_e32 v14, s18, v14
.LBB266_133:
	v_pk_add_f16 v15, v0, v10
	v_pk_max_f16 v16, v62, v62
	v_pk_add_f16 v17, v1, v11
	s_delay_alu instid0(VALU_DEP_2) | instskip(SKIP_1) | instid1(VALU_DEP_2)
	v_pk_min_f16 v15, v16, v15
	v_add_co_u32 v16, vcc_lo, v12, v42
	v_pk_min_f16 v15, v15, v17
	v_add_co_ci_u32_e32 v17, vcc_lo, v13, v43, vcc_lo
	s_and_b32 vcc_lo, exec_lo, s0
	s_delay_alu instid0(VALU_DEP_2) | instskip(NEXT) | instid1(VALU_DEP_1)
	v_lshrrev_b32_e32 v18, 16, v15
	v_min3_f16 v18, v14, v15, v18
	v_dual_mov_b32 v14, 0 :: v_dual_mov_b32 v15, 0
	global_store_b16 v[16:17], v18, off
	s_cbranch_vccnz .LBB266_135
; %bb.134:
	v_add_co_u32 v15, vcc_lo, v8, v40
	v_add_co_ci_u32_e32 v16, vcc_lo, v9, v41, vcc_lo
	flat_load_u16 v15, v[15:16]
	s_waitcnt vmcnt(0) lgkmcnt(0)
	v_mul_f16_e32 v15, s18, v15
.LBB266_135:
	v_pk_add_f16 v16, v2, v10
	v_pk_max_f16 v17, v61, v61
	v_pk_add_f16 v18, v3, v11
	s_delay_alu instid0(VALU_DEP_2) | instskip(NEXT) | instid1(VALU_DEP_1)
	v_pk_min_f16 v16, v17, v16
	v_pk_min_f16 v16, v16, v18
	s_delay_alu instid0(VALU_DEP_1) | instskip(NEXT) | instid1(VALU_DEP_1)
	v_lshrrev_b32_e32 v17, 16, v16
	v_min3_f16 v17, v15, v16, v17
	v_add_co_u32 v15, vcc_lo, v12, v40
	v_add_co_ci_u32_e32 v16, vcc_lo, v13, v41, vcc_lo
	s_and_b32 vcc_lo, exec_lo, s0
	global_store_b16 v[15:16], v17, off
	s_cbranch_vccnz .LBB266_137
; %bb.136:
	v_add_co_u32 v8, vcc_lo, v8, v44
	v_add_co_ci_u32_e32 v9, vcc_lo, v9, v45, vcc_lo
	flat_load_u16 v8, v[8:9]
	s_waitcnt vmcnt(0) lgkmcnt(0)
	v_mul_f16_e32 v14, s18, v8
.LBB266_137:
	v_pk_add_f16 v10, v32, v10
	v_pk_max_f16 v16, v60, v60
	v_pk_add_f16 v11, v33, v11
	v_add_nc_u32_e32 v15, 0x68, v79
	s_delay_alu instid0(VALU_DEP_3) | instskip(NEXT) | instid1(VALU_DEP_1)
	v_pk_min_f16 v10, v16, v10
	v_pk_min_f16 v16, v10, v11
	v_add_co_u32 v10, vcc_lo, v12, v44
	v_add_co_ci_u32_e32 v11, vcc_lo, v13, v45, vcc_lo
	s_delay_alu instid0(VALU_DEP_3) | instskip(SKIP_1) | instid1(VALU_DEP_2)
	v_lshrrev_b32_e32 v12, 16, v16
	v_mov_b32_e32 v13, 0
	v_min3_f16 v14, v14, v16, v12
	v_mov_b32_e32 v12, 0
	v_mad_i64_i32 v[8:9], null, v15, s4, 0
	global_store_b16 v[10:11], v14, off
	v_lshlrev_b64 v[8:9], 1, v[8:9]
	s_delay_alu instid0(VALU_DEP_1) | instskip(NEXT) | instid1(VALU_DEP_2)
	v_add_co_u32 v8, vcc_lo, s8, v8
	v_add_co_ci_u32_e32 v9, vcc_lo, s9, v9, vcc_lo
	s_and_b32 vcc_lo, exec_lo, s0
	s_cbranch_vccnz .LBB266_139
; %bb.138:
	s_delay_alu instid0(VALU_DEP_2) | instskip(NEXT) | instid1(VALU_DEP_2)
	v_add_co_u32 v10, vcc_lo, v8, v38
	v_add_co_ci_u32_e32 v11, vcc_lo, v9, v39, vcc_lo
	flat_load_u16 v10, v[10:11]
	s_waitcnt vmcnt(0) lgkmcnt(0)
	v_mul_f16_e32 v13, s18, v10
.LBB266_139:
	v_pk_add_f16 v14, v36, v4
	v_pk_max_f16 v16, v59, v59
	v_mad_i64_i32 v[10:11], null, v15, s1, 0
	v_pk_add_f16 v15, v37, v5
	s_delay_alu instid0(VALU_DEP_3) | instskip(NEXT) | instid1(VALU_DEP_3)
	v_pk_min_f16 v14, v16, v14
	v_lshlrev_b64 v[10:11], 1, v[10:11]
	s_delay_alu instid0(VALU_DEP_2) | instskip(NEXT) | instid1(VALU_DEP_2)
	v_pk_min_f16 v14, v14, v15
	v_add_co_u32 v10, vcc_lo, s3, v10
	s_delay_alu instid0(VALU_DEP_2) | instskip(NEXT) | instid1(VALU_DEP_4)
	v_lshrrev_b32_e32 v15, 16, v14
	v_add_co_ci_u32_e32 v11, vcc_lo, s5, v11, vcc_lo
	s_delay_alu instid0(VALU_DEP_2) | instskip(NEXT) | instid1(VALU_DEP_4)
	v_min3_f16 v15, v13, v14, v15
	v_add_co_u32 v13, vcc_lo, v10, v38
	s_delay_alu instid0(VALU_DEP_3)
	v_add_co_ci_u32_e32 v14, vcc_lo, v11, v39, vcc_lo
	s_and_b32 vcc_lo, exec_lo, s0
	global_store_b16 v[13:14], v15, off
	s_cbranch_vccnz .LBB266_141
; %bb.140:
	v_add_co_u32 v12, vcc_lo, v8, v42
	v_add_co_ci_u32_e32 v13, vcc_lo, v9, v43, vcc_lo
	flat_load_u16 v12, v[12:13]
	s_waitcnt vmcnt(0) lgkmcnt(0)
	v_mul_f16_e32 v12, s18, v12
.LBB266_141:
	v_pk_add_f16 v13, v0, v4
	v_pk_max_f16 v14, v58, v58
	v_pk_add_f16 v15, v1, v5
	s_delay_alu instid0(VALU_DEP_2) | instskip(SKIP_1) | instid1(VALU_DEP_2)
	v_pk_min_f16 v13, v14, v13
	v_add_co_u32 v14, vcc_lo, v10, v42
	v_pk_min_f16 v13, v13, v15
	v_add_co_ci_u32_e32 v15, vcc_lo, v11, v43, vcc_lo
	s_and_b32 vcc_lo, exec_lo, s0
	s_delay_alu instid0(VALU_DEP_2) | instskip(NEXT) | instid1(VALU_DEP_1)
	v_lshrrev_b32_e32 v16, 16, v13
	v_min3_f16 v16, v12, v13, v16
	v_dual_mov_b32 v12, 0 :: v_dual_mov_b32 v13, 0
	global_store_b16 v[14:15], v16, off
	s_cbranch_vccnz .LBB266_143
; %bb.142:
	v_add_co_u32 v13, vcc_lo, v8, v40
	v_add_co_ci_u32_e32 v14, vcc_lo, v9, v41, vcc_lo
	flat_load_u16 v13, v[13:14]
	s_waitcnt vmcnt(0) lgkmcnt(0)
	v_mul_f16_e32 v13, s18, v13
.LBB266_143:
	v_pk_add_f16 v14, v2, v4
	v_pk_max_f16 v15, v57, v57
	v_pk_add_f16 v16, v3, v5
	s_delay_alu instid0(VALU_DEP_2) | instskip(NEXT) | instid1(VALU_DEP_1)
	v_pk_min_f16 v14, v15, v14
	v_pk_min_f16 v14, v14, v16
	s_delay_alu instid0(VALU_DEP_1) | instskip(NEXT) | instid1(VALU_DEP_1)
	v_lshrrev_b32_e32 v15, 16, v14
	v_min3_f16 v15, v13, v14, v15
	v_add_co_u32 v13, vcc_lo, v10, v40
	v_add_co_ci_u32_e32 v14, vcc_lo, v11, v41, vcc_lo
	s_and_b32 vcc_lo, exec_lo, s0
	global_store_b16 v[13:14], v15, off
	s_cbranch_vccnz .LBB266_145
; %bb.144:
	v_add_co_u32 v8, vcc_lo, v8, v44
	v_add_co_ci_u32_e32 v9, vcc_lo, v9, v45, vcc_lo
	flat_load_u16 v8, v[8:9]
	s_waitcnt vmcnt(0) lgkmcnt(0)
	v_mul_f16_e32 v12, s18, v8
.LBB266_145:
	v_add_nc_u32_e32 v8, 0x70, v79
	v_pk_add_f16 v4, v32, v4
	v_pk_max_f16 v9, v56, v56
	v_pk_add_f16 v5, v33, v5
	s_delay_alu instid0(VALU_DEP_4) | instskip(NEXT) | instid1(VALU_DEP_3)
	v_mad_i64_i32 v[13:14], null, v8, s4, 0
	v_pk_min_f16 v4, v9, v4
	s_delay_alu instid0(VALU_DEP_1) | instskip(NEXT) | instid1(VALU_DEP_3)
	v_pk_min_f16 v9, v4, v5
	v_lshlrev_b64 v[4:5], 1, v[13:14]
	v_add_co_u32 v13, vcc_lo, v10, v44
	v_add_co_ci_u32_e32 v14, vcc_lo, v11, v45, vcc_lo
	v_mov_b32_e32 v11, 0
	v_lshrrev_b32_e32 v10, 16, v9
	v_add_co_u32 v4, vcc_lo, s8, v4
	v_add_co_ci_u32_e32 v5, vcc_lo, s9, v5, vcc_lo
	s_delay_alu instid0(VALU_DEP_3)
	v_min3_f16 v9, v12, v9, v10
	v_mov_b32_e32 v10, 0
	s_and_b32 vcc_lo, exec_lo, s0
	global_store_b16 v[13:14], v9, off
	s_cbranch_vccnz .LBB266_147
; %bb.146:
	v_add_co_u32 v11, vcc_lo, v4, v38
	v_add_co_ci_u32_e32 v12, vcc_lo, v5, v39, vcc_lo
	flat_load_u16 v9, v[11:12]
	s_waitcnt vmcnt(0) lgkmcnt(0)
	v_mul_f16_e32 v11, s18, v9
.LBB266_147:
	v_pk_add_f16 v9, v36, v6
	v_pk_max_f16 v14, v55, v55
	v_mad_i64_i32 v[12:13], null, v8, s1, 0
	v_pk_add_f16 v8, v37, v7
	s_delay_alu instid0(VALU_DEP_3) | instskip(NEXT) | instid1(VALU_DEP_1)
	v_pk_min_f16 v9, v14, v9
	v_pk_min_f16 v14, v9, v8
	s_delay_alu instid0(VALU_DEP_4) | instskip(NEXT) | instid1(VALU_DEP_2)
	v_lshlrev_b64 v[8:9], 1, v[12:13]
	v_lshrrev_b32_e32 v12, 16, v14
	s_delay_alu instid0(VALU_DEP_2) | instskip(NEXT) | instid1(VALU_DEP_3)
	v_add_co_u32 v8, vcc_lo, s3, v8
	v_add_co_ci_u32_e32 v9, vcc_lo, s5, v9, vcc_lo
	s_delay_alu instid0(VALU_DEP_3) | instskip(NEXT) | instid1(VALU_DEP_3)
	v_min3_f16 v13, v11, v14, v12
	v_add_co_u32 v11, vcc_lo, v8, v38
	s_delay_alu instid0(VALU_DEP_3)
	v_add_co_ci_u32_e32 v12, vcc_lo, v9, v39, vcc_lo
	s_and_b32 vcc_lo, exec_lo, s0
	global_store_b16 v[11:12], v13, off
	s_cbranch_vccnz .LBB266_149
; %bb.148:
	v_add_co_u32 v10, vcc_lo, v4, v42
	v_add_co_ci_u32_e32 v11, vcc_lo, v5, v43, vcc_lo
	flat_load_u16 v10, v[10:11]
	s_waitcnt vmcnt(0) lgkmcnt(0)
	v_mul_f16_e32 v10, s18, v10
.LBB266_149:
	v_pk_add_f16 v11, v0, v6
	v_pk_max_f16 v12, v54, v54
	v_pk_add_f16 v13, v1, v7
	s_delay_alu instid0(VALU_DEP_2) | instskip(SKIP_1) | instid1(VALU_DEP_2)
	v_pk_min_f16 v11, v12, v11
	v_add_co_u32 v12, vcc_lo, v8, v42
	v_pk_min_f16 v11, v11, v13
	v_add_co_ci_u32_e32 v13, vcc_lo, v9, v43, vcc_lo
	s_and_b32 vcc_lo, exec_lo, s0
	s_delay_alu instid0(VALU_DEP_2) | instskip(NEXT) | instid1(VALU_DEP_1)
	v_lshrrev_b32_e32 v14, 16, v11
	v_min3_f16 v14, v10, v11, v14
	v_dual_mov_b32 v10, 0 :: v_dual_mov_b32 v11, 0
	global_store_b16 v[12:13], v14, off
	s_cbranch_vccnz .LBB266_151
; %bb.150:
	v_add_co_u32 v11, vcc_lo, v4, v40
	v_add_co_ci_u32_e32 v12, vcc_lo, v5, v41, vcc_lo
	flat_load_u16 v11, v[11:12]
	s_waitcnt vmcnt(0) lgkmcnt(0)
	v_mul_f16_e32 v11, s18, v11
.LBB266_151:
	v_pk_add_f16 v12, v2, v6
	v_pk_max_f16 v13, v53, v53
	v_pk_add_f16 v14, v3, v7
	s_delay_alu instid0(VALU_DEP_2) | instskip(NEXT) | instid1(VALU_DEP_1)
	v_pk_min_f16 v12, v13, v12
	v_pk_min_f16 v12, v12, v14
	s_delay_alu instid0(VALU_DEP_1) | instskip(NEXT) | instid1(VALU_DEP_1)
	v_lshrrev_b32_e32 v13, 16, v12
	v_min3_f16 v13, v11, v12, v13
	v_add_co_u32 v11, vcc_lo, v8, v40
	v_add_co_ci_u32_e32 v12, vcc_lo, v9, v41, vcc_lo
	s_and_b32 vcc_lo, exec_lo, s0
	global_store_b16 v[11:12], v13, off
	s_cbranch_vccnz .LBB266_153
; %bb.152:
	v_add_co_u32 v4, vcc_lo, v4, v44
	v_add_co_ci_u32_e32 v5, vcc_lo, v5, v45, vcc_lo
	flat_load_u16 v4, v[4:5]
	s_waitcnt vmcnt(0) lgkmcnt(0)
	v_mul_f16_e32 v10, s18, v4
.LBB266_153:
	v_pk_add_f16 v6, v32, v6
	v_pk_max_f16 v12, v52, v52
	v_pk_add_f16 v7, v33, v7
	v_add_nc_u32_e32 v11, 0x78, v79
	s_delay_alu instid0(VALU_DEP_3) | instskip(NEXT) | instid1(VALU_DEP_1)
	v_pk_min_f16 v6, v12, v6
	v_pk_min_f16 v12, v6, v7
	v_add_co_u32 v6, vcc_lo, v8, v44
	v_add_co_ci_u32_e32 v7, vcc_lo, v9, v45, vcc_lo
	s_delay_alu instid0(VALU_DEP_3) | instskip(SKIP_1) | instid1(VALU_DEP_2)
	v_lshrrev_b32_e32 v8, 16, v12
	v_mov_b32_e32 v9, 0
	v_min3_f16 v10, v10, v12, v8
	v_mov_b32_e32 v8, 0
	v_mad_i64_i32 v[4:5], null, v11, s4, 0
	global_store_b16 v[6:7], v10, off
	v_lshlrev_b64 v[4:5], 1, v[4:5]
	s_delay_alu instid0(VALU_DEP_1) | instskip(NEXT) | instid1(VALU_DEP_2)
	v_add_co_u32 v4, vcc_lo, s8, v4
	v_add_co_ci_u32_e32 v5, vcc_lo, s9, v5, vcc_lo
	s_and_b32 vcc_lo, exec_lo, s0
	s_cbranch_vccnz .LBB266_155
; %bb.154:
	s_delay_alu instid0(VALU_DEP_2) | instskip(NEXT) | instid1(VALU_DEP_2)
	v_add_co_u32 v6, vcc_lo, v4, v38
	v_add_co_ci_u32_e32 v7, vcc_lo, v5, v39, vcc_lo
	flat_load_u16 v6, v[6:7]
	s_waitcnt vmcnt(0) lgkmcnt(0)
	v_mul_f16_e32 v9, s18, v6
.LBB266_155:
	v_pk_add_f16 v10, v36, v34
	v_pk_max_f16 v12, v51, v51
	v_mad_i64_i32 v[6:7], null, v11, s1, 0
	v_pk_add_f16 v11, v37, v35
	s_delay_alu instid0(VALU_DEP_3) | instskip(NEXT) | instid1(VALU_DEP_3)
	v_pk_min_f16 v10, v12, v10
	v_lshlrev_b64 v[6:7], 1, v[6:7]
	s_delay_alu instid0(VALU_DEP_2) | instskip(NEXT) | instid1(VALU_DEP_2)
	v_pk_min_f16 v10, v10, v11
	v_add_co_u32 v6, vcc_lo, s3, v6
	s_delay_alu instid0(VALU_DEP_2) | instskip(NEXT) | instid1(VALU_DEP_4)
	v_lshrrev_b32_e32 v11, 16, v10
	v_add_co_ci_u32_e32 v7, vcc_lo, s5, v7, vcc_lo
	s_delay_alu instid0(VALU_DEP_2) | instskip(NEXT) | instid1(VALU_DEP_4)
	v_min3_f16 v11, v9, v10, v11
	v_add_co_u32 v9, vcc_lo, v6, v38
	s_delay_alu instid0(VALU_DEP_3)
	v_add_co_ci_u32_e32 v10, vcc_lo, v7, v39, vcc_lo
	s_and_b32 vcc_lo, exec_lo, s0
	global_store_b16 v[9:10], v11, off
	s_cbranch_vccnz .LBB266_157
; %bb.156:
	v_add_co_u32 v8, vcc_lo, v4, v42
	v_add_co_ci_u32_e32 v9, vcc_lo, v5, v43, vcc_lo
	flat_load_u16 v8, v[8:9]
	s_waitcnt vmcnt(0) lgkmcnt(0)
	v_mul_f16_e32 v8, s18, v8
.LBB266_157:
	v_pk_add_f16 v0, v0, v34
	v_pk_max_f16 v9, v50, v50
	v_pk_add_f16 v2, v2, v34
	v_pk_max_f16 v10, v49, v49
	v_pk_add_f16 v1, v1, v35
	v_pk_add_f16 v3, v3, v35
	v_pk_min_f16 v0, v9, v0
	s_delay_alu instid0(VALU_DEP_4) | instskip(NEXT) | instid1(VALU_DEP_2)
	v_pk_min_f16 v2, v10, v2
	v_pk_min_f16 v0, v0, v1
	s_delay_alu instid0(VALU_DEP_2) | instskip(NEXT) | instid1(VALU_DEP_2)
	v_pk_min_f16 v1, v2, v3
	v_lshrrev_b32_e32 v2, 16, v0
	s_delay_alu instid0(VALU_DEP_2) | instskip(NEXT) | instid1(VALU_DEP_2)
	v_lshrrev_b32_e32 v3, 16, v1
	v_min3_f16 v8, v8, v0, v2
	s_delay_alu instid0(VALU_DEP_2) | instskip(SKIP_2) | instid1(VALU_DEP_3)
	v_min_f16_e32 v0, v1, v3
	v_add_co_u32 v1, vcc_lo, v6, v42
	v_add_co_ci_u32_e32 v2, vcc_lo, v7, v43, vcc_lo
	v_max_f16_e32 v0, v0, v0
	s_mov_b32 vcc_lo, s2
	global_store_b16 v[1:2], v8, off
	s_cbranch_vccz .LBB266_160
; %bb.158:
	v_add_co_u32 v1, vcc_lo, v6, v40
	v_min_f16_e32 v3, 0, v0
	v_add_co_ci_u32_e32 v2, vcc_lo, v7, v41, vcc_lo
	s_mov_b32 s0, 0
	global_store_b16 v[1:2], v3, off
	s_cbranch_execz .LBB266_161
; %bb.159:
	v_mov_b32_e32 v0, s0
	s_branch .LBB266_162
.LBB266_160:
	s_mov_b32 s0, -1
.LBB266_161:
	v_add_co_u32 v1, vcc_lo, v4, v40
	v_add_co_ci_u32_e32 v2, vcc_lo, v5, v41, vcc_lo
	flat_load_u16 v1, v[1:2]
	s_waitcnt vmcnt(0) lgkmcnt(0)
	v_mul_f16_e32 v3, s18, v1
	v_add_co_u32 v1, vcc_lo, v6, v40
	v_add_co_ci_u32_e32 v2, vcc_lo, v7, v41, vcc_lo
	s_delay_alu instid0(VALU_DEP_3)
	v_min_f16_e32 v0, v3, v0
	v_add_co_u32 v3, vcc_lo, v4, v44
	v_add_co_ci_u32_e32 v4, vcc_lo, v5, v45, vcc_lo
	global_store_b16 v[1:2], v0, off
	flat_load_u16 v0, v[3:4]
	s_waitcnt vmcnt(0) lgkmcnt(0)
	v_mul_f16_e32 v0, s18, v0
.LBB266_162:
	v_pk_add_f16 v1, v32, v34
	v_pk_max_f16 v2, v48, v48
	v_pk_add_f16 v3, v33, v35
	s_delay_alu instid0(VALU_DEP_2) | instskip(NEXT) | instid1(VALU_DEP_1)
	v_pk_min_f16 v1, v2, v1
	v_pk_min_f16 v1, v1, v3
	s_delay_alu instid0(VALU_DEP_1) | instskip(NEXT) | instid1(VALU_DEP_1)
	v_lshrrev_b32_e32 v2, 16, v1
	v_min3_f16 v2, v0, v1, v2
	v_add_co_u32 v0, vcc_lo, v6, v44
	v_add_co_ci_u32_e32 v1, vcc_lo, v7, v45, vcc_lo
	global_store_b16 v[0:1], v2, off
	s_nop 0
	s_sendmsg sendmsg(MSG_DEALLOC_VGPRS)
	s_endpgm
	.section	.rodata,"a",@progbits
	.p2align	6, 0x0
	.amdhsa_kernel _ZN12_GLOBAL__N_120geam_min_plus_kernelIDF16_Dv2_DF16_S1_Li32ELi8ELi128ELi128ELi4ELi4ELi64ELi4ELi64ELc84ELc78ELb0ELb0ELb1EDF16_KDF16_DF16_EEviiiT16_PT17_ilS5_ilS3_S5_ilPT18_ili26rocblas_geam_ex_operation_
		.amdhsa_group_segment_fixed_size 4096
		.amdhsa_private_segment_fixed_size 0
		.amdhsa_kernarg_size 128
		.amdhsa_user_sgpr_count 14
		.amdhsa_user_sgpr_dispatch_ptr 0
		.amdhsa_user_sgpr_queue_ptr 0
		.amdhsa_user_sgpr_kernarg_segment_ptr 1
		.amdhsa_user_sgpr_dispatch_id 0
		.amdhsa_user_sgpr_private_segment_size 0
		.amdhsa_wavefront_size32 1
		.amdhsa_uses_dynamic_stack 0
		.amdhsa_enable_private_segment 0
		.amdhsa_system_sgpr_workgroup_id_x 1
		.amdhsa_system_sgpr_workgroup_id_y 0
		.amdhsa_system_sgpr_workgroup_id_z 1
		.amdhsa_system_sgpr_workgroup_info 0
		.amdhsa_system_vgpr_workitem_id 1
		.amdhsa_next_free_vgpr 154
		.amdhsa_next_free_sgpr 24
		.amdhsa_reserve_vcc 1
		.amdhsa_float_round_mode_32 0
		.amdhsa_float_round_mode_16_64 0
		.amdhsa_float_denorm_mode_32 3
		.amdhsa_float_denorm_mode_16_64 3
		.amdhsa_dx10_clamp 1
		.amdhsa_ieee_mode 1
		.amdhsa_fp16_overflow 0
		.amdhsa_workgroup_processor_mode 1
		.amdhsa_memory_ordered 1
		.amdhsa_forward_progress 0
		.amdhsa_shared_vgpr_count 0
		.amdhsa_exception_fp_ieee_invalid_op 0
		.amdhsa_exception_fp_denorm_src 0
		.amdhsa_exception_fp_ieee_div_zero 0
		.amdhsa_exception_fp_ieee_overflow 0
		.amdhsa_exception_fp_ieee_underflow 0
		.amdhsa_exception_fp_ieee_inexact 0
		.amdhsa_exception_int_div_zero 0
	.end_amdhsa_kernel
	.section	.text._ZN12_GLOBAL__N_120geam_min_plus_kernelIDF16_Dv2_DF16_S1_Li32ELi8ELi128ELi128ELi4ELi4ELi64ELi4ELi64ELc84ELc78ELb0ELb0ELb1EDF16_KDF16_DF16_EEviiiT16_PT17_ilS5_ilS3_S5_ilPT18_ili26rocblas_geam_ex_operation_,"axG",@progbits,_ZN12_GLOBAL__N_120geam_min_plus_kernelIDF16_Dv2_DF16_S1_Li32ELi8ELi128ELi128ELi4ELi4ELi64ELi4ELi64ELc84ELc78ELb0ELb0ELb1EDF16_KDF16_DF16_EEviiiT16_PT17_ilS5_ilS3_S5_ilPT18_ili26rocblas_geam_ex_operation_,comdat
.Lfunc_end266:
	.size	_ZN12_GLOBAL__N_120geam_min_plus_kernelIDF16_Dv2_DF16_S1_Li32ELi8ELi128ELi128ELi4ELi4ELi64ELi4ELi64ELc84ELc78ELb0ELb0ELb1EDF16_KDF16_DF16_EEviiiT16_PT17_ilS5_ilS3_S5_ilPT18_ili26rocblas_geam_ex_operation_, .Lfunc_end266-_ZN12_GLOBAL__N_120geam_min_plus_kernelIDF16_Dv2_DF16_S1_Li32ELi8ELi128ELi128ELi4ELi4ELi64ELi4ELi64ELc84ELc78ELb0ELb0ELb1EDF16_KDF16_DF16_EEviiiT16_PT17_ilS5_ilS3_S5_ilPT18_ili26rocblas_geam_ex_operation_
                                        ; -- End function
	.section	.AMDGPU.csdata,"",@progbits
; Kernel info:
; codeLenInByte = 18964
; NumSgprs: 26
; NumVgprs: 154
; ScratchSize: 0
; MemoryBound: 0
; FloatMode: 240
; IeeeMode: 1
; LDSByteSize: 4096 bytes/workgroup (compile time only)
; SGPRBlocks: 3
; VGPRBlocks: 19
; NumSGPRsForWavesPerEU: 26
; NumVGPRsForWavesPerEU: 154
; Occupancy: 9
; WaveLimiterHint : 0
; COMPUTE_PGM_RSRC2:SCRATCH_EN: 0
; COMPUTE_PGM_RSRC2:USER_SGPR: 14
; COMPUTE_PGM_RSRC2:TRAP_HANDLER: 0
; COMPUTE_PGM_RSRC2:TGID_X_EN: 1
; COMPUTE_PGM_RSRC2:TGID_Y_EN: 0
; COMPUTE_PGM_RSRC2:TGID_Z_EN: 1
; COMPUTE_PGM_RSRC2:TIDIG_COMP_CNT: 1
	.section	.text._ZN12_GLOBAL__N_120geam_min_plus_kernelIDF16_Dv2_DF16_S1_Li32ELi8ELi128ELi128ELi4ELi4ELi64ELi4ELi64ELc84ELc78ELb0ELb1ELb1EPKDF16_S2_DF16_EEviiiT16_PT17_ilS6_ilS4_S6_ilPT18_ili26rocblas_geam_ex_operation_,"axG",@progbits,_ZN12_GLOBAL__N_120geam_min_plus_kernelIDF16_Dv2_DF16_S1_Li32ELi8ELi128ELi128ELi4ELi4ELi64ELi4ELi64ELc84ELc78ELb0ELb1ELb1EPKDF16_S2_DF16_EEviiiT16_PT17_ilS6_ilS4_S6_ilPT18_ili26rocblas_geam_ex_operation_,comdat
	.globl	_ZN12_GLOBAL__N_120geam_min_plus_kernelIDF16_Dv2_DF16_S1_Li32ELi8ELi128ELi128ELi4ELi4ELi64ELi4ELi64ELc84ELc78ELb0ELb1ELb1EPKDF16_S2_DF16_EEviiiT16_PT17_ilS6_ilS4_S6_ilPT18_ili26rocblas_geam_ex_operation_ ; -- Begin function _ZN12_GLOBAL__N_120geam_min_plus_kernelIDF16_Dv2_DF16_S1_Li32ELi8ELi128ELi128ELi4ELi4ELi64ELi4ELi64ELc84ELc78ELb0ELb1ELb1EPKDF16_S2_DF16_EEviiiT16_PT17_ilS6_ilS4_S6_ilPT18_ili26rocblas_geam_ex_operation_
	.p2align	8
	.type	_ZN12_GLOBAL__N_120geam_min_plus_kernelIDF16_Dv2_DF16_S1_Li32ELi8ELi128ELi128ELi4ELi4ELi64ELi4ELi64ELc84ELc78ELb0ELb1ELb1EPKDF16_S2_DF16_EEviiiT16_PT17_ilS6_ilS4_S6_ilPT18_ili26rocblas_geam_ex_operation_,@function
_ZN12_GLOBAL__N_120geam_min_plus_kernelIDF16_Dv2_DF16_S1_Li32ELi8ELi128ELi128ELi4ELi4ELi64ELi4ELi64ELc84ELc78ELb0ELb1ELb1EPKDF16_S2_DF16_EEviiiT16_PT17_ilS6_ilS4_S6_ilPT18_ili26rocblas_geam_ex_operation_: ; @_ZN12_GLOBAL__N_120geam_min_plus_kernelIDF16_Dv2_DF16_S1_Li32ELi8ELi128ELi128ELi4ELi4ELi64ELi4ELi64ELc84ELc78ELb0ELb1ELb1EPKDF16_S2_DF16_EEviiiT16_PT17_ilS6_ilS4_S6_ilPT18_ili26rocblas_geam_ex_operation_
; %bb.0:
	s_clause 0x1
	s_load_b128 s[16:19], s[0:1], 0x10
	s_load_b128 s[4:7], s[0:1], 0x40
	s_mov_b32 s20, s15
	s_mov_b32 s21, 0
	v_mov_b32_e32 v1, 0
	s_lshl_b64 s[2:3], s[20:21], 1
	s_load_b128 s[8:11], s[0:1], 0x28
	s_mov_b64 s[22:23], 0
	s_mov_b64 s[24:25], 0
	s_waitcnt lgkmcnt(0)
	s_add_u32 s12, s16, s2
	s_addc_u32 s13, s17, s3
	s_add_u32 s2, s6, s2
	global_load_u16 v95, v1, s[12:13]
	s_addc_u32 s3, s7, s3
	global_load_u16 v50, v1, s[2:3]
	s_load_b64 s[12:13], s[0:1], 0x50
	s_waitcnt vmcnt(1)
	v_cmp_eq_f16_e32 vcc_lo, 0, v95
	v_cmp_neq_f16_e64 s2, 0, v95
	s_cbranch_vccnz .LBB267_2
; %bb.1:
	s_mul_i32 s3, s20, s9
	s_mul_hi_u32 s6, s20, s8
	s_delay_alu instid0(SALU_CYCLE_1) | instskip(SKIP_1) | instid1(SALU_CYCLE_1)
	s_add_i32 s7, s6, s3
	s_mul_i32 s6, s20, s8
	s_lshl_b64 s[6:7], s[6:7], 1
	s_delay_alu instid0(SALU_CYCLE_1)
	s_add_u32 s24, s18, s6
	s_addc_u32 s25, s19, s7
.LBB267_2:
	s_delay_alu instid0(VALU_DEP_1)
	s_and_not1_b32 vcc_lo, exec_lo, s2
	s_cbranch_vccnz .LBB267_4
; %bb.3:
	s_mul_i32 s2, s20, s5
	s_mul_hi_u32 s3, s20, s4
	s_delay_alu instid0(SALU_CYCLE_1) | instskip(SKIP_1) | instid1(SALU_CYCLE_1)
	s_add_i32 s3, s3, s2
	s_mul_i32 s2, s20, s4
	s_lshl_b64 s[2:3], s[2:3], 1
	s_delay_alu instid0(SALU_CYCLE_1)
	s_add_u32 s22, s10, s2
	s_addc_u32 s23, s11, s3
.LBB267_4:
	s_load_b128 s[8:11], s[0:1], 0x60
	s_waitcnt vmcnt(0)
	v_cmp_eq_f16_e32 vcc_lo, 0, v50
	v_cmp_neq_f16_e64 s2, 0, v50
	s_cbranch_vccnz .LBB267_6
; %bb.5:
	s_waitcnt lgkmcnt(0)
	s_mul_i32 s3, s20, s9
	s_mul_hi_u32 s4, s20, s8
	s_delay_alu instid0(SALU_CYCLE_1) | instskip(SKIP_1) | instid1(SALU_CYCLE_1)
	s_add_i32 s5, s4, s3
	s_mul_i32 s4, s20, s8
	s_lshl_b64 s[4:5], s[4:5], 1
	s_delay_alu instid0(SALU_CYCLE_1)
	s_add_u32 s12, s12, s4
	s_addc_u32 s13, s13, s5
	s_branch .LBB267_7
.LBB267_6:
	s_waitcnt lgkmcnt(0)
	s_mov_b64 s[12:13], 0
.LBB267_7:
	s_load_b128 s[16:19], s[0:1], 0x0
	v_and_b32_e32 v91, 0x3ff, v0
	v_bfe_u32 v92, v0, 10, 10
	s_waitcnt lgkmcnt(0)
	s_load_b32 s19, s[0:1], 0x20
	v_cmp_eq_f16_e32 vcc_lo, 0, v95
	v_and_b32_e32 v99, 3, v91
	s_add_i32 s5, s16, -1
	s_delay_alu instid0(SALU_CYCLE_1) | instskip(NEXT) | instid1(SALU_CYCLE_1)
	s_ashr_i32 s3, s5, 31
	s_lshr_b32 s3, s3, 25
	s_delay_alu instid0(SALU_CYCLE_1) | instskip(NEXT) | instid1(SALU_CYCLE_1)
	s_add_i32 s3, s5, s3
	s_ashr_i32 s3, s3, 7
	s_delay_alu instid0(SALU_CYCLE_1) | instskip(SKIP_2) | instid1(VALU_DEP_1)
	s_add_i32 s4, s3, 1
	s_not_b32 s3, s3
	v_cvt_f32_u32_e32 v1, s4
	v_rcp_iflag_f32_e32 v1, v1
	s_waitcnt_depctr 0xfff
	v_mul_f32_e32 v1, 0x4f7ffffe, v1
	s_delay_alu instid0(VALU_DEP_1) | instskip(NEXT) | instid1(VALU_DEP_1)
	v_cvt_u32_f32_e32 v1, v1
	v_readfirstlane_b32 s6, v1
	v_lshl_add_u32 v1, v92, 5, v91
	s_delay_alu instid0(VALU_DEP_2) | instskip(NEXT) | instid1(VALU_DEP_1)
	s_mul_i32 s3, s3, s6
	v_lshrrev_b32_e32 v8, 2, v1
	s_mul_hi_u32 s3, s6, s3
	s_delay_alu instid0(SALU_CYCLE_1) | instskip(NEXT) | instid1(SALU_CYCLE_1)
	s_add_i32 s6, s6, s3
	s_mul_hi_u32 s3, s14, s6
	s_delay_alu instid0(SALU_CYCLE_1) | instskip(SKIP_2) | instid1(SALU_CYCLE_1)
	s_mul_i32 s6, s3, s4
	s_add_i32 s7, s3, 1
	s_sub_i32 s6, s14, s6
	s_sub_i32 s8, s6, s4
	s_cmp_ge_u32 s6, s4
	s_cselect_b32 s3, s7, s3
	s_cselect_b32 s6, s8, s6
	s_add_i32 s7, s3, 1
	s_cmp_ge_u32 s6, s4
	s_cselect_b32 s6, s7, s3
	s_add_i32 s15, s18, -1
	s_mul_i32 s3, s6, s4
	v_min_i32_e32 v0, s15, v99
	s_sub_i32 s3, s14, s3
	v_cmp_le_i32_e64 s7, s18, v99
	s_lshl_b32 s9, s3, 7
	s_delay_alu instid0(SALU_CYCLE_1) | instskip(SKIP_1) | instid1(VALU_DEP_2)
	v_add_nc_u32_e32 v2, s9, v8
	v_ashrrev_i32_e32 v1, 31, v0
	v_cmp_le_i32_e64 s3, s16, v2
	s_delay_alu instid0(VALU_DEP_2) | instskip(NEXT) | instid1(VALU_DEP_1)
	v_lshlrev_b64 v[0:1], 1, v[0:1]
	v_add_co_u32 v4, s4, s24, v0
	s_delay_alu instid0(VALU_DEP_1) | instskip(NEXT) | instid1(VALU_DEP_4)
	v_add_co_ci_u32_e64 v5, s4, s25, v1, s4
	s_or_b32 s4, s7, s3
	s_delay_alu instid0(SALU_CYCLE_1) | instskip(SKIP_1) | instid1(SALU_CYCLE_1)
	v_cndmask_b32_e64 v9, 0, 0x7c00, s4
	s_or_b32 s4, vcc_lo, s4
	s_xor_b32 s4, s4, -1
	s_delay_alu instid0(SALU_CYCLE_1)
	s_and_saveexec_b32 s8, s4
	s_cbranch_execz .LBB267_9
; %bb.8:
	s_waitcnt lgkmcnt(0)
	v_mad_i64_i32 v[6:7], null, v2, s19, 0
	s_delay_alu instid0(VALU_DEP_1) | instskip(NEXT) | instid1(VALU_DEP_1)
	v_lshlrev_b64 v[6:7], 1, v[6:7]
	v_add_co_u32 v6, s4, v4, v6
	s_delay_alu instid0(VALU_DEP_1)
	v_add_co_ci_u32_e64 v7, s4, v5, v7, s4
	flat_load_u16 v3, v[6:7]
	s_waitcnt vmcnt(0) lgkmcnt(0)
	v_mul_f16_e32 v9, v95, v3
.LBB267_9:
	s_or_b32 exec_lo, exec_lo, s8
	v_add_nc_u32_e32 v3, 64, v2
	s_delay_alu instid0(VALU_DEP_1) | instskip(SKIP_1) | instid1(VALU_DEP_2)
	v_cmp_le_i32_e64 s4, s16, v3
	v_min_i32_e32 v3, s5, v3
	s_or_b32 s5, s7, s4
	s_delay_alu instid0(SALU_CYCLE_1) | instskip(SKIP_1) | instid1(SALU_CYCLE_1)
	v_cndmask_b32_e64 v10, 0, 0x7c00, s5
	s_or_b32 s5, vcc_lo, s5
	s_xor_b32 s5, s5, -1
	s_delay_alu instid0(SALU_CYCLE_1)
	s_and_saveexec_b32 s8, s5
	s_cbranch_execz .LBB267_11
; %bb.10:
	s_waitcnt lgkmcnt(0)
	v_mad_i64_i32 v[6:7], null, v3, s19, 0
	s_delay_alu instid0(VALU_DEP_1) | instskip(NEXT) | instid1(VALU_DEP_1)
	v_lshlrev_b64 v[6:7], 1, v[6:7]
	v_add_co_u32 v4, s5, v4, v6
	s_delay_alu instid0(VALU_DEP_1)
	v_add_co_ci_u32_e64 v5, s5, v5, v7, s5
	flat_load_u16 v4, v[4:5]
	s_waitcnt vmcnt(0) lgkmcnt(0)
	v_mul_f16_e32 v10, v95, v4
.LBB267_11:
	s_or_b32 exec_lo, exec_lo, s8
	s_load_b32 s21, s[0:1], 0x38
	s_lshl_b32 s14, s6, 7
	v_add_co_u32 v0, s6, s22, v0
	v_add_nc_u32_e32 v4, s14, v8
	v_add_co_ci_u32_e64 v1, s6, s23, v1, s6
	s_delay_alu instid0(VALU_DEP_2) | instskip(NEXT) | instid1(VALU_DEP_1)
	v_cmp_le_i32_e64 s5, s17, v4
	s_or_b32 s6, s7, s5
	s_delay_alu instid0(SALU_CYCLE_1) | instskip(SKIP_1) | instid1(SALU_CYCLE_1)
	v_cndmask_b32_e64 v11, 0, 0x7c00, s6
	s_or_b32 s6, vcc_lo, s6
	s_xor_b32 s6, s6, -1
	s_delay_alu instid0(SALU_CYCLE_1)
	s_and_saveexec_b32 s8, s6
	s_cbranch_execz .LBB267_13
; %bb.12:
	s_waitcnt lgkmcnt(0)
	v_mad_i64_i32 v[5:6], null, v4, s21, 0
	s_delay_alu instid0(VALU_DEP_1) | instskip(NEXT) | instid1(VALU_DEP_1)
	v_lshlrev_b64 v[5:6], 1, v[5:6]
	v_add_co_u32 v5, s6, v0, v5
	s_delay_alu instid0(VALU_DEP_1)
	v_add_co_ci_u32_e64 v6, s6, v1, v6, s6
	flat_load_u16 v5, v[5:6]
	s_waitcnt vmcnt(0) lgkmcnt(0)
	v_mul_f16_e32 v11, v95, v5
.LBB267_13:
	s_or_b32 exec_lo, exec_lo, s8
	v_add_nc_u32_e32 v5, 64, v4
	s_add_i32 s8, s17, -1
	s_delay_alu instid0(VALU_DEP_1) | instskip(SKIP_1) | instid1(VALU_DEP_2)
	v_cmp_le_i32_e64 s6, s17, v5
	v_min_i32_e32 v5, s8, v5
	s_or_b32 s7, s7, s6
	s_delay_alu instid0(SALU_CYCLE_1) | instskip(SKIP_1) | instid1(SALU_CYCLE_1)
	v_cndmask_b32_e64 v12, 0, 0x7c00, s7
	s_or_b32 s7, vcc_lo, s7
	s_xor_b32 s7, s7, -1
	s_delay_alu instid0(SALU_CYCLE_1)
	s_and_saveexec_b32 s8, s7
	s_cbranch_execz .LBB267_15
; %bb.14:
	s_waitcnt lgkmcnt(0)
	v_mad_i64_i32 v[6:7], null, v5, s21, 0
	s_delay_alu instid0(VALU_DEP_1) | instskip(NEXT) | instid1(VALU_DEP_1)
	v_lshlrev_b64 v[6:7], 1, v[6:7]
	v_add_co_u32 v0, s7, v0, v6
	s_delay_alu instid0(VALU_DEP_1)
	v_add_co_ci_u32_e64 v1, s7, v1, v7, s7
	flat_load_u16 v0, v[0:1]
	s_waitcnt vmcnt(0) lgkmcnt(0)
	v_mul_f16_e32 v12, v95, v0
.LBB267_15:
	s_or_b32 exec_lo, exec_lo, s8
	v_or_b32_e32 v6, 4, v99
	s_delay_alu instid0(VALU_DEP_1) | instskip(SKIP_1) | instid1(VALU_DEP_2)
	v_min_i32_e32 v0, s15, v6
	v_cmp_le_i32_e64 s7, s18, v6
	v_ashrrev_i32_e32 v1, 31, v0
	s_delay_alu instid0(VALU_DEP_1) | instskip(NEXT) | instid1(VALU_DEP_1)
	v_lshlrev_b64 v[0:1], 1, v[0:1]
	v_add_co_u32 v13, s8, s24, v0
	s_delay_alu instid0(VALU_DEP_1) | instskip(SKIP_1) | instid1(SALU_CYCLE_1)
	v_add_co_ci_u32_e64 v14, s8, s25, v1, s8
	s_or_b32 s8, s7, s3
	v_cndmask_b32_e64 v6, 0, 0x7c00, s8
	s_or_b32 s8, vcc_lo, s8
	s_delay_alu instid0(SALU_CYCLE_1) | instskip(NEXT) | instid1(SALU_CYCLE_1)
	s_xor_b32 s8, s8, -1
	s_and_saveexec_b32 s26, s8
	s_cbranch_execz .LBB267_17
; %bb.16:
	s_waitcnt lgkmcnt(0)
	v_mad_i64_i32 v[6:7], null, v2, s19, 0
	s_delay_alu instid0(VALU_DEP_1) | instskip(NEXT) | instid1(VALU_DEP_1)
	v_lshlrev_b64 v[6:7], 1, v[6:7]
	v_add_co_u32 v6, s8, v13, v6
	s_delay_alu instid0(VALU_DEP_1)
	v_add_co_ci_u32_e64 v7, s8, v14, v7, s8
	flat_load_u16 v6, v[6:7]
	s_waitcnt vmcnt(0) lgkmcnt(0)
	v_mul_f16_e32 v6, v95, v6
.LBB267_17:
	s_or_b32 exec_lo, exec_lo, s26
	s_or_b32 s8, s7, s4
	s_delay_alu instid0(SALU_CYCLE_1) | instskip(SKIP_1) | instid1(SALU_CYCLE_1)
	v_cndmask_b32_e64 v7, 0, 0x7c00, s8
	s_or_b32 s8, vcc_lo, s8
	s_xor_b32 s8, s8, -1
	s_delay_alu instid0(SALU_CYCLE_1)
	s_and_saveexec_b32 s26, s8
	s_cbranch_execz .LBB267_19
; %bb.18:
	s_waitcnt lgkmcnt(0)
	v_mad_i64_i32 v[15:16], null, v3, s19, 0
	s_delay_alu instid0(VALU_DEP_1) | instskip(NEXT) | instid1(VALU_DEP_1)
	v_lshlrev_b64 v[15:16], 1, v[15:16]
	v_add_co_u32 v13, s8, v13, v15
	s_delay_alu instid0(VALU_DEP_1)
	v_add_co_ci_u32_e64 v14, s8, v14, v16, s8
	flat_load_u16 v7, v[13:14]
	s_waitcnt vmcnt(0) lgkmcnt(0)
	v_mul_f16_e32 v7, v95, v7
.LBB267_19:
	s_or_b32 exec_lo, exec_lo, s26
	v_add_co_u32 v13, s8, s22, v0
	s_delay_alu instid0(VALU_DEP_1) | instskip(SKIP_1) | instid1(SALU_CYCLE_1)
	v_add_co_ci_u32_e64 v14, s8, s23, v1, s8
	s_or_b32 s8, s7, s5
	v_cndmask_b32_e64 v0, 0, 0x7c00, s8
	s_or_b32 s8, vcc_lo, s8
	s_delay_alu instid0(SALU_CYCLE_1) | instskip(NEXT) | instid1(SALU_CYCLE_1)
	s_xor_b32 s8, s8, -1
	s_and_saveexec_b32 s26, s8
	s_cbranch_execz .LBB267_21
; %bb.20:
	s_waitcnt lgkmcnt(0)
	v_mad_i64_i32 v[0:1], null, v4, s21, 0
	s_delay_alu instid0(VALU_DEP_1) | instskip(NEXT) | instid1(VALU_DEP_1)
	v_lshlrev_b64 v[0:1], 1, v[0:1]
	v_add_co_u32 v0, s8, v13, v0
	s_delay_alu instid0(VALU_DEP_1)
	v_add_co_ci_u32_e64 v1, s8, v14, v1, s8
	flat_load_u16 v0, v[0:1]
	s_waitcnt vmcnt(0) lgkmcnt(0)
	v_mul_f16_e32 v0, v95, v0
.LBB267_21:
	s_or_b32 exec_lo, exec_lo, s26
	s_or_b32 s7, s7, s6
	s_delay_alu instid0(SALU_CYCLE_1) | instskip(SKIP_1) | instid1(SALU_CYCLE_1)
	v_cndmask_b32_e64 v1, 0, 0x7c00, s7
	s_or_b32 s7, vcc_lo, s7
	s_xor_b32 s7, s7, -1
	s_delay_alu instid0(SALU_CYCLE_1)
	s_and_saveexec_b32 s8, s7
	s_cbranch_execz .LBB267_23
; %bb.22:
	s_waitcnt lgkmcnt(0)
	v_mad_i64_i32 v[15:16], null, v5, s21, 0
	s_delay_alu instid0(VALU_DEP_1) | instskip(NEXT) | instid1(VALU_DEP_1)
	v_lshlrev_b64 v[15:16], 1, v[15:16]
	v_add_co_u32 v13, s7, v13, v15
	s_delay_alu instid0(VALU_DEP_1)
	v_add_co_ci_u32_e64 v14, s7, v14, v16, s7
	flat_load_u16 v1, v[13:14]
	s_waitcnt vmcnt(0) lgkmcnt(0)
	v_mul_f16_e32 v1, v95, v1
.LBB267_23:
	s_or_b32 exec_lo, exec_lo, s8
	v_lshlrev_b32_e32 v13, 1, v99
	v_lshlrev_b32_e32 v102, 3, v92
	;; [unrolled: 1-line block ×3, first 2 shown]
	s_cmp_lt_i32 s18, 9
	s_delay_alu instid0(VALU_DEP_3) | instskip(NEXT) | instid1(VALU_DEP_3)
	v_lshl_or_b32 v108, v8, 3, v13
	v_add_nc_u32_e32 v44, 0x800, v102
	ds_store_b16 v108, v9
	ds_store_b16 v108, v10 offset:512
	ds_store_b16 v108, v11 offset:2048
	;; [unrolled: 1-line block ×3, first 2 shown]
	s_waitcnt lgkmcnt(0)
	s_barrier
	buffer_gl0_inv
	ds_load_2addr_b64 v[8:11], v101 offset1:32
	ds_load_2addr_b64 v[12:15], v44 offset1:8
	ds_load_2addr_b64 v[16:19], v101 offset0:64 offset1:96
	ds_load_2addr_b64 v[20:23], v44 offset0:16 offset1:24
	;; [unrolled: 1-line block ×7, first 2 shown]
	s_waitcnt lgkmcnt(7)
	v_pk_add_f16 v45, v8, v12
	v_pk_add_f16 v46, v10, v12
	s_waitcnt lgkmcnt(6)
	v_pk_add_f16 v47, v16, v12
	v_pk_add_f16 v12, v18, v12
	;; [unrolled: 1-line block ×6, first 2 shown]
	s_waitcnt lgkmcnt(5)
	v_pk_add_f16 v52, v8, v20
	v_pk_min_f16 v12, 0x7c00, v12 op_sel_hi:[0,1]
	v_pk_add_f16 v75, v9, v13
	v_pk_add_f16 v76, v11, v13
	v_pk_add_f16 v77, v17, v13
	v_pk_add_f16 v13, v19, v13
	v_pk_add_f16 v53, v10, v20
	v_pk_min_f16 v14, 0x7c00, v14 op_sel_hi:[0,1]
	v_pk_min_f16 v52, 0x7c00, v52 op_sel_hi:[0,1]
	v_pk_add_f16 v54, v16, v20
	v_pk_add_f16 v20, v18, v20
	;; [unrolled: 1-line block ×6, first 2 shown]
	v_pk_min_f16 v123, v12, v13
	v_pk_add_f16 v12, v9, v21
	v_pk_min_f16 v53, 0x7c00, v53 op_sel_hi:[0,1]
	v_pk_add_f16 v55, v8, v22
	v_pk_add_f16 v56, v10, v22
	;; [unrolled: 1-line block ×3, first 2 shown]
	v_pk_min_f16 v54, 0x7c00, v54 op_sel_hi:[0,1]
	v_pk_min_f16 v20, 0x7c00, v20 op_sel_hi:[0,1]
	v_pk_add_f16 v13, v11, v21
	v_pk_min_f16 v114, v14, v15
	v_pk_add_f16 v14, v17, v21
	v_pk_min_f16 v113, v52, v12
	v_pk_add_f16 v12, v19, v21
	v_pk_min_f16 v55, 0x7c00, v55 op_sel_hi:[0,1]
	v_pk_min_f16 v56, 0x7c00, v56 op_sel_hi:[0,1]
	;; [unrolled: 1-line block ×3, first 2 shown]
	v_pk_add_f16 v22, v18, v22
	s_waitcnt lgkmcnt(4)
	v_pk_add_f16 v58, v8, v24
	v_pk_add_f16 v59, v10, v24
	;; [unrolled: 1-line block ×3, first 2 shown]
	v_pk_min_f16 v112, v53, v13
	v_pk_add_f16 v13, v9, v23
	v_pk_min_f16 v111, v54, v14
	v_pk_add_f16 v14, v11, v23
	v_pk_min_f16 v110, v20, v12
	v_pk_add_f16 v12, v17, v23
	v_pk_min_f16 v22, 0x7c00, v22 op_sel_hi:[0,1]
	v_pk_min_f16 v58, 0x7c00, v58 op_sel_hi:[0,1]
	;; [unrolled: 1-line block ×4, first 2 shown]
	v_pk_add_f16 v61, v8, v26
	v_pk_add_f16 v62, v10, v26
	;; [unrolled: 1-line block ×4, first 2 shown]
	v_pk_min_f16 v109, v55, v13
	v_pk_min_f16 v107, v56, v14
	;; [unrolled: 1-line block ×3, first 2 shown]
	v_pk_add_f16 v12, v19, v23
	v_pk_add_f16 v13, v9, v25
	v_pk_add_f16 v14, v11, v25
	v_pk_add_f16 v15, v17, v25
	s_waitcnt lgkmcnt(3)
	v_pk_add_f16 v64, v8, v28
	v_pk_min_f16 v61, 0x7c00, v61 op_sel_hi:[0,1]
	v_pk_min_f16 v62, 0x7c00, v62 op_sel_hi:[0,1]
	;; [unrolled: 1-line block ×4, first 2 shown]
	v_pk_add_f16 v65, v10, v28
	v_pk_add_f16 v66, v16, v28
	;; [unrolled: 1-line block ×4, first 2 shown]
	v_pk_min_f16 v105, v22, v12
	v_pk_min_f16 v104, v58, v13
	v_pk_min_f16 v103, v59, v14
	v_pk_min_f16 v100, v60, v15
	v_pk_add_f16 v12, v9, v27
	v_pk_add_f16 v13, v11, v27
	;; [unrolled: 1-line block ×5, first 2 shown]
	v_pk_min_f16 v64, 0x7c00, v64 op_sel_hi:[0,1]
	v_pk_add_f16 v68, v10, v30
	v_pk_min_f16 v65, 0x7c00, v65 op_sel_hi:[0,1]
	v_pk_min_f16 v66, 0x7c00, v66 op_sel_hi:[0,1]
	v_pk_min_f16 v28, 0x7c00, v28 op_sel_hi:[0,1]
	v_pk_min_f16 v67, 0x7c00, v67 op_sel_hi:[0,1]
	v_pk_add_f16 v22, v9, v29
	v_pk_min_f16 v97, v61, v12
	v_pk_min_f16 v96, v62, v13
	;; [unrolled: 1-line block ×4, first 2 shown]
	v_pk_add_f16 v12, v11, v29
	v_pk_add_f16 v13, v17, v29
	;; [unrolled: 1-line block ×4, first 2 shown]
	v_pk_min_f16 v24, 0x7c00, v24 op_sel_hi:[0,1]
	v_pk_min_f16 v68, 0x7c00, v68 op_sel_hi:[0,1]
	v_pk_add_f16 v69, v16, v30
	v_pk_add_f16 v30, v18, v30
	v_pk_add_f16 v23, v19, v25
	v_pk_min_f16 v90, v64, v22
	v_pk_add_f16 v22, v11, v31
	v_pk_min_f16 v89, v65, v12
	v_pk_min_f16 v88, v66, v13
	;; [unrolled: 1-line block ×4, first 2 shown]
	ds_load_2addr_b64 v[12:15], v44 offset0:112 offset1:120
	s_waitcnt lgkmcnt(3)
	v_pk_add_f16 v70, v8, v32
	v_pk_add_f16 v71, v10, v32
	;; [unrolled: 1-line block ×8, first 2 shown]
	s_waitcnt lgkmcnt(2)
	v_pk_add_f16 v20, v16, v38
	v_pk_min_f16 v98, v24, v23
	v_pk_min_f16 v84, v68, v22
	v_pk_add_f16 v22, v17, v31
	v_pk_add_f16 v23, v19, v31
	v_pk_min_f16 v44, 0x7c00, v69 op_sel_hi:[0,1]
	v_pk_min_f16 v30, 0x7c00, v30 op_sel_hi:[0,1]
	;; [unrolled: 1-line block ×5, first 2 shown]
	v_pk_add_f16 v82, v8, v36
	v_pk_add_f16 v21, v18, v38
	;; [unrolled: 1-line block ×8, first 2 shown]
	v_pk_min_f16 v54, 0x7c00, v70 op_sel_hi:[0,1]
	v_pk_min_f16 v55, 0x7c00, v71 op_sel_hi:[0,1]
	;; [unrolled: 1-line block ×5, first 2 shown]
	v_pk_min_f16 v85, v44, v22
	s_waitcnt lgkmcnt(1)
	v_pk_add_f16 v22, v8, v40
	v_pk_min_f16 v83, v30, v23
	v_pk_add_f16 v23, v10, v40
	v_pk_min_f16 v20, 0x7c00, v20 op_sel_hi:[0,1]
	v_pk_min_f16 v46, 0x7c00, v46 op_sel_hi:[0,1]
	;; [unrolled: 1-line block ×4, first 2 shown]
	v_pk_min_f16 v127, v45, v75
	v_pk_min_f16 v116, v49, v79
	;; [unrolled: 1-line block ×3, first 2 shown]
	v_pk_add_f16 v28, v9, v35
	v_pk_add_f16 v29, v11, v35
	;; [unrolled: 1-line block ×6, first 2 shown]
	v_pk_min_f16 v57, 0x7c00, v73 op_sel_hi:[0,1]
	v_pk_min_f16 v58, 0x7c00, v74 op_sel_hi:[0,1]
	;; [unrolled: 1-line block ×4, first 2 shown]
	v_pk_min_f16 v82, v54, v24
	v_pk_add_f16 v24, v16, v40
	v_pk_min_f16 v21, 0x7c00, v21 op_sel_hi:[0,1]
	v_pk_min_f16 v22, 0x7c00, v22 op_sel_hi:[0,1]
	v_pk_min_f16 v23, 0x7c00, v23 op_sel_hi:[0,1]
	v_pk_min_f16 v81, v55, v25
	v_pk_add_f16 v25, v18, v40
	v_pk_min_f16 v80, v56, v26
	v_pk_add_f16 v26, v8, v42
	;; [unrolled: 2-line block ×5, first 2 shown]
	v_pk_add_f16 v45, v10, v36
	v_pk_min_f16 v126, v46, v76
	v_pk_add_f16 v46, v16, v36
	v_pk_min_f16 v125, v47, v77
	v_pk_add_f16 v36, v18, v36
	v_pk_add_f16 v47, v8, v38
	v_pk_min_f16 v117, v48, v78
	v_pk_add_f16 v48, v10, v38
	v_pk_min_f16 v24, 0x7c00, v24 op_sel_hi:[0,1]
	v_pk_min_f16 v78, v57, v28
	v_pk_add_f16 v28, v16, v42
	v_pk_min_f16 v77, v58, v29
	v_pk_add_f16 v29, v18, v42
	v_pk_min_f16 v25, 0x7c00, v25 op_sel_hi:[0,1]
	v_pk_min_f16 v26, 0x7c00, v26 op_sel_hi:[0,1]
	;; [unrolled: 1-line block ×3, first 2 shown]
	v_pk_min_f16 v76, v59, v31
	s_waitcnt lgkmcnt(0)
	v_pk_add_f16 v30, v8, v12
	v_pk_add_f16 v31, v10, v12
	;; [unrolled: 1-line block ×6, first 2 shown]
	v_pk_min_f16 v67, v21, v39
	v_pk_min_f16 v66, v22, v33
	v_pk_add_f16 v21, v17, v41
	v_pk_add_f16 v22, v19, v41
	;; [unrolled: 1-line block ×3, first 2 shown]
	v_pk_min_f16 v65, v23, v20
	v_pk_add_f16 v14, v18, v14
	v_pk_add_f16 v18, v9, v43
	;; [unrolled: 1-line block ×7, first 2 shown]
	v_pk_min_f16 v45, 0x7c00, v45 op_sel_hi:[0,1]
	v_pk_min_f16 v46, 0x7c00, v46 op_sel_hi:[0,1]
	;; [unrolled: 1-line block ×12, first 2 shown]
	v_pk_min_f16 v64, v24, v21
	v_pk_min_f16 v63, v25, v22
	v_pk_min_f16 v10, 0x7c00, v10 op_sel_hi:[0,1]
	v_pk_min_f16 v16, 0x7c00, v16 op_sel_hi:[0,1]
	;; [unrolled: 1-line block ×3, first 2 shown]
	v_pk_min_f16 v62, v26, v18
	v_pk_min_f16 v61, v27, v20
	v_pk_add_f16 v18, v17, v43
	v_pk_add_f16 v20, v19, v43
	v_pk_add_f16 v21, v9, v13
	v_pk_add_f16 v22, v11, v13
	v_pk_add_f16 v23, v17, v13
	v_pk_add_f16 v13, v19, v13
	v_pk_add_f16 v9, v9, v15
	v_pk_add_f16 v11, v11, v15
	v_pk_add_f16 v17, v17, v15
	v_pk_add_f16 v15, v19, v15
	v_pk_min_f16 v74, v60, v35
	v_pk_min_f16 v73, v45, v38
	;; [unrolled: 1-line block ×16, first 2 shown]
	ds_store_b16 v108, v6 offset:1024
	ds_store_b16 v108, v7 offset:1536
	;; [unrolled: 1-line block ×4, first 2 shown]
	s_waitcnt lgkmcnt(0)
	s_barrier
	buffer_gl0_inv
	s_cbranch_scc1 .LBB267_42
; %bb.24:
	v_mad_i64_i32 v[0:1], null, v2, s19, 0
	v_mad_i64_i32 v[6:7], null, v3, s19, 0
	;; [unrolled: 1-line block ×4, first 2 shown]
	s_delay_alu instid0(VALU_DEP_4)
	v_lshlrev_b64 v[40:41], 1, v[0:1]
	v_add_nc_u32_e32 v118, 0x800, v108
	v_lshlrev_b64 v[42:43], 1, v[6:7]
	v_add_nc_u32_e32 v119, 0x800, v102
	v_lshlrev_b64 v[44:45], 1, v[2:3]
	v_add_nc_u32_e32 v120, 0x400, v108
	v_lshlrev_b64 v[46:47], 1, v[8:9]
	v_add_nc_u32_e32 v121, 0xc00, v108
	v_lshl_add_u32 v122, v91, 3, 0x400
	v_lshl_add_u32 v124, v92, 3, 0xc00
	s_add_i32 s19, s18, -8
	s_mov_b32 s21, 0
	s_branch .LBB267_26
.LBB267_25:                             ;   in Loop: Header=BB267_26 Depth=1
	s_or_b32 exec_lo, exec_lo, s8
	ds_load_2addr_b64 v[130:133], v101 offset1:32
	ds_load_2addr_b64 v[78:81], v119 offset1:8
	ds_load_2addr_b64 v[134:137], v101 offset0:64 offset1:96
	ds_load_2addr_b64 v[82:85], v119 offset0:16 offset1:24
	;; [unrolled: 1-line block ×8, first 2 shown]
	v_pk_max_f16 v9, v76, v76
	v_pk_max_f16 v11, v74, v74
	;; [unrolled: 1-line block ×11, first 2 shown]
	s_waitcnt lgkmcnt(8)
	v_pk_add_f16 v75, v130, v78
	v_pk_add_f16 v76, v132, v78
	s_waitcnt lgkmcnt(7)
	v_pk_add_f16 v77, v134, v78
	v_pk_add_f16 v78, v136, v78
	v_pk_max_f16 v58, v58, v58
	v_pk_min_f16 v9, v9, v75
	v_pk_add_f16 v75, v136, v80
	v_pk_min_f16 v11, v11, v76
	v_pk_min_f16 v49, v49, v77
	;; [unrolled: 1-line block ×3, first 2 shown]
	s_waitcnt lgkmcnt(6)
	v_pk_add_f16 v76, v132, v82
	v_pk_min_f16 v69, v69, v75
	v_pk_add_f16 v75, v130, v82
	v_pk_add_f16 v77, v134, v82
	v_pk_add_f16 v78, v136, v82
	v_pk_min_f16 v70, v70, v76
	v_pk_add_f16 v76, v134, v84
	v_pk_min_f16 v63, v63, v75
	v_pk_min_f16 v68, v68, v77
	;; [unrolled: 1-line block ×3, first 2 shown]
	v_pk_add_f16 v75, v132, v84
	v_pk_max_f16 v66, v66, v66
	v_pk_add_f16 v77, v136, v84
	v_pk_max_f16 v64, v64, v64
	s_waitcnt lgkmcnt(5)
	v_pk_add_f16 v78, v130, v86
	v_pk_max_f16 v62, v62, v62
	v_pk_min_f16 v58, v58, v75
	v_pk_min_f16 v66, v66, v76
	;; [unrolled: 1-line block ×3, first 2 shown]
	v_pk_add_f16 v75, v134, v86
	v_pk_min_f16 v62, v62, v78
	v_pk_max_f16 v53, v53, v53
	v_pk_add_f16 v76, v136, v86
	v_pk_max_f16 v61, v61, v61
	v_pk_add_f16 v77, v130, v88
	;; [unrolled: 2-line block ×3, first 2 shown]
	v_pk_max_f16 v57, v57, v57
	v_pk_min_f16 v53, v53, v75
	v_pk_min_f16 v61, v61, v76
	;; [unrolled: 1-line block ×3, first 2 shown]
	v_pk_add_f16 v75, v136, v88
	v_pk_min_f16 v57, v57, v78
	v_pk_max_f16 v37, v37, v37
	s_waitcnt lgkmcnt(4)
	v_pk_add_f16 v76, v130, v138
	v_pk_max_f16 v56, v56, v56
	v_pk_add_f16 v77, v132, v138
	v_pk_max_f16 v54, v54, v54
	;; [unrolled: 2-line block ×3, first 2 shown]
	v_pk_min_f16 v37, v37, v75
	v_pk_min_f16 v56, v56, v76
	;; [unrolled: 1-line block ×3, first 2 shown]
	v_pk_add_f16 v75, v130, v140
	v_pk_min_f16 v52, v52, v78
	v_pk_max_f16 v32, v32, v32
	v_pk_add_f16 v76, v132, v140
	v_pk_max_f16 v51, v51, v51
	v_pk_add_f16 v77, v134, v140
	v_pk_max_f16 v38, v38, v38
	v_pk_add_f16 v78, v136, v140
	v_pk_max_f16 v36, v36, v36
	v_pk_min_f16 v32, v32, v75
	v_pk_min_f16 v51, v51, v76
	;; [unrolled: 1-line block ×3, first 2 shown]
	s_waitcnt lgkmcnt(3)
	v_pk_add_f16 v75, v132, v142
	v_pk_min_f16 v36, v36, v78
	v_pk_max_f16 v27, v27, v27
	v_pk_add_f16 v76, v134, v142
	v_pk_max_f16 v35, v35, v35
	v_pk_add_f16 v77, v136, v142
	;; [unrolled: 2-line block ×3, first 2 shown]
	v_pk_max_f16 v31, v31, v31
	v_pk_min_f16 v27, v27, v75
	v_pk_min_f16 v35, v35, v76
	;; [unrolled: 1-line block ×3, first 2 shown]
	v_pk_add_f16 v75, v134, v144
	v_pk_min_f16 v31, v31, v78
	v_pk_max_f16 v22, v22, v22
	v_pk_add_f16 v76, v136, v144
	v_pk_max_f16 v30, v30, v30
	s_waitcnt lgkmcnt(2)
	v_pk_add_f16 v77, v130, v146
	v_pk_max_f16 v28, v28, v28
	v_pk_add_f16 v78, v132, v146
	v_pk_max_f16 v26, v26, v26
	v_pk_min_f16 v22, v22, v75
	v_pk_min_f16 v30, v30, v76
	;; [unrolled: 1-line block ×3, first 2 shown]
	v_pk_add_f16 v75, v136, v146
	v_pk_min_f16 v26, v26, v78
	v_pk_max_f16 v17, v17, v17
	v_pk_add_f16 v76, v130, v148
	v_pk_max_f16 v25, v25, v25
	v_pk_add_f16 v77, v132, v148
	;; [unrolled: 2-line block ×4, first 2 shown]
	v_pk_add_f16 v93, v132, v80
	v_pk_add_f16 v94, v134, v80
	;; [unrolled: 1-line block ×3, first 2 shown]
	v_pk_max_f16 v65, v65, v65
	v_pk_min_f16 v17, v17, v75
	v_pk_min_f16 v25, v25, v76
	;; [unrolled: 1-line block ×4, first 2 shown]
	s_waitcnt lgkmcnt(1)
	v_pk_add_f16 v75, v130, v150
	v_pk_max_f16 v12, v12, v12
	v_pk_add_f16 v76, v132, v150
	v_pk_max_f16 v20, v20, v20
	;; [unrolled: 2-line block ×4, first 2 shown]
	v_pk_min_f16 v65, v65, v80
	v_pk_add_f16 v80, v132, v86
	v_pk_max_f16 v60, v60, v60
	v_pk_min_f16 v12, v12, v75
	v_pk_min_f16 v20, v20, v76
	;; [unrolled: 1-line block ×4, first 2 shown]
	v_pk_add_f16 v75, v132, v152
	v_pk_max_f16 v6, v6, v6
	v_pk_add_f16 v76, v134, v152
	v_pk_max_f16 v15, v15, v15
	;; [unrolled: 2-line block ×3, first 2 shown]
	s_waitcnt lgkmcnt(0)
	v_pk_add_f16 v78, v130, v154
	v_pk_max_f16 v10, v10, v10
	v_pk_min_f16 v60, v60, v80
	v_pk_add_f16 v80, v134, v88
	v_pk_max_f16 v55, v55, v55
	v_pk_min_f16 v6, v6, v75
	v_pk_min_f16 v15, v15, v76
	;; [unrolled: 1-line block ×4, first 2 shown]
	v_pk_add_f16 v75, v134, v154
	v_pk_max_f16 v2, v2, v2
	v_pk_add_f16 v76, v136, v154
	v_pk_max_f16 v7, v7, v7
	;; [unrolled: 2-line block ×4, first 2 shown]
	v_pk_max_f16 v71, v71, v71
	v_pk_min_f16 v55, v55, v80
	v_pk_add_f16 v80, v136, v138
	v_pk_max_f16 v39, v39, v39
	v_pk_min_f16 v2, v2, v75
	v_pk_min_f16 v7, v7, v76
	;; [unrolled: 1-line block ×4, first 2 shown]
	v_pk_add_f16 v75, v136, v156
	v_pk_max_f16 v1, v1, v1
	v_pk_add_f16 v76, v131, v79
	v_pk_add_f16 v77, v133, v79
	;; [unrolled: 1-line block ×4, first 2 shown]
	v_pk_min_f16 v73, v73, v90
	v_pk_min_f16 v74, v74, v93
	;; [unrolled: 1-line block ×4, first 2 shown]
	v_pk_add_f16 v80, v130, v142
	v_pk_max_f16 v34, v34, v34
	v_pk_min_f16 v1, v1, v75
	v_pk_min_f16 v127, v9, v76
	v_pk_min_f16 v126, v11, v77
	v_pk_min_f16 v125, v49, v78
	v_pk_min_f16 v123, v72, v79
	v_pk_add_f16 v9, v131, v81
	v_pk_add_f16 v11, v133, v81
	v_pk_add_f16 v49, v135, v81
	v_pk_add_f16 v72, v137, v81
	v_pk_add_f16 v75, v131, v83
	v_pk_min_f16 v34, v34, v80
	v_pk_add_f16 v80, v132, v144
	v_pk_max_f16 v29, v29, v29
	v_pk_min_f16 v117, v73, v9
	v_pk_min_f16 v116, v74, v11
	v_pk_min_f16 v115, v71, v49
	v_pk_min_f16 v114, v69, v72
	v_pk_min_f16 v113, v63, v75
	v_pk_add_f16 v9, v133, v83
	v_pk_add_f16 v11, v135, v83
	v_pk_add_f16 v49, v137, v83
	v_pk_add_f16 v63, v131, v85
	v_pk_add_f16 v69, v133, v85
	v_pk_min_f16 v29, v29, v80
	v_pk_add_f16 v80, v134, v146
	v_pk_max_f16 v24, v24, v24
	v_pk_min_f16 v112, v70, v9
	v_pk_min_f16 v111, v68, v11
	v_pk_min_f16 v110, v67, v49
	v_pk_min_f16 v109, v65, v63
	v_pk_min_f16 v107, v58, v69
	v_pk_add_f16 v9, v135, v85
	v_pk_add_f16 v11, v137, v85
	v_pk_add_f16 v49, v131, v87
	v_pk_add_f16 v58, v133, v87
	v_pk_add_f16 v63, v135, v87
	v_pk_min_f16 v24, v24, v80
	v_pk_add_f16 v80, v136, v148
	v_pk_max_f16 v19, v19, v19
	v_pk_min_f16 v106, v66, v9
	v_pk_min_f16 v105, v64, v11
	v_pk_min_f16 v104, v62, v49
	v_pk_min_f16 v103, v60, v58
	v_pk_min_f16 v100, v53, v63
	v_pk_add_f16 v9, v137, v87
	v_pk_add_f16 v11, v131, v89
	v_pk_add_f16 v49, v133, v89
	v_pk_add_f16 v53, v135, v89
	v_pk_add_f16 v58, v137, v89
	v_pk_min_f16 v19, v19, v80
	v_pk_add_f16 v80, v130, v152
	v_pk_max_f16 v14, v14, v14
	v_pk_min_f16 v98, v61, v9
	v_pk_min_f16 v97, v59, v11
	v_pk_min_f16 v96, v57, v49
	v_pk_min_f16 v94, v55, v53
	v_pk_min_f16 v93, v37, v58
	v_pk_add_f16 v9, v131, v139
	v_pk_add_f16 v11, v133, v139
	v_pk_add_f16 v37, v135, v139
	v_pk_add_f16 v49, v137, v139
	v_pk_add_f16 v53, v131, v141
	v_pk_min_f16 v14, v14, v80
	v_pk_add_f16 v80, v132, v154
	v_pk_max_f16 v8, v8, v8
	v_pk_min_f16 v90, v56, v9
	v_pk_min_f16 v89, v54, v11
	v_pk_min_f16 v88, v52, v37
	v_pk_min_f16 v87, v39, v49
	v_pk_min_f16 v86, v32, v53
	v_pk_add_f16 v9, v133, v141
	v_pk_add_f16 v11, v135, v141
	v_pk_add_f16 v32, v137, v141
	v_pk_add_f16 v37, v131, v143
	v_pk_add_f16 v39, v133, v143
	v_pk_min_f16 v8, v8, v80
	v_pk_add_f16 v80, v134, v156
	v_pk_max_f16 v3, v3, v3
	v_pk_min_f16 v84, v51, v9
	v_pk_min_f16 v85, v38, v11
	v_pk_min_f16 v83, v36, v32
	v_pk_min_f16 v82, v34, v37
	v_pk_min_f16 v81, v27, v39
	v_pk_add_f16 v9, v135, v143
	v_pk_add_f16 v11, v137, v143
	v_pk_add_f16 v27, v131, v145
	v_pk_add_f16 v32, v133, v145
	v_pk_add_f16 v34, v135, v145
	v_pk_min_f16 v3, v3, v80
	v_pk_min_f16 v80, v35, v9
	v_pk_min_f16 v79, v33, v11
	v_pk_min_f16 v78, v31, v27
	v_pk_min_f16 v77, v29, v32
	v_pk_min_f16 v76, v22, v34
	v_pk_add_f16 v9, v137, v145
	v_pk_add_f16 v11, v131, v147
	v_pk_add_f16 v22, v133, v147
	v_pk_add_f16 v27, v135, v147
	v_pk_add_f16 v29, v137, v147
	v_pk_min_f16 v75, v30, v9
	v_pk_min_f16 v74, v28, v11
	v_pk_min_f16 v73, v26, v22
	v_pk_min_f16 v72, v24, v27
	v_pk_min_f16 v71, v17, v29
	v_pk_add_f16 v9, v131, v149
	v_pk_add_f16 v11, v133, v149
	v_pk_add_f16 v17, v135, v149
	v_pk_add_f16 v22, v137, v149
	v_pk_add_f16 v24, v131, v151
	;; [unrolled: 10-line block ×5, first 2 shown]
	v_pk_min_f16 v55, v7, v2
	v_pk_min_f16 v54, v5, v6
	;; [unrolled: 1-line block ×5, first 2 shown]
	s_add_i32 s21, s21, 8
	ds_store_b16 v120, v128
	ds_store_b16 v120, v129 offset:512
	ds_store_b16 v121, v48
	ds_store_b16 v121, v0 offset:512
	s_cmp_ge_i32 s21, s19
	s_waitcnt lgkmcnt(0)
	s_barrier
	buffer_gl0_inv
	s_cbranch_scc1 .LBB267_42
.LBB267_26:                             ; =>This Inner Loop Header: Depth=1
	v_add_nc_u32_e32 v2, s21, v99
	s_delay_alu instid0(VALU_DEP_1) | instskip(NEXT) | instid1(VALU_DEP_1)
	v_add_nc_u32_e32 v3, 8, v2
	v_min_i32_e32 v0, s15, v3
	v_cmp_le_i32_e64 s7, s18, v3
	s_delay_alu instid0(VALU_DEP_2) | instskip(NEXT) | instid1(VALU_DEP_1)
	v_ashrrev_i32_e32 v1, 31, v0
	v_lshlrev_b64 v[0:1], 1, v[0:1]
	s_delay_alu instid0(VALU_DEP_1) | instskip(NEXT) | instid1(VALU_DEP_1)
	v_add_co_u32 v3, s8, s24, v0
	v_add_co_ci_u32_e64 v4, s8, s25, v1, s8
	s_or_b32 s8, s3, s7
	s_delay_alu instid0(SALU_CYCLE_1) | instskip(SKIP_1) | instid1(SALU_CYCLE_1)
	v_cndmask_b32_e64 v128, 0, 0x7c00, s8
	s_or_b32 s8, vcc_lo, s8
	s_xor_b32 s8, s8, -1
	s_delay_alu instid0(SALU_CYCLE_1)
	s_and_saveexec_b32 s26, s8
	s_cbranch_execz .LBB267_28
; %bb.27:                               ;   in Loop: Header=BB267_26 Depth=1
	v_add_co_u32 v5, s8, v3, v40
	s_delay_alu instid0(VALU_DEP_1)
	v_add_co_ci_u32_e64 v6, s8, v4, v41, s8
	flat_load_u16 v5, v[5:6]
	s_waitcnt vmcnt(0) lgkmcnt(0)
	v_mul_f16_e64 v128, v95, v5
.LBB267_28:                             ;   in Loop: Header=BB267_26 Depth=1
	s_or_b32 exec_lo, exec_lo, s26
	s_or_b32 s8, s4, s7
	s_delay_alu instid0(SALU_CYCLE_1) | instskip(SKIP_1) | instid1(SALU_CYCLE_1)
	v_cndmask_b32_e64 v129, 0, 0x7c00, s8
	s_or_b32 s8, vcc_lo, s8
	s_xor_b32 s8, s8, -1
	s_delay_alu instid0(SALU_CYCLE_1)
	s_and_saveexec_b32 s26, s8
	s_cbranch_execz .LBB267_30
; %bb.29:                               ;   in Loop: Header=BB267_26 Depth=1
	v_add_co_u32 v3, s8, v3, v42
	s_delay_alu instid0(VALU_DEP_1)
	v_add_co_ci_u32_e64 v4, s8, v4, v43, s8
	flat_load_u16 v3, v[3:4]
	s_waitcnt vmcnt(0) lgkmcnt(0)
	v_mul_f16_e64 v129, v95, v3
.LBB267_30:                             ;   in Loop: Header=BB267_26 Depth=1
	s_or_b32 exec_lo, exec_lo, s26
	v_add_co_u32 v0, s8, s22, v0
	s_delay_alu instid0(VALU_DEP_1) | instskip(SKIP_1) | instid1(SALU_CYCLE_1)
	v_add_co_ci_u32_e64 v1, s8, s23, v1, s8
	s_or_b32 s8, s5, s7
	v_cndmask_b32_e64 v130, 0, 0x7c00, s8
	s_or_b32 s8, vcc_lo, s8
	s_delay_alu instid0(SALU_CYCLE_1) | instskip(NEXT) | instid1(SALU_CYCLE_1)
	s_xor_b32 s8, s8, -1
	s_and_saveexec_b32 s26, s8
	s_cbranch_execz .LBB267_32
; %bb.31:                               ;   in Loop: Header=BB267_26 Depth=1
	v_add_co_u32 v3, s8, v0, v44
	s_delay_alu instid0(VALU_DEP_1)
	v_add_co_ci_u32_e64 v4, s8, v1, v45, s8
	flat_load_u16 v3, v[3:4]
	s_waitcnt vmcnt(0) lgkmcnt(0)
	v_mul_f16_e64 v130, v95, v3
.LBB267_32:                             ;   in Loop: Header=BB267_26 Depth=1
	s_or_b32 exec_lo, exec_lo, s26
	s_or_b32 s7, s6, s7
	s_delay_alu instid0(SALU_CYCLE_1) | instskip(SKIP_1) | instid1(SALU_CYCLE_1)
	v_cndmask_b32_e64 v131, 0, 0x7c00, s7
	s_or_b32 s7, vcc_lo, s7
	s_xor_b32 s7, s7, -1
	s_delay_alu instid0(SALU_CYCLE_1)
	s_and_saveexec_b32 s8, s7
	s_cbranch_execz .LBB267_34
; %bb.33:                               ;   in Loop: Header=BB267_26 Depth=1
	v_add_co_u32 v0, s7, v0, v46
	s_delay_alu instid0(VALU_DEP_1)
	v_add_co_ci_u32_e64 v1, s7, v1, v47, s7
	flat_load_u16 v0, v[0:1]
	s_waitcnt vmcnt(0) lgkmcnt(0)
	v_mul_f16_e64 v131, v95, v0
.LBB267_34:                             ;   in Loop: Header=BB267_26 Depth=1
	s_or_b32 exec_lo, exec_lo, s8
	v_add_nc_u32_e32 v132, 12, v2
	ds_load_2addr_b64 v[4:7], v122 offset1:32
	ds_load_2addr_b64 v[0:3], v122 offset0:64 offset1:96
	ds_load_2addr_b64 v[36:39], v124 offset1:8
	ds_load_2addr_b64 v[32:35], v124 offset0:16 offset1:24
	ds_load_2addr_b64 v[28:31], v124 offset0:32 offset1:40
	;; [unrolled: 1-line block ×7, first 2 shown]
	ds_store_b16 v108, v128
	ds_store_b16 v108, v129 offset:512
	ds_store_b16 v118, v130
	ds_store_b16 v118, v131 offset:512
	v_min_i32_e32 v48, s15, v132
	v_cmp_le_i32_e64 s7, s18, v132
	s_waitcnt lgkmcnt(0)
	s_barrier
	buffer_gl0_inv
	v_ashrrev_i32_e32 v49, 31, v48
	s_delay_alu instid0(VALU_DEP_1) | instskip(NEXT) | instid1(VALU_DEP_1)
	v_lshlrev_b64 v[48:49], 1, v[48:49]
	v_add_co_u32 v130, s8, s24, v48
	s_delay_alu instid0(VALU_DEP_1) | instskip(SKIP_1) | instid1(SALU_CYCLE_1)
	v_add_co_ci_u32_e64 v131, s8, s25, v49, s8
	s_or_b32 s8, s3, s7
	v_cndmask_b32_e64 v128, 0, 0x7c00, s8
	s_or_b32 s8, vcc_lo, s8
	s_delay_alu instid0(SALU_CYCLE_1) | instskip(NEXT) | instid1(SALU_CYCLE_1)
	s_xor_b32 s8, s8, -1
	s_and_saveexec_b32 s26, s8
	s_delay_alu instid0(SALU_CYCLE_1)
	s_xor_b32 s26, exec_lo, s26
	s_cbranch_execz .LBB267_36
; %bb.35:                               ;   in Loop: Header=BB267_26 Depth=1
	v_add_co_u32 v128, s8, v130, v40
	s_delay_alu instid0(VALU_DEP_1)
	v_add_co_ci_u32_e64 v129, s8, v131, v41, s8
	flat_load_u16 v128, v[128:129]
	s_waitcnt vmcnt(0) lgkmcnt(0)
	v_mul_f16_e64 v128, v95, v128
.LBB267_36:                             ;   in Loop: Header=BB267_26 Depth=1
	s_or_b32 exec_lo, exec_lo, s26
	s_or_b32 s8, s4, s7
	s_delay_alu instid0(SALU_CYCLE_1) | instskip(SKIP_1) | instid1(SALU_CYCLE_1)
	v_cndmask_b32_e64 v129, 0, 0x7c00, s8
	s_or_b32 s8, vcc_lo, s8
	s_xor_b32 s8, s8, -1
	s_delay_alu instid0(SALU_CYCLE_1)
	s_and_saveexec_b32 s26, s8
	s_cbranch_execz .LBB267_38
; %bb.37:                               ;   in Loop: Header=BB267_26 Depth=1
	v_add_co_u32 v129, s8, v130, v42
	s_delay_alu instid0(VALU_DEP_1)
	v_add_co_ci_u32_e64 v130, s8, v131, v43, s8
	flat_load_u16 v129, v[129:130]
	s_waitcnt vmcnt(0) lgkmcnt(0)
	v_mul_f16_e64 v129, v95, v129
.LBB267_38:                             ;   in Loop: Header=BB267_26 Depth=1
	s_or_b32 exec_lo, exec_lo, s26
	v_add_co_u32 v130, s8, s22, v48
	s_delay_alu instid0(VALU_DEP_1) | instskip(SKIP_1) | instid1(SALU_CYCLE_1)
	v_add_co_ci_u32_e64 v49, s8, s23, v49, s8
	s_or_b32 s8, s5, s7
	v_cndmask_b32_e64 v48, 0, 0x7c00, s8
	s_or_b32 s8, vcc_lo, s8
	s_delay_alu instid0(SALU_CYCLE_1) | instskip(NEXT) | instid1(SALU_CYCLE_1)
	s_xor_b32 s8, s8, -1
	s_and_saveexec_b32 s26, s8
	s_cbranch_execz .LBB267_40
; %bb.39:                               ;   in Loop: Header=BB267_26 Depth=1
	v_add_co_u32 v131, s8, v130, v44
	s_delay_alu instid0(VALU_DEP_1)
	v_add_co_ci_u32_e64 v132, s8, v49, v45, s8
	flat_load_u16 v48, v[131:132]
	s_waitcnt vmcnt(0) lgkmcnt(0)
	v_mul_f16_e32 v48, v95, v48
.LBB267_40:                             ;   in Loop: Header=BB267_26 Depth=1
	s_or_b32 exec_lo, exec_lo, s26
	v_pk_add_f16 v131, v4, v36
	v_pk_max_f16 v127, v127, v127
	v_pk_add_f16 v132, v6, v36
	v_pk_max_f16 v126, v126, v126
	;; [unrolled: 2-line block ×3, first 2 shown]
	v_pk_min_f16 v127, v127, v131
	v_pk_add_f16 v36, v2, v36
	v_pk_min_f16 v126, v126, v132
	v_pk_max_f16 v123, v123, v123
	v_pk_min_f16 v125, v125, v133
	v_pk_add_f16 v131, v4, v38
	v_pk_max_f16 v117, v117, v117
	v_pk_add_f16 v132, v6, v38
	v_pk_add_f16 v133, v0, v38
	;; [unrolled: 1-line block ×3, first 2 shown]
	v_pk_max_f16 v114, v114, v114
	v_pk_max_f16 v116, v116, v116
	v_pk_min_f16 v36, v123, v36
	v_pk_min_f16 v117, v117, v131
	v_pk_max_f16 v113, v113, v113
	v_pk_min_f16 v38, v114, v38
	v_pk_add_f16 v114, v4, v32
	v_pk_add_f16 v123, v6, v32
	;; [unrolled: 1-line block ×4, first 2 shown]
	v_pk_max_f16 v110, v110, v110
	v_pk_min_f16 v116, v116, v132
	v_pk_max_f16 v112, v112, v112
	v_pk_max_f16 v111, v111, v111
	v_pk_add_f16 v132, v4, v34
	v_pk_min_f16 v113, v113, v114
	v_pk_min_f16 v32, v110, v32
	v_pk_add_f16 v110, v6, v34
	v_pk_max_f16 v107, v107, v107
	v_pk_add_f16 v114, v0, v34
	v_pk_add_f16 v34, v2, v34
	v_pk_max_f16 v105, v105, v105
	v_pk_min_f16 v112, v112, v123
	v_pk_min_f16 v111, v111, v131
	v_pk_max_f16 v106, v106, v106
	v_pk_add_f16 v123, v4, v28
	v_pk_max_f16 v104, v104, v104
	v_pk_add_f16 v131, v6, v28
	v_pk_min_f16 v107, v107, v110
	v_pk_min_f16 v34, v105, v34
	v_pk_add_f16 v105, v0, v28
	v_pk_max_f16 v100, v100, v100
	v_pk_add_f16 v28, v2, v28
	v_pk_max_f16 v98, v98, v98
	;; [unrolled: 2-line block ×3, first 2 shown]
	v_pk_min_f16 v106, v106, v114
	v_pk_min_f16 v104, v104, v123
	v_pk_add_f16 v114, v6, v30
	v_pk_add_f16 v123, v0, v30
	v_pk_min_f16 v100, v100, v105
	v_pk_min_f16 v28, v98, v28
	;; [unrolled: 1-line block ×3, first 2 shown]
	v_pk_add_f16 v30, v2, v30
	v_pk_max_f16 v93, v93, v93
	v_pk_add_f16 v98, v4, v24
	v_pk_max_f16 v90, v90, v90
	v_pk_add_f16 v105, v6, v24
	v_pk_add_f16 v110, v0, v24
	;; [unrolled: 1-line block ×3, first 2 shown]
	v_pk_max_f16 v87, v87, v87
	v_pk_max_f16 v89, v89, v89
	v_pk_min_f16 v30, v93, v30
	v_pk_min_f16 v90, v90, v98
	v_pk_max_f16 v86, v86, v86
	v_pk_min_f16 v24, v87, v24
	v_pk_add_f16 v87, v4, v26
	v_pk_add_f16 v93, v6, v26
	v_pk_max_f16 v84, v84, v84
	v_pk_add_f16 v98, v0, v26
	v_pk_max_f16 v85, v85, v85
	;; [unrolled: 2-line block ×3, first 2 shown]
	v_pk_min_f16 v89, v89, v105
	v_pk_add_f16 v105, v4, v20
	v_pk_min_f16 v86, v86, v87
	v_pk_min_f16 v84, v84, v93
	;; [unrolled: 1-line block ×4, first 2 shown]
	v_pk_add_f16 v83, v6, v20
	v_pk_add_f16 v87, v0, v20
	v_pk_max_f16 v80, v80, v80
	v_pk_add_f16 v20, v2, v20
	v_pk_max_f16 v79, v79, v79
	;; [unrolled: 2-line block ×4, first 2 shown]
	v_pk_max_f16 v82, v82, v82
	v_pk_max_f16 v81, v81, v81
	v_pk_min_f16 v80, v80, v87
	v_pk_min_f16 v20, v79, v20
	;; [unrolled: 1-line block ×4, first 2 shown]
	v_pk_add_f16 v77, v0, v22
	v_pk_add_f16 v22, v2, v22
	v_pk_max_f16 v75, v75, v75
	v_pk_add_f16 v87, v6, v16
	v_pk_max_f16 v73, v73, v73
	;; [unrolled: 2-line block ×3, first 2 shown]
	v_pk_max_f16 v94, v94, v94
	v_pk_min_f16 v82, v82, v105
	v_pk_min_f16 v81, v81, v83
	v_pk_add_f16 v83, v4, v16
	v_pk_min_f16 v105, v75, v22
	v_pk_min_f16 v87, v73, v87
	v_pk_min_f16 v93, v72, v93
	v_pk_add_f16 v16, v2, v16
	v_pk_max_f16 v22, v71, v71
	v_pk_add_f16 v71, v4, v18
	v_pk_add_f16 v72, v6, v18
	;; [unrolled: 1-line block ×3, first 2 shown]
	v_pk_max_f16 v68, v68, v68
	v_pk_add_f16 v18, v2, v18
	v_pk_max_f16 v67, v67, v67
	v_pk_max_f16 v103, v103, v103
	;; [unrolled: 1-line block ×3, first 2 shown]
	v_pk_min_f16 v94, v94, v123
	v_pk_max_f16 v69, v69, v69
	v_pk_min_f16 v16, v22, v16
	v_pk_min_f16 v123, v68, v73
	;; [unrolled: 1-line block ×3, first 2 shown]
	v_pk_add_f16 v22, v4, v12
	v_pk_max_f16 v66, v66, v66
	v_pk_add_f16 v67, v6, v12
	v_pk_add_f16 v68, v0, v12
	;; [unrolled: 1-line block ×3, first 2 shown]
	v_pk_max_f16 v63, v63, v63
	v_pk_min_f16 v103, v103, v131
	v_pk_min_f16 v96, v96, v114
	;; [unrolled: 1-line block ×3, first 2 shown]
	v_pk_add_f16 v69, v4, v14
	v_pk_max_f16 v62, v62, v62
	v_pk_min_f16 v131, v66, v22
	v_pk_min_f16 v134, v63, v12
	v_pk_add_f16 v12, v6, v14
	v_pk_max_f16 v22, v61, v61
	v_pk_min_f16 v135, v62, v69
	v_pk_add_f16 v62, v4, v8
	v_pk_add_f16 v63, v6, v8
	v_pk_max_f16 v115, v115, v115
	v_pk_min_f16 v136, v22, v12
	v_pk_add_f16 v12, v0, v8
	v_pk_add_f16 v8, v2, v8
	v_pk_max_f16 v22, v55, v55
	v_pk_max_f16 v76, v76, v76
	v_pk_add_f16 v61, v0, v14
	v_pk_add_f16 v14, v2, v14
	v_pk_max_f16 v59, v59, v59
	v_pk_add_f16 v6, v6, v10
	v_pk_max_f16 v53, v53, v53
	v_pk_min_f16 v142, v22, v8
	v_pk_add_f16 v8, v5, v37
	v_pk_min_f16 v115, v115, v133
	v_pk_max_f16 v88, v88, v88
	v_pk_max_f16 v74, v74, v74
	v_pk_min_f16 v98, v76, v77
	v_pk_max_f16 v70, v70, v70
	v_pk_min_f16 v138, v59, v14
	v_pk_max_f16 v14, v56, v56
	v_pk_add_f16 v4, v4, v10
	v_pk_add_f16 v0, v0, v10
	v_pk_min_f16 v143, v53, v6
	v_pk_add_f16 v2, v2, v10
	v_pk_max_f16 v6, v51, v51
	v_pk_add_f16 v10, v7, v37
	v_pk_min_f16 v76, v127, v8
	v_pk_add_f16 v8, v1, v39
	v_pk_max_f16 v109, v109, v109
	v_pk_min_f16 v88, v88, v110
	v_pk_min_f16 v83, v74, v83
	;; [unrolled: 1-line block ×3, first 2 shown]
	v_pk_max_f16 v65, v65, v65
	v_pk_min_f16 v141, v14, v12
	v_pk_add_f16 v12, v1, v37
	v_pk_min_f16 v144, v6, v2
	v_pk_min_f16 v74, v126, v10
	v_pk_add_f16 v2, v5, v39
	v_pk_add_f16 v6, v7, v39
	;; [unrolled: 1-line block ×3, first 2 shown]
	v_pk_min_f16 v71, v115, v8
	v_pk_add_f16 v8, v3, v33
	v_pk_min_f16 v109, v109, v132
	v_pk_max_f16 v64, v64, v64
	v_pk_min_f16 v132, v65, v67
	v_pk_max_f16 v58, v58, v58
	v_pk_max_f16 v57, v57, v57
	v_pk_min_f16 v73, v125, v12
	v_pk_add_f16 v12, v5, v33
	v_pk_min_f16 v77, v117, v2
	v_pk_min_f16 v75, v116, v6
	v_pk_min_f16 v69, v38, v10
	v_pk_add_f16 v2, v7, v33
	v_pk_add_f16 v6, v1, v33
	;; [unrolled: 1-line block ×3, first 2 shown]
	v_pk_min_f16 v67, v32, v8
	v_pk_add_f16 v8, v5, v29
	v_pk_min_f16 v133, v64, v68
	v_pk_max_f16 v60, v60, v60
	v_pk_min_f16 v139, v58, v62
	v_pk_min_f16 v140, v57, v63
	;; [unrolled: 1-line block ×3, first 2 shown]
	v_pk_add_f16 v12, v7, v35
	v_pk_min_f16 v70, v112, v2
	v_pk_min_f16 v68, v111, v6
	;; [unrolled: 1-line block ×3, first 2 shown]
	v_pk_add_f16 v2, v1, v35
	v_pk_add_f16 v6, v3, v35
	;; [unrolled: 1-line block ×3, first 2 shown]
	v_pk_min_f16 v62, v104, v8
	v_pk_add_f16 v8, v7, v31
	v_pk_min_f16 v137, v60, v61
	v_pk_max_f16 v52, v52, v52
	v_pk_min_f16 v58, v107, v12
	v_pk_add_f16 v12, v1, v29
	v_pk_min_f16 v66, v106, v2
	v_pk_min_f16 v64, v34, v6
	;; [unrolled: 1-line block ×3, first 2 shown]
	v_pk_add_f16 v2, v3, v29
	v_pk_add_f16 v6, v5, v31
	;; [unrolled: 1-line block ×3, first 2 shown]
	v_pk_min_f16 v57, v96, v8
	v_pk_add_f16 v8, v1, v25
	v_pk_max_f16 v54, v54, v54
	v_pk_min_f16 v0, v52, v0
	v_pk_add_f16 v14, v3, v37
	v_pk_min_f16 v53, v100, v12
	v_pk_add_f16 v12, v3, v31
	v_pk_min_f16 v61, v28, v2
	v_pk_min_f16 v59, v97, v6
	;; [unrolled: 1-line block ×3, first 2 shown]
	v_pk_add_f16 v2, v5, v25
	v_pk_add_f16 v6, v7, v25
	;; [unrolled: 1-line block ×3, first 2 shown]
	v_pk_min_f16 v52, v88, v8
	v_pk_add_f16 v8, v3, v27
	v_pk_min_f16 v4, v54, v4
	v_pk_min_f16 v72, v36, v14
	;; [unrolled: 1-line block ×3, first 2 shown]
	v_pk_add_f16 v12, v5, v27
	v_pk_min_f16 v56, v90, v2
	v_pk_min_f16 v54, v89, v6
	v_pk_min_f16 v39, v24, v10
	v_pk_add_f16 v2, v7, v27
	v_pk_add_f16 v6, v1, v27
	v_pk_add_f16 v10, v5, v21
	v_pk_min_f16 v36, v26, v8
	v_pk_add_f16 v8, v5, v23
	v_pk_min_f16 v32, v86, v12
	v_pk_add_f16 v12, v7, v21
	v_pk_min_f16 v51, v84, v2
	v_pk_min_f16 v38, v85, v6
	v_pk_min_f16 v34, v82, v10
	v_pk_add_f16 v2, v1, v21
	v_pk_add_f16 v6, v3, v21
	v_pk_add_f16 v10, v7, v23
	v_pk_min_f16 v31, v78, v8
	v_pk_add_f16 v8, v7, v17
	v_pk_min_f16 v27, v81, v12
	;; [unrolled: 10-line block ×4, first 2 shown]
	v_pk_add_f16 v12, v5, v13
	v_pk_min_f16 v25, v110, v2
	v_pk_min_f16 v23, v114, v6
	;; [unrolled: 1-line block ×3, first 2 shown]
	v_pk_add_f16 v2, v7, v13
	v_pk_add_f16 v6, v1, v13
	;; [unrolled: 1-line block ×4, first 2 shown]
	v_pk_min_f16 v16, v134, v8
	v_pk_add_f16 v8, v3, v15
	v_pk_add_f16 v78, v7, v9
	v_pk_min_f16 v20, v132, v2
	v_pk_min_f16 v18, v133, v6
	;; [unrolled: 1-line block ×4, first 2 shown]
	v_pk_add_f16 v2, v1, v15
	v_pk_add_f16 v10, v5, v9
	;; [unrolled: 1-line block ×3, first 2 shown]
	v_pk_min_f16 v13, v138, v8
	v_pk_min_f16 v8, v140, v78
	v_pk_add_f16 v9, v3, v9
	v_pk_add_f16 v5, v5, v11
	;; [unrolled: 1-line block ×5, first 2 shown]
	s_or_b32 s7, s6, s7
	v_pk_min_f16 v12, v131, v12
	v_pk_min_f16 v15, v137, v2
	v_pk_min_f16 v10, v139, v10
	v_pk_min_f16 v2, v141, v79
	v_pk_min_f16 v7, v142, v9
	v_pk_min_f16 v5, v4, v5
	v_pk_min_f16 v4, v143, v78
	v_pk_min_f16 v3, v0, v1
	v_pk_min_f16 v1, v144, v11
	v_cndmask_b32_e64 v0, 0, 0x7c00, s7
	s_or_b32 s7, vcc_lo, s7
	s_delay_alu instid0(SALU_CYCLE_1) | instskip(NEXT) | instid1(SALU_CYCLE_1)
	s_xor_b32 s7, s7, -1
	s_and_saveexec_b32 s8, s7
	s_cbranch_execz .LBB267_25
; %bb.41:                               ;   in Loop: Header=BB267_26 Depth=1
	v_add_co_u32 v78, s7, v130, v46
	s_delay_alu instid0(VALU_DEP_1)
	v_add_co_ci_u32_e64 v79, s7, v49, v47, s7
	flat_load_u16 v0, v[78:79]
	s_waitcnt vmcnt(0) lgkmcnt(0)
	v_mul_f16_e32 v0, v95, v0
	s_branch .LBB267_25
.LBB267_42:
	s_clause 0x2
	s_load_b64 s[18:19], s[0:1], 0x78
	s_load_b32 s6, s[0:1], 0x58
	s_load_b32 s5, s[0:1], 0x70
	v_add_nc_u32_e32 v4, 0x800, v102
	v_add_nc_u32_e32 v49, s14, v92
	ds_load_2addr_b64 v[8:11], v101 offset0:128 offset1:160
	ds_load_2addr_b64 v[0:3], v101 offset0:192 offset1:224
	v_add_nc_u32_e32 v40, s9, v91
	ds_load_2addr_b64 v[36:39], v4 offset0:128 offset1:136
	ds_load_2addr_b64 v[32:35], v4 offset0:144 offset1:152
	ds_load_2addr_b64 v[28:31], v4 offset0:160 offset1:168
	ds_load_2addr_b64 v[24:27], v4 offset0:176 offset1:184
	ds_load_2addr_b64 v[20:23], v4 offset0:192 offset1:200
	ds_load_2addr_b64 v[16:19], v4 offset0:208 offset1:216
	ds_load_2addr_b64 v[12:15], v4 offset0:224 offset1:232
	ds_load_2addr_b64 v[4:7], v4 offset0:240 offset1:248
	v_cmp_gt_i32_e64 s4, s17, v49
	v_cndmask_b32_e64 v48, 0, 1, s2
	v_cmp_gt_i32_e64 s0, s16, v40
	v_ashrrev_i32_e32 v41, 31, v40
	s_waitcnt lgkmcnt(0)
	s_mul_i32 s1, s20, s19
	v_mad_i64_i32 v[42:43], null, v49, s6, 0
	v_mad_i64_i32 v[44:45], null, v49, s5, 0
	s_mul_hi_u32 s3, s20, s18
	s_mul_i32 s8, s20, s18
	s_add_i32 s9, s3, s1
	s_delay_alu instid0(SALU_CYCLE_1) | instskip(NEXT) | instid1(VALU_DEP_2)
	s_lshl_b64 s[8:9], s[8:9], 1
	v_lshlrev_b64 v[42:43], 1, v[42:43]
	s_delay_alu instid0(VALU_DEP_2) | instskip(SKIP_3) | instid1(VALU_DEP_2)
	v_lshlrev_b64 v[44:45], 1, v[44:45]
	s_add_u32 s7, s10, s8
	s_addc_u32 s8, s11, s9
	s_and_b32 s1, s0, s4
	v_add_co_u32 v95, vcc_lo, s12, v42
	v_add_co_ci_u32_e32 v99, vcc_lo, s13, v43, vcc_lo
	v_add_co_u32 v91, vcc_lo, s7, v44
	v_add_co_ci_u32_e32 v92, vcc_lo, s8, v45, vcc_lo
	s_and_saveexec_b32 s3, s1
	s_delay_alu instid0(SALU_CYCLE_1)
	s_xor_b32 s1, exec_lo, s3
	s_cbranch_execz .LBB267_47
; %bb.43:
	s_and_not1_b32 vcc_lo, exec_lo, s2
	s_cbranch_vccnz .LBB267_45
; %bb.44:
	v_lshlrev_b64 v[42:43], 1, v[40:41]
	s_delay_alu instid0(VALU_DEP_1) | instskip(NEXT) | instid1(VALU_DEP_2)
	v_add_co_u32 v42, vcc_lo, v95, v42
	v_add_co_ci_u32_e32 v43, vcc_lo, v99, v43, vcc_lo
	flat_load_u16 v42, v[42:43]
	s_waitcnt vmcnt(0) lgkmcnt(0)
	v_mul_f16_e32 v42, v50, v42
	s_branch .LBB267_46
.LBB267_45:
	v_mov_b32_e32 v42, 0
.LBB267_46:
	v_pk_add_f16 v43, v8, v36
	v_pk_max_f16 v44, v127, v127
	v_pk_add_f16 v45, v9, v37
	s_delay_alu instid0(VALU_DEP_2) | instskip(NEXT) | instid1(VALU_DEP_1)
	v_pk_min_f16 v43, v44, v43
	v_pk_min_f16 v45, v43, v45
	v_lshlrev_b64 v[43:44], 1, v[40:41]
	s_delay_alu instid0(VALU_DEP_2) | instskip(NEXT) | instid1(VALU_DEP_1)
	v_lshrrev_b32_e32 v46, 16, v45
	v_min3_f16 v45, v42, v45, v46
	s_delay_alu instid0(VALU_DEP_3) | instskip(NEXT) | instid1(VALU_DEP_4)
	v_add_co_u32 v42, vcc_lo, v91, v43
	v_add_co_ci_u32_e32 v43, vcc_lo, v92, v44, vcc_lo
	global_store_b16 v[42:43], v45, off
.LBB267_47:
	s_or_b32 exec_lo, exec_lo, s1
	v_add_nc_u32_e32 v42, 32, v40
	s_delay_alu instid0(VALU_DEP_1) | instskip(SKIP_1) | instid1(VALU_DEP_2)
	v_cmp_gt_i32_e64 s1, s16, v42
	v_ashrrev_i32_e32 v43, 31, v42
	s_and_b32 s3, s1, s4
	s_delay_alu instid0(SALU_CYCLE_1)
	s_and_saveexec_b32 s2, s3
	s_cbranch_execz .LBB267_52
; %bb.48:
	v_cmp_ne_u32_e32 vcc_lo, 1, v48
	s_cbranch_vccnz .LBB267_50
; %bb.49:
	v_lshlrev_b64 v[44:45], 1, v[42:43]
	s_delay_alu instid0(VALU_DEP_1) | instskip(NEXT) | instid1(VALU_DEP_2)
	v_add_co_u32 v44, vcc_lo, v95, v44
	v_add_co_ci_u32_e32 v45, vcc_lo, v99, v45, vcc_lo
	flat_load_u16 v44, v[44:45]
	s_waitcnt vmcnt(0) lgkmcnt(0)
	v_mul_f16_e32 v44, v50, v44
	s_branch .LBB267_51
.LBB267_50:
	v_mov_b32_e32 v44, 0
.LBB267_51:
	v_pk_add_f16 v45, v10, v36
	v_pk_max_f16 v46, v126, v126
	v_pk_add_f16 v47, v11, v37
	s_delay_alu instid0(VALU_DEP_2) | instskip(NEXT) | instid1(VALU_DEP_1)
	v_pk_min_f16 v45, v46, v45
	v_pk_min_f16 v47, v45, v47
	v_lshlrev_b64 v[45:46], 1, v[42:43]
	s_delay_alu instid0(VALU_DEP_2) | instskip(NEXT) | instid1(VALU_DEP_1)
	v_lshrrev_b32_e32 v101, 16, v47
	v_min3_f16 v47, v44, v47, v101
	s_delay_alu instid0(VALU_DEP_3) | instskip(NEXT) | instid1(VALU_DEP_4)
	v_add_co_u32 v44, vcc_lo, v91, v45
	v_add_co_ci_u32_e32 v45, vcc_lo, v92, v46, vcc_lo
	global_store_b16 v[44:45], v47, off
.LBB267_52:
	s_or_b32 exec_lo, exec_lo, s2
	v_add_nc_u32_e32 v44, 64, v40
	s_delay_alu instid0(VALU_DEP_1) | instskip(SKIP_1) | instid1(VALU_DEP_2)
	v_cmp_gt_i32_e64 s2, s16, v44
	v_ashrrev_i32_e32 v45, 31, v44
	s_and_b32 s9, s2, s4
	s_delay_alu instid0(SALU_CYCLE_1)
	s_and_saveexec_b32 s3, s9
	s_cbranch_execz .LBB267_57
; %bb.53:
	v_cmp_ne_u32_e32 vcc_lo, 1, v48
	s_cbranch_vccnz .LBB267_55
; %bb.54:
	v_lshlrev_b64 v[46:47], 1, v[44:45]
	s_delay_alu instid0(VALU_DEP_1) | instskip(NEXT) | instid1(VALU_DEP_2)
	v_add_co_u32 v46, vcc_lo, v95, v46
	v_add_co_ci_u32_e32 v47, vcc_lo, v99, v47, vcc_lo
	flat_load_u16 v46, v[46:47]
	s_waitcnt vmcnt(0) lgkmcnt(0)
	v_mul_f16_e32 v46, v50, v46
	s_branch .LBB267_56
.LBB267_55:
	v_mov_b32_e32 v46, 0
.LBB267_56:
	v_pk_add_f16 v47, v0, v36
	v_pk_max_f16 v101, v125, v125
	v_pk_add_f16 v102, v1, v37
	s_delay_alu instid0(VALU_DEP_2) | instskip(NEXT) | instid1(VALU_DEP_1)
	v_pk_min_f16 v47, v101, v47
	v_pk_min_f16 v47, v47, v102
	v_lshlrev_b64 v[101:102], 1, v[44:45]
	s_delay_alu instid0(VALU_DEP_2) | instskip(NEXT) | instid1(VALU_DEP_1)
	v_lshrrev_b32_e32 v108, 16, v47
	v_min3_f16 v108, v46, v47, v108
	s_delay_alu instid0(VALU_DEP_3) | instskip(NEXT) | instid1(VALU_DEP_4)
	v_add_co_u32 v46, vcc_lo, v91, v101
	v_add_co_ci_u32_e32 v47, vcc_lo, v92, v102, vcc_lo
	global_store_b16 v[46:47], v108, off
.LBB267_57:
	s_or_b32 exec_lo, exec_lo, s3
	v_add_nc_u32_e32 v46, 0x60, v40
	s_delay_alu instid0(VALU_DEP_1) | instskip(SKIP_1) | instid1(VALU_DEP_2)
	v_cmp_gt_i32_e64 s3, s16, v46
	v_ashrrev_i32_e32 v47, 31, v46
	s_and_b32 s9, s3, s4
	s_delay_alu instid0(SALU_CYCLE_1)
	s_and_saveexec_b32 s4, s9
	s_cbranch_execz .LBB267_62
; %bb.58:
	v_cmp_ne_u32_e32 vcc_lo, 1, v48
	s_cbranch_vccnz .LBB267_60
; %bb.59:
	v_lshlrev_b64 v[101:102], 1, v[46:47]
	s_delay_alu instid0(VALU_DEP_1) | instskip(NEXT) | instid1(VALU_DEP_2)
	v_add_co_u32 v101, vcc_lo, v95, v101
	v_add_co_ci_u32_e32 v102, vcc_lo, v99, v102, vcc_lo
	flat_load_u16 v95, v[101:102]
	s_waitcnt vmcnt(0) lgkmcnt(0)
	v_mul_f16_e32 v95, v50, v95
	s_branch .LBB267_61
.LBB267_60:
	v_mov_b32_e32 v95, 0
.LBB267_61:
	v_pk_add_f16 v36, v2, v36
	v_pk_max_f16 v99, v123, v123
	v_pk_add_f16 v37, v3, v37
	s_delay_alu instid0(VALU_DEP_2) | instskip(NEXT) | instid1(VALU_DEP_1)
	v_pk_min_f16 v36, v99, v36
	v_pk_min_f16 v99, v36, v37
	v_lshlrev_b64 v[36:37], 1, v[46:47]
	s_delay_alu instid0(VALU_DEP_2) | instskip(NEXT) | instid1(VALU_DEP_2)
	v_lshrrev_b32_e32 v101, 16, v99
	v_add_co_u32 v36, vcc_lo, v91, v36
	s_delay_alu instid0(VALU_DEP_3) | instskip(NEXT) | instid1(VALU_DEP_3)
	v_add_co_ci_u32_e32 v37, vcc_lo, v92, v37, vcc_lo
	v_min3_f16 v95, v95, v99, v101
	global_store_b16 v[36:37], v95, off
.LBB267_62:
	s_or_b32 exec_lo, exec_lo, s4
	v_add_nc_u32_e32 v95, 8, v49
	s_delay_alu instid0(VALU_DEP_1) | instskip(SKIP_2) | instid1(VALU_DEP_3)
	v_mad_i64_i32 v[36:37], null, v95, s6, 0
	v_mad_i64_i32 v[91:92], null, v95, s5, 0
	v_cmp_gt_i32_e64 s4, s17, v95
	v_lshlrev_b64 v[36:37], 1, v[36:37]
	s_delay_alu instid0(VALU_DEP_2) | instskip(NEXT) | instid1(VALU_DEP_3)
	s_and_b32 s10, s0, s4
	v_lshlrev_b64 v[101:102], 1, v[91:92]
	s_delay_alu instid0(VALU_DEP_2) | instskip(NEXT) | instid1(VALU_DEP_3)
	v_add_co_u32 v91, vcc_lo, s12, v36
	v_add_co_ci_u32_e32 v92, vcc_lo, s13, v37, vcc_lo
	s_delay_alu instid0(VALU_DEP_3) | instskip(NEXT) | instid1(VALU_DEP_4)
	v_add_co_u32 v36, vcc_lo, s7, v101
	v_add_co_ci_u32_e32 v37, vcc_lo, s8, v102, vcc_lo
	s_and_saveexec_b32 s9, s10
	s_cbranch_execnz .LBB267_66
; %bb.63:
	s_or_b32 exec_lo, exec_lo, s9
	s_and_b32 s10, s1, s4
	s_delay_alu instid0(SALU_CYCLE_1)
	s_and_saveexec_b32 s9, s10
	s_cbranch_execnz .LBB267_70
.LBB267_64:
	s_or_b32 exec_lo, exec_lo, s9
	s_and_b32 s10, s2, s4
	s_delay_alu instid0(SALU_CYCLE_1)
	s_and_saveexec_b32 s9, s10
	s_cbranch_execnz .LBB267_74
.LBB267_65:
	s_or_b32 exec_lo, exec_lo, s9
	s_and_b32 s9, s3, s4
	s_delay_alu instid0(SALU_CYCLE_1)
	s_and_saveexec_b32 s4, s9
	s_cbranch_execnz .LBB267_78
	s_branch .LBB267_82
.LBB267_66:
	v_cmp_ne_u32_e32 vcc_lo, 1, v48
	s_cbranch_vccnz .LBB267_68
; %bb.67:
	v_lshlrev_b64 v[101:102], 1, v[40:41]
	s_delay_alu instid0(VALU_DEP_1) | instskip(NEXT) | instid1(VALU_DEP_2)
	v_add_co_u32 v101, vcc_lo, v91, v101
	v_add_co_ci_u32_e32 v102, vcc_lo, v92, v102, vcc_lo
	flat_load_u16 v95, v[101:102]
	s_waitcnt vmcnt(0) lgkmcnt(0)
	v_mul_f16_e32 v95, v50, v95
	s_branch .LBB267_69
.LBB267_68:
	v_mov_b32_e32 v95, 0
.LBB267_69:
	v_pk_add_f16 v99, v8, v38
	v_pk_max_f16 v101, v117, v117
	v_pk_add_f16 v102, v9, v39
	s_delay_alu instid0(VALU_DEP_2) | instskip(NEXT) | instid1(VALU_DEP_1)
	v_pk_min_f16 v99, v101, v99
	v_pk_min_f16 v99, v99, v102
	v_lshlrev_b64 v[101:102], 1, v[40:41]
	s_delay_alu instid0(VALU_DEP_2) | instskip(NEXT) | instid1(VALU_DEP_2)
	v_lshrrev_b32_e32 v108, 16, v99
	v_add_co_u32 v101, vcc_lo, v36, v101
	s_delay_alu instid0(VALU_DEP_3) | instskip(NEXT) | instid1(VALU_DEP_3)
	v_add_co_ci_u32_e32 v102, vcc_lo, v37, v102, vcc_lo
	v_min3_f16 v95, v95, v99, v108
	global_store_b16 v[101:102], v95, off
	s_or_b32 exec_lo, exec_lo, s9
	s_and_b32 s10, s1, s4
	s_delay_alu instid0(SALU_CYCLE_1)
	s_and_saveexec_b32 s9, s10
	s_cbranch_execz .LBB267_64
.LBB267_70:
	v_cmp_ne_u32_e32 vcc_lo, 1, v48
	s_cbranch_vccnz .LBB267_72
; %bb.71:
	v_lshlrev_b64 v[101:102], 1, v[42:43]
	s_delay_alu instid0(VALU_DEP_1) | instskip(NEXT) | instid1(VALU_DEP_2)
	v_add_co_u32 v101, vcc_lo, v91, v101
	v_add_co_ci_u32_e32 v102, vcc_lo, v92, v102, vcc_lo
	flat_load_u16 v95, v[101:102]
	s_waitcnt vmcnt(0) lgkmcnt(0)
	v_mul_f16_e32 v95, v50, v95
	s_branch .LBB267_73
.LBB267_72:
	v_mov_b32_e32 v95, 0
.LBB267_73:
	v_pk_add_f16 v99, v10, v38
	v_pk_max_f16 v101, v116, v116
	v_pk_add_f16 v102, v11, v39
	s_delay_alu instid0(VALU_DEP_2) | instskip(NEXT) | instid1(VALU_DEP_1)
	v_pk_min_f16 v99, v101, v99
	v_pk_min_f16 v99, v99, v102
	v_lshlrev_b64 v[101:102], 1, v[42:43]
	s_delay_alu instid0(VALU_DEP_2) | instskip(NEXT) | instid1(VALU_DEP_2)
	v_lshrrev_b32_e32 v108, 16, v99
	v_add_co_u32 v101, vcc_lo, v36, v101
	s_delay_alu instid0(VALU_DEP_3) | instskip(NEXT) | instid1(VALU_DEP_3)
	v_add_co_ci_u32_e32 v102, vcc_lo, v37, v102, vcc_lo
	v_min3_f16 v95, v95, v99, v108
	global_store_b16 v[101:102], v95, off
	s_or_b32 exec_lo, exec_lo, s9
	s_and_b32 s10, s2, s4
	s_delay_alu instid0(SALU_CYCLE_1)
	s_and_saveexec_b32 s9, s10
	s_cbranch_execz .LBB267_65
.LBB267_74:
	v_cmp_ne_u32_e32 vcc_lo, 1, v48
	s_cbranch_vccnz .LBB267_76
; %bb.75:
	v_lshlrev_b64 v[101:102], 1, v[44:45]
	s_delay_alu instid0(VALU_DEP_1) | instskip(NEXT) | instid1(VALU_DEP_2)
	v_add_co_u32 v101, vcc_lo, v91, v101
	v_add_co_ci_u32_e32 v102, vcc_lo, v92, v102, vcc_lo
	flat_load_u16 v95, v[101:102]
	s_waitcnt vmcnt(0) lgkmcnt(0)
	v_mul_f16_e32 v95, v50, v95
	s_branch .LBB267_77
.LBB267_76:
	v_mov_b32_e32 v95, 0
.LBB267_77:
	v_pk_add_f16 v99, v0, v38
	v_pk_max_f16 v101, v115, v115
	v_pk_add_f16 v102, v1, v39
	s_delay_alu instid0(VALU_DEP_2) | instskip(NEXT) | instid1(VALU_DEP_1)
	v_pk_min_f16 v99, v101, v99
	v_pk_min_f16 v99, v99, v102
	v_lshlrev_b64 v[101:102], 1, v[44:45]
	s_delay_alu instid0(VALU_DEP_2) | instskip(NEXT) | instid1(VALU_DEP_2)
	v_lshrrev_b32_e32 v108, 16, v99
	v_add_co_u32 v101, vcc_lo, v36, v101
	s_delay_alu instid0(VALU_DEP_3) | instskip(NEXT) | instid1(VALU_DEP_3)
	v_add_co_ci_u32_e32 v102, vcc_lo, v37, v102, vcc_lo
	v_min3_f16 v95, v95, v99, v108
	global_store_b16 v[101:102], v95, off
	s_or_b32 exec_lo, exec_lo, s9
	s_and_b32 s9, s3, s4
	s_delay_alu instid0(SALU_CYCLE_1)
	s_and_saveexec_b32 s4, s9
	s_cbranch_execz .LBB267_82
.LBB267_78:
	v_cmp_ne_u32_e32 vcc_lo, 1, v48
	s_cbranch_vccnz .LBB267_80
; %bb.79:
	v_lshlrev_b64 v[101:102], 1, v[46:47]
	s_delay_alu instid0(VALU_DEP_1) | instskip(NEXT) | instid1(VALU_DEP_2)
	v_add_co_u32 v91, vcc_lo, v91, v101
	v_add_co_ci_u32_e32 v92, vcc_lo, v92, v102, vcc_lo
	flat_load_u16 v91, v[91:92]
	s_waitcnt vmcnt(0) lgkmcnt(0)
	v_mul_f16_e32 v91, v50, v91
	s_branch .LBB267_81
.LBB267_80:
	v_mov_b32_e32 v91, 0
.LBB267_81:
	v_pk_add_f16 v38, v2, v38
	v_pk_max_f16 v92, v114, v114
	v_pk_add_f16 v39, v3, v39
	s_delay_alu instid0(VALU_DEP_2) | instskip(NEXT) | instid1(VALU_DEP_1)
	v_pk_min_f16 v38, v92, v38
	v_pk_min_f16 v92, v38, v39
	v_lshlrev_b64 v[38:39], 1, v[46:47]
	s_delay_alu instid0(VALU_DEP_2) | instskip(NEXT) | instid1(VALU_DEP_2)
	v_lshrrev_b32_e32 v95, 16, v92
	v_add_co_u32 v36, vcc_lo, v36, v38
	s_delay_alu instid0(VALU_DEP_3) | instskip(NEXT) | instid1(VALU_DEP_3)
	v_add_co_ci_u32_e32 v37, vcc_lo, v37, v39, vcc_lo
	v_min3_f16 v91, v91, v92, v95
	global_store_b16 v[36:37], v91, off
.LBB267_82:
	s_or_b32 exec_lo, exec_lo, s4
	v_add_nc_u32_e32 v91, 16, v49
	s_delay_alu instid0(VALU_DEP_1) | instskip(SKIP_2) | instid1(VALU_DEP_3)
	v_mad_i64_i32 v[36:37], null, v91, s6, 0
	v_mad_i64_i32 v[38:39], null, v91, s5, 0
	v_cmp_gt_i32_e64 s4, s17, v91
	v_lshlrev_b64 v[36:37], 1, v[36:37]
	s_delay_alu instid0(VALU_DEP_2) | instskip(NEXT) | instid1(VALU_DEP_3)
	s_and_b32 s10, s0, s4
	v_lshlrev_b64 v[91:92], 1, v[38:39]
	s_delay_alu instid0(VALU_DEP_2) | instskip(NEXT) | instid1(VALU_DEP_3)
	v_add_co_u32 v38, vcc_lo, s12, v36
	v_add_co_ci_u32_e32 v39, vcc_lo, s13, v37, vcc_lo
	s_delay_alu instid0(VALU_DEP_3) | instskip(NEXT) | instid1(VALU_DEP_4)
	v_add_co_u32 v36, vcc_lo, s7, v91
	v_add_co_ci_u32_e32 v37, vcc_lo, s8, v92, vcc_lo
	s_and_saveexec_b32 s9, s10
	s_cbranch_execnz .LBB267_86
; %bb.83:
	s_or_b32 exec_lo, exec_lo, s9
	s_and_b32 s10, s1, s4
	s_delay_alu instid0(SALU_CYCLE_1)
	s_and_saveexec_b32 s9, s10
	s_cbranch_execnz .LBB267_90
.LBB267_84:
	s_or_b32 exec_lo, exec_lo, s9
	s_and_b32 s10, s2, s4
	s_delay_alu instid0(SALU_CYCLE_1)
	s_and_saveexec_b32 s9, s10
	s_cbranch_execnz .LBB267_94
.LBB267_85:
	s_or_b32 exec_lo, exec_lo, s9
	s_and_b32 s9, s3, s4
	s_delay_alu instid0(SALU_CYCLE_1)
	s_and_saveexec_b32 s4, s9
	s_cbranch_execnz .LBB267_98
	s_branch .LBB267_102
.LBB267_86:
	v_cmp_ne_u32_e32 vcc_lo, 1, v48
	s_cbranch_vccnz .LBB267_88
; %bb.87:
	v_lshlrev_b64 v[91:92], 1, v[40:41]
	s_delay_alu instid0(VALU_DEP_1) | instskip(NEXT) | instid1(VALU_DEP_2)
	v_add_co_u32 v91, vcc_lo, v38, v91
	v_add_co_ci_u32_e32 v92, vcc_lo, v39, v92, vcc_lo
	flat_load_u16 v91, v[91:92]
	s_waitcnt vmcnt(0) lgkmcnt(0)
	v_mul_f16_e32 v91, v50, v91
	s_branch .LBB267_89
.LBB267_88:
	v_mov_b32_e32 v91, 0
.LBB267_89:
	v_pk_add_f16 v92, v8, v32
	v_pk_max_f16 v95, v113, v113
	v_pk_add_f16 v99, v9, v33
	v_lshlrev_b64 v[101:102], 1, v[40:41]
	s_delay_alu instid0(VALU_DEP_3) | instskip(NEXT) | instid1(VALU_DEP_1)
	v_pk_min_f16 v92, v95, v92
	v_pk_min_f16 v92, v92, v99
	s_delay_alu instid0(VALU_DEP_1) | instskip(NEXT) | instid1(VALU_DEP_1)
	v_lshrrev_b32_e32 v95, 16, v92
	v_min3_f16 v95, v91, v92, v95
	v_add_co_u32 v91, vcc_lo, v36, v101
	v_add_co_ci_u32_e32 v92, vcc_lo, v37, v102, vcc_lo
	global_store_b16 v[91:92], v95, off
	s_or_b32 exec_lo, exec_lo, s9
	s_and_b32 s10, s1, s4
	s_delay_alu instid0(SALU_CYCLE_1)
	s_and_saveexec_b32 s9, s10
	s_cbranch_execz .LBB267_84
.LBB267_90:
	v_cmp_ne_u32_e32 vcc_lo, 1, v48
	s_cbranch_vccnz .LBB267_92
; %bb.91:
	v_lshlrev_b64 v[91:92], 1, v[42:43]
	s_delay_alu instid0(VALU_DEP_1) | instskip(NEXT) | instid1(VALU_DEP_2)
	v_add_co_u32 v91, vcc_lo, v38, v91
	v_add_co_ci_u32_e32 v92, vcc_lo, v39, v92, vcc_lo
	flat_load_u16 v91, v[91:92]
	s_waitcnt vmcnt(0) lgkmcnt(0)
	v_mul_f16_e32 v91, v50, v91
	s_branch .LBB267_93
.LBB267_92:
	v_mov_b32_e32 v91, 0
.LBB267_93:
	v_pk_add_f16 v92, v10, v32
	v_pk_max_f16 v95, v112, v112
	v_pk_add_f16 v99, v11, v33
	v_lshlrev_b64 v[101:102], 1, v[42:43]
	s_delay_alu instid0(VALU_DEP_3) | instskip(NEXT) | instid1(VALU_DEP_1)
	v_pk_min_f16 v92, v95, v92
	v_pk_min_f16 v92, v92, v99
	s_delay_alu instid0(VALU_DEP_1) | instskip(NEXT) | instid1(VALU_DEP_1)
	v_lshrrev_b32_e32 v95, 16, v92
	v_min3_f16 v95, v91, v92, v95
	v_add_co_u32 v91, vcc_lo, v36, v101
	v_add_co_ci_u32_e32 v92, vcc_lo, v37, v102, vcc_lo
	global_store_b16 v[91:92], v95, off
	s_or_b32 exec_lo, exec_lo, s9
	s_and_b32 s10, s2, s4
	s_delay_alu instid0(SALU_CYCLE_1)
	s_and_saveexec_b32 s9, s10
	s_cbranch_execz .LBB267_85
.LBB267_94:
	v_cmp_ne_u32_e32 vcc_lo, 1, v48
	s_cbranch_vccnz .LBB267_96
; %bb.95:
	v_lshlrev_b64 v[91:92], 1, v[44:45]
	s_delay_alu instid0(VALU_DEP_1) | instskip(NEXT) | instid1(VALU_DEP_2)
	v_add_co_u32 v91, vcc_lo, v38, v91
	v_add_co_ci_u32_e32 v92, vcc_lo, v39, v92, vcc_lo
	flat_load_u16 v91, v[91:92]
	s_waitcnt vmcnt(0) lgkmcnt(0)
	v_mul_f16_e32 v91, v50, v91
	s_branch .LBB267_97
.LBB267_96:
	v_mov_b32_e32 v91, 0
.LBB267_97:
	v_pk_add_f16 v92, v0, v32
	v_pk_max_f16 v95, v111, v111
	v_pk_add_f16 v99, v1, v33
	v_lshlrev_b64 v[101:102], 1, v[44:45]
	s_delay_alu instid0(VALU_DEP_3) | instskip(NEXT) | instid1(VALU_DEP_1)
	v_pk_min_f16 v92, v95, v92
	v_pk_min_f16 v92, v92, v99
	s_delay_alu instid0(VALU_DEP_1) | instskip(NEXT) | instid1(VALU_DEP_1)
	v_lshrrev_b32_e32 v95, 16, v92
	v_min3_f16 v95, v91, v92, v95
	v_add_co_u32 v91, vcc_lo, v36, v101
	v_add_co_ci_u32_e32 v92, vcc_lo, v37, v102, vcc_lo
	global_store_b16 v[91:92], v95, off
	s_or_b32 exec_lo, exec_lo, s9
	s_and_b32 s9, s3, s4
	s_delay_alu instid0(SALU_CYCLE_1)
	s_and_saveexec_b32 s4, s9
	s_cbranch_execz .LBB267_102
.LBB267_98:
	v_cmp_ne_u32_e32 vcc_lo, 1, v48
	s_cbranch_vccnz .LBB267_100
; %bb.99:
	v_lshlrev_b64 v[91:92], 1, v[46:47]
	s_delay_alu instid0(VALU_DEP_1) | instskip(NEXT) | instid1(VALU_DEP_2)
	v_add_co_u32 v38, vcc_lo, v38, v91
	v_add_co_ci_u32_e32 v39, vcc_lo, v39, v92, vcc_lo
	flat_load_u16 v38, v[38:39]
	s_waitcnt vmcnt(0) lgkmcnt(0)
	v_mul_f16_e32 v38, v50, v38
	s_branch .LBB267_101
.LBB267_100:
	v_mov_b32_e32 v38, 0
.LBB267_101:
	v_pk_add_f16 v32, v2, v32
	v_pk_max_f16 v39, v110, v110
	v_pk_add_f16 v33, v3, v33
	s_delay_alu instid0(VALU_DEP_2) | instskip(NEXT) | instid1(VALU_DEP_1)
	v_pk_min_f16 v32, v39, v32
	v_pk_min_f16 v39, v32, v33
	v_lshlrev_b64 v[32:33], 1, v[46:47]
	s_delay_alu instid0(VALU_DEP_2) | instskip(NEXT) | instid1(VALU_DEP_2)
	v_lshrrev_b32_e32 v91, 16, v39
	v_add_co_u32 v32, vcc_lo, v36, v32
	s_delay_alu instid0(VALU_DEP_3) | instskip(NEXT) | instid1(VALU_DEP_3)
	v_add_co_ci_u32_e32 v33, vcc_lo, v37, v33, vcc_lo
	v_min3_f16 v38, v38, v39, v91
	global_store_b16 v[32:33], v38, off
.LBB267_102:
	s_or_b32 exec_lo, exec_lo, s4
	v_add_nc_u32_e32 v38, 24, v49
	s_delay_alu instid0(VALU_DEP_1) | instskip(SKIP_2) | instid1(VALU_DEP_3)
	v_mad_i64_i32 v[32:33], null, v38, s6, 0
	v_mad_i64_i32 v[36:37], null, v38, s5, 0
	v_cmp_gt_i32_e64 s4, s17, v38
	v_lshlrev_b64 v[32:33], 1, v[32:33]
	s_delay_alu instid0(VALU_DEP_2) | instskip(NEXT) | instid1(VALU_DEP_3)
	s_and_b32 s10, s0, s4
	v_lshlrev_b64 v[38:39], 1, v[36:37]
	s_delay_alu instid0(VALU_DEP_2) | instskip(NEXT) | instid1(VALU_DEP_3)
	v_add_co_u32 v36, vcc_lo, s12, v32
	v_add_co_ci_u32_e32 v37, vcc_lo, s13, v33, vcc_lo
	s_delay_alu instid0(VALU_DEP_3) | instskip(NEXT) | instid1(VALU_DEP_4)
	v_add_co_u32 v32, vcc_lo, s7, v38
	v_add_co_ci_u32_e32 v33, vcc_lo, s8, v39, vcc_lo
	s_and_saveexec_b32 s9, s10
	s_cbranch_execnz .LBB267_106
; %bb.103:
	s_or_b32 exec_lo, exec_lo, s9
	s_and_b32 s10, s1, s4
	s_delay_alu instid0(SALU_CYCLE_1)
	s_and_saveexec_b32 s9, s10
	s_cbranch_execnz .LBB267_110
.LBB267_104:
	s_or_b32 exec_lo, exec_lo, s9
	s_and_b32 s10, s2, s4
	s_delay_alu instid0(SALU_CYCLE_1)
	s_and_saveexec_b32 s9, s10
	s_cbranch_execnz .LBB267_114
.LBB267_105:
	s_or_b32 exec_lo, exec_lo, s9
	s_and_b32 s9, s3, s4
	s_delay_alu instid0(SALU_CYCLE_1)
	s_and_saveexec_b32 s4, s9
	s_cbranch_execnz .LBB267_118
	s_branch .LBB267_122
.LBB267_106:
	v_cmp_ne_u32_e32 vcc_lo, 1, v48
	s_cbranch_vccnz .LBB267_108
; %bb.107:
	v_lshlrev_b64 v[38:39], 1, v[40:41]
	s_delay_alu instid0(VALU_DEP_1) | instskip(NEXT) | instid1(VALU_DEP_2)
	v_add_co_u32 v38, vcc_lo, v36, v38
	v_add_co_ci_u32_e32 v39, vcc_lo, v37, v39, vcc_lo
	flat_load_u16 v38, v[38:39]
	s_waitcnt vmcnt(0) lgkmcnt(0)
	v_mul_f16_e32 v38, v50, v38
	s_branch .LBB267_109
.LBB267_108:
	v_mov_b32_e32 v38, 0
.LBB267_109:
	v_pk_add_f16 v39, v8, v34
	v_pk_max_f16 v91, v109, v109
	v_pk_add_f16 v92, v9, v35
	s_delay_alu instid0(VALU_DEP_2) | instskip(NEXT) | instid1(VALU_DEP_1)
	v_pk_min_f16 v39, v91, v39
	v_pk_min_f16 v39, v39, v92
	v_lshlrev_b64 v[91:92], 1, v[40:41]
	s_delay_alu instid0(VALU_DEP_2) | instskip(NEXT) | instid1(VALU_DEP_1)
	v_lshrrev_b32_e32 v95, 16, v39
	v_min3_f16 v95, v38, v39, v95
	s_delay_alu instid0(VALU_DEP_3) | instskip(NEXT) | instid1(VALU_DEP_4)
	v_add_co_u32 v38, vcc_lo, v32, v91
	v_add_co_ci_u32_e32 v39, vcc_lo, v33, v92, vcc_lo
	global_store_b16 v[38:39], v95, off
	s_or_b32 exec_lo, exec_lo, s9
	s_and_b32 s10, s1, s4
	s_delay_alu instid0(SALU_CYCLE_1)
	s_and_saveexec_b32 s9, s10
	s_cbranch_execz .LBB267_104
.LBB267_110:
	v_cmp_ne_u32_e32 vcc_lo, 1, v48
	s_cbranch_vccnz .LBB267_112
; %bb.111:
	v_lshlrev_b64 v[38:39], 1, v[42:43]
	s_delay_alu instid0(VALU_DEP_1) | instskip(NEXT) | instid1(VALU_DEP_2)
	v_add_co_u32 v38, vcc_lo, v36, v38
	v_add_co_ci_u32_e32 v39, vcc_lo, v37, v39, vcc_lo
	flat_load_u16 v38, v[38:39]
	s_waitcnt vmcnt(0) lgkmcnt(0)
	v_mul_f16_e32 v38, v50, v38
	s_branch .LBB267_113
.LBB267_112:
	v_mov_b32_e32 v38, 0
.LBB267_113:
	v_pk_add_f16 v39, v10, v34
	v_pk_max_f16 v91, v107, v107
	v_pk_add_f16 v92, v11, v35
	s_delay_alu instid0(VALU_DEP_2) | instskip(NEXT) | instid1(VALU_DEP_1)
	v_pk_min_f16 v39, v91, v39
	v_pk_min_f16 v39, v39, v92
	v_lshlrev_b64 v[91:92], 1, v[42:43]
	s_delay_alu instid0(VALU_DEP_2) | instskip(NEXT) | instid1(VALU_DEP_1)
	v_lshrrev_b32_e32 v95, 16, v39
	v_min3_f16 v95, v38, v39, v95
	s_delay_alu instid0(VALU_DEP_3) | instskip(NEXT) | instid1(VALU_DEP_4)
	v_add_co_u32 v38, vcc_lo, v32, v91
	v_add_co_ci_u32_e32 v39, vcc_lo, v33, v92, vcc_lo
	global_store_b16 v[38:39], v95, off
	s_or_b32 exec_lo, exec_lo, s9
	s_and_b32 s10, s2, s4
	s_delay_alu instid0(SALU_CYCLE_1)
	s_and_saveexec_b32 s9, s10
	s_cbranch_execz .LBB267_105
.LBB267_114:
	v_cmp_ne_u32_e32 vcc_lo, 1, v48
	s_cbranch_vccnz .LBB267_116
; %bb.115:
	v_lshlrev_b64 v[38:39], 1, v[44:45]
	s_delay_alu instid0(VALU_DEP_1) | instskip(NEXT) | instid1(VALU_DEP_2)
	v_add_co_u32 v38, vcc_lo, v36, v38
	v_add_co_ci_u32_e32 v39, vcc_lo, v37, v39, vcc_lo
	flat_load_u16 v38, v[38:39]
	s_waitcnt vmcnt(0) lgkmcnt(0)
	v_mul_f16_e32 v38, v50, v38
	s_branch .LBB267_117
.LBB267_116:
	v_mov_b32_e32 v38, 0
.LBB267_117:
	v_pk_add_f16 v39, v0, v34
	v_pk_max_f16 v91, v106, v106
	v_pk_add_f16 v92, v1, v35
	s_delay_alu instid0(VALU_DEP_2) | instskip(NEXT) | instid1(VALU_DEP_1)
	v_pk_min_f16 v39, v91, v39
	v_pk_min_f16 v39, v39, v92
	v_lshlrev_b64 v[91:92], 1, v[44:45]
	s_delay_alu instid0(VALU_DEP_2) | instskip(NEXT) | instid1(VALU_DEP_1)
	v_lshrrev_b32_e32 v95, 16, v39
	v_min3_f16 v95, v38, v39, v95
	s_delay_alu instid0(VALU_DEP_3) | instskip(NEXT) | instid1(VALU_DEP_4)
	v_add_co_u32 v38, vcc_lo, v32, v91
	v_add_co_ci_u32_e32 v39, vcc_lo, v33, v92, vcc_lo
	global_store_b16 v[38:39], v95, off
	s_or_b32 exec_lo, exec_lo, s9
	s_and_b32 s9, s3, s4
	s_delay_alu instid0(SALU_CYCLE_1)
	s_and_saveexec_b32 s4, s9
	s_cbranch_execz .LBB267_122
.LBB267_118:
	v_cmp_ne_u32_e32 vcc_lo, 1, v48
	s_cbranch_vccnz .LBB267_120
; %bb.119:
	v_lshlrev_b64 v[38:39], 1, v[46:47]
	s_delay_alu instid0(VALU_DEP_1) | instskip(NEXT) | instid1(VALU_DEP_2)
	v_add_co_u32 v36, vcc_lo, v36, v38
	v_add_co_ci_u32_e32 v37, vcc_lo, v37, v39, vcc_lo
	flat_load_u16 v36, v[36:37]
	s_waitcnt vmcnt(0) lgkmcnt(0)
	v_mul_f16_e32 v36, v50, v36
	s_branch .LBB267_121
.LBB267_120:
	v_mov_b32_e32 v36, 0
.LBB267_121:
	v_pk_add_f16 v34, v2, v34
	v_pk_max_f16 v37, v105, v105
	v_pk_add_f16 v35, v3, v35
	s_delay_alu instid0(VALU_DEP_2) | instskip(NEXT) | instid1(VALU_DEP_1)
	v_pk_min_f16 v34, v37, v34
	v_pk_min_f16 v37, v34, v35
	v_lshlrev_b64 v[34:35], 1, v[46:47]
	s_delay_alu instid0(VALU_DEP_2) | instskip(NEXT) | instid1(VALU_DEP_2)
	v_lshrrev_b32_e32 v38, 16, v37
	v_add_co_u32 v32, vcc_lo, v32, v34
	s_delay_alu instid0(VALU_DEP_3) | instskip(NEXT) | instid1(VALU_DEP_3)
	v_add_co_ci_u32_e32 v33, vcc_lo, v33, v35, vcc_lo
	v_min3_f16 v36, v36, v37, v38
	global_store_b16 v[32:33], v36, off
.LBB267_122:
	s_or_b32 exec_lo, exec_lo, s4
	v_add_nc_u32_e32 v36, 32, v49
	s_delay_alu instid0(VALU_DEP_1) | instskip(SKIP_2) | instid1(VALU_DEP_3)
	v_mad_i64_i32 v[32:33], null, v36, s6, 0
	v_mad_i64_i32 v[34:35], null, v36, s5, 0
	v_cmp_gt_i32_e64 s4, s17, v36
	v_lshlrev_b64 v[32:33], 1, v[32:33]
	s_delay_alu instid0(VALU_DEP_2) | instskip(NEXT) | instid1(VALU_DEP_3)
	s_and_b32 s10, s0, s4
	v_lshlrev_b64 v[36:37], 1, v[34:35]
	s_delay_alu instid0(VALU_DEP_2) | instskip(NEXT) | instid1(VALU_DEP_3)
	v_add_co_u32 v34, vcc_lo, s12, v32
	v_add_co_ci_u32_e32 v35, vcc_lo, s13, v33, vcc_lo
	s_delay_alu instid0(VALU_DEP_3) | instskip(NEXT) | instid1(VALU_DEP_4)
	v_add_co_u32 v32, vcc_lo, s7, v36
	v_add_co_ci_u32_e32 v33, vcc_lo, s8, v37, vcc_lo
	s_and_saveexec_b32 s9, s10
	s_cbranch_execnz .LBB267_126
; %bb.123:
	s_or_b32 exec_lo, exec_lo, s9
	s_and_b32 s10, s1, s4
	s_delay_alu instid0(SALU_CYCLE_1)
	s_and_saveexec_b32 s9, s10
	s_cbranch_execnz .LBB267_130
.LBB267_124:
	s_or_b32 exec_lo, exec_lo, s9
	s_and_b32 s10, s2, s4
	s_delay_alu instid0(SALU_CYCLE_1)
	s_and_saveexec_b32 s9, s10
	s_cbranch_execnz .LBB267_134
.LBB267_125:
	s_or_b32 exec_lo, exec_lo, s9
	s_and_b32 s9, s3, s4
	s_delay_alu instid0(SALU_CYCLE_1)
	s_and_saveexec_b32 s4, s9
	s_cbranch_execnz .LBB267_138
	s_branch .LBB267_142
.LBB267_126:
	v_cmp_ne_u32_e32 vcc_lo, 1, v48
	s_cbranch_vccnz .LBB267_128
; %bb.127:
	v_lshlrev_b64 v[36:37], 1, v[40:41]
	s_delay_alu instid0(VALU_DEP_1) | instskip(NEXT) | instid1(VALU_DEP_2)
	v_add_co_u32 v36, vcc_lo, v34, v36
	v_add_co_ci_u32_e32 v37, vcc_lo, v35, v37, vcc_lo
	flat_load_u16 v36, v[36:37]
	s_waitcnt vmcnt(0) lgkmcnt(0)
	v_mul_f16_e32 v36, v50, v36
	s_branch .LBB267_129
.LBB267_128:
	v_mov_b32_e32 v36, 0
.LBB267_129:
	v_pk_add_f16 v37, v8, v28
	v_pk_max_f16 v38, v104, v104
	v_pk_add_f16 v39, v9, v29
	s_delay_alu instid0(VALU_DEP_2) | instskip(NEXT) | instid1(VALU_DEP_1)
	v_pk_min_f16 v37, v38, v37
	v_pk_min_f16 v39, v37, v39
	v_lshlrev_b64 v[37:38], 1, v[40:41]
	s_delay_alu instid0(VALU_DEP_2) | instskip(NEXT) | instid1(VALU_DEP_1)
	v_lshrrev_b32_e32 v91, 16, v39
	v_min3_f16 v39, v36, v39, v91
	s_delay_alu instid0(VALU_DEP_3) | instskip(NEXT) | instid1(VALU_DEP_4)
	v_add_co_u32 v36, vcc_lo, v32, v37
	v_add_co_ci_u32_e32 v37, vcc_lo, v33, v38, vcc_lo
	global_store_b16 v[36:37], v39, off
	s_or_b32 exec_lo, exec_lo, s9
	s_and_b32 s10, s1, s4
	s_delay_alu instid0(SALU_CYCLE_1)
	s_and_saveexec_b32 s9, s10
	s_cbranch_execz .LBB267_124
.LBB267_130:
	v_cmp_ne_u32_e32 vcc_lo, 1, v48
	s_cbranch_vccnz .LBB267_132
; %bb.131:
	v_lshlrev_b64 v[36:37], 1, v[42:43]
	s_delay_alu instid0(VALU_DEP_1) | instskip(NEXT) | instid1(VALU_DEP_2)
	v_add_co_u32 v36, vcc_lo, v34, v36
	v_add_co_ci_u32_e32 v37, vcc_lo, v35, v37, vcc_lo
	flat_load_u16 v36, v[36:37]
	s_waitcnt vmcnt(0) lgkmcnt(0)
	v_mul_f16_e32 v36, v50, v36
	s_branch .LBB267_133
.LBB267_132:
	v_mov_b32_e32 v36, 0
.LBB267_133:
	v_pk_add_f16 v37, v10, v28
	v_pk_max_f16 v38, v103, v103
	v_pk_add_f16 v39, v11, v29
	s_delay_alu instid0(VALU_DEP_2) | instskip(NEXT) | instid1(VALU_DEP_1)
	v_pk_min_f16 v37, v38, v37
	v_pk_min_f16 v39, v37, v39
	v_lshlrev_b64 v[37:38], 1, v[42:43]
	s_delay_alu instid0(VALU_DEP_2) | instskip(NEXT) | instid1(VALU_DEP_1)
	v_lshrrev_b32_e32 v91, 16, v39
	v_min3_f16 v39, v36, v39, v91
	s_delay_alu instid0(VALU_DEP_3) | instskip(NEXT) | instid1(VALU_DEP_4)
	v_add_co_u32 v36, vcc_lo, v32, v37
	v_add_co_ci_u32_e32 v37, vcc_lo, v33, v38, vcc_lo
	global_store_b16 v[36:37], v39, off
	s_or_b32 exec_lo, exec_lo, s9
	s_and_b32 s10, s2, s4
	s_delay_alu instid0(SALU_CYCLE_1)
	s_and_saveexec_b32 s9, s10
	s_cbranch_execz .LBB267_125
.LBB267_134:
	v_cmp_ne_u32_e32 vcc_lo, 1, v48
	s_cbranch_vccnz .LBB267_136
; %bb.135:
	v_lshlrev_b64 v[36:37], 1, v[44:45]
	s_delay_alu instid0(VALU_DEP_1) | instskip(NEXT) | instid1(VALU_DEP_2)
	v_add_co_u32 v36, vcc_lo, v34, v36
	v_add_co_ci_u32_e32 v37, vcc_lo, v35, v37, vcc_lo
	flat_load_u16 v36, v[36:37]
	s_waitcnt vmcnt(0) lgkmcnt(0)
	v_mul_f16_e32 v36, v50, v36
	s_branch .LBB267_137
.LBB267_136:
	v_mov_b32_e32 v36, 0
.LBB267_137:
	v_pk_add_f16 v37, v0, v28
	v_pk_max_f16 v38, v100, v100
	v_pk_add_f16 v39, v1, v29
	s_delay_alu instid0(VALU_DEP_2) | instskip(NEXT) | instid1(VALU_DEP_1)
	v_pk_min_f16 v37, v38, v37
	v_pk_min_f16 v39, v37, v39
	v_lshlrev_b64 v[37:38], 1, v[44:45]
	s_delay_alu instid0(VALU_DEP_2) | instskip(NEXT) | instid1(VALU_DEP_1)
	v_lshrrev_b32_e32 v91, 16, v39
	v_min3_f16 v39, v36, v39, v91
	s_delay_alu instid0(VALU_DEP_3) | instskip(NEXT) | instid1(VALU_DEP_4)
	v_add_co_u32 v36, vcc_lo, v32, v37
	v_add_co_ci_u32_e32 v37, vcc_lo, v33, v38, vcc_lo
	global_store_b16 v[36:37], v39, off
	s_or_b32 exec_lo, exec_lo, s9
	s_and_b32 s9, s3, s4
	s_delay_alu instid0(SALU_CYCLE_1)
	s_and_saveexec_b32 s4, s9
	s_cbranch_execz .LBB267_142
.LBB267_138:
	v_cmp_ne_u32_e32 vcc_lo, 1, v48
	s_cbranch_vccnz .LBB267_140
; %bb.139:
	v_lshlrev_b64 v[36:37], 1, v[46:47]
	s_delay_alu instid0(VALU_DEP_1) | instskip(NEXT) | instid1(VALU_DEP_2)
	v_add_co_u32 v34, vcc_lo, v34, v36
	v_add_co_ci_u32_e32 v35, vcc_lo, v35, v37, vcc_lo
	flat_load_u16 v34, v[34:35]
	s_waitcnt vmcnt(0) lgkmcnt(0)
	v_mul_f16_e32 v34, v50, v34
	s_branch .LBB267_141
.LBB267_140:
	v_mov_b32_e32 v34, 0
.LBB267_141:
	v_pk_add_f16 v28, v2, v28
	v_pk_max_f16 v35, v98, v98
	v_pk_add_f16 v29, v3, v29
	s_delay_alu instid0(VALU_DEP_2) | instskip(NEXT) | instid1(VALU_DEP_1)
	v_pk_min_f16 v28, v35, v28
	v_pk_min_f16 v35, v28, v29
	v_lshlrev_b64 v[28:29], 1, v[46:47]
	s_delay_alu instid0(VALU_DEP_2) | instskip(NEXT) | instid1(VALU_DEP_2)
	v_lshrrev_b32_e32 v36, 16, v35
	v_add_co_u32 v28, vcc_lo, v32, v28
	s_delay_alu instid0(VALU_DEP_3) | instskip(NEXT) | instid1(VALU_DEP_3)
	v_add_co_ci_u32_e32 v29, vcc_lo, v33, v29, vcc_lo
	v_min3_f16 v34, v34, v35, v36
	global_store_b16 v[28:29], v34, off
.LBB267_142:
	s_or_b32 exec_lo, exec_lo, s4
	v_add_nc_u32_e32 v34, 40, v49
	s_delay_alu instid0(VALU_DEP_1) | instskip(SKIP_2) | instid1(VALU_DEP_3)
	v_mad_i64_i32 v[28:29], null, v34, s6, 0
	v_mad_i64_i32 v[32:33], null, v34, s5, 0
	v_cmp_gt_i32_e64 s4, s17, v34
	v_lshlrev_b64 v[28:29], 1, v[28:29]
	s_delay_alu instid0(VALU_DEP_2) | instskip(NEXT) | instid1(VALU_DEP_3)
	s_and_b32 s10, s0, s4
	v_lshlrev_b64 v[34:35], 1, v[32:33]
	s_delay_alu instid0(VALU_DEP_2) | instskip(NEXT) | instid1(VALU_DEP_3)
	v_add_co_u32 v32, vcc_lo, s12, v28
	v_add_co_ci_u32_e32 v33, vcc_lo, s13, v29, vcc_lo
	s_delay_alu instid0(VALU_DEP_3) | instskip(NEXT) | instid1(VALU_DEP_4)
	v_add_co_u32 v28, vcc_lo, s7, v34
	v_add_co_ci_u32_e32 v29, vcc_lo, s8, v35, vcc_lo
	s_and_saveexec_b32 s9, s10
	s_cbranch_execnz .LBB267_146
; %bb.143:
	s_or_b32 exec_lo, exec_lo, s9
	s_and_b32 s10, s1, s4
	s_delay_alu instid0(SALU_CYCLE_1)
	s_and_saveexec_b32 s9, s10
	s_cbranch_execnz .LBB267_150
.LBB267_144:
	s_or_b32 exec_lo, exec_lo, s9
	s_and_b32 s10, s2, s4
	s_delay_alu instid0(SALU_CYCLE_1)
	s_and_saveexec_b32 s9, s10
	s_cbranch_execnz .LBB267_154
.LBB267_145:
	s_or_b32 exec_lo, exec_lo, s9
	s_and_b32 s9, s3, s4
	s_delay_alu instid0(SALU_CYCLE_1)
	s_and_saveexec_b32 s4, s9
	s_cbranch_execnz .LBB267_158
	s_branch .LBB267_162
.LBB267_146:
	v_cmp_ne_u32_e32 vcc_lo, 1, v48
	s_cbranch_vccnz .LBB267_148
; %bb.147:
	v_lshlrev_b64 v[34:35], 1, v[40:41]
	s_delay_alu instid0(VALU_DEP_1) | instskip(NEXT) | instid1(VALU_DEP_2)
	v_add_co_u32 v34, vcc_lo, v32, v34
	v_add_co_ci_u32_e32 v35, vcc_lo, v33, v35, vcc_lo
	flat_load_u16 v34, v[34:35]
	s_waitcnt vmcnt(0) lgkmcnt(0)
	v_mul_f16_e32 v34, v50, v34
	s_branch .LBB267_149
.LBB267_148:
	v_mov_b32_e32 v34, 0
.LBB267_149:
	v_pk_add_f16 v35, v8, v30
	v_pk_max_f16 v36, v97, v97
	v_pk_add_f16 v37, v9, v31
	s_delay_alu instid0(VALU_DEP_2) | instskip(NEXT) | instid1(VALU_DEP_1)
	v_pk_min_f16 v35, v36, v35
	v_pk_min_f16 v37, v35, v37
	v_lshlrev_b64 v[35:36], 1, v[40:41]
	s_delay_alu instid0(VALU_DEP_2) | instskip(NEXT) | instid1(VALU_DEP_1)
	v_lshrrev_b32_e32 v38, 16, v37
	v_min3_f16 v37, v34, v37, v38
	s_delay_alu instid0(VALU_DEP_3) | instskip(NEXT) | instid1(VALU_DEP_4)
	v_add_co_u32 v34, vcc_lo, v28, v35
	v_add_co_ci_u32_e32 v35, vcc_lo, v29, v36, vcc_lo
	global_store_b16 v[34:35], v37, off
	s_or_b32 exec_lo, exec_lo, s9
	s_and_b32 s10, s1, s4
	s_delay_alu instid0(SALU_CYCLE_1)
	s_and_saveexec_b32 s9, s10
	s_cbranch_execz .LBB267_144
.LBB267_150:
	v_cmp_ne_u32_e32 vcc_lo, 1, v48
	s_cbranch_vccnz .LBB267_152
; %bb.151:
	v_lshlrev_b64 v[34:35], 1, v[42:43]
	s_delay_alu instid0(VALU_DEP_1) | instskip(NEXT) | instid1(VALU_DEP_2)
	v_add_co_u32 v34, vcc_lo, v32, v34
	v_add_co_ci_u32_e32 v35, vcc_lo, v33, v35, vcc_lo
	flat_load_u16 v34, v[34:35]
	s_waitcnt vmcnt(0) lgkmcnt(0)
	v_mul_f16_e32 v34, v50, v34
	s_branch .LBB267_153
.LBB267_152:
	v_mov_b32_e32 v34, 0
.LBB267_153:
	v_pk_add_f16 v35, v10, v30
	v_pk_max_f16 v36, v96, v96
	v_pk_add_f16 v37, v11, v31
	s_delay_alu instid0(VALU_DEP_2) | instskip(NEXT) | instid1(VALU_DEP_1)
	v_pk_min_f16 v35, v36, v35
	v_pk_min_f16 v37, v35, v37
	v_lshlrev_b64 v[35:36], 1, v[42:43]
	s_delay_alu instid0(VALU_DEP_2) | instskip(NEXT) | instid1(VALU_DEP_1)
	v_lshrrev_b32_e32 v38, 16, v37
	v_min3_f16 v37, v34, v37, v38
	s_delay_alu instid0(VALU_DEP_3) | instskip(NEXT) | instid1(VALU_DEP_4)
	v_add_co_u32 v34, vcc_lo, v28, v35
	v_add_co_ci_u32_e32 v35, vcc_lo, v29, v36, vcc_lo
	global_store_b16 v[34:35], v37, off
	s_or_b32 exec_lo, exec_lo, s9
	s_and_b32 s10, s2, s4
	s_delay_alu instid0(SALU_CYCLE_1)
	s_and_saveexec_b32 s9, s10
	s_cbranch_execz .LBB267_145
.LBB267_154:
	v_cmp_ne_u32_e32 vcc_lo, 1, v48
	s_cbranch_vccnz .LBB267_156
; %bb.155:
	v_lshlrev_b64 v[34:35], 1, v[44:45]
	s_delay_alu instid0(VALU_DEP_1) | instskip(NEXT) | instid1(VALU_DEP_2)
	v_add_co_u32 v34, vcc_lo, v32, v34
	v_add_co_ci_u32_e32 v35, vcc_lo, v33, v35, vcc_lo
	flat_load_u16 v34, v[34:35]
	s_waitcnt vmcnt(0) lgkmcnt(0)
	v_mul_f16_e32 v34, v50, v34
	s_branch .LBB267_157
.LBB267_156:
	v_mov_b32_e32 v34, 0
.LBB267_157:
	v_pk_add_f16 v35, v0, v30
	v_pk_max_f16 v36, v94, v94
	v_pk_add_f16 v37, v1, v31
	s_delay_alu instid0(VALU_DEP_2) | instskip(NEXT) | instid1(VALU_DEP_1)
	v_pk_min_f16 v35, v36, v35
	v_pk_min_f16 v37, v35, v37
	v_lshlrev_b64 v[35:36], 1, v[44:45]
	s_delay_alu instid0(VALU_DEP_2) | instskip(NEXT) | instid1(VALU_DEP_1)
	v_lshrrev_b32_e32 v38, 16, v37
	v_min3_f16 v37, v34, v37, v38
	s_delay_alu instid0(VALU_DEP_3) | instskip(NEXT) | instid1(VALU_DEP_4)
	v_add_co_u32 v34, vcc_lo, v28, v35
	v_add_co_ci_u32_e32 v35, vcc_lo, v29, v36, vcc_lo
	global_store_b16 v[34:35], v37, off
	s_or_b32 exec_lo, exec_lo, s9
	s_and_b32 s9, s3, s4
	s_delay_alu instid0(SALU_CYCLE_1)
	s_and_saveexec_b32 s4, s9
	s_cbranch_execz .LBB267_162
.LBB267_158:
	v_cmp_ne_u32_e32 vcc_lo, 1, v48
	s_cbranch_vccnz .LBB267_160
; %bb.159:
	v_lshlrev_b64 v[34:35], 1, v[46:47]
	s_delay_alu instid0(VALU_DEP_1) | instskip(NEXT) | instid1(VALU_DEP_2)
	v_add_co_u32 v32, vcc_lo, v32, v34
	v_add_co_ci_u32_e32 v33, vcc_lo, v33, v35, vcc_lo
	flat_load_u16 v32, v[32:33]
	s_waitcnt vmcnt(0) lgkmcnt(0)
	v_mul_f16_e32 v32, v50, v32
	s_branch .LBB267_161
.LBB267_160:
	v_mov_b32_e32 v32, 0
.LBB267_161:
	v_pk_add_f16 v30, v2, v30
	v_pk_max_f16 v33, v93, v93
	v_pk_add_f16 v31, v3, v31
	s_delay_alu instid0(VALU_DEP_2) | instskip(NEXT) | instid1(VALU_DEP_1)
	v_pk_min_f16 v30, v33, v30
	v_pk_min_f16 v33, v30, v31
	v_lshlrev_b64 v[30:31], 1, v[46:47]
	s_delay_alu instid0(VALU_DEP_2) | instskip(NEXT) | instid1(VALU_DEP_2)
	v_lshrrev_b32_e32 v34, 16, v33
	v_add_co_u32 v28, vcc_lo, v28, v30
	s_delay_alu instid0(VALU_DEP_3) | instskip(NEXT) | instid1(VALU_DEP_3)
	v_add_co_ci_u32_e32 v29, vcc_lo, v29, v31, vcc_lo
	v_min3_f16 v32, v32, v33, v34
	global_store_b16 v[28:29], v32, off
.LBB267_162:
	s_or_b32 exec_lo, exec_lo, s4
	v_add_nc_u32_e32 v32, 48, v49
	s_delay_alu instid0(VALU_DEP_1) | instskip(SKIP_2) | instid1(VALU_DEP_3)
	v_mad_i64_i32 v[28:29], null, v32, s6, 0
	v_mad_i64_i32 v[30:31], null, v32, s5, 0
	v_cmp_gt_i32_e64 s4, s17, v32
	v_lshlrev_b64 v[28:29], 1, v[28:29]
	s_delay_alu instid0(VALU_DEP_2) | instskip(NEXT) | instid1(VALU_DEP_3)
	s_and_b32 s10, s0, s4
	v_lshlrev_b64 v[32:33], 1, v[30:31]
	s_delay_alu instid0(VALU_DEP_2) | instskip(NEXT) | instid1(VALU_DEP_3)
	v_add_co_u32 v30, vcc_lo, s12, v28
	v_add_co_ci_u32_e32 v31, vcc_lo, s13, v29, vcc_lo
	s_delay_alu instid0(VALU_DEP_3) | instskip(NEXT) | instid1(VALU_DEP_4)
	v_add_co_u32 v28, vcc_lo, s7, v32
	v_add_co_ci_u32_e32 v29, vcc_lo, s8, v33, vcc_lo
	s_and_saveexec_b32 s9, s10
	s_cbranch_execnz .LBB267_166
; %bb.163:
	s_or_b32 exec_lo, exec_lo, s9
	s_and_b32 s10, s1, s4
	s_delay_alu instid0(SALU_CYCLE_1)
	s_and_saveexec_b32 s9, s10
	s_cbranch_execnz .LBB267_170
.LBB267_164:
	s_or_b32 exec_lo, exec_lo, s9
	s_and_b32 s10, s2, s4
	s_delay_alu instid0(SALU_CYCLE_1)
	s_and_saveexec_b32 s9, s10
	s_cbranch_execnz .LBB267_174
.LBB267_165:
	s_or_b32 exec_lo, exec_lo, s9
	s_and_b32 s9, s3, s4
	s_delay_alu instid0(SALU_CYCLE_1)
	s_and_saveexec_b32 s4, s9
	s_cbranch_execnz .LBB267_178
	s_branch .LBB267_182
.LBB267_166:
	v_cmp_ne_u32_e32 vcc_lo, 1, v48
	s_cbranch_vccnz .LBB267_168
; %bb.167:
	v_lshlrev_b64 v[32:33], 1, v[40:41]
	s_delay_alu instid0(VALU_DEP_1) | instskip(NEXT) | instid1(VALU_DEP_2)
	v_add_co_u32 v32, vcc_lo, v30, v32
	v_add_co_ci_u32_e32 v33, vcc_lo, v31, v33, vcc_lo
	flat_load_u16 v32, v[32:33]
	s_waitcnt vmcnt(0) lgkmcnt(0)
	v_mul_f16_e32 v32, v50, v32
	s_branch .LBB267_169
.LBB267_168:
	v_mov_b32_e32 v32, 0
.LBB267_169:
	v_pk_add_f16 v33, v8, v24
	v_pk_max_f16 v34, v90, v90
	v_pk_add_f16 v35, v9, v25
	s_delay_alu instid0(VALU_DEP_2) | instskip(NEXT) | instid1(VALU_DEP_1)
	v_pk_min_f16 v33, v34, v33
	v_pk_min_f16 v35, v33, v35
	v_lshlrev_b64 v[33:34], 1, v[40:41]
	s_delay_alu instid0(VALU_DEP_2) | instskip(NEXT) | instid1(VALU_DEP_1)
	v_lshrrev_b32_e32 v36, 16, v35
	v_min3_f16 v35, v32, v35, v36
	s_delay_alu instid0(VALU_DEP_3) | instskip(NEXT) | instid1(VALU_DEP_4)
	v_add_co_u32 v32, vcc_lo, v28, v33
	v_add_co_ci_u32_e32 v33, vcc_lo, v29, v34, vcc_lo
	global_store_b16 v[32:33], v35, off
	s_or_b32 exec_lo, exec_lo, s9
	s_and_b32 s10, s1, s4
	s_delay_alu instid0(SALU_CYCLE_1)
	s_and_saveexec_b32 s9, s10
	s_cbranch_execz .LBB267_164
.LBB267_170:
	v_cmp_ne_u32_e32 vcc_lo, 1, v48
	s_cbranch_vccnz .LBB267_172
; %bb.171:
	v_lshlrev_b64 v[32:33], 1, v[42:43]
	s_delay_alu instid0(VALU_DEP_1) | instskip(NEXT) | instid1(VALU_DEP_2)
	v_add_co_u32 v32, vcc_lo, v30, v32
	v_add_co_ci_u32_e32 v33, vcc_lo, v31, v33, vcc_lo
	flat_load_u16 v32, v[32:33]
	s_waitcnt vmcnt(0) lgkmcnt(0)
	v_mul_f16_e32 v32, v50, v32
	s_branch .LBB267_173
.LBB267_172:
	v_mov_b32_e32 v32, 0
.LBB267_173:
	v_pk_add_f16 v33, v10, v24
	v_pk_max_f16 v34, v89, v89
	v_pk_add_f16 v35, v11, v25
	s_delay_alu instid0(VALU_DEP_2) | instskip(NEXT) | instid1(VALU_DEP_1)
	v_pk_min_f16 v33, v34, v33
	v_pk_min_f16 v35, v33, v35
	v_lshlrev_b64 v[33:34], 1, v[42:43]
	s_delay_alu instid0(VALU_DEP_2) | instskip(NEXT) | instid1(VALU_DEP_1)
	v_lshrrev_b32_e32 v36, 16, v35
	v_min3_f16 v35, v32, v35, v36
	s_delay_alu instid0(VALU_DEP_3) | instskip(NEXT) | instid1(VALU_DEP_4)
	v_add_co_u32 v32, vcc_lo, v28, v33
	v_add_co_ci_u32_e32 v33, vcc_lo, v29, v34, vcc_lo
	global_store_b16 v[32:33], v35, off
	s_or_b32 exec_lo, exec_lo, s9
	s_and_b32 s10, s2, s4
	s_delay_alu instid0(SALU_CYCLE_1)
	s_and_saveexec_b32 s9, s10
	s_cbranch_execz .LBB267_165
.LBB267_174:
	v_cmp_ne_u32_e32 vcc_lo, 1, v48
	s_cbranch_vccnz .LBB267_176
; %bb.175:
	v_lshlrev_b64 v[32:33], 1, v[44:45]
	s_delay_alu instid0(VALU_DEP_1) | instskip(NEXT) | instid1(VALU_DEP_2)
	v_add_co_u32 v32, vcc_lo, v30, v32
	v_add_co_ci_u32_e32 v33, vcc_lo, v31, v33, vcc_lo
	flat_load_u16 v32, v[32:33]
	s_waitcnt vmcnt(0) lgkmcnt(0)
	v_mul_f16_e32 v32, v50, v32
	s_branch .LBB267_177
.LBB267_176:
	v_mov_b32_e32 v32, 0
.LBB267_177:
	v_pk_add_f16 v33, v0, v24
	v_pk_max_f16 v34, v88, v88
	v_pk_add_f16 v35, v1, v25
	s_delay_alu instid0(VALU_DEP_2) | instskip(NEXT) | instid1(VALU_DEP_1)
	v_pk_min_f16 v33, v34, v33
	v_pk_min_f16 v35, v33, v35
	v_lshlrev_b64 v[33:34], 1, v[44:45]
	s_delay_alu instid0(VALU_DEP_2) | instskip(NEXT) | instid1(VALU_DEP_1)
	v_lshrrev_b32_e32 v36, 16, v35
	v_min3_f16 v35, v32, v35, v36
	s_delay_alu instid0(VALU_DEP_3) | instskip(NEXT) | instid1(VALU_DEP_4)
	v_add_co_u32 v32, vcc_lo, v28, v33
	v_add_co_ci_u32_e32 v33, vcc_lo, v29, v34, vcc_lo
	global_store_b16 v[32:33], v35, off
	s_or_b32 exec_lo, exec_lo, s9
	s_and_b32 s9, s3, s4
	s_delay_alu instid0(SALU_CYCLE_1)
	s_and_saveexec_b32 s4, s9
	s_cbranch_execz .LBB267_182
.LBB267_178:
	v_cmp_ne_u32_e32 vcc_lo, 1, v48
	s_cbranch_vccnz .LBB267_180
; %bb.179:
	v_lshlrev_b64 v[32:33], 1, v[46:47]
	s_delay_alu instid0(VALU_DEP_1) | instskip(NEXT) | instid1(VALU_DEP_2)
	v_add_co_u32 v30, vcc_lo, v30, v32
	v_add_co_ci_u32_e32 v31, vcc_lo, v31, v33, vcc_lo
	flat_load_u16 v30, v[30:31]
	s_waitcnt vmcnt(0) lgkmcnt(0)
	v_mul_f16_e32 v30, v50, v30
	s_branch .LBB267_181
.LBB267_180:
	v_mov_b32_e32 v30, 0
.LBB267_181:
	v_pk_add_f16 v24, v2, v24
	v_pk_max_f16 v31, v87, v87
	v_pk_add_f16 v25, v3, v25
	s_delay_alu instid0(VALU_DEP_2) | instskip(NEXT) | instid1(VALU_DEP_1)
	v_pk_min_f16 v24, v31, v24
	v_pk_min_f16 v31, v24, v25
	v_lshlrev_b64 v[24:25], 1, v[46:47]
	s_delay_alu instid0(VALU_DEP_2) | instskip(NEXT) | instid1(VALU_DEP_2)
	v_lshrrev_b32_e32 v32, 16, v31
	v_add_co_u32 v24, vcc_lo, v28, v24
	s_delay_alu instid0(VALU_DEP_3) | instskip(NEXT) | instid1(VALU_DEP_3)
	v_add_co_ci_u32_e32 v25, vcc_lo, v29, v25, vcc_lo
	v_min3_f16 v30, v30, v31, v32
	global_store_b16 v[24:25], v30, off
.LBB267_182:
	s_or_b32 exec_lo, exec_lo, s4
	v_add_nc_u32_e32 v30, 56, v49
	s_delay_alu instid0(VALU_DEP_1) | instskip(SKIP_2) | instid1(VALU_DEP_3)
	v_mad_i64_i32 v[24:25], null, v30, s6, 0
	v_mad_i64_i32 v[28:29], null, v30, s5, 0
	v_cmp_gt_i32_e64 s4, s17, v30
	v_lshlrev_b64 v[24:25], 1, v[24:25]
	s_delay_alu instid0(VALU_DEP_2) | instskip(NEXT) | instid1(VALU_DEP_3)
	s_and_b32 s10, s0, s4
	v_lshlrev_b64 v[30:31], 1, v[28:29]
	s_delay_alu instid0(VALU_DEP_2) | instskip(NEXT) | instid1(VALU_DEP_3)
	v_add_co_u32 v28, vcc_lo, s12, v24
	v_add_co_ci_u32_e32 v29, vcc_lo, s13, v25, vcc_lo
	s_delay_alu instid0(VALU_DEP_3) | instskip(NEXT) | instid1(VALU_DEP_4)
	v_add_co_u32 v24, vcc_lo, s7, v30
	v_add_co_ci_u32_e32 v25, vcc_lo, s8, v31, vcc_lo
	s_and_saveexec_b32 s9, s10
	s_cbranch_execnz .LBB267_186
; %bb.183:
	s_or_b32 exec_lo, exec_lo, s9
	s_and_b32 s10, s1, s4
	s_delay_alu instid0(SALU_CYCLE_1)
	s_and_saveexec_b32 s9, s10
	s_cbranch_execnz .LBB267_190
.LBB267_184:
	s_or_b32 exec_lo, exec_lo, s9
	s_and_b32 s10, s2, s4
	s_delay_alu instid0(SALU_CYCLE_1)
	s_and_saveexec_b32 s9, s10
	s_cbranch_execnz .LBB267_194
.LBB267_185:
	s_or_b32 exec_lo, exec_lo, s9
	s_and_b32 s9, s3, s4
	s_delay_alu instid0(SALU_CYCLE_1)
	s_and_saveexec_b32 s4, s9
	s_cbranch_execnz .LBB267_198
	s_branch .LBB267_202
.LBB267_186:
	v_cmp_ne_u32_e32 vcc_lo, 1, v48
	s_cbranch_vccnz .LBB267_188
; %bb.187:
	v_lshlrev_b64 v[30:31], 1, v[40:41]
	s_delay_alu instid0(VALU_DEP_1) | instskip(NEXT) | instid1(VALU_DEP_2)
	v_add_co_u32 v30, vcc_lo, v28, v30
	v_add_co_ci_u32_e32 v31, vcc_lo, v29, v31, vcc_lo
	flat_load_u16 v30, v[30:31]
	s_waitcnt vmcnt(0) lgkmcnt(0)
	v_mul_f16_e32 v30, v50, v30
	s_branch .LBB267_189
.LBB267_188:
	v_mov_b32_e32 v30, 0
.LBB267_189:
	v_pk_add_f16 v31, v8, v26
	v_pk_max_f16 v32, v86, v86
	v_pk_add_f16 v33, v9, v27
	s_delay_alu instid0(VALU_DEP_2) | instskip(NEXT) | instid1(VALU_DEP_1)
	v_pk_min_f16 v31, v32, v31
	v_pk_min_f16 v33, v31, v33
	v_lshlrev_b64 v[31:32], 1, v[40:41]
	s_delay_alu instid0(VALU_DEP_2) | instskip(NEXT) | instid1(VALU_DEP_1)
	v_lshrrev_b32_e32 v34, 16, v33
	v_min3_f16 v33, v30, v33, v34
	s_delay_alu instid0(VALU_DEP_3) | instskip(NEXT) | instid1(VALU_DEP_4)
	v_add_co_u32 v30, vcc_lo, v24, v31
	v_add_co_ci_u32_e32 v31, vcc_lo, v25, v32, vcc_lo
	global_store_b16 v[30:31], v33, off
	s_or_b32 exec_lo, exec_lo, s9
	s_and_b32 s10, s1, s4
	s_delay_alu instid0(SALU_CYCLE_1)
	s_and_saveexec_b32 s9, s10
	s_cbranch_execz .LBB267_184
.LBB267_190:
	v_cmp_ne_u32_e32 vcc_lo, 1, v48
	s_cbranch_vccnz .LBB267_192
; %bb.191:
	v_lshlrev_b64 v[30:31], 1, v[42:43]
	s_delay_alu instid0(VALU_DEP_1) | instskip(NEXT) | instid1(VALU_DEP_2)
	v_add_co_u32 v30, vcc_lo, v28, v30
	v_add_co_ci_u32_e32 v31, vcc_lo, v29, v31, vcc_lo
	flat_load_u16 v30, v[30:31]
	s_waitcnt vmcnt(0) lgkmcnt(0)
	v_mul_f16_e32 v30, v50, v30
	s_branch .LBB267_193
.LBB267_192:
	v_mov_b32_e32 v30, 0
.LBB267_193:
	v_pk_add_f16 v31, v10, v26
	v_pk_max_f16 v32, v84, v84
	v_pk_add_f16 v33, v11, v27
	s_delay_alu instid0(VALU_DEP_2) | instskip(NEXT) | instid1(VALU_DEP_1)
	v_pk_min_f16 v31, v32, v31
	v_pk_min_f16 v33, v31, v33
	v_lshlrev_b64 v[31:32], 1, v[42:43]
	s_delay_alu instid0(VALU_DEP_2) | instskip(NEXT) | instid1(VALU_DEP_1)
	v_lshrrev_b32_e32 v34, 16, v33
	v_min3_f16 v33, v30, v33, v34
	s_delay_alu instid0(VALU_DEP_3) | instskip(NEXT) | instid1(VALU_DEP_4)
	v_add_co_u32 v30, vcc_lo, v24, v31
	v_add_co_ci_u32_e32 v31, vcc_lo, v25, v32, vcc_lo
	global_store_b16 v[30:31], v33, off
	s_or_b32 exec_lo, exec_lo, s9
	s_and_b32 s10, s2, s4
	s_delay_alu instid0(SALU_CYCLE_1)
	s_and_saveexec_b32 s9, s10
	s_cbranch_execz .LBB267_185
.LBB267_194:
	v_cmp_ne_u32_e32 vcc_lo, 1, v48
	s_cbranch_vccnz .LBB267_196
; %bb.195:
	v_lshlrev_b64 v[30:31], 1, v[44:45]
	s_delay_alu instid0(VALU_DEP_1) | instskip(NEXT) | instid1(VALU_DEP_2)
	v_add_co_u32 v30, vcc_lo, v28, v30
	v_add_co_ci_u32_e32 v31, vcc_lo, v29, v31, vcc_lo
	flat_load_u16 v30, v[30:31]
	s_waitcnt vmcnt(0) lgkmcnt(0)
	v_mul_f16_e32 v30, v50, v30
	s_branch .LBB267_197
.LBB267_196:
	v_mov_b32_e32 v30, 0
.LBB267_197:
	v_pk_add_f16 v31, v0, v26
	v_pk_max_f16 v32, v85, v85
	v_pk_add_f16 v33, v1, v27
	s_delay_alu instid0(VALU_DEP_2) | instskip(NEXT) | instid1(VALU_DEP_1)
	v_pk_min_f16 v31, v32, v31
	v_pk_min_f16 v33, v31, v33
	v_lshlrev_b64 v[31:32], 1, v[44:45]
	s_delay_alu instid0(VALU_DEP_2) | instskip(NEXT) | instid1(VALU_DEP_1)
	v_lshrrev_b32_e32 v34, 16, v33
	v_min3_f16 v33, v30, v33, v34
	s_delay_alu instid0(VALU_DEP_3) | instskip(NEXT) | instid1(VALU_DEP_4)
	v_add_co_u32 v30, vcc_lo, v24, v31
	v_add_co_ci_u32_e32 v31, vcc_lo, v25, v32, vcc_lo
	global_store_b16 v[30:31], v33, off
	s_or_b32 exec_lo, exec_lo, s9
	s_and_b32 s9, s3, s4
	s_delay_alu instid0(SALU_CYCLE_1)
	s_and_saveexec_b32 s4, s9
	s_cbranch_execz .LBB267_202
.LBB267_198:
	v_cmp_ne_u32_e32 vcc_lo, 1, v48
	s_cbranch_vccnz .LBB267_200
; %bb.199:
	v_lshlrev_b64 v[30:31], 1, v[46:47]
	s_delay_alu instid0(VALU_DEP_1) | instskip(NEXT) | instid1(VALU_DEP_2)
	v_add_co_u32 v28, vcc_lo, v28, v30
	v_add_co_ci_u32_e32 v29, vcc_lo, v29, v31, vcc_lo
	flat_load_u16 v28, v[28:29]
	s_waitcnt vmcnt(0) lgkmcnt(0)
	v_mul_f16_e32 v28, v50, v28
	s_branch .LBB267_201
.LBB267_200:
	v_mov_b32_e32 v28, 0
.LBB267_201:
	v_pk_add_f16 v26, v2, v26
	v_pk_max_f16 v29, v83, v83
	v_pk_add_f16 v27, v3, v27
	s_delay_alu instid0(VALU_DEP_2) | instskip(NEXT) | instid1(VALU_DEP_1)
	v_pk_min_f16 v26, v29, v26
	v_pk_min_f16 v29, v26, v27
	v_lshlrev_b64 v[26:27], 1, v[46:47]
	s_delay_alu instid0(VALU_DEP_2) | instskip(NEXT) | instid1(VALU_DEP_2)
	v_lshrrev_b32_e32 v30, 16, v29
	v_add_co_u32 v24, vcc_lo, v24, v26
	s_delay_alu instid0(VALU_DEP_3) | instskip(NEXT) | instid1(VALU_DEP_3)
	v_add_co_ci_u32_e32 v25, vcc_lo, v25, v27, vcc_lo
	v_min3_f16 v28, v28, v29, v30
	global_store_b16 v[24:25], v28, off
.LBB267_202:
	s_or_b32 exec_lo, exec_lo, s4
	v_add_nc_u32_e32 v28, 64, v49
	s_delay_alu instid0(VALU_DEP_1) | instskip(SKIP_2) | instid1(VALU_DEP_3)
	v_mad_i64_i32 v[24:25], null, v28, s6, 0
	v_mad_i64_i32 v[26:27], null, v28, s5, 0
	v_cmp_gt_i32_e64 s4, s17, v28
	v_lshlrev_b64 v[24:25], 1, v[24:25]
	s_delay_alu instid0(VALU_DEP_2) | instskip(NEXT) | instid1(VALU_DEP_3)
	s_and_b32 s10, s0, s4
	v_lshlrev_b64 v[28:29], 1, v[26:27]
	s_delay_alu instid0(VALU_DEP_2) | instskip(NEXT) | instid1(VALU_DEP_3)
	v_add_co_u32 v26, vcc_lo, s12, v24
	v_add_co_ci_u32_e32 v27, vcc_lo, s13, v25, vcc_lo
	s_delay_alu instid0(VALU_DEP_3) | instskip(NEXT) | instid1(VALU_DEP_4)
	v_add_co_u32 v24, vcc_lo, s7, v28
	v_add_co_ci_u32_e32 v25, vcc_lo, s8, v29, vcc_lo
	s_and_saveexec_b32 s9, s10
	s_cbranch_execnz .LBB267_206
; %bb.203:
	s_or_b32 exec_lo, exec_lo, s9
	s_and_b32 s10, s1, s4
	s_delay_alu instid0(SALU_CYCLE_1)
	s_and_saveexec_b32 s9, s10
	s_cbranch_execnz .LBB267_210
.LBB267_204:
	s_or_b32 exec_lo, exec_lo, s9
	s_and_b32 s10, s2, s4
	s_delay_alu instid0(SALU_CYCLE_1)
	s_and_saveexec_b32 s9, s10
	s_cbranch_execnz .LBB267_214
.LBB267_205:
	s_or_b32 exec_lo, exec_lo, s9
	s_and_b32 s9, s3, s4
	s_delay_alu instid0(SALU_CYCLE_1)
	s_and_saveexec_b32 s4, s9
	s_cbranch_execnz .LBB267_218
	s_branch .LBB267_222
.LBB267_206:
	v_cmp_ne_u32_e32 vcc_lo, 1, v48
	s_cbranch_vccnz .LBB267_208
; %bb.207:
	v_lshlrev_b64 v[28:29], 1, v[40:41]
	s_delay_alu instid0(VALU_DEP_1) | instskip(NEXT) | instid1(VALU_DEP_2)
	v_add_co_u32 v28, vcc_lo, v26, v28
	v_add_co_ci_u32_e32 v29, vcc_lo, v27, v29, vcc_lo
	flat_load_u16 v28, v[28:29]
	s_waitcnt vmcnt(0) lgkmcnt(0)
	v_mul_f16_e32 v28, v50, v28
	s_branch .LBB267_209
.LBB267_208:
	v_mov_b32_e32 v28, 0
.LBB267_209:
	v_pk_add_f16 v29, v8, v20
	v_pk_max_f16 v30, v82, v82
	v_pk_add_f16 v31, v9, v21
	s_delay_alu instid0(VALU_DEP_2) | instskip(NEXT) | instid1(VALU_DEP_1)
	v_pk_min_f16 v29, v30, v29
	v_pk_min_f16 v31, v29, v31
	v_lshlrev_b64 v[29:30], 1, v[40:41]
	s_delay_alu instid0(VALU_DEP_2) | instskip(NEXT) | instid1(VALU_DEP_1)
	v_lshrrev_b32_e32 v32, 16, v31
	v_min3_f16 v31, v28, v31, v32
	s_delay_alu instid0(VALU_DEP_3) | instskip(NEXT) | instid1(VALU_DEP_4)
	v_add_co_u32 v28, vcc_lo, v24, v29
	v_add_co_ci_u32_e32 v29, vcc_lo, v25, v30, vcc_lo
	global_store_b16 v[28:29], v31, off
	s_or_b32 exec_lo, exec_lo, s9
	s_and_b32 s10, s1, s4
	s_delay_alu instid0(SALU_CYCLE_1)
	s_and_saveexec_b32 s9, s10
	s_cbranch_execz .LBB267_204
.LBB267_210:
	v_cmp_ne_u32_e32 vcc_lo, 1, v48
	s_cbranch_vccnz .LBB267_212
; %bb.211:
	v_lshlrev_b64 v[28:29], 1, v[42:43]
	s_delay_alu instid0(VALU_DEP_1) | instskip(NEXT) | instid1(VALU_DEP_2)
	v_add_co_u32 v28, vcc_lo, v26, v28
	v_add_co_ci_u32_e32 v29, vcc_lo, v27, v29, vcc_lo
	flat_load_u16 v28, v[28:29]
	s_waitcnt vmcnt(0) lgkmcnt(0)
	v_mul_f16_e32 v28, v50, v28
	s_branch .LBB267_213
.LBB267_212:
	v_mov_b32_e32 v28, 0
.LBB267_213:
	v_pk_add_f16 v29, v10, v20
	v_pk_max_f16 v30, v81, v81
	v_pk_add_f16 v31, v11, v21
	s_delay_alu instid0(VALU_DEP_2) | instskip(NEXT) | instid1(VALU_DEP_1)
	v_pk_min_f16 v29, v30, v29
	v_pk_min_f16 v31, v29, v31
	v_lshlrev_b64 v[29:30], 1, v[42:43]
	s_delay_alu instid0(VALU_DEP_2) | instskip(NEXT) | instid1(VALU_DEP_1)
	v_lshrrev_b32_e32 v32, 16, v31
	v_min3_f16 v31, v28, v31, v32
	s_delay_alu instid0(VALU_DEP_3) | instskip(NEXT) | instid1(VALU_DEP_4)
	v_add_co_u32 v28, vcc_lo, v24, v29
	v_add_co_ci_u32_e32 v29, vcc_lo, v25, v30, vcc_lo
	global_store_b16 v[28:29], v31, off
	s_or_b32 exec_lo, exec_lo, s9
	s_and_b32 s10, s2, s4
	s_delay_alu instid0(SALU_CYCLE_1)
	s_and_saveexec_b32 s9, s10
	s_cbranch_execz .LBB267_205
.LBB267_214:
	v_cmp_ne_u32_e32 vcc_lo, 1, v48
	s_cbranch_vccnz .LBB267_216
; %bb.215:
	v_lshlrev_b64 v[28:29], 1, v[44:45]
	s_delay_alu instid0(VALU_DEP_1) | instskip(NEXT) | instid1(VALU_DEP_2)
	v_add_co_u32 v28, vcc_lo, v26, v28
	v_add_co_ci_u32_e32 v29, vcc_lo, v27, v29, vcc_lo
	flat_load_u16 v28, v[28:29]
	s_waitcnt vmcnt(0) lgkmcnt(0)
	v_mul_f16_e32 v28, v50, v28
	s_branch .LBB267_217
.LBB267_216:
	v_mov_b32_e32 v28, 0
.LBB267_217:
	v_pk_add_f16 v29, v0, v20
	v_pk_max_f16 v30, v80, v80
	v_pk_add_f16 v31, v1, v21
	s_delay_alu instid0(VALU_DEP_2) | instskip(NEXT) | instid1(VALU_DEP_1)
	v_pk_min_f16 v29, v30, v29
	v_pk_min_f16 v31, v29, v31
	v_lshlrev_b64 v[29:30], 1, v[44:45]
	s_delay_alu instid0(VALU_DEP_2) | instskip(NEXT) | instid1(VALU_DEP_1)
	v_lshrrev_b32_e32 v32, 16, v31
	v_min3_f16 v31, v28, v31, v32
	s_delay_alu instid0(VALU_DEP_3) | instskip(NEXT) | instid1(VALU_DEP_4)
	v_add_co_u32 v28, vcc_lo, v24, v29
	v_add_co_ci_u32_e32 v29, vcc_lo, v25, v30, vcc_lo
	global_store_b16 v[28:29], v31, off
	s_or_b32 exec_lo, exec_lo, s9
	s_and_b32 s9, s3, s4
	s_delay_alu instid0(SALU_CYCLE_1)
	s_and_saveexec_b32 s4, s9
	s_cbranch_execz .LBB267_222
.LBB267_218:
	v_cmp_ne_u32_e32 vcc_lo, 1, v48
	s_cbranch_vccnz .LBB267_220
; %bb.219:
	v_lshlrev_b64 v[28:29], 1, v[46:47]
	s_delay_alu instid0(VALU_DEP_1) | instskip(NEXT) | instid1(VALU_DEP_2)
	v_add_co_u32 v26, vcc_lo, v26, v28
	v_add_co_ci_u32_e32 v27, vcc_lo, v27, v29, vcc_lo
	flat_load_u16 v26, v[26:27]
	s_waitcnt vmcnt(0) lgkmcnt(0)
	v_mul_f16_e32 v26, v50, v26
	s_branch .LBB267_221
.LBB267_220:
	v_mov_b32_e32 v26, 0
.LBB267_221:
	v_pk_add_f16 v20, v2, v20
	v_pk_max_f16 v27, v79, v79
	v_pk_add_f16 v21, v3, v21
	s_delay_alu instid0(VALU_DEP_2) | instskip(NEXT) | instid1(VALU_DEP_1)
	v_pk_min_f16 v20, v27, v20
	v_pk_min_f16 v27, v20, v21
	v_lshlrev_b64 v[20:21], 1, v[46:47]
	s_delay_alu instid0(VALU_DEP_2) | instskip(NEXT) | instid1(VALU_DEP_2)
	v_lshrrev_b32_e32 v28, 16, v27
	v_add_co_u32 v20, vcc_lo, v24, v20
	s_delay_alu instid0(VALU_DEP_3) | instskip(NEXT) | instid1(VALU_DEP_3)
	v_add_co_ci_u32_e32 v21, vcc_lo, v25, v21, vcc_lo
	v_min3_f16 v26, v26, v27, v28
	global_store_b16 v[20:21], v26, off
.LBB267_222:
	s_or_b32 exec_lo, exec_lo, s4
	v_add_nc_u32_e32 v26, 0x48, v49
	s_delay_alu instid0(VALU_DEP_1) | instskip(SKIP_2) | instid1(VALU_DEP_3)
	v_mad_i64_i32 v[20:21], null, v26, s6, 0
	v_mad_i64_i32 v[24:25], null, v26, s5, 0
	v_cmp_gt_i32_e64 s4, s17, v26
	v_lshlrev_b64 v[20:21], 1, v[20:21]
	s_delay_alu instid0(VALU_DEP_2) | instskip(NEXT) | instid1(VALU_DEP_3)
	s_and_b32 s10, s0, s4
	v_lshlrev_b64 v[26:27], 1, v[24:25]
	s_delay_alu instid0(VALU_DEP_2) | instskip(NEXT) | instid1(VALU_DEP_3)
	v_add_co_u32 v24, vcc_lo, s12, v20
	v_add_co_ci_u32_e32 v25, vcc_lo, s13, v21, vcc_lo
	s_delay_alu instid0(VALU_DEP_3) | instskip(NEXT) | instid1(VALU_DEP_4)
	v_add_co_u32 v20, vcc_lo, s7, v26
	v_add_co_ci_u32_e32 v21, vcc_lo, s8, v27, vcc_lo
	s_and_saveexec_b32 s9, s10
	s_cbranch_execnz .LBB267_226
; %bb.223:
	s_or_b32 exec_lo, exec_lo, s9
	s_and_b32 s10, s1, s4
	s_delay_alu instid0(SALU_CYCLE_1)
	s_and_saveexec_b32 s9, s10
	s_cbranch_execnz .LBB267_230
.LBB267_224:
	s_or_b32 exec_lo, exec_lo, s9
	s_and_b32 s10, s2, s4
	s_delay_alu instid0(SALU_CYCLE_1)
	s_and_saveexec_b32 s9, s10
	s_cbranch_execnz .LBB267_234
.LBB267_225:
	s_or_b32 exec_lo, exec_lo, s9
	s_and_b32 s9, s3, s4
	s_delay_alu instid0(SALU_CYCLE_1)
	s_and_saveexec_b32 s4, s9
	s_cbranch_execnz .LBB267_238
	s_branch .LBB267_242
.LBB267_226:
	v_cmp_ne_u32_e32 vcc_lo, 1, v48
	s_cbranch_vccnz .LBB267_228
; %bb.227:
	v_lshlrev_b64 v[26:27], 1, v[40:41]
	s_delay_alu instid0(VALU_DEP_1) | instskip(NEXT) | instid1(VALU_DEP_2)
	v_add_co_u32 v26, vcc_lo, v24, v26
	v_add_co_ci_u32_e32 v27, vcc_lo, v25, v27, vcc_lo
	flat_load_u16 v26, v[26:27]
	s_waitcnt vmcnt(0) lgkmcnt(0)
	v_mul_f16_e32 v26, v50, v26
	s_branch .LBB267_229
.LBB267_228:
	v_mov_b32_e32 v26, 0
.LBB267_229:
	v_pk_add_f16 v27, v8, v22
	v_pk_max_f16 v28, v78, v78
	v_pk_add_f16 v29, v9, v23
	s_delay_alu instid0(VALU_DEP_2) | instskip(NEXT) | instid1(VALU_DEP_1)
	v_pk_min_f16 v27, v28, v27
	v_pk_min_f16 v29, v27, v29
	v_lshlrev_b64 v[27:28], 1, v[40:41]
	s_delay_alu instid0(VALU_DEP_2) | instskip(NEXT) | instid1(VALU_DEP_1)
	v_lshrrev_b32_e32 v30, 16, v29
	v_min3_f16 v29, v26, v29, v30
	s_delay_alu instid0(VALU_DEP_3) | instskip(NEXT) | instid1(VALU_DEP_4)
	v_add_co_u32 v26, vcc_lo, v20, v27
	v_add_co_ci_u32_e32 v27, vcc_lo, v21, v28, vcc_lo
	global_store_b16 v[26:27], v29, off
	s_or_b32 exec_lo, exec_lo, s9
	s_and_b32 s10, s1, s4
	s_delay_alu instid0(SALU_CYCLE_1)
	s_and_saveexec_b32 s9, s10
	s_cbranch_execz .LBB267_224
.LBB267_230:
	v_cmp_ne_u32_e32 vcc_lo, 1, v48
	s_cbranch_vccnz .LBB267_232
; %bb.231:
	v_lshlrev_b64 v[26:27], 1, v[42:43]
	s_delay_alu instid0(VALU_DEP_1) | instskip(NEXT) | instid1(VALU_DEP_2)
	v_add_co_u32 v26, vcc_lo, v24, v26
	v_add_co_ci_u32_e32 v27, vcc_lo, v25, v27, vcc_lo
	flat_load_u16 v26, v[26:27]
	s_waitcnt vmcnt(0) lgkmcnt(0)
	v_mul_f16_e32 v26, v50, v26
	s_branch .LBB267_233
.LBB267_232:
	v_mov_b32_e32 v26, 0
.LBB267_233:
	v_pk_add_f16 v27, v10, v22
	v_pk_max_f16 v28, v77, v77
	v_pk_add_f16 v29, v11, v23
	s_delay_alu instid0(VALU_DEP_2) | instskip(NEXT) | instid1(VALU_DEP_1)
	v_pk_min_f16 v27, v28, v27
	v_pk_min_f16 v29, v27, v29
	v_lshlrev_b64 v[27:28], 1, v[42:43]
	s_delay_alu instid0(VALU_DEP_2) | instskip(NEXT) | instid1(VALU_DEP_1)
	v_lshrrev_b32_e32 v30, 16, v29
	v_min3_f16 v29, v26, v29, v30
	s_delay_alu instid0(VALU_DEP_3) | instskip(NEXT) | instid1(VALU_DEP_4)
	v_add_co_u32 v26, vcc_lo, v20, v27
	v_add_co_ci_u32_e32 v27, vcc_lo, v21, v28, vcc_lo
	global_store_b16 v[26:27], v29, off
	s_or_b32 exec_lo, exec_lo, s9
	s_and_b32 s10, s2, s4
	s_delay_alu instid0(SALU_CYCLE_1)
	s_and_saveexec_b32 s9, s10
	s_cbranch_execz .LBB267_225
.LBB267_234:
	v_cmp_ne_u32_e32 vcc_lo, 1, v48
	s_cbranch_vccnz .LBB267_236
; %bb.235:
	v_lshlrev_b64 v[26:27], 1, v[44:45]
	s_delay_alu instid0(VALU_DEP_1) | instskip(NEXT) | instid1(VALU_DEP_2)
	v_add_co_u32 v26, vcc_lo, v24, v26
	v_add_co_ci_u32_e32 v27, vcc_lo, v25, v27, vcc_lo
	flat_load_u16 v26, v[26:27]
	s_waitcnt vmcnt(0) lgkmcnt(0)
	v_mul_f16_e32 v26, v50, v26
	s_branch .LBB267_237
.LBB267_236:
	v_mov_b32_e32 v26, 0
.LBB267_237:
	v_pk_add_f16 v27, v0, v22
	v_pk_max_f16 v28, v76, v76
	v_pk_add_f16 v29, v1, v23
	s_delay_alu instid0(VALU_DEP_2) | instskip(NEXT) | instid1(VALU_DEP_1)
	v_pk_min_f16 v27, v28, v27
	v_pk_min_f16 v29, v27, v29
	v_lshlrev_b64 v[27:28], 1, v[44:45]
	s_delay_alu instid0(VALU_DEP_2) | instskip(NEXT) | instid1(VALU_DEP_1)
	v_lshrrev_b32_e32 v30, 16, v29
	v_min3_f16 v29, v26, v29, v30
	s_delay_alu instid0(VALU_DEP_3) | instskip(NEXT) | instid1(VALU_DEP_4)
	v_add_co_u32 v26, vcc_lo, v20, v27
	v_add_co_ci_u32_e32 v27, vcc_lo, v21, v28, vcc_lo
	global_store_b16 v[26:27], v29, off
	s_or_b32 exec_lo, exec_lo, s9
	s_and_b32 s9, s3, s4
	s_delay_alu instid0(SALU_CYCLE_1)
	s_and_saveexec_b32 s4, s9
	s_cbranch_execz .LBB267_242
.LBB267_238:
	v_cmp_ne_u32_e32 vcc_lo, 1, v48
	s_cbranch_vccnz .LBB267_240
; %bb.239:
	v_lshlrev_b64 v[26:27], 1, v[46:47]
	s_delay_alu instid0(VALU_DEP_1) | instskip(NEXT) | instid1(VALU_DEP_2)
	v_add_co_u32 v24, vcc_lo, v24, v26
	v_add_co_ci_u32_e32 v25, vcc_lo, v25, v27, vcc_lo
	flat_load_u16 v24, v[24:25]
	s_waitcnt vmcnt(0) lgkmcnt(0)
	v_mul_f16_e32 v24, v50, v24
	s_branch .LBB267_241
.LBB267_240:
	v_mov_b32_e32 v24, 0
.LBB267_241:
	v_pk_add_f16 v22, v2, v22
	v_pk_max_f16 v25, v75, v75
	v_pk_add_f16 v23, v3, v23
	s_delay_alu instid0(VALU_DEP_2) | instskip(NEXT) | instid1(VALU_DEP_1)
	v_pk_min_f16 v22, v25, v22
	v_pk_min_f16 v25, v22, v23
	v_lshlrev_b64 v[22:23], 1, v[46:47]
	s_delay_alu instid0(VALU_DEP_2) | instskip(NEXT) | instid1(VALU_DEP_2)
	v_lshrrev_b32_e32 v26, 16, v25
	v_add_co_u32 v20, vcc_lo, v20, v22
	s_delay_alu instid0(VALU_DEP_3) | instskip(NEXT) | instid1(VALU_DEP_3)
	v_add_co_ci_u32_e32 v21, vcc_lo, v21, v23, vcc_lo
	v_min3_f16 v24, v24, v25, v26
	global_store_b16 v[20:21], v24, off
.LBB267_242:
	s_or_b32 exec_lo, exec_lo, s4
	v_add_nc_u32_e32 v24, 0x50, v49
	s_delay_alu instid0(VALU_DEP_1) | instskip(SKIP_2) | instid1(VALU_DEP_3)
	v_mad_i64_i32 v[20:21], null, v24, s6, 0
	v_mad_i64_i32 v[22:23], null, v24, s5, 0
	v_cmp_gt_i32_e64 s4, s17, v24
	v_lshlrev_b64 v[20:21], 1, v[20:21]
	s_delay_alu instid0(VALU_DEP_2) | instskip(NEXT) | instid1(VALU_DEP_3)
	s_and_b32 s10, s0, s4
	v_lshlrev_b64 v[24:25], 1, v[22:23]
	s_delay_alu instid0(VALU_DEP_2) | instskip(NEXT) | instid1(VALU_DEP_3)
	v_add_co_u32 v22, vcc_lo, s12, v20
	v_add_co_ci_u32_e32 v23, vcc_lo, s13, v21, vcc_lo
	s_delay_alu instid0(VALU_DEP_3) | instskip(NEXT) | instid1(VALU_DEP_4)
	v_add_co_u32 v20, vcc_lo, s7, v24
	v_add_co_ci_u32_e32 v21, vcc_lo, s8, v25, vcc_lo
	s_and_saveexec_b32 s9, s10
	s_cbranch_execnz .LBB267_246
; %bb.243:
	s_or_b32 exec_lo, exec_lo, s9
	s_and_b32 s10, s1, s4
	s_delay_alu instid0(SALU_CYCLE_1)
	s_and_saveexec_b32 s9, s10
	s_cbranch_execnz .LBB267_250
.LBB267_244:
	s_or_b32 exec_lo, exec_lo, s9
	s_and_b32 s10, s2, s4
	s_delay_alu instid0(SALU_CYCLE_1)
	s_and_saveexec_b32 s9, s10
	s_cbranch_execnz .LBB267_254
.LBB267_245:
	s_or_b32 exec_lo, exec_lo, s9
	s_and_b32 s9, s3, s4
	s_delay_alu instid0(SALU_CYCLE_1)
	s_and_saveexec_b32 s4, s9
	s_cbranch_execnz .LBB267_258
	s_branch .LBB267_262
.LBB267_246:
	v_cmp_ne_u32_e32 vcc_lo, 1, v48
	s_cbranch_vccnz .LBB267_248
; %bb.247:
	v_lshlrev_b64 v[24:25], 1, v[40:41]
	s_delay_alu instid0(VALU_DEP_1) | instskip(NEXT) | instid1(VALU_DEP_2)
	v_add_co_u32 v24, vcc_lo, v22, v24
	v_add_co_ci_u32_e32 v25, vcc_lo, v23, v25, vcc_lo
	flat_load_u16 v24, v[24:25]
	s_waitcnt vmcnt(0) lgkmcnt(0)
	v_mul_f16_e32 v24, v50, v24
	s_branch .LBB267_249
.LBB267_248:
	v_mov_b32_e32 v24, 0
.LBB267_249:
	v_pk_add_f16 v25, v8, v16
	v_pk_max_f16 v26, v74, v74
	v_pk_add_f16 v27, v9, v17
	s_delay_alu instid0(VALU_DEP_2) | instskip(NEXT) | instid1(VALU_DEP_1)
	v_pk_min_f16 v25, v26, v25
	v_pk_min_f16 v27, v25, v27
	v_lshlrev_b64 v[25:26], 1, v[40:41]
	s_delay_alu instid0(VALU_DEP_2) | instskip(NEXT) | instid1(VALU_DEP_1)
	v_lshrrev_b32_e32 v28, 16, v27
	v_min3_f16 v27, v24, v27, v28
	s_delay_alu instid0(VALU_DEP_3) | instskip(NEXT) | instid1(VALU_DEP_4)
	v_add_co_u32 v24, vcc_lo, v20, v25
	v_add_co_ci_u32_e32 v25, vcc_lo, v21, v26, vcc_lo
	global_store_b16 v[24:25], v27, off
	s_or_b32 exec_lo, exec_lo, s9
	s_and_b32 s10, s1, s4
	s_delay_alu instid0(SALU_CYCLE_1)
	s_and_saveexec_b32 s9, s10
	s_cbranch_execz .LBB267_244
.LBB267_250:
	v_cmp_ne_u32_e32 vcc_lo, 1, v48
	s_cbranch_vccnz .LBB267_252
; %bb.251:
	v_lshlrev_b64 v[24:25], 1, v[42:43]
	s_delay_alu instid0(VALU_DEP_1) | instskip(NEXT) | instid1(VALU_DEP_2)
	v_add_co_u32 v24, vcc_lo, v22, v24
	v_add_co_ci_u32_e32 v25, vcc_lo, v23, v25, vcc_lo
	flat_load_u16 v24, v[24:25]
	s_waitcnt vmcnt(0) lgkmcnt(0)
	v_mul_f16_e32 v24, v50, v24
	s_branch .LBB267_253
.LBB267_252:
	v_mov_b32_e32 v24, 0
.LBB267_253:
	v_pk_add_f16 v25, v10, v16
	v_pk_max_f16 v26, v73, v73
	v_pk_add_f16 v27, v11, v17
	s_delay_alu instid0(VALU_DEP_2) | instskip(NEXT) | instid1(VALU_DEP_1)
	v_pk_min_f16 v25, v26, v25
	v_pk_min_f16 v27, v25, v27
	v_lshlrev_b64 v[25:26], 1, v[42:43]
	s_delay_alu instid0(VALU_DEP_2) | instskip(NEXT) | instid1(VALU_DEP_1)
	v_lshrrev_b32_e32 v28, 16, v27
	v_min3_f16 v27, v24, v27, v28
	s_delay_alu instid0(VALU_DEP_3) | instskip(NEXT) | instid1(VALU_DEP_4)
	v_add_co_u32 v24, vcc_lo, v20, v25
	v_add_co_ci_u32_e32 v25, vcc_lo, v21, v26, vcc_lo
	global_store_b16 v[24:25], v27, off
	s_or_b32 exec_lo, exec_lo, s9
	s_and_b32 s10, s2, s4
	s_delay_alu instid0(SALU_CYCLE_1)
	s_and_saveexec_b32 s9, s10
	s_cbranch_execz .LBB267_245
.LBB267_254:
	v_cmp_ne_u32_e32 vcc_lo, 1, v48
	s_cbranch_vccnz .LBB267_256
; %bb.255:
	v_lshlrev_b64 v[24:25], 1, v[44:45]
	s_delay_alu instid0(VALU_DEP_1) | instskip(NEXT) | instid1(VALU_DEP_2)
	v_add_co_u32 v24, vcc_lo, v22, v24
	v_add_co_ci_u32_e32 v25, vcc_lo, v23, v25, vcc_lo
	flat_load_u16 v24, v[24:25]
	s_waitcnt vmcnt(0) lgkmcnt(0)
	v_mul_f16_e32 v24, v50, v24
	s_branch .LBB267_257
.LBB267_256:
	v_mov_b32_e32 v24, 0
.LBB267_257:
	v_pk_add_f16 v25, v0, v16
	v_pk_max_f16 v26, v72, v72
	v_pk_add_f16 v27, v1, v17
	s_delay_alu instid0(VALU_DEP_2) | instskip(NEXT) | instid1(VALU_DEP_1)
	v_pk_min_f16 v25, v26, v25
	v_pk_min_f16 v27, v25, v27
	v_lshlrev_b64 v[25:26], 1, v[44:45]
	s_delay_alu instid0(VALU_DEP_2) | instskip(NEXT) | instid1(VALU_DEP_1)
	v_lshrrev_b32_e32 v28, 16, v27
	v_min3_f16 v27, v24, v27, v28
	s_delay_alu instid0(VALU_DEP_3) | instskip(NEXT) | instid1(VALU_DEP_4)
	v_add_co_u32 v24, vcc_lo, v20, v25
	v_add_co_ci_u32_e32 v25, vcc_lo, v21, v26, vcc_lo
	global_store_b16 v[24:25], v27, off
	s_or_b32 exec_lo, exec_lo, s9
	s_and_b32 s9, s3, s4
	s_delay_alu instid0(SALU_CYCLE_1)
	s_and_saveexec_b32 s4, s9
	s_cbranch_execz .LBB267_262
.LBB267_258:
	v_cmp_ne_u32_e32 vcc_lo, 1, v48
	s_cbranch_vccnz .LBB267_260
; %bb.259:
	v_lshlrev_b64 v[24:25], 1, v[46:47]
	s_delay_alu instid0(VALU_DEP_1) | instskip(NEXT) | instid1(VALU_DEP_2)
	v_add_co_u32 v22, vcc_lo, v22, v24
	v_add_co_ci_u32_e32 v23, vcc_lo, v23, v25, vcc_lo
	flat_load_u16 v22, v[22:23]
	s_waitcnt vmcnt(0) lgkmcnt(0)
	v_mul_f16_e32 v22, v50, v22
	s_branch .LBB267_261
.LBB267_260:
	v_mov_b32_e32 v22, 0
.LBB267_261:
	v_pk_add_f16 v16, v2, v16
	v_pk_max_f16 v23, v71, v71
	v_pk_add_f16 v17, v3, v17
	s_delay_alu instid0(VALU_DEP_2) | instskip(NEXT) | instid1(VALU_DEP_1)
	v_pk_min_f16 v16, v23, v16
	v_pk_min_f16 v23, v16, v17
	v_lshlrev_b64 v[16:17], 1, v[46:47]
	s_delay_alu instid0(VALU_DEP_2) | instskip(NEXT) | instid1(VALU_DEP_2)
	v_lshrrev_b32_e32 v24, 16, v23
	v_add_co_u32 v16, vcc_lo, v20, v16
	s_delay_alu instid0(VALU_DEP_3) | instskip(NEXT) | instid1(VALU_DEP_3)
	v_add_co_ci_u32_e32 v17, vcc_lo, v21, v17, vcc_lo
	v_min3_f16 v22, v22, v23, v24
	global_store_b16 v[16:17], v22, off
.LBB267_262:
	s_or_b32 exec_lo, exec_lo, s4
	v_add_nc_u32_e32 v22, 0x58, v49
	s_delay_alu instid0(VALU_DEP_1) | instskip(SKIP_2) | instid1(VALU_DEP_3)
	v_mad_i64_i32 v[16:17], null, v22, s6, 0
	v_mad_i64_i32 v[20:21], null, v22, s5, 0
	v_cmp_gt_i32_e64 s4, s17, v22
	v_lshlrev_b64 v[16:17], 1, v[16:17]
	s_delay_alu instid0(VALU_DEP_2) | instskip(NEXT) | instid1(VALU_DEP_3)
	s_and_b32 s10, s0, s4
	v_lshlrev_b64 v[22:23], 1, v[20:21]
	s_delay_alu instid0(VALU_DEP_2) | instskip(NEXT) | instid1(VALU_DEP_3)
	v_add_co_u32 v20, vcc_lo, s12, v16
	v_add_co_ci_u32_e32 v21, vcc_lo, s13, v17, vcc_lo
	s_delay_alu instid0(VALU_DEP_3) | instskip(NEXT) | instid1(VALU_DEP_4)
	v_add_co_u32 v16, vcc_lo, s7, v22
	v_add_co_ci_u32_e32 v17, vcc_lo, s8, v23, vcc_lo
	s_and_saveexec_b32 s9, s10
	s_cbranch_execnz .LBB267_266
; %bb.263:
	s_or_b32 exec_lo, exec_lo, s9
	s_and_b32 s10, s1, s4
	s_delay_alu instid0(SALU_CYCLE_1)
	s_and_saveexec_b32 s9, s10
	s_cbranch_execnz .LBB267_270
.LBB267_264:
	s_or_b32 exec_lo, exec_lo, s9
	s_and_b32 s10, s2, s4
	s_delay_alu instid0(SALU_CYCLE_1)
	s_and_saveexec_b32 s9, s10
	s_cbranch_execnz .LBB267_274
.LBB267_265:
	s_or_b32 exec_lo, exec_lo, s9
	s_and_b32 s9, s3, s4
	s_delay_alu instid0(SALU_CYCLE_1)
	s_and_saveexec_b32 s4, s9
	s_cbranch_execnz .LBB267_278
	s_branch .LBB267_282
.LBB267_266:
	v_cmp_ne_u32_e32 vcc_lo, 1, v48
	s_cbranch_vccnz .LBB267_268
; %bb.267:
	v_lshlrev_b64 v[22:23], 1, v[40:41]
	s_delay_alu instid0(VALU_DEP_1) | instskip(NEXT) | instid1(VALU_DEP_2)
	v_add_co_u32 v22, vcc_lo, v20, v22
	v_add_co_ci_u32_e32 v23, vcc_lo, v21, v23, vcc_lo
	flat_load_u16 v22, v[22:23]
	s_waitcnt vmcnt(0) lgkmcnt(0)
	v_mul_f16_e32 v22, v50, v22
	s_branch .LBB267_269
.LBB267_268:
	v_mov_b32_e32 v22, 0
.LBB267_269:
	v_pk_add_f16 v23, v8, v18
	v_pk_max_f16 v24, v70, v70
	v_pk_add_f16 v25, v9, v19
	s_delay_alu instid0(VALU_DEP_2) | instskip(NEXT) | instid1(VALU_DEP_1)
	v_pk_min_f16 v23, v24, v23
	v_pk_min_f16 v25, v23, v25
	v_lshlrev_b64 v[23:24], 1, v[40:41]
	s_delay_alu instid0(VALU_DEP_2) | instskip(NEXT) | instid1(VALU_DEP_1)
	v_lshrrev_b32_e32 v26, 16, v25
	v_min3_f16 v25, v22, v25, v26
	s_delay_alu instid0(VALU_DEP_3) | instskip(NEXT) | instid1(VALU_DEP_4)
	v_add_co_u32 v22, vcc_lo, v16, v23
	v_add_co_ci_u32_e32 v23, vcc_lo, v17, v24, vcc_lo
	global_store_b16 v[22:23], v25, off
	s_or_b32 exec_lo, exec_lo, s9
	s_and_b32 s10, s1, s4
	s_delay_alu instid0(SALU_CYCLE_1)
	s_and_saveexec_b32 s9, s10
	s_cbranch_execz .LBB267_264
.LBB267_270:
	v_cmp_ne_u32_e32 vcc_lo, 1, v48
	s_cbranch_vccnz .LBB267_272
; %bb.271:
	v_lshlrev_b64 v[22:23], 1, v[42:43]
	s_delay_alu instid0(VALU_DEP_1) | instskip(NEXT) | instid1(VALU_DEP_2)
	v_add_co_u32 v22, vcc_lo, v20, v22
	v_add_co_ci_u32_e32 v23, vcc_lo, v21, v23, vcc_lo
	flat_load_u16 v22, v[22:23]
	s_waitcnt vmcnt(0) lgkmcnt(0)
	v_mul_f16_e32 v22, v50, v22
	s_branch .LBB267_273
.LBB267_272:
	v_mov_b32_e32 v22, 0
.LBB267_273:
	v_pk_add_f16 v23, v10, v18
	v_pk_max_f16 v24, v69, v69
	v_pk_add_f16 v25, v11, v19
	s_delay_alu instid0(VALU_DEP_2) | instskip(NEXT) | instid1(VALU_DEP_1)
	v_pk_min_f16 v23, v24, v23
	v_pk_min_f16 v25, v23, v25
	v_lshlrev_b64 v[23:24], 1, v[42:43]
	s_delay_alu instid0(VALU_DEP_2) | instskip(NEXT) | instid1(VALU_DEP_1)
	v_lshrrev_b32_e32 v26, 16, v25
	v_min3_f16 v25, v22, v25, v26
	s_delay_alu instid0(VALU_DEP_3) | instskip(NEXT) | instid1(VALU_DEP_4)
	v_add_co_u32 v22, vcc_lo, v16, v23
	v_add_co_ci_u32_e32 v23, vcc_lo, v17, v24, vcc_lo
	global_store_b16 v[22:23], v25, off
	s_or_b32 exec_lo, exec_lo, s9
	s_and_b32 s10, s2, s4
	s_delay_alu instid0(SALU_CYCLE_1)
	s_and_saveexec_b32 s9, s10
	s_cbranch_execz .LBB267_265
.LBB267_274:
	v_cmp_ne_u32_e32 vcc_lo, 1, v48
	s_cbranch_vccnz .LBB267_276
; %bb.275:
	v_lshlrev_b64 v[22:23], 1, v[44:45]
	s_delay_alu instid0(VALU_DEP_1) | instskip(NEXT) | instid1(VALU_DEP_2)
	v_add_co_u32 v22, vcc_lo, v20, v22
	v_add_co_ci_u32_e32 v23, vcc_lo, v21, v23, vcc_lo
	flat_load_u16 v22, v[22:23]
	s_waitcnt vmcnt(0) lgkmcnt(0)
	v_mul_f16_e32 v22, v50, v22
	s_branch .LBB267_277
.LBB267_276:
	v_mov_b32_e32 v22, 0
.LBB267_277:
	v_pk_add_f16 v23, v0, v18
	v_pk_max_f16 v24, v68, v68
	v_pk_add_f16 v25, v1, v19
	s_delay_alu instid0(VALU_DEP_2) | instskip(NEXT) | instid1(VALU_DEP_1)
	v_pk_min_f16 v23, v24, v23
	v_pk_min_f16 v25, v23, v25
	v_lshlrev_b64 v[23:24], 1, v[44:45]
	s_delay_alu instid0(VALU_DEP_2) | instskip(NEXT) | instid1(VALU_DEP_1)
	v_lshrrev_b32_e32 v26, 16, v25
	v_min3_f16 v25, v22, v25, v26
	s_delay_alu instid0(VALU_DEP_3) | instskip(NEXT) | instid1(VALU_DEP_4)
	v_add_co_u32 v22, vcc_lo, v16, v23
	v_add_co_ci_u32_e32 v23, vcc_lo, v17, v24, vcc_lo
	global_store_b16 v[22:23], v25, off
	s_or_b32 exec_lo, exec_lo, s9
	s_and_b32 s9, s3, s4
	s_delay_alu instid0(SALU_CYCLE_1)
	s_and_saveexec_b32 s4, s9
	s_cbranch_execz .LBB267_282
.LBB267_278:
	v_cmp_ne_u32_e32 vcc_lo, 1, v48
	s_cbranch_vccnz .LBB267_280
; %bb.279:
	v_lshlrev_b64 v[22:23], 1, v[46:47]
	s_delay_alu instid0(VALU_DEP_1) | instskip(NEXT) | instid1(VALU_DEP_2)
	v_add_co_u32 v20, vcc_lo, v20, v22
	v_add_co_ci_u32_e32 v21, vcc_lo, v21, v23, vcc_lo
	flat_load_u16 v20, v[20:21]
	s_waitcnt vmcnt(0) lgkmcnt(0)
	v_mul_f16_e32 v20, v50, v20
	s_branch .LBB267_281
.LBB267_280:
	v_mov_b32_e32 v20, 0
.LBB267_281:
	v_pk_add_f16 v18, v2, v18
	v_pk_max_f16 v21, v67, v67
	v_pk_add_f16 v19, v3, v19
	s_delay_alu instid0(VALU_DEP_2) | instskip(NEXT) | instid1(VALU_DEP_1)
	v_pk_min_f16 v18, v21, v18
	v_pk_min_f16 v21, v18, v19
	v_lshlrev_b64 v[18:19], 1, v[46:47]
	s_delay_alu instid0(VALU_DEP_2) | instskip(NEXT) | instid1(VALU_DEP_2)
	v_lshrrev_b32_e32 v22, 16, v21
	v_add_co_u32 v16, vcc_lo, v16, v18
	s_delay_alu instid0(VALU_DEP_3) | instskip(NEXT) | instid1(VALU_DEP_3)
	v_add_co_ci_u32_e32 v17, vcc_lo, v17, v19, vcc_lo
	v_min3_f16 v20, v20, v21, v22
	global_store_b16 v[16:17], v20, off
.LBB267_282:
	s_or_b32 exec_lo, exec_lo, s4
	v_add_nc_u32_e32 v20, 0x60, v49
	s_delay_alu instid0(VALU_DEP_1) | instskip(SKIP_2) | instid1(VALU_DEP_3)
	v_mad_i64_i32 v[16:17], null, v20, s6, 0
	v_mad_i64_i32 v[18:19], null, v20, s5, 0
	v_cmp_gt_i32_e64 s4, s17, v20
	v_lshlrev_b64 v[16:17], 1, v[16:17]
	s_delay_alu instid0(VALU_DEP_2) | instskip(NEXT) | instid1(VALU_DEP_3)
	s_and_b32 s10, s0, s4
	v_lshlrev_b64 v[20:21], 1, v[18:19]
	s_delay_alu instid0(VALU_DEP_2) | instskip(NEXT) | instid1(VALU_DEP_3)
	v_add_co_u32 v18, vcc_lo, s12, v16
	v_add_co_ci_u32_e32 v19, vcc_lo, s13, v17, vcc_lo
	s_delay_alu instid0(VALU_DEP_3) | instskip(NEXT) | instid1(VALU_DEP_4)
	v_add_co_u32 v16, vcc_lo, s7, v20
	v_add_co_ci_u32_e32 v17, vcc_lo, s8, v21, vcc_lo
	s_and_saveexec_b32 s9, s10
	s_cbranch_execnz .LBB267_286
; %bb.283:
	s_or_b32 exec_lo, exec_lo, s9
	s_and_b32 s10, s1, s4
	s_delay_alu instid0(SALU_CYCLE_1)
	s_and_saveexec_b32 s9, s10
	s_cbranch_execnz .LBB267_290
.LBB267_284:
	s_or_b32 exec_lo, exec_lo, s9
	s_and_b32 s10, s2, s4
	s_delay_alu instid0(SALU_CYCLE_1)
	s_and_saveexec_b32 s9, s10
	s_cbranch_execnz .LBB267_294
.LBB267_285:
	s_or_b32 exec_lo, exec_lo, s9
	s_and_b32 s9, s3, s4
	s_delay_alu instid0(SALU_CYCLE_1)
	s_and_saveexec_b32 s4, s9
	s_cbranch_execnz .LBB267_298
	s_branch .LBB267_302
.LBB267_286:
	v_cmp_ne_u32_e32 vcc_lo, 1, v48
	s_cbranch_vccnz .LBB267_288
; %bb.287:
	v_lshlrev_b64 v[20:21], 1, v[40:41]
	s_delay_alu instid0(VALU_DEP_1) | instskip(NEXT) | instid1(VALU_DEP_2)
	v_add_co_u32 v20, vcc_lo, v18, v20
	v_add_co_ci_u32_e32 v21, vcc_lo, v19, v21, vcc_lo
	flat_load_u16 v20, v[20:21]
	s_waitcnt vmcnt(0) lgkmcnt(0)
	v_mul_f16_e32 v20, v50, v20
	s_branch .LBB267_289
.LBB267_288:
	v_mov_b32_e32 v20, 0
.LBB267_289:
	v_pk_add_f16 v21, v8, v12
	v_pk_max_f16 v22, v66, v66
	v_pk_add_f16 v23, v9, v13
	s_delay_alu instid0(VALU_DEP_2) | instskip(NEXT) | instid1(VALU_DEP_1)
	v_pk_min_f16 v21, v22, v21
	v_pk_min_f16 v23, v21, v23
	v_lshlrev_b64 v[21:22], 1, v[40:41]
	s_delay_alu instid0(VALU_DEP_2) | instskip(NEXT) | instid1(VALU_DEP_1)
	v_lshrrev_b32_e32 v24, 16, v23
	v_min3_f16 v23, v20, v23, v24
	s_delay_alu instid0(VALU_DEP_3) | instskip(NEXT) | instid1(VALU_DEP_4)
	v_add_co_u32 v20, vcc_lo, v16, v21
	v_add_co_ci_u32_e32 v21, vcc_lo, v17, v22, vcc_lo
	global_store_b16 v[20:21], v23, off
	s_or_b32 exec_lo, exec_lo, s9
	s_and_b32 s10, s1, s4
	s_delay_alu instid0(SALU_CYCLE_1)
	s_and_saveexec_b32 s9, s10
	s_cbranch_execz .LBB267_284
.LBB267_290:
	v_cmp_ne_u32_e32 vcc_lo, 1, v48
	s_cbranch_vccnz .LBB267_292
; %bb.291:
	v_lshlrev_b64 v[20:21], 1, v[42:43]
	s_delay_alu instid0(VALU_DEP_1) | instskip(NEXT) | instid1(VALU_DEP_2)
	v_add_co_u32 v20, vcc_lo, v18, v20
	v_add_co_ci_u32_e32 v21, vcc_lo, v19, v21, vcc_lo
	flat_load_u16 v20, v[20:21]
	s_waitcnt vmcnt(0) lgkmcnt(0)
	v_mul_f16_e32 v20, v50, v20
	s_branch .LBB267_293
.LBB267_292:
	v_mov_b32_e32 v20, 0
.LBB267_293:
	v_pk_add_f16 v21, v10, v12
	v_pk_max_f16 v22, v65, v65
	v_pk_add_f16 v23, v11, v13
	s_delay_alu instid0(VALU_DEP_2) | instskip(NEXT) | instid1(VALU_DEP_1)
	v_pk_min_f16 v21, v22, v21
	v_pk_min_f16 v23, v21, v23
	v_lshlrev_b64 v[21:22], 1, v[42:43]
	s_delay_alu instid0(VALU_DEP_2) | instskip(NEXT) | instid1(VALU_DEP_1)
	v_lshrrev_b32_e32 v24, 16, v23
	v_min3_f16 v23, v20, v23, v24
	s_delay_alu instid0(VALU_DEP_3) | instskip(NEXT) | instid1(VALU_DEP_4)
	v_add_co_u32 v20, vcc_lo, v16, v21
	v_add_co_ci_u32_e32 v21, vcc_lo, v17, v22, vcc_lo
	global_store_b16 v[20:21], v23, off
	s_or_b32 exec_lo, exec_lo, s9
	s_and_b32 s10, s2, s4
	s_delay_alu instid0(SALU_CYCLE_1)
	s_and_saveexec_b32 s9, s10
	s_cbranch_execz .LBB267_285
.LBB267_294:
	v_cmp_ne_u32_e32 vcc_lo, 1, v48
	s_cbranch_vccnz .LBB267_296
; %bb.295:
	v_lshlrev_b64 v[20:21], 1, v[44:45]
	s_delay_alu instid0(VALU_DEP_1) | instskip(NEXT) | instid1(VALU_DEP_2)
	v_add_co_u32 v20, vcc_lo, v18, v20
	v_add_co_ci_u32_e32 v21, vcc_lo, v19, v21, vcc_lo
	flat_load_u16 v20, v[20:21]
	s_waitcnt vmcnt(0) lgkmcnt(0)
	v_mul_f16_e32 v20, v50, v20
	s_branch .LBB267_297
.LBB267_296:
	v_mov_b32_e32 v20, 0
.LBB267_297:
	v_pk_add_f16 v21, v0, v12
	v_pk_max_f16 v22, v64, v64
	v_pk_add_f16 v23, v1, v13
	s_delay_alu instid0(VALU_DEP_2) | instskip(NEXT) | instid1(VALU_DEP_1)
	v_pk_min_f16 v21, v22, v21
	v_pk_min_f16 v23, v21, v23
	v_lshlrev_b64 v[21:22], 1, v[44:45]
	s_delay_alu instid0(VALU_DEP_2) | instskip(NEXT) | instid1(VALU_DEP_1)
	v_lshrrev_b32_e32 v24, 16, v23
	v_min3_f16 v23, v20, v23, v24
	s_delay_alu instid0(VALU_DEP_3) | instskip(NEXT) | instid1(VALU_DEP_4)
	v_add_co_u32 v20, vcc_lo, v16, v21
	v_add_co_ci_u32_e32 v21, vcc_lo, v17, v22, vcc_lo
	global_store_b16 v[20:21], v23, off
	s_or_b32 exec_lo, exec_lo, s9
	s_and_b32 s9, s3, s4
	s_delay_alu instid0(SALU_CYCLE_1)
	s_and_saveexec_b32 s4, s9
	s_cbranch_execz .LBB267_302
.LBB267_298:
	v_cmp_ne_u32_e32 vcc_lo, 1, v48
	s_cbranch_vccnz .LBB267_300
; %bb.299:
	v_lshlrev_b64 v[20:21], 1, v[46:47]
	s_delay_alu instid0(VALU_DEP_1) | instskip(NEXT) | instid1(VALU_DEP_2)
	v_add_co_u32 v18, vcc_lo, v18, v20
	v_add_co_ci_u32_e32 v19, vcc_lo, v19, v21, vcc_lo
	flat_load_u16 v18, v[18:19]
	s_waitcnt vmcnt(0) lgkmcnt(0)
	v_mul_f16_e32 v18, v50, v18
	s_branch .LBB267_301
.LBB267_300:
	v_mov_b32_e32 v18, 0
.LBB267_301:
	v_pk_add_f16 v12, v2, v12
	v_pk_max_f16 v19, v63, v63
	v_pk_add_f16 v13, v3, v13
	s_delay_alu instid0(VALU_DEP_2) | instskip(NEXT) | instid1(VALU_DEP_1)
	v_pk_min_f16 v12, v19, v12
	v_pk_min_f16 v19, v12, v13
	v_lshlrev_b64 v[12:13], 1, v[46:47]
	s_delay_alu instid0(VALU_DEP_2) | instskip(NEXT) | instid1(VALU_DEP_2)
	v_lshrrev_b32_e32 v20, 16, v19
	v_add_co_u32 v12, vcc_lo, v16, v12
	s_delay_alu instid0(VALU_DEP_3) | instskip(NEXT) | instid1(VALU_DEP_3)
	v_add_co_ci_u32_e32 v13, vcc_lo, v17, v13, vcc_lo
	v_min3_f16 v18, v18, v19, v20
	global_store_b16 v[12:13], v18, off
.LBB267_302:
	s_or_b32 exec_lo, exec_lo, s4
	v_add_nc_u32_e32 v18, 0x68, v49
	s_delay_alu instid0(VALU_DEP_1) | instskip(SKIP_2) | instid1(VALU_DEP_3)
	v_mad_i64_i32 v[12:13], null, v18, s6, 0
	v_mad_i64_i32 v[16:17], null, v18, s5, 0
	v_cmp_gt_i32_e64 s4, s17, v18
	v_lshlrev_b64 v[12:13], 1, v[12:13]
	s_delay_alu instid0(VALU_DEP_2) | instskip(NEXT) | instid1(VALU_DEP_3)
	s_and_b32 s10, s0, s4
	v_lshlrev_b64 v[18:19], 1, v[16:17]
	s_delay_alu instid0(VALU_DEP_2) | instskip(NEXT) | instid1(VALU_DEP_3)
	v_add_co_u32 v16, vcc_lo, s12, v12
	v_add_co_ci_u32_e32 v17, vcc_lo, s13, v13, vcc_lo
	s_delay_alu instid0(VALU_DEP_3) | instskip(NEXT) | instid1(VALU_DEP_4)
	v_add_co_u32 v12, vcc_lo, s7, v18
	v_add_co_ci_u32_e32 v13, vcc_lo, s8, v19, vcc_lo
	s_and_saveexec_b32 s9, s10
	s_cbranch_execnz .LBB267_306
; %bb.303:
	s_or_b32 exec_lo, exec_lo, s9
	s_and_b32 s10, s1, s4
	s_delay_alu instid0(SALU_CYCLE_1)
	s_and_saveexec_b32 s9, s10
	s_cbranch_execnz .LBB267_310
.LBB267_304:
	s_or_b32 exec_lo, exec_lo, s9
	s_and_b32 s10, s2, s4
	s_delay_alu instid0(SALU_CYCLE_1)
	s_and_saveexec_b32 s9, s10
	s_cbranch_execnz .LBB267_314
.LBB267_305:
	s_or_b32 exec_lo, exec_lo, s9
	s_and_b32 s9, s3, s4
	s_delay_alu instid0(SALU_CYCLE_1)
	s_and_saveexec_b32 s4, s9
	s_cbranch_execnz .LBB267_318
	s_branch .LBB267_322
.LBB267_306:
	v_cmp_ne_u32_e32 vcc_lo, 1, v48
	s_cbranch_vccnz .LBB267_308
; %bb.307:
	v_lshlrev_b64 v[18:19], 1, v[40:41]
	s_delay_alu instid0(VALU_DEP_1) | instskip(NEXT) | instid1(VALU_DEP_2)
	v_add_co_u32 v18, vcc_lo, v16, v18
	v_add_co_ci_u32_e32 v19, vcc_lo, v17, v19, vcc_lo
	flat_load_u16 v18, v[18:19]
	s_waitcnt vmcnt(0) lgkmcnt(0)
	v_mul_f16_e32 v18, v50, v18
	s_branch .LBB267_309
.LBB267_308:
	v_mov_b32_e32 v18, 0
.LBB267_309:
	v_pk_add_f16 v19, v8, v14
	v_pk_max_f16 v20, v62, v62
	v_pk_add_f16 v21, v9, v15
	s_delay_alu instid0(VALU_DEP_2) | instskip(NEXT) | instid1(VALU_DEP_1)
	v_pk_min_f16 v19, v20, v19
	v_pk_min_f16 v21, v19, v21
	v_lshlrev_b64 v[19:20], 1, v[40:41]
	s_delay_alu instid0(VALU_DEP_2) | instskip(NEXT) | instid1(VALU_DEP_1)
	v_lshrrev_b32_e32 v22, 16, v21
	v_min3_f16 v21, v18, v21, v22
	s_delay_alu instid0(VALU_DEP_3) | instskip(NEXT) | instid1(VALU_DEP_4)
	v_add_co_u32 v18, vcc_lo, v12, v19
	v_add_co_ci_u32_e32 v19, vcc_lo, v13, v20, vcc_lo
	global_store_b16 v[18:19], v21, off
	s_or_b32 exec_lo, exec_lo, s9
	s_and_b32 s10, s1, s4
	s_delay_alu instid0(SALU_CYCLE_1)
	s_and_saveexec_b32 s9, s10
	s_cbranch_execz .LBB267_304
.LBB267_310:
	v_cmp_ne_u32_e32 vcc_lo, 1, v48
	s_cbranch_vccnz .LBB267_312
; %bb.311:
	v_lshlrev_b64 v[18:19], 1, v[42:43]
	s_delay_alu instid0(VALU_DEP_1) | instskip(NEXT) | instid1(VALU_DEP_2)
	v_add_co_u32 v18, vcc_lo, v16, v18
	v_add_co_ci_u32_e32 v19, vcc_lo, v17, v19, vcc_lo
	flat_load_u16 v18, v[18:19]
	s_waitcnt vmcnt(0) lgkmcnt(0)
	v_mul_f16_e32 v18, v50, v18
	s_branch .LBB267_313
.LBB267_312:
	v_mov_b32_e32 v18, 0
.LBB267_313:
	v_pk_add_f16 v19, v10, v14
	v_pk_max_f16 v20, v61, v61
	v_pk_add_f16 v21, v11, v15
	s_delay_alu instid0(VALU_DEP_2) | instskip(NEXT) | instid1(VALU_DEP_1)
	v_pk_min_f16 v19, v20, v19
	v_pk_min_f16 v21, v19, v21
	v_lshlrev_b64 v[19:20], 1, v[42:43]
	s_delay_alu instid0(VALU_DEP_2) | instskip(NEXT) | instid1(VALU_DEP_1)
	v_lshrrev_b32_e32 v22, 16, v21
	v_min3_f16 v21, v18, v21, v22
	s_delay_alu instid0(VALU_DEP_3) | instskip(NEXT) | instid1(VALU_DEP_4)
	v_add_co_u32 v18, vcc_lo, v12, v19
	v_add_co_ci_u32_e32 v19, vcc_lo, v13, v20, vcc_lo
	global_store_b16 v[18:19], v21, off
	s_or_b32 exec_lo, exec_lo, s9
	s_and_b32 s10, s2, s4
	s_delay_alu instid0(SALU_CYCLE_1)
	s_and_saveexec_b32 s9, s10
	s_cbranch_execz .LBB267_305
.LBB267_314:
	v_cmp_ne_u32_e32 vcc_lo, 1, v48
	s_cbranch_vccnz .LBB267_316
; %bb.315:
	v_lshlrev_b64 v[18:19], 1, v[44:45]
	s_delay_alu instid0(VALU_DEP_1) | instskip(NEXT) | instid1(VALU_DEP_2)
	v_add_co_u32 v18, vcc_lo, v16, v18
	v_add_co_ci_u32_e32 v19, vcc_lo, v17, v19, vcc_lo
	flat_load_u16 v18, v[18:19]
	s_waitcnt vmcnt(0) lgkmcnt(0)
	v_mul_f16_e32 v18, v50, v18
	s_branch .LBB267_317
.LBB267_316:
	v_mov_b32_e32 v18, 0
.LBB267_317:
	v_pk_add_f16 v19, v0, v14
	v_pk_max_f16 v20, v60, v60
	v_pk_add_f16 v21, v1, v15
	s_delay_alu instid0(VALU_DEP_2) | instskip(NEXT) | instid1(VALU_DEP_1)
	v_pk_min_f16 v19, v20, v19
	v_pk_min_f16 v21, v19, v21
	v_lshlrev_b64 v[19:20], 1, v[44:45]
	s_delay_alu instid0(VALU_DEP_2) | instskip(NEXT) | instid1(VALU_DEP_1)
	v_lshrrev_b32_e32 v22, 16, v21
	v_min3_f16 v21, v18, v21, v22
	s_delay_alu instid0(VALU_DEP_3) | instskip(NEXT) | instid1(VALU_DEP_4)
	v_add_co_u32 v18, vcc_lo, v12, v19
	v_add_co_ci_u32_e32 v19, vcc_lo, v13, v20, vcc_lo
	global_store_b16 v[18:19], v21, off
	s_or_b32 exec_lo, exec_lo, s9
	s_and_b32 s9, s3, s4
	s_delay_alu instid0(SALU_CYCLE_1)
	s_and_saveexec_b32 s4, s9
	s_cbranch_execz .LBB267_322
.LBB267_318:
	v_cmp_ne_u32_e32 vcc_lo, 1, v48
	s_cbranch_vccnz .LBB267_320
; %bb.319:
	v_lshlrev_b64 v[18:19], 1, v[46:47]
	s_delay_alu instid0(VALU_DEP_1) | instskip(NEXT) | instid1(VALU_DEP_2)
	v_add_co_u32 v16, vcc_lo, v16, v18
	v_add_co_ci_u32_e32 v17, vcc_lo, v17, v19, vcc_lo
	flat_load_u16 v16, v[16:17]
	s_waitcnt vmcnt(0) lgkmcnt(0)
	v_mul_f16_e32 v16, v50, v16
	s_branch .LBB267_321
.LBB267_320:
	v_mov_b32_e32 v16, 0
.LBB267_321:
	v_pk_add_f16 v14, v2, v14
	v_pk_max_f16 v17, v59, v59
	v_pk_add_f16 v15, v3, v15
	s_delay_alu instid0(VALU_DEP_2) | instskip(NEXT) | instid1(VALU_DEP_1)
	v_pk_min_f16 v14, v17, v14
	v_pk_min_f16 v17, v14, v15
	v_lshlrev_b64 v[14:15], 1, v[46:47]
	s_delay_alu instid0(VALU_DEP_2) | instskip(NEXT) | instid1(VALU_DEP_2)
	v_lshrrev_b32_e32 v18, 16, v17
	v_add_co_u32 v12, vcc_lo, v12, v14
	s_delay_alu instid0(VALU_DEP_3) | instskip(NEXT) | instid1(VALU_DEP_3)
	v_add_co_ci_u32_e32 v13, vcc_lo, v13, v15, vcc_lo
	v_min3_f16 v16, v16, v17, v18
	global_store_b16 v[12:13], v16, off
.LBB267_322:
	s_or_b32 exec_lo, exec_lo, s4
	v_add_nc_u32_e32 v16, 0x70, v49
	s_delay_alu instid0(VALU_DEP_1) | instskip(SKIP_2) | instid1(VALU_DEP_3)
	v_mad_i64_i32 v[12:13], null, v16, s6, 0
	v_mad_i64_i32 v[14:15], null, v16, s5, 0
	v_cmp_gt_i32_e64 s4, s17, v16
	v_lshlrev_b64 v[12:13], 1, v[12:13]
	s_delay_alu instid0(VALU_DEP_2) | instskip(NEXT) | instid1(VALU_DEP_3)
	s_and_b32 s10, s0, s4
	v_lshlrev_b64 v[16:17], 1, v[14:15]
	s_delay_alu instid0(VALU_DEP_2) | instskip(NEXT) | instid1(VALU_DEP_3)
	v_add_co_u32 v14, vcc_lo, s12, v12
	v_add_co_ci_u32_e32 v15, vcc_lo, s13, v13, vcc_lo
	s_delay_alu instid0(VALU_DEP_3) | instskip(NEXT) | instid1(VALU_DEP_4)
	v_add_co_u32 v12, vcc_lo, s7, v16
	v_add_co_ci_u32_e32 v13, vcc_lo, s8, v17, vcc_lo
	s_and_saveexec_b32 s9, s10
	s_cbranch_execnz .LBB267_326
; %bb.323:
	s_or_b32 exec_lo, exec_lo, s9
	s_and_b32 s10, s1, s4
	s_delay_alu instid0(SALU_CYCLE_1)
	s_and_saveexec_b32 s9, s10
	s_cbranch_execnz .LBB267_330
.LBB267_324:
	s_or_b32 exec_lo, exec_lo, s9
	s_and_b32 s10, s2, s4
	s_delay_alu instid0(SALU_CYCLE_1)
	s_and_saveexec_b32 s9, s10
	s_cbranch_execnz .LBB267_334
.LBB267_325:
	s_or_b32 exec_lo, exec_lo, s9
	s_and_b32 s9, s3, s4
	s_delay_alu instid0(SALU_CYCLE_1)
	s_and_saveexec_b32 s4, s9
	s_cbranch_execnz .LBB267_338
	s_branch .LBB267_342
.LBB267_326:
	v_cmp_ne_u32_e32 vcc_lo, 1, v48
	s_cbranch_vccnz .LBB267_328
; %bb.327:
	v_lshlrev_b64 v[16:17], 1, v[40:41]
	s_delay_alu instid0(VALU_DEP_1) | instskip(NEXT) | instid1(VALU_DEP_2)
	v_add_co_u32 v16, vcc_lo, v14, v16
	v_add_co_ci_u32_e32 v17, vcc_lo, v15, v17, vcc_lo
	flat_load_u16 v16, v[16:17]
	s_waitcnt vmcnt(0) lgkmcnt(0)
	v_mul_f16_e32 v16, v50, v16
	s_branch .LBB267_329
.LBB267_328:
	v_mov_b32_e32 v16, 0
.LBB267_329:
	v_pk_add_f16 v17, v8, v4
	v_pk_max_f16 v18, v58, v58
	v_pk_add_f16 v19, v9, v5
	s_delay_alu instid0(VALU_DEP_2) | instskip(NEXT) | instid1(VALU_DEP_1)
	v_pk_min_f16 v17, v18, v17
	v_pk_min_f16 v19, v17, v19
	v_lshlrev_b64 v[17:18], 1, v[40:41]
	s_delay_alu instid0(VALU_DEP_2) | instskip(NEXT) | instid1(VALU_DEP_1)
	v_lshrrev_b32_e32 v20, 16, v19
	v_min3_f16 v19, v16, v19, v20
	s_delay_alu instid0(VALU_DEP_3) | instskip(NEXT) | instid1(VALU_DEP_4)
	v_add_co_u32 v16, vcc_lo, v12, v17
	v_add_co_ci_u32_e32 v17, vcc_lo, v13, v18, vcc_lo
	global_store_b16 v[16:17], v19, off
	s_or_b32 exec_lo, exec_lo, s9
	s_and_b32 s10, s1, s4
	s_delay_alu instid0(SALU_CYCLE_1)
	s_and_saveexec_b32 s9, s10
	s_cbranch_execz .LBB267_324
.LBB267_330:
	v_cmp_ne_u32_e32 vcc_lo, 1, v48
	s_cbranch_vccnz .LBB267_332
; %bb.331:
	v_lshlrev_b64 v[16:17], 1, v[42:43]
	s_delay_alu instid0(VALU_DEP_1) | instskip(NEXT) | instid1(VALU_DEP_2)
	v_add_co_u32 v16, vcc_lo, v14, v16
	v_add_co_ci_u32_e32 v17, vcc_lo, v15, v17, vcc_lo
	flat_load_u16 v16, v[16:17]
	s_waitcnt vmcnt(0) lgkmcnt(0)
	v_mul_f16_e32 v16, v50, v16
	s_branch .LBB267_333
.LBB267_332:
	v_mov_b32_e32 v16, 0
.LBB267_333:
	v_pk_add_f16 v17, v10, v4
	v_pk_max_f16 v18, v57, v57
	v_pk_add_f16 v19, v11, v5
	s_delay_alu instid0(VALU_DEP_2) | instskip(NEXT) | instid1(VALU_DEP_1)
	v_pk_min_f16 v17, v18, v17
	v_pk_min_f16 v19, v17, v19
	v_lshlrev_b64 v[17:18], 1, v[42:43]
	s_delay_alu instid0(VALU_DEP_2) | instskip(NEXT) | instid1(VALU_DEP_1)
	v_lshrrev_b32_e32 v20, 16, v19
	v_min3_f16 v19, v16, v19, v20
	s_delay_alu instid0(VALU_DEP_3) | instskip(NEXT) | instid1(VALU_DEP_4)
	v_add_co_u32 v16, vcc_lo, v12, v17
	v_add_co_ci_u32_e32 v17, vcc_lo, v13, v18, vcc_lo
	global_store_b16 v[16:17], v19, off
	s_or_b32 exec_lo, exec_lo, s9
	s_and_b32 s10, s2, s4
	s_delay_alu instid0(SALU_CYCLE_1)
	s_and_saveexec_b32 s9, s10
	s_cbranch_execz .LBB267_325
.LBB267_334:
	v_cmp_ne_u32_e32 vcc_lo, 1, v48
	s_cbranch_vccnz .LBB267_336
; %bb.335:
	v_lshlrev_b64 v[16:17], 1, v[44:45]
	s_delay_alu instid0(VALU_DEP_1) | instskip(NEXT) | instid1(VALU_DEP_2)
	v_add_co_u32 v16, vcc_lo, v14, v16
	v_add_co_ci_u32_e32 v17, vcc_lo, v15, v17, vcc_lo
	flat_load_u16 v16, v[16:17]
	s_waitcnt vmcnt(0) lgkmcnt(0)
	v_mul_f16_e32 v16, v50, v16
	s_branch .LBB267_337
.LBB267_336:
	v_mov_b32_e32 v16, 0
.LBB267_337:
	v_pk_add_f16 v17, v0, v4
	v_pk_max_f16 v18, v56, v56
	v_pk_add_f16 v19, v1, v5
	s_delay_alu instid0(VALU_DEP_2) | instskip(NEXT) | instid1(VALU_DEP_1)
	v_pk_min_f16 v17, v18, v17
	v_pk_min_f16 v19, v17, v19
	v_lshlrev_b64 v[17:18], 1, v[44:45]
	s_delay_alu instid0(VALU_DEP_2) | instskip(NEXT) | instid1(VALU_DEP_1)
	v_lshrrev_b32_e32 v20, 16, v19
	v_min3_f16 v19, v16, v19, v20
	s_delay_alu instid0(VALU_DEP_3) | instskip(NEXT) | instid1(VALU_DEP_4)
	v_add_co_u32 v16, vcc_lo, v12, v17
	v_add_co_ci_u32_e32 v17, vcc_lo, v13, v18, vcc_lo
	global_store_b16 v[16:17], v19, off
	s_or_b32 exec_lo, exec_lo, s9
	s_and_b32 s9, s3, s4
	s_delay_alu instid0(SALU_CYCLE_1)
	s_and_saveexec_b32 s4, s9
	s_cbranch_execz .LBB267_342
.LBB267_338:
	v_cmp_ne_u32_e32 vcc_lo, 1, v48
	s_cbranch_vccnz .LBB267_340
; %bb.339:
	v_lshlrev_b64 v[16:17], 1, v[46:47]
	s_delay_alu instid0(VALU_DEP_1) | instskip(NEXT) | instid1(VALU_DEP_2)
	v_add_co_u32 v14, vcc_lo, v14, v16
	v_add_co_ci_u32_e32 v15, vcc_lo, v15, v17, vcc_lo
	flat_load_u16 v14, v[14:15]
	s_waitcnt vmcnt(0) lgkmcnt(0)
	v_mul_f16_e32 v14, v50, v14
	s_branch .LBB267_341
.LBB267_340:
	v_mov_b32_e32 v14, 0
.LBB267_341:
	v_pk_add_f16 v4, v2, v4
	v_pk_max_f16 v15, v55, v55
	v_pk_add_f16 v5, v3, v5
	s_delay_alu instid0(VALU_DEP_2) | instskip(NEXT) | instid1(VALU_DEP_1)
	v_pk_min_f16 v4, v15, v4
	v_pk_min_f16 v15, v4, v5
	v_lshlrev_b64 v[4:5], 1, v[46:47]
	s_delay_alu instid0(VALU_DEP_2) | instskip(NEXT) | instid1(VALU_DEP_2)
	v_lshrrev_b32_e32 v16, 16, v15
	v_add_co_u32 v4, vcc_lo, v12, v4
	s_delay_alu instid0(VALU_DEP_3) | instskip(NEXT) | instid1(VALU_DEP_3)
	v_add_co_ci_u32_e32 v5, vcc_lo, v13, v5, vcc_lo
	v_min3_f16 v14, v14, v15, v16
	global_store_b16 v[4:5], v14, off
.LBB267_342:
	s_or_b32 exec_lo, exec_lo, s4
	v_add_nc_u32_e32 v14, 0x78, v49
	s_delay_alu instid0(VALU_DEP_1) | instskip(SKIP_2) | instid1(VALU_DEP_3)
	v_mad_i64_i32 v[4:5], null, v14, s6, 0
	v_mad_i64_i32 v[12:13], null, v14, s5, 0
	v_cmp_gt_i32_e64 s4, s17, v14
	v_lshlrev_b64 v[4:5], 1, v[4:5]
	s_delay_alu instid0(VALU_DEP_2) | instskip(NEXT) | instid1(VALU_DEP_3)
	s_and_b32 s5, s0, s4
	v_lshlrev_b64 v[12:13], 1, v[12:13]
	s_delay_alu instid0(VALU_DEP_2) | instskip(NEXT) | instid1(VALU_DEP_3)
	v_add_co_u32 v14, vcc_lo, s12, v4
	v_add_co_ci_u32_e32 v15, vcc_lo, s13, v5, vcc_lo
	s_delay_alu instid0(VALU_DEP_3) | instskip(NEXT) | instid1(VALU_DEP_4)
	v_add_co_u32 v12, vcc_lo, s7, v12
	v_add_co_ci_u32_e32 v13, vcc_lo, s8, v13, vcc_lo
	s_and_saveexec_b32 s0, s5
	s_cbranch_execnz .LBB267_347
; %bb.343:
	s_or_b32 exec_lo, exec_lo, s0
	s_and_b32 s1, s1, s4
	s_delay_alu instid0(SALU_CYCLE_1)
	s_and_saveexec_b32 s0, s1
	s_cbranch_execnz .LBB267_351
.LBB267_344:
	s_or_b32 exec_lo, exec_lo, s0
	s_and_b32 s1, s2, s4
	s_delay_alu instid0(SALU_CYCLE_1)
	s_and_saveexec_b32 s0, s1
	s_cbranch_execnz .LBB267_355
.LBB267_345:
	s_or_b32 exec_lo, exec_lo, s0
	s_and_b32 s0, s3, s4
	s_delay_alu instid0(SALU_CYCLE_1)
	s_and_saveexec_b32 s1, s0
	s_cbranch_execnz .LBB267_359
.LBB267_346:
	s_nop 0
	s_sendmsg sendmsg(MSG_DEALLOC_VGPRS)
	s_endpgm
.LBB267_347:
	v_cmp_ne_u32_e32 vcc_lo, 1, v48
	v_lshlrev_b64 v[4:5], 1, v[40:41]
	s_cbranch_vccnz .LBB267_349
; %bb.348:
	s_delay_alu instid0(VALU_DEP_1) | instskip(NEXT) | instid1(VALU_DEP_2)
	v_add_co_u32 v16, vcc_lo, v14, v4
	v_add_co_ci_u32_e32 v17, vcc_lo, v15, v5, vcc_lo
	flat_load_u16 v16, v[16:17]
	s_waitcnt vmcnt(0) lgkmcnt(0)
	v_mul_f16_e32 v16, v50, v16
	s_branch .LBB267_350
.LBB267_349:
	v_mov_b32_e32 v16, 0
.LBB267_350:
	v_pk_add_f16 v8, v8, v6
	v_pk_max_f16 v17, v54, v54
	v_pk_add_f16 v9, v9, v7
	v_add_co_u32 v4, vcc_lo, v12, v4
	v_add_co_ci_u32_e32 v5, vcc_lo, v13, v5, vcc_lo
	s_delay_alu instid0(VALU_DEP_4) | instskip(NEXT) | instid1(VALU_DEP_1)
	v_pk_min_f16 v8, v17, v8
	v_pk_min_f16 v8, v8, v9
	s_delay_alu instid0(VALU_DEP_1) | instskip(NEXT) | instid1(VALU_DEP_1)
	v_lshrrev_b32_e32 v9, 16, v8
	v_min3_f16 v8, v16, v8, v9
	global_store_b16 v[4:5], v8, off
	s_or_b32 exec_lo, exec_lo, s0
	s_and_b32 s1, s1, s4
	s_delay_alu instid0(SALU_CYCLE_1)
	s_and_saveexec_b32 s0, s1
	s_cbranch_execz .LBB267_344
.LBB267_351:
	v_cmp_ne_u32_e32 vcc_lo, 1, v48
	v_lshlrev_b64 v[4:5], 1, v[42:43]
	s_cbranch_vccnz .LBB267_353
; %bb.352:
	s_delay_alu instid0(VALU_DEP_1) | instskip(NEXT) | instid1(VALU_DEP_2)
	v_add_co_u32 v8, vcc_lo, v14, v4
	v_add_co_ci_u32_e32 v9, vcc_lo, v15, v5, vcc_lo
	flat_load_u16 v8, v[8:9]
	s_waitcnt vmcnt(0) lgkmcnt(0)
	v_mul_f16_e32 v8, v50, v8
	s_branch .LBB267_354
.LBB267_353:
	v_mov_b32_e32 v8, 0
.LBB267_354:
	v_pk_add_f16 v9, v10, v6
	v_pk_max_f16 v10, v53, v53
	v_pk_add_f16 v11, v11, v7
	v_add_co_u32 v4, vcc_lo, v12, v4
	v_add_co_ci_u32_e32 v5, vcc_lo, v13, v5, vcc_lo
	s_delay_alu instid0(VALU_DEP_4) | instskip(NEXT) | instid1(VALU_DEP_1)
	v_pk_min_f16 v9, v10, v9
	v_pk_min_f16 v9, v9, v11
	s_delay_alu instid0(VALU_DEP_1) | instskip(NEXT) | instid1(VALU_DEP_1)
	v_lshrrev_b32_e32 v10, 16, v9
	v_min3_f16 v8, v8, v9, v10
	global_store_b16 v[4:5], v8, off
	s_or_b32 exec_lo, exec_lo, s0
	s_and_b32 s1, s2, s4
	s_delay_alu instid0(SALU_CYCLE_1)
	s_and_saveexec_b32 s0, s1
	s_cbranch_execz .LBB267_345
.LBB267_355:
	v_cmp_ne_u32_e32 vcc_lo, 1, v48
	v_lshlrev_b64 v[4:5], 1, v[44:45]
	s_cbranch_vccnz .LBB267_357
; %bb.356:
	s_delay_alu instid0(VALU_DEP_1) | instskip(NEXT) | instid1(VALU_DEP_2)
	v_add_co_u32 v8, vcc_lo, v14, v4
	v_add_co_ci_u32_e32 v9, vcc_lo, v15, v5, vcc_lo
	flat_load_u16 v8, v[8:9]
	s_waitcnt vmcnt(0) lgkmcnt(0)
	v_mul_f16_e32 v8, v50, v8
	s_branch .LBB267_358
.LBB267_357:
	v_mov_b32_e32 v8, 0
.LBB267_358:
	v_pk_add_f16 v0, v0, v6
	v_pk_max_f16 v9, v52, v52
	v_pk_add_f16 v1, v1, v7
	s_delay_alu instid0(VALU_DEP_2) | instskip(NEXT) | instid1(VALU_DEP_1)
	v_pk_min_f16 v0, v9, v0
	v_pk_min_f16 v0, v0, v1
	s_delay_alu instid0(VALU_DEP_1) | instskip(NEXT) | instid1(VALU_DEP_1)
	v_lshrrev_b32_e32 v1, 16, v0
	v_min3_f16 v8, v8, v0, v1
	v_add_co_u32 v0, vcc_lo, v12, v4
	v_add_co_ci_u32_e32 v1, vcc_lo, v13, v5, vcc_lo
	global_store_b16 v[0:1], v8, off
	s_or_b32 exec_lo, exec_lo, s0
	s_and_b32 s0, s3, s4
	s_delay_alu instid0(SALU_CYCLE_1)
	s_and_saveexec_b32 s1, s0
	s_cbranch_execz .LBB267_346
.LBB267_359:
	v_cmp_ne_u32_e32 vcc_lo, 1, v48
	v_lshlrev_b64 v[0:1], 1, v[46:47]
	s_cbranch_vccnz .LBB267_361
; %bb.360:
	s_delay_alu instid0(VALU_DEP_1) | instskip(NEXT) | instid1(VALU_DEP_2)
	v_add_co_u32 v4, vcc_lo, v14, v0
	v_add_co_ci_u32_e32 v5, vcc_lo, v15, v1, vcc_lo
	flat_load_u16 v4, v[4:5]
	s_waitcnt vmcnt(0) lgkmcnt(0)
	v_mul_f16_e32 v4, v50, v4
	s_branch .LBB267_362
.LBB267_361:
	v_mov_b32_e32 v4, 0
.LBB267_362:
	v_pk_add_f16 v2, v2, v6
	v_pk_max_f16 v5, v51, v51
	v_pk_add_f16 v3, v3, v7
	v_add_co_u32 v0, vcc_lo, v12, v0
	v_add_co_ci_u32_e32 v1, vcc_lo, v13, v1, vcc_lo
	s_delay_alu instid0(VALU_DEP_4) | instskip(NEXT) | instid1(VALU_DEP_1)
	v_pk_min_f16 v2, v5, v2
	v_pk_min_f16 v2, v2, v3
	s_delay_alu instid0(VALU_DEP_1) | instskip(NEXT) | instid1(VALU_DEP_1)
	v_lshrrev_b32_e32 v3, 16, v2
	v_min3_f16 v2, v4, v2, v3
	global_store_b16 v[0:1], v2, off
	s_nop 0
	s_sendmsg sendmsg(MSG_DEALLOC_VGPRS)
	s_endpgm
	.section	.rodata,"a",@progbits
	.p2align	6, 0x0
	.amdhsa_kernel _ZN12_GLOBAL__N_120geam_min_plus_kernelIDF16_Dv2_DF16_S1_Li32ELi8ELi128ELi128ELi4ELi4ELi64ELi4ELi64ELc84ELc78ELb0ELb1ELb1EPKDF16_S2_DF16_EEviiiT16_PT17_ilS6_ilS4_S6_ilPT18_ili26rocblas_geam_ex_operation_
		.amdhsa_group_segment_fixed_size 4096
		.amdhsa_private_segment_fixed_size 0
		.amdhsa_kernarg_size 136
		.amdhsa_user_sgpr_count 14
		.amdhsa_user_sgpr_dispatch_ptr 0
		.amdhsa_user_sgpr_queue_ptr 0
		.amdhsa_user_sgpr_kernarg_segment_ptr 1
		.amdhsa_user_sgpr_dispatch_id 0
		.amdhsa_user_sgpr_private_segment_size 0
		.amdhsa_wavefront_size32 1
		.amdhsa_uses_dynamic_stack 0
		.amdhsa_enable_private_segment 0
		.amdhsa_system_sgpr_workgroup_id_x 1
		.amdhsa_system_sgpr_workgroup_id_y 0
		.amdhsa_system_sgpr_workgroup_id_z 1
		.amdhsa_system_sgpr_workgroup_info 0
		.amdhsa_system_vgpr_workitem_id 1
		.amdhsa_next_free_vgpr 158
		.amdhsa_next_free_sgpr 27
		.amdhsa_reserve_vcc 1
		.amdhsa_float_round_mode_32 0
		.amdhsa_float_round_mode_16_64 0
		.amdhsa_float_denorm_mode_32 3
		.amdhsa_float_denorm_mode_16_64 3
		.amdhsa_dx10_clamp 1
		.amdhsa_ieee_mode 1
		.amdhsa_fp16_overflow 0
		.amdhsa_workgroup_processor_mode 1
		.amdhsa_memory_ordered 1
		.amdhsa_forward_progress 0
		.amdhsa_shared_vgpr_count 0
		.amdhsa_exception_fp_ieee_invalid_op 0
		.amdhsa_exception_fp_denorm_src 0
		.amdhsa_exception_fp_ieee_div_zero 0
		.amdhsa_exception_fp_ieee_overflow 0
		.amdhsa_exception_fp_ieee_underflow 0
		.amdhsa_exception_fp_ieee_inexact 0
		.amdhsa_exception_int_div_zero 0
	.end_amdhsa_kernel
	.section	.text._ZN12_GLOBAL__N_120geam_min_plus_kernelIDF16_Dv2_DF16_S1_Li32ELi8ELi128ELi128ELi4ELi4ELi64ELi4ELi64ELc84ELc78ELb0ELb1ELb1EPKDF16_S2_DF16_EEviiiT16_PT17_ilS6_ilS4_S6_ilPT18_ili26rocblas_geam_ex_operation_,"axG",@progbits,_ZN12_GLOBAL__N_120geam_min_plus_kernelIDF16_Dv2_DF16_S1_Li32ELi8ELi128ELi128ELi4ELi4ELi64ELi4ELi64ELc84ELc78ELb0ELb1ELb1EPKDF16_S2_DF16_EEviiiT16_PT17_ilS6_ilS4_S6_ilPT18_ili26rocblas_geam_ex_operation_,comdat
.Lfunc_end267:
	.size	_ZN12_GLOBAL__N_120geam_min_plus_kernelIDF16_Dv2_DF16_S1_Li32ELi8ELi128ELi128ELi4ELi4ELi64ELi4ELi64ELc84ELc78ELb0ELb1ELb1EPKDF16_S2_DF16_EEviiiT16_PT17_ilS6_ilS4_S6_ilPT18_ili26rocblas_geam_ex_operation_, .Lfunc_end267-_ZN12_GLOBAL__N_120geam_min_plus_kernelIDF16_Dv2_DF16_S1_Li32ELi8ELi128ELi128ELi4ELi4ELi64ELi4ELi64ELc84ELc78ELb0ELb1ELb1EPKDF16_S2_DF16_EEviiiT16_PT17_ilS6_ilS4_S6_ilPT18_ili26rocblas_geam_ex_operation_
                                        ; -- End function
	.section	.AMDGPU.csdata,"",@progbits
; Kernel info:
; codeLenInByte = 23684
; NumSgprs: 29
; NumVgprs: 158
; ScratchSize: 0
; MemoryBound: 0
; FloatMode: 240
; IeeeMode: 1
; LDSByteSize: 4096 bytes/workgroup (compile time only)
; SGPRBlocks: 3
; VGPRBlocks: 19
; NumSGPRsForWavesPerEU: 29
; NumVGPRsForWavesPerEU: 158
; Occupancy: 9
; WaveLimiterHint : 0
; COMPUTE_PGM_RSRC2:SCRATCH_EN: 0
; COMPUTE_PGM_RSRC2:USER_SGPR: 14
; COMPUTE_PGM_RSRC2:TRAP_HANDLER: 0
; COMPUTE_PGM_RSRC2:TGID_X_EN: 1
; COMPUTE_PGM_RSRC2:TGID_Y_EN: 0
; COMPUTE_PGM_RSRC2:TGID_Z_EN: 1
; COMPUTE_PGM_RSRC2:TIDIG_COMP_CNT: 1
	.section	.text._ZN12_GLOBAL__N_120geam_min_plus_kernelIDF16_Dv2_DF16_S1_Li32ELi8ELi128ELi128ELi4ELi4ELi64ELi4ELi64ELc84ELc78ELb1ELb1ELb1EDF16_KDF16_DF16_EEviiiT16_PT17_ilS5_ilS3_S5_ilPT18_ili26rocblas_geam_ex_operation_,"axG",@progbits,_ZN12_GLOBAL__N_120geam_min_plus_kernelIDF16_Dv2_DF16_S1_Li32ELi8ELi128ELi128ELi4ELi4ELi64ELi4ELi64ELc84ELc78ELb1ELb1ELb1EDF16_KDF16_DF16_EEviiiT16_PT17_ilS5_ilS3_S5_ilPT18_ili26rocblas_geam_ex_operation_,comdat
	.globl	_ZN12_GLOBAL__N_120geam_min_plus_kernelIDF16_Dv2_DF16_S1_Li32ELi8ELi128ELi128ELi4ELi4ELi64ELi4ELi64ELc84ELc78ELb1ELb1ELb1EDF16_KDF16_DF16_EEviiiT16_PT17_ilS5_ilS3_S5_ilPT18_ili26rocblas_geam_ex_operation_ ; -- Begin function _ZN12_GLOBAL__N_120geam_min_plus_kernelIDF16_Dv2_DF16_S1_Li32ELi8ELi128ELi128ELi4ELi4ELi64ELi4ELi64ELc84ELc78ELb1ELb1ELb1EDF16_KDF16_DF16_EEviiiT16_PT17_ilS5_ilS3_S5_ilPT18_ili26rocblas_geam_ex_operation_
	.p2align	8
	.type	_ZN12_GLOBAL__N_120geam_min_plus_kernelIDF16_Dv2_DF16_S1_Li32ELi8ELi128ELi128ELi4ELi4ELi64ELi4ELi64ELc84ELc78ELb1ELb1ELb1EDF16_KDF16_DF16_EEviiiT16_PT17_ilS5_ilS3_S5_ilPT18_ili26rocblas_geam_ex_operation_,@function
_ZN12_GLOBAL__N_120geam_min_plus_kernelIDF16_Dv2_DF16_S1_Li32ELi8ELi128ELi128ELi4ELi4ELi64ELi4ELi64ELc84ELc78ELb1ELb1ELb1EDF16_KDF16_DF16_EEviiiT16_PT17_ilS5_ilS3_S5_ilPT18_ili26rocblas_geam_ex_operation_: ; @_ZN12_GLOBAL__N_120geam_min_plus_kernelIDF16_Dv2_DF16_S1_Li32ELi8ELi128ELi128ELi4ELi4ELi64ELi4ELi64ELc84ELc78ELb1ELb1ELb1EDF16_KDF16_DF16_EEviiiT16_PT17_ilS5_ilS3_S5_ilPT18_ili26rocblas_geam_ex_operation_
; %bb.0:
	s_clause 0x1
	s_load_b128 s[8:11], s[0:1], 0x0
	s_load_b128 s[4:7], s[0:1], 0x20
	s_waitcnt lgkmcnt(0)
	v_cmp_eq_f16_e64 s2, s11, 0
	s_delay_alu instid0(VALU_DEP_1)
	s_and_b32 vcc_lo, exec_lo, s2
	s_cbranch_vccnz .LBB268_3
; %bb.1:
	s_load_b64 s[12:13], s[0:1], 0x10
	s_mul_i32 s3, s15, s5
	s_mul_hi_u32 s5, s15, s4
	s_mul_i32 s4, s15, s4
	s_add_i32 s5, s5, s3
	s_delay_alu instid0(SALU_CYCLE_1)
	s_lshl_b64 s[4:5], s[4:5], 1
	s_waitcnt lgkmcnt(0)
	s_add_u32 s20, s12, s4
	s_addc_u32 s21, s13, s5
	s_and_not1_b32 vcc_lo, exec_lo, s2
	s_cbranch_vccnz .LBB268_4
.LBB268_2:
	s_mov_b32 s11, 0
	s_mov_b64 s[22:23], 0
	s_cbranch_execz .LBB268_5
	s_branch .LBB268_6
.LBB268_3:
	s_mov_b64 s[20:21], 0
	s_and_not1_b32 vcc_lo, exec_lo, s2
	s_cbranch_vccz .LBB268_2
.LBB268_4:
	s_mov_b32 s11, -1
                                        ; implicit-def: $sgpr22_sgpr23
.LBB268_5:
	s_load_b64 s[2:3], s[0:1], 0x38
	s_mov_b32 s11, 0
	s_waitcnt lgkmcnt(0)
	s_mul_i32 s3, s15, s3
	s_mul_hi_u32 s4, s15, s2
	s_mul_i32 s2, s15, s2
	s_add_i32 s3, s4, s3
	s_delay_alu instid0(SALU_CYCLE_1) | instskip(NEXT) | instid1(SALU_CYCLE_1)
	s_lshl_b64 s[2:3], s[2:3], 1
	s_add_u32 s22, s6, s2
	s_addc_u32 s23, s7, s3
.LBB268_6:
	s_clause 0x1
	s_load_b32 s7, s[0:1], 0x40
	s_load_b128 s[16:19], s[0:1], 0x58
	s_waitcnt lgkmcnt(0)
	v_cmp_eq_f16_e64 s2, s7, 0
	v_cmp_neq_f16_e64 s24, s7, 0
	s_delay_alu instid0(VALU_DEP_2)
	s_and_b32 vcc_lo, exec_lo, s2
	s_cbranch_vccnz .LBB268_8
; %bb.7:
	s_load_b64 s[2:3], s[0:1], 0x48
	s_mul_i32 s4, s15, s17
	s_mul_hi_u32 s5, s15, s16
	s_delay_alu instid0(SALU_CYCLE_1) | instskip(SKIP_1) | instid1(SALU_CYCLE_1)
	s_add_i32 s4, s5, s4
	s_mul_i32 s5, s11, s16
	s_add_i32 s5, s4, s5
	s_mul_i32 s4, s15, s16
	s_delay_alu instid0(SALU_CYCLE_1)
	s_lshl_b64 s[4:5], s[4:5], 1
	s_waitcnt lgkmcnt(0)
	s_add_u32 s12, s2, s4
	s_addc_u32 s13, s3, s5
	s_branch .LBB268_9
.LBB268_8:
	s_mov_b64 s[12:13], 0
.LBB268_9:
	s_add_i32 s2, s8, -1
	v_and_b32_e32 v40, 0x3ff, v0
	s_ashr_i32 s3, s2, 31
	v_bfe_u32 v41, v0, 10, 10
	s_lshr_b32 s3, s3, 25
	s_load_b32 s17, s[0:1], 0x18
	s_add_i32 s2, s2, s3
	v_and_b32_e32 v42, 3, v40
	s_ashr_i32 s2, s2, 7
	v_lshl_add_u32 v0, v41, 5, v40
	s_add_i32 s3, s2, 1
	s_not_b32 s2, s2
	v_cvt_f32_u32_e32 v1, s3
	v_dual_mov_b32 v10, 0x7c00 :: v_dual_lshlrev_b32 v43, 1, v42
	v_lshrrev_b32_e32 v8, 2, v0
	v_mov_b32_e32 v9, 0x7c00
	s_delay_alu instid0(VALU_DEP_4) | instskip(SKIP_2) | instid1(VALU_DEP_1)
	v_rcp_iflag_f32_e32 v1, v1
	s_waitcnt_depctr 0xfff
	v_mul_f32_e32 v1, 0x4f7ffffe, v1
	v_cvt_u32_f32_e32 v1, v1
	s_delay_alu instid0(VALU_DEP_1) | instskip(NEXT) | instid1(VALU_DEP_1)
	v_readfirstlane_b32 s4, v1
	s_mul_i32 s2, s2, s4
	s_delay_alu instid0(SALU_CYCLE_1) | instskip(NEXT) | instid1(SALU_CYCLE_1)
	s_mul_hi_u32 s2, s4, s2
	s_add_i32 s4, s4, s2
	s_delay_alu instid0(SALU_CYCLE_1) | instskip(NEXT) | instid1(SALU_CYCLE_1)
	s_mul_hi_u32 s2, s14, s4
	s_mul_i32 s4, s2, s3
	s_add_i32 s5, s2, 1
	s_sub_i32 s4, s14, s4
	s_delay_alu instid0(SALU_CYCLE_1)
	s_sub_i32 s6, s4, s3
	s_cmp_ge_u32 s4, s3
	s_cselect_b32 s2, s5, s2
	s_cselect_b32 s4, s6, s4
	s_add_i32 s5, s2, 1
	s_cmp_ge_u32 s4, s3
	s_cselect_b32 s4, s5, s2
	v_cmp_le_i32_e64 s5, s10, v42
	s_mul_i32 s2, s4, s3
	s_delay_alu instid0(SALU_CYCLE_1) | instskip(NEXT) | instid1(SALU_CYCLE_1)
	s_sub_i32 s2, s14, s2
	s_lshl_b32 s14, s2, 7
	v_add_co_u32 v6, s2, s20, v43
	v_add_nc_u32_e32 v0, s14, v8
	v_add_co_ci_u32_e64 v7, null, s21, 0, s2
	s_delay_alu instid0(VALU_DEP_2) | instskip(SKIP_1) | instid1(SALU_CYCLE_1)
	v_cmp_le_i32_e32 vcc_lo, s8, v0
	s_or_b32 s2, s5, vcc_lo
	s_xor_b32 s2, s2, -1
	s_delay_alu instid0(SALU_CYCLE_1)
	s_and_saveexec_b32 s3, s2
	s_cbranch_execz .LBB268_11
; %bb.10:
	s_waitcnt lgkmcnt(0)
	v_mad_i64_i32 v[1:2], null, v0, s17, 0
	s_delay_alu instid0(VALU_DEP_1) | instskip(NEXT) | instid1(VALU_DEP_1)
	v_lshlrev_b64 v[1:2], 1, v[1:2]
	v_add_co_u32 v1, s2, v6, v1
	s_delay_alu instid0(VALU_DEP_1)
	v_add_co_ci_u32_e64 v2, s2, v7, v2, s2
	flat_load_u16 v10, v[1:2]
.LBB268_11:
	s_or_b32 exec_lo, exec_lo, s3
	v_add_nc_u32_e32 v1, 64, v0
	s_delay_alu instid0(VALU_DEP_1) | instskip(NEXT) | instid1(VALU_DEP_1)
	v_cmp_le_i32_e64 s2, s8, v1
	s_or_b32 s3, s5, s2
	s_delay_alu instid0(SALU_CYCLE_1) | instskip(NEXT) | instid1(SALU_CYCLE_1)
	s_xor_b32 s3, s3, -1
	s_and_saveexec_b32 s6, s3
	s_cbranch_execz .LBB268_13
; %bb.12:
	s_waitcnt lgkmcnt(0)
	v_mad_i64_i32 v[2:3], null, v1, s17, 0
	s_delay_alu instid0(VALU_DEP_1) | instskip(NEXT) | instid1(VALU_DEP_1)
	v_lshlrev_b64 v[2:3], 1, v[2:3]
	v_add_co_u32 v2, s3, v6, v2
	s_delay_alu instid0(VALU_DEP_1)
	v_add_co_ci_u32_e64 v3, s3, v7, v3, s3
	flat_load_u16 v9, v[2:3]
.LBB268_13:
	s_or_b32 exec_lo, exec_lo, s6
	s_load_b32 s25, s[0:1], 0x30
	s_lshl_b32 s16, s4, 7
	s_delay_alu instid0(SALU_CYCLE_1) | instskip(SKIP_1) | instid1(VALU_DEP_1)
	v_dual_mov_b32 v11, 0x7c00 :: v_dual_add_nc_u32 v2, s16, v8
	v_add_co_u32 v13, s4, s22, v43
	v_add_co_ci_u32_e64 v14, null, s23, 0, s4
	s_delay_alu instid0(VALU_DEP_3) | instskip(SKIP_1) | instid1(VALU_DEP_2)
	v_cmp_le_i32_e64 s3, s9, v2
	v_mov_b32_e32 v12, 0x7c00
	s_or_b32 s4, s5, s3
	s_delay_alu instid0(SALU_CYCLE_1) | instskip(NEXT) | instid1(SALU_CYCLE_1)
	s_xor_b32 s4, s4, -1
	s_and_saveexec_b32 s6, s4
	s_cbranch_execz .LBB268_15
; %bb.14:
	s_waitcnt lgkmcnt(0)
	v_mad_i64_i32 v[3:4], null, v2, s25, 0
	s_delay_alu instid0(VALU_DEP_1) | instskip(NEXT) | instid1(VALU_DEP_1)
	v_lshlrev_b64 v[3:4], 1, v[3:4]
	v_add_co_u32 v3, s4, v13, v3
	s_delay_alu instid0(VALU_DEP_1)
	v_add_co_ci_u32_e64 v4, s4, v14, v4, s4
	flat_load_u16 v12, v[3:4]
.LBB268_15:
	s_or_b32 exec_lo, exec_lo, s6
	v_add_nc_u32_e32 v3, 64, v2
	s_delay_alu instid0(VALU_DEP_1) | instskip(NEXT) | instid1(VALU_DEP_1)
	v_cmp_le_i32_e64 s4, s9, v3
	s_or_b32 s5, s5, s4
	s_delay_alu instid0(SALU_CYCLE_1) | instskip(NEXT) | instid1(SALU_CYCLE_1)
	s_xor_b32 s5, s5, -1
	s_and_saveexec_b32 s6, s5
	s_cbranch_execz .LBB268_17
; %bb.16:
	s_waitcnt lgkmcnt(0)
	v_mad_i64_i32 v[4:5], null, v3, s25, 0
	s_delay_alu instid0(VALU_DEP_1) | instskip(NEXT) | instid1(VALU_DEP_1)
	v_lshlrev_b64 v[4:5], 1, v[4:5]
	v_add_co_u32 v4, s5, v13, v4
	s_delay_alu instid0(VALU_DEP_1)
	v_add_co_ci_u32_e64 v5, s5, v14, v5, s5
	flat_load_u16 v11, v[4:5]
.LBB268_17:
	s_or_b32 exec_lo, exec_lo, s6
	v_or_b32_e32 v4, 4, v42
	v_mov_b32_e32 v5, 0x7c00
	s_delay_alu instid0(VALU_DEP_2) | instskip(SKIP_1) | instid1(VALU_DEP_2)
	v_cmp_le_i32_e64 s5, s10, v4
	v_mov_b32_e32 v4, 0x7c00
	s_or_b32 s6, s5, vcc_lo
	s_delay_alu instid0(SALU_CYCLE_1) | instskip(NEXT) | instid1(SALU_CYCLE_1)
	s_xor_b32 s6, s6, -1
	s_and_saveexec_b32 s26, s6
	s_cbranch_execz .LBB268_19
; %bb.18:
	s_waitcnt lgkmcnt(0)
	v_mad_i64_i32 v[15:16], null, v0, s17, 0
	s_delay_alu instid0(VALU_DEP_1) | instskip(NEXT) | instid1(VALU_DEP_1)
	v_lshlrev_b64 v[15:16], 1, v[15:16]
	v_add_co_u32 v15, s6, v6, v15
	s_delay_alu instid0(VALU_DEP_1)
	v_add_co_ci_u32_e64 v16, s6, v7, v16, s6
	flat_load_u16 v5, v[15:16] offset:8
.LBB268_19:
	s_or_b32 exec_lo, exec_lo, s26
	s_or_b32 s6, s5, s2
	s_delay_alu instid0(SALU_CYCLE_1) | instskip(NEXT) | instid1(SALU_CYCLE_1)
	s_xor_b32 s6, s6, -1
	s_and_saveexec_b32 s26, s6
	s_cbranch_execz .LBB268_21
; %bb.20:
	s_waitcnt lgkmcnt(0)
	v_mad_i64_i32 v[15:16], null, v1, s17, 0
	s_delay_alu instid0(VALU_DEP_1) | instskip(NEXT) | instid1(VALU_DEP_1)
	v_lshlrev_b64 v[15:16], 1, v[15:16]
	v_add_co_u32 v6, s6, v6, v15
	s_delay_alu instid0(VALU_DEP_1)
	v_add_co_ci_u32_e64 v7, s6, v7, v16, s6
	flat_load_u16 v4, v[6:7] offset:8
.LBB268_21:
	s_or_b32 exec_lo, exec_lo, s26
	v_dual_mov_b32 v6, 0x7c00 :: v_dual_mov_b32 v7, 0x7c00
	s_or_b32 s6, s5, s3
	s_delay_alu instid0(SALU_CYCLE_1) | instskip(NEXT) | instid1(SALU_CYCLE_1)
	s_xor_b32 s6, s6, -1
	s_and_saveexec_b32 s26, s6
	s_cbranch_execz .LBB268_23
; %bb.22:
	s_waitcnt lgkmcnt(0)
	v_mad_i64_i32 v[15:16], null, v2, s25, 0
	s_delay_alu instid0(VALU_DEP_1) | instskip(NEXT) | instid1(VALU_DEP_1)
	v_lshlrev_b64 v[15:16], 1, v[15:16]
	v_add_co_u32 v15, s6, v13, v15
	s_delay_alu instid0(VALU_DEP_1)
	v_add_co_ci_u32_e64 v16, s6, v14, v16, s6
	flat_load_u16 v7, v[15:16] offset:8
.LBB268_23:
	s_or_b32 exec_lo, exec_lo, s26
	s_or_b32 s5, s5, s4
	s_delay_alu instid0(SALU_CYCLE_1) | instskip(NEXT) | instid1(SALU_CYCLE_1)
	s_xor_b32 s5, s5, -1
	s_and_saveexec_b32 s6, s5
	s_cbranch_execz .LBB268_25
; %bb.24:
	s_waitcnt lgkmcnt(0)
	v_mad_i64_i32 v[15:16], null, v3, s25, 0
	s_delay_alu instid0(VALU_DEP_1) | instskip(NEXT) | instid1(VALU_DEP_1)
	v_lshlrev_b64 v[15:16], 1, v[15:16]
	v_add_co_u32 v13, s5, v13, v15
	s_delay_alu instid0(VALU_DEP_1)
	v_add_co_ci_u32_e64 v14, s5, v14, v16, s5
	flat_load_u16 v6, v[13:14] offset:8
.LBB268_25:
	s_or_b32 exec_lo, exec_lo, s6
	v_lshlrev_b32_e32 v44, 3, v41
	v_lshl_or_b32 v46, v8, 3, v43
	v_lshlrev_b32_e32 v45, 3, v40
	s_cmp_lt_i32 s10, 9
	s_waitcnt vmcnt(0) lgkmcnt(0)
	ds_store_b16 v46, v10
	ds_store_b16 v46, v9 offset:512
	ds_store_b16 v46, v12 offset:2048
	;; [unrolled: 1-line block ×3, first 2 shown]
	v_add_nc_u32_e32 v51, 0x800, v44
	s_waitcnt lgkmcnt(0)
	s_barrier
	buffer_gl0_inv
	ds_load_2addr_b64 v[8:11], v45 offset1:32
	ds_load_2addr_b64 v[12:15], v51 offset1:8
	ds_load_2addr_b64 v[16:19], v45 offset0:64 offset1:96
	ds_load_2addr_b64 v[20:23], v51 offset0:16 offset1:24
	;; [unrolled: 1-line block ×7, first 2 shown]
	s_waitcnt lgkmcnt(7)
	v_pk_add_f16 v52, v8, v12
	v_pk_add_f16 v53, v10, v12
	s_waitcnt lgkmcnt(6)
	v_pk_add_f16 v54, v16, v12
	v_pk_add_f16 v12, v18, v12
	;; [unrolled: 1-line block ×6, first 2 shown]
	s_waitcnt lgkmcnt(5)
	v_pk_add_f16 v58, v8, v20
	v_pk_min_f16 v12, 0x7c00, v12 op_sel_hi:[0,1]
	v_pk_add_f16 v81, v9, v13
	v_pk_add_f16 v82, v11, v13
	;; [unrolled: 1-line block ×5, first 2 shown]
	v_pk_min_f16 v14, 0x7c00, v14 op_sel_hi:[0,1]
	v_pk_min_f16 v58, 0x7c00, v58 op_sel_hi:[0,1]
	v_pk_add_f16 v60, v16, v20
	v_pk_add_f16 v20, v18, v20
	;; [unrolled: 1-line block ×6, first 2 shown]
	v_pk_min_f16 v111, v12, v13
	v_pk_add_f16 v12, v9, v21
	v_pk_min_f16 v59, 0x7c00, v59 op_sel_hi:[0,1]
	v_pk_add_f16 v61, v8, v22
	v_pk_add_f16 v62, v10, v22
	;; [unrolled: 1-line block ×3, first 2 shown]
	v_pk_min_f16 v60, 0x7c00, v60 op_sel_hi:[0,1]
	v_pk_min_f16 v20, 0x7c00, v20 op_sel_hi:[0,1]
	v_pk_add_f16 v13, v11, v21
	v_pk_min_f16 v106, v14, v15
	v_pk_add_f16 v14, v17, v21
	v_pk_min_f16 v105, v58, v12
	v_pk_add_f16 v12, v19, v21
	v_pk_min_f16 v61, 0x7c00, v61 op_sel_hi:[0,1]
	v_pk_min_f16 v62, 0x7c00, v62 op_sel_hi:[0,1]
	;; [unrolled: 1-line block ×3, first 2 shown]
	v_pk_add_f16 v22, v18, v22
	s_waitcnt lgkmcnt(4)
	v_pk_add_f16 v64, v8, v24
	v_pk_add_f16 v65, v10, v24
	;; [unrolled: 1-line block ×3, first 2 shown]
	v_pk_min_f16 v104, v59, v13
	v_pk_add_f16 v13, v9, v23
	v_pk_min_f16 v103, v60, v14
	v_pk_add_f16 v14, v11, v23
	;; [unrolled: 2-line block ×3, first 2 shown]
	v_pk_min_f16 v22, 0x7c00, v22 op_sel_hi:[0,1]
	v_pk_min_f16 v64, 0x7c00, v64 op_sel_hi:[0,1]
	v_pk_min_f16 v65, 0x7c00, v65 op_sel_hi:[0,1]
	v_pk_min_f16 v66, 0x7c00, v66 op_sel_hi:[0,1]
	v_pk_add_f16 v67, v8, v26
	v_pk_add_f16 v68, v10, v26
	;; [unrolled: 1-line block ×4, first 2 shown]
	v_pk_min_f16 v101, v61, v13
	v_pk_min_f16 v100, v62, v14
	;; [unrolled: 1-line block ×3, first 2 shown]
	v_pk_add_f16 v12, v19, v23
	v_pk_add_f16 v13, v9, v25
	;; [unrolled: 1-line block ×4, first 2 shown]
	s_waitcnt lgkmcnt(3)
	v_pk_add_f16 v70, v8, v28
	v_pk_min_f16 v67, 0x7c00, v67 op_sel_hi:[0,1]
	v_pk_min_f16 v68, 0x7c00, v68 op_sel_hi:[0,1]
	v_pk_min_f16 v69, 0x7c00, v69 op_sel_hi:[0,1]
	v_pk_min_f16 v26, 0x7c00, v26 op_sel_hi:[0,1]
	v_pk_add_f16 v71, v10, v28
	v_pk_add_f16 v72, v16, v28
	;; [unrolled: 1-line block ×4, first 2 shown]
	v_pk_min_f16 v98, v22, v12
	v_pk_min_f16 v97, v64, v13
	;; [unrolled: 1-line block ×4, first 2 shown]
	v_pk_add_f16 v12, v9, v27
	v_pk_add_f16 v13, v11, v27
	;; [unrolled: 1-line block ×4, first 2 shown]
	v_pk_min_f16 v56, 0x7c00, v56 op_sel_hi:[0,1]
	v_pk_min_f16 v57, 0x7c00, v57 op_sel_hi:[0,1]
	v_pk_add_f16 v24, v18, v24
	v_pk_min_f16 v70, 0x7c00, v70 op_sel_hi:[0,1]
	v_pk_add_f16 v74, v10, v30
	v_pk_min_f16 v71, 0x7c00, v71 op_sel_hi:[0,1]
	v_pk_min_f16 v72, 0x7c00, v72 op_sel_hi:[0,1]
	;; [unrolled: 1-line block ×4, first 2 shown]
	v_pk_add_f16 v22, v9, v29
	v_pk_min_f16 v93, v67, v12
	v_pk_min_f16 v92, v68, v13
	;; [unrolled: 1-line block ×4, first 2 shown]
	v_pk_add_f16 v12, v11, v29
	v_pk_add_f16 v13, v17, v29
	;; [unrolled: 1-line block ×4, first 2 shown]
	v_pk_min_f16 v54, 0x7c00, v54 op_sel_hi:[0,1]
	v_pk_min_f16 v24, 0x7c00, v24 op_sel_hi:[0,1]
	;; [unrolled: 1-line block ×3, first 2 shown]
	v_pk_add_f16 v75, v16, v30
	v_pk_add_f16 v30, v18, v30
	v_pk_min_f16 v108, v56, v85
	v_pk_min_f16 v107, v57, v86
	v_pk_add_f16 v23, v19, v25
	v_pk_min_f16 v89, v70, v22
	v_pk_add_f16 v22, v11, v31
	v_pk_min_f16 v88, v71, v12
	v_pk_min_f16 v87, v72, v13
	;; [unrolled: 1-line block ×4, first 2 shown]
	ds_load_2addr_b64 v[12:15], v51 offset0:112 offset1:120
	v_pk_min_f16 v53, 0x7c00, v53 op_sel_hi:[0,1]
	v_pk_min_f16 v55, 0x7c00, v55 op_sel_hi:[0,1]
	s_waitcnt lgkmcnt(3)
	v_pk_add_f16 v76, v8, v32
	v_pk_add_f16 v77, v10, v32
	;; [unrolled: 1-line block ×8, first 2 shown]
	v_pk_min_f16 v122, v54, v83
	s_waitcnt lgkmcnt(2)
	v_pk_add_f16 v20, v16, v38
	v_pk_min_f16 v94, v24, v23
	v_pk_min_f16 v83, v74, v22
	v_pk_add_f16 v22, v17, v31
	v_pk_add_f16 v23, v19, v31
	v_pk_min_f16 v51, 0x7c00, v75 op_sel_hi:[0,1]
	v_pk_min_f16 v30, 0x7c00, v30 op_sel_hi:[0,1]
	;; [unrolled: 1-line block ×3, first 2 shown]
	v_pk_min_f16 v123, v53, v82
	v_pk_min_f16 v109, v55, v84
	v_pk_add_f16 v21, v18, v38
	v_pk_add_f16 v24, v9, v33
	;; [unrolled: 1-line block ×8, first 2 shown]
	v_pk_min_f16 v60, 0x7c00, v76 op_sel_hi:[0,1]
	v_pk_min_f16 v61, 0x7c00, v77 op_sel_hi:[0,1]
	;; [unrolled: 1-line block ×6, first 2 shown]
	v_pk_min_f16 v84, v51, v22
	s_waitcnt lgkmcnt(1)
	v_pk_add_f16 v22, v8, v47
	v_pk_min_f16 v82, v30, v23
	v_pk_add_f16 v23, v10, v47
	v_pk_min_f16 v20, 0x7c00, v20 op_sel_hi:[0,1]
	v_pk_add_f16 v112, v8, v36
	v_pk_min_f16 v124, v52, v81
	v_pk_add_f16 v55, v10, v38
	v_pk_add_f16 v28, v9, v35
	;; [unrolled: 1-line block ×6, first 2 shown]
	v_pk_min_f16 v63, 0x7c00, v79 op_sel_hi:[0,1]
	v_pk_min_f16 v64, 0x7c00, v80 op_sel_hi:[0,1]
	v_pk_min_f16 v81, v60, v24
	v_pk_add_f16 v24, v16, v47
	v_pk_min_f16 v21, 0x7c00, v21 op_sel_hi:[0,1]
	v_pk_min_f16 v22, 0x7c00, v22 op_sel_hi:[0,1]
	v_pk_min_f16 v23, 0x7c00, v23 op_sel_hi:[0,1]
	v_pk_min_f16 v80, v61, v25
	v_pk_add_f16 v25, v18, v47
	v_pk_min_f16 v79, v62, v26
	v_pk_add_f16 v26, v8, v49
	;; [unrolled: 2-line block ×3, first 2 shown]
	v_pk_min_f16 v75, v65, v31
	v_pk_min_f16 v74, v34, v33
	v_pk_add_f16 v33, v9, v48
	v_pk_min_f16 v65, v20, v59
	v_pk_add_f16 v20, v11, v48
	v_pk_add_f16 v52, v10, v36
	;; [unrolled: 1-line block ×6, first 2 shown]
	v_pk_min_f16 v66, 0x7c00, v112 op_sel_hi:[0,1]
	v_pk_min_f16 v55, 0x7c00, v55 op_sel_hi:[0,1]
	v_pk_min_f16 v24, 0x7c00, v24 op_sel_hi:[0,1]
	v_pk_min_f16 v77, v63, v28
	v_pk_add_f16 v28, v16, v49
	v_pk_min_f16 v76, v64, v29
	v_pk_add_f16 v29, v18, v49
	v_pk_min_f16 v25, 0x7c00, v25 op_sel_hi:[0,1]
	v_pk_min_f16 v26, 0x7c00, v26 op_sel_hi:[0,1]
	;; [unrolled: 1-line block ×3, first 2 shown]
	s_waitcnt lgkmcnt(0)
	v_pk_add_f16 v30, v8, v12
	v_pk_add_f16 v31, v10, v12
	;; [unrolled: 1-line block ×6, first 2 shown]
	v_pk_min_f16 v64, v21, v39
	v_pk_min_f16 v63, v22, v33
	v_pk_add_f16 v21, v17, v48
	v_pk_add_f16 v22, v19, v48
	;; [unrolled: 1-line block ×3, first 2 shown]
	v_pk_min_f16 v62, v23, v20
	v_pk_add_f16 v14, v18, v14
	v_pk_add_f16 v18, v9, v50
	;; [unrolled: 1-line block ×6, first 2 shown]
	v_pk_min_f16 v52, 0x7c00, v52 op_sel_hi:[0,1]
	v_pk_min_f16 v53, 0x7c00, v53 op_sel_hi:[0,1]
	;; [unrolled: 1-line block ×6, first 2 shown]
	v_pk_min_f16 v72, v66, v35
	v_pk_min_f16 v30, 0x7c00, v30 op_sel_hi:[0,1]
	v_pk_min_f16 v31, 0x7c00, v31 op_sel_hi:[0,1]
	;; [unrolled: 1-line block ×5, first 2 shown]
	v_pk_min_f16 v66, v55, v58
	v_pk_min_f16 v61, v24, v21
	;; [unrolled: 1-line block ×3, first 2 shown]
	v_pk_min_f16 v10, 0x7c00, v10 op_sel_hi:[0,1]
	v_pk_min_f16 v16, 0x7c00, v16 op_sel_hi:[0,1]
	v_pk_min_f16 v14, 0x7c00, v14 op_sel_hi:[0,1]
	v_pk_min_f16 v59, v26, v18
	v_pk_min_f16 v58, v27, v20
	v_pk_add_f16 v18, v17, v50
	v_pk_add_f16 v20, v19, v50
	;; [unrolled: 1-line block ×10, first 2 shown]
	v_pk_min_f16 v71, v52, v38
	v_pk_min_f16 v69, v53, v56
	;; [unrolled: 1-line block ×14, first 2 shown]
	ds_store_b16 v46, v5 offset:1024
	ds_store_b16 v46, v4 offset:1536
	;; [unrolled: 1-line block ×4, first 2 shown]
	s_waitcnt lgkmcnt(0)
	s_barrier
	buffer_gl0_inv
	s_cbranch_scc1 .LBB268_44
; %bb.26:
	v_mad_i64_i32 v[4:5], null, v0, s17, 0
	v_mad_i64_i32 v[6:7], null, v1, s17, 0
	;; [unrolled: 1-line block ×3, first 2 shown]
	v_add_nc_u32_e32 v47, 0x800, v46
	v_add_nc_u32_e32 v70, 0x800, v44
	v_lshlrev_b64 v[0:1], 1, v[4:5]
	v_mad_i64_i32 v[4:5], null, s25, v2, 0
	v_lshlrev_b64 v[6:7], 1, v[6:7]
	v_lshlrev_b64 v[2:3], 1, v[8:9]
	v_add_nc_u32_e32 v73, 0x400, v46
	v_add_co_u32 v114, s5, s20, v0
	s_delay_alu instid0(VALU_DEP_1) | instskip(SKIP_2) | instid1(VALU_DEP_1)
	v_add_co_ci_u32_e64 v115, s5, s21, v1, s5
	v_lshlrev_b64 v[0:1], 1, v[4:5]
	v_add_co_u32 v116, s5, s20, v6
	v_add_co_ci_u32_e64 v117, s5, s21, v7, s5
	v_add_nc_u32_e32 v110, 0xc00, v46
	s_delay_alu instid0(VALU_DEP_4) | instskip(NEXT) | instid1(VALU_DEP_1)
	v_add_co_u32 v118, s5, s22, v0
	v_add_co_ci_u32_e64 v119, s5, s23, v1, s5
	v_add_co_u32 v120, s5, s22, v2
	v_lshl_add_u32 v112, v40, 3, 0x400
	v_lshl_add_u32 v113, v41, 3, 0xc00
	v_add_co_ci_u32_e64 v121, s5, s23, v3, s5
	s_add_i32 s17, s10, -8
	s_mov_b32 s20, 0
	s_branch .LBB268_28
.LBB268_27:                             ;   in Loop: Header=BB268_28 Depth=1
	s_or_b32 exec_lo, exec_lo, s6
	ds_load_2addr_b64 v[129:132], v45 offset1:32
	ds_load_2addr_b64 v[77:80], v70 offset1:8
	ds_load_2addr_b64 v[133:136], v45 offset0:64 offset1:96
	ds_load_2addr_b64 v[81:84], v70 offset0:16 offset1:24
	ds_load_2addr_b64 v[85:88], v70 offset0:32 offset1:40
	ds_load_2addr_b64 v[137:140], v70 offset0:48 offset1:56
	ds_load_2addr_b64 v[141:144], v70 offset0:64 offset1:72
	ds_load_2addr_b64 v[145:148], v70 offset0:80 offset1:88
	ds_load_2addr_b64 v[149:152], v70 offset0:96 offset1:104
	ds_load_2addr_b64 v[153:156], v70 offset0:112 offset1:120
	v_pk_max_f16 v9, v75, v75
	v_pk_max_f16 v11, v72, v72
	;; [unrolled: 1-line block ×11, first 2 shown]
	s_waitcnt lgkmcnt(8)
	v_pk_add_f16 v74, v129, v77
	v_pk_add_f16 v75, v131, v77
	s_waitcnt lgkmcnt(7)
	v_pk_add_f16 v76, v133, v77
	v_pk_add_f16 v77, v135, v77
	v_pk_max_f16 v55, v55, v55
	v_pk_min_f16 v9, v9, v74
	v_pk_add_f16 v74, v135, v79
	v_pk_min_f16 v11, v11, v75
	v_pk_min_f16 v15, v15, v76
	;; [unrolled: 1-line block ×3, first 2 shown]
	s_waitcnt lgkmcnt(6)
	v_pk_add_f16 v75, v131, v81
	v_pk_min_f16 v66, v66, v74
	v_pk_add_f16 v74, v129, v81
	v_pk_add_f16 v76, v133, v81
	;; [unrolled: 1-line block ×3, first 2 shown]
	v_pk_min_f16 v67, v67, v75
	v_pk_add_f16 v75, v133, v83
	v_pk_min_f16 v60, v60, v74
	v_pk_min_f16 v65, v65, v76
	;; [unrolled: 1-line block ×3, first 2 shown]
	v_pk_add_f16 v74, v131, v83
	v_pk_max_f16 v63, v63, v63
	v_pk_add_f16 v76, v135, v83
	v_pk_max_f16 v61, v61, v61
	s_waitcnt lgkmcnt(5)
	v_pk_add_f16 v77, v129, v85
	v_pk_max_f16 v59, v59, v59
	v_pk_min_f16 v55, v55, v74
	v_pk_min_f16 v63, v63, v75
	;; [unrolled: 1-line block ×3, first 2 shown]
	v_pk_add_f16 v74, v133, v85
	v_pk_min_f16 v59, v59, v77
	v_pk_max_f16 v50, v50, v50
	v_pk_add_f16 v75, v135, v85
	v_pk_max_f16 v58, v58, v58
	v_pk_add_f16 v76, v129, v87
	;; [unrolled: 2-line block ×3, first 2 shown]
	v_pk_max_f16 v54, v54, v54
	v_pk_min_f16 v50, v50, v74
	v_pk_min_f16 v58, v58, v75
	v_pk_min_f16 v56, v56, v76
	v_pk_add_f16 v74, v135, v87
	v_pk_min_f16 v54, v54, v77
	v_pk_max_f16 v37, v37, v37
	s_waitcnt lgkmcnt(4)
	v_pk_add_f16 v75, v129, v137
	v_pk_max_f16 v53, v53, v53
	v_pk_add_f16 v76, v131, v137
	v_pk_max_f16 v51, v51, v51
	;; [unrolled: 2-line block ×3, first 2 shown]
	v_pk_min_f16 v37, v37, v74
	v_pk_min_f16 v53, v53, v75
	;; [unrolled: 1-line block ×3, first 2 shown]
	v_pk_add_f16 v74, v129, v139
	v_pk_min_f16 v49, v49, v77
	v_pk_max_f16 v32, v32, v32
	v_pk_add_f16 v75, v131, v139
	v_pk_max_f16 v48, v48, v48
	v_pk_add_f16 v76, v133, v139
	;; [unrolled: 2-line block ×3, first 2 shown]
	v_pk_max_f16 v36, v36, v36
	v_pk_min_f16 v32, v32, v74
	v_pk_min_f16 v48, v48, v75
	;; [unrolled: 1-line block ×3, first 2 shown]
	s_waitcnt lgkmcnt(3)
	v_pk_add_f16 v74, v131, v141
	v_pk_min_f16 v36, v36, v77
	v_pk_max_f16 v27, v27, v27
	v_pk_add_f16 v75, v133, v141
	v_pk_max_f16 v35, v35, v35
	v_pk_add_f16 v76, v135, v141
	;; [unrolled: 2-line block ×3, first 2 shown]
	v_pk_max_f16 v31, v31, v31
	v_pk_min_f16 v27, v27, v74
	v_pk_min_f16 v35, v35, v75
	v_pk_min_f16 v33, v33, v76
	v_pk_add_f16 v74, v133, v143
	v_pk_min_f16 v31, v31, v77
	v_pk_max_f16 v22, v22, v22
	v_pk_add_f16 v75, v135, v143
	v_pk_max_f16 v30, v30, v30
	s_waitcnt lgkmcnt(2)
	v_pk_add_f16 v76, v129, v145
	v_pk_max_f16 v28, v28, v28
	v_pk_add_f16 v77, v131, v145
	v_pk_max_f16 v26, v26, v26
	v_pk_min_f16 v22, v22, v74
	v_pk_min_f16 v30, v30, v75
	;; [unrolled: 1-line block ×3, first 2 shown]
	v_pk_add_f16 v74, v135, v145
	v_pk_min_f16 v26, v26, v77
	v_pk_max_f16 v17, v17, v17
	v_pk_add_f16 v75, v129, v147
	v_pk_max_f16 v25, v25, v25
	v_pk_add_f16 v76, v131, v147
	;; [unrolled: 2-line block ×4, first 2 shown]
	v_pk_add_f16 v90, v131, v79
	v_pk_add_f16 v91, v133, v79
	;; [unrolled: 1-line block ×3, first 2 shown]
	v_pk_max_f16 v62, v62, v62
	v_pk_min_f16 v17, v17, v74
	v_pk_min_f16 v25, v25, v75
	;; [unrolled: 1-line block ×4, first 2 shown]
	s_waitcnt lgkmcnt(1)
	v_pk_add_f16 v74, v129, v149
	v_pk_max_f16 v10, v10, v10
	v_pk_add_f16 v75, v131, v149
	v_pk_max_f16 v20, v20, v20
	;; [unrolled: 2-line block ×4, first 2 shown]
	v_pk_min_f16 v62, v62, v79
	v_pk_add_f16 v79, v131, v85
	v_pk_max_f16 v57, v57, v57
	v_pk_min_f16 v10, v10, v74
	v_pk_min_f16 v20, v20, v75
	v_pk_min_f16 v18, v18, v76
	v_pk_min_f16 v16, v16, v77
	v_pk_add_f16 v74, v131, v151
	v_pk_max_f16 v4, v4, v4
	v_pk_add_f16 v75, v133, v151
	v_pk_max_f16 v14, v14, v14
	;; [unrolled: 2-line block ×3, first 2 shown]
	s_waitcnt lgkmcnt(0)
	v_pk_add_f16 v77, v129, v153
	v_pk_max_f16 v8, v8, v8
	v_pk_min_f16 v57, v57, v79
	v_pk_add_f16 v79, v133, v87
	v_pk_max_f16 v52, v52, v52
	v_pk_min_f16 v4, v4, v74
	v_pk_min_f16 v14, v14, v75
	;; [unrolled: 1-line block ×4, first 2 shown]
	v_pk_add_f16 v74, v133, v153
	v_pk_max_f16 v2, v2, v2
	v_pk_add_f16 v75, v135, v153
	v_pk_max_f16 v7, v7, v7
	;; [unrolled: 2-line block ×4, first 2 shown]
	v_pk_max_f16 v68, v68, v68
	v_pk_min_f16 v52, v52, v79
	v_pk_add_f16 v79, v135, v137
	v_pk_max_f16 v39, v39, v39
	v_pk_min_f16 v2, v2, v74
	v_pk_min_f16 v7, v7, v75
	;; [unrolled: 1-line block ×4, first 2 shown]
	v_pk_add_f16 v74, v135, v155
	v_pk_max_f16 v0, v0, v0
	v_pk_add_f16 v75, v130, v78
	v_pk_add_f16 v76, v132, v78
	;; [unrolled: 1-line block ×4, first 2 shown]
	v_pk_min_f16 v71, v71, v89
	v_pk_min_f16 v72, v72, v90
	;; [unrolled: 1-line block ×4, first 2 shown]
	v_pk_add_f16 v79, v129, v141
	v_pk_max_f16 v34, v34, v34
	v_pk_min_f16 v0, v0, v74
	v_pk_min_f16 v124, v9, v75
	v_pk_min_f16 v123, v11, v76
	v_pk_min_f16 v122, v15, v77
	v_pk_min_f16 v111, v69, v78
	v_pk_add_f16 v9, v130, v80
	v_pk_add_f16 v11, v132, v80
	v_pk_add_f16 v15, v134, v80
	v_pk_add_f16 v69, v136, v80
	v_pk_add_f16 v74, v130, v82
	v_pk_min_f16 v34, v34, v79
	v_pk_add_f16 v79, v131, v143
	v_pk_max_f16 v29, v29, v29
	v_pk_min_f16 v109, v71, v9
	v_pk_min_f16 v108, v72, v11
	v_pk_min_f16 v107, v68, v15
	v_pk_min_f16 v106, v66, v69
	v_pk_min_f16 v105, v60, v74
	v_pk_add_f16 v9, v132, v82
	v_pk_add_f16 v11, v134, v82
	v_pk_add_f16 v15, v136, v82
	v_pk_add_f16 v60, v130, v84
	v_pk_add_f16 v66, v132, v84
	v_pk_min_f16 v29, v29, v79
	;; [unrolled: 13-line block ×7, first 2 shown]
	v_pk_min_f16 v79, v35, v9
	v_pk_min_f16 v78, v33, v11
	v_pk_min_f16 v77, v31, v15
	v_pk_min_f16 v76, v29, v27
	v_pk_min_f16 v75, v22, v32
	v_pk_add_f16 v9, v136, v144
	v_pk_add_f16 v11, v130, v146
	v_pk_add_f16 v15, v132, v146
	v_pk_add_f16 v22, v134, v146
	v_pk_add_f16 v27, v136, v146
	v_pk_min_f16 v74, v30, v9
	v_pk_min_f16 v72, v28, v11
	v_pk_min_f16 v71, v26, v15
	v_pk_min_f16 v69, v24, v22
	v_pk_min_f16 v68, v17, v27
	v_pk_add_f16 v9, v130, v148
	v_pk_add_f16 v11, v132, v148
	v_pk_add_f16 v15, v134, v148
	v_pk_add_f16 v17, v136, v148
	v_pk_add_f16 v22, v130, v150
	v_pk_min_f16 v67, v25, v9
	v_pk_min_f16 v66, v23, v11
	v_pk_min_f16 v65, v21, v15
	v_pk_min_f16 v64, v19, v17
	v_pk_min_f16 v63, v10, v22
	v_pk_add_f16 v9, v132, v150
	v_pk_add_f16 v10, v134, v150
	v_pk_add_f16 v11, v136, v150
	v_pk_add_f16 v15, v130, v152
	v_pk_add_f16 v17, v132, v152
	v_add_co_u32 v116, s5, v116, 16
	v_pk_min_f16 v62, v20, v9
	v_pk_min_f16 v61, v18, v10
	;; [unrolled: 1-line block ×5, first 2 shown]
	v_pk_add_f16 v4, v134, v152
	v_pk_add_f16 v9, v136, v152
	;; [unrolled: 1-line block ×5, first 2 shown]
	v_add_co_ci_u32_e64 v117, s5, 0, v117, s5
	v_add_co_u32 v114, s5, v114, 16
	s_delay_alu instid0(VALU_DEP_1)
	v_add_co_ci_u32_e64 v115, s5, 0, v115, s5
	v_pk_min_f16 v57, v14, v4
	v_pk_min_f16 v56, v12, v9
	;; [unrolled: 1-line block ×5, first 2 shown]
	v_pk_add_f16 v2, v136, v154
	v_pk_add_f16 v4, v130, v156
	;; [unrolled: 1-line block ×5, first 2 shown]
	v_add_co_u32 v118, s5, v118, 16
	s_delay_alu instid0(VALU_DEP_1)
	v_add_co_ci_u32_e64 v119, s5, 0, v119, s5
	v_add_co_u32 v120, s5, v120, 16
	v_pk_min_f16 v52, v7, v2
	v_pk_min_f16 v51, v5, v4
	;; [unrolled: 1-line block ×5, first 2 shown]
	v_add_co_ci_u32_e64 v121, s5, 0, v121, s5
	s_add_i32 s20, s20, 8
	s_waitcnt vmcnt(0)
	ds_store_b16 v73, v126
	ds_store_b16 v73, v125 offset:512
	ds_store_b16 v110, v128
	ds_store_b16 v110, v127 offset:512
	s_cmp_ge_i32 s20, s17
	s_waitcnt lgkmcnt(0)
	s_barrier
	buffer_gl0_inv
	s_cbranch_scc1 .LBB268_44
.LBB268_28:                             ; =>This Inner Loop Header: Depth=1
	v_dual_mov_b32 v126, 0x7c00 :: v_dual_add_nc_u32 v125, s20, v42
	s_delay_alu instid0(VALU_DEP_1) | instskip(NEXT) | instid1(VALU_DEP_1)
	v_dual_mov_b32 v127, 0x7c00 :: v_dual_add_nc_u32 v0, 8, v125
	v_cmp_le_i32_e64 s5, s10, v0
	s_delay_alu instid0(VALU_DEP_1) | instskip(NEXT) | instid1(SALU_CYCLE_1)
	s_or_b32 s6, vcc_lo, s5
	s_xor_b32 s6, s6, -1
	s_delay_alu instid0(SALU_CYCLE_1)
	s_and_saveexec_b32 s21, s6
	s_cbranch_execz .LBB268_30
; %bb.29:                               ;   in Loop: Header=BB268_28 Depth=1
	v_add_co_u32 v0, s6, v114, v43
	s_delay_alu instid0(VALU_DEP_1)
	v_add_co_ci_u32_e64 v1, s6, 0, v115, s6
	flat_load_u16 v127, v[0:1] offset:16
.LBB268_30:                             ;   in Loop: Header=BB268_28 Depth=1
	s_or_b32 exec_lo, exec_lo, s21
	s_or_b32 s6, s2, s5
	s_delay_alu instid0(SALU_CYCLE_1) | instskip(NEXT) | instid1(SALU_CYCLE_1)
	s_xor_b32 s6, s6, -1
	s_and_saveexec_b32 s21, s6
	s_cbranch_execz .LBB268_32
; %bb.31:                               ;   in Loop: Header=BB268_28 Depth=1
	v_add_co_u32 v0, s6, v116, v43
	s_delay_alu instid0(VALU_DEP_1)
	v_add_co_ci_u32_e64 v1, s6, 0, v117, s6
	flat_load_u16 v126, v[0:1] offset:16
.LBB268_32:                             ;   in Loop: Header=BB268_28 Depth=1
	s_or_b32 exec_lo, exec_lo, s21
	v_dual_mov_b32 v128, 0x7c00 :: v_dual_mov_b32 v129, 0x7c00
	s_or_b32 s6, s3, s5
	s_delay_alu instid0(SALU_CYCLE_1) | instskip(NEXT) | instid1(SALU_CYCLE_1)
	s_xor_b32 s6, s6, -1
	s_and_saveexec_b32 s21, s6
	s_cbranch_execz .LBB268_34
; %bb.33:                               ;   in Loop: Header=BB268_28 Depth=1
	v_add_co_u32 v0, s6, v118, v43
	s_delay_alu instid0(VALU_DEP_1)
	v_add_co_ci_u32_e64 v1, s6, 0, v119, s6
	flat_load_u16 v129, v[0:1] offset:16
.LBB268_34:                             ;   in Loop: Header=BB268_28 Depth=1
	s_or_b32 exec_lo, exec_lo, s21
	s_or_b32 s5, s4, s5
	s_delay_alu instid0(SALU_CYCLE_1) | instskip(NEXT) | instid1(SALU_CYCLE_1)
	s_xor_b32 s5, s5, -1
	s_and_saveexec_b32 s6, s5
	s_cbranch_execz .LBB268_36
; %bb.35:                               ;   in Loop: Header=BB268_28 Depth=1
	v_add_co_u32 v0, s5, v120, v43
	s_delay_alu instid0(VALU_DEP_1)
	v_add_co_ci_u32_e64 v1, s5, 0, v121, s5
	flat_load_u16 v128, v[0:1] offset:16
.LBB268_36:                             ;   in Loop: Header=BB268_28 Depth=1
	s_or_b32 exec_lo, exec_lo, s6
	ds_load_2addr_b64 v[4:7], v112 offset1:32
	ds_load_2addr_b64 v[0:3], v112 offset0:64 offset1:96
	ds_load_2addr_b64 v[36:39], v113 offset1:8
	ds_load_2addr_b64 v[32:35], v113 offset0:16 offset1:24
	ds_load_2addr_b64 v[28:31], v113 offset0:32 offset1:40
	;; [unrolled: 1-line block ×7, first 2 shown]
	v_add_nc_u32_e32 v125, 12, v125
	s_waitcnt vmcnt(0) lgkmcnt(10)
	ds_store_b16 v46, v127
	ds_store_b16 v46, v126 offset:512
	ds_store_b16 v47, v129
	ds_store_b16 v47, v128 offset:512
	v_mov_b32_e32 v126, 0x7c00
	s_waitcnt lgkmcnt(0)
	s_barrier
	v_cmp_le_i32_e64 s5, s10, v125
	v_mov_b32_e32 v125, 0x7c00
	buffer_gl0_inv
	s_or_b32 s6, vcc_lo, s5
	s_delay_alu instid0(SALU_CYCLE_1) | instskip(NEXT) | instid1(SALU_CYCLE_1)
	s_xor_b32 s6, s6, -1
	s_and_saveexec_b32 s21, s6
	s_delay_alu instid0(SALU_CYCLE_1)
	s_xor_b32 s21, exec_lo, s21
	s_cbranch_execz .LBB268_38
; %bb.37:                               ;   in Loop: Header=BB268_28 Depth=1
	v_add_co_u32 v126, s6, v114, v43
	s_delay_alu instid0(VALU_DEP_1)
	v_add_co_ci_u32_e64 v127, s6, 0, v115, s6
	flat_load_u16 v126, v[126:127] offset:24
.LBB268_38:                             ;   in Loop: Header=BB268_28 Depth=1
	s_or_b32 exec_lo, exec_lo, s21
	s_or_b32 s6, s2, s5
	s_delay_alu instid0(SALU_CYCLE_1) | instskip(NEXT) | instid1(SALU_CYCLE_1)
	s_xor_b32 s6, s6, -1
	s_and_saveexec_b32 s21, s6
	s_cbranch_execz .LBB268_40
; %bb.39:                               ;   in Loop: Header=BB268_28 Depth=1
	v_add_co_u32 v127, s6, v116, v43
	s_delay_alu instid0(VALU_DEP_1)
	v_add_co_ci_u32_e64 v128, s6, 0, v117, s6
	flat_load_u16 v125, v[127:128] offset:24
.LBB268_40:                             ;   in Loop: Header=BB268_28 Depth=1
	s_or_b32 exec_lo, exec_lo, s21
	v_dual_mov_b32 v127, 0x7c00 :: v_dual_mov_b32 v128, 0x7c00
	s_or_b32 s6, s3, s5
	s_delay_alu instid0(SALU_CYCLE_1) | instskip(NEXT) | instid1(SALU_CYCLE_1)
	s_xor_b32 s6, s6, -1
	s_and_saveexec_b32 s21, s6
	s_cbranch_execz .LBB268_42
; %bb.41:                               ;   in Loop: Header=BB268_28 Depth=1
	v_add_co_u32 v128, s6, v118, v43
	s_delay_alu instid0(VALU_DEP_1)
	v_add_co_ci_u32_e64 v129, s6, 0, v119, s6
	flat_load_u16 v128, v[128:129] offset:24
.LBB268_42:                             ;   in Loop: Header=BB268_28 Depth=1
	s_or_b32 exec_lo, exec_lo, s21
	v_pk_add_f16 v129, v4, v36
	v_pk_max_f16 v124, v124, v124
	v_pk_add_f16 v130, v6, v36
	v_pk_max_f16 v123, v123, v123
	v_pk_add_f16 v131, v0, v36
	v_pk_max_f16 v122, v122, v122
	v_pk_min_f16 v124, v124, v129
	v_pk_add_f16 v36, v2, v36
	v_pk_min_f16 v123, v123, v130
	v_pk_max_f16 v111, v111, v111
	v_pk_min_f16 v122, v122, v131
	v_pk_add_f16 v129, v4, v38
	v_pk_max_f16 v109, v109, v109
	v_pk_add_f16 v130, v6, v38
	v_pk_add_f16 v131, v0, v38
	;; [unrolled: 1-line block ×3, first 2 shown]
	v_pk_max_f16 v106, v106, v106
	v_pk_max_f16 v108, v108, v108
	v_pk_min_f16 v36, v111, v36
	v_pk_min_f16 v109, v109, v129
	v_pk_max_f16 v105, v105, v105
	v_pk_min_f16 v38, v106, v38
	v_pk_add_f16 v106, v4, v32
	v_pk_add_f16 v111, v6, v32
	;; [unrolled: 1-line block ×4, first 2 shown]
	v_pk_max_f16 v102, v102, v102
	v_pk_min_f16 v108, v108, v130
	v_pk_max_f16 v104, v104, v104
	v_pk_max_f16 v103, v103, v103
	v_pk_add_f16 v130, v4, v34
	v_pk_min_f16 v105, v105, v106
	v_pk_min_f16 v32, v102, v32
	v_pk_add_f16 v102, v6, v34
	v_pk_max_f16 v100, v100, v100
	v_pk_add_f16 v106, v0, v34
	v_pk_add_f16 v34, v2, v34
	v_pk_max_f16 v98, v98, v98
	v_pk_min_f16 v104, v104, v111
	v_pk_min_f16 v103, v103, v129
	v_pk_max_f16 v99, v99, v99
	v_pk_add_f16 v111, v4, v28
	v_pk_max_f16 v97, v97, v97
	v_pk_add_f16 v129, v6, v28
	v_pk_min_f16 v100, v100, v102
	v_pk_min_f16 v34, v98, v34
	v_pk_add_f16 v98, v0, v28
	v_pk_max_f16 v95, v95, v95
	v_pk_add_f16 v28, v2, v28
	v_pk_max_f16 v94, v94, v94
	;; [unrolled: 2-line block ×3, first 2 shown]
	v_pk_min_f16 v99, v99, v106
	v_pk_min_f16 v97, v97, v111
	v_pk_add_f16 v106, v6, v30
	v_pk_add_f16 v111, v0, v30
	v_pk_min_f16 v95, v95, v98
	v_pk_min_f16 v28, v94, v28
	;; [unrolled: 1-line block ×3, first 2 shown]
	v_pk_add_f16 v30, v2, v30
	v_pk_max_f16 v90, v90, v90
	v_pk_add_f16 v94, v4, v24
	v_pk_max_f16 v89, v89, v89
	v_pk_add_f16 v98, v6, v24
	v_pk_add_f16 v102, v0, v24
	;; [unrolled: 1-line block ×3, first 2 shown]
	v_pk_max_f16 v86, v86, v86
	v_pk_max_f16 v88, v88, v88
	v_pk_min_f16 v30, v90, v30
	v_pk_min_f16 v89, v89, v94
	v_pk_max_f16 v85, v85, v85
	v_pk_min_f16 v24, v86, v24
	v_pk_add_f16 v86, v4, v26
	v_pk_add_f16 v90, v6, v26
	v_pk_max_f16 v83, v83, v83
	v_pk_add_f16 v94, v0, v26
	v_pk_max_f16 v84, v84, v84
	;; [unrolled: 2-line block ×3, first 2 shown]
	v_pk_min_f16 v88, v88, v98
	v_pk_add_f16 v98, v4, v20
	v_pk_min_f16 v85, v85, v86
	v_pk_min_f16 v83, v83, v90
	v_pk_min_f16 v84, v84, v94
	v_pk_min_f16 v26, v82, v26
	v_pk_add_f16 v82, v6, v20
	v_pk_add_f16 v86, v0, v20
	v_pk_max_f16 v79, v79, v79
	v_pk_add_f16 v20, v2, v20
	v_pk_max_f16 v78, v78, v78
	;; [unrolled: 2-line block ×4, first 2 shown]
	v_pk_max_f16 v81, v81, v81
	v_pk_max_f16 v80, v80, v80
	v_pk_min_f16 v79, v79, v86
	v_pk_min_f16 v20, v78, v20
	;; [unrolled: 1-line block ×4, first 2 shown]
	v_pk_add_f16 v76, v0, v22
	v_pk_add_f16 v22, v2, v22
	v_pk_max_f16 v74, v74, v74
	v_pk_add_f16 v86, v6, v16
	v_pk_max_f16 v71, v71, v71
	;; [unrolled: 2-line block ×3, first 2 shown]
	v_pk_max_f16 v92, v92, v92
	v_pk_max_f16 v91, v91, v91
	v_pk_min_f16 v81, v81, v98
	v_pk_min_f16 v80, v80, v82
	v_pk_add_f16 v82, v4, v16
	v_pk_min_f16 v98, v74, v22
	v_pk_min_f16 v86, v71, v86
	;; [unrolled: 1-line block ×3, first 2 shown]
	v_pk_add_f16 v16, v2, v16
	v_pk_max_f16 v22, v68, v68
	v_pk_add_f16 v68, v4, v18
	v_pk_add_f16 v69, v6, v18
	v_pk_max_f16 v66, v66, v66
	v_pk_add_f16 v71, v0, v18
	v_pk_max_f16 v65, v65, v65
	;; [unrolled: 2-line block ×3, first 2 shown]
	v_pk_max_f16 v107, v107, v107
	v_pk_max_f16 v96, v96, v96
	v_pk_min_f16 v92, v92, v106
	v_pk_min_f16 v91, v91, v111
	;; [unrolled: 1-line block ×6, first 2 shown]
	v_pk_add_f16 v22, v4, v12
	v_pk_max_f16 v63, v63, v63
	v_pk_add_f16 v64, v6, v12
	v_pk_add_f16 v65, v0, v12
	v_pk_max_f16 v61, v61, v61
	v_pk_add_f16 v12, v2, v12
	v_pk_max_f16 v60, v60, v60
	;; [unrolled: 2-line block ×3, first 2 shown]
	v_pk_min_f16 v107, v107, v131
	v_pk_min_f16 v96, v96, v129
	;; [unrolled: 1-line block ×6, first 2 shown]
	v_pk_add_f16 v22, v6, v14
	v_pk_add_f16 v59, v0, v14
	;; [unrolled: 1-line block ×3, first 2 shown]
	v_pk_max_f16 v56, v56, v56
	v_pk_add_f16 v60, v4, v8
	v_pk_add_f16 v61, v6, v8
	v_pk_add_f16 v4, v4, v10
	v_pk_max_f16 v51, v51, v51
	v_pk_add_f16 v6, v6, v10
	v_pk_max_f16 v50, v50, v50
	v_pk_max_f16 v75, v75, v75
	v_pk_min_f16 v135, v56, v14
	v_pk_add_f16 v14, v0, v8
	v_pk_add_f16 v8, v2, v8
	v_pk_max_f16 v52, v52, v52
	v_pk_min_f16 v140, v51, v4
	v_pk_min_f16 v141, v50, v6
	v_pk_add_f16 v2, v2, v10
	v_pk_max_f16 v4, v48, v48
	v_pk_add_f16 v6, v5, v37
	v_pk_max_f16 v87, v87, v87
	v_pk_max_f16 v72, v72, v72
	v_pk_min_f16 v94, v75, v76
	v_pk_max_f16 v67, v67, v67
	v_pk_min_f16 v139, v52, v8
	v_pk_add_f16 v8, v7, v37
	v_pk_min_f16 v142, v4, v2
	v_pk_min_f16 v75, v124, v6
	v_pk_add_f16 v2, v5, v39
	v_pk_add_f16 v6, v1, v39
	v_pk_max_f16 v101, v101, v101
	v_pk_min_f16 v87, v87, v102
	v_pk_min_f16 v82, v72, v82
	;; [unrolled: 1-line block ×3, first 2 shown]
	v_pk_max_f16 v62, v62, v62
	v_pk_add_f16 v0, v0, v10
	v_pk_add_f16 v10, v1, v37
	v_pk_min_f16 v72, v123, v8
	v_pk_add_f16 v8, v3, v39
	v_pk_min_f16 v76, v109, v2
	v_pk_min_f16 v68, v107, v6
	v_pk_add_f16 v2, v7, v33
	v_pk_add_f16 v6, v3, v33
	v_pk_min_f16 v101, v101, v130
	v_pk_min_f16 v130, v62, v64
	v_pk_max_f16 v57, v57, v57
	v_pk_max_f16 v55, v55, v55
	v_pk_min_f16 v71, v122, v10
	v_pk_add_f16 v4, v7, v39
	v_pk_add_f16 v10, v5, v33
	v_pk_min_f16 v66, v38, v8
	v_pk_add_f16 v8, v5, v35
	v_pk_min_f16 v67, v104, v2
	v_pk_min_f16 v64, v32, v6
	v_pk_add_f16 v2, v1, v35
	v_pk_add_f16 v6, v5, v29
	v_pk_max_f16 v58, v58, v58
	v_pk_max_f16 v54, v54, v54
	v_pk_min_f16 v134, v57, v59
	v_pk_min_f16 v136, v55, v60
	;; [unrolled: 1-line block ×4, first 2 shown]
	v_pk_add_f16 v4, v1, v33
	v_pk_add_f16 v10, v7, v35
	v_pk_min_f16 v62, v101, v8
	v_pk_add_f16 v8, v7, v29
	v_pk_min_f16 v63, v99, v2
	v_pk_min_f16 v59, v97, v6
	v_pk_add_f16 v2, v3, v29
	v_pk_add_f16 v6, v7, v31
	v_pk_min_f16 v133, v58, v22
	v_pk_min_f16 v137, v54, v61
	v_pk_max_f16 v22, v53, v53
	v_pk_max_f16 v49, v49, v49
	v_pk_min_f16 v65, v103, v4
	v_pk_min_f16 v55, v100, v10
	v_pk_add_f16 v4, v3, v35
	v_pk_add_f16 v10, v1, v29
	v_pk_min_f16 v57, v96, v8
	v_pk_add_f16 v8, v1, v31
	v_pk_min_f16 v58, v28, v2
	v_pk_min_f16 v54, v92, v6
	v_pk_add_f16 v2, v5, v25
	v_pk_add_f16 v6, v1, v25
	v_pk_min_f16 v138, v22, v14
	v_pk_min_f16 v0, v49, v0
	v_pk_add_f16 v14, v3, v37
	v_pk_min_f16 v61, v34, v4
	v_pk_min_f16 v50, v95, v10
	v_pk_add_f16 v4, v5, v31
	v_pk_add_f16 v10, v3, v31
	v_pk_min_f16 v52, v91, v8
	v_pk_add_f16 v8, v3, v25
	v_pk_min_f16 v53, v89, v2
	v_pk_min_f16 v49, v87, v6
	v_pk_add_f16 v2, v7, v27
	v_pk_add_f16 v6, v3, v27
	v_pk_min_f16 v69, v36, v14
	v_pk_min_f16 v56, v93, v4
	;; [unrolled: 1-line block ×3, first 2 shown]
	v_pk_add_f16 v4, v7, v25
	v_pk_add_f16 v10, v5, v27
	v_pk_min_f16 v39, v24, v8
	v_pk_add_f16 v8, v5, v21
	v_pk_min_f16 v48, v83, v2
	v_pk_min_f16 v36, v26, v6
	v_pk_add_f16 v2, v1, v21
	v_pk_add_f16 v6, v5, v23
	v_pk_min_f16 v51, v88, v4
	v_pk_min_f16 v32, v85, v10
	v_pk_add_f16 v4, v1, v27
	v_pk_add_f16 v10, v7, v21
	v_pk_min_f16 v34, v81, v8
	v_pk_add_f16 v8, v7, v23
	v_pk_min_f16 v35, v79, v2
	v_pk_min_f16 v31, v77, v6
	v_pk_add_f16 v2, v3, v23
	v_pk_add_f16 v6, v7, v17
	v_pk_min_f16 v38, v84, v4
	v_pk_min_f16 v27, v80, v10
	;; [unrolled: 10-line block ×4, first 2 shown]
	v_pk_add_f16 v4, v7, v19
	v_pk_min_f16 v19, v18, v8
	v_pk_add_f16 v8, v5, v15
	v_pk_add_f16 v14, v7, v15
	v_pk_min_f16 v20, v130, v2
	v_pk_min_f16 v16, v12, v6
	v_pk_add_f16 v2, v1, v15
	v_pk_add_f16 v6, v3, v15
	;; [unrolled: 1-line block ×4, first 2 shown]
	v_pk_min_f16 v23, v106, v4
	v_pk_add_f16 v4, v1, v13
	v_pk_min_f16 v13, v132, v8
	v_pk_add_f16 v8, v5, v9
	v_pk_add_f16 v77, v1, v9
	v_pk_min_f16 v12, v135, v6
	v_pk_min_f16 v6, v137, v15
	v_pk_add_f16 v9, v3, v9
	v_pk_add_f16 v5, v5, v11
	;; [unrolled: 1-line block ×5, first 2 shown]
	v_pk_min_f16 v10, v129, v10
	v_pk_min_f16 v18, v131, v4
	;; [unrolled: 1-line block ×11, first 2 shown]
	s_or_b32 s5, s4, s5
	s_delay_alu instid0(SALU_CYCLE_1) | instskip(NEXT) | instid1(SALU_CYCLE_1)
	s_xor_b32 s5, s5, -1
	s_and_saveexec_b32 s6, s5
	s_cbranch_execz .LBB268_27
; %bb.43:                               ;   in Loop: Header=BB268_28 Depth=1
	v_add_co_u32 v77, s5, v120, v43
	s_delay_alu instid0(VALU_DEP_1)
	v_add_co_ci_u32_e64 v78, s5, 0, v121, s5
	flat_load_u16 v127, v[77:78] offset:24
	s_branch .LBB268_27
.LBB268_44:
	s_clause 0x2
	s_load_b64 s[2:3], s[0:1], 0x70
	s_load_b32 s6, s[0:1], 0x50
	s_load_b32 s5, s[0:1], 0x68
	v_add_nc_u32_e32 v4, 0x800, v44
	v_add_nc_u32_e32 v73, s16, v41
	ds_load_2addr_b64 v[8:11], v45 offset0:128 offset1:160
	ds_load_2addr_b64 v[0:3], v45 offset0:192 offset1:224
	v_add_nc_u32_e32 v40, s14, v40
	ds_load_2addr_b64 v[36:39], v4 offset0:128 offset1:136
	ds_load_2addr_b64 v[32:35], v4 offset0:144 offset1:152
	;; [unrolled: 1-line block ×8, first 2 shown]
	v_cmp_gt_i32_e64 s4, s9, v73
	v_cndmask_b32_e64 v70, 0, 1, s24
	s_waitcnt lgkmcnt(0)
	s_mul_i32 s0, s15, s3
	v_mad_i64_i32 v[41:42], null, v73, s6, 0
	v_mad_i64_i32 v[43:44], null, v73, s5, 0
	s_mul_hi_u32 s1, s15, s2
	s_mul_i32 s3, s11, s2
	s_add_i32 s1, s1, s0
	s_mul_i32 s0, s15, s2
	s_delay_alu instid0(VALU_DEP_2) | instskip(SKIP_1) | instid1(VALU_DEP_2)
	v_lshlrev_b64 v[45:46], 1, v[41:42]
	s_add_i32 s1, s1, s3
	v_lshlrev_b64 v[42:43], 1, v[43:44]
	s_lshl_b64 s[0:1], s[0:1], 1
	v_ashrrev_i32_e32 v41, 31, v40
	s_add_u32 s10, s18, s0
	v_add_co_u32 v113, vcc_lo, s12, v45
	v_add_co_ci_u32_e32 v114, vcc_lo, s13, v46, vcc_lo
	s_addc_u32 s11, s19, s1
	v_cmp_gt_i32_e64 s0, s8, v40
	v_add_co_u32 v110, vcc_lo, s10, v42
	v_add_co_ci_u32_e32 v112, vcc_lo, s11, v43, vcc_lo
	s_delay_alu instid0(VALU_DEP_3) | instskip(NEXT) | instid1(SALU_CYCLE_1)
	s_and_b32 s1, s0, s4
	s_and_saveexec_b32 s2, s1
	s_delay_alu instid0(SALU_CYCLE_1)
	s_xor_b32 s1, exec_lo, s2
	s_cbranch_execz .LBB268_49
; %bb.45:
	s_and_not1_b32 vcc_lo, exec_lo, s24
	s_cbranch_vccnz .LBB268_47
; %bb.46:
	v_lshlrev_b64 v[42:43], 1, v[40:41]
	s_delay_alu instid0(VALU_DEP_1) | instskip(NEXT) | instid1(VALU_DEP_2)
	v_add_co_u32 v42, vcc_lo, v113, v42
	v_add_co_ci_u32_e32 v43, vcc_lo, v114, v43, vcc_lo
	flat_load_u16 v42, v[42:43]
	s_waitcnt vmcnt(0) lgkmcnt(0)
	v_mul_f16_e32 v42, s7, v42
	s_branch .LBB268_48
.LBB268_47:
	v_mov_b32_e32 v42, 0
.LBB268_48:
	v_pk_add_f16 v43, v8, v36
	v_pk_max_f16 v44, v124, v124
	v_pk_add_f16 v45, v9, v37
	s_delay_alu instid0(VALU_DEP_2) | instskip(NEXT) | instid1(VALU_DEP_1)
	v_pk_min_f16 v43, v44, v43
	v_pk_min_f16 v45, v43, v45
	v_lshlrev_b64 v[43:44], 1, v[40:41]
	s_delay_alu instid0(VALU_DEP_2) | instskip(NEXT) | instid1(VALU_DEP_1)
	v_lshrrev_b32_e32 v46, 16, v45
	v_min3_f16 v45, v42, v45, v46
	s_delay_alu instid0(VALU_DEP_3) | instskip(NEXT) | instid1(VALU_DEP_4)
	v_add_co_u32 v42, vcc_lo, v110, v43
	v_add_co_ci_u32_e32 v43, vcc_lo, v112, v44, vcc_lo
	global_store_b16 v[42:43], v45, off
.LBB268_49:
	s_or_b32 exec_lo, exec_lo, s1
	v_add_nc_u32_e32 v42, 32, v40
	s_delay_alu instid0(VALU_DEP_1) | instskip(SKIP_1) | instid1(VALU_DEP_2)
	v_cmp_gt_i32_e64 s1, s8, v42
	v_ashrrev_i32_e32 v43, 31, v42
	s_and_b32 s3, s1, s4
	s_delay_alu instid0(SALU_CYCLE_1)
	s_and_saveexec_b32 s2, s3
	s_cbranch_execz .LBB268_54
; %bb.50:
	v_cmp_ne_u32_e32 vcc_lo, 1, v70
	s_cbranch_vccnz .LBB268_52
; %bb.51:
	v_lshlrev_b64 v[44:45], 1, v[42:43]
	s_delay_alu instid0(VALU_DEP_1) | instskip(NEXT) | instid1(VALU_DEP_2)
	v_add_co_u32 v44, vcc_lo, v113, v44
	v_add_co_ci_u32_e32 v45, vcc_lo, v114, v45, vcc_lo
	flat_load_u16 v44, v[44:45]
	s_waitcnt vmcnt(0) lgkmcnt(0)
	v_mul_f16_e32 v44, s7, v44
	s_branch .LBB268_53
.LBB268_52:
	v_mov_b32_e32 v44, 0
.LBB268_53:
	v_pk_add_f16 v45, v10, v36
	v_pk_max_f16 v46, v123, v123
	v_pk_add_f16 v47, v11, v37
	s_delay_alu instid0(VALU_DEP_2) | instskip(NEXT) | instid1(VALU_DEP_1)
	v_pk_min_f16 v45, v46, v45
	v_pk_min_f16 v47, v45, v47
	v_lshlrev_b64 v[45:46], 1, v[42:43]
	s_delay_alu instid0(VALU_DEP_2) | instskip(NEXT) | instid1(VALU_DEP_1)
	v_lshrrev_b32_e32 v115, 16, v47
	v_min3_f16 v47, v44, v47, v115
	s_delay_alu instid0(VALU_DEP_3) | instskip(NEXT) | instid1(VALU_DEP_4)
	v_add_co_u32 v44, vcc_lo, v110, v45
	v_add_co_ci_u32_e32 v45, vcc_lo, v112, v46, vcc_lo
	global_store_b16 v[44:45], v47, off
.LBB268_54:
	s_or_b32 exec_lo, exec_lo, s2
	v_add_nc_u32_e32 v44, 64, v40
	s_delay_alu instid0(VALU_DEP_1) | instskip(SKIP_1) | instid1(VALU_DEP_2)
	v_cmp_gt_i32_e64 s2, s8, v44
	v_ashrrev_i32_e32 v45, 31, v44
	s_and_b32 s14, s2, s4
	s_delay_alu instid0(SALU_CYCLE_1)
	s_and_saveexec_b32 s3, s14
	s_cbranch_execz .LBB268_59
; %bb.55:
	v_cmp_ne_u32_e32 vcc_lo, 1, v70
	s_cbranch_vccnz .LBB268_57
; %bb.56:
	v_lshlrev_b64 v[46:47], 1, v[44:45]
	s_delay_alu instid0(VALU_DEP_1) | instskip(NEXT) | instid1(VALU_DEP_2)
	v_add_co_u32 v46, vcc_lo, v113, v46
	v_add_co_ci_u32_e32 v47, vcc_lo, v114, v47, vcc_lo
	flat_load_u16 v46, v[46:47]
	s_waitcnt vmcnt(0) lgkmcnt(0)
	v_mul_f16_e32 v46, s7, v46
	s_branch .LBB268_58
.LBB268_57:
	v_mov_b32_e32 v46, 0
.LBB268_58:
	v_pk_add_f16 v47, v0, v36
	v_pk_max_f16 v115, v122, v122
	v_pk_add_f16 v116, v1, v37
	s_delay_alu instid0(VALU_DEP_2) | instskip(NEXT) | instid1(VALU_DEP_1)
	v_pk_min_f16 v47, v115, v47
	v_pk_min_f16 v47, v47, v116
	v_lshlrev_b64 v[115:116], 1, v[44:45]
	s_delay_alu instid0(VALU_DEP_2) | instskip(NEXT) | instid1(VALU_DEP_1)
	v_lshrrev_b32_e32 v117, 16, v47
	v_min3_f16 v117, v46, v47, v117
	s_delay_alu instid0(VALU_DEP_3) | instskip(NEXT) | instid1(VALU_DEP_4)
	v_add_co_u32 v46, vcc_lo, v110, v115
	v_add_co_ci_u32_e32 v47, vcc_lo, v112, v116, vcc_lo
	global_store_b16 v[46:47], v117, off
.LBB268_59:
	s_or_b32 exec_lo, exec_lo, s3
	v_add_nc_u32_e32 v46, 0x60, v40
	s_delay_alu instid0(VALU_DEP_1) | instskip(SKIP_1) | instid1(VALU_DEP_2)
	v_cmp_gt_i32_e64 s3, s8, v46
	v_ashrrev_i32_e32 v47, 31, v46
	s_and_b32 s8, s3, s4
	s_delay_alu instid0(SALU_CYCLE_1)
	s_and_saveexec_b32 s4, s8
	s_cbranch_execz .LBB268_64
; %bb.60:
	v_cmp_ne_u32_e32 vcc_lo, 1, v70
	s_cbranch_vccnz .LBB268_62
; %bb.61:
	v_lshlrev_b64 v[115:116], 1, v[46:47]
	s_delay_alu instid0(VALU_DEP_1) | instskip(NEXT) | instid1(VALU_DEP_2)
	v_add_co_u32 v113, vcc_lo, v113, v115
	v_add_co_ci_u32_e32 v114, vcc_lo, v114, v116, vcc_lo
	flat_load_u16 v113, v[113:114]
	s_waitcnt vmcnt(0) lgkmcnt(0)
	v_mul_f16_e32 v113, s7, v113
	s_branch .LBB268_63
.LBB268_62:
	v_mov_b32_e32 v113, 0
.LBB268_63:
	v_pk_add_f16 v36, v2, v36
	v_pk_max_f16 v111, v111, v111
	v_pk_add_f16 v37, v3, v37
	s_delay_alu instid0(VALU_DEP_2) | instskip(NEXT) | instid1(VALU_DEP_1)
	v_pk_min_f16 v36, v111, v36
	v_pk_min_f16 v111, v36, v37
	v_lshlrev_b64 v[36:37], 1, v[46:47]
	s_delay_alu instid0(VALU_DEP_2) | instskip(NEXT) | instid1(VALU_DEP_2)
	v_lshrrev_b32_e32 v114, 16, v111
	v_add_co_u32 v36, vcc_lo, v110, v36
	s_delay_alu instid0(VALU_DEP_3) | instskip(NEXT) | instid1(VALU_DEP_3)
	v_add_co_ci_u32_e32 v37, vcc_lo, v112, v37, vcc_lo
	v_min3_f16 v111, v113, v111, v114
	global_store_b16 v[36:37], v111, off
.LBB268_64:
	s_or_b32 exec_lo, exec_lo, s4
	v_add_nc_u32_e32 v112, 8, v73
	s_delay_alu instid0(VALU_DEP_1) | instskip(SKIP_2) | instid1(VALU_DEP_3)
	v_mad_i64_i32 v[36:37], null, v112, s6, 0
	v_mad_i64_i32 v[110:111], null, v112, s5, 0
	v_cmp_gt_i32_e64 s4, s9, v112
	v_lshlrev_b64 v[36:37], 1, v[36:37]
	s_delay_alu instid0(VALU_DEP_2) | instskip(NEXT) | instid1(VALU_DEP_3)
	s_and_b32 s14, s0, s4
	v_lshlrev_b64 v[112:113], 1, v[110:111]
	s_delay_alu instid0(VALU_DEP_2) | instskip(NEXT) | instid1(VALU_DEP_3)
	v_add_co_u32 v110, vcc_lo, s12, v36
	v_add_co_ci_u32_e32 v111, vcc_lo, s13, v37, vcc_lo
	s_delay_alu instid0(VALU_DEP_3) | instskip(NEXT) | instid1(VALU_DEP_4)
	v_add_co_u32 v36, vcc_lo, s10, v112
	v_add_co_ci_u32_e32 v37, vcc_lo, s11, v113, vcc_lo
	s_and_saveexec_b32 s8, s14
	s_cbranch_execnz .LBB268_68
; %bb.65:
	s_or_b32 exec_lo, exec_lo, s8
	s_and_b32 s14, s1, s4
	s_delay_alu instid0(SALU_CYCLE_1)
	s_and_saveexec_b32 s8, s14
	s_cbranch_execnz .LBB268_72
.LBB268_66:
	s_or_b32 exec_lo, exec_lo, s8
	s_and_b32 s14, s2, s4
	s_delay_alu instid0(SALU_CYCLE_1)
	s_and_saveexec_b32 s8, s14
	s_cbranch_execnz .LBB268_76
.LBB268_67:
	s_or_b32 exec_lo, exec_lo, s8
	s_and_b32 s8, s3, s4
	s_delay_alu instid0(SALU_CYCLE_1)
	s_and_saveexec_b32 s4, s8
	s_cbranch_execnz .LBB268_80
	s_branch .LBB268_84
.LBB268_68:
	v_cmp_ne_u32_e32 vcc_lo, 1, v70
	s_cbranch_vccnz .LBB268_70
; %bb.69:
	v_lshlrev_b64 v[112:113], 1, v[40:41]
	s_delay_alu instid0(VALU_DEP_1) | instskip(NEXT) | instid1(VALU_DEP_2)
	v_add_co_u32 v112, vcc_lo, v110, v112
	v_add_co_ci_u32_e32 v113, vcc_lo, v111, v113, vcc_lo
	flat_load_u16 v112, v[112:113]
	s_waitcnt vmcnt(0) lgkmcnt(0)
	v_mul_f16_e32 v112, s7, v112
	s_branch .LBB268_71
.LBB268_70:
	v_mov_b32_e32 v112, 0
.LBB268_71:
	v_pk_add_f16 v113, v8, v38
	v_pk_max_f16 v109, v109, v109
	v_pk_add_f16 v114, v9, v39
	s_delay_alu instid0(VALU_DEP_2) | instskip(NEXT) | instid1(VALU_DEP_1)
	v_pk_min_f16 v109, v109, v113
	v_pk_min_f16 v109, v109, v114
	v_lshlrev_b64 v[113:114], 1, v[40:41]
	s_delay_alu instid0(VALU_DEP_2) | instskip(NEXT) | instid1(VALU_DEP_1)
	v_lshrrev_b32_e32 v115, 16, v109
	v_min3_f16 v109, v112, v109, v115
	s_delay_alu instid0(VALU_DEP_3) | instskip(NEXT) | instid1(VALU_DEP_4)
	v_add_co_u32 v112, vcc_lo, v36, v113
	v_add_co_ci_u32_e32 v113, vcc_lo, v37, v114, vcc_lo
	global_store_b16 v[112:113], v109, off
	s_or_b32 exec_lo, exec_lo, s8
	s_and_b32 s14, s1, s4
	s_delay_alu instid0(SALU_CYCLE_1)
	s_and_saveexec_b32 s8, s14
	s_cbranch_execz .LBB268_66
.LBB268_72:
	v_cmp_ne_u32_e32 vcc_lo, 1, v70
	s_cbranch_vccnz .LBB268_74
; %bb.73:
	v_lshlrev_b64 v[112:113], 1, v[42:43]
	s_delay_alu instid0(VALU_DEP_1) | instskip(NEXT) | instid1(VALU_DEP_2)
	v_add_co_u32 v112, vcc_lo, v110, v112
	v_add_co_ci_u32_e32 v113, vcc_lo, v111, v113, vcc_lo
	flat_load_u16 v109, v[112:113]
	s_waitcnt vmcnt(0) lgkmcnt(0)
	v_mul_f16_e32 v109, s7, v109
	s_branch .LBB268_75
.LBB268_74:
	v_mov_b32_e32 v109, 0
.LBB268_75:
	v_pk_add_f16 v112, v10, v38
	v_pk_max_f16 v108, v108, v108
	v_pk_add_f16 v113, v11, v39
	s_delay_alu instid0(VALU_DEP_2) | instskip(NEXT) | instid1(VALU_DEP_1)
	v_pk_min_f16 v108, v108, v112
	v_pk_min_f16 v108, v108, v113
	v_lshlrev_b64 v[112:113], 1, v[42:43]
	s_delay_alu instid0(VALU_DEP_2) | instskip(NEXT) | instid1(VALU_DEP_1)
	v_lshrrev_b32_e32 v114, 16, v108
	v_min3_f16 v114, v109, v108, v114
	s_delay_alu instid0(VALU_DEP_3) | instskip(NEXT) | instid1(VALU_DEP_4)
	v_add_co_u32 v108, vcc_lo, v36, v112
	v_add_co_ci_u32_e32 v109, vcc_lo, v37, v113, vcc_lo
	global_store_b16 v[108:109], v114, off
	s_or_b32 exec_lo, exec_lo, s8
	s_and_b32 s14, s2, s4
	s_delay_alu instid0(SALU_CYCLE_1)
	s_and_saveexec_b32 s8, s14
	s_cbranch_execz .LBB268_67
.LBB268_76:
	v_cmp_ne_u32_e32 vcc_lo, 1, v70
	s_cbranch_vccnz .LBB268_78
; %bb.77:
	v_lshlrev_b64 v[108:109], 1, v[44:45]
	s_delay_alu instid0(VALU_DEP_1) | instskip(NEXT) | instid1(VALU_DEP_2)
	v_add_co_u32 v108, vcc_lo, v110, v108
	v_add_co_ci_u32_e32 v109, vcc_lo, v111, v109, vcc_lo
	flat_load_u16 v108, v[108:109]
	s_waitcnt vmcnt(0) lgkmcnt(0)
	v_mul_f16_e32 v108, s7, v108
	s_branch .LBB268_79
.LBB268_78:
	v_mov_b32_e32 v108, 0
.LBB268_79:
	v_pk_add_f16 v109, v0, v38
	v_pk_max_f16 v107, v107, v107
	v_pk_add_f16 v112, v1, v39
	s_delay_alu instid0(VALU_DEP_2) | instskip(NEXT) | instid1(VALU_DEP_1)
	v_pk_min_f16 v107, v107, v109
	v_pk_min_f16 v107, v107, v112
	v_lshlrev_b64 v[112:113], 1, v[44:45]
	s_delay_alu instid0(VALU_DEP_2) | instskip(NEXT) | instid1(VALU_DEP_1)
	v_lshrrev_b32_e32 v109, 16, v107
	v_min3_f16 v109, v108, v107, v109
	s_delay_alu instid0(VALU_DEP_3) | instskip(NEXT) | instid1(VALU_DEP_4)
	v_add_co_u32 v107, vcc_lo, v36, v112
	v_add_co_ci_u32_e32 v108, vcc_lo, v37, v113, vcc_lo
	global_store_b16 v[107:108], v109, off
	s_or_b32 exec_lo, exec_lo, s8
	s_and_b32 s8, s3, s4
	s_delay_alu instid0(SALU_CYCLE_1)
	s_and_saveexec_b32 s4, s8
	s_cbranch_execz .LBB268_84
.LBB268_80:
	v_cmp_ne_u32_e32 vcc_lo, 1, v70
	s_cbranch_vccnz .LBB268_82
; %bb.81:
	v_lshlrev_b64 v[107:108], 1, v[46:47]
	s_delay_alu instid0(VALU_DEP_1) | instskip(NEXT) | instid1(VALU_DEP_2)
	v_add_co_u32 v107, vcc_lo, v110, v107
	v_add_co_ci_u32_e32 v108, vcc_lo, v111, v108, vcc_lo
	flat_load_u16 v107, v[107:108]
	s_waitcnt vmcnt(0) lgkmcnt(0)
	v_mul_f16_e32 v107, s7, v107
	s_branch .LBB268_83
.LBB268_82:
	v_mov_b32_e32 v107, 0
.LBB268_83:
	v_pk_add_f16 v38, v2, v38
	v_pk_max_f16 v106, v106, v106
	v_pk_add_f16 v39, v3, v39
	s_delay_alu instid0(VALU_DEP_2) | instskip(NEXT) | instid1(VALU_DEP_1)
	v_pk_min_f16 v38, v106, v38
	v_pk_min_f16 v106, v38, v39
	v_lshlrev_b64 v[38:39], 1, v[46:47]
	s_delay_alu instid0(VALU_DEP_2) | instskip(NEXT) | instid1(VALU_DEP_2)
	v_lshrrev_b32_e32 v108, 16, v106
	v_add_co_u32 v36, vcc_lo, v36, v38
	s_delay_alu instid0(VALU_DEP_3) | instskip(NEXT) | instid1(VALU_DEP_3)
	v_add_co_ci_u32_e32 v37, vcc_lo, v37, v39, vcc_lo
	v_min3_f16 v106, v107, v106, v108
	global_store_b16 v[36:37], v106, off
.LBB268_84:
	s_or_b32 exec_lo, exec_lo, s4
	v_add_nc_u32_e32 v106, 16, v73
	s_delay_alu instid0(VALU_DEP_1) | instskip(SKIP_2) | instid1(VALU_DEP_3)
	v_mad_i64_i32 v[36:37], null, v106, s6, 0
	v_mad_i64_i32 v[38:39], null, v106, s5, 0
	v_cmp_gt_i32_e64 s4, s9, v106
	v_lshlrev_b64 v[36:37], 1, v[36:37]
	s_delay_alu instid0(VALU_DEP_2) | instskip(NEXT) | instid1(VALU_DEP_3)
	s_and_b32 s14, s0, s4
	v_lshlrev_b64 v[106:107], 1, v[38:39]
	s_delay_alu instid0(VALU_DEP_2) | instskip(NEXT) | instid1(VALU_DEP_3)
	v_add_co_u32 v38, vcc_lo, s12, v36
	v_add_co_ci_u32_e32 v39, vcc_lo, s13, v37, vcc_lo
	s_delay_alu instid0(VALU_DEP_3) | instskip(NEXT) | instid1(VALU_DEP_4)
	v_add_co_u32 v36, vcc_lo, s10, v106
	v_add_co_ci_u32_e32 v37, vcc_lo, s11, v107, vcc_lo
	s_and_saveexec_b32 s8, s14
	s_cbranch_execnz .LBB268_88
; %bb.85:
	s_or_b32 exec_lo, exec_lo, s8
	s_and_b32 s14, s1, s4
	s_delay_alu instid0(SALU_CYCLE_1)
	s_and_saveexec_b32 s8, s14
	s_cbranch_execnz .LBB268_92
.LBB268_86:
	s_or_b32 exec_lo, exec_lo, s8
	s_and_b32 s14, s2, s4
	s_delay_alu instid0(SALU_CYCLE_1)
	s_and_saveexec_b32 s8, s14
	s_cbranch_execnz .LBB268_96
.LBB268_87:
	s_or_b32 exec_lo, exec_lo, s8
	s_and_b32 s8, s3, s4
	s_delay_alu instid0(SALU_CYCLE_1)
	s_and_saveexec_b32 s4, s8
	s_cbranch_execnz .LBB268_100
	s_branch .LBB268_104
.LBB268_88:
	v_cmp_ne_u32_e32 vcc_lo, 1, v70
	s_cbranch_vccnz .LBB268_90
; %bb.89:
	v_lshlrev_b64 v[106:107], 1, v[40:41]
	s_delay_alu instid0(VALU_DEP_1) | instskip(NEXT) | instid1(VALU_DEP_2)
	v_add_co_u32 v106, vcc_lo, v38, v106
	v_add_co_ci_u32_e32 v107, vcc_lo, v39, v107, vcc_lo
	flat_load_u16 v106, v[106:107]
	s_waitcnt vmcnt(0) lgkmcnt(0)
	v_mul_f16_e32 v106, s7, v106
	s_branch .LBB268_91
.LBB268_90:
	v_mov_b32_e32 v106, 0
.LBB268_91:
	v_pk_add_f16 v107, v8, v32
	v_pk_max_f16 v105, v105, v105
	v_pk_add_f16 v108, v9, v33
	s_delay_alu instid0(VALU_DEP_2) | instskip(NEXT) | instid1(VALU_DEP_1)
	v_pk_min_f16 v105, v105, v107
	v_pk_min_f16 v105, v105, v108
	v_lshlrev_b64 v[107:108], 1, v[40:41]
	s_delay_alu instid0(VALU_DEP_2) | instskip(NEXT) | instid1(VALU_DEP_1)
	v_lshrrev_b32_e32 v109, 16, v105
	v_min3_f16 v109, v106, v105, v109
	s_delay_alu instid0(VALU_DEP_3) | instskip(NEXT) | instid1(VALU_DEP_4)
	v_add_co_u32 v105, vcc_lo, v36, v107
	v_add_co_ci_u32_e32 v106, vcc_lo, v37, v108, vcc_lo
	global_store_b16 v[105:106], v109, off
	s_or_b32 exec_lo, exec_lo, s8
	s_and_b32 s14, s1, s4
	s_delay_alu instid0(SALU_CYCLE_1)
	s_and_saveexec_b32 s8, s14
	s_cbranch_execz .LBB268_86
.LBB268_92:
	v_cmp_ne_u32_e32 vcc_lo, 1, v70
	s_cbranch_vccnz .LBB268_94
; %bb.93:
	v_lshlrev_b64 v[105:106], 1, v[42:43]
	s_delay_alu instid0(VALU_DEP_1) | instskip(NEXT) | instid1(VALU_DEP_2)
	v_add_co_u32 v105, vcc_lo, v38, v105
	v_add_co_ci_u32_e32 v106, vcc_lo, v39, v106, vcc_lo
	flat_load_u16 v105, v[105:106]
	s_waitcnt vmcnt(0) lgkmcnt(0)
	v_mul_f16_e32 v105, s7, v105
	s_branch .LBB268_95
.LBB268_94:
	v_mov_b32_e32 v105, 0
.LBB268_95:
	v_pk_add_f16 v106, v10, v32
	v_pk_max_f16 v104, v104, v104
	v_pk_add_f16 v107, v11, v33
	s_delay_alu instid0(VALU_DEP_2) | instskip(NEXT) | instid1(VALU_DEP_1)
	v_pk_min_f16 v104, v104, v106
	v_pk_min_f16 v104, v104, v107
	v_lshlrev_b64 v[106:107], 1, v[42:43]
	s_delay_alu instid0(VALU_DEP_2) | instskip(NEXT) | instid1(VALU_DEP_1)
	v_lshrrev_b32_e32 v108, 16, v104
	v_min3_f16 v108, v105, v104, v108
	s_delay_alu instid0(VALU_DEP_3) | instskip(NEXT) | instid1(VALU_DEP_4)
	v_add_co_u32 v104, vcc_lo, v36, v106
	v_add_co_ci_u32_e32 v105, vcc_lo, v37, v107, vcc_lo
	global_store_b16 v[104:105], v108, off
	s_or_b32 exec_lo, exec_lo, s8
	s_and_b32 s14, s2, s4
	s_delay_alu instid0(SALU_CYCLE_1)
	s_and_saveexec_b32 s8, s14
	s_cbranch_execz .LBB268_87
.LBB268_96:
	v_cmp_ne_u32_e32 vcc_lo, 1, v70
	s_cbranch_vccnz .LBB268_98
; %bb.97:
	v_lshlrev_b64 v[104:105], 1, v[44:45]
	s_delay_alu instid0(VALU_DEP_1) | instskip(NEXT) | instid1(VALU_DEP_2)
	v_add_co_u32 v104, vcc_lo, v38, v104
	v_add_co_ci_u32_e32 v105, vcc_lo, v39, v105, vcc_lo
	flat_load_u16 v104, v[104:105]
	s_waitcnt vmcnt(0) lgkmcnt(0)
	v_mul_f16_e32 v104, s7, v104
	s_branch .LBB268_99
.LBB268_98:
	v_mov_b32_e32 v104, 0
.LBB268_99:
	v_pk_add_f16 v105, v0, v32
	v_pk_max_f16 v103, v103, v103
	v_pk_add_f16 v106, v1, v33
	s_delay_alu instid0(VALU_DEP_2) | instskip(NEXT) | instid1(VALU_DEP_1)
	v_pk_min_f16 v103, v103, v105
	v_pk_min_f16 v103, v103, v106
	v_lshlrev_b64 v[105:106], 1, v[44:45]
	s_delay_alu instid0(VALU_DEP_2) | instskip(NEXT) | instid1(VALU_DEP_1)
	v_lshrrev_b32_e32 v107, 16, v103
	v_min3_f16 v107, v104, v103, v107
	s_delay_alu instid0(VALU_DEP_3) | instskip(NEXT) | instid1(VALU_DEP_4)
	v_add_co_u32 v103, vcc_lo, v36, v105
	v_add_co_ci_u32_e32 v104, vcc_lo, v37, v106, vcc_lo
	global_store_b16 v[103:104], v107, off
	s_or_b32 exec_lo, exec_lo, s8
	s_and_b32 s8, s3, s4
	s_delay_alu instid0(SALU_CYCLE_1)
	s_and_saveexec_b32 s4, s8
	s_cbranch_execz .LBB268_104
.LBB268_100:
	v_cmp_ne_u32_e32 vcc_lo, 1, v70
	s_cbranch_vccnz .LBB268_102
; %bb.101:
	v_lshlrev_b64 v[103:104], 1, v[46:47]
	s_delay_alu instid0(VALU_DEP_1) | instskip(NEXT) | instid1(VALU_DEP_2)
	v_add_co_u32 v38, vcc_lo, v38, v103
	v_add_co_ci_u32_e32 v39, vcc_lo, v39, v104, vcc_lo
	flat_load_u16 v38, v[38:39]
	s_waitcnt vmcnt(0) lgkmcnt(0)
	v_mul_f16_e32 v38, s7, v38
	s_branch .LBB268_103
.LBB268_102:
	v_mov_b32_e32 v38, 0
.LBB268_103:
	v_pk_add_f16 v32, v2, v32
	v_pk_max_f16 v39, v102, v102
	v_pk_add_f16 v33, v3, v33
	s_delay_alu instid0(VALU_DEP_2) | instskip(NEXT) | instid1(VALU_DEP_1)
	v_pk_min_f16 v32, v39, v32
	v_pk_min_f16 v39, v32, v33
	v_lshlrev_b64 v[32:33], 1, v[46:47]
	s_delay_alu instid0(VALU_DEP_2) | instskip(NEXT) | instid1(VALU_DEP_2)
	v_lshrrev_b32_e32 v102, 16, v39
	v_add_co_u32 v32, vcc_lo, v36, v32
	s_delay_alu instid0(VALU_DEP_3) | instskip(NEXT) | instid1(VALU_DEP_3)
	v_add_co_ci_u32_e32 v33, vcc_lo, v37, v33, vcc_lo
	v_min3_f16 v38, v38, v39, v102
	global_store_b16 v[32:33], v38, off
.LBB268_104:
	s_or_b32 exec_lo, exec_lo, s4
	v_add_nc_u32_e32 v38, 24, v73
	s_delay_alu instid0(VALU_DEP_1) | instskip(SKIP_2) | instid1(VALU_DEP_3)
	v_mad_i64_i32 v[32:33], null, v38, s6, 0
	v_mad_i64_i32 v[36:37], null, v38, s5, 0
	v_cmp_gt_i32_e64 s4, s9, v38
	v_lshlrev_b64 v[32:33], 1, v[32:33]
	s_delay_alu instid0(VALU_DEP_2) | instskip(NEXT) | instid1(VALU_DEP_3)
	s_and_b32 s14, s0, s4
	v_lshlrev_b64 v[38:39], 1, v[36:37]
	s_delay_alu instid0(VALU_DEP_2) | instskip(NEXT) | instid1(VALU_DEP_3)
	v_add_co_u32 v36, vcc_lo, s12, v32
	v_add_co_ci_u32_e32 v37, vcc_lo, s13, v33, vcc_lo
	s_delay_alu instid0(VALU_DEP_3) | instskip(NEXT) | instid1(VALU_DEP_4)
	v_add_co_u32 v32, vcc_lo, s10, v38
	v_add_co_ci_u32_e32 v33, vcc_lo, s11, v39, vcc_lo
	s_and_saveexec_b32 s8, s14
	s_cbranch_execnz .LBB268_108
; %bb.105:
	s_or_b32 exec_lo, exec_lo, s8
	s_and_b32 s14, s1, s4
	s_delay_alu instid0(SALU_CYCLE_1)
	s_and_saveexec_b32 s8, s14
	s_cbranch_execnz .LBB268_112
.LBB268_106:
	s_or_b32 exec_lo, exec_lo, s8
	s_and_b32 s14, s2, s4
	s_delay_alu instid0(SALU_CYCLE_1)
	s_and_saveexec_b32 s8, s14
	s_cbranch_execnz .LBB268_116
.LBB268_107:
	s_or_b32 exec_lo, exec_lo, s8
	s_and_b32 s8, s3, s4
	s_delay_alu instid0(SALU_CYCLE_1)
	s_and_saveexec_b32 s4, s8
	s_cbranch_execnz .LBB268_120
	s_branch .LBB268_124
.LBB268_108:
	v_cmp_ne_u32_e32 vcc_lo, 1, v70
	s_cbranch_vccnz .LBB268_110
; %bb.109:
	v_lshlrev_b64 v[38:39], 1, v[40:41]
	s_delay_alu instid0(VALU_DEP_1) | instskip(NEXT) | instid1(VALU_DEP_2)
	v_add_co_u32 v38, vcc_lo, v36, v38
	v_add_co_ci_u32_e32 v39, vcc_lo, v37, v39, vcc_lo
	flat_load_u16 v38, v[38:39]
	s_waitcnt vmcnt(0) lgkmcnt(0)
	v_mul_f16_e32 v38, s7, v38
	s_branch .LBB268_111
.LBB268_110:
	v_mov_b32_e32 v38, 0
.LBB268_111:
	v_pk_add_f16 v39, v8, v34
	v_pk_max_f16 v101, v101, v101
	v_pk_add_f16 v102, v9, v35
	s_delay_alu instid0(VALU_DEP_2) | instskip(NEXT) | instid1(VALU_DEP_1)
	v_pk_min_f16 v39, v101, v39
	v_pk_min_f16 v39, v39, v102
	v_lshlrev_b64 v[101:102], 1, v[40:41]
	s_delay_alu instid0(VALU_DEP_2) | instskip(NEXT) | instid1(VALU_DEP_1)
	v_lshrrev_b32_e32 v103, 16, v39
	v_min3_f16 v103, v38, v39, v103
	s_delay_alu instid0(VALU_DEP_3) | instskip(NEXT) | instid1(VALU_DEP_4)
	v_add_co_u32 v38, vcc_lo, v32, v101
	v_add_co_ci_u32_e32 v39, vcc_lo, v33, v102, vcc_lo
	global_store_b16 v[38:39], v103, off
	s_or_b32 exec_lo, exec_lo, s8
	s_and_b32 s14, s1, s4
	s_delay_alu instid0(SALU_CYCLE_1)
	s_and_saveexec_b32 s8, s14
	s_cbranch_execz .LBB268_106
.LBB268_112:
	v_cmp_ne_u32_e32 vcc_lo, 1, v70
	s_cbranch_vccnz .LBB268_114
; %bb.113:
	v_lshlrev_b64 v[38:39], 1, v[42:43]
	s_delay_alu instid0(VALU_DEP_1) | instskip(NEXT) | instid1(VALU_DEP_2)
	v_add_co_u32 v38, vcc_lo, v36, v38
	v_add_co_ci_u32_e32 v39, vcc_lo, v37, v39, vcc_lo
	flat_load_u16 v38, v[38:39]
	s_waitcnt vmcnt(0) lgkmcnt(0)
	v_mul_f16_e32 v38, s7, v38
	s_branch .LBB268_115
.LBB268_114:
	v_mov_b32_e32 v38, 0
.LBB268_115:
	v_pk_add_f16 v39, v10, v34
	v_pk_max_f16 v100, v100, v100
	v_pk_add_f16 v101, v11, v35
	s_delay_alu instid0(VALU_DEP_2) | instskip(NEXT) | instid1(VALU_DEP_1)
	v_pk_min_f16 v39, v100, v39
	v_pk_min_f16 v39, v39, v101
	v_lshlrev_b64 v[100:101], 1, v[42:43]
	s_delay_alu instid0(VALU_DEP_2) | instskip(NEXT) | instid1(VALU_DEP_1)
	v_lshrrev_b32_e32 v102, 16, v39
	v_min3_f16 v102, v38, v39, v102
	s_delay_alu instid0(VALU_DEP_3) | instskip(NEXT) | instid1(VALU_DEP_4)
	v_add_co_u32 v38, vcc_lo, v32, v100
	v_add_co_ci_u32_e32 v39, vcc_lo, v33, v101, vcc_lo
	global_store_b16 v[38:39], v102, off
	s_or_b32 exec_lo, exec_lo, s8
	s_and_b32 s14, s2, s4
	s_delay_alu instid0(SALU_CYCLE_1)
	s_and_saveexec_b32 s8, s14
	s_cbranch_execz .LBB268_107
.LBB268_116:
	v_cmp_ne_u32_e32 vcc_lo, 1, v70
	s_cbranch_vccnz .LBB268_118
; %bb.117:
	v_lshlrev_b64 v[38:39], 1, v[44:45]
	s_delay_alu instid0(VALU_DEP_1) | instskip(NEXT) | instid1(VALU_DEP_2)
	v_add_co_u32 v38, vcc_lo, v36, v38
	v_add_co_ci_u32_e32 v39, vcc_lo, v37, v39, vcc_lo
	flat_load_u16 v38, v[38:39]
	s_waitcnt vmcnt(0) lgkmcnt(0)
	v_mul_f16_e32 v38, s7, v38
	s_branch .LBB268_119
.LBB268_118:
	v_mov_b32_e32 v38, 0
.LBB268_119:
	v_pk_add_f16 v39, v0, v34
	v_pk_max_f16 v99, v99, v99
	v_pk_add_f16 v100, v1, v35
	s_delay_alu instid0(VALU_DEP_2) | instskip(NEXT) | instid1(VALU_DEP_1)
	v_pk_min_f16 v39, v99, v39
	v_pk_min_f16 v39, v39, v100
	v_lshlrev_b64 v[99:100], 1, v[44:45]
	s_delay_alu instid0(VALU_DEP_2) | instskip(NEXT) | instid1(VALU_DEP_1)
	v_lshrrev_b32_e32 v101, 16, v39
	v_min3_f16 v101, v38, v39, v101
	s_delay_alu instid0(VALU_DEP_3) | instskip(NEXT) | instid1(VALU_DEP_4)
	v_add_co_u32 v38, vcc_lo, v32, v99
	v_add_co_ci_u32_e32 v39, vcc_lo, v33, v100, vcc_lo
	global_store_b16 v[38:39], v101, off
	s_or_b32 exec_lo, exec_lo, s8
	s_and_b32 s8, s3, s4
	s_delay_alu instid0(SALU_CYCLE_1)
	s_and_saveexec_b32 s4, s8
	s_cbranch_execz .LBB268_124
.LBB268_120:
	v_cmp_ne_u32_e32 vcc_lo, 1, v70
	s_cbranch_vccnz .LBB268_122
; %bb.121:
	v_lshlrev_b64 v[38:39], 1, v[46:47]
	s_delay_alu instid0(VALU_DEP_1) | instskip(NEXT) | instid1(VALU_DEP_2)
	v_add_co_u32 v36, vcc_lo, v36, v38
	v_add_co_ci_u32_e32 v37, vcc_lo, v37, v39, vcc_lo
	flat_load_u16 v36, v[36:37]
	s_waitcnt vmcnt(0) lgkmcnt(0)
	v_mul_f16_e32 v36, s7, v36
	s_branch .LBB268_123
.LBB268_122:
	v_mov_b32_e32 v36, 0
.LBB268_123:
	v_pk_add_f16 v34, v2, v34
	v_pk_max_f16 v37, v98, v98
	v_pk_add_f16 v35, v3, v35
	s_delay_alu instid0(VALU_DEP_2) | instskip(NEXT) | instid1(VALU_DEP_1)
	v_pk_min_f16 v34, v37, v34
	v_pk_min_f16 v37, v34, v35
	v_lshlrev_b64 v[34:35], 1, v[46:47]
	s_delay_alu instid0(VALU_DEP_2) | instskip(NEXT) | instid1(VALU_DEP_2)
	v_lshrrev_b32_e32 v38, 16, v37
	v_add_co_u32 v32, vcc_lo, v32, v34
	s_delay_alu instid0(VALU_DEP_3) | instskip(NEXT) | instid1(VALU_DEP_3)
	v_add_co_ci_u32_e32 v33, vcc_lo, v33, v35, vcc_lo
	v_min3_f16 v36, v36, v37, v38
	global_store_b16 v[32:33], v36, off
.LBB268_124:
	s_or_b32 exec_lo, exec_lo, s4
	v_add_nc_u32_e32 v36, 32, v73
	s_delay_alu instid0(VALU_DEP_1) | instskip(SKIP_2) | instid1(VALU_DEP_3)
	v_mad_i64_i32 v[32:33], null, v36, s6, 0
	v_mad_i64_i32 v[34:35], null, v36, s5, 0
	v_cmp_gt_i32_e64 s4, s9, v36
	v_lshlrev_b64 v[32:33], 1, v[32:33]
	s_delay_alu instid0(VALU_DEP_2) | instskip(NEXT) | instid1(VALU_DEP_3)
	s_and_b32 s14, s0, s4
	v_lshlrev_b64 v[36:37], 1, v[34:35]
	s_delay_alu instid0(VALU_DEP_2) | instskip(NEXT) | instid1(VALU_DEP_3)
	v_add_co_u32 v34, vcc_lo, s12, v32
	v_add_co_ci_u32_e32 v35, vcc_lo, s13, v33, vcc_lo
	s_delay_alu instid0(VALU_DEP_3) | instskip(NEXT) | instid1(VALU_DEP_4)
	v_add_co_u32 v32, vcc_lo, s10, v36
	v_add_co_ci_u32_e32 v33, vcc_lo, s11, v37, vcc_lo
	s_and_saveexec_b32 s8, s14
	s_cbranch_execnz .LBB268_128
; %bb.125:
	s_or_b32 exec_lo, exec_lo, s8
	s_and_b32 s14, s1, s4
	s_delay_alu instid0(SALU_CYCLE_1)
	s_and_saveexec_b32 s8, s14
	s_cbranch_execnz .LBB268_132
.LBB268_126:
	s_or_b32 exec_lo, exec_lo, s8
	s_and_b32 s14, s2, s4
	s_delay_alu instid0(SALU_CYCLE_1)
	s_and_saveexec_b32 s8, s14
	s_cbranch_execnz .LBB268_136
.LBB268_127:
	s_or_b32 exec_lo, exec_lo, s8
	s_and_b32 s8, s3, s4
	s_delay_alu instid0(SALU_CYCLE_1)
	s_and_saveexec_b32 s4, s8
	s_cbranch_execnz .LBB268_140
	s_branch .LBB268_144
.LBB268_128:
	v_cmp_ne_u32_e32 vcc_lo, 1, v70
	s_cbranch_vccnz .LBB268_130
; %bb.129:
	v_lshlrev_b64 v[36:37], 1, v[40:41]
	s_delay_alu instid0(VALU_DEP_1) | instskip(NEXT) | instid1(VALU_DEP_2)
	v_add_co_u32 v36, vcc_lo, v34, v36
	v_add_co_ci_u32_e32 v37, vcc_lo, v35, v37, vcc_lo
	flat_load_u16 v36, v[36:37]
	s_waitcnt vmcnt(0) lgkmcnt(0)
	v_mul_f16_e32 v36, s7, v36
	s_branch .LBB268_131
.LBB268_130:
	v_mov_b32_e32 v36, 0
.LBB268_131:
	v_pk_add_f16 v37, v8, v28
	v_pk_max_f16 v38, v97, v97
	v_pk_add_f16 v39, v9, v29
	s_delay_alu instid0(VALU_DEP_2) | instskip(NEXT) | instid1(VALU_DEP_1)
	v_pk_min_f16 v37, v38, v37
	v_pk_min_f16 v39, v37, v39
	v_lshlrev_b64 v[37:38], 1, v[40:41]
	s_delay_alu instid0(VALU_DEP_2) | instskip(NEXT) | instid1(VALU_DEP_1)
	v_lshrrev_b32_e32 v97, 16, v39
	v_min3_f16 v39, v36, v39, v97
	s_delay_alu instid0(VALU_DEP_3) | instskip(NEXT) | instid1(VALU_DEP_4)
	v_add_co_u32 v36, vcc_lo, v32, v37
	v_add_co_ci_u32_e32 v37, vcc_lo, v33, v38, vcc_lo
	global_store_b16 v[36:37], v39, off
	s_or_b32 exec_lo, exec_lo, s8
	s_and_b32 s14, s1, s4
	s_delay_alu instid0(SALU_CYCLE_1)
	s_and_saveexec_b32 s8, s14
	s_cbranch_execz .LBB268_126
.LBB268_132:
	v_cmp_ne_u32_e32 vcc_lo, 1, v70
	s_cbranch_vccnz .LBB268_134
; %bb.133:
	v_lshlrev_b64 v[36:37], 1, v[42:43]
	s_delay_alu instid0(VALU_DEP_1) | instskip(NEXT) | instid1(VALU_DEP_2)
	v_add_co_u32 v36, vcc_lo, v34, v36
	v_add_co_ci_u32_e32 v37, vcc_lo, v35, v37, vcc_lo
	flat_load_u16 v36, v[36:37]
	s_waitcnt vmcnt(0) lgkmcnt(0)
	v_mul_f16_e32 v36, s7, v36
	s_branch .LBB268_135
.LBB268_134:
	v_mov_b32_e32 v36, 0
.LBB268_135:
	v_pk_add_f16 v37, v10, v28
	v_pk_max_f16 v38, v96, v96
	v_pk_add_f16 v39, v11, v29
	s_delay_alu instid0(VALU_DEP_2) | instskip(NEXT) | instid1(VALU_DEP_1)
	v_pk_min_f16 v37, v38, v37
	v_pk_min_f16 v39, v37, v39
	v_lshlrev_b64 v[37:38], 1, v[42:43]
	s_delay_alu instid0(VALU_DEP_2) | instskip(NEXT) | instid1(VALU_DEP_1)
	v_lshrrev_b32_e32 v96, 16, v39
	v_min3_f16 v39, v36, v39, v96
	s_delay_alu instid0(VALU_DEP_3) | instskip(NEXT) | instid1(VALU_DEP_4)
	v_add_co_u32 v36, vcc_lo, v32, v37
	v_add_co_ci_u32_e32 v37, vcc_lo, v33, v38, vcc_lo
	global_store_b16 v[36:37], v39, off
	s_or_b32 exec_lo, exec_lo, s8
	s_and_b32 s14, s2, s4
	s_delay_alu instid0(SALU_CYCLE_1)
	s_and_saveexec_b32 s8, s14
	s_cbranch_execz .LBB268_127
.LBB268_136:
	v_cmp_ne_u32_e32 vcc_lo, 1, v70
	s_cbranch_vccnz .LBB268_138
; %bb.137:
	v_lshlrev_b64 v[36:37], 1, v[44:45]
	s_delay_alu instid0(VALU_DEP_1) | instskip(NEXT) | instid1(VALU_DEP_2)
	v_add_co_u32 v36, vcc_lo, v34, v36
	v_add_co_ci_u32_e32 v37, vcc_lo, v35, v37, vcc_lo
	flat_load_u16 v36, v[36:37]
	s_waitcnt vmcnt(0) lgkmcnt(0)
	v_mul_f16_e32 v36, s7, v36
	s_branch .LBB268_139
.LBB268_138:
	v_mov_b32_e32 v36, 0
.LBB268_139:
	v_pk_add_f16 v37, v0, v28
	v_pk_max_f16 v38, v95, v95
	v_pk_add_f16 v39, v1, v29
	s_delay_alu instid0(VALU_DEP_2) | instskip(NEXT) | instid1(VALU_DEP_1)
	v_pk_min_f16 v37, v38, v37
	v_pk_min_f16 v39, v37, v39
	v_lshlrev_b64 v[37:38], 1, v[44:45]
	s_delay_alu instid0(VALU_DEP_2) | instskip(NEXT) | instid1(VALU_DEP_1)
	v_lshrrev_b32_e32 v95, 16, v39
	v_min3_f16 v39, v36, v39, v95
	s_delay_alu instid0(VALU_DEP_3) | instskip(NEXT) | instid1(VALU_DEP_4)
	v_add_co_u32 v36, vcc_lo, v32, v37
	v_add_co_ci_u32_e32 v37, vcc_lo, v33, v38, vcc_lo
	global_store_b16 v[36:37], v39, off
	s_or_b32 exec_lo, exec_lo, s8
	s_and_b32 s8, s3, s4
	s_delay_alu instid0(SALU_CYCLE_1)
	s_and_saveexec_b32 s4, s8
	s_cbranch_execz .LBB268_144
.LBB268_140:
	v_cmp_ne_u32_e32 vcc_lo, 1, v70
	s_cbranch_vccnz .LBB268_142
; %bb.141:
	v_lshlrev_b64 v[36:37], 1, v[46:47]
	s_delay_alu instid0(VALU_DEP_1) | instskip(NEXT) | instid1(VALU_DEP_2)
	v_add_co_u32 v34, vcc_lo, v34, v36
	v_add_co_ci_u32_e32 v35, vcc_lo, v35, v37, vcc_lo
	flat_load_u16 v34, v[34:35]
	s_waitcnt vmcnt(0) lgkmcnt(0)
	v_mul_f16_e32 v34, s7, v34
	s_branch .LBB268_143
.LBB268_142:
	v_mov_b32_e32 v34, 0
.LBB268_143:
	v_pk_add_f16 v28, v2, v28
	v_pk_max_f16 v35, v94, v94
	v_pk_add_f16 v29, v3, v29
	s_delay_alu instid0(VALU_DEP_2) | instskip(NEXT) | instid1(VALU_DEP_1)
	v_pk_min_f16 v28, v35, v28
	v_pk_min_f16 v35, v28, v29
	v_lshlrev_b64 v[28:29], 1, v[46:47]
	s_delay_alu instid0(VALU_DEP_2) | instskip(NEXT) | instid1(VALU_DEP_2)
	v_lshrrev_b32_e32 v36, 16, v35
	v_add_co_u32 v28, vcc_lo, v32, v28
	s_delay_alu instid0(VALU_DEP_3) | instskip(NEXT) | instid1(VALU_DEP_3)
	v_add_co_ci_u32_e32 v29, vcc_lo, v33, v29, vcc_lo
	v_min3_f16 v34, v34, v35, v36
	global_store_b16 v[28:29], v34, off
.LBB268_144:
	s_or_b32 exec_lo, exec_lo, s4
	v_add_nc_u32_e32 v34, 40, v73
	s_delay_alu instid0(VALU_DEP_1) | instskip(SKIP_2) | instid1(VALU_DEP_3)
	v_mad_i64_i32 v[28:29], null, v34, s6, 0
	v_mad_i64_i32 v[32:33], null, v34, s5, 0
	v_cmp_gt_i32_e64 s4, s9, v34
	v_lshlrev_b64 v[28:29], 1, v[28:29]
	s_delay_alu instid0(VALU_DEP_2) | instskip(NEXT) | instid1(VALU_DEP_3)
	s_and_b32 s14, s0, s4
	v_lshlrev_b64 v[34:35], 1, v[32:33]
	s_delay_alu instid0(VALU_DEP_2) | instskip(NEXT) | instid1(VALU_DEP_3)
	v_add_co_u32 v32, vcc_lo, s12, v28
	v_add_co_ci_u32_e32 v33, vcc_lo, s13, v29, vcc_lo
	s_delay_alu instid0(VALU_DEP_3) | instskip(NEXT) | instid1(VALU_DEP_4)
	v_add_co_u32 v28, vcc_lo, s10, v34
	v_add_co_ci_u32_e32 v29, vcc_lo, s11, v35, vcc_lo
	s_and_saveexec_b32 s8, s14
	s_cbranch_execnz .LBB268_148
; %bb.145:
	s_or_b32 exec_lo, exec_lo, s8
	s_and_b32 s14, s1, s4
	s_delay_alu instid0(SALU_CYCLE_1)
	s_and_saveexec_b32 s8, s14
	s_cbranch_execnz .LBB268_152
.LBB268_146:
	s_or_b32 exec_lo, exec_lo, s8
	s_and_b32 s14, s2, s4
	s_delay_alu instid0(SALU_CYCLE_1)
	s_and_saveexec_b32 s8, s14
	s_cbranch_execnz .LBB268_156
.LBB268_147:
	s_or_b32 exec_lo, exec_lo, s8
	s_and_b32 s8, s3, s4
	s_delay_alu instid0(SALU_CYCLE_1)
	s_and_saveexec_b32 s4, s8
	s_cbranch_execnz .LBB268_160
	s_branch .LBB268_164
.LBB268_148:
	v_cmp_ne_u32_e32 vcc_lo, 1, v70
	s_cbranch_vccnz .LBB268_150
; %bb.149:
	v_lshlrev_b64 v[34:35], 1, v[40:41]
	s_delay_alu instid0(VALU_DEP_1) | instskip(NEXT) | instid1(VALU_DEP_2)
	v_add_co_u32 v34, vcc_lo, v32, v34
	v_add_co_ci_u32_e32 v35, vcc_lo, v33, v35, vcc_lo
	flat_load_u16 v34, v[34:35]
	s_waitcnt vmcnt(0) lgkmcnt(0)
	v_mul_f16_e32 v34, s7, v34
	s_branch .LBB268_151
.LBB268_150:
	v_mov_b32_e32 v34, 0
.LBB268_151:
	v_pk_add_f16 v35, v8, v30
	v_pk_max_f16 v36, v93, v93
	v_pk_add_f16 v37, v9, v31
	s_delay_alu instid0(VALU_DEP_2) | instskip(NEXT) | instid1(VALU_DEP_1)
	v_pk_min_f16 v35, v36, v35
	v_pk_min_f16 v37, v35, v37
	v_lshlrev_b64 v[35:36], 1, v[40:41]
	s_delay_alu instid0(VALU_DEP_2) | instskip(NEXT) | instid1(VALU_DEP_1)
	v_lshrrev_b32_e32 v38, 16, v37
	v_min3_f16 v37, v34, v37, v38
	s_delay_alu instid0(VALU_DEP_3) | instskip(NEXT) | instid1(VALU_DEP_4)
	v_add_co_u32 v34, vcc_lo, v28, v35
	v_add_co_ci_u32_e32 v35, vcc_lo, v29, v36, vcc_lo
	global_store_b16 v[34:35], v37, off
	s_or_b32 exec_lo, exec_lo, s8
	s_and_b32 s14, s1, s4
	s_delay_alu instid0(SALU_CYCLE_1)
	s_and_saveexec_b32 s8, s14
	s_cbranch_execz .LBB268_146
.LBB268_152:
	v_cmp_ne_u32_e32 vcc_lo, 1, v70
	s_cbranch_vccnz .LBB268_154
; %bb.153:
	v_lshlrev_b64 v[34:35], 1, v[42:43]
	s_delay_alu instid0(VALU_DEP_1) | instskip(NEXT) | instid1(VALU_DEP_2)
	v_add_co_u32 v34, vcc_lo, v32, v34
	v_add_co_ci_u32_e32 v35, vcc_lo, v33, v35, vcc_lo
	flat_load_u16 v34, v[34:35]
	s_waitcnt vmcnt(0) lgkmcnt(0)
	v_mul_f16_e32 v34, s7, v34
	s_branch .LBB268_155
.LBB268_154:
	v_mov_b32_e32 v34, 0
.LBB268_155:
	v_pk_add_f16 v35, v10, v30
	v_pk_max_f16 v36, v92, v92
	v_pk_add_f16 v37, v11, v31
	s_delay_alu instid0(VALU_DEP_2) | instskip(NEXT) | instid1(VALU_DEP_1)
	v_pk_min_f16 v35, v36, v35
	v_pk_min_f16 v37, v35, v37
	v_lshlrev_b64 v[35:36], 1, v[42:43]
	s_delay_alu instid0(VALU_DEP_2) | instskip(NEXT) | instid1(VALU_DEP_1)
	v_lshrrev_b32_e32 v38, 16, v37
	v_min3_f16 v37, v34, v37, v38
	s_delay_alu instid0(VALU_DEP_3) | instskip(NEXT) | instid1(VALU_DEP_4)
	v_add_co_u32 v34, vcc_lo, v28, v35
	v_add_co_ci_u32_e32 v35, vcc_lo, v29, v36, vcc_lo
	global_store_b16 v[34:35], v37, off
	s_or_b32 exec_lo, exec_lo, s8
	s_and_b32 s14, s2, s4
	s_delay_alu instid0(SALU_CYCLE_1)
	s_and_saveexec_b32 s8, s14
	s_cbranch_execz .LBB268_147
.LBB268_156:
	v_cmp_ne_u32_e32 vcc_lo, 1, v70
	s_cbranch_vccnz .LBB268_158
; %bb.157:
	v_lshlrev_b64 v[34:35], 1, v[44:45]
	s_delay_alu instid0(VALU_DEP_1) | instskip(NEXT) | instid1(VALU_DEP_2)
	v_add_co_u32 v34, vcc_lo, v32, v34
	v_add_co_ci_u32_e32 v35, vcc_lo, v33, v35, vcc_lo
	flat_load_u16 v34, v[34:35]
	s_waitcnt vmcnt(0) lgkmcnt(0)
	v_mul_f16_e32 v34, s7, v34
	s_branch .LBB268_159
.LBB268_158:
	v_mov_b32_e32 v34, 0
.LBB268_159:
	v_pk_add_f16 v35, v0, v30
	v_pk_max_f16 v36, v91, v91
	v_pk_add_f16 v37, v1, v31
	s_delay_alu instid0(VALU_DEP_2) | instskip(NEXT) | instid1(VALU_DEP_1)
	v_pk_min_f16 v35, v36, v35
	v_pk_min_f16 v37, v35, v37
	v_lshlrev_b64 v[35:36], 1, v[44:45]
	s_delay_alu instid0(VALU_DEP_2) | instskip(NEXT) | instid1(VALU_DEP_1)
	v_lshrrev_b32_e32 v38, 16, v37
	v_min3_f16 v37, v34, v37, v38
	s_delay_alu instid0(VALU_DEP_3) | instskip(NEXT) | instid1(VALU_DEP_4)
	v_add_co_u32 v34, vcc_lo, v28, v35
	v_add_co_ci_u32_e32 v35, vcc_lo, v29, v36, vcc_lo
	global_store_b16 v[34:35], v37, off
	s_or_b32 exec_lo, exec_lo, s8
	s_and_b32 s8, s3, s4
	s_delay_alu instid0(SALU_CYCLE_1)
	s_and_saveexec_b32 s4, s8
	s_cbranch_execz .LBB268_164
.LBB268_160:
	v_cmp_ne_u32_e32 vcc_lo, 1, v70
	s_cbranch_vccnz .LBB268_162
; %bb.161:
	v_lshlrev_b64 v[34:35], 1, v[46:47]
	s_delay_alu instid0(VALU_DEP_1) | instskip(NEXT) | instid1(VALU_DEP_2)
	v_add_co_u32 v32, vcc_lo, v32, v34
	v_add_co_ci_u32_e32 v33, vcc_lo, v33, v35, vcc_lo
	flat_load_u16 v32, v[32:33]
	s_waitcnt vmcnt(0) lgkmcnt(0)
	v_mul_f16_e32 v32, s7, v32
	s_branch .LBB268_163
.LBB268_162:
	v_mov_b32_e32 v32, 0
.LBB268_163:
	v_pk_add_f16 v30, v2, v30
	v_pk_max_f16 v33, v90, v90
	v_pk_add_f16 v31, v3, v31
	s_delay_alu instid0(VALU_DEP_2) | instskip(NEXT) | instid1(VALU_DEP_1)
	v_pk_min_f16 v30, v33, v30
	v_pk_min_f16 v33, v30, v31
	v_lshlrev_b64 v[30:31], 1, v[46:47]
	s_delay_alu instid0(VALU_DEP_2) | instskip(NEXT) | instid1(VALU_DEP_2)
	v_lshrrev_b32_e32 v34, 16, v33
	v_add_co_u32 v28, vcc_lo, v28, v30
	s_delay_alu instid0(VALU_DEP_3) | instskip(NEXT) | instid1(VALU_DEP_3)
	v_add_co_ci_u32_e32 v29, vcc_lo, v29, v31, vcc_lo
	v_min3_f16 v32, v32, v33, v34
	global_store_b16 v[28:29], v32, off
.LBB268_164:
	s_or_b32 exec_lo, exec_lo, s4
	v_add_nc_u32_e32 v32, 48, v73
	s_delay_alu instid0(VALU_DEP_1) | instskip(SKIP_2) | instid1(VALU_DEP_3)
	v_mad_i64_i32 v[28:29], null, v32, s6, 0
	v_mad_i64_i32 v[30:31], null, v32, s5, 0
	v_cmp_gt_i32_e64 s4, s9, v32
	v_lshlrev_b64 v[28:29], 1, v[28:29]
	s_delay_alu instid0(VALU_DEP_2) | instskip(NEXT) | instid1(VALU_DEP_3)
	s_and_b32 s14, s0, s4
	v_lshlrev_b64 v[32:33], 1, v[30:31]
	s_delay_alu instid0(VALU_DEP_2) | instskip(NEXT) | instid1(VALU_DEP_3)
	v_add_co_u32 v30, vcc_lo, s12, v28
	v_add_co_ci_u32_e32 v31, vcc_lo, s13, v29, vcc_lo
	s_delay_alu instid0(VALU_DEP_3) | instskip(NEXT) | instid1(VALU_DEP_4)
	v_add_co_u32 v28, vcc_lo, s10, v32
	v_add_co_ci_u32_e32 v29, vcc_lo, s11, v33, vcc_lo
	s_and_saveexec_b32 s8, s14
	s_cbranch_execnz .LBB268_168
; %bb.165:
	s_or_b32 exec_lo, exec_lo, s8
	s_and_b32 s14, s1, s4
	s_delay_alu instid0(SALU_CYCLE_1)
	s_and_saveexec_b32 s8, s14
	s_cbranch_execnz .LBB268_172
.LBB268_166:
	s_or_b32 exec_lo, exec_lo, s8
	s_and_b32 s14, s2, s4
	s_delay_alu instid0(SALU_CYCLE_1)
	s_and_saveexec_b32 s8, s14
	s_cbranch_execnz .LBB268_176
.LBB268_167:
	s_or_b32 exec_lo, exec_lo, s8
	s_and_b32 s8, s3, s4
	s_delay_alu instid0(SALU_CYCLE_1)
	s_and_saveexec_b32 s4, s8
	s_cbranch_execnz .LBB268_180
	s_branch .LBB268_184
.LBB268_168:
	v_cmp_ne_u32_e32 vcc_lo, 1, v70
	s_cbranch_vccnz .LBB268_170
; %bb.169:
	v_lshlrev_b64 v[32:33], 1, v[40:41]
	s_delay_alu instid0(VALU_DEP_1) | instskip(NEXT) | instid1(VALU_DEP_2)
	v_add_co_u32 v32, vcc_lo, v30, v32
	v_add_co_ci_u32_e32 v33, vcc_lo, v31, v33, vcc_lo
	flat_load_u16 v32, v[32:33]
	s_waitcnt vmcnt(0) lgkmcnt(0)
	v_mul_f16_e32 v32, s7, v32
	s_branch .LBB268_171
.LBB268_170:
	v_mov_b32_e32 v32, 0
.LBB268_171:
	v_pk_add_f16 v33, v8, v24
	v_pk_max_f16 v34, v89, v89
	v_pk_add_f16 v35, v9, v25
	s_delay_alu instid0(VALU_DEP_2) | instskip(NEXT) | instid1(VALU_DEP_1)
	v_pk_min_f16 v33, v34, v33
	v_pk_min_f16 v35, v33, v35
	v_lshlrev_b64 v[33:34], 1, v[40:41]
	s_delay_alu instid0(VALU_DEP_2) | instskip(NEXT) | instid1(VALU_DEP_1)
	v_lshrrev_b32_e32 v36, 16, v35
	v_min3_f16 v35, v32, v35, v36
	s_delay_alu instid0(VALU_DEP_3) | instskip(NEXT) | instid1(VALU_DEP_4)
	v_add_co_u32 v32, vcc_lo, v28, v33
	v_add_co_ci_u32_e32 v33, vcc_lo, v29, v34, vcc_lo
	global_store_b16 v[32:33], v35, off
	s_or_b32 exec_lo, exec_lo, s8
	s_and_b32 s14, s1, s4
	s_delay_alu instid0(SALU_CYCLE_1)
	s_and_saveexec_b32 s8, s14
	s_cbranch_execz .LBB268_166
.LBB268_172:
	v_cmp_ne_u32_e32 vcc_lo, 1, v70
	s_cbranch_vccnz .LBB268_174
; %bb.173:
	v_lshlrev_b64 v[32:33], 1, v[42:43]
	s_delay_alu instid0(VALU_DEP_1) | instskip(NEXT) | instid1(VALU_DEP_2)
	v_add_co_u32 v32, vcc_lo, v30, v32
	v_add_co_ci_u32_e32 v33, vcc_lo, v31, v33, vcc_lo
	flat_load_u16 v32, v[32:33]
	s_waitcnt vmcnt(0) lgkmcnt(0)
	v_mul_f16_e32 v32, s7, v32
	s_branch .LBB268_175
.LBB268_174:
	v_mov_b32_e32 v32, 0
.LBB268_175:
	v_pk_add_f16 v33, v10, v24
	v_pk_max_f16 v34, v88, v88
	v_pk_add_f16 v35, v11, v25
	s_delay_alu instid0(VALU_DEP_2) | instskip(NEXT) | instid1(VALU_DEP_1)
	v_pk_min_f16 v33, v34, v33
	v_pk_min_f16 v35, v33, v35
	v_lshlrev_b64 v[33:34], 1, v[42:43]
	s_delay_alu instid0(VALU_DEP_2) | instskip(NEXT) | instid1(VALU_DEP_1)
	v_lshrrev_b32_e32 v36, 16, v35
	v_min3_f16 v35, v32, v35, v36
	s_delay_alu instid0(VALU_DEP_3) | instskip(NEXT) | instid1(VALU_DEP_4)
	v_add_co_u32 v32, vcc_lo, v28, v33
	v_add_co_ci_u32_e32 v33, vcc_lo, v29, v34, vcc_lo
	global_store_b16 v[32:33], v35, off
	s_or_b32 exec_lo, exec_lo, s8
	s_and_b32 s14, s2, s4
	s_delay_alu instid0(SALU_CYCLE_1)
	s_and_saveexec_b32 s8, s14
	s_cbranch_execz .LBB268_167
.LBB268_176:
	v_cmp_ne_u32_e32 vcc_lo, 1, v70
	s_cbranch_vccnz .LBB268_178
; %bb.177:
	v_lshlrev_b64 v[32:33], 1, v[44:45]
	s_delay_alu instid0(VALU_DEP_1) | instskip(NEXT) | instid1(VALU_DEP_2)
	v_add_co_u32 v32, vcc_lo, v30, v32
	v_add_co_ci_u32_e32 v33, vcc_lo, v31, v33, vcc_lo
	flat_load_u16 v32, v[32:33]
	s_waitcnt vmcnt(0) lgkmcnt(0)
	v_mul_f16_e32 v32, s7, v32
	s_branch .LBB268_179
.LBB268_178:
	v_mov_b32_e32 v32, 0
.LBB268_179:
	v_pk_add_f16 v33, v0, v24
	v_pk_max_f16 v34, v87, v87
	v_pk_add_f16 v35, v1, v25
	s_delay_alu instid0(VALU_DEP_2) | instskip(NEXT) | instid1(VALU_DEP_1)
	v_pk_min_f16 v33, v34, v33
	v_pk_min_f16 v35, v33, v35
	v_lshlrev_b64 v[33:34], 1, v[44:45]
	s_delay_alu instid0(VALU_DEP_2) | instskip(NEXT) | instid1(VALU_DEP_1)
	v_lshrrev_b32_e32 v36, 16, v35
	v_min3_f16 v35, v32, v35, v36
	s_delay_alu instid0(VALU_DEP_3) | instskip(NEXT) | instid1(VALU_DEP_4)
	v_add_co_u32 v32, vcc_lo, v28, v33
	v_add_co_ci_u32_e32 v33, vcc_lo, v29, v34, vcc_lo
	global_store_b16 v[32:33], v35, off
	s_or_b32 exec_lo, exec_lo, s8
	s_and_b32 s8, s3, s4
	s_delay_alu instid0(SALU_CYCLE_1)
	s_and_saveexec_b32 s4, s8
	s_cbranch_execz .LBB268_184
.LBB268_180:
	v_cmp_ne_u32_e32 vcc_lo, 1, v70
	s_cbranch_vccnz .LBB268_182
; %bb.181:
	v_lshlrev_b64 v[32:33], 1, v[46:47]
	s_delay_alu instid0(VALU_DEP_1) | instskip(NEXT) | instid1(VALU_DEP_2)
	v_add_co_u32 v30, vcc_lo, v30, v32
	v_add_co_ci_u32_e32 v31, vcc_lo, v31, v33, vcc_lo
	flat_load_u16 v30, v[30:31]
	s_waitcnt vmcnt(0) lgkmcnt(0)
	v_mul_f16_e32 v30, s7, v30
	s_branch .LBB268_183
.LBB268_182:
	v_mov_b32_e32 v30, 0
.LBB268_183:
	v_pk_add_f16 v24, v2, v24
	v_pk_max_f16 v31, v86, v86
	v_pk_add_f16 v25, v3, v25
	s_delay_alu instid0(VALU_DEP_2) | instskip(NEXT) | instid1(VALU_DEP_1)
	v_pk_min_f16 v24, v31, v24
	v_pk_min_f16 v31, v24, v25
	v_lshlrev_b64 v[24:25], 1, v[46:47]
	s_delay_alu instid0(VALU_DEP_2) | instskip(NEXT) | instid1(VALU_DEP_2)
	v_lshrrev_b32_e32 v32, 16, v31
	v_add_co_u32 v24, vcc_lo, v28, v24
	s_delay_alu instid0(VALU_DEP_3) | instskip(NEXT) | instid1(VALU_DEP_3)
	v_add_co_ci_u32_e32 v25, vcc_lo, v29, v25, vcc_lo
	v_min3_f16 v30, v30, v31, v32
	global_store_b16 v[24:25], v30, off
.LBB268_184:
	s_or_b32 exec_lo, exec_lo, s4
	v_add_nc_u32_e32 v30, 56, v73
	s_delay_alu instid0(VALU_DEP_1) | instskip(SKIP_2) | instid1(VALU_DEP_3)
	v_mad_i64_i32 v[24:25], null, v30, s6, 0
	v_mad_i64_i32 v[28:29], null, v30, s5, 0
	v_cmp_gt_i32_e64 s4, s9, v30
	v_lshlrev_b64 v[24:25], 1, v[24:25]
	s_delay_alu instid0(VALU_DEP_2) | instskip(NEXT) | instid1(VALU_DEP_3)
	s_and_b32 s14, s0, s4
	v_lshlrev_b64 v[30:31], 1, v[28:29]
	s_delay_alu instid0(VALU_DEP_2) | instskip(NEXT) | instid1(VALU_DEP_3)
	v_add_co_u32 v28, vcc_lo, s12, v24
	v_add_co_ci_u32_e32 v29, vcc_lo, s13, v25, vcc_lo
	s_delay_alu instid0(VALU_DEP_3) | instskip(NEXT) | instid1(VALU_DEP_4)
	v_add_co_u32 v24, vcc_lo, s10, v30
	v_add_co_ci_u32_e32 v25, vcc_lo, s11, v31, vcc_lo
	s_and_saveexec_b32 s8, s14
	s_cbranch_execnz .LBB268_188
; %bb.185:
	s_or_b32 exec_lo, exec_lo, s8
	s_and_b32 s14, s1, s4
	s_delay_alu instid0(SALU_CYCLE_1)
	s_and_saveexec_b32 s8, s14
	s_cbranch_execnz .LBB268_192
.LBB268_186:
	s_or_b32 exec_lo, exec_lo, s8
	s_and_b32 s14, s2, s4
	s_delay_alu instid0(SALU_CYCLE_1)
	s_and_saveexec_b32 s8, s14
	s_cbranch_execnz .LBB268_196
.LBB268_187:
	s_or_b32 exec_lo, exec_lo, s8
	s_and_b32 s8, s3, s4
	s_delay_alu instid0(SALU_CYCLE_1)
	s_and_saveexec_b32 s4, s8
	s_cbranch_execnz .LBB268_200
	s_branch .LBB268_204
.LBB268_188:
	v_cmp_ne_u32_e32 vcc_lo, 1, v70
	s_cbranch_vccnz .LBB268_190
; %bb.189:
	v_lshlrev_b64 v[30:31], 1, v[40:41]
	s_delay_alu instid0(VALU_DEP_1) | instskip(NEXT) | instid1(VALU_DEP_2)
	v_add_co_u32 v30, vcc_lo, v28, v30
	v_add_co_ci_u32_e32 v31, vcc_lo, v29, v31, vcc_lo
	flat_load_u16 v30, v[30:31]
	s_waitcnt vmcnt(0) lgkmcnt(0)
	v_mul_f16_e32 v30, s7, v30
	s_branch .LBB268_191
.LBB268_190:
	v_mov_b32_e32 v30, 0
.LBB268_191:
	v_pk_add_f16 v31, v8, v26
	v_pk_max_f16 v32, v85, v85
	v_pk_add_f16 v33, v9, v27
	s_delay_alu instid0(VALU_DEP_2) | instskip(NEXT) | instid1(VALU_DEP_1)
	v_pk_min_f16 v31, v32, v31
	v_pk_min_f16 v33, v31, v33
	v_lshlrev_b64 v[31:32], 1, v[40:41]
	s_delay_alu instid0(VALU_DEP_2) | instskip(NEXT) | instid1(VALU_DEP_1)
	v_lshrrev_b32_e32 v34, 16, v33
	v_min3_f16 v33, v30, v33, v34
	s_delay_alu instid0(VALU_DEP_3) | instskip(NEXT) | instid1(VALU_DEP_4)
	v_add_co_u32 v30, vcc_lo, v24, v31
	v_add_co_ci_u32_e32 v31, vcc_lo, v25, v32, vcc_lo
	global_store_b16 v[30:31], v33, off
	s_or_b32 exec_lo, exec_lo, s8
	s_and_b32 s14, s1, s4
	s_delay_alu instid0(SALU_CYCLE_1)
	s_and_saveexec_b32 s8, s14
	s_cbranch_execz .LBB268_186
.LBB268_192:
	v_cmp_ne_u32_e32 vcc_lo, 1, v70
	s_cbranch_vccnz .LBB268_194
; %bb.193:
	v_lshlrev_b64 v[30:31], 1, v[42:43]
	s_delay_alu instid0(VALU_DEP_1) | instskip(NEXT) | instid1(VALU_DEP_2)
	v_add_co_u32 v30, vcc_lo, v28, v30
	v_add_co_ci_u32_e32 v31, vcc_lo, v29, v31, vcc_lo
	flat_load_u16 v30, v[30:31]
	s_waitcnt vmcnt(0) lgkmcnt(0)
	v_mul_f16_e32 v30, s7, v30
	s_branch .LBB268_195
.LBB268_194:
	v_mov_b32_e32 v30, 0
.LBB268_195:
	v_pk_add_f16 v31, v10, v26
	v_pk_max_f16 v32, v83, v83
	v_pk_add_f16 v33, v11, v27
	s_delay_alu instid0(VALU_DEP_2) | instskip(NEXT) | instid1(VALU_DEP_1)
	v_pk_min_f16 v31, v32, v31
	v_pk_min_f16 v33, v31, v33
	v_lshlrev_b64 v[31:32], 1, v[42:43]
	s_delay_alu instid0(VALU_DEP_2) | instskip(NEXT) | instid1(VALU_DEP_1)
	v_lshrrev_b32_e32 v34, 16, v33
	v_min3_f16 v33, v30, v33, v34
	s_delay_alu instid0(VALU_DEP_3) | instskip(NEXT) | instid1(VALU_DEP_4)
	v_add_co_u32 v30, vcc_lo, v24, v31
	v_add_co_ci_u32_e32 v31, vcc_lo, v25, v32, vcc_lo
	global_store_b16 v[30:31], v33, off
	s_or_b32 exec_lo, exec_lo, s8
	s_and_b32 s14, s2, s4
	s_delay_alu instid0(SALU_CYCLE_1)
	s_and_saveexec_b32 s8, s14
	s_cbranch_execz .LBB268_187
.LBB268_196:
	v_cmp_ne_u32_e32 vcc_lo, 1, v70
	s_cbranch_vccnz .LBB268_198
; %bb.197:
	v_lshlrev_b64 v[30:31], 1, v[44:45]
	s_delay_alu instid0(VALU_DEP_1) | instskip(NEXT) | instid1(VALU_DEP_2)
	v_add_co_u32 v30, vcc_lo, v28, v30
	v_add_co_ci_u32_e32 v31, vcc_lo, v29, v31, vcc_lo
	flat_load_u16 v30, v[30:31]
	s_waitcnt vmcnt(0) lgkmcnt(0)
	v_mul_f16_e32 v30, s7, v30
	s_branch .LBB268_199
.LBB268_198:
	v_mov_b32_e32 v30, 0
.LBB268_199:
	v_pk_add_f16 v31, v0, v26
	v_pk_max_f16 v32, v84, v84
	v_pk_add_f16 v33, v1, v27
	s_delay_alu instid0(VALU_DEP_2) | instskip(NEXT) | instid1(VALU_DEP_1)
	v_pk_min_f16 v31, v32, v31
	v_pk_min_f16 v33, v31, v33
	v_lshlrev_b64 v[31:32], 1, v[44:45]
	s_delay_alu instid0(VALU_DEP_2) | instskip(NEXT) | instid1(VALU_DEP_1)
	v_lshrrev_b32_e32 v34, 16, v33
	v_min3_f16 v33, v30, v33, v34
	s_delay_alu instid0(VALU_DEP_3) | instskip(NEXT) | instid1(VALU_DEP_4)
	v_add_co_u32 v30, vcc_lo, v24, v31
	v_add_co_ci_u32_e32 v31, vcc_lo, v25, v32, vcc_lo
	global_store_b16 v[30:31], v33, off
	s_or_b32 exec_lo, exec_lo, s8
	s_and_b32 s8, s3, s4
	s_delay_alu instid0(SALU_CYCLE_1)
	s_and_saveexec_b32 s4, s8
	s_cbranch_execz .LBB268_204
.LBB268_200:
	v_cmp_ne_u32_e32 vcc_lo, 1, v70
	s_cbranch_vccnz .LBB268_202
; %bb.201:
	v_lshlrev_b64 v[30:31], 1, v[46:47]
	s_delay_alu instid0(VALU_DEP_1) | instskip(NEXT) | instid1(VALU_DEP_2)
	v_add_co_u32 v28, vcc_lo, v28, v30
	v_add_co_ci_u32_e32 v29, vcc_lo, v29, v31, vcc_lo
	flat_load_u16 v28, v[28:29]
	s_waitcnt vmcnt(0) lgkmcnt(0)
	v_mul_f16_e32 v28, s7, v28
	s_branch .LBB268_203
.LBB268_202:
	v_mov_b32_e32 v28, 0
.LBB268_203:
	v_pk_add_f16 v26, v2, v26
	v_pk_max_f16 v29, v82, v82
	v_pk_add_f16 v27, v3, v27
	s_delay_alu instid0(VALU_DEP_2) | instskip(NEXT) | instid1(VALU_DEP_1)
	v_pk_min_f16 v26, v29, v26
	v_pk_min_f16 v29, v26, v27
	v_lshlrev_b64 v[26:27], 1, v[46:47]
	s_delay_alu instid0(VALU_DEP_2) | instskip(NEXT) | instid1(VALU_DEP_2)
	v_lshrrev_b32_e32 v30, 16, v29
	v_add_co_u32 v24, vcc_lo, v24, v26
	s_delay_alu instid0(VALU_DEP_3) | instskip(NEXT) | instid1(VALU_DEP_3)
	v_add_co_ci_u32_e32 v25, vcc_lo, v25, v27, vcc_lo
	v_min3_f16 v28, v28, v29, v30
	global_store_b16 v[24:25], v28, off
.LBB268_204:
	s_or_b32 exec_lo, exec_lo, s4
	v_add_nc_u32_e32 v28, 64, v73
	s_delay_alu instid0(VALU_DEP_1) | instskip(SKIP_2) | instid1(VALU_DEP_3)
	v_mad_i64_i32 v[24:25], null, v28, s6, 0
	v_mad_i64_i32 v[26:27], null, v28, s5, 0
	v_cmp_gt_i32_e64 s4, s9, v28
	v_lshlrev_b64 v[24:25], 1, v[24:25]
	s_delay_alu instid0(VALU_DEP_2) | instskip(NEXT) | instid1(VALU_DEP_3)
	s_and_b32 s14, s0, s4
	v_lshlrev_b64 v[28:29], 1, v[26:27]
	s_delay_alu instid0(VALU_DEP_2) | instskip(NEXT) | instid1(VALU_DEP_3)
	v_add_co_u32 v26, vcc_lo, s12, v24
	v_add_co_ci_u32_e32 v27, vcc_lo, s13, v25, vcc_lo
	s_delay_alu instid0(VALU_DEP_3) | instskip(NEXT) | instid1(VALU_DEP_4)
	v_add_co_u32 v24, vcc_lo, s10, v28
	v_add_co_ci_u32_e32 v25, vcc_lo, s11, v29, vcc_lo
	s_and_saveexec_b32 s8, s14
	s_cbranch_execnz .LBB268_208
; %bb.205:
	s_or_b32 exec_lo, exec_lo, s8
	s_and_b32 s14, s1, s4
	s_delay_alu instid0(SALU_CYCLE_1)
	s_and_saveexec_b32 s8, s14
	s_cbranch_execnz .LBB268_212
.LBB268_206:
	s_or_b32 exec_lo, exec_lo, s8
	s_and_b32 s14, s2, s4
	s_delay_alu instid0(SALU_CYCLE_1)
	s_and_saveexec_b32 s8, s14
	s_cbranch_execnz .LBB268_216
.LBB268_207:
	s_or_b32 exec_lo, exec_lo, s8
	s_and_b32 s8, s3, s4
	s_delay_alu instid0(SALU_CYCLE_1)
	s_and_saveexec_b32 s4, s8
	s_cbranch_execnz .LBB268_220
	s_branch .LBB268_224
.LBB268_208:
	v_cmp_ne_u32_e32 vcc_lo, 1, v70
	s_cbranch_vccnz .LBB268_210
; %bb.209:
	v_lshlrev_b64 v[28:29], 1, v[40:41]
	s_delay_alu instid0(VALU_DEP_1) | instskip(NEXT) | instid1(VALU_DEP_2)
	v_add_co_u32 v28, vcc_lo, v26, v28
	v_add_co_ci_u32_e32 v29, vcc_lo, v27, v29, vcc_lo
	flat_load_u16 v28, v[28:29]
	s_waitcnt vmcnt(0) lgkmcnt(0)
	v_mul_f16_e32 v28, s7, v28
	s_branch .LBB268_211
.LBB268_210:
	v_mov_b32_e32 v28, 0
.LBB268_211:
	v_pk_add_f16 v29, v8, v20
	v_pk_max_f16 v30, v81, v81
	v_pk_add_f16 v31, v9, v21
	s_delay_alu instid0(VALU_DEP_2) | instskip(NEXT) | instid1(VALU_DEP_1)
	v_pk_min_f16 v29, v30, v29
	v_pk_min_f16 v31, v29, v31
	v_lshlrev_b64 v[29:30], 1, v[40:41]
	s_delay_alu instid0(VALU_DEP_2) | instskip(NEXT) | instid1(VALU_DEP_1)
	v_lshrrev_b32_e32 v32, 16, v31
	v_min3_f16 v31, v28, v31, v32
	s_delay_alu instid0(VALU_DEP_3) | instskip(NEXT) | instid1(VALU_DEP_4)
	v_add_co_u32 v28, vcc_lo, v24, v29
	v_add_co_ci_u32_e32 v29, vcc_lo, v25, v30, vcc_lo
	global_store_b16 v[28:29], v31, off
	s_or_b32 exec_lo, exec_lo, s8
	s_and_b32 s14, s1, s4
	s_delay_alu instid0(SALU_CYCLE_1)
	s_and_saveexec_b32 s8, s14
	s_cbranch_execz .LBB268_206
.LBB268_212:
	v_cmp_ne_u32_e32 vcc_lo, 1, v70
	s_cbranch_vccnz .LBB268_214
; %bb.213:
	v_lshlrev_b64 v[28:29], 1, v[42:43]
	s_delay_alu instid0(VALU_DEP_1) | instskip(NEXT) | instid1(VALU_DEP_2)
	v_add_co_u32 v28, vcc_lo, v26, v28
	v_add_co_ci_u32_e32 v29, vcc_lo, v27, v29, vcc_lo
	flat_load_u16 v28, v[28:29]
	s_waitcnt vmcnt(0) lgkmcnt(0)
	v_mul_f16_e32 v28, s7, v28
	s_branch .LBB268_215
.LBB268_214:
	v_mov_b32_e32 v28, 0
.LBB268_215:
	v_pk_add_f16 v29, v10, v20
	v_pk_max_f16 v30, v80, v80
	v_pk_add_f16 v31, v11, v21
	s_delay_alu instid0(VALU_DEP_2) | instskip(NEXT) | instid1(VALU_DEP_1)
	v_pk_min_f16 v29, v30, v29
	v_pk_min_f16 v31, v29, v31
	v_lshlrev_b64 v[29:30], 1, v[42:43]
	s_delay_alu instid0(VALU_DEP_2) | instskip(NEXT) | instid1(VALU_DEP_1)
	v_lshrrev_b32_e32 v32, 16, v31
	v_min3_f16 v31, v28, v31, v32
	s_delay_alu instid0(VALU_DEP_3) | instskip(NEXT) | instid1(VALU_DEP_4)
	v_add_co_u32 v28, vcc_lo, v24, v29
	v_add_co_ci_u32_e32 v29, vcc_lo, v25, v30, vcc_lo
	global_store_b16 v[28:29], v31, off
	s_or_b32 exec_lo, exec_lo, s8
	s_and_b32 s14, s2, s4
	s_delay_alu instid0(SALU_CYCLE_1)
	s_and_saveexec_b32 s8, s14
	s_cbranch_execz .LBB268_207
.LBB268_216:
	v_cmp_ne_u32_e32 vcc_lo, 1, v70
	s_cbranch_vccnz .LBB268_218
; %bb.217:
	v_lshlrev_b64 v[28:29], 1, v[44:45]
	s_delay_alu instid0(VALU_DEP_1) | instskip(NEXT) | instid1(VALU_DEP_2)
	v_add_co_u32 v28, vcc_lo, v26, v28
	v_add_co_ci_u32_e32 v29, vcc_lo, v27, v29, vcc_lo
	flat_load_u16 v28, v[28:29]
	s_waitcnt vmcnt(0) lgkmcnt(0)
	v_mul_f16_e32 v28, s7, v28
	s_branch .LBB268_219
.LBB268_218:
	v_mov_b32_e32 v28, 0
.LBB268_219:
	v_pk_add_f16 v29, v0, v20
	v_pk_max_f16 v30, v79, v79
	v_pk_add_f16 v31, v1, v21
	s_delay_alu instid0(VALU_DEP_2) | instskip(NEXT) | instid1(VALU_DEP_1)
	v_pk_min_f16 v29, v30, v29
	v_pk_min_f16 v31, v29, v31
	v_lshlrev_b64 v[29:30], 1, v[44:45]
	s_delay_alu instid0(VALU_DEP_2) | instskip(NEXT) | instid1(VALU_DEP_1)
	v_lshrrev_b32_e32 v32, 16, v31
	v_min3_f16 v31, v28, v31, v32
	s_delay_alu instid0(VALU_DEP_3) | instskip(NEXT) | instid1(VALU_DEP_4)
	v_add_co_u32 v28, vcc_lo, v24, v29
	v_add_co_ci_u32_e32 v29, vcc_lo, v25, v30, vcc_lo
	global_store_b16 v[28:29], v31, off
	s_or_b32 exec_lo, exec_lo, s8
	s_and_b32 s8, s3, s4
	s_delay_alu instid0(SALU_CYCLE_1)
	s_and_saveexec_b32 s4, s8
	s_cbranch_execz .LBB268_224
.LBB268_220:
	v_cmp_ne_u32_e32 vcc_lo, 1, v70
	s_cbranch_vccnz .LBB268_222
; %bb.221:
	v_lshlrev_b64 v[28:29], 1, v[46:47]
	s_delay_alu instid0(VALU_DEP_1) | instskip(NEXT) | instid1(VALU_DEP_2)
	v_add_co_u32 v26, vcc_lo, v26, v28
	v_add_co_ci_u32_e32 v27, vcc_lo, v27, v29, vcc_lo
	flat_load_u16 v26, v[26:27]
	s_waitcnt vmcnt(0) lgkmcnt(0)
	v_mul_f16_e32 v26, s7, v26
	s_branch .LBB268_223
.LBB268_222:
	v_mov_b32_e32 v26, 0
.LBB268_223:
	v_pk_add_f16 v20, v2, v20
	v_pk_max_f16 v27, v78, v78
	v_pk_add_f16 v21, v3, v21
	s_delay_alu instid0(VALU_DEP_2) | instskip(NEXT) | instid1(VALU_DEP_1)
	v_pk_min_f16 v20, v27, v20
	v_pk_min_f16 v27, v20, v21
	v_lshlrev_b64 v[20:21], 1, v[46:47]
	s_delay_alu instid0(VALU_DEP_2) | instskip(NEXT) | instid1(VALU_DEP_2)
	v_lshrrev_b32_e32 v28, 16, v27
	v_add_co_u32 v20, vcc_lo, v24, v20
	s_delay_alu instid0(VALU_DEP_3) | instskip(NEXT) | instid1(VALU_DEP_3)
	v_add_co_ci_u32_e32 v21, vcc_lo, v25, v21, vcc_lo
	v_min3_f16 v26, v26, v27, v28
	global_store_b16 v[20:21], v26, off
.LBB268_224:
	s_or_b32 exec_lo, exec_lo, s4
	v_add_nc_u32_e32 v26, 0x48, v73
	s_delay_alu instid0(VALU_DEP_1) | instskip(SKIP_2) | instid1(VALU_DEP_3)
	v_mad_i64_i32 v[20:21], null, v26, s6, 0
	v_mad_i64_i32 v[24:25], null, v26, s5, 0
	v_cmp_gt_i32_e64 s4, s9, v26
	v_lshlrev_b64 v[20:21], 1, v[20:21]
	s_delay_alu instid0(VALU_DEP_2) | instskip(NEXT) | instid1(VALU_DEP_3)
	s_and_b32 s14, s0, s4
	v_lshlrev_b64 v[26:27], 1, v[24:25]
	s_delay_alu instid0(VALU_DEP_2) | instskip(NEXT) | instid1(VALU_DEP_3)
	v_add_co_u32 v24, vcc_lo, s12, v20
	v_add_co_ci_u32_e32 v25, vcc_lo, s13, v21, vcc_lo
	s_delay_alu instid0(VALU_DEP_3) | instskip(NEXT) | instid1(VALU_DEP_4)
	v_add_co_u32 v20, vcc_lo, s10, v26
	v_add_co_ci_u32_e32 v21, vcc_lo, s11, v27, vcc_lo
	s_and_saveexec_b32 s8, s14
	s_cbranch_execnz .LBB268_228
; %bb.225:
	s_or_b32 exec_lo, exec_lo, s8
	s_and_b32 s14, s1, s4
	s_delay_alu instid0(SALU_CYCLE_1)
	s_and_saveexec_b32 s8, s14
	s_cbranch_execnz .LBB268_232
.LBB268_226:
	s_or_b32 exec_lo, exec_lo, s8
	s_and_b32 s14, s2, s4
	s_delay_alu instid0(SALU_CYCLE_1)
	s_and_saveexec_b32 s8, s14
	s_cbranch_execnz .LBB268_236
.LBB268_227:
	s_or_b32 exec_lo, exec_lo, s8
	s_and_b32 s8, s3, s4
	s_delay_alu instid0(SALU_CYCLE_1)
	s_and_saveexec_b32 s4, s8
	s_cbranch_execnz .LBB268_240
	s_branch .LBB268_244
.LBB268_228:
	v_cmp_ne_u32_e32 vcc_lo, 1, v70
	s_cbranch_vccnz .LBB268_230
; %bb.229:
	v_lshlrev_b64 v[26:27], 1, v[40:41]
	s_delay_alu instid0(VALU_DEP_1) | instskip(NEXT) | instid1(VALU_DEP_2)
	v_add_co_u32 v26, vcc_lo, v24, v26
	v_add_co_ci_u32_e32 v27, vcc_lo, v25, v27, vcc_lo
	flat_load_u16 v26, v[26:27]
	s_waitcnt vmcnt(0) lgkmcnt(0)
	v_mul_f16_e32 v26, s7, v26
	s_branch .LBB268_231
.LBB268_230:
	v_mov_b32_e32 v26, 0
.LBB268_231:
	v_pk_add_f16 v27, v8, v22
	v_pk_max_f16 v28, v77, v77
	v_pk_add_f16 v29, v9, v23
	s_delay_alu instid0(VALU_DEP_2) | instskip(NEXT) | instid1(VALU_DEP_1)
	v_pk_min_f16 v27, v28, v27
	v_pk_min_f16 v29, v27, v29
	v_lshlrev_b64 v[27:28], 1, v[40:41]
	s_delay_alu instid0(VALU_DEP_2) | instskip(NEXT) | instid1(VALU_DEP_1)
	v_lshrrev_b32_e32 v30, 16, v29
	v_min3_f16 v29, v26, v29, v30
	s_delay_alu instid0(VALU_DEP_3) | instskip(NEXT) | instid1(VALU_DEP_4)
	v_add_co_u32 v26, vcc_lo, v20, v27
	v_add_co_ci_u32_e32 v27, vcc_lo, v21, v28, vcc_lo
	global_store_b16 v[26:27], v29, off
	s_or_b32 exec_lo, exec_lo, s8
	s_and_b32 s14, s1, s4
	s_delay_alu instid0(SALU_CYCLE_1)
	s_and_saveexec_b32 s8, s14
	s_cbranch_execz .LBB268_226
.LBB268_232:
	v_cmp_ne_u32_e32 vcc_lo, 1, v70
	s_cbranch_vccnz .LBB268_234
; %bb.233:
	v_lshlrev_b64 v[26:27], 1, v[42:43]
	s_delay_alu instid0(VALU_DEP_1) | instskip(NEXT) | instid1(VALU_DEP_2)
	v_add_co_u32 v26, vcc_lo, v24, v26
	v_add_co_ci_u32_e32 v27, vcc_lo, v25, v27, vcc_lo
	flat_load_u16 v26, v[26:27]
	s_waitcnt vmcnt(0) lgkmcnt(0)
	v_mul_f16_e32 v26, s7, v26
	s_branch .LBB268_235
.LBB268_234:
	v_mov_b32_e32 v26, 0
.LBB268_235:
	v_pk_add_f16 v27, v10, v22
	v_pk_max_f16 v28, v76, v76
	v_pk_add_f16 v29, v11, v23
	s_delay_alu instid0(VALU_DEP_2) | instskip(NEXT) | instid1(VALU_DEP_1)
	v_pk_min_f16 v27, v28, v27
	v_pk_min_f16 v29, v27, v29
	v_lshlrev_b64 v[27:28], 1, v[42:43]
	s_delay_alu instid0(VALU_DEP_2) | instskip(NEXT) | instid1(VALU_DEP_1)
	v_lshrrev_b32_e32 v30, 16, v29
	v_min3_f16 v29, v26, v29, v30
	s_delay_alu instid0(VALU_DEP_3) | instskip(NEXT) | instid1(VALU_DEP_4)
	v_add_co_u32 v26, vcc_lo, v20, v27
	v_add_co_ci_u32_e32 v27, vcc_lo, v21, v28, vcc_lo
	global_store_b16 v[26:27], v29, off
	s_or_b32 exec_lo, exec_lo, s8
	s_and_b32 s14, s2, s4
	s_delay_alu instid0(SALU_CYCLE_1)
	s_and_saveexec_b32 s8, s14
	s_cbranch_execz .LBB268_227
.LBB268_236:
	v_cmp_ne_u32_e32 vcc_lo, 1, v70
	s_cbranch_vccnz .LBB268_238
; %bb.237:
	v_lshlrev_b64 v[26:27], 1, v[44:45]
	s_delay_alu instid0(VALU_DEP_1) | instskip(NEXT) | instid1(VALU_DEP_2)
	v_add_co_u32 v26, vcc_lo, v24, v26
	v_add_co_ci_u32_e32 v27, vcc_lo, v25, v27, vcc_lo
	flat_load_u16 v26, v[26:27]
	s_waitcnt vmcnt(0) lgkmcnt(0)
	v_mul_f16_e32 v26, s7, v26
	s_branch .LBB268_239
.LBB268_238:
	v_mov_b32_e32 v26, 0
.LBB268_239:
	v_pk_add_f16 v27, v0, v22
	v_pk_max_f16 v28, v75, v75
	v_pk_add_f16 v29, v1, v23
	s_delay_alu instid0(VALU_DEP_2) | instskip(NEXT) | instid1(VALU_DEP_1)
	v_pk_min_f16 v27, v28, v27
	v_pk_min_f16 v29, v27, v29
	v_lshlrev_b64 v[27:28], 1, v[44:45]
	s_delay_alu instid0(VALU_DEP_2) | instskip(NEXT) | instid1(VALU_DEP_1)
	v_lshrrev_b32_e32 v30, 16, v29
	v_min3_f16 v29, v26, v29, v30
	s_delay_alu instid0(VALU_DEP_3) | instskip(NEXT) | instid1(VALU_DEP_4)
	v_add_co_u32 v26, vcc_lo, v20, v27
	v_add_co_ci_u32_e32 v27, vcc_lo, v21, v28, vcc_lo
	global_store_b16 v[26:27], v29, off
	s_or_b32 exec_lo, exec_lo, s8
	s_and_b32 s8, s3, s4
	s_delay_alu instid0(SALU_CYCLE_1)
	s_and_saveexec_b32 s4, s8
	s_cbranch_execz .LBB268_244
.LBB268_240:
	v_cmp_ne_u32_e32 vcc_lo, 1, v70
	s_cbranch_vccnz .LBB268_242
; %bb.241:
	v_lshlrev_b64 v[26:27], 1, v[46:47]
	s_delay_alu instid0(VALU_DEP_1) | instskip(NEXT) | instid1(VALU_DEP_2)
	v_add_co_u32 v24, vcc_lo, v24, v26
	v_add_co_ci_u32_e32 v25, vcc_lo, v25, v27, vcc_lo
	flat_load_u16 v24, v[24:25]
	s_waitcnt vmcnt(0) lgkmcnt(0)
	v_mul_f16_e32 v24, s7, v24
	s_branch .LBB268_243
.LBB268_242:
	v_mov_b32_e32 v24, 0
.LBB268_243:
	v_pk_add_f16 v22, v2, v22
	v_pk_max_f16 v25, v74, v74
	v_pk_add_f16 v23, v3, v23
	s_delay_alu instid0(VALU_DEP_2) | instskip(NEXT) | instid1(VALU_DEP_1)
	v_pk_min_f16 v22, v25, v22
	v_pk_min_f16 v25, v22, v23
	v_lshlrev_b64 v[22:23], 1, v[46:47]
	s_delay_alu instid0(VALU_DEP_2) | instskip(NEXT) | instid1(VALU_DEP_2)
	v_lshrrev_b32_e32 v26, 16, v25
	v_add_co_u32 v20, vcc_lo, v20, v22
	s_delay_alu instid0(VALU_DEP_3) | instskip(NEXT) | instid1(VALU_DEP_3)
	v_add_co_ci_u32_e32 v21, vcc_lo, v21, v23, vcc_lo
	v_min3_f16 v24, v24, v25, v26
	global_store_b16 v[20:21], v24, off
.LBB268_244:
	s_or_b32 exec_lo, exec_lo, s4
	v_add_nc_u32_e32 v24, 0x50, v73
	s_delay_alu instid0(VALU_DEP_1) | instskip(SKIP_2) | instid1(VALU_DEP_3)
	v_mad_i64_i32 v[20:21], null, v24, s6, 0
	v_mad_i64_i32 v[22:23], null, v24, s5, 0
	v_cmp_gt_i32_e64 s4, s9, v24
	v_lshlrev_b64 v[20:21], 1, v[20:21]
	s_delay_alu instid0(VALU_DEP_2) | instskip(NEXT) | instid1(VALU_DEP_3)
	s_and_b32 s14, s0, s4
	v_lshlrev_b64 v[24:25], 1, v[22:23]
	s_delay_alu instid0(VALU_DEP_2) | instskip(NEXT) | instid1(VALU_DEP_3)
	v_add_co_u32 v22, vcc_lo, s12, v20
	v_add_co_ci_u32_e32 v23, vcc_lo, s13, v21, vcc_lo
	s_delay_alu instid0(VALU_DEP_3) | instskip(NEXT) | instid1(VALU_DEP_4)
	v_add_co_u32 v20, vcc_lo, s10, v24
	v_add_co_ci_u32_e32 v21, vcc_lo, s11, v25, vcc_lo
	s_and_saveexec_b32 s8, s14
	s_cbranch_execnz .LBB268_248
; %bb.245:
	s_or_b32 exec_lo, exec_lo, s8
	s_and_b32 s14, s1, s4
	s_delay_alu instid0(SALU_CYCLE_1)
	s_and_saveexec_b32 s8, s14
	s_cbranch_execnz .LBB268_252
.LBB268_246:
	s_or_b32 exec_lo, exec_lo, s8
	s_and_b32 s14, s2, s4
	s_delay_alu instid0(SALU_CYCLE_1)
	s_and_saveexec_b32 s8, s14
	s_cbranch_execnz .LBB268_256
.LBB268_247:
	s_or_b32 exec_lo, exec_lo, s8
	s_and_b32 s8, s3, s4
	s_delay_alu instid0(SALU_CYCLE_1)
	s_and_saveexec_b32 s4, s8
	s_cbranch_execnz .LBB268_260
	s_branch .LBB268_264
.LBB268_248:
	v_cmp_ne_u32_e32 vcc_lo, 1, v70
	s_cbranch_vccnz .LBB268_250
; %bb.249:
	v_lshlrev_b64 v[24:25], 1, v[40:41]
	s_delay_alu instid0(VALU_DEP_1) | instskip(NEXT) | instid1(VALU_DEP_2)
	v_add_co_u32 v24, vcc_lo, v22, v24
	v_add_co_ci_u32_e32 v25, vcc_lo, v23, v25, vcc_lo
	flat_load_u16 v24, v[24:25]
	s_waitcnt vmcnt(0) lgkmcnt(0)
	v_mul_f16_e32 v24, s7, v24
	s_branch .LBB268_251
.LBB268_250:
	v_mov_b32_e32 v24, 0
.LBB268_251:
	v_pk_add_f16 v25, v8, v16
	v_pk_max_f16 v26, v72, v72
	v_pk_add_f16 v27, v9, v17
	s_delay_alu instid0(VALU_DEP_2) | instskip(NEXT) | instid1(VALU_DEP_1)
	v_pk_min_f16 v25, v26, v25
	v_pk_min_f16 v27, v25, v27
	v_lshlrev_b64 v[25:26], 1, v[40:41]
	s_delay_alu instid0(VALU_DEP_2) | instskip(NEXT) | instid1(VALU_DEP_1)
	v_lshrrev_b32_e32 v28, 16, v27
	v_min3_f16 v27, v24, v27, v28
	s_delay_alu instid0(VALU_DEP_3) | instskip(NEXT) | instid1(VALU_DEP_4)
	v_add_co_u32 v24, vcc_lo, v20, v25
	v_add_co_ci_u32_e32 v25, vcc_lo, v21, v26, vcc_lo
	global_store_b16 v[24:25], v27, off
	s_or_b32 exec_lo, exec_lo, s8
	s_and_b32 s14, s1, s4
	s_delay_alu instid0(SALU_CYCLE_1)
	s_and_saveexec_b32 s8, s14
	s_cbranch_execz .LBB268_246
.LBB268_252:
	v_cmp_ne_u32_e32 vcc_lo, 1, v70
	s_cbranch_vccnz .LBB268_254
; %bb.253:
	v_lshlrev_b64 v[24:25], 1, v[42:43]
	s_delay_alu instid0(VALU_DEP_1) | instskip(NEXT) | instid1(VALU_DEP_2)
	v_add_co_u32 v24, vcc_lo, v22, v24
	v_add_co_ci_u32_e32 v25, vcc_lo, v23, v25, vcc_lo
	flat_load_u16 v24, v[24:25]
	s_waitcnt vmcnt(0) lgkmcnt(0)
	v_mul_f16_e32 v24, s7, v24
	s_branch .LBB268_255
.LBB268_254:
	v_mov_b32_e32 v24, 0
.LBB268_255:
	v_pk_add_f16 v25, v10, v16
	v_pk_max_f16 v26, v71, v71
	v_pk_add_f16 v27, v11, v17
	s_delay_alu instid0(VALU_DEP_2) | instskip(NEXT) | instid1(VALU_DEP_1)
	v_pk_min_f16 v25, v26, v25
	v_pk_min_f16 v27, v25, v27
	v_lshlrev_b64 v[25:26], 1, v[42:43]
	s_delay_alu instid0(VALU_DEP_2) | instskip(NEXT) | instid1(VALU_DEP_1)
	v_lshrrev_b32_e32 v28, 16, v27
	v_min3_f16 v27, v24, v27, v28
	s_delay_alu instid0(VALU_DEP_3) | instskip(NEXT) | instid1(VALU_DEP_4)
	v_add_co_u32 v24, vcc_lo, v20, v25
	v_add_co_ci_u32_e32 v25, vcc_lo, v21, v26, vcc_lo
	global_store_b16 v[24:25], v27, off
	s_or_b32 exec_lo, exec_lo, s8
	s_and_b32 s14, s2, s4
	s_delay_alu instid0(SALU_CYCLE_1)
	s_and_saveexec_b32 s8, s14
	s_cbranch_execz .LBB268_247
.LBB268_256:
	v_cmp_ne_u32_e32 vcc_lo, 1, v70
	s_cbranch_vccnz .LBB268_258
; %bb.257:
	v_lshlrev_b64 v[24:25], 1, v[44:45]
	s_delay_alu instid0(VALU_DEP_1) | instskip(NEXT) | instid1(VALU_DEP_2)
	v_add_co_u32 v24, vcc_lo, v22, v24
	v_add_co_ci_u32_e32 v25, vcc_lo, v23, v25, vcc_lo
	flat_load_u16 v24, v[24:25]
	s_waitcnt vmcnt(0) lgkmcnt(0)
	v_mul_f16_e32 v24, s7, v24
	s_branch .LBB268_259
.LBB268_258:
	v_mov_b32_e32 v24, 0
.LBB268_259:
	v_pk_add_f16 v25, v0, v16
	v_pk_max_f16 v26, v69, v69
	v_pk_add_f16 v27, v1, v17
	s_delay_alu instid0(VALU_DEP_2) | instskip(NEXT) | instid1(VALU_DEP_1)
	v_pk_min_f16 v25, v26, v25
	v_pk_min_f16 v27, v25, v27
	v_lshlrev_b64 v[25:26], 1, v[44:45]
	s_delay_alu instid0(VALU_DEP_2) | instskip(NEXT) | instid1(VALU_DEP_1)
	v_lshrrev_b32_e32 v28, 16, v27
	v_min3_f16 v27, v24, v27, v28
	s_delay_alu instid0(VALU_DEP_3) | instskip(NEXT) | instid1(VALU_DEP_4)
	v_add_co_u32 v24, vcc_lo, v20, v25
	v_add_co_ci_u32_e32 v25, vcc_lo, v21, v26, vcc_lo
	global_store_b16 v[24:25], v27, off
	s_or_b32 exec_lo, exec_lo, s8
	s_and_b32 s8, s3, s4
	s_delay_alu instid0(SALU_CYCLE_1)
	s_and_saveexec_b32 s4, s8
	s_cbranch_execz .LBB268_264
.LBB268_260:
	v_cmp_ne_u32_e32 vcc_lo, 1, v70
	s_cbranch_vccnz .LBB268_262
; %bb.261:
	v_lshlrev_b64 v[24:25], 1, v[46:47]
	s_delay_alu instid0(VALU_DEP_1) | instskip(NEXT) | instid1(VALU_DEP_2)
	v_add_co_u32 v22, vcc_lo, v22, v24
	v_add_co_ci_u32_e32 v23, vcc_lo, v23, v25, vcc_lo
	flat_load_u16 v22, v[22:23]
	s_waitcnt vmcnt(0) lgkmcnt(0)
	v_mul_f16_e32 v22, s7, v22
	s_branch .LBB268_263
.LBB268_262:
	v_mov_b32_e32 v22, 0
.LBB268_263:
	v_pk_add_f16 v16, v2, v16
	v_pk_max_f16 v23, v68, v68
	v_pk_add_f16 v17, v3, v17
	s_delay_alu instid0(VALU_DEP_2) | instskip(NEXT) | instid1(VALU_DEP_1)
	v_pk_min_f16 v16, v23, v16
	v_pk_min_f16 v23, v16, v17
	v_lshlrev_b64 v[16:17], 1, v[46:47]
	s_delay_alu instid0(VALU_DEP_2) | instskip(NEXT) | instid1(VALU_DEP_2)
	v_lshrrev_b32_e32 v24, 16, v23
	v_add_co_u32 v16, vcc_lo, v20, v16
	s_delay_alu instid0(VALU_DEP_3) | instskip(NEXT) | instid1(VALU_DEP_3)
	v_add_co_ci_u32_e32 v17, vcc_lo, v21, v17, vcc_lo
	v_min3_f16 v22, v22, v23, v24
	global_store_b16 v[16:17], v22, off
.LBB268_264:
	s_or_b32 exec_lo, exec_lo, s4
	v_add_nc_u32_e32 v22, 0x58, v73
	s_delay_alu instid0(VALU_DEP_1) | instskip(SKIP_2) | instid1(VALU_DEP_3)
	v_mad_i64_i32 v[16:17], null, v22, s6, 0
	v_mad_i64_i32 v[20:21], null, v22, s5, 0
	v_cmp_gt_i32_e64 s4, s9, v22
	v_lshlrev_b64 v[16:17], 1, v[16:17]
	s_delay_alu instid0(VALU_DEP_2) | instskip(NEXT) | instid1(VALU_DEP_3)
	s_and_b32 s14, s0, s4
	v_lshlrev_b64 v[22:23], 1, v[20:21]
	s_delay_alu instid0(VALU_DEP_2) | instskip(NEXT) | instid1(VALU_DEP_3)
	v_add_co_u32 v20, vcc_lo, s12, v16
	v_add_co_ci_u32_e32 v21, vcc_lo, s13, v17, vcc_lo
	s_delay_alu instid0(VALU_DEP_3) | instskip(NEXT) | instid1(VALU_DEP_4)
	v_add_co_u32 v16, vcc_lo, s10, v22
	v_add_co_ci_u32_e32 v17, vcc_lo, s11, v23, vcc_lo
	s_and_saveexec_b32 s8, s14
	s_cbranch_execnz .LBB268_268
; %bb.265:
	s_or_b32 exec_lo, exec_lo, s8
	s_and_b32 s14, s1, s4
	s_delay_alu instid0(SALU_CYCLE_1)
	s_and_saveexec_b32 s8, s14
	s_cbranch_execnz .LBB268_272
.LBB268_266:
	s_or_b32 exec_lo, exec_lo, s8
	s_and_b32 s14, s2, s4
	s_delay_alu instid0(SALU_CYCLE_1)
	s_and_saveexec_b32 s8, s14
	s_cbranch_execnz .LBB268_276
.LBB268_267:
	s_or_b32 exec_lo, exec_lo, s8
	s_and_b32 s8, s3, s4
	s_delay_alu instid0(SALU_CYCLE_1)
	s_and_saveexec_b32 s4, s8
	s_cbranch_execnz .LBB268_280
	s_branch .LBB268_284
.LBB268_268:
	v_cmp_ne_u32_e32 vcc_lo, 1, v70
	s_cbranch_vccnz .LBB268_270
; %bb.269:
	v_lshlrev_b64 v[22:23], 1, v[40:41]
	s_delay_alu instid0(VALU_DEP_1) | instskip(NEXT) | instid1(VALU_DEP_2)
	v_add_co_u32 v22, vcc_lo, v20, v22
	v_add_co_ci_u32_e32 v23, vcc_lo, v21, v23, vcc_lo
	flat_load_u16 v22, v[22:23]
	s_waitcnt vmcnt(0) lgkmcnt(0)
	v_mul_f16_e32 v22, s7, v22
	s_branch .LBB268_271
.LBB268_270:
	v_mov_b32_e32 v22, 0
.LBB268_271:
	v_pk_add_f16 v23, v8, v18
	v_pk_max_f16 v24, v67, v67
	v_pk_add_f16 v25, v9, v19
	s_delay_alu instid0(VALU_DEP_2) | instskip(NEXT) | instid1(VALU_DEP_1)
	v_pk_min_f16 v23, v24, v23
	v_pk_min_f16 v25, v23, v25
	v_lshlrev_b64 v[23:24], 1, v[40:41]
	s_delay_alu instid0(VALU_DEP_2) | instskip(NEXT) | instid1(VALU_DEP_1)
	v_lshrrev_b32_e32 v26, 16, v25
	v_min3_f16 v25, v22, v25, v26
	s_delay_alu instid0(VALU_DEP_3) | instskip(NEXT) | instid1(VALU_DEP_4)
	v_add_co_u32 v22, vcc_lo, v16, v23
	v_add_co_ci_u32_e32 v23, vcc_lo, v17, v24, vcc_lo
	global_store_b16 v[22:23], v25, off
	s_or_b32 exec_lo, exec_lo, s8
	s_and_b32 s14, s1, s4
	s_delay_alu instid0(SALU_CYCLE_1)
	s_and_saveexec_b32 s8, s14
	s_cbranch_execz .LBB268_266
.LBB268_272:
	v_cmp_ne_u32_e32 vcc_lo, 1, v70
	s_cbranch_vccnz .LBB268_274
; %bb.273:
	v_lshlrev_b64 v[22:23], 1, v[42:43]
	s_delay_alu instid0(VALU_DEP_1) | instskip(NEXT) | instid1(VALU_DEP_2)
	v_add_co_u32 v22, vcc_lo, v20, v22
	v_add_co_ci_u32_e32 v23, vcc_lo, v21, v23, vcc_lo
	flat_load_u16 v22, v[22:23]
	s_waitcnt vmcnt(0) lgkmcnt(0)
	v_mul_f16_e32 v22, s7, v22
	s_branch .LBB268_275
.LBB268_274:
	v_mov_b32_e32 v22, 0
.LBB268_275:
	v_pk_add_f16 v23, v10, v18
	v_pk_max_f16 v24, v66, v66
	v_pk_add_f16 v25, v11, v19
	s_delay_alu instid0(VALU_DEP_2) | instskip(NEXT) | instid1(VALU_DEP_1)
	v_pk_min_f16 v23, v24, v23
	v_pk_min_f16 v25, v23, v25
	v_lshlrev_b64 v[23:24], 1, v[42:43]
	s_delay_alu instid0(VALU_DEP_2) | instskip(NEXT) | instid1(VALU_DEP_1)
	v_lshrrev_b32_e32 v26, 16, v25
	v_min3_f16 v25, v22, v25, v26
	s_delay_alu instid0(VALU_DEP_3) | instskip(NEXT) | instid1(VALU_DEP_4)
	v_add_co_u32 v22, vcc_lo, v16, v23
	v_add_co_ci_u32_e32 v23, vcc_lo, v17, v24, vcc_lo
	global_store_b16 v[22:23], v25, off
	s_or_b32 exec_lo, exec_lo, s8
	s_and_b32 s14, s2, s4
	s_delay_alu instid0(SALU_CYCLE_1)
	s_and_saveexec_b32 s8, s14
	s_cbranch_execz .LBB268_267
.LBB268_276:
	v_cmp_ne_u32_e32 vcc_lo, 1, v70
	s_cbranch_vccnz .LBB268_278
; %bb.277:
	v_lshlrev_b64 v[22:23], 1, v[44:45]
	s_delay_alu instid0(VALU_DEP_1) | instskip(NEXT) | instid1(VALU_DEP_2)
	v_add_co_u32 v22, vcc_lo, v20, v22
	v_add_co_ci_u32_e32 v23, vcc_lo, v21, v23, vcc_lo
	flat_load_u16 v22, v[22:23]
	s_waitcnt vmcnt(0) lgkmcnt(0)
	v_mul_f16_e32 v22, s7, v22
	s_branch .LBB268_279
.LBB268_278:
	v_mov_b32_e32 v22, 0
.LBB268_279:
	v_pk_add_f16 v23, v0, v18
	v_pk_max_f16 v24, v65, v65
	v_pk_add_f16 v25, v1, v19
	s_delay_alu instid0(VALU_DEP_2) | instskip(NEXT) | instid1(VALU_DEP_1)
	v_pk_min_f16 v23, v24, v23
	v_pk_min_f16 v25, v23, v25
	v_lshlrev_b64 v[23:24], 1, v[44:45]
	s_delay_alu instid0(VALU_DEP_2) | instskip(NEXT) | instid1(VALU_DEP_1)
	v_lshrrev_b32_e32 v26, 16, v25
	v_min3_f16 v25, v22, v25, v26
	s_delay_alu instid0(VALU_DEP_3) | instskip(NEXT) | instid1(VALU_DEP_4)
	v_add_co_u32 v22, vcc_lo, v16, v23
	v_add_co_ci_u32_e32 v23, vcc_lo, v17, v24, vcc_lo
	global_store_b16 v[22:23], v25, off
	s_or_b32 exec_lo, exec_lo, s8
	s_and_b32 s8, s3, s4
	s_delay_alu instid0(SALU_CYCLE_1)
	s_and_saveexec_b32 s4, s8
	s_cbranch_execz .LBB268_284
.LBB268_280:
	v_cmp_ne_u32_e32 vcc_lo, 1, v70
	s_cbranch_vccnz .LBB268_282
; %bb.281:
	v_lshlrev_b64 v[22:23], 1, v[46:47]
	s_delay_alu instid0(VALU_DEP_1) | instskip(NEXT) | instid1(VALU_DEP_2)
	v_add_co_u32 v20, vcc_lo, v20, v22
	v_add_co_ci_u32_e32 v21, vcc_lo, v21, v23, vcc_lo
	flat_load_u16 v20, v[20:21]
	s_waitcnt vmcnt(0) lgkmcnt(0)
	v_mul_f16_e32 v20, s7, v20
	s_branch .LBB268_283
.LBB268_282:
	v_mov_b32_e32 v20, 0
.LBB268_283:
	v_pk_add_f16 v18, v2, v18
	v_pk_max_f16 v21, v64, v64
	v_pk_add_f16 v19, v3, v19
	s_delay_alu instid0(VALU_DEP_2) | instskip(NEXT) | instid1(VALU_DEP_1)
	v_pk_min_f16 v18, v21, v18
	v_pk_min_f16 v21, v18, v19
	v_lshlrev_b64 v[18:19], 1, v[46:47]
	s_delay_alu instid0(VALU_DEP_2) | instskip(NEXT) | instid1(VALU_DEP_2)
	v_lshrrev_b32_e32 v22, 16, v21
	v_add_co_u32 v16, vcc_lo, v16, v18
	s_delay_alu instid0(VALU_DEP_3) | instskip(NEXT) | instid1(VALU_DEP_3)
	v_add_co_ci_u32_e32 v17, vcc_lo, v17, v19, vcc_lo
	v_min3_f16 v20, v20, v21, v22
	global_store_b16 v[16:17], v20, off
.LBB268_284:
	s_or_b32 exec_lo, exec_lo, s4
	v_add_nc_u32_e32 v20, 0x60, v73
	s_delay_alu instid0(VALU_DEP_1) | instskip(SKIP_2) | instid1(VALU_DEP_3)
	v_mad_i64_i32 v[16:17], null, v20, s6, 0
	v_mad_i64_i32 v[18:19], null, v20, s5, 0
	v_cmp_gt_i32_e64 s4, s9, v20
	v_lshlrev_b64 v[16:17], 1, v[16:17]
	s_delay_alu instid0(VALU_DEP_2) | instskip(NEXT) | instid1(VALU_DEP_3)
	s_and_b32 s14, s0, s4
	v_lshlrev_b64 v[20:21], 1, v[18:19]
	s_delay_alu instid0(VALU_DEP_2) | instskip(NEXT) | instid1(VALU_DEP_3)
	v_add_co_u32 v18, vcc_lo, s12, v16
	v_add_co_ci_u32_e32 v19, vcc_lo, s13, v17, vcc_lo
	s_delay_alu instid0(VALU_DEP_3) | instskip(NEXT) | instid1(VALU_DEP_4)
	v_add_co_u32 v16, vcc_lo, s10, v20
	v_add_co_ci_u32_e32 v17, vcc_lo, s11, v21, vcc_lo
	s_and_saveexec_b32 s8, s14
	s_cbranch_execnz .LBB268_288
; %bb.285:
	s_or_b32 exec_lo, exec_lo, s8
	s_and_b32 s14, s1, s4
	s_delay_alu instid0(SALU_CYCLE_1)
	s_and_saveexec_b32 s8, s14
	s_cbranch_execnz .LBB268_292
.LBB268_286:
	s_or_b32 exec_lo, exec_lo, s8
	s_and_b32 s14, s2, s4
	s_delay_alu instid0(SALU_CYCLE_1)
	s_and_saveexec_b32 s8, s14
	s_cbranch_execnz .LBB268_296
.LBB268_287:
	s_or_b32 exec_lo, exec_lo, s8
	s_and_b32 s8, s3, s4
	s_delay_alu instid0(SALU_CYCLE_1)
	s_and_saveexec_b32 s4, s8
	s_cbranch_execnz .LBB268_300
	s_branch .LBB268_304
.LBB268_288:
	v_cmp_ne_u32_e32 vcc_lo, 1, v70
	s_cbranch_vccnz .LBB268_290
; %bb.289:
	v_lshlrev_b64 v[20:21], 1, v[40:41]
	s_delay_alu instid0(VALU_DEP_1) | instskip(NEXT) | instid1(VALU_DEP_2)
	v_add_co_u32 v20, vcc_lo, v18, v20
	v_add_co_ci_u32_e32 v21, vcc_lo, v19, v21, vcc_lo
	flat_load_u16 v20, v[20:21]
	s_waitcnt vmcnt(0) lgkmcnt(0)
	v_mul_f16_e32 v20, s7, v20
	s_branch .LBB268_291
.LBB268_290:
	v_mov_b32_e32 v20, 0
.LBB268_291:
	v_pk_add_f16 v21, v8, v12
	v_pk_max_f16 v22, v63, v63
	v_pk_add_f16 v23, v9, v13
	s_delay_alu instid0(VALU_DEP_2) | instskip(NEXT) | instid1(VALU_DEP_1)
	v_pk_min_f16 v21, v22, v21
	v_pk_min_f16 v23, v21, v23
	v_lshlrev_b64 v[21:22], 1, v[40:41]
	s_delay_alu instid0(VALU_DEP_2) | instskip(NEXT) | instid1(VALU_DEP_1)
	v_lshrrev_b32_e32 v24, 16, v23
	v_min3_f16 v23, v20, v23, v24
	s_delay_alu instid0(VALU_DEP_3) | instskip(NEXT) | instid1(VALU_DEP_4)
	v_add_co_u32 v20, vcc_lo, v16, v21
	v_add_co_ci_u32_e32 v21, vcc_lo, v17, v22, vcc_lo
	global_store_b16 v[20:21], v23, off
	s_or_b32 exec_lo, exec_lo, s8
	s_and_b32 s14, s1, s4
	s_delay_alu instid0(SALU_CYCLE_1)
	s_and_saveexec_b32 s8, s14
	s_cbranch_execz .LBB268_286
.LBB268_292:
	v_cmp_ne_u32_e32 vcc_lo, 1, v70
	s_cbranch_vccnz .LBB268_294
; %bb.293:
	v_lshlrev_b64 v[20:21], 1, v[42:43]
	s_delay_alu instid0(VALU_DEP_1) | instskip(NEXT) | instid1(VALU_DEP_2)
	v_add_co_u32 v20, vcc_lo, v18, v20
	v_add_co_ci_u32_e32 v21, vcc_lo, v19, v21, vcc_lo
	flat_load_u16 v20, v[20:21]
	s_waitcnt vmcnt(0) lgkmcnt(0)
	v_mul_f16_e32 v20, s7, v20
	s_branch .LBB268_295
.LBB268_294:
	v_mov_b32_e32 v20, 0
.LBB268_295:
	v_pk_add_f16 v21, v10, v12
	v_pk_max_f16 v22, v62, v62
	v_pk_add_f16 v23, v11, v13
	s_delay_alu instid0(VALU_DEP_2) | instskip(NEXT) | instid1(VALU_DEP_1)
	v_pk_min_f16 v21, v22, v21
	v_pk_min_f16 v23, v21, v23
	v_lshlrev_b64 v[21:22], 1, v[42:43]
	s_delay_alu instid0(VALU_DEP_2) | instskip(NEXT) | instid1(VALU_DEP_1)
	v_lshrrev_b32_e32 v24, 16, v23
	v_min3_f16 v23, v20, v23, v24
	s_delay_alu instid0(VALU_DEP_3) | instskip(NEXT) | instid1(VALU_DEP_4)
	v_add_co_u32 v20, vcc_lo, v16, v21
	v_add_co_ci_u32_e32 v21, vcc_lo, v17, v22, vcc_lo
	global_store_b16 v[20:21], v23, off
	s_or_b32 exec_lo, exec_lo, s8
	s_and_b32 s14, s2, s4
	s_delay_alu instid0(SALU_CYCLE_1)
	s_and_saveexec_b32 s8, s14
	s_cbranch_execz .LBB268_287
.LBB268_296:
	v_cmp_ne_u32_e32 vcc_lo, 1, v70
	s_cbranch_vccnz .LBB268_298
; %bb.297:
	v_lshlrev_b64 v[20:21], 1, v[44:45]
	s_delay_alu instid0(VALU_DEP_1) | instskip(NEXT) | instid1(VALU_DEP_2)
	v_add_co_u32 v20, vcc_lo, v18, v20
	v_add_co_ci_u32_e32 v21, vcc_lo, v19, v21, vcc_lo
	flat_load_u16 v20, v[20:21]
	s_waitcnt vmcnt(0) lgkmcnt(0)
	v_mul_f16_e32 v20, s7, v20
	s_branch .LBB268_299
.LBB268_298:
	v_mov_b32_e32 v20, 0
.LBB268_299:
	v_pk_add_f16 v21, v0, v12
	v_pk_max_f16 v22, v61, v61
	v_pk_add_f16 v23, v1, v13
	s_delay_alu instid0(VALU_DEP_2) | instskip(NEXT) | instid1(VALU_DEP_1)
	v_pk_min_f16 v21, v22, v21
	v_pk_min_f16 v23, v21, v23
	v_lshlrev_b64 v[21:22], 1, v[44:45]
	s_delay_alu instid0(VALU_DEP_2) | instskip(NEXT) | instid1(VALU_DEP_1)
	v_lshrrev_b32_e32 v24, 16, v23
	v_min3_f16 v23, v20, v23, v24
	s_delay_alu instid0(VALU_DEP_3) | instskip(NEXT) | instid1(VALU_DEP_4)
	v_add_co_u32 v20, vcc_lo, v16, v21
	v_add_co_ci_u32_e32 v21, vcc_lo, v17, v22, vcc_lo
	global_store_b16 v[20:21], v23, off
	s_or_b32 exec_lo, exec_lo, s8
	s_and_b32 s8, s3, s4
	s_delay_alu instid0(SALU_CYCLE_1)
	s_and_saveexec_b32 s4, s8
	s_cbranch_execz .LBB268_304
.LBB268_300:
	v_cmp_ne_u32_e32 vcc_lo, 1, v70
	s_cbranch_vccnz .LBB268_302
; %bb.301:
	v_lshlrev_b64 v[20:21], 1, v[46:47]
	s_delay_alu instid0(VALU_DEP_1) | instskip(NEXT) | instid1(VALU_DEP_2)
	v_add_co_u32 v18, vcc_lo, v18, v20
	v_add_co_ci_u32_e32 v19, vcc_lo, v19, v21, vcc_lo
	flat_load_u16 v18, v[18:19]
	s_waitcnt vmcnt(0) lgkmcnt(0)
	v_mul_f16_e32 v18, s7, v18
	s_branch .LBB268_303
.LBB268_302:
	v_mov_b32_e32 v18, 0
.LBB268_303:
	v_pk_add_f16 v12, v2, v12
	v_pk_max_f16 v19, v60, v60
	v_pk_add_f16 v13, v3, v13
	s_delay_alu instid0(VALU_DEP_2) | instskip(NEXT) | instid1(VALU_DEP_1)
	v_pk_min_f16 v12, v19, v12
	v_pk_min_f16 v19, v12, v13
	v_lshlrev_b64 v[12:13], 1, v[46:47]
	s_delay_alu instid0(VALU_DEP_2) | instskip(NEXT) | instid1(VALU_DEP_2)
	v_lshrrev_b32_e32 v20, 16, v19
	v_add_co_u32 v12, vcc_lo, v16, v12
	s_delay_alu instid0(VALU_DEP_3) | instskip(NEXT) | instid1(VALU_DEP_3)
	v_add_co_ci_u32_e32 v13, vcc_lo, v17, v13, vcc_lo
	v_min3_f16 v18, v18, v19, v20
	global_store_b16 v[12:13], v18, off
.LBB268_304:
	s_or_b32 exec_lo, exec_lo, s4
	v_add_nc_u32_e32 v18, 0x68, v73
	s_delay_alu instid0(VALU_DEP_1) | instskip(SKIP_2) | instid1(VALU_DEP_3)
	v_mad_i64_i32 v[12:13], null, v18, s6, 0
	v_mad_i64_i32 v[16:17], null, v18, s5, 0
	v_cmp_gt_i32_e64 s4, s9, v18
	v_lshlrev_b64 v[12:13], 1, v[12:13]
	s_delay_alu instid0(VALU_DEP_2) | instskip(NEXT) | instid1(VALU_DEP_3)
	s_and_b32 s14, s0, s4
	v_lshlrev_b64 v[18:19], 1, v[16:17]
	s_delay_alu instid0(VALU_DEP_2) | instskip(NEXT) | instid1(VALU_DEP_3)
	v_add_co_u32 v16, vcc_lo, s12, v12
	v_add_co_ci_u32_e32 v17, vcc_lo, s13, v13, vcc_lo
	s_delay_alu instid0(VALU_DEP_3) | instskip(NEXT) | instid1(VALU_DEP_4)
	v_add_co_u32 v12, vcc_lo, s10, v18
	v_add_co_ci_u32_e32 v13, vcc_lo, s11, v19, vcc_lo
	s_and_saveexec_b32 s8, s14
	s_cbranch_execnz .LBB268_308
; %bb.305:
	s_or_b32 exec_lo, exec_lo, s8
	s_and_b32 s14, s1, s4
	s_delay_alu instid0(SALU_CYCLE_1)
	s_and_saveexec_b32 s8, s14
	s_cbranch_execnz .LBB268_312
.LBB268_306:
	s_or_b32 exec_lo, exec_lo, s8
	s_and_b32 s14, s2, s4
	s_delay_alu instid0(SALU_CYCLE_1)
	s_and_saveexec_b32 s8, s14
	s_cbranch_execnz .LBB268_316
.LBB268_307:
	s_or_b32 exec_lo, exec_lo, s8
	s_and_b32 s8, s3, s4
	s_delay_alu instid0(SALU_CYCLE_1)
	s_and_saveexec_b32 s4, s8
	s_cbranch_execnz .LBB268_320
	s_branch .LBB268_324
.LBB268_308:
	v_cmp_ne_u32_e32 vcc_lo, 1, v70
	s_cbranch_vccnz .LBB268_310
; %bb.309:
	v_lshlrev_b64 v[18:19], 1, v[40:41]
	s_delay_alu instid0(VALU_DEP_1) | instskip(NEXT) | instid1(VALU_DEP_2)
	v_add_co_u32 v18, vcc_lo, v16, v18
	v_add_co_ci_u32_e32 v19, vcc_lo, v17, v19, vcc_lo
	flat_load_u16 v18, v[18:19]
	s_waitcnt vmcnt(0) lgkmcnt(0)
	v_mul_f16_e32 v18, s7, v18
	s_branch .LBB268_311
.LBB268_310:
	v_mov_b32_e32 v18, 0
.LBB268_311:
	v_pk_add_f16 v19, v8, v14
	v_pk_max_f16 v20, v59, v59
	v_pk_add_f16 v21, v9, v15
	s_delay_alu instid0(VALU_DEP_2) | instskip(NEXT) | instid1(VALU_DEP_1)
	v_pk_min_f16 v19, v20, v19
	v_pk_min_f16 v21, v19, v21
	v_lshlrev_b64 v[19:20], 1, v[40:41]
	s_delay_alu instid0(VALU_DEP_2) | instskip(NEXT) | instid1(VALU_DEP_1)
	v_lshrrev_b32_e32 v22, 16, v21
	v_min3_f16 v21, v18, v21, v22
	s_delay_alu instid0(VALU_DEP_3) | instskip(NEXT) | instid1(VALU_DEP_4)
	v_add_co_u32 v18, vcc_lo, v12, v19
	v_add_co_ci_u32_e32 v19, vcc_lo, v13, v20, vcc_lo
	global_store_b16 v[18:19], v21, off
	s_or_b32 exec_lo, exec_lo, s8
	s_and_b32 s14, s1, s4
	s_delay_alu instid0(SALU_CYCLE_1)
	s_and_saveexec_b32 s8, s14
	s_cbranch_execz .LBB268_306
.LBB268_312:
	v_cmp_ne_u32_e32 vcc_lo, 1, v70
	s_cbranch_vccnz .LBB268_314
; %bb.313:
	v_lshlrev_b64 v[18:19], 1, v[42:43]
	s_delay_alu instid0(VALU_DEP_1) | instskip(NEXT) | instid1(VALU_DEP_2)
	v_add_co_u32 v18, vcc_lo, v16, v18
	v_add_co_ci_u32_e32 v19, vcc_lo, v17, v19, vcc_lo
	flat_load_u16 v18, v[18:19]
	s_waitcnt vmcnt(0) lgkmcnt(0)
	v_mul_f16_e32 v18, s7, v18
	s_branch .LBB268_315
.LBB268_314:
	v_mov_b32_e32 v18, 0
.LBB268_315:
	v_pk_add_f16 v19, v10, v14
	v_pk_max_f16 v20, v58, v58
	v_pk_add_f16 v21, v11, v15
	s_delay_alu instid0(VALU_DEP_2) | instskip(NEXT) | instid1(VALU_DEP_1)
	v_pk_min_f16 v19, v20, v19
	v_pk_min_f16 v21, v19, v21
	v_lshlrev_b64 v[19:20], 1, v[42:43]
	s_delay_alu instid0(VALU_DEP_2) | instskip(NEXT) | instid1(VALU_DEP_1)
	v_lshrrev_b32_e32 v22, 16, v21
	v_min3_f16 v21, v18, v21, v22
	s_delay_alu instid0(VALU_DEP_3) | instskip(NEXT) | instid1(VALU_DEP_4)
	v_add_co_u32 v18, vcc_lo, v12, v19
	v_add_co_ci_u32_e32 v19, vcc_lo, v13, v20, vcc_lo
	global_store_b16 v[18:19], v21, off
	s_or_b32 exec_lo, exec_lo, s8
	s_and_b32 s14, s2, s4
	s_delay_alu instid0(SALU_CYCLE_1)
	s_and_saveexec_b32 s8, s14
	s_cbranch_execz .LBB268_307
.LBB268_316:
	v_cmp_ne_u32_e32 vcc_lo, 1, v70
	s_cbranch_vccnz .LBB268_318
; %bb.317:
	v_lshlrev_b64 v[18:19], 1, v[44:45]
	s_delay_alu instid0(VALU_DEP_1) | instskip(NEXT) | instid1(VALU_DEP_2)
	v_add_co_u32 v18, vcc_lo, v16, v18
	v_add_co_ci_u32_e32 v19, vcc_lo, v17, v19, vcc_lo
	flat_load_u16 v18, v[18:19]
	s_waitcnt vmcnt(0) lgkmcnt(0)
	v_mul_f16_e32 v18, s7, v18
	s_branch .LBB268_319
.LBB268_318:
	v_mov_b32_e32 v18, 0
.LBB268_319:
	v_pk_add_f16 v19, v0, v14
	v_pk_max_f16 v20, v57, v57
	v_pk_add_f16 v21, v1, v15
	s_delay_alu instid0(VALU_DEP_2) | instskip(NEXT) | instid1(VALU_DEP_1)
	v_pk_min_f16 v19, v20, v19
	v_pk_min_f16 v21, v19, v21
	v_lshlrev_b64 v[19:20], 1, v[44:45]
	s_delay_alu instid0(VALU_DEP_2) | instskip(NEXT) | instid1(VALU_DEP_1)
	v_lshrrev_b32_e32 v22, 16, v21
	v_min3_f16 v21, v18, v21, v22
	s_delay_alu instid0(VALU_DEP_3) | instskip(NEXT) | instid1(VALU_DEP_4)
	v_add_co_u32 v18, vcc_lo, v12, v19
	v_add_co_ci_u32_e32 v19, vcc_lo, v13, v20, vcc_lo
	global_store_b16 v[18:19], v21, off
	s_or_b32 exec_lo, exec_lo, s8
	s_and_b32 s8, s3, s4
	s_delay_alu instid0(SALU_CYCLE_1)
	s_and_saveexec_b32 s4, s8
	s_cbranch_execz .LBB268_324
.LBB268_320:
	v_cmp_ne_u32_e32 vcc_lo, 1, v70
	s_cbranch_vccnz .LBB268_322
; %bb.321:
	v_lshlrev_b64 v[18:19], 1, v[46:47]
	s_delay_alu instid0(VALU_DEP_1) | instskip(NEXT) | instid1(VALU_DEP_2)
	v_add_co_u32 v16, vcc_lo, v16, v18
	v_add_co_ci_u32_e32 v17, vcc_lo, v17, v19, vcc_lo
	flat_load_u16 v16, v[16:17]
	s_waitcnt vmcnt(0) lgkmcnt(0)
	v_mul_f16_e32 v16, s7, v16
	s_branch .LBB268_323
.LBB268_322:
	v_mov_b32_e32 v16, 0
.LBB268_323:
	v_pk_add_f16 v14, v2, v14
	v_pk_max_f16 v17, v56, v56
	v_pk_add_f16 v15, v3, v15
	s_delay_alu instid0(VALU_DEP_2) | instskip(NEXT) | instid1(VALU_DEP_1)
	v_pk_min_f16 v14, v17, v14
	v_pk_min_f16 v17, v14, v15
	v_lshlrev_b64 v[14:15], 1, v[46:47]
	s_delay_alu instid0(VALU_DEP_2) | instskip(NEXT) | instid1(VALU_DEP_2)
	v_lshrrev_b32_e32 v18, 16, v17
	v_add_co_u32 v12, vcc_lo, v12, v14
	s_delay_alu instid0(VALU_DEP_3) | instskip(NEXT) | instid1(VALU_DEP_3)
	v_add_co_ci_u32_e32 v13, vcc_lo, v13, v15, vcc_lo
	v_min3_f16 v16, v16, v17, v18
	global_store_b16 v[12:13], v16, off
.LBB268_324:
	s_or_b32 exec_lo, exec_lo, s4
	v_add_nc_u32_e32 v16, 0x70, v73
	s_delay_alu instid0(VALU_DEP_1) | instskip(SKIP_2) | instid1(VALU_DEP_3)
	v_mad_i64_i32 v[12:13], null, v16, s6, 0
	v_mad_i64_i32 v[14:15], null, v16, s5, 0
	v_cmp_gt_i32_e64 s4, s9, v16
	v_lshlrev_b64 v[12:13], 1, v[12:13]
	s_delay_alu instid0(VALU_DEP_2) | instskip(NEXT) | instid1(VALU_DEP_3)
	s_and_b32 s14, s0, s4
	v_lshlrev_b64 v[16:17], 1, v[14:15]
	s_delay_alu instid0(VALU_DEP_2) | instskip(NEXT) | instid1(VALU_DEP_3)
	v_add_co_u32 v14, vcc_lo, s12, v12
	v_add_co_ci_u32_e32 v15, vcc_lo, s13, v13, vcc_lo
	s_delay_alu instid0(VALU_DEP_3) | instskip(NEXT) | instid1(VALU_DEP_4)
	v_add_co_u32 v12, vcc_lo, s10, v16
	v_add_co_ci_u32_e32 v13, vcc_lo, s11, v17, vcc_lo
	s_and_saveexec_b32 s8, s14
	s_cbranch_execnz .LBB268_328
; %bb.325:
	s_or_b32 exec_lo, exec_lo, s8
	s_and_b32 s14, s1, s4
	s_delay_alu instid0(SALU_CYCLE_1)
	s_and_saveexec_b32 s8, s14
	s_cbranch_execnz .LBB268_332
.LBB268_326:
	s_or_b32 exec_lo, exec_lo, s8
	s_and_b32 s14, s2, s4
	s_delay_alu instid0(SALU_CYCLE_1)
	s_and_saveexec_b32 s8, s14
	s_cbranch_execnz .LBB268_336
.LBB268_327:
	s_or_b32 exec_lo, exec_lo, s8
	s_and_b32 s8, s3, s4
	s_delay_alu instid0(SALU_CYCLE_1)
	s_and_saveexec_b32 s4, s8
	s_cbranch_execnz .LBB268_340
	s_branch .LBB268_344
.LBB268_328:
	v_cmp_ne_u32_e32 vcc_lo, 1, v70
	s_cbranch_vccnz .LBB268_330
; %bb.329:
	v_lshlrev_b64 v[16:17], 1, v[40:41]
	s_delay_alu instid0(VALU_DEP_1) | instskip(NEXT) | instid1(VALU_DEP_2)
	v_add_co_u32 v16, vcc_lo, v14, v16
	v_add_co_ci_u32_e32 v17, vcc_lo, v15, v17, vcc_lo
	flat_load_u16 v16, v[16:17]
	s_waitcnt vmcnt(0) lgkmcnt(0)
	v_mul_f16_e32 v16, s7, v16
	s_branch .LBB268_331
.LBB268_330:
	v_mov_b32_e32 v16, 0
.LBB268_331:
	v_pk_add_f16 v17, v8, v4
	v_pk_max_f16 v18, v55, v55
	v_pk_add_f16 v19, v9, v5
	s_delay_alu instid0(VALU_DEP_2) | instskip(NEXT) | instid1(VALU_DEP_1)
	v_pk_min_f16 v17, v18, v17
	v_pk_min_f16 v19, v17, v19
	v_lshlrev_b64 v[17:18], 1, v[40:41]
	s_delay_alu instid0(VALU_DEP_2) | instskip(NEXT) | instid1(VALU_DEP_1)
	v_lshrrev_b32_e32 v20, 16, v19
	v_min3_f16 v19, v16, v19, v20
	s_delay_alu instid0(VALU_DEP_3) | instskip(NEXT) | instid1(VALU_DEP_4)
	v_add_co_u32 v16, vcc_lo, v12, v17
	v_add_co_ci_u32_e32 v17, vcc_lo, v13, v18, vcc_lo
	global_store_b16 v[16:17], v19, off
	s_or_b32 exec_lo, exec_lo, s8
	s_and_b32 s14, s1, s4
	s_delay_alu instid0(SALU_CYCLE_1)
	s_and_saveexec_b32 s8, s14
	s_cbranch_execz .LBB268_326
.LBB268_332:
	v_cmp_ne_u32_e32 vcc_lo, 1, v70
	s_cbranch_vccnz .LBB268_334
; %bb.333:
	v_lshlrev_b64 v[16:17], 1, v[42:43]
	s_delay_alu instid0(VALU_DEP_1) | instskip(NEXT) | instid1(VALU_DEP_2)
	v_add_co_u32 v16, vcc_lo, v14, v16
	v_add_co_ci_u32_e32 v17, vcc_lo, v15, v17, vcc_lo
	flat_load_u16 v16, v[16:17]
	s_waitcnt vmcnt(0) lgkmcnt(0)
	v_mul_f16_e32 v16, s7, v16
	s_branch .LBB268_335
.LBB268_334:
	v_mov_b32_e32 v16, 0
.LBB268_335:
	v_pk_add_f16 v17, v10, v4
	v_pk_max_f16 v18, v54, v54
	v_pk_add_f16 v19, v11, v5
	s_delay_alu instid0(VALU_DEP_2) | instskip(NEXT) | instid1(VALU_DEP_1)
	v_pk_min_f16 v17, v18, v17
	v_pk_min_f16 v19, v17, v19
	v_lshlrev_b64 v[17:18], 1, v[42:43]
	s_delay_alu instid0(VALU_DEP_2) | instskip(NEXT) | instid1(VALU_DEP_1)
	v_lshrrev_b32_e32 v20, 16, v19
	v_min3_f16 v19, v16, v19, v20
	s_delay_alu instid0(VALU_DEP_3) | instskip(NEXT) | instid1(VALU_DEP_4)
	v_add_co_u32 v16, vcc_lo, v12, v17
	v_add_co_ci_u32_e32 v17, vcc_lo, v13, v18, vcc_lo
	global_store_b16 v[16:17], v19, off
	s_or_b32 exec_lo, exec_lo, s8
	s_and_b32 s14, s2, s4
	s_delay_alu instid0(SALU_CYCLE_1)
	s_and_saveexec_b32 s8, s14
	s_cbranch_execz .LBB268_327
.LBB268_336:
	v_cmp_ne_u32_e32 vcc_lo, 1, v70
	s_cbranch_vccnz .LBB268_338
; %bb.337:
	v_lshlrev_b64 v[16:17], 1, v[44:45]
	s_delay_alu instid0(VALU_DEP_1) | instskip(NEXT) | instid1(VALU_DEP_2)
	v_add_co_u32 v16, vcc_lo, v14, v16
	v_add_co_ci_u32_e32 v17, vcc_lo, v15, v17, vcc_lo
	flat_load_u16 v16, v[16:17]
	s_waitcnt vmcnt(0) lgkmcnt(0)
	v_mul_f16_e32 v16, s7, v16
	s_branch .LBB268_339
.LBB268_338:
	v_mov_b32_e32 v16, 0
.LBB268_339:
	v_pk_add_f16 v17, v0, v4
	v_pk_max_f16 v18, v53, v53
	v_pk_add_f16 v19, v1, v5
	s_delay_alu instid0(VALU_DEP_2) | instskip(NEXT) | instid1(VALU_DEP_1)
	v_pk_min_f16 v17, v18, v17
	v_pk_min_f16 v19, v17, v19
	v_lshlrev_b64 v[17:18], 1, v[44:45]
	s_delay_alu instid0(VALU_DEP_2) | instskip(NEXT) | instid1(VALU_DEP_1)
	v_lshrrev_b32_e32 v20, 16, v19
	v_min3_f16 v19, v16, v19, v20
	s_delay_alu instid0(VALU_DEP_3) | instskip(NEXT) | instid1(VALU_DEP_4)
	v_add_co_u32 v16, vcc_lo, v12, v17
	v_add_co_ci_u32_e32 v17, vcc_lo, v13, v18, vcc_lo
	global_store_b16 v[16:17], v19, off
	s_or_b32 exec_lo, exec_lo, s8
	s_and_b32 s8, s3, s4
	s_delay_alu instid0(SALU_CYCLE_1)
	s_and_saveexec_b32 s4, s8
	s_cbranch_execz .LBB268_344
.LBB268_340:
	v_cmp_ne_u32_e32 vcc_lo, 1, v70
	s_cbranch_vccnz .LBB268_342
; %bb.341:
	v_lshlrev_b64 v[16:17], 1, v[46:47]
	s_delay_alu instid0(VALU_DEP_1) | instskip(NEXT) | instid1(VALU_DEP_2)
	v_add_co_u32 v14, vcc_lo, v14, v16
	v_add_co_ci_u32_e32 v15, vcc_lo, v15, v17, vcc_lo
	flat_load_u16 v14, v[14:15]
	s_waitcnt vmcnt(0) lgkmcnt(0)
	v_mul_f16_e32 v14, s7, v14
	s_branch .LBB268_343
.LBB268_342:
	v_mov_b32_e32 v14, 0
.LBB268_343:
	v_pk_add_f16 v4, v2, v4
	v_pk_max_f16 v15, v52, v52
	v_pk_add_f16 v5, v3, v5
	s_delay_alu instid0(VALU_DEP_2) | instskip(NEXT) | instid1(VALU_DEP_1)
	v_pk_min_f16 v4, v15, v4
	v_pk_min_f16 v15, v4, v5
	v_lshlrev_b64 v[4:5], 1, v[46:47]
	s_delay_alu instid0(VALU_DEP_2) | instskip(NEXT) | instid1(VALU_DEP_2)
	v_lshrrev_b32_e32 v16, 16, v15
	v_add_co_u32 v4, vcc_lo, v12, v4
	s_delay_alu instid0(VALU_DEP_3) | instskip(NEXT) | instid1(VALU_DEP_3)
	v_add_co_ci_u32_e32 v5, vcc_lo, v13, v5, vcc_lo
	v_min3_f16 v14, v14, v15, v16
	global_store_b16 v[4:5], v14, off
.LBB268_344:
	s_or_b32 exec_lo, exec_lo, s4
	v_add_nc_u32_e32 v14, 0x78, v73
	s_delay_alu instid0(VALU_DEP_1) | instskip(SKIP_2) | instid1(VALU_DEP_3)
	v_mad_i64_i32 v[4:5], null, v14, s6, 0
	v_mad_i64_i32 v[12:13], null, v14, s5, 0
	v_cmp_gt_i32_e64 s4, s9, v14
	v_lshlrev_b64 v[4:5], 1, v[4:5]
	s_delay_alu instid0(VALU_DEP_2) | instskip(NEXT) | instid1(VALU_DEP_3)
	s_and_b32 s5, s0, s4
	v_lshlrev_b64 v[12:13], 1, v[12:13]
	s_delay_alu instid0(VALU_DEP_2) | instskip(NEXT) | instid1(VALU_DEP_3)
	v_add_co_u32 v14, vcc_lo, s12, v4
	v_add_co_ci_u32_e32 v15, vcc_lo, s13, v5, vcc_lo
	s_delay_alu instid0(VALU_DEP_3) | instskip(NEXT) | instid1(VALU_DEP_4)
	v_add_co_u32 v12, vcc_lo, s10, v12
	v_add_co_ci_u32_e32 v13, vcc_lo, s11, v13, vcc_lo
	s_and_saveexec_b32 s0, s5
	s_cbranch_execnz .LBB268_349
; %bb.345:
	s_or_b32 exec_lo, exec_lo, s0
	s_and_b32 s1, s1, s4
	s_delay_alu instid0(SALU_CYCLE_1)
	s_and_saveexec_b32 s0, s1
	s_cbranch_execnz .LBB268_353
.LBB268_346:
	s_or_b32 exec_lo, exec_lo, s0
	s_and_b32 s1, s2, s4
	s_delay_alu instid0(SALU_CYCLE_1)
	s_and_saveexec_b32 s0, s1
	s_cbranch_execnz .LBB268_357
.LBB268_347:
	s_or_b32 exec_lo, exec_lo, s0
	s_and_b32 s0, s3, s4
	s_delay_alu instid0(SALU_CYCLE_1)
	s_and_saveexec_b32 s1, s0
	s_cbranch_execnz .LBB268_361
.LBB268_348:
	s_nop 0
	s_sendmsg sendmsg(MSG_DEALLOC_VGPRS)
	s_endpgm
.LBB268_349:
	v_cmp_ne_u32_e32 vcc_lo, 1, v70
	v_lshlrev_b64 v[4:5], 1, v[40:41]
	s_cbranch_vccnz .LBB268_351
; %bb.350:
	s_delay_alu instid0(VALU_DEP_1) | instskip(NEXT) | instid1(VALU_DEP_2)
	v_add_co_u32 v16, vcc_lo, v14, v4
	v_add_co_ci_u32_e32 v17, vcc_lo, v15, v5, vcc_lo
	flat_load_u16 v16, v[16:17]
	s_waitcnt vmcnt(0) lgkmcnt(0)
	v_mul_f16_e32 v16, s7, v16
	s_branch .LBB268_352
.LBB268_351:
	v_mov_b32_e32 v16, 0
.LBB268_352:
	v_pk_add_f16 v8, v8, v6
	v_pk_max_f16 v17, v51, v51
	v_pk_add_f16 v9, v9, v7
	v_add_co_u32 v4, vcc_lo, v12, v4
	v_add_co_ci_u32_e32 v5, vcc_lo, v13, v5, vcc_lo
	s_delay_alu instid0(VALU_DEP_4) | instskip(NEXT) | instid1(VALU_DEP_1)
	v_pk_min_f16 v8, v17, v8
	v_pk_min_f16 v8, v8, v9
	s_delay_alu instid0(VALU_DEP_1) | instskip(NEXT) | instid1(VALU_DEP_1)
	v_lshrrev_b32_e32 v9, 16, v8
	v_min3_f16 v8, v16, v8, v9
	global_store_b16 v[4:5], v8, off
	s_or_b32 exec_lo, exec_lo, s0
	s_and_b32 s1, s1, s4
	s_delay_alu instid0(SALU_CYCLE_1)
	s_and_saveexec_b32 s0, s1
	s_cbranch_execz .LBB268_346
.LBB268_353:
	v_cmp_ne_u32_e32 vcc_lo, 1, v70
	v_lshlrev_b64 v[4:5], 1, v[42:43]
	s_cbranch_vccnz .LBB268_355
; %bb.354:
	s_delay_alu instid0(VALU_DEP_1) | instskip(NEXT) | instid1(VALU_DEP_2)
	v_add_co_u32 v8, vcc_lo, v14, v4
	v_add_co_ci_u32_e32 v9, vcc_lo, v15, v5, vcc_lo
	flat_load_u16 v8, v[8:9]
	s_waitcnt vmcnt(0) lgkmcnt(0)
	v_mul_f16_e32 v8, s7, v8
	s_branch .LBB268_356
.LBB268_355:
	v_mov_b32_e32 v8, 0
.LBB268_356:
	v_pk_add_f16 v9, v10, v6
	v_pk_max_f16 v10, v50, v50
	v_pk_add_f16 v11, v11, v7
	v_add_co_u32 v4, vcc_lo, v12, v4
	v_add_co_ci_u32_e32 v5, vcc_lo, v13, v5, vcc_lo
	s_delay_alu instid0(VALU_DEP_4) | instskip(NEXT) | instid1(VALU_DEP_1)
	v_pk_min_f16 v9, v10, v9
	v_pk_min_f16 v9, v9, v11
	s_delay_alu instid0(VALU_DEP_1) | instskip(NEXT) | instid1(VALU_DEP_1)
	v_lshrrev_b32_e32 v10, 16, v9
	v_min3_f16 v8, v8, v9, v10
	global_store_b16 v[4:5], v8, off
	s_or_b32 exec_lo, exec_lo, s0
	s_and_b32 s1, s2, s4
	s_delay_alu instid0(SALU_CYCLE_1)
	s_and_saveexec_b32 s0, s1
	s_cbranch_execz .LBB268_347
.LBB268_357:
	v_cmp_ne_u32_e32 vcc_lo, 1, v70
	v_lshlrev_b64 v[4:5], 1, v[44:45]
	s_cbranch_vccnz .LBB268_359
; %bb.358:
	s_delay_alu instid0(VALU_DEP_1) | instskip(NEXT) | instid1(VALU_DEP_2)
	v_add_co_u32 v8, vcc_lo, v14, v4
	v_add_co_ci_u32_e32 v9, vcc_lo, v15, v5, vcc_lo
	flat_load_u16 v8, v[8:9]
	s_waitcnt vmcnt(0) lgkmcnt(0)
	v_mul_f16_e32 v8, s7, v8
	s_branch .LBB268_360
.LBB268_359:
	v_mov_b32_e32 v8, 0
.LBB268_360:
	v_pk_add_f16 v0, v0, v6
	v_pk_max_f16 v9, v49, v49
	v_pk_add_f16 v1, v1, v7
	s_delay_alu instid0(VALU_DEP_2) | instskip(NEXT) | instid1(VALU_DEP_1)
	v_pk_min_f16 v0, v9, v0
	v_pk_min_f16 v0, v0, v1
	s_delay_alu instid0(VALU_DEP_1) | instskip(NEXT) | instid1(VALU_DEP_1)
	v_lshrrev_b32_e32 v1, 16, v0
	v_min3_f16 v8, v8, v0, v1
	v_add_co_u32 v0, vcc_lo, v12, v4
	v_add_co_ci_u32_e32 v1, vcc_lo, v13, v5, vcc_lo
	global_store_b16 v[0:1], v8, off
	s_or_b32 exec_lo, exec_lo, s0
	s_and_b32 s0, s3, s4
	s_delay_alu instid0(SALU_CYCLE_1)
	s_and_saveexec_b32 s1, s0
	s_cbranch_execz .LBB268_348
.LBB268_361:
	v_cmp_ne_u32_e32 vcc_lo, 1, v70
	v_lshlrev_b64 v[0:1], 1, v[46:47]
	s_cbranch_vccnz .LBB268_363
; %bb.362:
	s_delay_alu instid0(VALU_DEP_1) | instskip(NEXT) | instid1(VALU_DEP_2)
	v_add_co_u32 v4, vcc_lo, v14, v0
	v_add_co_ci_u32_e32 v5, vcc_lo, v15, v1, vcc_lo
	flat_load_u16 v4, v[4:5]
	s_waitcnt vmcnt(0) lgkmcnt(0)
	v_mul_f16_e32 v4, s7, v4
	s_branch .LBB268_364
.LBB268_363:
	v_mov_b32_e32 v4, 0
.LBB268_364:
	v_pk_add_f16 v2, v2, v6
	v_pk_max_f16 v5, v48, v48
	v_pk_add_f16 v3, v3, v7
	v_add_co_u32 v0, vcc_lo, v12, v0
	v_add_co_ci_u32_e32 v1, vcc_lo, v13, v1, vcc_lo
	s_delay_alu instid0(VALU_DEP_4) | instskip(NEXT) | instid1(VALU_DEP_1)
	v_pk_min_f16 v2, v5, v2
	v_pk_min_f16 v2, v2, v3
	s_delay_alu instid0(VALU_DEP_1) | instskip(NEXT) | instid1(VALU_DEP_1)
	v_lshrrev_b32_e32 v3, 16, v2
	v_min3_f16 v2, v4, v2, v3
	global_store_b16 v[0:1], v2, off
	s_nop 0
	s_sendmsg sendmsg(MSG_DEALLOC_VGPRS)
	s_endpgm
	.section	.rodata,"a",@progbits
	.p2align	6, 0x0
	.amdhsa_kernel _ZN12_GLOBAL__N_120geam_min_plus_kernelIDF16_Dv2_DF16_S1_Li32ELi8ELi128ELi128ELi4ELi4ELi64ELi4ELi64ELc84ELc78ELb1ELb1ELb1EDF16_KDF16_DF16_EEviiiT16_PT17_ilS5_ilS3_S5_ilPT18_ili26rocblas_geam_ex_operation_
		.amdhsa_group_segment_fixed_size 4096
		.amdhsa_private_segment_fixed_size 0
		.amdhsa_kernarg_size 128
		.amdhsa_user_sgpr_count 14
		.amdhsa_user_sgpr_dispatch_ptr 0
		.amdhsa_user_sgpr_queue_ptr 0
		.amdhsa_user_sgpr_kernarg_segment_ptr 1
		.amdhsa_user_sgpr_dispatch_id 0
		.amdhsa_user_sgpr_private_segment_size 0
		.amdhsa_wavefront_size32 1
		.amdhsa_uses_dynamic_stack 0
		.amdhsa_enable_private_segment 0
		.amdhsa_system_sgpr_workgroup_id_x 1
		.amdhsa_system_sgpr_workgroup_id_y 0
		.amdhsa_system_sgpr_workgroup_id_z 1
		.amdhsa_system_sgpr_workgroup_info 0
		.amdhsa_system_vgpr_workitem_id 1
		.amdhsa_next_free_vgpr 157
		.amdhsa_next_free_sgpr 27
		.amdhsa_reserve_vcc 1
		.amdhsa_float_round_mode_32 0
		.amdhsa_float_round_mode_16_64 0
		.amdhsa_float_denorm_mode_32 3
		.amdhsa_float_denorm_mode_16_64 3
		.amdhsa_dx10_clamp 1
		.amdhsa_ieee_mode 1
		.amdhsa_fp16_overflow 0
		.amdhsa_workgroup_processor_mode 1
		.amdhsa_memory_ordered 1
		.amdhsa_forward_progress 0
		.amdhsa_shared_vgpr_count 0
		.amdhsa_exception_fp_ieee_invalid_op 0
		.amdhsa_exception_fp_denorm_src 0
		.amdhsa_exception_fp_ieee_div_zero 0
		.amdhsa_exception_fp_ieee_overflow 0
		.amdhsa_exception_fp_ieee_underflow 0
		.amdhsa_exception_fp_ieee_inexact 0
		.amdhsa_exception_int_div_zero 0
	.end_amdhsa_kernel
	.section	.text._ZN12_GLOBAL__N_120geam_min_plus_kernelIDF16_Dv2_DF16_S1_Li32ELi8ELi128ELi128ELi4ELi4ELi64ELi4ELi64ELc84ELc78ELb1ELb1ELb1EDF16_KDF16_DF16_EEviiiT16_PT17_ilS5_ilS3_S5_ilPT18_ili26rocblas_geam_ex_operation_,"axG",@progbits,_ZN12_GLOBAL__N_120geam_min_plus_kernelIDF16_Dv2_DF16_S1_Li32ELi8ELi128ELi128ELi4ELi4ELi64ELi4ELi64ELc84ELc78ELb1ELb1ELb1EDF16_KDF16_DF16_EEviiiT16_PT17_ilS5_ilS3_S5_ilPT18_ili26rocblas_geam_ex_operation_,comdat
.Lfunc_end268:
	.size	_ZN12_GLOBAL__N_120geam_min_plus_kernelIDF16_Dv2_DF16_S1_Li32ELi8ELi128ELi128ELi4ELi4ELi64ELi4ELi64ELc84ELc78ELb1ELb1ELb1EDF16_KDF16_DF16_EEviiiT16_PT17_ilS5_ilS3_S5_ilPT18_ili26rocblas_geam_ex_operation_, .Lfunc_end268-_ZN12_GLOBAL__N_120geam_min_plus_kernelIDF16_Dv2_DF16_S1_Li32ELi8ELi128ELi128ELi4ELi4ELi64ELi4ELi64ELc84ELc78ELb1ELb1ELb1EDF16_KDF16_DF16_EEviiiT16_PT17_ilS5_ilS3_S5_ilPT18_ili26rocblas_geam_ex_operation_
                                        ; -- End function
	.section	.AMDGPU.csdata,"",@progbits
; Kernel info:
; codeLenInByte = 23296
; NumSgprs: 29
; NumVgprs: 157
; ScratchSize: 0
; MemoryBound: 0
; FloatMode: 240
; IeeeMode: 1
; LDSByteSize: 4096 bytes/workgroup (compile time only)
; SGPRBlocks: 3
; VGPRBlocks: 19
; NumSGPRsForWavesPerEU: 29
; NumVGPRsForWavesPerEU: 157
; Occupancy: 9
; WaveLimiterHint : 0
; COMPUTE_PGM_RSRC2:SCRATCH_EN: 0
; COMPUTE_PGM_RSRC2:USER_SGPR: 14
; COMPUTE_PGM_RSRC2:TRAP_HANDLER: 0
; COMPUTE_PGM_RSRC2:TGID_X_EN: 1
; COMPUTE_PGM_RSRC2:TGID_Y_EN: 0
; COMPUTE_PGM_RSRC2:TGID_Z_EN: 1
; COMPUTE_PGM_RSRC2:TIDIG_COMP_CNT: 1
	.section	.text._ZN12_GLOBAL__N_120geam_min_plus_kernelIDF16_Dv2_DF16_S1_Li32ELi8ELi128ELi128ELi4ELi4ELi64ELi4ELi64ELc84ELc78ELb0ELb1ELb1EDF16_KDF16_DF16_EEviiiT16_PT17_ilS5_ilS3_S5_ilPT18_ili26rocblas_geam_ex_operation_,"axG",@progbits,_ZN12_GLOBAL__N_120geam_min_plus_kernelIDF16_Dv2_DF16_S1_Li32ELi8ELi128ELi128ELi4ELi4ELi64ELi4ELi64ELc84ELc78ELb0ELb1ELb1EDF16_KDF16_DF16_EEviiiT16_PT17_ilS5_ilS3_S5_ilPT18_ili26rocblas_geam_ex_operation_,comdat
	.globl	_ZN12_GLOBAL__N_120geam_min_plus_kernelIDF16_Dv2_DF16_S1_Li32ELi8ELi128ELi128ELi4ELi4ELi64ELi4ELi64ELc84ELc78ELb0ELb1ELb1EDF16_KDF16_DF16_EEviiiT16_PT17_ilS5_ilS3_S5_ilPT18_ili26rocblas_geam_ex_operation_ ; -- Begin function _ZN12_GLOBAL__N_120geam_min_plus_kernelIDF16_Dv2_DF16_S1_Li32ELi8ELi128ELi128ELi4ELi4ELi64ELi4ELi64ELc84ELc78ELb0ELb1ELb1EDF16_KDF16_DF16_EEviiiT16_PT17_ilS5_ilS3_S5_ilPT18_ili26rocblas_geam_ex_operation_
	.p2align	8
	.type	_ZN12_GLOBAL__N_120geam_min_plus_kernelIDF16_Dv2_DF16_S1_Li32ELi8ELi128ELi128ELi4ELi4ELi64ELi4ELi64ELc84ELc78ELb0ELb1ELb1EDF16_KDF16_DF16_EEviiiT16_PT17_ilS5_ilS3_S5_ilPT18_ili26rocblas_geam_ex_operation_,@function
_ZN12_GLOBAL__N_120geam_min_plus_kernelIDF16_Dv2_DF16_S1_Li32ELi8ELi128ELi128ELi4ELi4ELi64ELi4ELi64ELc84ELc78ELb0ELb1ELb1EDF16_KDF16_DF16_EEviiiT16_PT17_ilS5_ilS3_S5_ilPT18_ili26rocblas_geam_ex_operation_: ; @_ZN12_GLOBAL__N_120geam_min_plus_kernelIDF16_Dv2_DF16_S1_Li32ELi8ELi128ELi128ELi4ELi4ELi64ELi4ELi64ELc84ELc78ELb0ELb1ELb1EDF16_KDF16_DF16_EEviiiT16_PT17_ilS5_ilS3_S5_ilPT18_ili26rocblas_geam_ex_operation_
; %bb.0:
	s_clause 0x1
	s_load_b128 s[8:11], s[0:1], 0x0
	s_load_b128 s[4:7], s[0:1], 0x20
	s_waitcnt lgkmcnt(0)
	v_cmp_eq_f16_e64 s2, s11, 0
	s_delay_alu instid0(VALU_DEP_1)
	s_and_b32 vcc_lo, exec_lo, s2
	s_cbranch_vccnz .LBB269_3
; %bb.1:
	s_load_b64 s[12:13], s[0:1], 0x10
	s_mul_i32 s3, s15, s5
	s_mul_hi_u32 s5, s15, s4
	s_mul_i32 s4, s15, s4
	s_add_i32 s5, s5, s3
	s_delay_alu instid0(SALU_CYCLE_1)
	s_lshl_b64 s[4:5], s[4:5], 1
	s_waitcnt lgkmcnt(0)
	s_add_u32 s20, s12, s4
	s_addc_u32 s21, s13, s5
	s_and_not1_b32 vcc_lo, exec_lo, s2
	s_cbranch_vccnz .LBB269_4
.LBB269_2:
	s_mov_b32 s25, 0
	s_mov_b64 s[22:23], 0
	s_cbranch_execz .LBB269_5
	s_branch .LBB269_6
.LBB269_3:
	s_mov_b64 s[20:21], 0
	s_and_not1_b32 vcc_lo, exec_lo, s2
	s_cbranch_vccz .LBB269_2
.LBB269_4:
	s_mov_b32 s25, -1
                                        ; implicit-def: $sgpr22_sgpr23
.LBB269_5:
	s_load_b64 s[2:3], s[0:1], 0x38
	s_mov_b32 s25, 0
	s_waitcnt lgkmcnt(0)
	s_mul_i32 s3, s15, s3
	s_mul_hi_u32 s4, s15, s2
	s_mul_i32 s2, s15, s2
	s_add_i32 s3, s4, s3
	s_delay_alu instid0(SALU_CYCLE_1) | instskip(NEXT) | instid1(SALU_CYCLE_1)
	s_lshl_b64 s[2:3], s[2:3], 1
	s_add_u32 s22, s6, s2
	s_addc_u32 s23, s7, s3
.LBB269_6:
	s_clause 0x1
	s_load_b32 s7, s[0:1], 0x40
	s_load_b128 s[16:19], s[0:1], 0x58
	s_waitcnt lgkmcnt(0)
	v_cmp_eq_f16_e64 s2, s7, 0
	v_cmp_neq_f16_e64 s24, s7, 0
	s_delay_alu instid0(VALU_DEP_2)
	s_and_b32 vcc_lo, exec_lo, s2
	s_cbranch_vccnz .LBB269_8
; %bb.7:
	s_load_b64 s[2:3], s[0:1], 0x48
	s_mul_i32 s4, s15, s17
	s_mul_hi_u32 s5, s15, s16
	s_delay_alu instid0(SALU_CYCLE_1) | instskip(SKIP_1) | instid1(SALU_CYCLE_1)
	s_add_i32 s4, s5, s4
	s_mul_i32 s5, s25, s16
	s_add_i32 s5, s4, s5
	s_mul_i32 s4, s15, s16
	s_delay_alu instid0(SALU_CYCLE_1)
	s_lshl_b64 s[4:5], s[4:5], 1
	s_waitcnt lgkmcnt(0)
	s_add_u32 s12, s2, s4
	s_addc_u32 s13, s3, s5
	s_branch .LBB269_9
.LBB269_8:
	s_mov_b64 s[12:13], 0
.LBB269_9:
	s_add_i32 s3, s8, -1
	v_and_b32_e32 v90, 0x3ff, v0
	s_ashr_i32 s2, s3, 31
	v_bfe_u32 v91, v0, 10, 10
	s_lshr_b32 s2, s2, 25
	s_load_b32 s27, s[0:1], 0x18
	s_add_i32 s2, s3, s2
	v_and_b32_e32 v97, 3, v90
	s_ashr_i32 s2, s2, 7
	v_cmp_eq_f16_e64 s26, s11, 0
	s_add_i32 s5, s2, 1
	s_not_b32 s2, s2
	v_cvt_f32_u32_e32 v1, s5
	s_delay_alu instid0(VALU_DEP_1) | instskip(SKIP_2) | instid1(VALU_DEP_1)
	v_rcp_iflag_f32_e32 v1, v1
	s_waitcnt_depctr 0xfff
	v_mul_f32_e32 v1, 0x4f7ffffe, v1
	v_cvt_u32_f32_e32 v1, v1
	s_delay_alu instid0(VALU_DEP_1) | instskip(SKIP_1) | instid1(VALU_DEP_2)
	v_readfirstlane_b32 s4, v1
	v_lshl_add_u32 v1, v91, 5, v90
	s_mul_i32 s2, s2, s4
	s_delay_alu instid0(VALU_DEP_1) | instskip(SKIP_1) | instid1(SALU_CYCLE_1)
	v_lshrrev_b32_e32 v8, 2, v1
	s_mul_hi_u32 s2, s4, s2
	s_add_i32 s4, s4, s2
	s_delay_alu instid0(SALU_CYCLE_1) | instskip(NEXT) | instid1(SALU_CYCLE_1)
	s_mul_hi_u32 s2, s14, s4
	s_mul_i32 s4, s2, s5
	s_add_i32 s6, s2, 1
	s_sub_i32 s4, s14, s4
	s_delay_alu instid0(SALU_CYCLE_1)
	s_sub_i32 s16, s4, s5
	s_cmp_ge_u32 s4, s5
	s_cselect_b32 s2, s6, s2
	s_cselect_b32 s4, s16, s4
	s_add_i32 s6, s2, 1
	s_cmp_ge_u32 s4, s5
	s_cselect_b32 s4, s6, s2
	s_add_i32 s17, s10, -1
	s_mul_i32 s2, s4, s5
	v_min_i32_e32 v0, s17, v97
	s_sub_i32 s2, s14, s2
	v_cmp_le_i32_e64 s5, s10, v97
	s_lshl_b32 s14, s2, 7
	s_delay_alu instid0(SALU_CYCLE_1) | instskip(SKIP_1) | instid1(VALU_DEP_2)
	v_add_nc_u32_e32 v2, s14, v8
	v_ashrrev_i32_e32 v1, 31, v0
	v_cmp_le_i32_e32 vcc_lo, s8, v2
	s_delay_alu instid0(VALU_DEP_2) | instskip(NEXT) | instid1(VALU_DEP_1)
	v_lshlrev_b64 v[0:1], 1, v[0:1]
	v_add_co_u32 v4, s2, s20, v0
	s_delay_alu instid0(VALU_DEP_1) | instskip(SKIP_1) | instid1(SALU_CYCLE_1)
	v_add_co_ci_u32_e64 v5, s2, s21, v1, s2
	s_or_b32 s2, s5, vcc_lo
	v_cndmask_b32_e64 v9, 0, 0x7c00, s2
	s_or_b32 s2, s26, s2
	s_delay_alu instid0(SALU_CYCLE_1) | instskip(NEXT) | instid1(SALU_CYCLE_1)
	s_xor_b32 s2, s2, -1
	s_and_saveexec_b32 s6, s2
	s_cbranch_execz .LBB269_11
; %bb.10:
	s_waitcnt lgkmcnt(0)
	v_mad_i64_i32 v[6:7], null, v2, s27, 0
	s_delay_alu instid0(VALU_DEP_1) | instskip(NEXT) | instid1(VALU_DEP_1)
	v_lshlrev_b64 v[6:7], 1, v[6:7]
	v_add_co_u32 v6, s2, v4, v6
	s_delay_alu instid0(VALU_DEP_1)
	v_add_co_ci_u32_e64 v7, s2, v5, v7, s2
	flat_load_u16 v3, v[6:7]
	s_waitcnt vmcnt(0) lgkmcnt(0)
	v_mul_f16_e32 v9, s11, v3
.LBB269_11:
	s_or_b32 exec_lo, exec_lo, s6
	v_add_nc_u32_e32 v3, 64, v2
	s_delay_alu instid0(VALU_DEP_1) | instskip(SKIP_1) | instid1(VALU_DEP_2)
	v_cmp_le_i32_e64 s2, s8, v3
	v_min_i32_e32 v3, s3, v3
	s_or_b32 s3, s5, s2
	s_delay_alu instid0(SALU_CYCLE_1) | instskip(SKIP_1) | instid1(SALU_CYCLE_1)
	v_cndmask_b32_e64 v10, 0, 0x7c00, s3
	s_or_b32 s3, s26, s3
	s_xor_b32 s3, s3, -1
	s_delay_alu instid0(SALU_CYCLE_1)
	s_and_saveexec_b32 s6, s3
	s_cbranch_execz .LBB269_13
; %bb.12:
	s_waitcnt lgkmcnt(0)
	v_mad_i64_i32 v[6:7], null, v3, s27, 0
	s_delay_alu instid0(VALU_DEP_1) | instskip(NEXT) | instid1(VALU_DEP_1)
	v_lshlrev_b64 v[6:7], 1, v[6:7]
	v_add_co_u32 v4, s3, v4, v6
	s_delay_alu instid0(VALU_DEP_1)
	v_add_co_ci_u32_e64 v5, s3, v5, v7, s3
	flat_load_u16 v4, v[4:5]
	s_waitcnt vmcnt(0) lgkmcnt(0)
	v_mul_f16_e32 v10, s11, v4
.LBB269_13:
	s_or_b32 exec_lo, exec_lo, s6
	s_load_b32 s28, s[0:1], 0x30
	s_lshl_b32 s16, s4, 7
	v_add_co_u32 v0, s4, s22, v0
	v_add_nc_u32_e32 v4, s16, v8
	v_add_co_ci_u32_e64 v1, s4, s23, v1, s4
	s_delay_alu instid0(VALU_DEP_2) | instskip(NEXT) | instid1(VALU_DEP_1)
	v_cmp_le_i32_e64 s3, s9, v4
	s_or_b32 s4, s5, s3
	s_delay_alu instid0(SALU_CYCLE_1) | instskip(SKIP_1) | instid1(SALU_CYCLE_1)
	v_cndmask_b32_e64 v11, 0, 0x7c00, s4
	s_or_b32 s4, s26, s4
	s_xor_b32 s4, s4, -1
	s_delay_alu instid0(SALU_CYCLE_1)
	s_and_saveexec_b32 s6, s4
	s_cbranch_execz .LBB269_15
; %bb.14:
	s_waitcnt lgkmcnt(0)
	v_mad_i64_i32 v[5:6], null, v4, s28, 0
	s_delay_alu instid0(VALU_DEP_1) | instskip(NEXT) | instid1(VALU_DEP_1)
	v_lshlrev_b64 v[5:6], 1, v[5:6]
	v_add_co_u32 v5, s4, v0, v5
	s_delay_alu instid0(VALU_DEP_1)
	v_add_co_ci_u32_e64 v6, s4, v1, v6, s4
	flat_load_u16 v5, v[5:6]
	s_waitcnt vmcnt(0) lgkmcnt(0)
	v_mul_f16_e32 v11, s11, v5
.LBB269_15:
	s_or_b32 exec_lo, exec_lo, s6
	v_add_nc_u32_e32 v5, 64, v4
	s_add_i32 s6, s9, -1
	s_delay_alu instid0(VALU_DEP_1) | instskip(SKIP_1) | instid1(VALU_DEP_2)
	v_cmp_le_i32_e64 s4, s9, v5
	v_min_i32_e32 v5, s6, v5
	s_or_b32 s5, s5, s4
	s_delay_alu instid0(SALU_CYCLE_1) | instskip(SKIP_1) | instid1(SALU_CYCLE_1)
	v_cndmask_b32_e64 v12, 0, 0x7c00, s5
	s_or_b32 s5, s26, s5
	s_xor_b32 s5, s5, -1
	s_delay_alu instid0(SALU_CYCLE_1)
	s_and_saveexec_b32 s6, s5
	s_cbranch_execz .LBB269_17
; %bb.16:
	s_waitcnt lgkmcnt(0)
	v_mad_i64_i32 v[6:7], null, v5, s28, 0
	s_delay_alu instid0(VALU_DEP_1) | instskip(NEXT) | instid1(VALU_DEP_1)
	v_lshlrev_b64 v[6:7], 1, v[6:7]
	v_add_co_u32 v0, s5, v0, v6
	s_delay_alu instid0(VALU_DEP_1)
	v_add_co_ci_u32_e64 v1, s5, v1, v7, s5
	flat_load_u16 v0, v[0:1]
	s_waitcnt vmcnt(0) lgkmcnt(0)
	v_mul_f16_e32 v12, s11, v0
.LBB269_17:
	s_or_b32 exec_lo, exec_lo, s6
	v_or_b32_e32 v6, 4, v97
	s_delay_alu instid0(VALU_DEP_1) | instskip(SKIP_1) | instid1(VALU_DEP_2)
	v_min_i32_e32 v0, s17, v6
	v_cmp_le_i32_e64 s5, s10, v6
	v_ashrrev_i32_e32 v1, 31, v0
	s_delay_alu instid0(VALU_DEP_1) | instskip(NEXT) | instid1(VALU_DEP_1)
	v_lshlrev_b64 v[0:1], 1, v[0:1]
	v_add_co_u32 v13, s6, s20, v0
	s_delay_alu instid0(VALU_DEP_1) | instskip(SKIP_1) | instid1(SALU_CYCLE_1)
	v_add_co_ci_u32_e64 v14, s6, s21, v1, s6
	s_or_b32 s6, s5, vcc_lo
	v_cndmask_b32_e64 v6, 0, 0x7c00, s6
	s_or_b32 s6, s26, s6
	s_delay_alu instid0(SALU_CYCLE_1) | instskip(NEXT) | instid1(SALU_CYCLE_1)
	s_xor_b32 s6, s6, -1
	s_and_saveexec_b32 s29, s6
	s_cbranch_execz .LBB269_19
; %bb.18:
	s_waitcnt lgkmcnt(0)
	v_mad_i64_i32 v[6:7], null, v2, s27, 0
	s_delay_alu instid0(VALU_DEP_1) | instskip(NEXT) | instid1(VALU_DEP_1)
	v_lshlrev_b64 v[6:7], 1, v[6:7]
	v_add_co_u32 v6, s6, v13, v6
	s_delay_alu instid0(VALU_DEP_1)
	v_add_co_ci_u32_e64 v7, s6, v14, v7, s6
	flat_load_u16 v6, v[6:7]
	s_waitcnt vmcnt(0) lgkmcnt(0)
	v_mul_f16_e32 v6, s11, v6
.LBB269_19:
	s_or_b32 exec_lo, exec_lo, s29
	s_or_b32 s6, s5, s2
	s_delay_alu instid0(SALU_CYCLE_1) | instskip(SKIP_1) | instid1(SALU_CYCLE_1)
	v_cndmask_b32_e64 v7, 0, 0x7c00, s6
	s_or_b32 s6, s26, s6
	s_xor_b32 s6, s6, -1
	s_delay_alu instid0(SALU_CYCLE_1)
	s_and_saveexec_b32 s29, s6
	s_cbranch_execz .LBB269_21
; %bb.20:
	s_waitcnt lgkmcnt(0)
	v_mad_i64_i32 v[15:16], null, v3, s27, 0
	s_delay_alu instid0(VALU_DEP_1) | instskip(NEXT) | instid1(VALU_DEP_1)
	v_lshlrev_b64 v[15:16], 1, v[15:16]
	v_add_co_u32 v13, s6, v13, v15
	s_delay_alu instid0(VALU_DEP_1)
	v_add_co_ci_u32_e64 v14, s6, v14, v16, s6
	flat_load_u16 v7, v[13:14]
	s_waitcnt vmcnt(0) lgkmcnt(0)
	v_mul_f16_e32 v7, s11, v7
.LBB269_21:
	s_or_b32 exec_lo, exec_lo, s29
	v_add_co_u32 v13, s6, s22, v0
	s_delay_alu instid0(VALU_DEP_1) | instskip(SKIP_1) | instid1(SALU_CYCLE_1)
	v_add_co_ci_u32_e64 v14, s6, s23, v1, s6
	s_or_b32 s6, s5, s3
	v_cndmask_b32_e64 v0, 0, 0x7c00, s6
	s_or_b32 s6, s26, s6
	s_delay_alu instid0(SALU_CYCLE_1) | instskip(NEXT) | instid1(SALU_CYCLE_1)
	s_xor_b32 s6, s6, -1
	s_and_saveexec_b32 s29, s6
	s_cbranch_execz .LBB269_23
; %bb.22:
	s_waitcnt lgkmcnt(0)
	v_mad_i64_i32 v[0:1], null, v4, s28, 0
	s_delay_alu instid0(VALU_DEP_1) | instskip(NEXT) | instid1(VALU_DEP_1)
	v_lshlrev_b64 v[0:1], 1, v[0:1]
	v_add_co_u32 v0, s6, v13, v0
	s_delay_alu instid0(VALU_DEP_1)
	v_add_co_ci_u32_e64 v1, s6, v14, v1, s6
	flat_load_u16 v0, v[0:1]
	s_waitcnt vmcnt(0) lgkmcnt(0)
	v_mul_f16_e32 v0, s11, v0
.LBB269_23:
	s_or_b32 exec_lo, exec_lo, s29
	s_or_b32 s5, s5, s4
	s_delay_alu instid0(SALU_CYCLE_1) | instskip(SKIP_1) | instid1(SALU_CYCLE_1)
	v_cndmask_b32_e64 v1, 0, 0x7c00, s5
	s_or_b32 s5, s26, s5
	s_xor_b32 s5, s5, -1
	s_delay_alu instid0(SALU_CYCLE_1)
	s_and_saveexec_b32 s6, s5
	s_cbranch_execz .LBB269_25
; %bb.24:
	s_waitcnt lgkmcnt(0)
	v_mad_i64_i32 v[15:16], null, v5, s28, 0
	s_delay_alu instid0(VALU_DEP_1) | instskip(NEXT) | instid1(VALU_DEP_1)
	v_lshlrev_b64 v[15:16], 1, v[15:16]
	v_add_co_u32 v13, s5, v13, v15
	s_delay_alu instid0(VALU_DEP_1)
	v_add_co_ci_u32_e64 v14, s5, v14, v16, s5
	flat_load_u16 v1, v[13:14]
	s_waitcnt vmcnt(0) lgkmcnt(0)
	v_mul_f16_e32 v1, s11, v1
.LBB269_25:
	s_or_b32 exec_lo, exec_lo, s6
	v_lshlrev_b32_e32 v13, 1, v97
	v_lshlrev_b32_e32 v100, 3, v91
	;; [unrolled: 1-line block ×3, first 2 shown]
	s_cmp_lt_i32 s10, 9
	s_delay_alu instid0(VALU_DEP_3) | instskip(NEXT) | instid1(VALU_DEP_3)
	v_lshl_or_b32 v106, v8, 3, v13
	v_add_nc_u32_e32 v44, 0x800, v100
	ds_store_b16 v106, v9
	ds_store_b16 v106, v10 offset:512
	ds_store_b16 v106, v11 offset:2048
	;; [unrolled: 1-line block ×3, first 2 shown]
	s_waitcnt lgkmcnt(0)
	s_barrier
	buffer_gl0_inv
	ds_load_2addr_b64 v[8:11], v99 offset1:32
	ds_load_2addr_b64 v[12:15], v44 offset1:8
	ds_load_2addr_b64 v[16:19], v99 offset0:64 offset1:96
	ds_load_2addr_b64 v[20:23], v44 offset0:16 offset1:24
	;; [unrolled: 1-line block ×7, first 2 shown]
	s_waitcnt lgkmcnt(7)
	v_pk_add_f16 v45, v8, v12
	v_pk_add_f16 v46, v10, v12
	s_waitcnt lgkmcnt(6)
	v_pk_add_f16 v47, v16, v12
	v_pk_add_f16 v12, v18, v12
	;; [unrolled: 1-line block ×6, first 2 shown]
	s_waitcnt lgkmcnt(5)
	v_pk_add_f16 v51, v8, v20
	v_pk_min_f16 v12, 0x7c00, v12 op_sel_hi:[0,1]
	v_pk_add_f16 v74, v9, v13
	v_pk_add_f16 v75, v11, v13
	;; [unrolled: 1-line block ×5, first 2 shown]
	v_pk_min_f16 v14, 0x7c00, v14 op_sel_hi:[0,1]
	v_pk_min_f16 v51, 0x7c00, v51 op_sel_hi:[0,1]
	v_pk_add_f16 v53, v16, v20
	v_pk_add_f16 v20, v18, v20
	;; [unrolled: 1-line block ×6, first 2 shown]
	v_pk_min_f16 v120, v12, v13
	v_pk_add_f16 v12, v9, v21
	v_pk_min_f16 v52, 0x7c00, v52 op_sel_hi:[0,1]
	v_pk_add_f16 v54, v8, v22
	v_pk_add_f16 v55, v10, v22
	;; [unrolled: 1-line block ×3, first 2 shown]
	v_pk_min_f16 v53, 0x7c00, v53 op_sel_hi:[0,1]
	v_pk_min_f16 v20, 0x7c00, v20 op_sel_hi:[0,1]
	v_pk_add_f16 v13, v11, v21
	v_pk_min_f16 v112, v14, v15
	v_pk_add_f16 v14, v17, v21
	v_pk_min_f16 v111, v51, v12
	v_pk_add_f16 v12, v19, v21
	v_pk_min_f16 v54, 0x7c00, v54 op_sel_hi:[0,1]
	v_pk_min_f16 v55, 0x7c00, v55 op_sel_hi:[0,1]
	;; [unrolled: 1-line block ×3, first 2 shown]
	v_pk_add_f16 v22, v18, v22
	s_waitcnt lgkmcnt(4)
	v_pk_add_f16 v57, v8, v24
	v_pk_add_f16 v58, v10, v24
	;; [unrolled: 1-line block ×3, first 2 shown]
	v_pk_min_f16 v110, v52, v13
	v_pk_add_f16 v13, v9, v23
	v_pk_min_f16 v109, v53, v14
	v_pk_add_f16 v14, v11, v23
	;; [unrolled: 2-line block ×3, first 2 shown]
	v_pk_min_f16 v22, 0x7c00, v22 op_sel_hi:[0,1]
	v_pk_min_f16 v57, 0x7c00, v57 op_sel_hi:[0,1]
	v_pk_min_f16 v58, 0x7c00, v58 op_sel_hi:[0,1]
	v_pk_min_f16 v59, 0x7c00, v59 op_sel_hi:[0,1]
	v_pk_add_f16 v60, v8, v26
	v_pk_add_f16 v61, v10, v26
	v_pk_add_f16 v62, v16, v26
	v_pk_add_f16 v26, v18, v26
	v_pk_min_f16 v107, v54, v13
	v_pk_min_f16 v105, v55, v14
	;; [unrolled: 1-line block ×3, first 2 shown]
	v_pk_add_f16 v12, v19, v23
	v_pk_add_f16 v13, v9, v25
	;; [unrolled: 1-line block ×4, first 2 shown]
	s_waitcnt lgkmcnt(3)
	v_pk_add_f16 v63, v8, v28
	v_pk_min_f16 v60, 0x7c00, v60 op_sel_hi:[0,1]
	v_pk_min_f16 v61, 0x7c00, v61 op_sel_hi:[0,1]
	v_pk_min_f16 v62, 0x7c00, v62 op_sel_hi:[0,1]
	v_pk_min_f16 v26, 0x7c00, v26 op_sel_hi:[0,1]
	v_pk_add_f16 v64, v10, v28
	v_pk_add_f16 v65, v16, v28
	;; [unrolled: 1-line block ×4, first 2 shown]
	v_pk_min_f16 v103, v22, v12
	v_pk_min_f16 v102, v57, v13
	;; [unrolled: 1-line block ×4, first 2 shown]
	v_pk_add_f16 v12, v9, v27
	v_pk_add_f16 v13, v11, v27
	;; [unrolled: 1-line block ×5, first 2 shown]
	v_pk_min_f16 v63, 0x7c00, v63 op_sel_hi:[0,1]
	v_pk_add_f16 v67, v10, v30
	v_pk_min_f16 v64, 0x7c00, v64 op_sel_hi:[0,1]
	v_pk_min_f16 v65, 0x7c00, v65 op_sel_hi:[0,1]
	v_pk_min_f16 v28, 0x7c00, v28 op_sel_hi:[0,1]
	v_pk_min_f16 v66, 0x7c00, v66 op_sel_hi:[0,1]
	v_pk_add_f16 v22, v9, v29
	v_pk_min_f16 v95, v60, v12
	v_pk_min_f16 v94, v61, v13
	;; [unrolled: 1-line block ×4, first 2 shown]
	v_pk_add_f16 v12, v11, v29
	v_pk_add_f16 v13, v17, v29
	;; [unrolled: 1-line block ×4, first 2 shown]
	v_pk_min_f16 v24, 0x7c00, v24 op_sel_hi:[0,1]
	v_pk_min_f16 v67, 0x7c00, v67 op_sel_hi:[0,1]
	v_pk_add_f16 v68, v16, v30
	v_pk_add_f16 v30, v18, v30
	v_pk_add_f16 v23, v19, v25
	v_pk_min_f16 v89, v63, v22
	v_pk_add_f16 v22, v11, v31
	v_pk_min_f16 v88, v64, v12
	v_pk_min_f16 v87, v65, v13
	;; [unrolled: 1-line block ×4, first 2 shown]
	ds_load_2addr_b64 v[12:15], v44 offset0:112 offset1:120
	s_waitcnt lgkmcnt(3)
	v_pk_add_f16 v69, v8, v32
	v_pk_add_f16 v70, v10, v32
	v_pk_add_f16 v71, v16, v32
	v_pk_add_f16 v32, v18, v32
	v_pk_add_f16 v72, v8, v34
	v_pk_add_f16 v73, v10, v34
	v_pk_add_f16 v80, v16, v34
	v_pk_add_f16 v34, v18, v34
	s_waitcnt lgkmcnt(2)
	v_pk_add_f16 v20, v16, v38
	v_pk_min_f16 v96, v24, v23
	v_pk_min_f16 v83, v67, v22
	v_pk_add_f16 v22, v17, v31
	v_pk_add_f16 v23, v19, v31
	v_pk_min_f16 v44, 0x7c00, v68 op_sel_hi:[0,1]
	v_pk_min_f16 v30, 0x7c00, v30 op_sel_hi:[0,1]
	;; [unrolled: 1-line block ×5, first 2 shown]
	v_pk_add_f16 v81, v8, v36
	v_pk_add_f16 v21, v18, v38
	;; [unrolled: 1-line block ×8, first 2 shown]
	v_pk_min_f16 v53, 0x7c00, v69 op_sel_hi:[0,1]
	v_pk_min_f16 v54, 0x7c00, v70 op_sel_hi:[0,1]
	;; [unrolled: 1-line block ×5, first 2 shown]
	v_pk_min_f16 v84, v44, v22
	s_waitcnt lgkmcnt(1)
	v_pk_add_f16 v22, v8, v40
	v_pk_min_f16 v82, v30, v23
	v_pk_add_f16 v23, v10, v40
	v_pk_min_f16 v20, 0x7c00, v20 op_sel_hi:[0,1]
	v_pk_min_f16 v46, 0x7c00, v46 op_sel_hi:[0,1]
	;; [unrolled: 1-line block ×4, first 2 shown]
	v_pk_min_f16 v125, v45, v74
	v_pk_min_f16 v114, v49, v78
	;; [unrolled: 1-line block ×3, first 2 shown]
	v_pk_add_f16 v28, v9, v35
	v_pk_add_f16 v29, v11, v35
	;; [unrolled: 1-line block ×6, first 2 shown]
	v_pk_min_f16 v56, 0x7c00, v72 op_sel_hi:[0,1]
	v_pk_min_f16 v57, 0x7c00, v73 op_sel_hi:[0,1]
	;; [unrolled: 1-line block ×4, first 2 shown]
	v_pk_min_f16 v81, v53, v24
	v_pk_add_f16 v24, v16, v40
	v_pk_min_f16 v21, 0x7c00, v21 op_sel_hi:[0,1]
	v_pk_min_f16 v22, 0x7c00, v22 op_sel_hi:[0,1]
	;; [unrolled: 1-line block ×3, first 2 shown]
	v_pk_min_f16 v80, v54, v25
	v_pk_add_f16 v25, v18, v40
	v_pk_min_f16 v79, v55, v26
	v_pk_add_f16 v26, v8, v42
	;; [unrolled: 2-line block ×5, first 2 shown]
	v_pk_add_f16 v45, v10, v36
	v_pk_min_f16 v124, v46, v75
	v_pk_add_f16 v46, v16, v36
	v_pk_min_f16 v123, v47, v76
	v_pk_add_f16 v36, v18, v36
	v_pk_add_f16 v47, v8, v38
	v_pk_min_f16 v115, v48, v77
	v_pk_add_f16 v48, v10, v38
	v_pk_min_f16 v24, 0x7c00, v24 op_sel_hi:[0,1]
	v_pk_min_f16 v77, v56, v28
	v_pk_add_f16 v28, v16, v42
	v_pk_min_f16 v76, v57, v29
	v_pk_add_f16 v29, v18, v42
	v_pk_min_f16 v25, 0x7c00, v25 op_sel_hi:[0,1]
	v_pk_min_f16 v26, 0x7c00, v26 op_sel_hi:[0,1]
	;; [unrolled: 1-line block ×3, first 2 shown]
	v_pk_min_f16 v75, v58, v31
	s_waitcnt lgkmcnt(0)
	v_pk_add_f16 v30, v8, v12
	v_pk_add_f16 v31, v10, v12
	;; [unrolled: 1-line block ×6, first 2 shown]
	v_pk_min_f16 v66, v21, v39
	v_pk_min_f16 v65, v22, v33
	v_pk_add_f16 v21, v17, v41
	v_pk_add_f16 v22, v19, v41
	;; [unrolled: 1-line block ×3, first 2 shown]
	v_pk_min_f16 v64, v23, v20
	v_pk_add_f16 v14, v18, v14
	v_pk_add_f16 v18, v9, v43
	v_pk_add_f16 v20, v11, v43
	v_pk_add_f16 v35, v9, v37
	v_pk_add_f16 v38, v11, v37
	v_pk_add_f16 v49, v17, v37
	v_pk_add_f16 v37, v19, v37
	v_pk_min_f16 v45, 0x7c00, v45 op_sel_hi:[0,1]
	v_pk_min_f16 v46, 0x7c00, v46 op_sel_hi:[0,1]
	;; [unrolled: 1-line block ×12, first 2 shown]
	v_pk_min_f16 v63, v24, v21
	v_pk_min_f16 v62, v25, v22
	v_pk_min_f16 v10, 0x7c00, v10 op_sel_hi:[0,1]
	v_pk_min_f16 v16, 0x7c00, v16 op_sel_hi:[0,1]
	;; [unrolled: 1-line block ×3, first 2 shown]
	v_pk_min_f16 v61, v26, v18
	v_pk_min_f16 v60, v27, v20
	v_pk_add_f16 v18, v17, v43
	v_pk_add_f16 v20, v19, v43
	;; [unrolled: 1-line block ×10, first 2 shown]
	v_pk_min_f16 v73, v59, v35
	v_pk_min_f16 v72, v45, v38
	;; [unrolled: 1-line block ×16, first 2 shown]
	ds_store_b16 v106, v6 offset:1024
	ds_store_b16 v106, v7 offset:1536
	;; [unrolled: 1-line block ×4, first 2 shown]
	s_waitcnt lgkmcnt(0)
	s_barrier
	buffer_gl0_inv
	s_cbranch_scc1 .LBB269_44
; %bb.26:
	v_mad_i64_i32 v[0:1], null, v2, s27, 0
	v_mad_i64_i32 v[6:7], null, v3, s27, 0
	;; [unrolled: 1-line block ×4, first 2 shown]
	s_delay_alu instid0(VALU_DEP_4)
	v_lshlrev_b64 v[40:41], 1, v[0:1]
	v_add_nc_u32_e32 v116, 0x800, v106
	v_lshlrev_b64 v[42:43], 1, v[6:7]
	v_add_nc_u32_e32 v117, 0x800, v100
	;; [unrolled: 2-line block ×4, first 2 shown]
	v_lshl_add_u32 v121, v90, 3, 0x400
	v_lshl_add_u32 v122, v91, 3, 0xc00
	s_add_i32 s27, s10, -8
	s_mov_b32 s28, 0
	s_branch .LBB269_28
.LBB269_27:                             ;   in Loop: Header=BB269_28 Depth=1
	s_or_b32 exec_lo, exec_lo, s6
	ds_load_2addr_b64 v[128:131], v99 offset1:32
	ds_load_2addr_b64 v[77:80], v117 offset1:8
	ds_load_2addr_b64 v[132:135], v99 offset0:64 offset1:96
	ds_load_2addr_b64 v[81:84], v117 offset0:16 offset1:24
	;; [unrolled: 1-line block ×8, first 2 shown]
	v_pk_max_f16 v9, v75, v75
	v_pk_max_f16 v11, v73, v73
	;; [unrolled: 1-line block ×11, first 2 shown]
	s_waitcnt lgkmcnt(8)
	v_pk_add_f16 v74, v128, v77
	v_pk_add_f16 v75, v130, v77
	s_waitcnt lgkmcnt(7)
	v_pk_add_f16 v76, v132, v77
	v_pk_add_f16 v77, v134, v77
	v_pk_max_f16 v57, v57, v57
	v_pk_min_f16 v9, v9, v74
	v_pk_add_f16 v74, v134, v79
	v_pk_min_f16 v11, v11, v75
	v_pk_min_f16 v49, v49, v76
	v_pk_min_f16 v71, v71, v77
	s_waitcnt lgkmcnt(6)
	v_pk_add_f16 v75, v130, v81
	v_pk_min_f16 v68, v68, v74
	v_pk_add_f16 v74, v128, v81
	v_pk_add_f16 v76, v132, v81
	;; [unrolled: 1-line block ×3, first 2 shown]
	v_pk_min_f16 v69, v69, v75
	v_pk_add_f16 v75, v132, v83
	v_pk_min_f16 v62, v62, v74
	v_pk_min_f16 v67, v67, v76
	;; [unrolled: 1-line block ×3, first 2 shown]
	v_pk_add_f16 v74, v130, v83
	v_pk_max_f16 v65, v65, v65
	v_pk_add_f16 v76, v134, v83
	v_pk_max_f16 v63, v63, v63
	s_waitcnt lgkmcnt(5)
	v_pk_add_f16 v77, v128, v85
	v_pk_max_f16 v61, v61, v61
	v_pk_min_f16 v57, v57, v74
	v_pk_min_f16 v65, v65, v75
	;; [unrolled: 1-line block ×3, first 2 shown]
	v_pk_add_f16 v74, v132, v85
	v_pk_min_f16 v61, v61, v77
	v_pk_max_f16 v52, v52, v52
	v_pk_add_f16 v75, v134, v85
	v_pk_max_f16 v60, v60, v60
	v_pk_add_f16 v76, v128, v87
	;; [unrolled: 2-line block ×3, first 2 shown]
	v_pk_max_f16 v56, v56, v56
	v_pk_min_f16 v52, v52, v74
	v_pk_min_f16 v60, v60, v75
	;; [unrolled: 1-line block ×3, first 2 shown]
	v_pk_add_f16 v74, v134, v87
	v_pk_min_f16 v56, v56, v77
	v_pk_max_f16 v37, v37, v37
	s_waitcnt lgkmcnt(4)
	v_pk_add_f16 v75, v128, v136
	v_pk_max_f16 v55, v55, v55
	v_pk_add_f16 v76, v130, v136
	v_pk_max_f16 v53, v53, v53
	;; [unrolled: 2-line block ×3, first 2 shown]
	v_pk_min_f16 v37, v37, v74
	v_pk_min_f16 v55, v55, v75
	;; [unrolled: 1-line block ×3, first 2 shown]
	v_pk_add_f16 v74, v128, v138
	v_pk_min_f16 v51, v51, v77
	v_pk_max_f16 v32, v32, v32
	v_pk_add_f16 v75, v130, v138
	v_pk_max_f16 v50, v50, v50
	v_pk_add_f16 v76, v132, v138
	;; [unrolled: 2-line block ×3, first 2 shown]
	v_pk_max_f16 v36, v36, v36
	v_pk_min_f16 v32, v32, v74
	v_pk_min_f16 v50, v50, v75
	v_pk_min_f16 v38, v38, v76
	s_waitcnt lgkmcnt(3)
	v_pk_add_f16 v74, v130, v140
	v_pk_min_f16 v36, v36, v77
	v_pk_max_f16 v27, v27, v27
	v_pk_add_f16 v75, v132, v140
	v_pk_max_f16 v35, v35, v35
	v_pk_add_f16 v76, v134, v140
	;; [unrolled: 2-line block ×3, first 2 shown]
	v_pk_max_f16 v31, v31, v31
	v_pk_min_f16 v27, v27, v74
	v_pk_min_f16 v35, v35, v75
	;; [unrolled: 1-line block ×3, first 2 shown]
	v_pk_add_f16 v74, v132, v142
	v_pk_min_f16 v31, v31, v77
	v_pk_max_f16 v22, v22, v22
	v_pk_add_f16 v75, v134, v142
	v_pk_max_f16 v30, v30, v30
	s_waitcnt lgkmcnt(2)
	v_pk_add_f16 v76, v128, v144
	v_pk_max_f16 v28, v28, v28
	v_pk_add_f16 v77, v130, v144
	v_pk_max_f16 v26, v26, v26
	v_pk_min_f16 v22, v22, v74
	v_pk_min_f16 v30, v30, v75
	;; [unrolled: 1-line block ×3, first 2 shown]
	v_pk_add_f16 v74, v134, v144
	v_pk_min_f16 v26, v26, v77
	v_pk_max_f16 v17, v17, v17
	v_pk_add_f16 v75, v128, v146
	v_pk_max_f16 v25, v25, v25
	v_pk_add_f16 v76, v130, v146
	;; [unrolled: 2-line block ×4, first 2 shown]
	v_pk_add_f16 v92, v130, v79
	v_pk_add_f16 v93, v132, v79
	;; [unrolled: 1-line block ×3, first 2 shown]
	v_pk_max_f16 v64, v64, v64
	v_pk_min_f16 v17, v17, v74
	v_pk_min_f16 v25, v25, v75
	;; [unrolled: 1-line block ×4, first 2 shown]
	s_waitcnt lgkmcnt(1)
	v_pk_add_f16 v74, v128, v148
	v_pk_max_f16 v12, v12, v12
	v_pk_add_f16 v75, v130, v148
	v_pk_max_f16 v20, v20, v20
	;; [unrolled: 2-line block ×4, first 2 shown]
	v_pk_min_f16 v64, v64, v79
	v_pk_add_f16 v79, v130, v85
	v_pk_max_f16 v59, v59, v59
	v_pk_min_f16 v12, v12, v74
	v_pk_min_f16 v20, v20, v75
	;; [unrolled: 1-line block ×4, first 2 shown]
	v_pk_add_f16 v74, v130, v150
	v_pk_max_f16 v6, v6, v6
	v_pk_add_f16 v75, v132, v150
	v_pk_max_f16 v15, v15, v15
	;; [unrolled: 2-line block ×3, first 2 shown]
	s_waitcnt lgkmcnt(0)
	v_pk_add_f16 v77, v128, v152
	v_pk_max_f16 v10, v10, v10
	v_pk_min_f16 v59, v59, v79
	v_pk_add_f16 v79, v132, v87
	v_pk_max_f16 v54, v54, v54
	v_pk_min_f16 v6, v6, v74
	v_pk_min_f16 v15, v15, v75
	v_pk_min_f16 v13, v13, v76
	v_pk_min_f16 v10, v10, v77
	v_pk_add_f16 v74, v132, v152
	v_pk_max_f16 v2, v2, v2
	v_pk_add_f16 v75, v134, v152
	v_pk_max_f16 v7, v7, v7
	;; [unrolled: 2-line block ×4, first 2 shown]
	v_pk_max_f16 v70, v70, v70
	v_pk_min_f16 v54, v54, v79
	v_pk_add_f16 v79, v134, v136
	v_pk_max_f16 v39, v39, v39
	v_pk_min_f16 v2, v2, v74
	v_pk_min_f16 v7, v7, v75
	;; [unrolled: 1-line block ×4, first 2 shown]
	v_pk_add_f16 v74, v134, v154
	v_pk_max_f16 v1, v1, v1
	v_pk_add_f16 v75, v129, v78
	v_pk_add_f16 v76, v131, v78
	;; [unrolled: 1-line block ×4, first 2 shown]
	v_pk_min_f16 v72, v72, v89
	v_pk_min_f16 v73, v73, v92
	v_pk_min_f16 v70, v70, v93
	v_pk_min_f16 v39, v39, v79
	v_pk_add_f16 v79, v128, v140
	v_pk_max_f16 v34, v34, v34
	v_pk_min_f16 v1, v1, v74
	v_pk_min_f16 v125, v9, v75
	v_pk_min_f16 v124, v11, v76
	v_pk_min_f16 v123, v49, v77
	v_pk_min_f16 v120, v71, v78
	v_pk_add_f16 v9, v129, v80
	v_pk_add_f16 v11, v131, v80
	v_pk_add_f16 v49, v133, v80
	v_pk_add_f16 v71, v135, v80
	v_pk_add_f16 v74, v129, v82
	v_pk_min_f16 v34, v34, v79
	v_pk_add_f16 v79, v130, v142
	v_pk_max_f16 v29, v29, v29
	v_pk_min_f16 v115, v72, v9
	v_pk_min_f16 v114, v73, v11
	v_pk_min_f16 v113, v70, v49
	v_pk_min_f16 v112, v68, v71
	v_pk_min_f16 v111, v62, v74
	v_pk_add_f16 v9, v131, v82
	v_pk_add_f16 v11, v133, v82
	v_pk_add_f16 v49, v135, v82
	v_pk_add_f16 v62, v129, v84
	v_pk_add_f16 v68, v131, v84
	v_pk_min_f16 v29, v29, v79
	;; [unrolled: 13-line block ×7, first 2 shown]
	v_pk_min_f16 v79, v35, v9
	v_pk_min_f16 v78, v33, v11
	v_pk_min_f16 v77, v31, v27
	v_pk_min_f16 v76, v29, v32
	v_pk_min_f16 v75, v22, v34
	v_pk_add_f16 v9, v135, v143
	v_pk_add_f16 v11, v129, v145
	v_pk_add_f16 v22, v131, v145
	v_pk_add_f16 v27, v133, v145
	v_pk_add_f16 v29, v135, v145
	v_pk_min_f16 v74, v30, v9
	v_pk_min_f16 v73, v28, v11
	v_pk_min_f16 v72, v26, v22
	v_pk_min_f16 v71, v24, v27
	v_pk_min_f16 v70, v17, v29
	v_pk_add_f16 v9, v129, v147
	v_pk_add_f16 v11, v131, v147
	v_pk_add_f16 v17, v133, v147
	v_pk_add_f16 v22, v135, v147
	v_pk_add_f16 v24, v129, v149
	;; [unrolled: 10-line block ×5, first 2 shown]
	v_pk_min_f16 v54, v7, v2
	v_pk_min_f16 v53, v5, v6
	;; [unrolled: 1-line block ×5, first 2 shown]
	s_add_i32 s28, s28, 8
	ds_store_b16 v118, v126
	ds_store_b16 v118, v127 offset:512
	ds_store_b16 v119, v48
	ds_store_b16 v119, v0 offset:512
	s_cmp_ge_i32 s28, s27
	s_waitcnt lgkmcnt(0)
	s_barrier
	buffer_gl0_inv
	s_cbranch_scc1 .LBB269_44
.LBB269_28:                             ; =>This Inner Loop Header: Depth=1
	v_add_nc_u32_e32 v2, s28, v97
	s_delay_alu instid0(VALU_DEP_1) | instskip(NEXT) | instid1(VALU_DEP_1)
	v_add_nc_u32_e32 v3, 8, v2
	v_min_i32_e32 v0, s17, v3
	v_cmp_le_i32_e64 s5, s10, v3
	s_delay_alu instid0(VALU_DEP_2) | instskip(NEXT) | instid1(VALU_DEP_1)
	v_ashrrev_i32_e32 v1, 31, v0
	v_lshlrev_b64 v[0:1], 1, v[0:1]
	s_delay_alu instid0(VALU_DEP_1) | instskip(NEXT) | instid1(VALU_DEP_1)
	v_add_co_u32 v3, s6, s20, v0
	v_add_co_ci_u32_e64 v4, s6, s21, v1, s6
	s_or_b32 s6, vcc_lo, s5
	s_delay_alu instid0(SALU_CYCLE_1) | instskip(SKIP_1) | instid1(SALU_CYCLE_1)
	v_cndmask_b32_e64 v126, 0, 0x7c00, s6
	s_or_b32 s6, s26, s6
	s_xor_b32 s6, s6, -1
	s_delay_alu instid0(SALU_CYCLE_1)
	s_and_saveexec_b32 s29, s6
	s_cbranch_execz .LBB269_30
; %bb.29:                               ;   in Loop: Header=BB269_28 Depth=1
	v_add_co_u32 v5, s6, v3, v40
	s_delay_alu instid0(VALU_DEP_1)
	v_add_co_ci_u32_e64 v6, s6, v4, v41, s6
	flat_load_u16 v5, v[5:6]
	s_waitcnt vmcnt(0) lgkmcnt(0)
	v_mul_f16_e32 v126, s11, v5
.LBB269_30:                             ;   in Loop: Header=BB269_28 Depth=1
	s_or_b32 exec_lo, exec_lo, s29
	s_or_b32 s6, s2, s5
	s_delay_alu instid0(SALU_CYCLE_1) | instskip(SKIP_1) | instid1(SALU_CYCLE_1)
	v_cndmask_b32_e64 v127, 0, 0x7c00, s6
	s_or_b32 s6, s26, s6
	s_xor_b32 s6, s6, -1
	s_delay_alu instid0(SALU_CYCLE_1)
	s_and_saveexec_b32 s29, s6
	s_cbranch_execz .LBB269_32
; %bb.31:                               ;   in Loop: Header=BB269_28 Depth=1
	v_add_co_u32 v3, s6, v3, v42
	s_delay_alu instid0(VALU_DEP_1)
	v_add_co_ci_u32_e64 v4, s6, v4, v43, s6
	flat_load_u16 v3, v[3:4]
	s_waitcnt vmcnt(0) lgkmcnt(0)
	v_mul_f16_e32 v127, s11, v3
.LBB269_32:                             ;   in Loop: Header=BB269_28 Depth=1
	s_or_b32 exec_lo, exec_lo, s29
	v_add_co_u32 v0, s6, s22, v0
	s_delay_alu instid0(VALU_DEP_1) | instskip(SKIP_1) | instid1(SALU_CYCLE_1)
	v_add_co_ci_u32_e64 v1, s6, s23, v1, s6
	s_or_b32 s6, s3, s5
	v_cndmask_b32_e64 v128, 0, 0x7c00, s6
	s_or_b32 s6, s26, s6
	s_delay_alu instid0(SALU_CYCLE_1) | instskip(NEXT) | instid1(SALU_CYCLE_1)
	s_xor_b32 s6, s6, -1
	s_and_saveexec_b32 s29, s6
	s_cbranch_execz .LBB269_34
; %bb.33:                               ;   in Loop: Header=BB269_28 Depth=1
	v_add_co_u32 v3, s6, v0, v44
	s_delay_alu instid0(VALU_DEP_1)
	v_add_co_ci_u32_e64 v4, s6, v1, v45, s6
	flat_load_u16 v3, v[3:4]
	s_waitcnt vmcnt(0) lgkmcnt(0)
	v_mul_f16_e64 v128, s11, v3
.LBB269_34:                             ;   in Loop: Header=BB269_28 Depth=1
	s_or_b32 exec_lo, exec_lo, s29
	s_or_b32 s5, s4, s5
	s_delay_alu instid0(SALU_CYCLE_1) | instskip(SKIP_1) | instid1(SALU_CYCLE_1)
	v_cndmask_b32_e64 v129, 0, 0x7c00, s5
	s_or_b32 s5, s26, s5
	s_xor_b32 s5, s5, -1
	s_delay_alu instid0(SALU_CYCLE_1)
	s_and_saveexec_b32 s6, s5
	s_cbranch_execz .LBB269_36
; %bb.35:                               ;   in Loop: Header=BB269_28 Depth=1
	v_add_co_u32 v0, s5, v0, v46
	s_delay_alu instid0(VALU_DEP_1)
	v_add_co_ci_u32_e64 v1, s5, v1, v47, s5
	flat_load_u16 v0, v[0:1]
	s_waitcnt vmcnt(0) lgkmcnt(0)
	v_mul_f16_e64 v129, s11, v0
.LBB269_36:                             ;   in Loop: Header=BB269_28 Depth=1
	s_or_b32 exec_lo, exec_lo, s6
	v_add_nc_u32_e32 v130, 12, v2
	ds_load_2addr_b64 v[4:7], v121 offset1:32
	ds_load_2addr_b64 v[0:3], v121 offset0:64 offset1:96
	ds_load_2addr_b64 v[36:39], v122 offset1:8
	ds_load_2addr_b64 v[32:35], v122 offset0:16 offset1:24
	ds_load_2addr_b64 v[28:31], v122 offset0:32 offset1:40
	ds_load_2addr_b64 v[24:27], v122 offset0:48 offset1:56
	ds_load_2addr_b64 v[20:23], v122 offset0:64 offset1:72
	ds_load_2addr_b64 v[16:19], v122 offset0:80 offset1:88
	ds_load_2addr_b64 v[12:15], v122 offset0:96 offset1:104
	ds_load_2addr_b64 v[8:11], v122 offset0:112 offset1:120
	ds_store_b16 v106, v126
	ds_store_b16 v106, v127 offset:512
	ds_store_b16 v116, v128
	ds_store_b16 v116, v129 offset:512
	v_min_i32_e32 v48, s17, v130
	v_cmp_le_i32_e64 s5, s10, v130
	s_waitcnt lgkmcnt(0)
	s_barrier
	buffer_gl0_inv
	v_ashrrev_i32_e32 v49, 31, v48
	s_delay_alu instid0(VALU_DEP_1) | instskip(NEXT) | instid1(VALU_DEP_1)
	v_lshlrev_b64 v[48:49], 1, v[48:49]
	v_add_co_u32 v128, s6, s20, v48
	s_delay_alu instid0(VALU_DEP_1) | instskip(SKIP_1) | instid1(SALU_CYCLE_1)
	v_add_co_ci_u32_e64 v129, s6, s21, v49, s6
	s_or_b32 s6, vcc_lo, s5
	v_cndmask_b32_e64 v126, 0, 0x7c00, s6
	s_or_b32 s6, s26, s6
	s_delay_alu instid0(SALU_CYCLE_1) | instskip(NEXT) | instid1(SALU_CYCLE_1)
	s_xor_b32 s6, s6, -1
	s_and_saveexec_b32 s29, s6
	s_delay_alu instid0(SALU_CYCLE_1)
	s_xor_b32 s29, exec_lo, s29
	s_cbranch_execz .LBB269_38
; %bb.37:                               ;   in Loop: Header=BB269_28 Depth=1
	v_add_co_u32 v126, s6, v128, v40
	s_delay_alu instid0(VALU_DEP_1)
	v_add_co_ci_u32_e64 v127, s6, v129, v41, s6
	flat_load_u16 v126, v[126:127]
	s_waitcnt vmcnt(0) lgkmcnt(0)
	v_mul_f16_e32 v126, s11, v126
.LBB269_38:                             ;   in Loop: Header=BB269_28 Depth=1
	s_or_b32 exec_lo, exec_lo, s29
	s_or_b32 s6, s2, s5
	s_delay_alu instid0(SALU_CYCLE_1) | instskip(SKIP_1) | instid1(SALU_CYCLE_1)
	v_cndmask_b32_e64 v127, 0, 0x7c00, s6
	s_or_b32 s6, s26, s6
	s_xor_b32 s6, s6, -1
	s_delay_alu instid0(SALU_CYCLE_1)
	s_and_saveexec_b32 s29, s6
	s_cbranch_execz .LBB269_40
; %bb.39:                               ;   in Loop: Header=BB269_28 Depth=1
	v_add_co_u32 v127, s6, v128, v42
	s_delay_alu instid0(VALU_DEP_1)
	v_add_co_ci_u32_e64 v128, s6, v129, v43, s6
	flat_load_u16 v127, v[127:128]
	s_waitcnt vmcnt(0) lgkmcnt(0)
	v_mul_f16_e32 v127, s11, v127
.LBB269_40:                             ;   in Loop: Header=BB269_28 Depth=1
	s_or_b32 exec_lo, exec_lo, s29
	v_add_co_u32 v128, s6, s22, v48
	s_delay_alu instid0(VALU_DEP_1) | instskip(SKIP_1) | instid1(SALU_CYCLE_1)
	v_add_co_ci_u32_e64 v49, s6, s23, v49, s6
	s_or_b32 s6, s3, s5
	v_cndmask_b32_e64 v48, 0, 0x7c00, s6
	s_or_b32 s6, s26, s6
	s_delay_alu instid0(SALU_CYCLE_1) | instskip(NEXT) | instid1(SALU_CYCLE_1)
	s_xor_b32 s6, s6, -1
	s_and_saveexec_b32 s29, s6
	s_cbranch_execz .LBB269_42
; %bb.41:                               ;   in Loop: Header=BB269_28 Depth=1
	v_add_co_u32 v129, s6, v128, v44
	s_delay_alu instid0(VALU_DEP_1)
	v_add_co_ci_u32_e64 v130, s6, v49, v45, s6
	flat_load_u16 v48, v[129:130]
	s_waitcnt vmcnt(0) lgkmcnt(0)
	v_mul_f16_e32 v48, s11, v48
.LBB269_42:                             ;   in Loop: Header=BB269_28 Depth=1
	s_or_b32 exec_lo, exec_lo, s29
	v_pk_add_f16 v129, v4, v36
	v_pk_max_f16 v125, v125, v125
	v_pk_add_f16 v130, v6, v36
	v_pk_max_f16 v124, v124, v124
	;; [unrolled: 2-line block ×3, first 2 shown]
	v_pk_min_f16 v125, v125, v129
	v_pk_add_f16 v36, v2, v36
	v_pk_min_f16 v124, v124, v130
	v_pk_max_f16 v120, v120, v120
	v_pk_min_f16 v123, v123, v131
	v_pk_add_f16 v129, v4, v38
	v_pk_max_f16 v115, v115, v115
	v_pk_add_f16 v130, v6, v38
	v_pk_add_f16 v131, v0, v38
	;; [unrolled: 1-line block ×3, first 2 shown]
	v_pk_max_f16 v112, v112, v112
	v_pk_max_f16 v114, v114, v114
	v_pk_min_f16 v36, v120, v36
	v_pk_min_f16 v115, v115, v129
	v_pk_max_f16 v111, v111, v111
	v_pk_min_f16 v38, v112, v38
	v_pk_add_f16 v112, v4, v32
	v_pk_add_f16 v120, v6, v32
	;; [unrolled: 1-line block ×4, first 2 shown]
	v_pk_max_f16 v108, v108, v108
	v_pk_min_f16 v114, v114, v130
	v_pk_max_f16 v110, v110, v110
	v_pk_max_f16 v109, v109, v109
	v_pk_add_f16 v130, v4, v34
	v_pk_min_f16 v111, v111, v112
	v_pk_min_f16 v32, v108, v32
	v_pk_add_f16 v108, v6, v34
	v_pk_max_f16 v105, v105, v105
	v_pk_add_f16 v112, v0, v34
	v_pk_add_f16 v34, v2, v34
	v_pk_max_f16 v103, v103, v103
	v_pk_min_f16 v110, v110, v120
	v_pk_min_f16 v109, v109, v129
	v_pk_max_f16 v104, v104, v104
	v_pk_add_f16 v120, v4, v28
	v_pk_max_f16 v102, v102, v102
	v_pk_add_f16 v129, v6, v28
	v_pk_min_f16 v105, v105, v108
	v_pk_min_f16 v34, v103, v34
	v_pk_add_f16 v103, v0, v28
	v_pk_max_f16 v98, v98, v98
	v_pk_add_f16 v28, v2, v28
	v_pk_max_f16 v96, v96, v96
	;; [unrolled: 2-line block ×3, first 2 shown]
	v_pk_min_f16 v104, v104, v112
	v_pk_min_f16 v102, v102, v120
	v_pk_add_f16 v112, v6, v30
	v_pk_add_f16 v120, v0, v30
	v_pk_min_f16 v98, v98, v103
	v_pk_min_f16 v28, v96, v28
	;; [unrolled: 1-line block ×3, first 2 shown]
	v_pk_add_f16 v30, v2, v30
	v_pk_max_f16 v92, v92, v92
	v_pk_add_f16 v96, v4, v24
	v_pk_max_f16 v89, v89, v89
	v_pk_add_f16 v103, v6, v24
	v_pk_add_f16 v108, v0, v24
	;; [unrolled: 1-line block ×3, first 2 shown]
	v_pk_max_f16 v86, v86, v86
	v_pk_max_f16 v88, v88, v88
	v_pk_min_f16 v30, v92, v30
	v_pk_min_f16 v89, v89, v96
	v_pk_max_f16 v85, v85, v85
	v_pk_min_f16 v24, v86, v24
	v_pk_add_f16 v86, v4, v26
	v_pk_add_f16 v92, v6, v26
	v_pk_max_f16 v83, v83, v83
	v_pk_add_f16 v96, v0, v26
	v_pk_max_f16 v84, v84, v84
	;; [unrolled: 2-line block ×3, first 2 shown]
	v_pk_min_f16 v88, v88, v103
	v_pk_add_f16 v103, v4, v20
	v_pk_min_f16 v85, v85, v86
	v_pk_min_f16 v83, v83, v92
	;; [unrolled: 1-line block ×4, first 2 shown]
	v_pk_add_f16 v82, v6, v20
	v_pk_add_f16 v86, v0, v20
	v_pk_max_f16 v79, v79, v79
	v_pk_add_f16 v20, v2, v20
	v_pk_max_f16 v78, v78, v78
	;; [unrolled: 2-line block ×4, first 2 shown]
	v_pk_max_f16 v81, v81, v81
	v_pk_max_f16 v80, v80, v80
	v_pk_min_f16 v79, v79, v86
	v_pk_min_f16 v20, v78, v20
	;; [unrolled: 1-line block ×4, first 2 shown]
	v_pk_add_f16 v76, v0, v22
	v_pk_add_f16 v22, v2, v22
	v_pk_max_f16 v74, v74, v74
	v_pk_add_f16 v86, v6, v16
	v_pk_max_f16 v72, v72, v72
	;; [unrolled: 2-line block ×3, first 2 shown]
	v_pk_max_f16 v93, v93, v93
	v_pk_min_f16 v81, v81, v103
	v_pk_min_f16 v80, v80, v82
	v_pk_add_f16 v82, v4, v16
	v_pk_min_f16 v103, v74, v22
	v_pk_min_f16 v86, v72, v86
	;; [unrolled: 1-line block ×3, first 2 shown]
	v_pk_add_f16 v16, v2, v16
	v_pk_max_f16 v22, v70, v70
	v_pk_add_f16 v70, v4, v18
	v_pk_add_f16 v71, v6, v18
	;; [unrolled: 1-line block ×3, first 2 shown]
	v_pk_max_f16 v67, v67, v67
	v_pk_add_f16 v18, v2, v18
	v_pk_max_f16 v66, v66, v66
	v_pk_max_f16 v101, v101, v101
	;; [unrolled: 1-line block ×3, first 2 shown]
	v_pk_min_f16 v93, v93, v120
	v_pk_max_f16 v68, v68, v68
	v_pk_min_f16 v16, v22, v16
	v_pk_min_f16 v120, v67, v72
	;; [unrolled: 1-line block ×3, first 2 shown]
	v_pk_add_f16 v22, v4, v12
	v_pk_max_f16 v65, v65, v65
	v_pk_add_f16 v66, v6, v12
	v_pk_add_f16 v67, v0, v12
	;; [unrolled: 1-line block ×3, first 2 shown]
	v_pk_max_f16 v62, v62, v62
	v_pk_min_f16 v101, v101, v129
	v_pk_min_f16 v94, v94, v112
	;; [unrolled: 1-line block ×3, first 2 shown]
	v_pk_add_f16 v68, v4, v14
	v_pk_max_f16 v61, v61, v61
	v_pk_min_f16 v129, v65, v22
	v_pk_min_f16 v132, v62, v12
	v_pk_add_f16 v12, v6, v14
	v_pk_max_f16 v22, v60, v60
	v_pk_min_f16 v133, v61, v68
	v_pk_add_f16 v61, v4, v8
	v_pk_add_f16 v62, v6, v8
	v_pk_max_f16 v113, v113, v113
	v_pk_min_f16 v134, v22, v12
	v_pk_add_f16 v12, v0, v8
	v_pk_add_f16 v8, v2, v8
	v_pk_max_f16 v22, v54, v54
	v_pk_max_f16 v75, v75, v75
	v_pk_add_f16 v60, v0, v14
	v_pk_add_f16 v14, v2, v14
	v_pk_max_f16 v58, v58, v58
	v_pk_add_f16 v6, v6, v10
	v_pk_max_f16 v52, v52, v52
	v_pk_min_f16 v140, v22, v8
	v_pk_add_f16 v8, v5, v37
	v_pk_min_f16 v113, v113, v131
	v_pk_max_f16 v87, v87, v87
	v_pk_max_f16 v73, v73, v73
	v_pk_min_f16 v96, v75, v76
	v_pk_max_f16 v69, v69, v69
	v_pk_min_f16 v136, v58, v14
	v_pk_max_f16 v14, v55, v55
	v_pk_add_f16 v4, v4, v10
	v_pk_add_f16 v0, v0, v10
	v_pk_min_f16 v141, v52, v6
	v_pk_add_f16 v2, v2, v10
	v_pk_max_f16 v6, v50, v50
	v_pk_add_f16 v10, v7, v37
	v_pk_min_f16 v75, v125, v8
	v_pk_add_f16 v8, v1, v39
	v_pk_max_f16 v107, v107, v107
	v_pk_min_f16 v87, v87, v108
	v_pk_min_f16 v82, v73, v82
	;; [unrolled: 1-line block ×3, first 2 shown]
	v_pk_max_f16 v64, v64, v64
	v_pk_min_f16 v139, v14, v12
	v_pk_add_f16 v12, v1, v37
	v_pk_min_f16 v142, v6, v2
	v_pk_min_f16 v73, v124, v10
	v_pk_add_f16 v2, v5, v39
	v_pk_add_f16 v6, v7, v39
	;; [unrolled: 1-line block ×3, first 2 shown]
	v_pk_min_f16 v70, v113, v8
	v_pk_add_f16 v8, v3, v33
	v_pk_min_f16 v107, v107, v130
	v_pk_max_f16 v63, v63, v63
	v_pk_min_f16 v130, v64, v66
	v_pk_max_f16 v57, v57, v57
	v_pk_max_f16 v56, v56, v56
	v_pk_min_f16 v72, v123, v12
	v_pk_add_f16 v12, v5, v33
	v_pk_min_f16 v76, v115, v2
	v_pk_min_f16 v74, v114, v6
	;; [unrolled: 1-line block ×3, first 2 shown]
	v_pk_add_f16 v2, v7, v33
	v_pk_add_f16 v6, v1, v33
	;; [unrolled: 1-line block ×3, first 2 shown]
	v_pk_min_f16 v66, v32, v8
	v_pk_add_f16 v8, v5, v29
	v_pk_min_f16 v131, v63, v67
	v_pk_max_f16 v59, v59, v59
	v_pk_min_f16 v137, v57, v61
	v_pk_min_f16 v138, v56, v62
	;; [unrolled: 1-line block ×3, first 2 shown]
	v_pk_add_f16 v12, v7, v35
	v_pk_min_f16 v69, v110, v2
	v_pk_min_f16 v67, v109, v6
	;; [unrolled: 1-line block ×3, first 2 shown]
	v_pk_add_f16 v2, v1, v35
	v_pk_add_f16 v6, v3, v35
	;; [unrolled: 1-line block ×3, first 2 shown]
	v_pk_min_f16 v61, v102, v8
	v_pk_add_f16 v8, v7, v31
	v_pk_min_f16 v135, v59, v60
	v_pk_max_f16 v51, v51, v51
	v_pk_min_f16 v57, v105, v12
	v_pk_add_f16 v12, v1, v29
	v_pk_min_f16 v65, v104, v2
	v_pk_min_f16 v63, v34, v6
	;; [unrolled: 1-line block ×3, first 2 shown]
	v_pk_add_f16 v2, v3, v29
	v_pk_add_f16 v6, v5, v31
	;; [unrolled: 1-line block ×3, first 2 shown]
	v_pk_min_f16 v56, v94, v8
	v_pk_add_f16 v8, v1, v25
	v_pk_max_f16 v53, v53, v53
	v_pk_min_f16 v0, v51, v0
	v_pk_add_f16 v14, v3, v37
	v_pk_min_f16 v52, v98, v12
	v_pk_add_f16 v12, v3, v31
	v_pk_min_f16 v60, v28, v2
	v_pk_min_f16 v58, v95, v6
	;; [unrolled: 1-line block ×3, first 2 shown]
	v_pk_add_f16 v2, v5, v25
	v_pk_add_f16 v6, v7, v25
	;; [unrolled: 1-line block ×3, first 2 shown]
	v_pk_min_f16 v51, v87, v8
	v_pk_add_f16 v8, v3, v27
	v_pk_min_f16 v4, v53, v4
	v_pk_min_f16 v71, v36, v14
	;; [unrolled: 1-line block ×3, first 2 shown]
	v_pk_add_f16 v12, v5, v27
	v_pk_min_f16 v55, v89, v2
	v_pk_min_f16 v53, v88, v6
	v_pk_min_f16 v39, v24, v10
	v_pk_add_f16 v2, v7, v27
	v_pk_add_f16 v6, v1, v27
	v_pk_add_f16 v10, v5, v21
	v_pk_min_f16 v36, v26, v8
	v_pk_add_f16 v8, v5, v23
	v_pk_min_f16 v32, v85, v12
	v_pk_add_f16 v12, v7, v21
	v_pk_min_f16 v50, v83, v2
	v_pk_min_f16 v38, v84, v6
	v_pk_min_f16 v34, v81, v10
	v_pk_add_f16 v2, v1, v21
	v_pk_add_f16 v6, v3, v21
	v_pk_add_f16 v10, v7, v23
	v_pk_min_f16 v31, v77, v8
	v_pk_add_f16 v8, v7, v17
	v_pk_min_f16 v27, v80, v12
	;; [unrolled: 10-line block ×4, first 2 shown]
	v_pk_add_f16 v12, v5, v13
	v_pk_min_f16 v25, v108, v2
	v_pk_min_f16 v23, v112, v6
	;; [unrolled: 1-line block ×3, first 2 shown]
	v_pk_add_f16 v2, v7, v13
	v_pk_add_f16 v6, v1, v13
	;; [unrolled: 1-line block ×4, first 2 shown]
	v_pk_min_f16 v16, v132, v8
	v_pk_add_f16 v8, v3, v15
	v_pk_add_f16 v77, v7, v9
	v_pk_min_f16 v20, v130, v2
	v_pk_min_f16 v18, v131, v6
	;; [unrolled: 1-line block ×4, first 2 shown]
	v_pk_add_f16 v2, v1, v15
	v_pk_add_f16 v10, v5, v9
	;; [unrolled: 1-line block ×3, first 2 shown]
	v_pk_min_f16 v13, v136, v8
	v_pk_min_f16 v8, v138, v77
	v_pk_add_f16 v9, v3, v9
	v_pk_add_f16 v5, v5, v11
	;; [unrolled: 1-line block ×5, first 2 shown]
	s_or_b32 s5, s4, s5
	v_pk_min_f16 v12, v129, v12
	v_pk_min_f16 v15, v135, v2
	;; [unrolled: 1-line block ×9, first 2 shown]
	v_cndmask_b32_e64 v0, 0, 0x7c00, s5
	s_or_b32 s5, s26, s5
	s_delay_alu instid0(SALU_CYCLE_1) | instskip(NEXT) | instid1(SALU_CYCLE_1)
	s_xor_b32 s5, s5, -1
	s_and_saveexec_b32 s6, s5
	s_cbranch_execz .LBB269_27
; %bb.43:                               ;   in Loop: Header=BB269_28 Depth=1
	v_add_co_u32 v77, s5, v128, v46
	s_delay_alu instid0(VALU_DEP_1)
	v_add_co_ci_u32_e64 v78, s5, v49, v47, s5
	flat_load_u16 v0, v[77:78]
	s_waitcnt vmcnt(0) lgkmcnt(0)
	v_mul_f16_e32 v0, s11, v0
	s_branch .LBB269_27
.LBB269_44:
	s_clause 0x2
	s_load_b64 s[2:3], s[0:1], 0x70
	s_load_b32 s6, s[0:1], 0x50
	s_load_b32 s5, s[0:1], 0x68
	v_add_nc_u32_e32 v4, 0x800, v100
	v_add_nc_u32_e32 v49, s16, v91
	ds_load_2addr_b64 v[8:11], v99 offset0:128 offset1:160
	ds_load_2addr_b64 v[0:3], v99 offset0:192 offset1:224
	v_add_nc_u32_e32 v40, s14, v90
	ds_load_2addr_b64 v[36:39], v4 offset0:128 offset1:136
	ds_load_2addr_b64 v[32:35], v4 offset0:144 offset1:152
	;; [unrolled: 1-line block ×8, first 2 shown]
	v_cmp_gt_i32_e64 s4, s9, v49
	v_cndmask_b32_e64 v48, 0, 1, s24
	s_waitcnt lgkmcnt(0)
	s_mul_i32 s0, s15, s3
	v_mad_i64_i32 v[41:42], null, v49, s6, 0
	v_mad_i64_i32 v[43:44], null, v49, s5, 0
	s_mul_hi_u32 s1, s15, s2
	s_mul_i32 s3, s25, s2
	s_add_i32 s1, s1, s0
	s_mul_i32 s0, s15, s2
	s_delay_alu instid0(VALU_DEP_2) | instskip(SKIP_1) | instid1(VALU_DEP_2)
	v_lshlrev_b64 v[45:46], 1, v[41:42]
	s_add_i32 s1, s1, s3
	v_lshlrev_b64 v[42:43], 1, v[43:44]
	s_lshl_b64 s[0:1], s[0:1], 1
	v_ashrrev_i32_e32 v41, 31, v40
	s_add_u32 s10, s18, s0
	v_add_co_u32 v97, vcc_lo, s12, v45
	v_add_co_ci_u32_e32 v99, vcc_lo, s13, v46, vcc_lo
	s_addc_u32 s11, s19, s1
	v_cmp_gt_i32_e64 s0, s8, v40
	v_add_co_u32 v90, vcc_lo, s10, v42
	v_add_co_ci_u32_e32 v91, vcc_lo, s11, v43, vcc_lo
	s_delay_alu instid0(VALU_DEP_3) | instskip(NEXT) | instid1(SALU_CYCLE_1)
	s_and_b32 s1, s0, s4
	s_and_saveexec_b32 s2, s1
	s_delay_alu instid0(SALU_CYCLE_1)
	s_xor_b32 s1, exec_lo, s2
	s_cbranch_execz .LBB269_49
; %bb.45:
	s_and_not1_b32 vcc_lo, exec_lo, s24
	s_cbranch_vccnz .LBB269_47
; %bb.46:
	v_lshlrev_b64 v[42:43], 1, v[40:41]
	s_delay_alu instid0(VALU_DEP_1) | instskip(NEXT) | instid1(VALU_DEP_2)
	v_add_co_u32 v42, vcc_lo, v97, v42
	v_add_co_ci_u32_e32 v43, vcc_lo, v99, v43, vcc_lo
	flat_load_u16 v42, v[42:43]
	s_waitcnt vmcnt(0) lgkmcnt(0)
	v_mul_f16_e32 v42, s7, v42
	s_branch .LBB269_48
.LBB269_47:
	v_mov_b32_e32 v42, 0
.LBB269_48:
	v_pk_add_f16 v43, v8, v36
	v_pk_max_f16 v44, v125, v125
	v_pk_add_f16 v45, v9, v37
	s_delay_alu instid0(VALU_DEP_2) | instskip(NEXT) | instid1(VALU_DEP_1)
	v_pk_min_f16 v43, v44, v43
	v_pk_min_f16 v45, v43, v45
	v_lshlrev_b64 v[43:44], 1, v[40:41]
	s_delay_alu instid0(VALU_DEP_2) | instskip(NEXT) | instid1(VALU_DEP_1)
	v_lshrrev_b32_e32 v46, 16, v45
	v_min3_f16 v45, v42, v45, v46
	s_delay_alu instid0(VALU_DEP_3) | instskip(NEXT) | instid1(VALU_DEP_4)
	v_add_co_u32 v42, vcc_lo, v90, v43
	v_add_co_ci_u32_e32 v43, vcc_lo, v91, v44, vcc_lo
	global_store_b16 v[42:43], v45, off
.LBB269_49:
	s_or_b32 exec_lo, exec_lo, s1
	v_add_nc_u32_e32 v42, 32, v40
	s_delay_alu instid0(VALU_DEP_1) | instskip(SKIP_1) | instid1(VALU_DEP_2)
	v_cmp_gt_i32_e64 s1, s8, v42
	v_ashrrev_i32_e32 v43, 31, v42
	s_and_b32 s3, s1, s4
	s_delay_alu instid0(SALU_CYCLE_1)
	s_and_saveexec_b32 s2, s3
	s_cbranch_execz .LBB269_54
; %bb.50:
	v_cmp_ne_u32_e32 vcc_lo, 1, v48
	s_cbranch_vccnz .LBB269_52
; %bb.51:
	v_lshlrev_b64 v[44:45], 1, v[42:43]
	s_delay_alu instid0(VALU_DEP_1) | instskip(NEXT) | instid1(VALU_DEP_2)
	v_add_co_u32 v44, vcc_lo, v97, v44
	v_add_co_ci_u32_e32 v45, vcc_lo, v99, v45, vcc_lo
	flat_load_u16 v44, v[44:45]
	s_waitcnt vmcnt(0) lgkmcnt(0)
	v_mul_f16_e32 v44, s7, v44
	s_branch .LBB269_53
.LBB269_52:
	v_mov_b32_e32 v44, 0
.LBB269_53:
	v_pk_add_f16 v45, v10, v36
	v_pk_max_f16 v46, v124, v124
	v_pk_add_f16 v47, v11, v37
	s_delay_alu instid0(VALU_DEP_2) | instskip(NEXT) | instid1(VALU_DEP_1)
	v_pk_min_f16 v45, v46, v45
	v_pk_min_f16 v47, v45, v47
	v_lshlrev_b64 v[45:46], 1, v[42:43]
	s_delay_alu instid0(VALU_DEP_2) | instskip(NEXT) | instid1(VALU_DEP_1)
	v_lshrrev_b32_e32 v100, 16, v47
	v_min3_f16 v47, v44, v47, v100
	s_delay_alu instid0(VALU_DEP_3) | instskip(NEXT) | instid1(VALU_DEP_4)
	v_add_co_u32 v44, vcc_lo, v90, v45
	v_add_co_ci_u32_e32 v45, vcc_lo, v91, v46, vcc_lo
	global_store_b16 v[44:45], v47, off
.LBB269_54:
	s_or_b32 exec_lo, exec_lo, s2
	v_add_nc_u32_e32 v44, 64, v40
	s_delay_alu instid0(VALU_DEP_1) | instskip(SKIP_1) | instid1(VALU_DEP_2)
	v_cmp_gt_i32_e64 s2, s8, v44
	v_ashrrev_i32_e32 v45, 31, v44
	s_and_b32 s14, s2, s4
	s_delay_alu instid0(SALU_CYCLE_1)
	s_and_saveexec_b32 s3, s14
	s_cbranch_execz .LBB269_59
; %bb.55:
	v_cmp_ne_u32_e32 vcc_lo, 1, v48
	s_cbranch_vccnz .LBB269_57
; %bb.56:
	v_lshlrev_b64 v[46:47], 1, v[44:45]
	s_delay_alu instid0(VALU_DEP_1) | instskip(NEXT) | instid1(VALU_DEP_2)
	v_add_co_u32 v46, vcc_lo, v97, v46
	v_add_co_ci_u32_e32 v47, vcc_lo, v99, v47, vcc_lo
	flat_load_u16 v46, v[46:47]
	s_waitcnt vmcnt(0) lgkmcnt(0)
	v_mul_f16_e32 v46, s7, v46
	s_branch .LBB269_58
.LBB269_57:
	v_mov_b32_e32 v46, 0
.LBB269_58:
	v_pk_add_f16 v47, v0, v36
	v_pk_max_f16 v100, v123, v123
	v_pk_add_f16 v106, v1, v37
	v_lshlrev_b64 v[116:117], 1, v[44:45]
	s_delay_alu instid0(VALU_DEP_3) | instskip(NEXT) | instid1(VALU_DEP_1)
	v_pk_min_f16 v47, v100, v47
	v_pk_min_f16 v47, v47, v106
	s_delay_alu instid0(VALU_DEP_1) | instskip(NEXT) | instid1(VALU_DEP_1)
	v_lshrrev_b32_e32 v100, 16, v47
	v_min3_f16 v100, v46, v47, v100
	v_add_co_u32 v46, vcc_lo, v90, v116
	v_add_co_ci_u32_e32 v47, vcc_lo, v91, v117, vcc_lo
	global_store_b16 v[46:47], v100, off
.LBB269_59:
	s_or_b32 exec_lo, exec_lo, s3
	v_add_nc_u32_e32 v46, 0x60, v40
	s_delay_alu instid0(VALU_DEP_1) | instskip(SKIP_1) | instid1(VALU_DEP_2)
	v_cmp_gt_i32_e64 s3, s8, v46
	v_ashrrev_i32_e32 v47, 31, v46
	s_and_b32 s8, s3, s4
	s_delay_alu instid0(SALU_CYCLE_1)
	s_and_saveexec_b32 s4, s8
	s_cbranch_execz .LBB269_64
; %bb.60:
	v_cmp_ne_u32_e32 vcc_lo, 1, v48
	s_cbranch_vccnz .LBB269_62
; %bb.61:
	v_lshlrev_b64 v[116:117], 1, v[46:47]
	s_delay_alu instid0(VALU_DEP_1) | instskip(NEXT) | instid1(VALU_DEP_2)
	v_add_co_u32 v116, vcc_lo, v97, v116
	v_add_co_ci_u32_e32 v117, vcc_lo, v99, v117, vcc_lo
	flat_load_u16 v97, v[116:117]
	s_waitcnt vmcnt(0) lgkmcnt(0)
	v_mul_f16_e32 v97, s7, v97
	s_branch .LBB269_63
.LBB269_62:
	v_mov_b32_e32 v97, 0
.LBB269_63:
	v_pk_add_f16 v36, v2, v36
	v_pk_max_f16 v99, v120, v120
	v_pk_add_f16 v37, v3, v37
	s_delay_alu instid0(VALU_DEP_2) | instskip(NEXT) | instid1(VALU_DEP_1)
	v_pk_min_f16 v36, v99, v36
	v_pk_min_f16 v99, v36, v37
	v_lshlrev_b64 v[36:37], 1, v[46:47]
	s_delay_alu instid0(VALU_DEP_2) | instskip(NEXT) | instid1(VALU_DEP_2)
	v_lshrrev_b32_e32 v100, 16, v99
	v_add_co_u32 v36, vcc_lo, v90, v36
	s_delay_alu instid0(VALU_DEP_3) | instskip(NEXT) | instid1(VALU_DEP_3)
	v_add_co_ci_u32_e32 v37, vcc_lo, v91, v37, vcc_lo
	v_min3_f16 v97, v97, v99, v100
	global_store_b16 v[36:37], v97, off
.LBB269_64:
	s_or_b32 exec_lo, exec_lo, s4
	v_add_nc_u32_e32 v97, 8, v49
	s_delay_alu instid0(VALU_DEP_1) | instskip(SKIP_2) | instid1(VALU_DEP_3)
	v_mad_i64_i32 v[36:37], null, v97, s6, 0
	v_mad_i64_i32 v[90:91], null, v97, s5, 0
	v_cmp_gt_i32_e64 s4, s9, v97
	v_lshlrev_b64 v[36:37], 1, v[36:37]
	s_delay_alu instid0(VALU_DEP_2) | instskip(NEXT) | instid1(VALU_DEP_3)
	s_and_b32 s14, s0, s4
	v_lshlrev_b64 v[99:100], 1, v[90:91]
	s_delay_alu instid0(VALU_DEP_2) | instskip(NEXT) | instid1(VALU_DEP_3)
	v_add_co_u32 v90, vcc_lo, s12, v36
	v_add_co_ci_u32_e32 v91, vcc_lo, s13, v37, vcc_lo
	s_delay_alu instid0(VALU_DEP_3) | instskip(NEXT) | instid1(VALU_DEP_4)
	v_add_co_u32 v36, vcc_lo, s10, v99
	v_add_co_ci_u32_e32 v37, vcc_lo, s11, v100, vcc_lo
	s_and_saveexec_b32 s8, s14
	s_cbranch_execnz .LBB269_68
; %bb.65:
	s_or_b32 exec_lo, exec_lo, s8
	s_and_b32 s14, s1, s4
	s_delay_alu instid0(SALU_CYCLE_1)
	s_and_saveexec_b32 s8, s14
	s_cbranch_execnz .LBB269_72
.LBB269_66:
	s_or_b32 exec_lo, exec_lo, s8
	s_and_b32 s14, s2, s4
	s_delay_alu instid0(SALU_CYCLE_1)
	s_and_saveexec_b32 s8, s14
	s_cbranch_execnz .LBB269_76
.LBB269_67:
	s_or_b32 exec_lo, exec_lo, s8
	s_and_b32 s8, s3, s4
	s_delay_alu instid0(SALU_CYCLE_1)
	s_and_saveexec_b32 s4, s8
	s_cbranch_execnz .LBB269_80
	s_branch .LBB269_84
.LBB269_68:
	v_cmp_ne_u32_e32 vcc_lo, 1, v48
	s_cbranch_vccnz .LBB269_70
; %bb.69:
	v_lshlrev_b64 v[99:100], 1, v[40:41]
	s_delay_alu instid0(VALU_DEP_1) | instskip(NEXT) | instid1(VALU_DEP_2)
	v_add_co_u32 v99, vcc_lo, v90, v99
	v_add_co_ci_u32_e32 v100, vcc_lo, v91, v100, vcc_lo
	flat_load_u16 v97, v[99:100]
	s_waitcnt vmcnt(0) lgkmcnt(0)
	v_mul_f16_e32 v97, s7, v97
	s_branch .LBB269_71
.LBB269_70:
	v_mov_b32_e32 v97, 0
.LBB269_71:
	v_pk_add_f16 v99, v8, v38
	v_pk_max_f16 v100, v115, v115
	v_pk_add_f16 v106, v9, v39
	s_delay_alu instid0(VALU_DEP_2) | instskip(NEXT) | instid1(VALU_DEP_1)
	v_pk_min_f16 v99, v100, v99
	v_pk_min_f16 v106, v99, v106
	v_lshlrev_b64 v[99:100], 1, v[40:41]
	s_delay_alu instid0(VALU_DEP_2) | instskip(NEXT) | instid1(VALU_DEP_2)
	v_lshrrev_b32_e32 v115, 16, v106
	v_add_co_u32 v99, vcc_lo, v36, v99
	s_delay_alu instid0(VALU_DEP_3) | instskip(NEXT) | instid1(VALU_DEP_3)
	v_add_co_ci_u32_e32 v100, vcc_lo, v37, v100, vcc_lo
	v_min3_f16 v97, v97, v106, v115
	global_store_b16 v[99:100], v97, off
	s_or_b32 exec_lo, exec_lo, s8
	s_and_b32 s14, s1, s4
	s_delay_alu instid0(SALU_CYCLE_1)
	s_and_saveexec_b32 s8, s14
	s_cbranch_execz .LBB269_66
.LBB269_72:
	v_cmp_ne_u32_e32 vcc_lo, 1, v48
	s_cbranch_vccnz .LBB269_74
; %bb.73:
	v_lshlrev_b64 v[99:100], 1, v[42:43]
	s_delay_alu instid0(VALU_DEP_1) | instskip(NEXT) | instid1(VALU_DEP_2)
	v_add_co_u32 v99, vcc_lo, v90, v99
	v_add_co_ci_u32_e32 v100, vcc_lo, v91, v100, vcc_lo
	flat_load_u16 v97, v[99:100]
	s_waitcnt vmcnt(0) lgkmcnt(0)
	v_mul_f16_e32 v97, s7, v97
	s_branch .LBB269_75
.LBB269_74:
	v_mov_b32_e32 v97, 0
.LBB269_75:
	v_pk_add_f16 v99, v10, v38
	v_pk_max_f16 v100, v114, v114
	v_pk_add_f16 v106, v11, v39
	s_delay_alu instid0(VALU_DEP_2) | instskip(NEXT) | instid1(VALU_DEP_1)
	v_pk_min_f16 v99, v100, v99
	v_pk_min_f16 v106, v99, v106
	v_lshlrev_b64 v[99:100], 1, v[42:43]
	s_delay_alu instid0(VALU_DEP_2) | instskip(NEXT) | instid1(VALU_DEP_2)
	v_lshrrev_b32_e32 v114, 16, v106
	v_add_co_u32 v99, vcc_lo, v36, v99
	s_delay_alu instid0(VALU_DEP_3) | instskip(NEXT) | instid1(VALU_DEP_3)
	v_add_co_ci_u32_e32 v100, vcc_lo, v37, v100, vcc_lo
	v_min3_f16 v97, v97, v106, v114
	global_store_b16 v[99:100], v97, off
	s_or_b32 exec_lo, exec_lo, s8
	s_and_b32 s14, s2, s4
	s_delay_alu instid0(SALU_CYCLE_1)
	s_and_saveexec_b32 s8, s14
	s_cbranch_execz .LBB269_67
.LBB269_76:
	v_cmp_ne_u32_e32 vcc_lo, 1, v48
	s_cbranch_vccnz .LBB269_78
; %bb.77:
	v_lshlrev_b64 v[99:100], 1, v[44:45]
	s_delay_alu instid0(VALU_DEP_1) | instskip(NEXT) | instid1(VALU_DEP_2)
	v_add_co_u32 v99, vcc_lo, v90, v99
	v_add_co_ci_u32_e32 v100, vcc_lo, v91, v100, vcc_lo
	flat_load_u16 v97, v[99:100]
	s_waitcnt vmcnt(0) lgkmcnt(0)
	v_mul_f16_e32 v97, s7, v97
	s_branch .LBB269_79
.LBB269_78:
	v_mov_b32_e32 v97, 0
.LBB269_79:
	v_pk_add_f16 v99, v0, v38
	v_pk_max_f16 v100, v113, v113
	v_pk_add_f16 v106, v1, v39
	s_delay_alu instid0(VALU_DEP_2) | instskip(NEXT) | instid1(VALU_DEP_1)
	v_pk_min_f16 v99, v100, v99
	v_pk_min_f16 v106, v99, v106
	v_lshlrev_b64 v[99:100], 1, v[44:45]
	s_delay_alu instid0(VALU_DEP_2) | instskip(NEXT) | instid1(VALU_DEP_2)
	v_lshrrev_b32_e32 v113, 16, v106
	v_add_co_u32 v99, vcc_lo, v36, v99
	s_delay_alu instid0(VALU_DEP_3) | instskip(NEXT) | instid1(VALU_DEP_3)
	v_add_co_ci_u32_e32 v100, vcc_lo, v37, v100, vcc_lo
	v_min3_f16 v97, v97, v106, v113
	global_store_b16 v[99:100], v97, off
	s_or_b32 exec_lo, exec_lo, s8
	s_and_b32 s8, s3, s4
	s_delay_alu instid0(SALU_CYCLE_1)
	s_and_saveexec_b32 s4, s8
	s_cbranch_execz .LBB269_84
.LBB269_80:
	v_cmp_ne_u32_e32 vcc_lo, 1, v48
	s_cbranch_vccnz .LBB269_82
; %bb.81:
	v_lshlrev_b64 v[99:100], 1, v[46:47]
	s_delay_alu instid0(VALU_DEP_1) | instskip(NEXT) | instid1(VALU_DEP_2)
	v_add_co_u32 v90, vcc_lo, v90, v99
	v_add_co_ci_u32_e32 v91, vcc_lo, v91, v100, vcc_lo
	flat_load_u16 v90, v[90:91]
	s_waitcnt vmcnt(0) lgkmcnt(0)
	v_mul_f16_e32 v90, s7, v90
	s_branch .LBB269_83
.LBB269_82:
	v_mov_b32_e32 v90, 0
.LBB269_83:
	v_pk_add_f16 v38, v2, v38
	v_pk_max_f16 v91, v112, v112
	v_pk_add_f16 v39, v3, v39
	s_delay_alu instid0(VALU_DEP_2) | instskip(NEXT) | instid1(VALU_DEP_1)
	v_pk_min_f16 v38, v91, v38
	v_pk_min_f16 v91, v38, v39
	v_lshlrev_b64 v[38:39], 1, v[46:47]
	s_delay_alu instid0(VALU_DEP_2) | instskip(NEXT) | instid1(VALU_DEP_2)
	v_lshrrev_b32_e32 v97, 16, v91
	v_add_co_u32 v36, vcc_lo, v36, v38
	s_delay_alu instid0(VALU_DEP_3) | instskip(NEXT) | instid1(VALU_DEP_3)
	v_add_co_ci_u32_e32 v37, vcc_lo, v37, v39, vcc_lo
	v_min3_f16 v90, v90, v91, v97
	global_store_b16 v[36:37], v90, off
.LBB269_84:
	s_or_b32 exec_lo, exec_lo, s4
	v_add_nc_u32_e32 v90, 16, v49
	s_delay_alu instid0(VALU_DEP_1) | instskip(SKIP_2) | instid1(VALU_DEP_3)
	v_mad_i64_i32 v[36:37], null, v90, s6, 0
	v_mad_i64_i32 v[38:39], null, v90, s5, 0
	v_cmp_gt_i32_e64 s4, s9, v90
	v_lshlrev_b64 v[36:37], 1, v[36:37]
	s_delay_alu instid0(VALU_DEP_2) | instskip(NEXT) | instid1(VALU_DEP_3)
	s_and_b32 s14, s0, s4
	v_lshlrev_b64 v[90:91], 1, v[38:39]
	s_delay_alu instid0(VALU_DEP_2) | instskip(NEXT) | instid1(VALU_DEP_3)
	v_add_co_u32 v38, vcc_lo, s12, v36
	v_add_co_ci_u32_e32 v39, vcc_lo, s13, v37, vcc_lo
	s_delay_alu instid0(VALU_DEP_3) | instskip(NEXT) | instid1(VALU_DEP_4)
	v_add_co_u32 v36, vcc_lo, s10, v90
	v_add_co_ci_u32_e32 v37, vcc_lo, s11, v91, vcc_lo
	s_and_saveexec_b32 s8, s14
	s_cbranch_execnz .LBB269_88
; %bb.85:
	s_or_b32 exec_lo, exec_lo, s8
	s_and_b32 s14, s1, s4
	s_delay_alu instid0(SALU_CYCLE_1)
	s_and_saveexec_b32 s8, s14
	s_cbranch_execnz .LBB269_92
.LBB269_86:
	s_or_b32 exec_lo, exec_lo, s8
	s_and_b32 s14, s2, s4
	s_delay_alu instid0(SALU_CYCLE_1)
	s_and_saveexec_b32 s8, s14
	s_cbranch_execnz .LBB269_96
.LBB269_87:
	s_or_b32 exec_lo, exec_lo, s8
	s_and_b32 s8, s3, s4
	s_delay_alu instid0(SALU_CYCLE_1)
	s_and_saveexec_b32 s4, s8
	s_cbranch_execnz .LBB269_100
	s_branch .LBB269_104
.LBB269_88:
	v_cmp_ne_u32_e32 vcc_lo, 1, v48
	s_cbranch_vccnz .LBB269_90
; %bb.89:
	v_lshlrev_b64 v[90:91], 1, v[40:41]
	s_delay_alu instid0(VALU_DEP_1) | instskip(NEXT) | instid1(VALU_DEP_2)
	v_add_co_u32 v90, vcc_lo, v38, v90
	v_add_co_ci_u32_e32 v91, vcc_lo, v39, v91, vcc_lo
	flat_load_u16 v90, v[90:91]
	s_waitcnt vmcnt(0) lgkmcnt(0)
	v_mul_f16_e32 v90, s7, v90
	s_branch .LBB269_91
.LBB269_90:
	v_mov_b32_e32 v90, 0
.LBB269_91:
	v_pk_add_f16 v91, v8, v32
	v_pk_max_f16 v97, v111, v111
	v_pk_add_f16 v99, v9, v33
	s_delay_alu instid0(VALU_DEP_2) | instskip(NEXT) | instid1(VALU_DEP_1)
	v_pk_min_f16 v91, v97, v91
	v_pk_min_f16 v91, v91, v99
	v_lshlrev_b64 v[99:100], 1, v[40:41]
	s_delay_alu instid0(VALU_DEP_2) | instskip(NEXT) | instid1(VALU_DEP_1)
	v_lshrrev_b32_e32 v97, 16, v91
	v_min3_f16 v97, v90, v91, v97
	s_delay_alu instid0(VALU_DEP_3) | instskip(NEXT) | instid1(VALU_DEP_4)
	v_add_co_u32 v90, vcc_lo, v36, v99
	v_add_co_ci_u32_e32 v91, vcc_lo, v37, v100, vcc_lo
	global_store_b16 v[90:91], v97, off
	s_or_b32 exec_lo, exec_lo, s8
	s_and_b32 s14, s1, s4
	s_delay_alu instid0(SALU_CYCLE_1)
	s_and_saveexec_b32 s8, s14
	s_cbranch_execz .LBB269_86
.LBB269_92:
	v_cmp_ne_u32_e32 vcc_lo, 1, v48
	s_cbranch_vccnz .LBB269_94
; %bb.93:
	v_lshlrev_b64 v[90:91], 1, v[42:43]
	s_delay_alu instid0(VALU_DEP_1) | instskip(NEXT) | instid1(VALU_DEP_2)
	v_add_co_u32 v90, vcc_lo, v38, v90
	v_add_co_ci_u32_e32 v91, vcc_lo, v39, v91, vcc_lo
	flat_load_u16 v90, v[90:91]
	s_waitcnt vmcnt(0) lgkmcnt(0)
	v_mul_f16_e32 v90, s7, v90
	s_branch .LBB269_95
.LBB269_94:
	v_mov_b32_e32 v90, 0
.LBB269_95:
	v_pk_add_f16 v91, v10, v32
	v_pk_max_f16 v97, v110, v110
	v_pk_add_f16 v99, v11, v33
	s_delay_alu instid0(VALU_DEP_2) | instskip(NEXT) | instid1(VALU_DEP_1)
	v_pk_min_f16 v91, v97, v91
	v_pk_min_f16 v91, v91, v99
	v_lshlrev_b64 v[99:100], 1, v[42:43]
	s_delay_alu instid0(VALU_DEP_2) | instskip(NEXT) | instid1(VALU_DEP_1)
	v_lshrrev_b32_e32 v97, 16, v91
	v_min3_f16 v97, v90, v91, v97
	s_delay_alu instid0(VALU_DEP_3) | instskip(NEXT) | instid1(VALU_DEP_4)
	v_add_co_u32 v90, vcc_lo, v36, v99
	v_add_co_ci_u32_e32 v91, vcc_lo, v37, v100, vcc_lo
	global_store_b16 v[90:91], v97, off
	s_or_b32 exec_lo, exec_lo, s8
	s_and_b32 s14, s2, s4
	s_delay_alu instid0(SALU_CYCLE_1)
	s_and_saveexec_b32 s8, s14
	s_cbranch_execz .LBB269_87
.LBB269_96:
	v_cmp_ne_u32_e32 vcc_lo, 1, v48
	s_cbranch_vccnz .LBB269_98
; %bb.97:
	v_lshlrev_b64 v[90:91], 1, v[44:45]
	s_delay_alu instid0(VALU_DEP_1) | instskip(NEXT) | instid1(VALU_DEP_2)
	v_add_co_u32 v90, vcc_lo, v38, v90
	v_add_co_ci_u32_e32 v91, vcc_lo, v39, v91, vcc_lo
	flat_load_u16 v90, v[90:91]
	s_waitcnt vmcnt(0) lgkmcnt(0)
	v_mul_f16_e32 v90, s7, v90
	s_branch .LBB269_99
.LBB269_98:
	v_mov_b32_e32 v90, 0
.LBB269_99:
	v_pk_add_f16 v91, v0, v32
	v_pk_max_f16 v97, v109, v109
	v_pk_add_f16 v99, v1, v33
	s_delay_alu instid0(VALU_DEP_2) | instskip(NEXT) | instid1(VALU_DEP_1)
	v_pk_min_f16 v91, v97, v91
	v_pk_min_f16 v91, v91, v99
	v_lshlrev_b64 v[99:100], 1, v[44:45]
	s_delay_alu instid0(VALU_DEP_2) | instskip(NEXT) | instid1(VALU_DEP_1)
	v_lshrrev_b32_e32 v97, 16, v91
	v_min3_f16 v97, v90, v91, v97
	s_delay_alu instid0(VALU_DEP_3) | instskip(NEXT) | instid1(VALU_DEP_4)
	v_add_co_u32 v90, vcc_lo, v36, v99
	v_add_co_ci_u32_e32 v91, vcc_lo, v37, v100, vcc_lo
	global_store_b16 v[90:91], v97, off
	s_or_b32 exec_lo, exec_lo, s8
	s_and_b32 s8, s3, s4
	s_delay_alu instid0(SALU_CYCLE_1)
	s_and_saveexec_b32 s4, s8
	s_cbranch_execz .LBB269_104
.LBB269_100:
	v_cmp_ne_u32_e32 vcc_lo, 1, v48
	s_cbranch_vccnz .LBB269_102
; %bb.101:
	v_lshlrev_b64 v[90:91], 1, v[46:47]
	s_delay_alu instid0(VALU_DEP_1) | instskip(NEXT) | instid1(VALU_DEP_2)
	v_add_co_u32 v38, vcc_lo, v38, v90
	v_add_co_ci_u32_e32 v39, vcc_lo, v39, v91, vcc_lo
	flat_load_u16 v38, v[38:39]
	s_waitcnt vmcnt(0) lgkmcnt(0)
	v_mul_f16_e32 v38, s7, v38
	s_branch .LBB269_103
.LBB269_102:
	v_mov_b32_e32 v38, 0
.LBB269_103:
	v_pk_add_f16 v32, v2, v32
	v_pk_max_f16 v39, v108, v108
	v_pk_add_f16 v33, v3, v33
	s_delay_alu instid0(VALU_DEP_2) | instskip(NEXT) | instid1(VALU_DEP_1)
	v_pk_min_f16 v32, v39, v32
	v_pk_min_f16 v39, v32, v33
	v_lshlrev_b64 v[32:33], 1, v[46:47]
	s_delay_alu instid0(VALU_DEP_2) | instskip(NEXT) | instid1(VALU_DEP_2)
	v_lshrrev_b32_e32 v90, 16, v39
	v_add_co_u32 v32, vcc_lo, v36, v32
	s_delay_alu instid0(VALU_DEP_3) | instskip(NEXT) | instid1(VALU_DEP_3)
	v_add_co_ci_u32_e32 v33, vcc_lo, v37, v33, vcc_lo
	v_min3_f16 v38, v38, v39, v90
	global_store_b16 v[32:33], v38, off
.LBB269_104:
	s_or_b32 exec_lo, exec_lo, s4
	v_add_nc_u32_e32 v38, 24, v49
	s_delay_alu instid0(VALU_DEP_1) | instskip(SKIP_2) | instid1(VALU_DEP_3)
	v_mad_i64_i32 v[32:33], null, v38, s6, 0
	v_mad_i64_i32 v[36:37], null, v38, s5, 0
	v_cmp_gt_i32_e64 s4, s9, v38
	v_lshlrev_b64 v[32:33], 1, v[32:33]
	s_delay_alu instid0(VALU_DEP_2) | instskip(NEXT) | instid1(VALU_DEP_3)
	s_and_b32 s14, s0, s4
	v_lshlrev_b64 v[38:39], 1, v[36:37]
	s_delay_alu instid0(VALU_DEP_2) | instskip(NEXT) | instid1(VALU_DEP_3)
	v_add_co_u32 v36, vcc_lo, s12, v32
	v_add_co_ci_u32_e32 v37, vcc_lo, s13, v33, vcc_lo
	s_delay_alu instid0(VALU_DEP_3) | instskip(NEXT) | instid1(VALU_DEP_4)
	v_add_co_u32 v32, vcc_lo, s10, v38
	v_add_co_ci_u32_e32 v33, vcc_lo, s11, v39, vcc_lo
	s_and_saveexec_b32 s8, s14
	s_cbranch_execnz .LBB269_108
; %bb.105:
	s_or_b32 exec_lo, exec_lo, s8
	s_and_b32 s14, s1, s4
	s_delay_alu instid0(SALU_CYCLE_1)
	s_and_saveexec_b32 s8, s14
	s_cbranch_execnz .LBB269_112
.LBB269_106:
	s_or_b32 exec_lo, exec_lo, s8
	s_and_b32 s14, s2, s4
	s_delay_alu instid0(SALU_CYCLE_1)
	s_and_saveexec_b32 s8, s14
	s_cbranch_execnz .LBB269_116
.LBB269_107:
	s_or_b32 exec_lo, exec_lo, s8
	s_and_b32 s8, s3, s4
	s_delay_alu instid0(SALU_CYCLE_1)
	s_and_saveexec_b32 s4, s8
	s_cbranch_execnz .LBB269_120
	s_branch .LBB269_124
.LBB269_108:
	v_cmp_ne_u32_e32 vcc_lo, 1, v48
	s_cbranch_vccnz .LBB269_110
; %bb.109:
	v_lshlrev_b64 v[38:39], 1, v[40:41]
	s_delay_alu instid0(VALU_DEP_1) | instskip(NEXT) | instid1(VALU_DEP_2)
	v_add_co_u32 v38, vcc_lo, v36, v38
	v_add_co_ci_u32_e32 v39, vcc_lo, v37, v39, vcc_lo
	flat_load_u16 v38, v[38:39]
	s_waitcnt vmcnt(0) lgkmcnt(0)
	v_mul_f16_e32 v38, s7, v38
	s_branch .LBB269_111
.LBB269_110:
	v_mov_b32_e32 v38, 0
.LBB269_111:
	v_pk_add_f16 v39, v8, v34
	v_pk_max_f16 v90, v107, v107
	v_pk_add_f16 v91, v9, v35
	s_delay_alu instid0(VALU_DEP_2) | instskip(NEXT) | instid1(VALU_DEP_1)
	v_pk_min_f16 v39, v90, v39
	v_pk_min_f16 v39, v39, v91
	v_lshlrev_b64 v[90:91], 1, v[40:41]
	s_delay_alu instid0(VALU_DEP_2) | instskip(NEXT) | instid1(VALU_DEP_1)
	v_lshrrev_b32_e32 v97, 16, v39
	v_min3_f16 v97, v38, v39, v97
	s_delay_alu instid0(VALU_DEP_3) | instskip(NEXT) | instid1(VALU_DEP_4)
	v_add_co_u32 v38, vcc_lo, v32, v90
	v_add_co_ci_u32_e32 v39, vcc_lo, v33, v91, vcc_lo
	global_store_b16 v[38:39], v97, off
	s_or_b32 exec_lo, exec_lo, s8
	s_and_b32 s14, s1, s4
	s_delay_alu instid0(SALU_CYCLE_1)
	s_and_saveexec_b32 s8, s14
	s_cbranch_execz .LBB269_106
.LBB269_112:
	v_cmp_ne_u32_e32 vcc_lo, 1, v48
	s_cbranch_vccnz .LBB269_114
; %bb.113:
	v_lshlrev_b64 v[38:39], 1, v[42:43]
	s_delay_alu instid0(VALU_DEP_1) | instskip(NEXT) | instid1(VALU_DEP_2)
	v_add_co_u32 v38, vcc_lo, v36, v38
	v_add_co_ci_u32_e32 v39, vcc_lo, v37, v39, vcc_lo
	flat_load_u16 v38, v[38:39]
	s_waitcnt vmcnt(0) lgkmcnt(0)
	v_mul_f16_e32 v38, s7, v38
	s_branch .LBB269_115
.LBB269_114:
	v_mov_b32_e32 v38, 0
.LBB269_115:
	v_pk_add_f16 v39, v10, v34
	v_pk_max_f16 v90, v105, v105
	v_pk_add_f16 v91, v11, v35
	s_delay_alu instid0(VALU_DEP_2) | instskip(NEXT) | instid1(VALU_DEP_1)
	v_pk_min_f16 v39, v90, v39
	v_pk_min_f16 v39, v39, v91
	v_lshlrev_b64 v[90:91], 1, v[42:43]
	s_delay_alu instid0(VALU_DEP_2) | instskip(NEXT) | instid1(VALU_DEP_1)
	v_lshrrev_b32_e32 v97, 16, v39
	v_min3_f16 v97, v38, v39, v97
	s_delay_alu instid0(VALU_DEP_3) | instskip(NEXT) | instid1(VALU_DEP_4)
	v_add_co_u32 v38, vcc_lo, v32, v90
	v_add_co_ci_u32_e32 v39, vcc_lo, v33, v91, vcc_lo
	global_store_b16 v[38:39], v97, off
	s_or_b32 exec_lo, exec_lo, s8
	s_and_b32 s14, s2, s4
	s_delay_alu instid0(SALU_CYCLE_1)
	s_and_saveexec_b32 s8, s14
	s_cbranch_execz .LBB269_107
.LBB269_116:
	v_cmp_ne_u32_e32 vcc_lo, 1, v48
	s_cbranch_vccnz .LBB269_118
; %bb.117:
	v_lshlrev_b64 v[38:39], 1, v[44:45]
	s_delay_alu instid0(VALU_DEP_1) | instskip(NEXT) | instid1(VALU_DEP_2)
	v_add_co_u32 v38, vcc_lo, v36, v38
	v_add_co_ci_u32_e32 v39, vcc_lo, v37, v39, vcc_lo
	flat_load_u16 v38, v[38:39]
	s_waitcnt vmcnt(0) lgkmcnt(0)
	v_mul_f16_e32 v38, s7, v38
	s_branch .LBB269_119
.LBB269_118:
	v_mov_b32_e32 v38, 0
.LBB269_119:
	v_pk_add_f16 v39, v0, v34
	v_pk_max_f16 v90, v104, v104
	v_pk_add_f16 v91, v1, v35
	s_delay_alu instid0(VALU_DEP_2) | instskip(NEXT) | instid1(VALU_DEP_1)
	v_pk_min_f16 v39, v90, v39
	v_pk_min_f16 v39, v39, v91
	v_lshlrev_b64 v[90:91], 1, v[44:45]
	s_delay_alu instid0(VALU_DEP_2) | instskip(NEXT) | instid1(VALU_DEP_1)
	v_lshrrev_b32_e32 v97, 16, v39
	v_min3_f16 v97, v38, v39, v97
	s_delay_alu instid0(VALU_DEP_3) | instskip(NEXT) | instid1(VALU_DEP_4)
	v_add_co_u32 v38, vcc_lo, v32, v90
	v_add_co_ci_u32_e32 v39, vcc_lo, v33, v91, vcc_lo
	global_store_b16 v[38:39], v97, off
	s_or_b32 exec_lo, exec_lo, s8
	s_and_b32 s8, s3, s4
	s_delay_alu instid0(SALU_CYCLE_1)
	s_and_saveexec_b32 s4, s8
	s_cbranch_execz .LBB269_124
.LBB269_120:
	v_cmp_ne_u32_e32 vcc_lo, 1, v48
	s_cbranch_vccnz .LBB269_122
; %bb.121:
	v_lshlrev_b64 v[38:39], 1, v[46:47]
	s_delay_alu instid0(VALU_DEP_1) | instskip(NEXT) | instid1(VALU_DEP_2)
	v_add_co_u32 v36, vcc_lo, v36, v38
	v_add_co_ci_u32_e32 v37, vcc_lo, v37, v39, vcc_lo
	flat_load_u16 v36, v[36:37]
	s_waitcnt vmcnt(0) lgkmcnt(0)
	v_mul_f16_e32 v36, s7, v36
	s_branch .LBB269_123
.LBB269_122:
	v_mov_b32_e32 v36, 0
.LBB269_123:
	v_pk_add_f16 v34, v2, v34
	v_pk_max_f16 v37, v103, v103
	v_pk_add_f16 v35, v3, v35
	s_delay_alu instid0(VALU_DEP_2) | instskip(NEXT) | instid1(VALU_DEP_1)
	v_pk_min_f16 v34, v37, v34
	v_pk_min_f16 v37, v34, v35
	v_lshlrev_b64 v[34:35], 1, v[46:47]
	s_delay_alu instid0(VALU_DEP_2) | instskip(NEXT) | instid1(VALU_DEP_2)
	v_lshrrev_b32_e32 v38, 16, v37
	v_add_co_u32 v32, vcc_lo, v32, v34
	s_delay_alu instid0(VALU_DEP_3) | instskip(NEXT) | instid1(VALU_DEP_3)
	v_add_co_ci_u32_e32 v33, vcc_lo, v33, v35, vcc_lo
	v_min3_f16 v36, v36, v37, v38
	global_store_b16 v[32:33], v36, off
.LBB269_124:
	s_or_b32 exec_lo, exec_lo, s4
	v_add_nc_u32_e32 v36, 32, v49
	s_delay_alu instid0(VALU_DEP_1) | instskip(SKIP_2) | instid1(VALU_DEP_3)
	v_mad_i64_i32 v[32:33], null, v36, s6, 0
	v_mad_i64_i32 v[34:35], null, v36, s5, 0
	v_cmp_gt_i32_e64 s4, s9, v36
	v_lshlrev_b64 v[32:33], 1, v[32:33]
	s_delay_alu instid0(VALU_DEP_2) | instskip(NEXT) | instid1(VALU_DEP_3)
	s_and_b32 s14, s0, s4
	v_lshlrev_b64 v[36:37], 1, v[34:35]
	s_delay_alu instid0(VALU_DEP_2) | instskip(NEXT) | instid1(VALU_DEP_3)
	v_add_co_u32 v34, vcc_lo, s12, v32
	v_add_co_ci_u32_e32 v35, vcc_lo, s13, v33, vcc_lo
	s_delay_alu instid0(VALU_DEP_3) | instskip(NEXT) | instid1(VALU_DEP_4)
	v_add_co_u32 v32, vcc_lo, s10, v36
	v_add_co_ci_u32_e32 v33, vcc_lo, s11, v37, vcc_lo
	s_and_saveexec_b32 s8, s14
	s_cbranch_execnz .LBB269_128
; %bb.125:
	s_or_b32 exec_lo, exec_lo, s8
	s_and_b32 s14, s1, s4
	s_delay_alu instid0(SALU_CYCLE_1)
	s_and_saveexec_b32 s8, s14
	s_cbranch_execnz .LBB269_132
.LBB269_126:
	s_or_b32 exec_lo, exec_lo, s8
	s_and_b32 s14, s2, s4
	s_delay_alu instid0(SALU_CYCLE_1)
	s_and_saveexec_b32 s8, s14
	s_cbranch_execnz .LBB269_136
.LBB269_127:
	s_or_b32 exec_lo, exec_lo, s8
	s_and_b32 s8, s3, s4
	s_delay_alu instid0(SALU_CYCLE_1)
	s_and_saveexec_b32 s4, s8
	s_cbranch_execnz .LBB269_140
	s_branch .LBB269_144
.LBB269_128:
	v_cmp_ne_u32_e32 vcc_lo, 1, v48
	s_cbranch_vccnz .LBB269_130
; %bb.129:
	v_lshlrev_b64 v[36:37], 1, v[40:41]
	s_delay_alu instid0(VALU_DEP_1) | instskip(NEXT) | instid1(VALU_DEP_2)
	v_add_co_u32 v36, vcc_lo, v34, v36
	v_add_co_ci_u32_e32 v37, vcc_lo, v35, v37, vcc_lo
	flat_load_u16 v36, v[36:37]
	s_waitcnt vmcnt(0) lgkmcnt(0)
	v_mul_f16_e32 v36, s7, v36
	s_branch .LBB269_131
.LBB269_130:
	v_mov_b32_e32 v36, 0
.LBB269_131:
	v_pk_add_f16 v37, v8, v28
	v_pk_max_f16 v38, v102, v102
	v_pk_add_f16 v39, v9, v29
	s_delay_alu instid0(VALU_DEP_2) | instskip(NEXT) | instid1(VALU_DEP_1)
	v_pk_min_f16 v37, v38, v37
	v_pk_min_f16 v39, v37, v39
	v_lshlrev_b64 v[37:38], 1, v[40:41]
	s_delay_alu instid0(VALU_DEP_2) | instskip(NEXT) | instid1(VALU_DEP_1)
	v_lshrrev_b32_e32 v90, 16, v39
	v_min3_f16 v39, v36, v39, v90
	s_delay_alu instid0(VALU_DEP_3) | instskip(NEXT) | instid1(VALU_DEP_4)
	v_add_co_u32 v36, vcc_lo, v32, v37
	v_add_co_ci_u32_e32 v37, vcc_lo, v33, v38, vcc_lo
	global_store_b16 v[36:37], v39, off
	s_or_b32 exec_lo, exec_lo, s8
	s_and_b32 s14, s1, s4
	s_delay_alu instid0(SALU_CYCLE_1)
	s_and_saveexec_b32 s8, s14
	s_cbranch_execz .LBB269_126
.LBB269_132:
	v_cmp_ne_u32_e32 vcc_lo, 1, v48
	s_cbranch_vccnz .LBB269_134
; %bb.133:
	v_lshlrev_b64 v[36:37], 1, v[42:43]
	s_delay_alu instid0(VALU_DEP_1) | instskip(NEXT) | instid1(VALU_DEP_2)
	v_add_co_u32 v36, vcc_lo, v34, v36
	v_add_co_ci_u32_e32 v37, vcc_lo, v35, v37, vcc_lo
	flat_load_u16 v36, v[36:37]
	s_waitcnt vmcnt(0) lgkmcnt(0)
	v_mul_f16_e32 v36, s7, v36
	s_branch .LBB269_135
.LBB269_134:
	v_mov_b32_e32 v36, 0
.LBB269_135:
	v_pk_add_f16 v37, v10, v28
	v_pk_max_f16 v38, v101, v101
	v_pk_add_f16 v39, v11, v29
	s_delay_alu instid0(VALU_DEP_2) | instskip(NEXT) | instid1(VALU_DEP_1)
	v_pk_min_f16 v37, v38, v37
	v_pk_min_f16 v39, v37, v39
	v_lshlrev_b64 v[37:38], 1, v[42:43]
	s_delay_alu instid0(VALU_DEP_2) | instskip(NEXT) | instid1(VALU_DEP_1)
	v_lshrrev_b32_e32 v90, 16, v39
	v_min3_f16 v39, v36, v39, v90
	s_delay_alu instid0(VALU_DEP_3) | instskip(NEXT) | instid1(VALU_DEP_4)
	v_add_co_u32 v36, vcc_lo, v32, v37
	v_add_co_ci_u32_e32 v37, vcc_lo, v33, v38, vcc_lo
	global_store_b16 v[36:37], v39, off
	s_or_b32 exec_lo, exec_lo, s8
	s_and_b32 s14, s2, s4
	s_delay_alu instid0(SALU_CYCLE_1)
	s_and_saveexec_b32 s8, s14
	s_cbranch_execz .LBB269_127
.LBB269_136:
	v_cmp_ne_u32_e32 vcc_lo, 1, v48
	s_cbranch_vccnz .LBB269_138
; %bb.137:
	v_lshlrev_b64 v[36:37], 1, v[44:45]
	s_delay_alu instid0(VALU_DEP_1) | instskip(NEXT) | instid1(VALU_DEP_2)
	v_add_co_u32 v36, vcc_lo, v34, v36
	v_add_co_ci_u32_e32 v37, vcc_lo, v35, v37, vcc_lo
	flat_load_u16 v36, v[36:37]
	s_waitcnt vmcnt(0) lgkmcnt(0)
	v_mul_f16_e32 v36, s7, v36
	s_branch .LBB269_139
.LBB269_138:
	v_mov_b32_e32 v36, 0
.LBB269_139:
	v_pk_add_f16 v37, v0, v28
	v_pk_max_f16 v38, v98, v98
	v_pk_add_f16 v39, v1, v29
	s_delay_alu instid0(VALU_DEP_2) | instskip(NEXT) | instid1(VALU_DEP_1)
	v_pk_min_f16 v37, v38, v37
	v_pk_min_f16 v39, v37, v39
	v_lshlrev_b64 v[37:38], 1, v[44:45]
	s_delay_alu instid0(VALU_DEP_2) | instskip(NEXT) | instid1(VALU_DEP_1)
	v_lshrrev_b32_e32 v90, 16, v39
	v_min3_f16 v39, v36, v39, v90
	s_delay_alu instid0(VALU_DEP_3) | instskip(NEXT) | instid1(VALU_DEP_4)
	v_add_co_u32 v36, vcc_lo, v32, v37
	v_add_co_ci_u32_e32 v37, vcc_lo, v33, v38, vcc_lo
	global_store_b16 v[36:37], v39, off
	s_or_b32 exec_lo, exec_lo, s8
	s_and_b32 s8, s3, s4
	s_delay_alu instid0(SALU_CYCLE_1)
	s_and_saveexec_b32 s4, s8
	s_cbranch_execz .LBB269_144
.LBB269_140:
	v_cmp_ne_u32_e32 vcc_lo, 1, v48
	s_cbranch_vccnz .LBB269_142
; %bb.141:
	v_lshlrev_b64 v[36:37], 1, v[46:47]
	s_delay_alu instid0(VALU_DEP_1) | instskip(NEXT) | instid1(VALU_DEP_2)
	v_add_co_u32 v34, vcc_lo, v34, v36
	v_add_co_ci_u32_e32 v35, vcc_lo, v35, v37, vcc_lo
	flat_load_u16 v34, v[34:35]
	s_waitcnt vmcnt(0) lgkmcnt(0)
	v_mul_f16_e32 v34, s7, v34
	s_branch .LBB269_143
.LBB269_142:
	v_mov_b32_e32 v34, 0
.LBB269_143:
	v_pk_add_f16 v28, v2, v28
	v_pk_max_f16 v35, v96, v96
	v_pk_add_f16 v29, v3, v29
	s_delay_alu instid0(VALU_DEP_2) | instskip(NEXT) | instid1(VALU_DEP_1)
	v_pk_min_f16 v28, v35, v28
	v_pk_min_f16 v35, v28, v29
	v_lshlrev_b64 v[28:29], 1, v[46:47]
	s_delay_alu instid0(VALU_DEP_2) | instskip(NEXT) | instid1(VALU_DEP_2)
	v_lshrrev_b32_e32 v36, 16, v35
	v_add_co_u32 v28, vcc_lo, v32, v28
	s_delay_alu instid0(VALU_DEP_3) | instskip(NEXT) | instid1(VALU_DEP_3)
	v_add_co_ci_u32_e32 v29, vcc_lo, v33, v29, vcc_lo
	v_min3_f16 v34, v34, v35, v36
	global_store_b16 v[28:29], v34, off
.LBB269_144:
	s_or_b32 exec_lo, exec_lo, s4
	v_add_nc_u32_e32 v34, 40, v49
	s_delay_alu instid0(VALU_DEP_1) | instskip(SKIP_2) | instid1(VALU_DEP_3)
	v_mad_i64_i32 v[28:29], null, v34, s6, 0
	v_mad_i64_i32 v[32:33], null, v34, s5, 0
	v_cmp_gt_i32_e64 s4, s9, v34
	v_lshlrev_b64 v[28:29], 1, v[28:29]
	s_delay_alu instid0(VALU_DEP_2) | instskip(NEXT) | instid1(VALU_DEP_3)
	s_and_b32 s14, s0, s4
	v_lshlrev_b64 v[34:35], 1, v[32:33]
	s_delay_alu instid0(VALU_DEP_2) | instskip(NEXT) | instid1(VALU_DEP_3)
	v_add_co_u32 v32, vcc_lo, s12, v28
	v_add_co_ci_u32_e32 v33, vcc_lo, s13, v29, vcc_lo
	s_delay_alu instid0(VALU_DEP_3) | instskip(NEXT) | instid1(VALU_DEP_4)
	v_add_co_u32 v28, vcc_lo, s10, v34
	v_add_co_ci_u32_e32 v29, vcc_lo, s11, v35, vcc_lo
	s_and_saveexec_b32 s8, s14
	s_cbranch_execnz .LBB269_148
; %bb.145:
	s_or_b32 exec_lo, exec_lo, s8
	s_and_b32 s14, s1, s4
	s_delay_alu instid0(SALU_CYCLE_1)
	s_and_saveexec_b32 s8, s14
	s_cbranch_execnz .LBB269_152
.LBB269_146:
	s_or_b32 exec_lo, exec_lo, s8
	s_and_b32 s14, s2, s4
	s_delay_alu instid0(SALU_CYCLE_1)
	s_and_saveexec_b32 s8, s14
	s_cbranch_execnz .LBB269_156
.LBB269_147:
	s_or_b32 exec_lo, exec_lo, s8
	s_and_b32 s8, s3, s4
	s_delay_alu instid0(SALU_CYCLE_1)
	s_and_saveexec_b32 s4, s8
	s_cbranch_execnz .LBB269_160
	s_branch .LBB269_164
.LBB269_148:
	v_cmp_ne_u32_e32 vcc_lo, 1, v48
	s_cbranch_vccnz .LBB269_150
; %bb.149:
	v_lshlrev_b64 v[34:35], 1, v[40:41]
	s_delay_alu instid0(VALU_DEP_1) | instskip(NEXT) | instid1(VALU_DEP_2)
	v_add_co_u32 v34, vcc_lo, v32, v34
	v_add_co_ci_u32_e32 v35, vcc_lo, v33, v35, vcc_lo
	flat_load_u16 v34, v[34:35]
	s_waitcnt vmcnt(0) lgkmcnt(0)
	v_mul_f16_e32 v34, s7, v34
	s_branch .LBB269_151
.LBB269_150:
	v_mov_b32_e32 v34, 0
.LBB269_151:
	v_pk_add_f16 v35, v8, v30
	v_pk_max_f16 v36, v95, v95
	v_pk_add_f16 v37, v9, v31
	s_delay_alu instid0(VALU_DEP_2) | instskip(NEXT) | instid1(VALU_DEP_1)
	v_pk_min_f16 v35, v36, v35
	v_pk_min_f16 v37, v35, v37
	v_lshlrev_b64 v[35:36], 1, v[40:41]
	s_delay_alu instid0(VALU_DEP_2) | instskip(NEXT) | instid1(VALU_DEP_1)
	v_lshrrev_b32_e32 v38, 16, v37
	v_min3_f16 v37, v34, v37, v38
	s_delay_alu instid0(VALU_DEP_3) | instskip(NEXT) | instid1(VALU_DEP_4)
	v_add_co_u32 v34, vcc_lo, v28, v35
	v_add_co_ci_u32_e32 v35, vcc_lo, v29, v36, vcc_lo
	global_store_b16 v[34:35], v37, off
	s_or_b32 exec_lo, exec_lo, s8
	s_and_b32 s14, s1, s4
	s_delay_alu instid0(SALU_CYCLE_1)
	s_and_saveexec_b32 s8, s14
	s_cbranch_execz .LBB269_146
.LBB269_152:
	v_cmp_ne_u32_e32 vcc_lo, 1, v48
	s_cbranch_vccnz .LBB269_154
; %bb.153:
	v_lshlrev_b64 v[34:35], 1, v[42:43]
	s_delay_alu instid0(VALU_DEP_1) | instskip(NEXT) | instid1(VALU_DEP_2)
	v_add_co_u32 v34, vcc_lo, v32, v34
	v_add_co_ci_u32_e32 v35, vcc_lo, v33, v35, vcc_lo
	flat_load_u16 v34, v[34:35]
	s_waitcnt vmcnt(0) lgkmcnt(0)
	v_mul_f16_e32 v34, s7, v34
	s_branch .LBB269_155
.LBB269_154:
	v_mov_b32_e32 v34, 0
.LBB269_155:
	v_pk_add_f16 v35, v10, v30
	v_pk_max_f16 v36, v94, v94
	v_pk_add_f16 v37, v11, v31
	s_delay_alu instid0(VALU_DEP_2) | instskip(NEXT) | instid1(VALU_DEP_1)
	v_pk_min_f16 v35, v36, v35
	v_pk_min_f16 v37, v35, v37
	v_lshlrev_b64 v[35:36], 1, v[42:43]
	s_delay_alu instid0(VALU_DEP_2) | instskip(NEXT) | instid1(VALU_DEP_1)
	v_lshrrev_b32_e32 v38, 16, v37
	v_min3_f16 v37, v34, v37, v38
	s_delay_alu instid0(VALU_DEP_3) | instskip(NEXT) | instid1(VALU_DEP_4)
	v_add_co_u32 v34, vcc_lo, v28, v35
	v_add_co_ci_u32_e32 v35, vcc_lo, v29, v36, vcc_lo
	global_store_b16 v[34:35], v37, off
	s_or_b32 exec_lo, exec_lo, s8
	s_and_b32 s14, s2, s4
	s_delay_alu instid0(SALU_CYCLE_1)
	s_and_saveexec_b32 s8, s14
	s_cbranch_execz .LBB269_147
.LBB269_156:
	v_cmp_ne_u32_e32 vcc_lo, 1, v48
	s_cbranch_vccnz .LBB269_158
; %bb.157:
	v_lshlrev_b64 v[34:35], 1, v[44:45]
	s_delay_alu instid0(VALU_DEP_1) | instskip(NEXT) | instid1(VALU_DEP_2)
	v_add_co_u32 v34, vcc_lo, v32, v34
	v_add_co_ci_u32_e32 v35, vcc_lo, v33, v35, vcc_lo
	flat_load_u16 v34, v[34:35]
	s_waitcnt vmcnt(0) lgkmcnt(0)
	v_mul_f16_e32 v34, s7, v34
	s_branch .LBB269_159
.LBB269_158:
	v_mov_b32_e32 v34, 0
.LBB269_159:
	v_pk_add_f16 v35, v0, v30
	v_pk_max_f16 v36, v93, v93
	v_pk_add_f16 v37, v1, v31
	s_delay_alu instid0(VALU_DEP_2) | instskip(NEXT) | instid1(VALU_DEP_1)
	v_pk_min_f16 v35, v36, v35
	v_pk_min_f16 v37, v35, v37
	v_lshlrev_b64 v[35:36], 1, v[44:45]
	s_delay_alu instid0(VALU_DEP_2) | instskip(NEXT) | instid1(VALU_DEP_1)
	v_lshrrev_b32_e32 v38, 16, v37
	v_min3_f16 v37, v34, v37, v38
	s_delay_alu instid0(VALU_DEP_3) | instskip(NEXT) | instid1(VALU_DEP_4)
	v_add_co_u32 v34, vcc_lo, v28, v35
	v_add_co_ci_u32_e32 v35, vcc_lo, v29, v36, vcc_lo
	global_store_b16 v[34:35], v37, off
	s_or_b32 exec_lo, exec_lo, s8
	s_and_b32 s8, s3, s4
	s_delay_alu instid0(SALU_CYCLE_1)
	s_and_saveexec_b32 s4, s8
	s_cbranch_execz .LBB269_164
.LBB269_160:
	v_cmp_ne_u32_e32 vcc_lo, 1, v48
	s_cbranch_vccnz .LBB269_162
; %bb.161:
	v_lshlrev_b64 v[34:35], 1, v[46:47]
	s_delay_alu instid0(VALU_DEP_1) | instskip(NEXT) | instid1(VALU_DEP_2)
	v_add_co_u32 v32, vcc_lo, v32, v34
	v_add_co_ci_u32_e32 v33, vcc_lo, v33, v35, vcc_lo
	flat_load_u16 v32, v[32:33]
	s_waitcnt vmcnt(0) lgkmcnt(0)
	v_mul_f16_e32 v32, s7, v32
	s_branch .LBB269_163
.LBB269_162:
	v_mov_b32_e32 v32, 0
.LBB269_163:
	v_pk_add_f16 v30, v2, v30
	v_pk_max_f16 v33, v92, v92
	v_pk_add_f16 v31, v3, v31
	s_delay_alu instid0(VALU_DEP_2) | instskip(NEXT) | instid1(VALU_DEP_1)
	v_pk_min_f16 v30, v33, v30
	v_pk_min_f16 v33, v30, v31
	v_lshlrev_b64 v[30:31], 1, v[46:47]
	s_delay_alu instid0(VALU_DEP_2) | instskip(NEXT) | instid1(VALU_DEP_2)
	v_lshrrev_b32_e32 v34, 16, v33
	v_add_co_u32 v28, vcc_lo, v28, v30
	s_delay_alu instid0(VALU_DEP_3) | instskip(NEXT) | instid1(VALU_DEP_3)
	v_add_co_ci_u32_e32 v29, vcc_lo, v29, v31, vcc_lo
	v_min3_f16 v32, v32, v33, v34
	global_store_b16 v[28:29], v32, off
.LBB269_164:
	s_or_b32 exec_lo, exec_lo, s4
	v_add_nc_u32_e32 v32, 48, v49
	s_delay_alu instid0(VALU_DEP_1) | instskip(SKIP_2) | instid1(VALU_DEP_3)
	v_mad_i64_i32 v[28:29], null, v32, s6, 0
	v_mad_i64_i32 v[30:31], null, v32, s5, 0
	v_cmp_gt_i32_e64 s4, s9, v32
	v_lshlrev_b64 v[28:29], 1, v[28:29]
	s_delay_alu instid0(VALU_DEP_2) | instskip(NEXT) | instid1(VALU_DEP_3)
	s_and_b32 s14, s0, s4
	v_lshlrev_b64 v[32:33], 1, v[30:31]
	s_delay_alu instid0(VALU_DEP_2) | instskip(NEXT) | instid1(VALU_DEP_3)
	v_add_co_u32 v30, vcc_lo, s12, v28
	v_add_co_ci_u32_e32 v31, vcc_lo, s13, v29, vcc_lo
	s_delay_alu instid0(VALU_DEP_3) | instskip(NEXT) | instid1(VALU_DEP_4)
	v_add_co_u32 v28, vcc_lo, s10, v32
	v_add_co_ci_u32_e32 v29, vcc_lo, s11, v33, vcc_lo
	s_and_saveexec_b32 s8, s14
	s_cbranch_execnz .LBB269_168
; %bb.165:
	s_or_b32 exec_lo, exec_lo, s8
	s_and_b32 s14, s1, s4
	s_delay_alu instid0(SALU_CYCLE_1)
	s_and_saveexec_b32 s8, s14
	s_cbranch_execnz .LBB269_172
.LBB269_166:
	s_or_b32 exec_lo, exec_lo, s8
	s_and_b32 s14, s2, s4
	s_delay_alu instid0(SALU_CYCLE_1)
	s_and_saveexec_b32 s8, s14
	s_cbranch_execnz .LBB269_176
.LBB269_167:
	s_or_b32 exec_lo, exec_lo, s8
	s_and_b32 s8, s3, s4
	s_delay_alu instid0(SALU_CYCLE_1)
	s_and_saveexec_b32 s4, s8
	s_cbranch_execnz .LBB269_180
	s_branch .LBB269_184
.LBB269_168:
	v_cmp_ne_u32_e32 vcc_lo, 1, v48
	s_cbranch_vccnz .LBB269_170
; %bb.169:
	v_lshlrev_b64 v[32:33], 1, v[40:41]
	s_delay_alu instid0(VALU_DEP_1) | instskip(NEXT) | instid1(VALU_DEP_2)
	v_add_co_u32 v32, vcc_lo, v30, v32
	v_add_co_ci_u32_e32 v33, vcc_lo, v31, v33, vcc_lo
	flat_load_u16 v32, v[32:33]
	s_waitcnt vmcnt(0) lgkmcnt(0)
	v_mul_f16_e32 v32, s7, v32
	s_branch .LBB269_171
.LBB269_170:
	v_mov_b32_e32 v32, 0
.LBB269_171:
	v_pk_add_f16 v33, v8, v24
	v_pk_max_f16 v34, v89, v89
	v_pk_add_f16 v35, v9, v25
	s_delay_alu instid0(VALU_DEP_2) | instskip(NEXT) | instid1(VALU_DEP_1)
	v_pk_min_f16 v33, v34, v33
	v_pk_min_f16 v35, v33, v35
	v_lshlrev_b64 v[33:34], 1, v[40:41]
	s_delay_alu instid0(VALU_DEP_2) | instskip(NEXT) | instid1(VALU_DEP_1)
	v_lshrrev_b32_e32 v36, 16, v35
	v_min3_f16 v35, v32, v35, v36
	s_delay_alu instid0(VALU_DEP_3) | instskip(NEXT) | instid1(VALU_DEP_4)
	v_add_co_u32 v32, vcc_lo, v28, v33
	v_add_co_ci_u32_e32 v33, vcc_lo, v29, v34, vcc_lo
	global_store_b16 v[32:33], v35, off
	s_or_b32 exec_lo, exec_lo, s8
	s_and_b32 s14, s1, s4
	s_delay_alu instid0(SALU_CYCLE_1)
	s_and_saveexec_b32 s8, s14
	s_cbranch_execz .LBB269_166
.LBB269_172:
	v_cmp_ne_u32_e32 vcc_lo, 1, v48
	s_cbranch_vccnz .LBB269_174
; %bb.173:
	v_lshlrev_b64 v[32:33], 1, v[42:43]
	s_delay_alu instid0(VALU_DEP_1) | instskip(NEXT) | instid1(VALU_DEP_2)
	v_add_co_u32 v32, vcc_lo, v30, v32
	v_add_co_ci_u32_e32 v33, vcc_lo, v31, v33, vcc_lo
	flat_load_u16 v32, v[32:33]
	s_waitcnt vmcnt(0) lgkmcnt(0)
	v_mul_f16_e32 v32, s7, v32
	s_branch .LBB269_175
.LBB269_174:
	v_mov_b32_e32 v32, 0
.LBB269_175:
	v_pk_add_f16 v33, v10, v24
	v_pk_max_f16 v34, v88, v88
	v_pk_add_f16 v35, v11, v25
	s_delay_alu instid0(VALU_DEP_2) | instskip(NEXT) | instid1(VALU_DEP_1)
	v_pk_min_f16 v33, v34, v33
	v_pk_min_f16 v35, v33, v35
	v_lshlrev_b64 v[33:34], 1, v[42:43]
	s_delay_alu instid0(VALU_DEP_2) | instskip(NEXT) | instid1(VALU_DEP_1)
	v_lshrrev_b32_e32 v36, 16, v35
	v_min3_f16 v35, v32, v35, v36
	s_delay_alu instid0(VALU_DEP_3) | instskip(NEXT) | instid1(VALU_DEP_4)
	v_add_co_u32 v32, vcc_lo, v28, v33
	v_add_co_ci_u32_e32 v33, vcc_lo, v29, v34, vcc_lo
	global_store_b16 v[32:33], v35, off
	s_or_b32 exec_lo, exec_lo, s8
	s_and_b32 s14, s2, s4
	s_delay_alu instid0(SALU_CYCLE_1)
	s_and_saveexec_b32 s8, s14
	s_cbranch_execz .LBB269_167
.LBB269_176:
	v_cmp_ne_u32_e32 vcc_lo, 1, v48
	s_cbranch_vccnz .LBB269_178
; %bb.177:
	v_lshlrev_b64 v[32:33], 1, v[44:45]
	s_delay_alu instid0(VALU_DEP_1) | instskip(NEXT) | instid1(VALU_DEP_2)
	v_add_co_u32 v32, vcc_lo, v30, v32
	v_add_co_ci_u32_e32 v33, vcc_lo, v31, v33, vcc_lo
	flat_load_u16 v32, v[32:33]
	s_waitcnt vmcnt(0) lgkmcnt(0)
	v_mul_f16_e32 v32, s7, v32
	s_branch .LBB269_179
.LBB269_178:
	v_mov_b32_e32 v32, 0
.LBB269_179:
	v_pk_add_f16 v33, v0, v24
	v_pk_max_f16 v34, v87, v87
	v_pk_add_f16 v35, v1, v25
	s_delay_alu instid0(VALU_DEP_2) | instskip(NEXT) | instid1(VALU_DEP_1)
	v_pk_min_f16 v33, v34, v33
	v_pk_min_f16 v35, v33, v35
	v_lshlrev_b64 v[33:34], 1, v[44:45]
	s_delay_alu instid0(VALU_DEP_2) | instskip(NEXT) | instid1(VALU_DEP_1)
	v_lshrrev_b32_e32 v36, 16, v35
	v_min3_f16 v35, v32, v35, v36
	s_delay_alu instid0(VALU_DEP_3) | instskip(NEXT) | instid1(VALU_DEP_4)
	v_add_co_u32 v32, vcc_lo, v28, v33
	v_add_co_ci_u32_e32 v33, vcc_lo, v29, v34, vcc_lo
	global_store_b16 v[32:33], v35, off
	s_or_b32 exec_lo, exec_lo, s8
	s_and_b32 s8, s3, s4
	s_delay_alu instid0(SALU_CYCLE_1)
	s_and_saveexec_b32 s4, s8
	s_cbranch_execz .LBB269_184
.LBB269_180:
	v_cmp_ne_u32_e32 vcc_lo, 1, v48
	s_cbranch_vccnz .LBB269_182
; %bb.181:
	v_lshlrev_b64 v[32:33], 1, v[46:47]
	s_delay_alu instid0(VALU_DEP_1) | instskip(NEXT) | instid1(VALU_DEP_2)
	v_add_co_u32 v30, vcc_lo, v30, v32
	v_add_co_ci_u32_e32 v31, vcc_lo, v31, v33, vcc_lo
	flat_load_u16 v30, v[30:31]
	s_waitcnt vmcnt(0) lgkmcnt(0)
	v_mul_f16_e32 v30, s7, v30
	s_branch .LBB269_183
.LBB269_182:
	v_mov_b32_e32 v30, 0
.LBB269_183:
	v_pk_add_f16 v24, v2, v24
	v_pk_max_f16 v31, v86, v86
	v_pk_add_f16 v25, v3, v25
	s_delay_alu instid0(VALU_DEP_2) | instskip(NEXT) | instid1(VALU_DEP_1)
	v_pk_min_f16 v24, v31, v24
	v_pk_min_f16 v31, v24, v25
	v_lshlrev_b64 v[24:25], 1, v[46:47]
	s_delay_alu instid0(VALU_DEP_2) | instskip(NEXT) | instid1(VALU_DEP_2)
	v_lshrrev_b32_e32 v32, 16, v31
	v_add_co_u32 v24, vcc_lo, v28, v24
	s_delay_alu instid0(VALU_DEP_3) | instskip(NEXT) | instid1(VALU_DEP_3)
	v_add_co_ci_u32_e32 v25, vcc_lo, v29, v25, vcc_lo
	v_min3_f16 v30, v30, v31, v32
	global_store_b16 v[24:25], v30, off
.LBB269_184:
	s_or_b32 exec_lo, exec_lo, s4
	v_add_nc_u32_e32 v30, 56, v49
	s_delay_alu instid0(VALU_DEP_1) | instskip(SKIP_2) | instid1(VALU_DEP_3)
	v_mad_i64_i32 v[24:25], null, v30, s6, 0
	v_mad_i64_i32 v[28:29], null, v30, s5, 0
	v_cmp_gt_i32_e64 s4, s9, v30
	v_lshlrev_b64 v[24:25], 1, v[24:25]
	s_delay_alu instid0(VALU_DEP_2) | instskip(NEXT) | instid1(VALU_DEP_3)
	s_and_b32 s14, s0, s4
	v_lshlrev_b64 v[30:31], 1, v[28:29]
	s_delay_alu instid0(VALU_DEP_2) | instskip(NEXT) | instid1(VALU_DEP_3)
	v_add_co_u32 v28, vcc_lo, s12, v24
	v_add_co_ci_u32_e32 v29, vcc_lo, s13, v25, vcc_lo
	s_delay_alu instid0(VALU_DEP_3) | instskip(NEXT) | instid1(VALU_DEP_4)
	v_add_co_u32 v24, vcc_lo, s10, v30
	v_add_co_ci_u32_e32 v25, vcc_lo, s11, v31, vcc_lo
	s_and_saveexec_b32 s8, s14
	s_cbranch_execnz .LBB269_188
; %bb.185:
	s_or_b32 exec_lo, exec_lo, s8
	s_and_b32 s14, s1, s4
	s_delay_alu instid0(SALU_CYCLE_1)
	s_and_saveexec_b32 s8, s14
	s_cbranch_execnz .LBB269_192
.LBB269_186:
	s_or_b32 exec_lo, exec_lo, s8
	s_and_b32 s14, s2, s4
	s_delay_alu instid0(SALU_CYCLE_1)
	s_and_saveexec_b32 s8, s14
	s_cbranch_execnz .LBB269_196
.LBB269_187:
	s_or_b32 exec_lo, exec_lo, s8
	s_and_b32 s8, s3, s4
	s_delay_alu instid0(SALU_CYCLE_1)
	s_and_saveexec_b32 s4, s8
	s_cbranch_execnz .LBB269_200
	s_branch .LBB269_204
.LBB269_188:
	v_cmp_ne_u32_e32 vcc_lo, 1, v48
	s_cbranch_vccnz .LBB269_190
; %bb.189:
	v_lshlrev_b64 v[30:31], 1, v[40:41]
	s_delay_alu instid0(VALU_DEP_1) | instskip(NEXT) | instid1(VALU_DEP_2)
	v_add_co_u32 v30, vcc_lo, v28, v30
	v_add_co_ci_u32_e32 v31, vcc_lo, v29, v31, vcc_lo
	flat_load_u16 v30, v[30:31]
	s_waitcnt vmcnt(0) lgkmcnt(0)
	v_mul_f16_e32 v30, s7, v30
	s_branch .LBB269_191
.LBB269_190:
	v_mov_b32_e32 v30, 0
.LBB269_191:
	v_pk_add_f16 v31, v8, v26
	v_pk_max_f16 v32, v85, v85
	v_pk_add_f16 v33, v9, v27
	s_delay_alu instid0(VALU_DEP_2) | instskip(NEXT) | instid1(VALU_DEP_1)
	v_pk_min_f16 v31, v32, v31
	v_pk_min_f16 v33, v31, v33
	v_lshlrev_b64 v[31:32], 1, v[40:41]
	s_delay_alu instid0(VALU_DEP_2) | instskip(NEXT) | instid1(VALU_DEP_1)
	v_lshrrev_b32_e32 v34, 16, v33
	v_min3_f16 v33, v30, v33, v34
	s_delay_alu instid0(VALU_DEP_3) | instskip(NEXT) | instid1(VALU_DEP_4)
	v_add_co_u32 v30, vcc_lo, v24, v31
	v_add_co_ci_u32_e32 v31, vcc_lo, v25, v32, vcc_lo
	global_store_b16 v[30:31], v33, off
	s_or_b32 exec_lo, exec_lo, s8
	s_and_b32 s14, s1, s4
	s_delay_alu instid0(SALU_CYCLE_1)
	s_and_saveexec_b32 s8, s14
	s_cbranch_execz .LBB269_186
.LBB269_192:
	v_cmp_ne_u32_e32 vcc_lo, 1, v48
	s_cbranch_vccnz .LBB269_194
; %bb.193:
	v_lshlrev_b64 v[30:31], 1, v[42:43]
	s_delay_alu instid0(VALU_DEP_1) | instskip(NEXT) | instid1(VALU_DEP_2)
	v_add_co_u32 v30, vcc_lo, v28, v30
	v_add_co_ci_u32_e32 v31, vcc_lo, v29, v31, vcc_lo
	flat_load_u16 v30, v[30:31]
	s_waitcnt vmcnt(0) lgkmcnt(0)
	v_mul_f16_e32 v30, s7, v30
	s_branch .LBB269_195
.LBB269_194:
	v_mov_b32_e32 v30, 0
.LBB269_195:
	v_pk_add_f16 v31, v10, v26
	v_pk_max_f16 v32, v83, v83
	v_pk_add_f16 v33, v11, v27
	s_delay_alu instid0(VALU_DEP_2) | instskip(NEXT) | instid1(VALU_DEP_1)
	v_pk_min_f16 v31, v32, v31
	v_pk_min_f16 v33, v31, v33
	v_lshlrev_b64 v[31:32], 1, v[42:43]
	s_delay_alu instid0(VALU_DEP_2) | instskip(NEXT) | instid1(VALU_DEP_1)
	v_lshrrev_b32_e32 v34, 16, v33
	v_min3_f16 v33, v30, v33, v34
	s_delay_alu instid0(VALU_DEP_3) | instskip(NEXT) | instid1(VALU_DEP_4)
	v_add_co_u32 v30, vcc_lo, v24, v31
	v_add_co_ci_u32_e32 v31, vcc_lo, v25, v32, vcc_lo
	global_store_b16 v[30:31], v33, off
	s_or_b32 exec_lo, exec_lo, s8
	s_and_b32 s14, s2, s4
	s_delay_alu instid0(SALU_CYCLE_1)
	s_and_saveexec_b32 s8, s14
	s_cbranch_execz .LBB269_187
.LBB269_196:
	v_cmp_ne_u32_e32 vcc_lo, 1, v48
	s_cbranch_vccnz .LBB269_198
; %bb.197:
	v_lshlrev_b64 v[30:31], 1, v[44:45]
	s_delay_alu instid0(VALU_DEP_1) | instskip(NEXT) | instid1(VALU_DEP_2)
	v_add_co_u32 v30, vcc_lo, v28, v30
	v_add_co_ci_u32_e32 v31, vcc_lo, v29, v31, vcc_lo
	flat_load_u16 v30, v[30:31]
	s_waitcnt vmcnt(0) lgkmcnt(0)
	v_mul_f16_e32 v30, s7, v30
	s_branch .LBB269_199
.LBB269_198:
	v_mov_b32_e32 v30, 0
.LBB269_199:
	v_pk_add_f16 v31, v0, v26
	v_pk_max_f16 v32, v84, v84
	v_pk_add_f16 v33, v1, v27
	s_delay_alu instid0(VALU_DEP_2) | instskip(NEXT) | instid1(VALU_DEP_1)
	v_pk_min_f16 v31, v32, v31
	v_pk_min_f16 v33, v31, v33
	v_lshlrev_b64 v[31:32], 1, v[44:45]
	s_delay_alu instid0(VALU_DEP_2) | instskip(NEXT) | instid1(VALU_DEP_1)
	v_lshrrev_b32_e32 v34, 16, v33
	v_min3_f16 v33, v30, v33, v34
	s_delay_alu instid0(VALU_DEP_3) | instskip(NEXT) | instid1(VALU_DEP_4)
	v_add_co_u32 v30, vcc_lo, v24, v31
	v_add_co_ci_u32_e32 v31, vcc_lo, v25, v32, vcc_lo
	global_store_b16 v[30:31], v33, off
	s_or_b32 exec_lo, exec_lo, s8
	s_and_b32 s8, s3, s4
	s_delay_alu instid0(SALU_CYCLE_1)
	s_and_saveexec_b32 s4, s8
	s_cbranch_execz .LBB269_204
.LBB269_200:
	v_cmp_ne_u32_e32 vcc_lo, 1, v48
	s_cbranch_vccnz .LBB269_202
; %bb.201:
	v_lshlrev_b64 v[30:31], 1, v[46:47]
	s_delay_alu instid0(VALU_DEP_1) | instskip(NEXT) | instid1(VALU_DEP_2)
	v_add_co_u32 v28, vcc_lo, v28, v30
	v_add_co_ci_u32_e32 v29, vcc_lo, v29, v31, vcc_lo
	flat_load_u16 v28, v[28:29]
	s_waitcnt vmcnt(0) lgkmcnt(0)
	v_mul_f16_e32 v28, s7, v28
	s_branch .LBB269_203
.LBB269_202:
	v_mov_b32_e32 v28, 0
.LBB269_203:
	v_pk_add_f16 v26, v2, v26
	v_pk_max_f16 v29, v82, v82
	v_pk_add_f16 v27, v3, v27
	s_delay_alu instid0(VALU_DEP_2) | instskip(NEXT) | instid1(VALU_DEP_1)
	v_pk_min_f16 v26, v29, v26
	v_pk_min_f16 v29, v26, v27
	v_lshlrev_b64 v[26:27], 1, v[46:47]
	s_delay_alu instid0(VALU_DEP_2) | instskip(NEXT) | instid1(VALU_DEP_2)
	v_lshrrev_b32_e32 v30, 16, v29
	v_add_co_u32 v24, vcc_lo, v24, v26
	s_delay_alu instid0(VALU_DEP_3) | instskip(NEXT) | instid1(VALU_DEP_3)
	v_add_co_ci_u32_e32 v25, vcc_lo, v25, v27, vcc_lo
	v_min3_f16 v28, v28, v29, v30
	global_store_b16 v[24:25], v28, off
.LBB269_204:
	s_or_b32 exec_lo, exec_lo, s4
	v_add_nc_u32_e32 v28, 64, v49
	s_delay_alu instid0(VALU_DEP_1) | instskip(SKIP_2) | instid1(VALU_DEP_3)
	v_mad_i64_i32 v[24:25], null, v28, s6, 0
	v_mad_i64_i32 v[26:27], null, v28, s5, 0
	v_cmp_gt_i32_e64 s4, s9, v28
	v_lshlrev_b64 v[24:25], 1, v[24:25]
	s_delay_alu instid0(VALU_DEP_2) | instskip(NEXT) | instid1(VALU_DEP_3)
	s_and_b32 s14, s0, s4
	v_lshlrev_b64 v[28:29], 1, v[26:27]
	s_delay_alu instid0(VALU_DEP_2) | instskip(NEXT) | instid1(VALU_DEP_3)
	v_add_co_u32 v26, vcc_lo, s12, v24
	v_add_co_ci_u32_e32 v27, vcc_lo, s13, v25, vcc_lo
	s_delay_alu instid0(VALU_DEP_3) | instskip(NEXT) | instid1(VALU_DEP_4)
	v_add_co_u32 v24, vcc_lo, s10, v28
	v_add_co_ci_u32_e32 v25, vcc_lo, s11, v29, vcc_lo
	s_and_saveexec_b32 s8, s14
	s_cbranch_execnz .LBB269_208
; %bb.205:
	s_or_b32 exec_lo, exec_lo, s8
	s_and_b32 s14, s1, s4
	s_delay_alu instid0(SALU_CYCLE_1)
	s_and_saveexec_b32 s8, s14
	s_cbranch_execnz .LBB269_212
.LBB269_206:
	s_or_b32 exec_lo, exec_lo, s8
	s_and_b32 s14, s2, s4
	s_delay_alu instid0(SALU_CYCLE_1)
	s_and_saveexec_b32 s8, s14
	s_cbranch_execnz .LBB269_216
.LBB269_207:
	s_or_b32 exec_lo, exec_lo, s8
	s_and_b32 s8, s3, s4
	s_delay_alu instid0(SALU_CYCLE_1)
	s_and_saveexec_b32 s4, s8
	s_cbranch_execnz .LBB269_220
	s_branch .LBB269_224
.LBB269_208:
	v_cmp_ne_u32_e32 vcc_lo, 1, v48
	s_cbranch_vccnz .LBB269_210
; %bb.209:
	v_lshlrev_b64 v[28:29], 1, v[40:41]
	s_delay_alu instid0(VALU_DEP_1) | instskip(NEXT) | instid1(VALU_DEP_2)
	v_add_co_u32 v28, vcc_lo, v26, v28
	v_add_co_ci_u32_e32 v29, vcc_lo, v27, v29, vcc_lo
	flat_load_u16 v28, v[28:29]
	s_waitcnt vmcnt(0) lgkmcnt(0)
	v_mul_f16_e32 v28, s7, v28
	s_branch .LBB269_211
.LBB269_210:
	v_mov_b32_e32 v28, 0
.LBB269_211:
	v_pk_add_f16 v29, v8, v20
	v_pk_max_f16 v30, v81, v81
	v_pk_add_f16 v31, v9, v21
	s_delay_alu instid0(VALU_DEP_2) | instskip(NEXT) | instid1(VALU_DEP_1)
	v_pk_min_f16 v29, v30, v29
	v_pk_min_f16 v31, v29, v31
	v_lshlrev_b64 v[29:30], 1, v[40:41]
	s_delay_alu instid0(VALU_DEP_2) | instskip(NEXT) | instid1(VALU_DEP_1)
	v_lshrrev_b32_e32 v32, 16, v31
	v_min3_f16 v31, v28, v31, v32
	s_delay_alu instid0(VALU_DEP_3) | instskip(NEXT) | instid1(VALU_DEP_4)
	v_add_co_u32 v28, vcc_lo, v24, v29
	v_add_co_ci_u32_e32 v29, vcc_lo, v25, v30, vcc_lo
	global_store_b16 v[28:29], v31, off
	s_or_b32 exec_lo, exec_lo, s8
	s_and_b32 s14, s1, s4
	s_delay_alu instid0(SALU_CYCLE_1)
	s_and_saveexec_b32 s8, s14
	s_cbranch_execz .LBB269_206
.LBB269_212:
	v_cmp_ne_u32_e32 vcc_lo, 1, v48
	s_cbranch_vccnz .LBB269_214
; %bb.213:
	v_lshlrev_b64 v[28:29], 1, v[42:43]
	s_delay_alu instid0(VALU_DEP_1) | instskip(NEXT) | instid1(VALU_DEP_2)
	v_add_co_u32 v28, vcc_lo, v26, v28
	v_add_co_ci_u32_e32 v29, vcc_lo, v27, v29, vcc_lo
	flat_load_u16 v28, v[28:29]
	s_waitcnt vmcnt(0) lgkmcnt(0)
	v_mul_f16_e32 v28, s7, v28
	s_branch .LBB269_215
.LBB269_214:
	v_mov_b32_e32 v28, 0
.LBB269_215:
	v_pk_add_f16 v29, v10, v20
	v_pk_max_f16 v30, v80, v80
	v_pk_add_f16 v31, v11, v21
	s_delay_alu instid0(VALU_DEP_2) | instskip(NEXT) | instid1(VALU_DEP_1)
	v_pk_min_f16 v29, v30, v29
	v_pk_min_f16 v31, v29, v31
	v_lshlrev_b64 v[29:30], 1, v[42:43]
	s_delay_alu instid0(VALU_DEP_2) | instskip(NEXT) | instid1(VALU_DEP_1)
	v_lshrrev_b32_e32 v32, 16, v31
	v_min3_f16 v31, v28, v31, v32
	s_delay_alu instid0(VALU_DEP_3) | instskip(NEXT) | instid1(VALU_DEP_4)
	v_add_co_u32 v28, vcc_lo, v24, v29
	v_add_co_ci_u32_e32 v29, vcc_lo, v25, v30, vcc_lo
	global_store_b16 v[28:29], v31, off
	s_or_b32 exec_lo, exec_lo, s8
	s_and_b32 s14, s2, s4
	s_delay_alu instid0(SALU_CYCLE_1)
	s_and_saveexec_b32 s8, s14
	s_cbranch_execz .LBB269_207
.LBB269_216:
	v_cmp_ne_u32_e32 vcc_lo, 1, v48
	s_cbranch_vccnz .LBB269_218
; %bb.217:
	v_lshlrev_b64 v[28:29], 1, v[44:45]
	s_delay_alu instid0(VALU_DEP_1) | instskip(NEXT) | instid1(VALU_DEP_2)
	v_add_co_u32 v28, vcc_lo, v26, v28
	v_add_co_ci_u32_e32 v29, vcc_lo, v27, v29, vcc_lo
	flat_load_u16 v28, v[28:29]
	s_waitcnt vmcnt(0) lgkmcnt(0)
	v_mul_f16_e32 v28, s7, v28
	s_branch .LBB269_219
.LBB269_218:
	v_mov_b32_e32 v28, 0
.LBB269_219:
	v_pk_add_f16 v29, v0, v20
	v_pk_max_f16 v30, v79, v79
	v_pk_add_f16 v31, v1, v21
	s_delay_alu instid0(VALU_DEP_2) | instskip(NEXT) | instid1(VALU_DEP_1)
	v_pk_min_f16 v29, v30, v29
	v_pk_min_f16 v31, v29, v31
	v_lshlrev_b64 v[29:30], 1, v[44:45]
	s_delay_alu instid0(VALU_DEP_2) | instskip(NEXT) | instid1(VALU_DEP_1)
	v_lshrrev_b32_e32 v32, 16, v31
	v_min3_f16 v31, v28, v31, v32
	s_delay_alu instid0(VALU_DEP_3) | instskip(NEXT) | instid1(VALU_DEP_4)
	v_add_co_u32 v28, vcc_lo, v24, v29
	v_add_co_ci_u32_e32 v29, vcc_lo, v25, v30, vcc_lo
	global_store_b16 v[28:29], v31, off
	s_or_b32 exec_lo, exec_lo, s8
	s_and_b32 s8, s3, s4
	s_delay_alu instid0(SALU_CYCLE_1)
	s_and_saveexec_b32 s4, s8
	s_cbranch_execz .LBB269_224
.LBB269_220:
	v_cmp_ne_u32_e32 vcc_lo, 1, v48
	s_cbranch_vccnz .LBB269_222
; %bb.221:
	v_lshlrev_b64 v[28:29], 1, v[46:47]
	s_delay_alu instid0(VALU_DEP_1) | instskip(NEXT) | instid1(VALU_DEP_2)
	v_add_co_u32 v26, vcc_lo, v26, v28
	v_add_co_ci_u32_e32 v27, vcc_lo, v27, v29, vcc_lo
	flat_load_u16 v26, v[26:27]
	s_waitcnt vmcnt(0) lgkmcnt(0)
	v_mul_f16_e32 v26, s7, v26
	s_branch .LBB269_223
.LBB269_222:
	v_mov_b32_e32 v26, 0
.LBB269_223:
	v_pk_add_f16 v20, v2, v20
	v_pk_max_f16 v27, v78, v78
	v_pk_add_f16 v21, v3, v21
	s_delay_alu instid0(VALU_DEP_2) | instskip(NEXT) | instid1(VALU_DEP_1)
	v_pk_min_f16 v20, v27, v20
	v_pk_min_f16 v27, v20, v21
	v_lshlrev_b64 v[20:21], 1, v[46:47]
	s_delay_alu instid0(VALU_DEP_2) | instskip(NEXT) | instid1(VALU_DEP_2)
	v_lshrrev_b32_e32 v28, 16, v27
	v_add_co_u32 v20, vcc_lo, v24, v20
	s_delay_alu instid0(VALU_DEP_3) | instskip(NEXT) | instid1(VALU_DEP_3)
	v_add_co_ci_u32_e32 v21, vcc_lo, v25, v21, vcc_lo
	v_min3_f16 v26, v26, v27, v28
	global_store_b16 v[20:21], v26, off
.LBB269_224:
	s_or_b32 exec_lo, exec_lo, s4
	v_add_nc_u32_e32 v26, 0x48, v49
	s_delay_alu instid0(VALU_DEP_1) | instskip(SKIP_2) | instid1(VALU_DEP_3)
	v_mad_i64_i32 v[20:21], null, v26, s6, 0
	v_mad_i64_i32 v[24:25], null, v26, s5, 0
	v_cmp_gt_i32_e64 s4, s9, v26
	v_lshlrev_b64 v[20:21], 1, v[20:21]
	s_delay_alu instid0(VALU_DEP_2) | instskip(NEXT) | instid1(VALU_DEP_3)
	s_and_b32 s14, s0, s4
	v_lshlrev_b64 v[26:27], 1, v[24:25]
	s_delay_alu instid0(VALU_DEP_2) | instskip(NEXT) | instid1(VALU_DEP_3)
	v_add_co_u32 v24, vcc_lo, s12, v20
	v_add_co_ci_u32_e32 v25, vcc_lo, s13, v21, vcc_lo
	s_delay_alu instid0(VALU_DEP_3) | instskip(NEXT) | instid1(VALU_DEP_4)
	v_add_co_u32 v20, vcc_lo, s10, v26
	v_add_co_ci_u32_e32 v21, vcc_lo, s11, v27, vcc_lo
	s_and_saveexec_b32 s8, s14
	s_cbranch_execnz .LBB269_228
; %bb.225:
	s_or_b32 exec_lo, exec_lo, s8
	s_and_b32 s14, s1, s4
	s_delay_alu instid0(SALU_CYCLE_1)
	s_and_saveexec_b32 s8, s14
	s_cbranch_execnz .LBB269_232
.LBB269_226:
	s_or_b32 exec_lo, exec_lo, s8
	s_and_b32 s14, s2, s4
	s_delay_alu instid0(SALU_CYCLE_1)
	s_and_saveexec_b32 s8, s14
	s_cbranch_execnz .LBB269_236
.LBB269_227:
	s_or_b32 exec_lo, exec_lo, s8
	s_and_b32 s8, s3, s4
	s_delay_alu instid0(SALU_CYCLE_1)
	s_and_saveexec_b32 s4, s8
	s_cbranch_execnz .LBB269_240
	s_branch .LBB269_244
.LBB269_228:
	v_cmp_ne_u32_e32 vcc_lo, 1, v48
	s_cbranch_vccnz .LBB269_230
; %bb.229:
	v_lshlrev_b64 v[26:27], 1, v[40:41]
	s_delay_alu instid0(VALU_DEP_1) | instskip(NEXT) | instid1(VALU_DEP_2)
	v_add_co_u32 v26, vcc_lo, v24, v26
	v_add_co_ci_u32_e32 v27, vcc_lo, v25, v27, vcc_lo
	flat_load_u16 v26, v[26:27]
	s_waitcnt vmcnt(0) lgkmcnt(0)
	v_mul_f16_e32 v26, s7, v26
	s_branch .LBB269_231
.LBB269_230:
	v_mov_b32_e32 v26, 0
.LBB269_231:
	v_pk_add_f16 v27, v8, v22
	v_pk_max_f16 v28, v77, v77
	v_pk_add_f16 v29, v9, v23
	s_delay_alu instid0(VALU_DEP_2) | instskip(NEXT) | instid1(VALU_DEP_1)
	v_pk_min_f16 v27, v28, v27
	v_pk_min_f16 v29, v27, v29
	v_lshlrev_b64 v[27:28], 1, v[40:41]
	s_delay_alu instid0(VALU_DEP_2) | instskip(NEXT) | instid1(VALU_DEP_1)
	v_lshrrev_b32_e32 v30, 16, v29
	v_min3_f16 v29, v26, v29, v30
	s_delay_alu instid0(VALU_DEP_3) | instskip(NEXT) | instid1(VALU_DEP_4)
	v_add_co_u32 v26, vcc_lo, v20, v27
	v_add_co_ci_u32_e32 v27, vcc_lo, v21, v28, vcc_lo
	global_store_b16 v[26:27], v29, off
	s_or_b32 exec_lo, exec_lo, s8
	s_and_b32 s14, s1, s4
	s_delay_alu instid0(SALU_CYCLE_1)
	s_and_saveexec_b32 s8, s14
	s_cbranch_execz .LBB269_226
.LBB269_232:
	v_cmp_ne_u32_e32 vcc_lo, 1, v48
	s_cbranch_vccnz .LBB269_234
; %bb.233:
	v_lshlrev_b64 v[26:27], 1, v[42:43]
	s_delay_alu instid0(VALU_DEP_1) | instskip(NEXT) | instid1(VALU_DEP_2)
	v_add_co_u32 v26, vcc_lo, v24, v26
	v_add_co_ci_u32_e32 v27, vcc_lo, v25, v27, vcc_lo
	flat_load_u16 v26, v[26:27]
	s_waitcnt vmcnt(0) lgkmcnt(0)
	v_mul_f16_e32 v26, s7, v26
	s_branch .LBB269_235
.LBB269_234:
	v_mov_b32_e32 v26, 0
.LBB269_235:
	v_pk_add_f16 v27, v10, v22
	v_pk_max_f16 v28, v76, v76
	v_pk_add_f16 v29, v11, v23
	s_delay_alu instid0(VALU_DEP_2) | instskip(NEXT) | instid1(VALU_DEP_1)
	v_pk_min_f16 v27, v28, v27
	v_pk_min_f16 v29, v27, v29
	v_lshlrev_b64 v[27:28], 1, v[42:43]
	s_delay_alu instid0(VALU_DEP_2) | instskip(NEXT) | instid1(VALU_DEP_1)
	v_lshrrev_b32_e32 v30, 16, v29
	v_min3_f16 v29, v26, v29, v30
	s_delay_alu instid0(VALU_DEP_3) | instskip(NEXT) | instid1(VALU_DEP_4)
	v_add_co_u32 v26, vcc_lo, v20, v27
	v_add_co_ci_u32_e32 v27, vcc_lo, v21, v28, vcc_lo
	global_store_b16 v[26:27], v29, off
	s_or_b32 exec_lo, exec_lo, s8
	s_and_b32 s14, s2, s4
	s_delay_alu instid0(SALU_CYCLE_1)
	s_and_saveexec_b32 s8, s14
	s_cbranch_execz .LBB269_227
.LBB269_236:
	v_cmp_ne_u32_e32 vcc_lo, 1, v48
	s_cbranch_vccnz .LBB269_238
; %bb.237:
	v_lshlrev_b64 v[26:27], 1, v[44:45]
	s_delay_alu instid0(VALU_DEP_1) | instskip(NEXT) | instid1(VALU_DEP_2)
	v_add_co_u32 v26, vcc_lo, v24, v26
	v_add_co_ci_u32_e32 v27, vcc_lo, v25, v27, vcc_lo
	flat_load_u16 v26, v[26:27]
	s_waitcnt vmcnt(0) lgkmcnt(0)
	v_mul_f16_e32 v26, s7, v26
	s_branch .LBB269_239
.LBB269_238:
	v_mov_b32_e32 v26, 0
.LBB269_239:
	v_pk_add_f16 v27, v0, v22
	v_pk_max_f16 v28, v75, v75
	v_pk_add_f16 v29, v1, v23
	s_delay_alu instid0(VALU_DEP_2) | instskip(NEXT) | instid1(VALU_DEP_1)
	v_pk_min_f16 v27, v28, v27
	v_pk_min_f16 v29, v27, v29
	v_lshlrev_b64 v[27:28], 1, v[44:45]
	s_delay_alu instid0(VALU_DEP_2) | instskip(NEXT) | instid1(VALU_DEP_1)
	v_lshrrev_b32_e32 v30, 16, v29
	v_min3_f16 v29, v26, v29, v30
	s_delay_alu instid0(VALU_DEP_3) | instskip(NEXT) | instid1(VALU_DEP_4)
	v_add_co_u32 v26, vcc_lo, v20, v27
	v_add_co_ci_u32_e32 v27, vcc_lo, v21, v28, vcc_lo
	global_store_b16 v[26:27], v29, off
	s_or_b32 exec_lo, exec_lo, s8
	s_and_b32 s8, s3, s4
	s_delay_alu instid0(SALU_CYCLE_1)
	s_and_saveexec_b32 s4, s8
	s_cbranch_execz .LBB269_244
.LBB269_240:
	v_cmp_ne_u32_e32 vcc_lo, 1, v48
	s_cbranch_vccnz .LBB269_242
; %bb.241:
	v_lshlrev_b64 v[26:27], 1, v[46:47]
	s_delay_alu instid0(VALU_DEP_1) | instskip(NEXT) | instid1(VALU_DEP_2)
	v_add_co_u32 v24, vcc_lo, v24, v26
	v_add_co_ci_u32_e32 v25, vcc_lo, v25, v27, vcc_lo
	flat_load_u16 v24, v[24:25]
	s_waitcnt vmcnt(0) lgkmcnt(0)
	v_mul_f16_e32 v24, s7, v24
	s_branch .LBB269_243
.LBB269_242:
	v_mov_b32_e32 v24, 0
.LBB269_243:
	v_pk_add_f16 v22, v2, v22
	v_pk_max_f16 v25, v74, v74
	v_pk_add_f16 v23, v3, v23
	s_delay_alu instid0(VALU_DEP_2) | instskip(NEXT) | instid1(VALU_DEP_1)
	v_pk_min_f16 v22, v25, v22
	v_pk_min_f16 v25, v22, v23
	v_lshlrev_b64 v[22:23], 1, v[46:47]
	s_delay_alu instid0(VALU_DEP_2) | instskip(NEXT) | instid1(VALU_DEP_2)
	v_lshrrev_b32_e32 v26, 16, v25
	v_add_co_u32 v20, vcc_lo, v20, v22
	s_delay_alu instid0(VALU_DEP_3) | instskip(NEXT) | instid1(VALU_DEP_3)
	v_add_co_ci_u32_e32 v21, vcc_lo, v21, v23, vcc_lo
	v_min3_f16 v24, v24, v25, v26
	global_store_b16 v[20:21], v24, off
.LBB269_244:
	s_or_b32 exec_lo, exec_lo, s4
	v_add_nc_u32_e32 v24, 0x50, v49
	s_delay_alu instid0(VALU_DEP_1) | instskip(SKIP_2) | instid1(VALU_DEP_3)
	v_mad_i64_i32 v[20:21], null, v24, s6, 0
	v_mad_i64_i32 v[22:23], null, v24, s5, 0
	v_cmp_gt_i32_e64 s4, s9, v24
	v_lshlrev_b64 v[20:21], 1, v[20:21]
	s_delay_alu instid0(VALU_DEP_2) | instskip(NEXT) | instid1(VALU_DEP_3)
	s_and_b32 s14, s0, s4
	v_lshlrev_b64 v[24:25], 1, v[22:23]
	s_delay_alu instid0(VALU_DEP_2) | instskip(NEXT) | instid1(VALU_DEP_3)
	v_add_co_u32 v22, vcc_lo, s12, v20
	v_add_co_ci_u32_e32 v23, vcc_lo, s13, v21, vcc_lo
	s_delay_alu instid0(VALU_DEP_3) | instskip(NEXT) | instid1(VALU_DEP_4)
	v_add_co_u32 v20, vcc_lo, s10, v24
	v_add_co_ci_u32_e32 v21, vcc_lo, s11, v25, vcc_lo
	s_and_saveexec_b32 s8, s14
	s_cbranch_execnz .LBB269_248
; %bb.245:
	s_or_b32 exec_lo, exec_lo, s8
	s_and_b32 s14, s1, s4
	s_delay_alu instid0(SALU_CYCLE_1)
	s_and_saveexec_b32 s8, s14
	s_cbranch_execnz .LBB269_252
.LBB269_246:
	s_or_b32 exec_lo, exec_lo, s8
	s_and_b32 s14, s2, s4
	s_delay_alu instid0(SALU_CYCLE_1)
	s_and_saveexec_b32 s8, s14
	s_cbranch_execnz .LBB269_256
.LBB269_247:
	s_or_b32 exec_lo, exec_lo, s8
	s_and_b32 s8, s3, s4
	s_delay_alu instid0(SALU_CYCLE_1)
	s_and_saveexec_b32 s4, s8
	s_cbranch_execnz .LBB269_260
	s_branch .LBB269_264
.LBB269_248:
	v_cmp_ne_u32_e32 vcc_lo, 1, v48
	s_cbranch_vccnz .LBB269_250
; %bb.249:
	v_lshlrev_b64 v[24:25], 1, v[40:41]
	s_delay_alu instid0(VALU_DEP_1) | instskip(NEXT) | instid1(VALU_DEP_2)
	v_add_co_u32 v24, vcc_lo, v22, v24
	v_add_co_ci_u32_e32 v25, vcc_lo, v23, v25, vcc_lo
	flat_load_u16 v24, v[24:25]
	s_waitcnt vmcnt(0) lgkmcnt(0)
	v_mul_f16_e32 v24, s7, v24
	s_branch .LBB269_251
.LBB269_250:
	v_mov_b32_e32 v24, 0
.LBB269_251:
	v_pk_add_f16 v25, v8, v16
	v_pk_max_f16 v26, v73, v73
	v_pk_add_f16 v27, v9, v17
	s_delay_alu instid0(VALU_DEP_2) | instskip(NEXT) | instid1(VALU_DEP_1)
	v_pk_min_f16 v25, v26, v25
	v_pk_min_f16 v27, v25, v27
	v_lshlrev_b64 v[25:26], 1, v[40:41]
	s_delay_alu instid0(VALU_DEP_2) | instskip(NEXT) | instid1(VALU_DEP_1)
	v_lshrrev_b32_e32 v28, 16, v27
	v_min3_f16 v27, v24, v27, v28
	s_delay_alu instid0(VALU_DEP_3) | instskip(NEXT) | instid1(VALU_DEP_4)
	v_add_co_u32 v24, vcc_lo, v20, v25
	v_add_co_ci_u32_e32 v25, vcc_lo, v21, v26, vcc_lo
	global_store_b16 v[24:25], v27, off
	s_or_b32 exec_lo, exec_lo, s8
	s_and_b32 s14, s1, s4
	s_delay_alu instid0(SALU_CYCLE_1)
	s_and_saveexec_b32 s8, s14
	s_cbranch_execz .LBB269_246
.LBB269_252:
	v_cmp_ne_u32_e32 vcc_lo, 1, v48
	s_cbranch_vccnz .LBB269_254
; %bb.253:
	v_lshlrev_b64 v[24:25], 1, v[42:43]
	s_delay_alu instid0(VALU_DEP_1) | instskip(NEXT) | instid1(VALU_DEP_2)
	v_add_co_u32 v24, vcc_lo, v22, v24
	v_add_co_ci_u32_e32 v25, vcc_lo, v23, v25, vcc_lo
	flat_load_u16 v24, v[24:25]
	s_waitcnt vmcnt(0) lgkmcnt(0)
	v_mul_f16_e32 v24, s7, v24
	s_branch .LBB269_255
.LBB269_254:
	v_mov_b32_e32 v24, 0
.LBB269_255:
	v_pk_add_f16 v25, v10, v16
	v_pk_max_f16 v26, v72, v72
	v_pk_add_f16 v27, v11, v17
	s_delay_alu instid0(VALU_DEP_2) | instskip(NEXT) | instid1(VALU_DEP_1)
	v_pk_min_f16 v25, v26, v25
	v_pk_min_f16 v27, v25, v27
	v_lshlrev_b64 v[25:26], 1, v[42:43]
	s_delay_alu instid0(VALU_DEP_2) | instskip(NEXT) | instid1(VALU_DEP_1)
	v_lshrrev_b32_e32 v28, 16, v27
	v_min3_f16 v27, v24, v27, v28
	s_delay_alu instid0(VALU_DEP_3) | instskip(NEXT) | instid1(VALU_DEP_4)
	v_add_co_u32 v24, vcc_lo, v20, v25
	v_add_co_ci_u32_e32 v25, vcc_lo, v21, v26, vcc_lo
	global_store_b16 v[24:25], v27, off
	s_or_b32 exec_lo, exec_lo, s8
	s_and_b32 s14, s2, s4
	s_delay_alu instid0(SALU_CYCLE_1)
	s_and_saveexec_b32 s8, s14
	s_cbranch_execz .LBB269_247
.LBB269_256:
	v_cmp_ne_u32_e32 vcc_lo, 1, v48
	s_cbranch_vccnz .LBB269_258
; %bb.257:
	v_lshlrev_b64 v[24:25], 1, v[44:45]
	s_delay_alu instid0(VALU_DEP_1) | instskip(NEXT) | instid1(VALU_DEP_2)
	v_add_co_u32 v24, vcc_lo, v22, v24
	v_add_co_ci_u32_e32 v25, vcc_lo, v23, v25, vcc_lo
	flat_load_u16 v24, v[24:25]
	s_waitcnt vmcnt(0) lgkmcnt(0)
	v_mul_f16_e32 v24, s7, v24
	s_branch .LBB269_259
.LBB269_258:
	v_mov_b32_e32 v24, 0
.LBB269_259:
	v_pk_add_f16 v25, v0, v16
	v_pk_max_f16 v26, v71, v71
	v_pk_add_f16 v27, v1, v17
	s_delay_alu instid0(VALU_DEP_2) | instskip(NEXT) | instid1(VALU_DEP_1)
	v_pk_min_f16 v25, v26, v25
	v_pk_min_f16 v27, v25, v27
	v_lshlrev_b64 v[25:26], 1, v[44:45]
	s_delay_alu instid0(VALU_DEP_2) | instskip(NEXT) | instid1(VALU_DEP_1)
	v_lshrrev_b32_e32 v28, 16, v27
	v_min3_f16 v27, v24, v27, v28
	s_delay_alu instid0(VALU_DEP_3) | instskip(NEXT) | instid1(VALU_DEP_4)
	v_add_co_u32 v24, vcc_lo, v20, v25
	v_add_co_ci_u32_e32 v25, vcc_lo, v21, v26, vcc_lo
	global_store_b16 v[24:25], v27, off
	s_or_b32 exec_lo, exec_lo, s8
	s_and_b32 s8, s3, s4
	s_delay_alu instid0(SALU_CYCLE_1)
	s_and_saveexec_b32 s4, s8
	s_cbranch_execz .LBB269_264
.LBB269_260:
	v_cmp_ne_u32_e32 vcc_lo, 1, v48
	s_cbranch_vccnz .LBB269_262
; %bb.261:
	v_lshlrev_b64 v[24:25], 1, v[46:47]
	s_delay_alu instid0(VALU_DEP_1) | instskip(NEXT) | instid1(VALU_DEP_2)
	v_add_co_u32 v22, vcc_lo, v22, v24
	v_add_co_ci_u32_e32 v23, vcc_lo, v23, v25, vcc_lo
	flat_load_u16 v22, v[22:23]
	s_waitcnt vmcnt(0) lgkmcnt(0)
	v_mul_f16_e32 v22, s7, v22
	s_branch .LBB269_263
.LBB269_262:
	v_mov_b32_e32 v22, 0
.LBB269_263:
	v_pk_add_f16 v16, v2, v16
	v_pk_max_f16 v23, v70, v70
	v_pk_add_f16 v17, v3, v17
	s_delay_alu instid0(VALU_DEP_2) | instskip(NEXT) | instid1(VALU_DEP_1)
	v_pk_min_f16 v16, v23, v16
	v_pk_min_f16 v23, v16, v17
	v_lshlrev_b64 v[16:17], 1, v[46:47]
	s_delay_alu instid0(VALU_DEP_2) | instskip(NEXT) | instid1(VALU_DEP_2)
	v_lshrrev_b32_e32 v24, 16, v23
	v_add_co_u32 v16, vcc_lo, v20, v16
	s_delay_alu instid0(VALU_DEP_3) | instskip(NEXT) | instid1(VALU_DEP_3)
	v_add_co_ci_u32_e32 v17, vcc_lo, v21, v17, vcc_lo
	v_min3_f16 v22, v22, v23, v24
	global_store_b16 v[16:17], v22, off
.LBB269_264:
	s_or_b32 exec_lo, exec_lo, s4
	v_add_nc_u32_e32 v22, 0x58, v49
	s_delay_alu instid0(VALU_DEP_1) | instskip(SKIP_2) | instid1(VALU_DEP_3)
	v_mad_i64_i32 v[16:17], null, v22, s6, 0
	v_mad_i64_i32 v[20:21], null, v22, s5, 0
	v_cmp_gt_i32_e64 s4, s9, v22
	v_lshlrev_b64 v[16:17], 1, v[16:17]
	s_delay_alu instid0(VALU_DEP_2) | instskip(NEXT) | instid1(VALU_DEP_3)
	s_and_b32 s14, s0, s4
	v_lshlrev_b64 v[22:23], 1, v[20:21]
	s_delay_alu instid0(VALU_DEP_2) | instskip(NEXT) | instid1(VALU_DEP_3)
	v_add_co_u32 v20, vcc_lo, s12, v16
	v_add_co_ci_u32_e32 v21, vcc_lo, s13, v17, vcc_lo
	s_delay_alu instid0(VALU_DEP_3) | instskip(NEXT) | instid1(VALU_DEP_4)
	v_add_co_u32 v16, vcc_lo, s10, v22
	v_add_co_ci_u32_e32 v17, vcc_lo, s11, v23, vcc_lo
	s_and_saveexec_b32 s8, s14
	s_cbranch_execnz .LBB269_268
; %bb.265:
	s_or_b32 exec_lo, exec_lo, s8
	s_and_b32 s14, s1, s4
	s_delay_alu instid0(SALU_CYCLE_1)
	s_and_saveexec_b32 s8, s14
	s_cbranch_execnz .LBB269_272
.LBB269_266:
	s_or_b32 exec_lo, exec_lo, s8
	s_and_b32 s14, s2, s4
	s_delay_alu instid0(SALU_CYCLE_1)
	s_and_saveexec_b32 s8, s14
	s_cbranch_execnz .LBB269_276
.LBB269_267:
	s_or_b32 exec_lo, exec_lo, s8
	s_and_b32 s8, s3, s4
	s_delay_alu instid0(SALU_CYCLE_1)
	s_and_saveexec_b32 s4, s8
	s_cbranch_execnz .LBB269_280
	s_branch .LBB269_284
.LBB269_268:
	v_cmp_ne_u32_e32 vcc_lo, 1, v48
	s_cbranch_vccnz .LBB269_270
; %bb.269:
	v_lshlrev_b64 v[22:23], 1, v[40:41]
	s_delay_alu instid0(VALU_DEP_1) | instskip(NEXT) | instid1(VALU_DEP_2)
	v_add_co_u32 v22, vcc_lo, v20, v22
	v_add_co_ci_u32_e32 v23, vcc_lo, v21, v23, vcc_lo
	flat_load_u16 v22, v[22:23]
	s_waitcnt vmcnt(0) lgkmcnt(0)
	v_mul_f16_e32 v22, s7, v22
	s_branch .LBB269_271
.LBB269_270:
	v_mov_b32_e32 v22, 0
.LBB269_271:
	v_pk_add_f16 v23, v8, v18
	v_pk_max_f16 v24, v69, v69
	v_pk_add_f16 v25, v9, v19
	s_delay_alu instid0(VALU_DEP_2) | instskip(NEXT) | instid1(VALU_DEP_1)
	v_pk_min_f16 v23, v24, v23
	v_pk_min_f16 v25, v23, v25
	v_lshlrev_b64 v[23:24], 1, v[40:41]
	s_delay_alu instid0(VALU_DEP_2) | instskip(NEXT) | instid1(VALU_DEP_1)
	v_lshrrev_b32_e32 v26, 16, v25
	v_min3_f16 v25, v22, v25, v26
	s_delay_alu instid0(VALU_DEP_3) | instskip(NEXT) | instid1(VALU_DEP_4)
	v_add_co_u32 v22, vcc_lo, v16, v23
	v_add_co_ci_u32_e32 v23, vcc_lo, v17, v24, vcc_lo
	global_store_b16 v[22:23], v25, off
	s_or_b32 exec_lo, exec_lo, s8
	s_and_b32 s14, s1, s4
	s_delay_alu instid0(SALU_CYCLE_1)
	s_and_saveexec_b32 s8, s14
	s_cbranch_execz .LBB269_266
.LBB269_272:
	v_cmp_ne_u32_e32 vcc_lo, 1, v48
	s_cbranch_vccnz .LBB269_274
; %bb.273:
	v_lshlrev_b64 v[22:23], 1, v[42:43]
	s_delay_alu instid0(VALU_DEP_1) | instskip(NEXT) | instid1(VALU_DEP_2)
	v_add_co_u32 v22, vcc_lo, v20, v22
	v_add_co_ci_u32_e32 v23, vcc_lo, v21, v23, vcc_lo
	flat_load_u16 v22, v[22:23]
	s_waitcnt vmcnt(0) lgkmcnt(0)
	v_mul_f16_e32 v22, s7, v22
	s_branch .LBB269_275
.LBB269_274:
	v_mov_b32_e32 v22, 0
.LBB269_275:
	v_pk_add_f16 v23, v10, v18
	v_pk_max_f16 v24, v68, v68
	v_pk_add_f16 v25, v11, v19
	s_delay_alu instid0(VALU_DEP_2) | instskip(NEXT) | instid1(VALU_DEP_1)
	v_pk_min_f16 v23, v24, v23
	v_pk_min_f16 v25, v23, v25
	v_lshlrev_b64 v[23:24], 1, v[42:43]
	s_delay_alu instid0(VALU_DEP_2) | instskip(NEXT) | instid1(VALU_DEP_1)
	v_lshrrev_b32_e32 v26, 16, v25
	v_min3_f16 v25, v22, v25, v26
	s_delay_alu instid0(VALU_DEP_3) | instskip(NEXT) | instid1(VALU_DEP_4)
	v_add_co_u32 v22, vcc_lo, v16, v23
	v_add_co_ci_u32_e32 v23, vcc_lo, v17, v24, vcc_lo
	global_store_b16 v[22:23], v25, off
	s_or_b32 exec_lo, exec_lo, s8
	s_and_b32 s14, s2, s4
	s_delay_alu instid0(SALU_CYCLE_1)
	s_and_saveexec_b32 s8, s14
	s_cbranch_execz .LBB269_267
.LBB269_276:
	v_cmp_ne_u32_e32 vcc_lo, 1, v48
	s_cbranch_vccnz .LBB269_278
; %bb.277:
	v_lshlrev_b64 v[22:23], 1, v[44:45]
	s_delay_alu instid0(VALU_DEP_1) | instskip(NEXT) | instid1(VALU_DEP_2)
	v_add_co_u32 v22, vcc_lo, v20, v22
	v_add_co_ci_u32_e32 v23, vcc_lo, v21, v23, vcc_lo
	flat_load_u16 v22, v[22:23]
	s_waitcnt vmcnt(0) lgkmcnt(0)
	v_mul_f16_e32 v22, s7, v22
	s_branch .LBB269_279
.LBB269_278:
	v_mov_b32_e32 v22, 0
.LBB269_279:
	v_pk_add_f16 v23, v0, v18
	v_pk_max_f16 v24, v67, v67
	v_pk_add_f16 v25, v1, v19
	s_delay_alu instid0(VALU_DEP_2) | instskip(NEXT) | instid1(VALU_DEP_1)
	v_pk_min_f16 v23, v24, v23
	v_pk_min_f16 v25, v23, v25
	v_lshlrev_b64 v[23:24], 1, v[44:45]
	s_delay_alu instid0(VALU_DEP_2) | instskip(NEXT) | instid1(VALU_DEP_1)
	v_lshrrev_b32_e32 v26, 16, v25
	v_min3_f16 v25, v22, v25, v26
	s_delay_alu instid0(VALU_DEP_3) | instskip(NEXT) | instid1(VALU_DEP_4)
	v_add_co_u32 v22, vcc_lo, v16, v23
	v_add_co_ci_u32_e32 v23, vcc_lo, v17, v24, vcc_lo
	global_store_b16 v[22:23], v25, off
	s_or_b32 exec_lo, exec_lo, s8
	s_and_b32 s8, s3, s4
	s_delay_alu instid0(SALU_CYCLE_1)
	s_and_saveexec_b32 s4, s8
	s_cbranch_execz .LBB269_284
.LBB269_280:
	v_cmp_ne_u32_e32 vcc_lo, 1, v48
	s_cbranch_vccnz .LBB269_282
; %bb.281:
	v_lshlrev_b64 v[22:23], 1, v[46:47]
	s_delay_alu instid0(VALU_DEP_1) | instskip(NEXT) | instid1(VALU_DEP_2)
	v_add_co_u32 v20, vcc_lo, v20, v22
	v_add_co_ci_u32_e32 v21, vcc_lo, v21, v23, vcc_lo
	flat_load_u16 v20, v[20:21]
	s_waitcnt vmcnt(0) lgkmcnt(0)
	v_mul_f16_e32 v20, s7, v20
	s_branch .LBB269_283
.LBB269_282:
	v_mov_b32_e32 v20, 0
.LBB269_283:
	v_pk_add_f16 v18, v2, v18
	v_pk_max_f16 v21, v66, v66
	v_pk_add_f16 v19, v3, v19
	s_delay_alu instid0(VALU_DEP_2) | instskip(NEXT) | instid1(VALU_DEP_1)
	v_pk_min_f16 v18, v21, v18
	v_pk_min_f16 v21, v18, v19
	v_lshlrev_b64 v[18:19], 1, v[46:47]
	s_delay_alu instid0(VALU_DEP_2) | instskip(NEXT) | instid1(VALU_DEP_2)
	v_lshrrev_b32_e32 v22, 16, v21
	v_add_co_u32 v16, vcc_lo, v16, v18
	s_delay_alu instid0(VALU_DEP_3) | instskip(NEXT) | instid1(VALU_DEP_3)
	v_add_co_ci_u32_e32 v17, vcc_lo, v17, v19, vcc_lo
	v_min3_f16 v20, v20, v21, v22
	global_store_b16 v[16:17], v20, off
.LBB269_284:
	s_or_b32 exec_lo, exec_lo, s4
	v_add_nc_u32_e32 v20, 0x60, v49
	s_delay_alu instid0(VALU_DEP_1) | instskip(SKIP_2) | instid1(VALU_DEP_3)
	v_mad_i64_i32 v[16:17], null, v20, s6, 0
	v_mad_i64_i32 v[18:19], null, v20, s5, 0
	v_cmp_gt_i32_e64 s4, s9, v20
	v_lshlrev_b64 v[16:17], 1, v[16:17]
	s_delay_alu instid0(VALU_DEP_2) | instskip(NEXT) | instid1(VALU_DEP_3)
	s_and_b32 s14, s0, s4
	v_lshlrev_b64 v[20:21], 1, v[18:19]
	s_delay_alu instid0(VALU_DEP_2) | instskip(NEXT) | instid1(VALU_DEP_3)
	v_add_co_u32 v18, vcc_lo, s12, v16
	v_add_co_ci_u32_e32 v19, vcc_lo, s13, v17, vcc_lo
	s_delay_alu instid0(VALU_DEP_3) | instskip(NEXT) | instid1(VALU_DEP_4)
	v_add_co_u32 v16, vcc_lo, s10, v20
	v_add_co_ci_u32_e32 v17, vcc_lo, s11, v21, vcc_lo
	s_and_saveexec_b32 s8, s14
	s_cbranch_execnz .LBB269_288
; %bb.285:
	s_or_b32 exec_lo, exec_lo, s8
	s_and_b32 s14, s1, s4
	s_delay_alu instid0(SALU_CYCLE_1)
	s_and_saveexec_b32 s8, s14
	s_cbranch_execnz .LBB269_292
.LBB269_286:
	s_or_b32 exec_lo, exec_lo, s8
	s_and_b32 s14, s2, s4
	s_delay_alu instid0(SALU_CYCLE_1)
	s_and_saveexec_b32 s8, s14
	s_cbranch_execnz .LBB269_296
.LBB269_287:
	s_or_b32 exec_lo, exec_lo, s8
	s_and_b32 s8, s3, s4
	s_delay_alu instid0(SALU_CYCLE_1)
	s_and_saveexec_b32 s4, s8
	s_cbranch_execnz .LBB269_300
	s_branch .LBB269_304
.LBB269_288:
	v_cmp_ne_u32_e32 vcc_lo, 1, v48
	s_cbranch_vccnz .LBB269_290
; %bb.289:
	v_lshlrev_b64 v[20:21], 1, v[40:41]
	s_delay_alu instid0(VALU_DEP_1) | instskip(NEXT) | instid1(VALU_DEP_2)
	v_add_co_u32 v20, vcc_lo, v18, v20
	v_add_co_ci_u32_e32 v21, vcc_lo, v19, v21, vcc_lo
	flat_load_u16 v20, v[20:21]
	s_waitcnt vmcnt(0) lgkmcnt(0)
	v_mul_f16_e32 v20, s7, v20
	s_branch .LBB269_291
.LBB269_290:
	v_mov_b32_e32 v20, 0
.LBB269_291:
	v_pk_add_f16 v21, v8, v12
	v_pk_max_f16 v22, v65, v65
	v_pk_add_f16 v23, v9, v13
	s_delay_alu instid0(VALU_DEP_2) | instskip(NEXT) | instid1(VALU_DEP_1)
	v_pk_min_f16 v21, v22, v21
	v_pk_min_f16 v23, v21, v23
	v_lshlrev_b64 v[21:22], 1, v[40:41]
	s_delay_alu instid0(VALU_DEP_2) | instskip(NEXT) | instid1(VALU_DEP_1)
	v_lshrrev_b32_e32 v24, 16, v23
	v_min3_f16 v23, v20, v23, v24
	s_delay_alu instid0(VALU_DEP_3) | instskip(NEXT) | instid1(VALU_DEP_4)
	v_add_co_u32 v20, vcc_lo, v16, v21
	v_add_co_ci_u32_e32 v21, vcc_lo, v17, v22, vcc_lo
	global_store_b16 v[20:21], v23, off
	s_or_b32 exec_lo, exec_lo, s8
	s_and_b32 s14, s1, s4
	s_delay_alu instid0(SALU_CYCLE_1)
	s_and_saveexec_b32 s8, s14
	s_cbranch_execz .LBB269_286
.LBB269_292:
	v_cmp_ne_u32_e32 vcc_lo, 1, v48
	s_cbranch_vccnz .LBB269_294
; %bb.293:
	v_lshlrev_b64 v[20:21], 1, v[42:43]
	s_delay_alu instid0(VALU_DEP_1) | instskip(NEXT) | instid1(VALU_DEP_2)
	v_add_co_u32 v20, vcc_lo, v18, v20
	v_add_co_ci_u32_e32 v21, vcc_lo, v19, v21, vcc_lo
	flat_load_u16 v20, v[20:21]
	s_waitcnt vmcnt(0) lgkmcnt(0)
	v_mul_f16_e32 v20, s7, v20
	s_branch .LBB269_295
.LBB269_294:
	v_mov_b32_e32 v20, 0
.LBB269_295:
	v_pk_add_f16 v21, v10, v12
	v_pk_max_f16 v22, v64, v64
	v_pk_add_f16 v23, v11, v13
	s_delay_alu instid0(VALU_DEP_2) | instskip(NEXT) | instid1(VALU_DEP_1)
	v_pk_min_f16 v21, v22, v21
	v_pk_min_f16 v23, v21, v23
	v_lshlrev_b64 v[21:22], 1, v[42:43]
	s_delay_alu instid0(VALU_DEP_2) | instskip(NEXT) | instid1(VALU_DEP_1)
	v_lshrrev_b32_e32 v24, 16, v23
	v_min3_f16 v23, v20, v23, v24
	s_delay_alu instid0(VALU_DEP_3) | instskip(NEXT) | instid1(VALU_DEP_4)
	v_add_co_u32 v20, vcc_lo, v16, v21
	v_add_co_ci_u32_e32 v21, vcc_lo, v17, v22, vcc_lo
	global_store_b16 v[20:21], v23, off
	s_or_b32 exec_lo, exec_lo, s8
	s_and_b32 s14, s2, s4
	s_delay_alu instid0(SALU_CYCLE_1)
	s_and_saveexec_b32 s8, s14
	s_cbranch_execz .LBB269_287
.LBB269_296:
	v_cmp_ne_u32_e32 vcc_lo, 1, v48
	s_cbranch_vccnz .LBB269_298
; %bb.297:
	v_lshlrev_b64 v[20:21], 1, v[44:45]
	s_delay_alu instid0(VALU_DEP_1) | instskip(NEXT) | instid1(VALU_DEP_2)
	v_add_co_u32 v20, vcc_lo, v18, v20
	v_add_co_ci_u32_e32 v21, vcc_lo, v19, v21, vcc_lo
	flat_load_u16 v20, v[20:21]
	s_waitcnt vmcnt(0) lgkmcnt(0)
	v_mul_f16_e32 v20, s7, v20
	s_branch .LBB269_299
.LBB269_298:
	v_mov_b32_e32 v20, 0
.LBB269_299:
	v_pk_add_f16 v21, v0, v12
	v_pk_max_f16 v22, v63, v63
	v_pk_add_f16 v23, v1, v13
	s_delay_alu instid0(VALU_DEP_2) | instskip(NEXT) | instid1(VALU_DEP_1)
	v_pk_min_f16 v21, v22, v21
	v_pk_min_f16 v23, v21, v23
	v_lshlrev_b64 v[21:22], 1, v[44:45]
	s_delay_alu instid0(VALU_DEP_2) | instskip(NEXT) | instid1(VALU_DEP_1)
	v_lshrrev_b32_e32 v24, 16, v23
	v_min3_f16 v23, v20, v23, v24
	s_delay_alu instid0(VALU_DEP_3) | instskip(NEXT) | instid1(VALU_DEP_4)
	v_add_co_u32 v20, vcc_lo, v16, v21
	v_add_co_ci_u32_e32 v21, vcc_lo, v17, v22, vcc_lo
	global_store_b16 v[20:21], v23, off
	s_or_b32 exec_lo, exec_lo, s8
	s_and_b32 s8, s3, s4
	s_delay_alu instid0(SALU_CYCLE_1)
	s_and_saveexec_b32 s4, s8
	s_cbranch_execz .LBB269_304
.LBB269_300:
	v_cmp_ne_u32_e32 vcc_lo, 1, v48
	s_cbranch_vccnz .LBB269_302
; %bb.301:
	v_lshlrev_b64 v[20:21], 1, v[46:47]
	s_delay_alu instid0(VALU_DEP_1) | instskip(NEXT) | instid1(VALU_DEP_2)
	v_add_co_u32 v18, vcc_lo, v18, v20
	v_add_co_ci_u32_e32 v19, vcc_lo, v19, v21, vcc_lo
	flat_load_u16 v18, v[18:19]
	s_waitcnt vmcnt(0) lgkmcnt(0)
	v_mul_f16_e32 v18, s7, v18
	s_branch .LBB269_303
.LBB269_302:
	v_mov_b32_e32 v18, 0
.LBB269_303:
	v_pk_add_f16 v12, v2, v12
	v_pk_max_f16 v19, v62, v62
	v_pk_add_f16 v13, v3, v13
	s_delay_alu instid0(VALU_DEP_2) | instskip(NEXT) | instid1(VALU_DEP_1)
	v_pk_min_f16 v12, v19, v12
	v_pk_min_f16 v19, v12, v13
	v_lshlrev_b64 v[12:13], 1, v[46:47]
	s_delay_alu instid0(VALU_DEP_2) | instskip(NEXT) | instid1(VALU_DEP_2)
	v_lshrrev_b32_e32 v20, 16, v19
	v_add_co_u32 v12, vcc_lo, v16, v12
	s_delay_alu instid0(VALU_DEP_3) | instskip(NEXT) | instid1(VALU_DEP_3)
	v_add_co_ci_u32_e32 v13, vcc_lo, v17, v13, vcc_lo
	v_min3_f16 v18, v18, v19, v20
	global_store_b16 v[12:13], v18, off
.LBB269_304:
	s_or_b32 exec_lo, exec_lo, s4
	v_add_nc_u32_e32 v18, 0x68, v49
	s_delay_alu instid0(VALU_DEP_1) | instskip(SKIP_2) | instid1(VALU_DEP_3)
	v_mad_i64_i32 v[12:13], null, v18, s6, 0
	v_mad_i64_i32 v[16:17], null, v18, s5, 0
	v_cmp_gt_i32_e64 s4, s9, v18
	v_lshlrev_b64 v[12:13], 1, v[12:13]
	s_delay_alu instid0(VALU_DEP_2) | instskip(NEXT) | instid1(VALU_DEP_3)
	s_and_b32 s14, s0, s4
	v_lshlrev_b64 v[18:19], 1, v[16:17]
	s_delay_alu instid0(VALU_DEP_2) | instskip(NEXT) | instid1(VALU_DEP_3)
	v_add_co_u32 v16, vcc_lo, s12, v12
	v_add_co_ci_u32_e32 v17, vcc_lo, s13, v13, vcc_lo
	s_delay_alu instid0(VALU_DEP_3) | instskip(NEXT) | instid1(VALU_DEP_4)
	v_add_co_u32 v12, vcc_lo, s10, v18
	v_add_co_ci_u32_e32 v13, vcc_lo, s11, v19, vcc_lo
	s_and_saveexec_b32 s8, s14
	s_cbranch_execnz .LBB269_308
; %bb.305:
	s_or_b32 exec_lo, exec_lo, s8
	s_and_b32 s14, s1, s4
	s_delay_alu instid0(SALU_CYCLE_1)
	s_and_saveexec_b32 s8, s14
	s_cbranch_execnz .LBB269_312
.LBB269_306:
	s_or_b32 exec_lo, exec_lo, s8
	s_and_b32 s14, s2, s4
	s_delay_alu instid0(SALU_CYCLE_1)
	s_and_saveexec_b32 s8, s14
	s_cbranch_execnz .LBB269_316
.LBB269_307:
	s_or_b32 exec_lo, exec_lo, s8
	s_and_b32 s8, s3, s4
	s_delay_alu instid0(SALU_CYCLE_1)
	s_and_saveexec_b32 s4, s8
	s_cbranch_execnz .LBB269_320
	s_branch .LBB269_324
.LBB269_308:
	v_cmp_ne_u32_e32 vcc_lo, 1, v48
	s_cbranch_vccnz .LBB269_310
; %bb.309:
	v_lshlrev_b64 v[18:19], 1, v[40:41]
	s_delay_alu instid0(VALU_DEP_1) | instskip(NEXT) | instid1(VALU_DEP_2)
	v_add_co_u32 v18, vcc_lo, v16, v18
	v_add_co_ci_u32_e32 v19, vcc_lo, v17, v19, vcc_lo
	flat_load_u16 v18, v[18:19]
	s_waitcnt vmcnt(0) lgkmcnt(0)
	v_mul_f16_e32 v18, s7, v18
	s_branch .LBB269_311
.LBB269_310:
	v_mov_b32_e32 v18, 0
.LBB269_311:
	v_pk_add_f16 v19, v8, v14
	v_pk_max_f16 v20, v61, v61
	v_pk_add_f16 v21, v9, v15
	s_delay_alu instid0(VALU_DEP_2) | instskip(NEXT) | instid1(VALU_DEP_1)
	v_pk_min_f16 v19, v20, v19
	v_pk_min_f16 v21, v19, v21
	v_lshlrev_b64 v[19:20], 1, v[40:41]
	s_delay_alu instid0(VALU_DEP_2) | instskip(NEXT) | instid1(VALU_DEP_1)
	v_lshrrev_b32_e32 v22, 16, v21
	v_min3_f16 v21, v18, v21, v22
	s_delay_alu instid0(VALU_DEP_3) | instskip(NEXT) | instid1(VALU_DEP_4)
	v_add_co_u32 v18, vcc_lo, v12, v19
	v_add_co_ci_u32_e32 v19, vcc_lo, v13, v20, vcc_lo
	global_store_b16 v[18:19], v21, off
	s_or_b32 exec_lo, exec_lo, s8
	s_and_b32 s14, s1, s4
	s_delay_alu instid0(SALU_CYCLE_1)
	s_and_saveexec_b32 s8, s14
	s_cbranch_execz .LBB269_306
.LBB269_312:
	v_cmp_ne_u32_e32 vcc_lo, 1, v48
	s_cbranch_vccnz .LBB269_314
; %bb.313:
	v_lshlrev_b64 v[18:19], 1, v[42:43]
	s_delay_alu instid0(VALU_DEP_1) | instskip(NEXT) | instid1(VALU_DEP_2)
	v_add_co_u32 v18, vcc_lo, v16, v18
	v_add_co_ci_u32_e32 v19, vcc_lo, v17, v19, vcc_lo
	flat_load_u16 v18, v[18:19]
	s_waitcnt vmcnt(0) lgkmcnt(0)
	v_mul_f16_e32 v18, s7, v18
	s_branch .LBB269_315
.LBB269_314:
	v_mov_b32_e32 v18, 0
.LBB269_315:
	v_pk_add_f16 v19, v10, v14
	v_pk_max_f16 v20, v60, v60
	v_pk_add_f16 v21, v11, v15
	s_delay_alu instid0(VALU_DEP_2) | instskip(NEXT) | instid1(VALU_DEP_1)
	v_pk_min_f16 v19, v20, v19
	v_pk_min_f16 v21, v19, v21
	v_lshlrev_b64 v[19:20], 1, v[42:43]
	s_delay_alu instid0(VALU_DEP_2) | instskip(NEXT) | instid1(VALU_DEP_1)
	v_lshrrev_b32_e32 v22, 16, v21
	v_min3_f16 v21, v18, v21, v22
	s_delay_alu instid0(VALU_DEP_3) | instskip(NEXT) | instid1(VALU_DEP_4)
	v_add_co_u32 v18, vcc_lo, v12, v19
	v_add_co_ci_u32_e32 v19, vcc_lo, v13, v20, vcc_lo
	global_store_b16 v[18:19], v21, off
	s_or_b32 exec_lo, exec_lo, s8
	s_and_b32 s14, s2, s4
	s_delay_alu instid0(SALU_CYCLE_1)
	s_and_saveexec_b32 s8, s14
	s_cbranch_execz .LBB269_307
.LBB269_316:
	v_cmp_ne_u32_e32 vcc_lo, 1, v48
	s_cbranch_vccnz .LBB269_318
; %bb.317:
	v_lshlrev_b64 v[18:19], 1, v[44:45]
	s_delay_alu instid0(VALU_DEP_1) | instskip(NEXT) | instid1(VALU_DEP_2)
	v_add_co_u32 v18, vcc_lo, v16, v18
	v_add_co_ci_u32_e32 v19, vcc_lo, v17, v19, vcc_lo
	flat_load_u16 v18, v[18:19]
	s_waitcnt vmcnt(0) lgkmcnt(0)
	v_mul_f16_e32 v18, s7, v18
	s_branch .LBB269_319
.LBB269_318:
	v_mov_b32_e32 v18, 0
.LBB269_319:
	v_pk_add_f16 v19, v0, v14
	v_pk_max_f16 v20, v59, v59
	v_pk_add_f16 v21, v1, v15
	s_delay_alu instid0(VALU_DEP_2) | instskip(NEXT) | instid1(VALU_DEP_1)
	v_pk_min_f16 v19, v20, v19
	v_pk_min_f16 v21, v19, v21
	v_lshlrev_b64 v[19:20], 1, v[44:45]
	s_delay_alu instid0(VALU_DEP_2) | instskip(NEXT) | instid1(VALU_DEP_1)
	v_lshrrev_b32_e32 v22, 16, v21
	v_min3_f16 v21, v18, v21, v22
	s_delay_alu instid0(VALU_DEP_3) | instskip(NEXT) | instid1(VALU_DEP_4)
	v_add_co_u32 v18, vcc_lo, v12, v19
	v_add_co_ci_u32_e32 v19, vcc_lo, v13, v20, vcc_lo
	global_store_b16 v[18:19], v21, off
	s_or_b32 exec_lo, exec_lo, s8
	s_and_b32 s8, s3, s4
	s_delay_alu instid0(SALU_CYCLE_1)
	s_and_saveexec_b32 s4, s8
	s_cbranch_execz .LBB269_324
.LBB269_320:
	v_cmp_ne_u32_e32 vcc_lo, 1, v48
	s_cbranch_vccnz .LBB269_322
; %bb.321:
	v_lshlrev_b64 v[18:19], 1, v[46:47]
	s_delay_alu instid0(VALU_DEP_1) | instskip(NEXT) | instid1(VALU_DEP_2)
	v_add_co_u32 v16, vcc_lo, v16, v18
	v_add_co_ci_u32_e32 v17, vcc_lo, v17, v19, vcc_lo
	flat_load_u16 v16, v[16:17]
	s_waitcnt vmcnt(0) lgkmcnt(0)
	v_mul_f16_e32 v16, s7, v16
	s_branch .LBB269_323
.LBB269_322:
	v_mov_b32_e32 v16, 0
.LBB269_323:
	v_pk_add_f16 v14, v2, v14
	v_pk_max_f16 v17, v58, v58
	v_pk_add_f16 v15, v3, v15
	s_delay_alu instid0(VALU_DEP_2) | instskip(NEXT) | instid1(VALU_DEP_1)
	v_pk_min_f16 v14, v17, v14
	v_pk_min_f16 v17, v14, v15
	v_lshlrev_b64 v[14:15], 1, v[46:47]
	s_delay_alu instid0(VALU_DEP_2) | instskip(NEXT) | instid1(VALU_DEP_2)
	v_lshrrev_b32_e32 v18, 16, v17
	v_add_co_u32 v12, vcc_lo, v12, v14
	s_delay_alu instid0(VALU_DEP_3) | instskip(NEXT) | instid1(VALU_DEP_3)
	v_add_co_ci_u32_e32 v13, vcc_lo, v13, v15, vcc_lo
	v_min3_f16 v16, v16, v17, v18
	global_store_b16 v[12:13], v16, off
.LBB269_324:
	s_or_b32 exec_lo, exec_lo, s4
	v_add_nc_u32_e32 v16, 0x70, v49
	s_delay_alu instid0(VALU_DEP_1) | instskip(SKIP_2) | instid1(VALU_DEP_3)
	v_mad_i64_i32 v[12:13], null, v16, s6, 0
	v_mad_i64_i32 v[14:15], null, v16, s5, 0
	v_cmp_gt_i32_e64 s4, s9, v16
	v_lshlrev_b64 v[12:13], 1, v[12:13]
	s_delay_alu instid0(VALU_DEP_2) | instskip(NEXT) | instid1(VALU_DEP_3)
	s_and_b32 s14, s0, s4
	v_lshlrev_b64 v[16:17], 1, v[14:15]
	s_delay_alu instid0(VALU_DEP_2) | instskip(NEXT) | instid1(VALU_DEP_3)
	v_add_co_u32 v14, vcc_lo, s12, v12
	v_add_co_ci_u32_e32 v15, vcc_lo, s13, v13, vcc_lo
	s_delay_alu instid0(VALU_DEP_3) | instskip(NEXT) | instid1(VALU_DEP_4)
	v_add_co_u32 v12, vcc_lo, s10, v16
	v_add_co_ci_u32_e32 v13, vcc_lo, s11, v17, vcc_lo
	s_and_saveexec_b32 s8, s14
	s_cbranch_execnz .LBB269_328
; %bb.325:
	s_or_b32 exec_lo, exec_lo, s8
	s_and_b32 s14, s1, s4
	s_delay_alu instid0(SALU_CYCLE_1)
	s_and_saveexec_b32 s8, s14
	s_cbranch_execnz .LBB269_332
.LBB269_326:
	s_or_b32 exec_lo, exec_lo, s8
	s_and_b32 s14, s2, s4
	s_delay_alu instid0(SALU_CYCLE_1)
	s_and_saveexec_b32 s8, s14
	s_cbranch_execnz .LBB269_336
.LBB269_327:
	s_or_b32 exec_lo, exec_lo, s8
	s_and_b32 s8, s3, s4
	s_delay_alu instid0(SALU_CYCLE_1)
	s_and_saveexec_b32 s4, s8
	s_cbranch_execnz .LBB269_340
	s_branch .LBB269_344
.LBB269_328:
	v_cmp_ne_u32_e32 vcc_lo, 1, v48
	s_cbranch_vccnz .LBB269_330
; %bb.329:
	v_lshlrev_b64 v[16:17], 1, v[40:41]
	s_delay_alu instid0(VALU_DEP_1) | instskip(NEXT) | instid1(VALU_DEP_2)
	v_add_co_u32 v16, vcc_lo, v14, v16
	v_add_co_ci_u32_e32 v17, vcc_lo, v15, v17, vcc_lo
	flat_load_u16 v16, v[16:17]
	s_waitcnt vmcnt(0) lgkmcnt(0)
	v_mul_f16_e32 v16, s7, v16
	s_branch .LBB269_331
.LBB269_330:
	v_mov_b32_e32 v16, 0
.LBB269_331:
	v_pk_add_f16 v17, v8, v4
	v_pk_max_f16 v18, v57, v57
	v_pk_add_f16 v19, v9, v5
	s_delay_alu instid0(VALU_DEP_2) | instskip(NEXT) | instid1(VALU_DEP_1)
	v_pk_min_f16 v17, v18, v17
	v_pk_min_f16 v19, v17, v19
	v_lshlrev_b64 v[17:18], 1, v[40:41]
	s_delay_alu instid0(VALU_DEP_2) | instskip(NEXT) | instid1(VALU_DEP_1)
	v_lshrrev_b32_e32 v20, 16, v19
	v_min3_f16 v19, v16, v19, v20
	s_delay_alu instid0(VALU_DEP_3) | instskip(NEXT) | instid1(VALU_DEP_4)
	v_add_co_u32 v16, vcc_lo, v12, v17
	v_add_co_ci_u32_e32 v17, vcc_lo, v13, v18, vcc_lo
	global_store_b16 v[16:17], v19, off
	s_or_b32 exec_lo, exec_lo, s8
	s_and_b32 s14, s1, s4
	s_delay_alu instid0(SALU_CYCLE_1)
	s_and_saveexec_b32 s8, s14
	s_cbranch_execz .LBB269_326
.LBB269_332:
	v_cmp_ne_u32_e32 vcc_lo, 1, v48
	s_cbranch_vccnz .LBB269_334
; %bb.333:
	v_lshlrev_b64 v[16:17], 1, v[42:43]
	s_delay_alu instid0(VALU_DEP_1) | instskip(NEXT) | instid1(VALU_DEP_2)
	v_add_co_u32 v16, vcc_lo, v14, v16
	v_add_co_ci_u32_e32 v17, vcc_lo, v15, v17, vcc_lo
	flat_load_u16 v16, v[16:17]
	s_waitcnt vmcnt(0) lgkmcnt(0)
	v_mul_f16_e32 v16, s7, v16
	s_branch .LBB269_335
.LBB269_334:
	v_mov_b32_e32 v16, 0
.LBB269_335:
	v_pk_add_f16 v17, v10, v4
	v_pk_max_f16 v18, v56, v56
	v_pk_add_f16 v19, v11, v5
	s_delay_alu instid0(VALU_DEP_2) | instskip(NEXT) | instid1(VALU_DEP_1)
	v_pk_min_f16 v17, v18, v17
	v_pk_min_f16 v19, v17, v19
	v_lshlrev_b64 v[17:18], 1, v[42:43]
	s_delay_alu instid0(VALU_DEP_2) | instskip(NEXT) | instid1(VALU_DEP_1)
	v_lshrrev_b32_e32 v20, 16, v19
	v_min3_f16 v19, v16, v19, v20
	s_delay_alu instid0(VALU_DEP_3) | instskip(NEXT) | instid1(VALU_DEP_4)
	v_add_co_u32 v16, vcc_lo, v12, v17
	v_add_co_ci_u32_e32 v17, vcc_lo, v13, v18, vcc_lo
	global_store_b16 v[16:17], v19, off
	s_or_b32 exec_lo, exec_lo, s8
	s_and_b32 s14, s2, s4
	s_delay_alu instid0(SALU_CYCLE_1)
	s_and_saveexec_b32 s8, s14
	s_cbranch_execz .LBB269_327
.LBB269_336:
	v_cmp_ne_u32_e32 vcc_lo, 1, v48
	s_cbranch_vccnz .LBB269_338
; %bb.337:
	v_lshlrev_b64 v[16:17], 1, v[44:45]
	s_delay_alu instid0(VALU_DEP_1) | instskip(NEXT) | instid1(VALU_DEP_2)
	v_add_co_u32 v16, vcc_lo, v14, v16
	v_add_co_ci_u32_e32 v17, vcc_lo, v15, v17, vcc_lo
	flat_load_u16 v16, v[16:17]
	s_waitcnt vmcnt(0) lgkmcnt(0)
	v_mul_f16_e32 v16, s7, v16
	s_branch .LBB269_339
.LBB269_338:
	v_mov_b32_e32 v16, 0
.LBB269_339:
	v_pk_add_f16 v17, v0, v4
	v_pk_max_f16 v18, v55, v55
	v_pk_add_f16 v19, v1, v5
	s_delay_alu instid0(VALU_DEP_2) | instskip(NEXT) | instid1(VALU_DEP_1)
	v_pk_min_f16 v17, v18, v17
	v_pk_min_f16 v19, v17, v19
	v_lshlrev_b64 v[17:18], 1, v[44:45]
	s_delay_alu instid0(VALU_DEP_2) | instskip(NEXT) | instid1(VALU_DEP_1)
	v_lshrrev_b32_e32 v20, 16, v19
	v_min3_f16 v19, v16, v19, v20
	s_delay_alu instid0(VALU_DEP_3) | instskip(NEXT) | instid1(VALU_DEP_4)
	v_add_co_u32 v16, vcc_lo, v12, v17
	v_add_co_ci_u32_e32 v17, vcc_lo, v13, v18, vcc_lo
	global_store_b16 v[16:17], v19, off
	s_or_b32 exec_lo, exec_lo, s8
	s_and_b32 s8, s3, s4
	s_delay_alu instid0(SALU_CYCLE_1)
	s_and_saveexec_b32 s4, s8
	s_cbranch_execz .LBB269_344
.LBB269_340:
	v_cmp_ne_u32_e32 vcc_lo, 1, v48
	s_cbranch_vccnz .LBB269_342
; %bb.341:
	v_lshlrev_b64 v[16:17], 1, v[46:47]
	s_delay_alu instid0(VALU_DEP_1) | instskip(NEXT) | instid1(VALU_DEP_2)
	v_add_co_u32 v14, vcc_lo, v14, v16
	v_add_co_ci_u32_e32 v15, vcc_lo, v15, v17, vcc_lo
	flat_load_u16 v14, v[14:15]
	s_waitcnt vmcnt(0) lgkmcnt(0)
	v_mul_f16_e32 v14, s7, v14
	s_branch .LBB269_343
.LBB269_342:
	v_mov_b32_e32 v14, 0
.LBB269_343:
	v_pk_add_f16 v4, v2, v4
	v_pk_max_f16 v15, v54, v54
	v_pk_add_f16 v5, v3, v5
	s_delay_alu instid0(VALU_DEP_2) | instskip(NEXT) | instid1(VALU_DEP_1)
	v_pk_min_f16 v4, v15, v4
	v_pk_min_f16 v15, v4, v5
	v_lshlrev_b64 v[4:5], 1, v[46:47]
	s_delay_alu instid0(VALU_DEP_2) | instskip(NEXT) | instid1(VALU_DEP_2)
	v_lshrrev_b32_e32 v16, 16, v15
	v_add_co_u32 v4, vcc_lo, v12, v4
	s_delay_alu instid0(VALU_DEP_3) | instskip(NEXT) | instid1(VALU_DEP_3)
	v_add_co_ci_u32_e32 v5, vcc_lo, v13, v5, vcc_lo
	v_min3_f16 v14, v14, v15, v16
	global_store_b16 v[4:5], v14, off
.LBB269_344:
	s_or_b32 exec_lo, exec_lo, s4
	v_add_nc_u32_e32 v14, 0x78, v49
	s_delay_alu instid0(VALU_DEP_1) | instskip(SKIP_2) | instid1(VALU_DEP_3)
	v_mad_i64_i32 v[4:5], null, v14, s6, 0
	v_mad_i64_i32 v[12:13], null, v14, s5, 0
	v_cmp_gt_i32_e64 s4, s9, v14
	v_lshlrev_b64 v[4:5], 1, v[4:5]
	s_delay_alu instid0(VALU_DEP_2) | instskip(NEXT) | instid1(VALU_DEP_3)
	s_and_b32 s5, s0, s4
	v_lshlrev_b64 v[12:13], 1, v[12:13]
	s_delay_alu instid0(VALU_DEP_2) | instskip(NEXT) | instid1(VALU_DEP_3)
	v_add_co_u32 v14, vcc_lo, s12, v4
	v_add_co_ci_u32_e32 v15, vcc_lo, s13, v5, vcc_lo
	s_delay_alu instid0(VALU_DEP_3) | instskip(NEXT) | instid1(VALU_DEP_4)
	v_add_co_u32 v12, vcc_lo, s10, v12
	v_add_co_ci_u32_e32 v13, vcc_lo, s11, v13, vcc_lo
	s_and_saveexec_b32 s0, s5
	s_cbranch_execnz .LBB269_349
; %bb.345:
	s_or_b32 exec_lo, exec_lo, s0
	s_and_b32 s1, s1, s4
	s_delay_alu instid0(SALU_CYCLE_1)
	s_and_saveexec_b32 s0, s1
	s_cbranch_execnz .LBB269_353
.LBB269_346:
	s_or_b32 exec_lo, exec_lo, s0
	s_and_b32 s1, s2, s4
	s_delay_alu instid0(SALU_CYCLE_1)
	s_and_saveexec_b32 s0, s1
	s_cbranch_execnz .LBB269_357
.LBB269_347:
	s_or_b32 exec_lo, exec_lo, s0
	s_and_b32 s0, s3, s4
	s_delay_alu instid0(SALU_CYCLE_1)
	s_and_saveexec_b32 s1, s0
	s_cbranch_execnz .LBB269_361
.LBB269_348:
	s_nop 0
	s_sendmsg sendmsg(MSG_DEALLOC_VGPRS)
	s_endpgm
.LBB269_349:
	v_cmp_ne_u32_e32 vcc_lo, 1, v48
	v_lshlrev_b64 v[4:5], 1, v[40:41]
	s_cbranch_vccnz .LBB269_351
; %bb.350:
	s_delay_alu instid0(VALU_DEP_1) | instskip(NEXT) | instid1(VALU_DEP_2)
	v_add_co_u32 v16, vcc_lo, v14, v4
	v_add_co_ci_u32_e32 v17, vcc_lo, v15, v5, vcc_lo
	flat_load_u16 v16, v[16:17]
	s_waitcnt vmcnt(0) lgkmcnt(0)
	v_mul_f16_e32 v16, s7, v16
	s_branch .LBB269_352
.LBB269_351:
	v_mov_b32_e32 v16, 0
.LBB269_352:
	v_pk_add_f16 v8, v8, v6
	v_pk_max_f16 v17, v53, v53
	v_pk_add_f16 v9, v9, v7
	v_add_co_u32 v4, vcc_lo, v12, v4
	v_add_co_ci_u32_e32 v5, vcc_lo, v13, v5, vcc_lo
	s_delay_alu instid0(VALU_DEP_4) | instskip(NEXT) | instid1(VALU_DEP_1)
	v_pk_min_f16 v8, v17, v8
	v_pk_min_f16 v8, v8, v9
	s_delay_alu instid0(VALU_DEP_1) | instskip(NEXT) | instid1(VALU_DEP_1)
	v_lshrrev_b32_e32 v9, 16, v8
	v_min3_f16 v8, v16, v8, v9
	global_store_b16 v[4:5], v8, off
	s_or_b32 exec_lo, exec_lo, s0
	s_and_b32 s1, s1, s4
	s_delay_alu instid0(SALU_CYCLE_1)
	s_and_saveexec_b32 s0, s1
	s_cbranch_execz .LBB269_346
.LBB269_353:
	v_cmp_ne_u32_e32 vcc_lo, 1, v48
	v_lshlrev_b64 v[4:5], 1, v[42:43]
	s_cbranch_vccnz .LBB269_355
; %bb.354:
	s_delay_alu instid0(VALU_DEP_1) | instskip(NEXT) | instid1(VALU_DEP_2)
	v_add_co_u32 v8, vcc_lo, v14, v4
	v_add_co_ci_u32_e32 v9, vcc_lo, v15, v5, vcc_lo
	flat_load_u16 v8, v[8:9]
	s_waitcnt vmcnt(0) lgkmcnt(0)
	v_mul_f16_e32 v8, s7, v8
	s_branch .LBB269_356
.LBB269_355:
	v_mov_b32_e32 v8, 0
.LBB269_356:
	v_pk_add_f16 v9, v10, v6
	v_pk_max_f16 v10, v52, v52
	v_pk_add_f16 v11, v11, v7
	v_add_co_u32 v4, vcc_lo, v12, v4
	v_add_co_ci_u32_e32 v5, vcc_lo, v13, v5, vcc_lo
	s_delay_alu instid0(VALU_DEP_4) | instskip(NEXT) | instid1(VALU_DEP_1)
	v_pk_min_f16 v9, v10, v9
	v_pk_min_f16 v9, v9, v11
	s_delay_alu instid0(VALU_DEP_1) | instskip(NEXT) | instid1(VALU_DEP_1)
	v_lshrrev_b32_e32 v10, 16, v9
	v_min3_f16 v8, v8, v9, v10
	global_store_b16 v[4:5], v8, off
	s_or_b32 exec_lo, exec_lo, s0
	s_and_b32 s1, s2, s4
	s_delay_alu instid0(SALU_CYCLE_1)
	s_and_saveexec_b32 s0, s1
	s_cbranch_execz .LBB269_347
.LBB269_357:
	v_cmp_ne_u32_e32 vcc_lo, 1, v48
	v_lshlrev_b64 v[4:5], 1, v[44:45]
	s_cbranch_vccnz .LBB269_359
; %bb.358:
	s_delay_alu instid0(VALU_DEP_1) | instskip(NEXT) | instid1(VALU_DEP_2)
	v_add_co_u32 v8, vcc_lo, v14, v4
	v_add_co_ci_u32_e32 v9, vcc_lo, v15, v5, vcc_lo
	flat_load_u16 v8, v[8:9]
	s_waitcnt vmcnt(0) lgkmcnt(0)
	v_mul_f16_e32 v8, s7, v8
	s_branch .LBB269_360
.LBB269_359:
	v_mov_b32_e32 v8, 0
.LBB269_360:
	v_pk_add_f16 v0, v0, v6
	v_pk_max_f16 v9, v51, v51
	v_pk_add_f16 v1, v1, v7
	s_delay_alu instid0(VALU_DEP_2) | instskip(NEXT) | instid1(VALU_DEP_1)
	v_pk_min_f16 v0, v9, v0
	v_pk_min_f16 v0, v0, v1
	s_delay_alu instid0(VALU_DEP_1) | instskip(NEXT) | instid1(VALU_DEP_1)
	v_lshrrev_b32_e32 v1, 16, v0
	v_min3_f16 v8, v8, v0, v1
	v_add_co_u32 v0, vcc_lo, v12, v4
	v_add_co_ci_u32_e32 v1, vcc_lo, v13, v5, vcc_lo
	global_store_b16 v[0:1], v8, off
	s_or_b32 exec_lo, exec_lo, s0
	s_and_b32 s0, s3, s4
	s_delay_alu instid0(SALU_CYCLE_1)
	s_and_saveexec_b32 s1, s0
	s_cbranch_execz .LBB269_348
.LBB269_361:
	v_cmp_ne_u32_e32 vcc_lo, 1, v48
	v_lshlrev_b64 v[0:1], 1, v[46:47]
	s_cbranch_vccnz .LBB269_363
; %bb.362:
	s_delay_alu instid0(VALU_DEP_1) | instskip(NEXT) | instid1(VALU_DEP_2)
	v_add_co_u32 v4, vcc_lo, v14, v0
	v_add_co_ci_u32_e32 v5, vcc_lo, v15, v1, vcc_lo
	flat_load_u16 v4, v[4:5]
	s_waitcnt vmcnt(0) lgkmcnt(0)
	v_mul_f16_e32 v4, s7, v4
	s_branch .LBB269_364
.LBB269_363:
	v_mov_b32_e32 v4, 0
.LBB269_364:
	v_pk_add_f16 v2, v2, v6
	v_pk_max_f16 v5, v50, v50
	v_pk_add_f16 v3, v3, v7
	v_add_co_u32 v0, vcc_lo, v12, v0
	v_add_co_ci_u32_e32 v1, vcc_lo, v13, v1, vcc_lo
	s_delay_alu instid0(VALU_DEP_4) | instskip(NEXT) | instid1(VALU_DEP_1)
	v_pk_min_f16 v2, v5, v2
	v_pk_min_f16 v2, v2, v3
	s_delay_alu instid0(VALU_DEP_1) | instskip(NEXT) | instid1(VALU_DEP_1)
	v_lshrrev_b32_e32 v3, 16, v2
	v_min3_f16 v2, v4, v2, v3
	global_store_b16 v[0:1], v2, off
	s_nop 0
	s_sendmsg sendmsg(MSG_DEALLOC_VGPRS)
	s_endpgm
	.section	.rodata,"a",@progbits
	.p2align	6, 0x0
	.amdhsa_kernel _ZN12_GLOBAL__N_120geam_min_plus_kernelIDF16_Dv2_DF16_S1_Li32ELi8ELi128ELi128ELi4ELi4ELi64ELi4ELi64ELc84ELc78ELb0ELb1ELb1EDF16_KDF16_DF16_EEviiiT16_PT17_ilS5_ilS3_S5_ilPT18_ili26rocblas_geam_ex_operation_
		.amdhsa_group_segment_fixed_size 4096
		.amdhsa_private_segment_fixed_size 0
		.amdhsa_kernarg_size 128
		.amdhsa_user_sgpr_count 14
		.amdhsa_user_sgpr_dispatch_ptr 0
		.amdhsa_user_sgpr_queue_ptr 0
		.amdhsa_user_sgpr_kernarg_segment_ptr 1
		.amdhsa_user_sgpr_dispatch_id 0
		.amdhsa_user_sgpr_private_segment_size 0
		.amdhsa_wavefront_size32 1
		.amdhsa_uses_dynamic_stack 0
		.amdhsa_enable_private_segment 0
		.amdhsa_system_sgpr_workgroup_id_x 1
		.amdhsa_system_sgpr_workgroup_id_y 0
		.amdhsa_system_sgpr_workgroup_id_z 1
		.amdhsa_system_sgpr_workgroup_info 0
		.amdhsa_system_vgpr_workitem_id 1
		.amdhsa_next_free_vgpr 156
		.amdhsa_next_free_sgpr 30
		.amdhsa_reserve_vcc 1
		.amdhsa_float_round_mode_32 0
		.amdhsa_float_round_mode_16_64 0
		.amdhsa_float_denorm_mode_32 3
		.amdhsa_float_denorm_mode_16_64 3
		.amdhsa_dx10_clamp 1
		.amdhsa_ieee_mode 1
		.amdhsa_fp16_overflow 0
		.amdhsa_workgroup_processor_mode 1
		.amdhsa_memory_ordered 1
		.amdhsa_forward_progress 0
		.amdhsa_shared_vgpr_count 0
		.amdhsa_exception_fp_ieee_invalid_op 0
		.amdhsa_exception_fp_denorm_src 0
		.amdhsa_exception_fp_ieee_div_zero 0
		.amdhsa_exception_fp_ieee_overflow 0
		.amdhsa_exception_fp_ieee_underflow 0
		.amdhsa_exception_fp_ieee_inexact 0
		.amdhsa_exception_int_div_zero 0
	.end_amdhsa_kernel
	.section	.text._ZN12_GLOBAL__N_120geam_min_plus_kernelIDF16_Dv2_DF16_S1_Li32ELi8ELi128ELi128ELi4ELi4ELi64ELi4ELi64ELc84ELc78ELb0ELb1ELb1EDF16_KDF16_DF16_EEviiiT16_PT17_ilS5_ilS3_S5_ilPT18_ili26rocblas_geam_ex_operation_,"axG",@progbits,_ZN12_GLOBAL__N_120geam_min_plus_kernelIDF16_Dv2_DF16_S1_Li32ELi8ELi128ELi128ELi4ELi4ELi64ELi4ELi64ELc84ELc78ELb0ELb1ELb1EDF16_KDF16_DF16_EEviiiT16_PT17_ilS5_ilS3_S5_ilPT18_ili26rocblas_geam_ex_operation_,comdat
.Lfunc_end269:
	.size	_ZN12_GLOBAL__N_120geam_min_plus_kernelIDF16_Dv2_DF16_S1_Li32ELi8ELi128ELi128ELi4ELi4ELi64ELi4ELi64ELc84ELc78ELb0ELb1ELb1EDF16_KDF16_DF16_EEviiiT16_PT17_ilS5_ilS3_S5_ilPT18_ili26rocblas_geam_ex_operation_, .Lfunc_end269-_ZN12_GLOBAL__N_120geam_min_plus_kernelIDF16_Dv2_DF16_S1_Li32ELi8ELi128ELi128ELi4ELi4ELi64ELi4ELi64ELc84ELc78ELb0ELb1ELb1EDF16_KDF16_DF16_EEviiiT16_PT17_ilS5_ilS3_S5_ilPT18_ili26rocblas_geam_ex_operation_
                                        ; -- End function
	.section	.AMDGPU.csdata,"",@progbits
; Kernel info:
; codeLenInByte = 23672
; NumSgprs: 32
; NumVgprs: 156
; ScratchSize: 0
; MemoryBound: 0
; FloatMode: 240
; IeeeMode: 1
; LDSByteSize: 4096 bytes/workgroup (compile time only)
; SGPRBlocks: 3
; VGPRBlocks: 19
; NumSGPRsForWavesPerEU: 32
; NumVGPRsForWavesPerEU: 156
; Occupancy: 9
; WaveLimiterHint : 0
; COMPUTE_PGM_RSRC2:SCRATCH_EN: 0
; COMPUTE_PGM_RSRC2:USER_SGPR: 14
; COMPUTE_PGM_RSRC2:TRAP_HANDLER: 0
; COMPUTE_PGM_RSRC2:TGID_X_EN: 1
; COMPUTE_PGM_RSRC2:TGID_Y_EN: 0
; COMPUTE_PGM_RSRC2:TGID_Z_EN: 1
; COMPUTE_PGM_RSRC2:TIDIG_COMP_CNT: 1
	.section	.text._ZN12_GLOBAL__N_120geam_min_plus_kernelIDF16_Dv2_DF16_S1_Li8ELi32ELi64ELi256ELi4ELi64ELi4ELi64ELi4ELc78ELc84ELb0ELb0ELb1EPKDF16_S2_DF16_EEviiiT16_PT17_ilS6_ilS4_S6_ilPT18_ili26rocblas_geam_ex_operation_,"axG",@progbits,_ZN12_GLOBAL__N_120geam_min_plus_kernelIDF16_Dv2_DF16_S1_Li8ELi32ELi64ELi256ELi4ELi64ELi4ELi64ELi4ELc78ELc84ELb0ELb0ELb1EPKDF16_S2_DF16_EEviiiT16_PT17_ilS6_ilS4_S6_ilPT18_ili26rocblas_geam_ex_operation_,comdat
	.globl	_ZN12_GLOBAL__N_120geam_min_plus_kernelIDF16_Dv2_DF16_S1_Li8ELi32ELi64ELi256ELi4ELi64ELi4ELi64ELi4ELc78ELc84ELb0ELb0ELb1EPKDF16_S2_DF16_EEviiiT16_PT17_ilS6_ilS4_S6_ilPT18_ili26rocblas_geam_ex_operation_ ; -- Begin function _ZN12_GLOBAL__N_120geam_min_plus_kernelIDF16_Dv2_DF16_S1_Li8ELi32ELi64ELi256ELi4ELi64ELi4ELi64ELi4ELc78ELc84ELb0ELb0ELb1EPKDF16_S2_DF16_EEviiiT16_PT17_ilS6_ilS4_S6_ilPT18_ili26rocblas_geam_ex_operation_
	.p2align	8
	.type	_ZN12_GLOBAL__N_120geam_min_plus_kernelIDF16_Dv2_DF16_S1_Li8ELi32ELi64ELi256ELi4ELi64ELi4ELi64ELi4ELc78ELc84ELb0ELb0ELb1EPKDF16_S2_DF16_EEviiiT16_PT17_ilS6_ilS4_S6_ilPT18_ili26rocblas_geam_ex_operation_,@function
_ZN12_GLOBAL__N_120geam_min_plus_kernelIDF16_Dv2_DF16_S1_Li8ELi32ELi64ELi256ELi4ELi64ELi4ELi64ELi4ELc78ELc84ELb0ELb0ELb1EPKDF16_S2_DF16_EEviiiT16_PT17_ilS6_ilS4_S6_ilPT18_ili26rocblas_geam_ex_operation_: ; @_ZN12_GLOBAL__N_120geam_min_plus_kernelIDF16_Dv2_DF16_S1_Li8ELi32ELi64ELi256ELi4ELi64ELi4ELi64ELi4ELc78ELc84ELb0ELb0ELb1EPKDF16_S2_DF16_EEviiiT16_PT17_ilS6_ilS4_S6_ilPT18_ili26rocblas_geam_ex_operation_
; %bb.0:
	s_clause 0x1
	s_load_b128 s[16:19], s[0:1], 0x10
	s_load_b128 s[8:11], s[0:1], 0x28
	s_mov_b32 s12, s15
	s_mov_b32 s13, 0
	v_mov_b32_e32 v1, 0
	s_lshl_b64 s[2:3], s[12:13], 1
	s_waitcnt lgkmcnt(0)
	s_add_u32 s4, s16, s2
	s_addc_u32 s5, s17, s3
	s_mov_b64 s[16:17], 0
	global_load_u16 v42, v1, s[4:5]
	s_clause 0x1
	s_load_b128 s[20:23], s[0:1], 0x40
	s_load_b64 s[24:25], s[0:1], 0x50
	s_waitcnt lgkmcnt(0)
	s_add_u32 s2, s22, s2
	s_addc_u32 s3, s23, s3
	s_mov_b64 s[22:23], 0
	s_waitcnt vmcnt(0)
	v_cmp_eq_f16_e64 s6, 0, v42
	v_cmp_neq_f16_e64 s4, 0, v42
	s_delay_alu instid0(VALU_DEP_2)
	s_and_b32 vcc_lo, exec_lo, s6
	s_cbranch_vccnz .LBB270_2
; %bb.1:
	s_mul_i32 s5, s12, s9
	s_mul_hi_u32 s7, s12, s8
	s_mul_i32 s8, s12, s8
	s_add_i32 s9, s7, s5
	s_delay_alu instid0(SALU_CYCLE_1) | instskip(NEXT) | instid1(SALU_CYCLE_1)
	s_lshl_b64 s[8:9], s[8:9], 1
	s_add_u32 s22, s18, s8
	s_addc_u32 s23, s19, s9
.LBB270_2:
	global_load_u16 v48, v1, s[2:3]
	v_cndmask_b32_e64 v1, 0, 1, s4
	s_and_not1_b32 vcc_lo, exec_lo, s4
	s_delay_alu instid0(VALU_DEP_1)
	v_cmp_ne_u32_e64 s3, 1, v1
	s_cbranch_vccnz .LBB270_4
; %bb.3:
	s_mul_i32 s2, s12, s21
	s_mul_hi_u32 s5, s12, s20
	s_mul_i32 s8, s12, s20
	s_add_i32 s9, s5, s2
	s_delay_alu instid0(SALU_CYCLE_1) | instskip(NEXT) | instid1(SALU_CYCLE_1)
	s_lshl_b64 s[8:9], s[8:9], 1
	s_add_u32 s16, s10, s8
	s_addc_u32 s17, s11, s9
.LBB270_4:
	s_load_b128 s[8:11], s[0:1], 0x60
	s_waitcnt vmcnt(0)
	v_cmp_eq_f16_e32 vcc_lo, 0, v48
	s_and_b32 s2, exec_lo, vcc_lo
	s_delay_alu instid0(SALU_CYCLE_1)
	s_mov_b32 vcc_lo, s2
	s_cbranch_vccnz .LBB270_6
; %bb.5:
	s_waitcnt lgkmcnt(0)
	s_mul_i32 s5, s12, s9
	s_mul_hi_u32 s7, s12, s8
	s_mul_i32 s8, s12, s8
	s_add_i32 s9, s7, s5
	s_delay_alu instid0(SALU_CYCLE_1) | instskip(NEXT) | instid1(SALU_CYCLE_1)
	s_lshl_b64 s[8:9], s[8:9], 1
	s_add_u32 s8, s24, s8
	s_addc_u32 s9, s25, s9
	s_branch .LBB270_7
.LBB270_6:
	s_waitcnt lgkmcnt(0)
	s_mov_b64 s[8:9], 0
.LBB270_7:
	s_clause 0x1
	s_load_b32 s5, s[0:1], 0x0
	s_load_b32 s18, s[0:1], 0x20
	v_and_b32_e32 v40, 0x3ff, v0
	v_bfe_u32 v41, v0, 10, 10
	v_cndmask_b32_e64 v0, 0, 1, s6
	s_waitcnt lgkmcnt(0)
	s_add_i32 s5, s5, -1
	s_ashr_i32 s19, s18, 31
	s_ashr_i32 s7, s5, 31
	s_delay_alu instid0(SALU_CYCLE_1) | instskip(NEXT) | instid1(SALU_CYCLE_1)
	s_lshr_b32 s7, s7, 26
	s_add_i32 s5, s5, s7
	s_delay_alu instid0(SALU_CYCLE_1) | instskip(NEXT) | instid1(SALU_CYCLE_1)
	s_ashr_i32 s5, s5, 6
	s_add_i32 s7, s5, 1
	s_not_b32 s5, s5
	v_cvt_f32_u32_e32 v1, s7
	s_delay_alu instid0(VALU_DEP_1) | instskip(SKIP_2) | instid1(VALU_DEP_1)
	v_rcp_iflag_f32_e32 v1, v1
	s_waitcnt_depctr 0xfff
	v_mul_f32_e32 v1, 0x4f7ffffe, v1
	v_cvt_u32_f32_e32 v1, v1
	s_delay_alu instid0(VALU_DEP_1) | instskip(SKIP_1) | instid1(VALU_DEP_2)
	v_readfirstlane_b32 s13, v1
	v_lshl_add_u32 v1, v41, 3, v40
	s_mul_i32 s5, s5, s13
	s_delay_alu instid0(VALU_DEP_1) | instskip(SKIP_3) | instid1(SALU_CYCLE_1)
	v_and_b32_e32 v7, 63, v1
	s_mul_hi_u32 s5, s13, s5
	v_lshrrev_b32_e32 v6, 6, v1
	s_add_i32 s13, s13, s5
	s_mul_hi_u32 s5, s14, s13
	s_delay_alu instid0(SALU_CYCLE_1) | instskip(SKIP_2) | instid1(SALU_CYCLE_1)
	s_mul_i32 s13, s5, s7
	s_add_i32 s15, s5, 1
	s_sub_i32 s13, s14, s13
	s_sub_i32 s20, s13, s7
	s_cmp_ge_u32 s13, s7
	s_cselect_b32 s5, s15, s5
	s_cselect_b32 s13, s20, s13
	s_add_i32 s15, s5, 1
	s_cmp_ge_u32 s13, s7
	s_mov_b32 s20, -1
	s_cselect_b32 s15, s15, s5
	v_cmp_ne_u32_e64 s5, 1, v0
	s_mul_i32 s7, s15, s7
	s_and_not1_b32 vcc_lo, exec_lo, s6
	s_sub_i32 s13, s14, s7
	s_delay_alu instid0(SALU_CYCLE_1)
	s_lshl_b32 s13, s13, 6
	s_cbranch_vccnz .LBB270_10
; %bb.8:
	v_mov_b32_e32 v1, 0
	s_mov_b32 s20, 0
	v_or_b32_e32 v2, s13, v7
	s_delay_alu instid0(VALU_DEP_1)
	v_ashrrev_i32_e32 v3, 31, v2
	s_cbranch_execz .LBB270_11
.LBB270_9:
	v_mov_b32_e32 v8, s20
	s_branch .LBB270_12
.LBB270_10:
                                        ; implicit-def: $vgpr0_vgpr1
	v_or_b32_e32 v2, s13, v7
	s_and_not1_b32 vcc_lo, exec_lo, s20
	s_delay_alu instid0(VALU_DEP_1)
	v_ashrrev_i32_e32 v3, 31, v2
	s_cbranch_vccnz .LBB270_9
.LBB270_11:
	v_mad_i64_i32 v[0:1], null, s18, v6, 0
	s_delay_alu instid0(VALU_DEP_2) | instskip(NEXT) | instid1(VALU_DEP_2)
	v_lshlrev_b64 v[4:5], 1, v[2:3]
	v_lshlrev_b64 v[0:1], 1, v[0:1]
	s_delay_alu instid0(VALU_DEP_1) | instskip(NEXT) | instid1(VALU_DEP_2)
	v_add_co_u32 v0, vcc_lo, s22, v0
	v_add_co_ci_u32_e32 v1, vcc_lo, s23, v1, vcc_lo
	s_delay_alu instid0(VALU_DEP_2) | instskip(NEXT) | instid1(VALU_DEP_2)
	v_add_co_u32 v0, vcc_lo, v0, v4
	v_add_co_ci_u32_e32 v1, vcc_lo, v1, v5, vcc_lo
	flat_load_u16 v0, v[0:1]
	v_mov_b32_e32 v1, 0
	s_waitcnt vmcnt(0) lgkmcnt(0)
	v_mul_f16_e32 v8, v42, v0
.LBB270_12:
	s_load_b32 s20, s[0:1], 0x38
	s_lshl_b32 s24, s15, 8
	s_waitcnt lgkmcnt(0)
	s_ashr_i32 s21, s20, 31
	v_mul_lo_u32 v4, v1, s20
	v_mad_u64_u32 v[0:1], null, v6, s20, 0
	v_mul_lo_u32 v5, v6, s21
	s_delay_alu instid0(VALU_DEP_1) | instskip(NEXT) | instid1(VALU_DEP_1)
	v_add3_u32 v1, v1, v5, v4
	v_lshlrev_b64 v[4:5], 1, v[0:1]
	v_or_b32_e32 v0, s24, v7
	s_delay_alu instid0(VALU_DEP_1) | instskip(NEXT) | instid1(VALU_DEP_3)
	v_ashrrev_i32_e32 v1, 31, v0
	v_add_co_u32 v4, vcc_lo, s16, v4
	s_delay_alu instid0(VALU_DEP_4)
	v_add_co_ci_u32_e32 v5, vcc_lo, s17, v5, vcc_lo
	s_and_b32 vcc_lo, exec_lo, s3
	s_cbranch_vccnz .LBB270_17
; %bb.13:
	v_lshlrev_b64 v[9:10], 1, v[0:1]
	s_delay_alu instid0(VALU_DEP_1) | instskip(NEXT) | instid1(VALU_DEP_2)
	v_add_co_u32 v9, vcc_lo, v4, v9
	v_add_co_ci_u32_e32 v10, vcc_lo, v5, v10, vcc_lo
	s_clause 0x1
	flat_load_u16 v11, v[9:10]
	flat_load_u16 v10, v[9:10] offset:128
	s_waitcnt vmcnt(1) lgkmcnt(1)
	v_mul_f16_e32 v9, v42, v11
	s_waitcnt vmcnt(0) lgkmcnt(0)
	v_mul_f16_e32 v10, v42, v10
	s_and_b32 vcc_lo, exec_lo, s3
	s_cbranch_vccnz .LBB270_18
.LBB270_14:
	v_lshlrev_b64 v[11:12], 1, v[0:1]
	s_delay_alu instid0(VALU_DEP_1) | instskip(NEXT) | instid1(VALU_DEP_2)
	v_add_co_u32 v4, vcc_lo, v4, v11
	v_add_co_ci_u32_e32 v5, vcc_lo, v5, v12, vcc_lo
	s_clause 0x1
	flat_load_u16 v11, v[4:5] offset:256
	flat_load_u16 v4, v[4:5] offset:384
	s_waitcnt vmcnt(1) lgkmcnt(1)
	v_mul_f16_e32 v11, v42, v11
	s_waitcnt vmcnt(0) lgkmcnt(0)
	v_mul_f16_e32 v12, v42, v4
	v_add_nc_u32_e32 v13, 4, v6
	s_and_b32 vcc_lo, exec_lo, s5
	s_cbranch_vccnz .LBB270_19
.LBB270_15:
	v_mov_b32_e32 v5, 0
	s_mov_b32 s5, 0
	s_cbranch_execz .LBB270_20
; %bb.16:
	v_mov_b32_e32 v2, s5
	s_branch .LBB270_21
.LBB270_17:
	v_dual_mov_b32 v9, 0 :: v_dual_mov_b32 v10, 0
	s_and_b32 vcc_lo, exec_lo, s3
	s_cbranch_vccz .LBB270_14
.LBB270_18:
	v_dual_mov_b32 v11, 0 :: v_dual_mov_b32 v12, 0
	v_add_nc_u32_e32 v13, 4, v6
	s_and_b32 vcc_lo, exec_lo, s5
	s_cbranch_vccz .LBB270_15
.LBB270_19:
	s_mov_b32 s5, -1
                                        ; implicit-def: $vgpr4_vgpr5
.LBB270_20:
	s_delay_alu instid0(VALU_DEP_1) | instskip(SKIP_1) | instid1(VALU_DEP_2)
	v_mad_i64_i32 v[4:5], null, s18, v13, 0
	v_lshlrev_b64 v[2:3], 1, v[2:3]
	v_lshlrev_b64 v[4:5], 1, v[4:5]
	s_delay_alu instid0(VALU_DEP_1) | instskip(NEXT) | instid1(VALU_DEP_2)
	v_add_co_u32 v4, vcc_lo, s22, v4
	v_add_co_ci_u32_e32 v5, vcc_lo, s23, v5, vcc_lo
	s_delay_alu instid0(VALU_DEP_2) | instskip(NEXT) | instid1(VALU_DEP_2)
	v_add_co_u32 v2, vcc_lo, v4, v2
	v_add_co_ci_u32_e32 v3, vcc_lo, v5, v3, vcc_lo
	v_mov_b32_e32 v5, 0
	flat_load_u16 v2, v[2:3]
	s_waitcnt vmcnt(0) lgkmcnt(0)
	v_mul_f16_e32 v2, v42, v2
.LBB270_21:
	v_mul_lo_u32 v5, v5, s20
	v_mul_lo_u32 v14, v13, s21
	v_mad_u64_u32 v[3:4], null, v13, s20, 0
	s_delay_alu instid0(VALU_DEP_1) | instskip(NEXT) | instid1(VALU_DEP_1)
	v_add3_u32 v4, v4, v14, v5
	v_lshlrev_b64 v[3:4], 1, v[3:4]
	s_delay_alu instid0(VALU_DEP_1) | instskip(NEXT) | instid1(VALU_DEP_2)
	v_add_co_u32 v5, vcc_lo, s16, v3
	v_add_co_ci_u32_e32 v13, vcc_lo, s17, v4, vcc_lo
	s_and_b32 vcc_lo, exec_lo, s3
	s_cbranch_vccnz .LBB270_24
; %bb.22:
	v_lshlrev_b64 v[3:4], 1, v[0:1]
	s_delay_alu instid0(VALU_DEP_1) | instskip(NEXT) | instid1(VALU_DEP_2)
	v_add_co_u32 v3, vcc_lo, v5, v3
	v_add_co_ci_u32_e32 v4, vcc_lo, v13, v4, vcc_lo
	s_clause 0x1
	flat_load_u16 v14, v[3:4]
	flat_load_u16 v4, v[3:4] offset:128
	s_waitcnt vmcnt(1) lgkmcnt(1)
	v_mul_f16_e32 v3, v42, v14
	s_waitcnt vmcnt(0) lgkmcnt(0)
	v_mul_f16_e32 v4, v42, v4
	s_and_b32 vcc_lo, exec_lo, s3
	s_cbranch_vccnz .LBB270_25
.LBB270_23:
	v_lshlrev_b64 v[0:1], 1, v[0:1]
	s_delay_alu instid0(VALU_DEP_1) | instskip(NEXT) | instid1(VALU_DEP_2)
	v_add_co_u32 v0, vcc_lo, v5, v0
	v_add_co_ci_u32_e32 v1, vcc_lo, v13, v1, vcc_lo
	s_clause 0x1
	flat_load_u16 v5, v[0:1] offset:256
	flat_load_u16 v1, v[0:1] offset:384
	s_waitcnt vmcnt(1) lgkmcnt(1)
	v_mul_f16_e32 v0, v42, v5
	s_waitcnt vmcnt(0) lgkmcnt(0)
	v_mul_f16_e32 v1, v42, v1
	s_branch .LBB270_26
.LBB270_24:
	v_dual_mov_b32 v3, 0 :: v_dual_mov_b32 v4, 0
	s_and_b32 vcc_lo, exec_lo, s3
	s_cbranch_vccz .LBB270_23
.LBB270_25:
	v_dual_mov_b32 v0, 0 :: v_dual_mov_b32 v1, 0
.LBB270_26:
	v_lshlrev_b32_e32 v5, 1, v6
	v_lshlrev_b32_e32 v43, 3, v40
	;; [unrolled: 1-line block ×3, first 2 shown]
	s_load_b32 s5, s[0:1], 0x8
	s_delay_alu instid0(VALU_DEP_3) | instskip(NEXT) | instid1(VALU_DEP_3)
	v_lshl_add_u32 v44, v7, 3, v5
	v_add_nc_u32_e32 v5, 0x1000, v43
	ds_store_b16 v44, v9
	ds_store_b16 v44, v10 offset:512
	ds_store_b16 v44, v11 offset:1024
	;; [unrolled: 1-line block ×4, first 2 shown]
	s_waitcnt lgkmcnt(0)
	s_barrier
	buffer_gl0_inv
	ds_load_2addr_b64 v[8:11], v5 offset1:8
	ds_load_2addr_b64 v[12:15], v81 offset1:32
	ds_load_2addr_b64 v[16:19], v5 offset0:16 offset1:24
	ds_load_2addr_b64 v[20:23], v5 offset0:32 offset1:40
	;; [unrolled: 1-line block ×5, first 2 shown]
	s_cmp_lt_i32 s5, 9
	s_waitcnt lgkmcnt(5)
	v_pk_add_f16 v5, v8, v12
	v_pk_add_f16 v71, v9, v13
	s_waitcnt lgkmcnt(3)
	v_pk_add_f16 v39, v20, v12
	v_pk_add_f16 v45, v22, v12
	;; [unrolled: 1-line block ×3, first 2 shown]
	v_pk_min_f16 v5, 0x7c00, v5 op_sel_hi:[0,1]
	v_pk_add_f16 v50, v10, v14
	v_pk_add_f16 v51, v16, v14
	;; [unrolled: 1-line block ×4, first 2 shown]
	v_pk_min_f16 v39, 0x7c00, v39 op_sel_hi:[0,1]
	v_pk_min_f16 v120, v5, v71
	v_pk_min_f16 v5, 0x7c00, v45 op_sel_hi:[0,1]
	s_waitcnt lgkmcnt(2)
	v_pk_add_f16 v47, v26, v12
	v_pk_add_f16 v55, v24, v14
	;; [unrolled: 1-line block ×6, first 2 shown]
	v_pk_min_f16 v37, 0x7c00, v37 op_sel_hi:[0,1]
	v_pk_min_f16 v116, v39, v75
	v_pk_min_f16 v39, 0x7c00, v50 op_sel_hi:[0,1]
	v_pk_min_f16 v111, v5, v76
	v_pk_min_f16 v5, 0x7c00, v51 op_sel_hi:[0,1]
	v_pk_add_f16 v36, v10, v12
	v_pk_add_f16 v53, v20, v14
	s_waitcnt lgkmcnt(1)
	v_pk_add_f16 v57, v8, v28
	v_pk_add_f16 v58, v10, v28
	;; [unrolled: 1-line block ×11, first 2 shown]
	v_pk_min_f16 v118, v37, v73
	v_pk_min_f16 v37, 0x7c00, v47 op_sel_hi:[0,1]
	v_pk_min_f16 v105, v39, v80
	v_pk_min_f16 v39, 0x7c00, v55 op_sel_hi:[0,1]
	;; [unrolled: 2-line block ×3, first 2 shown]
	v_pk_add_f16 v46, v24, v12
	v_pk_add_f16 v65, v10, v30
	v_pk_add_f16 v66, v16, v30
	v_pk_add_f16 v72, v11, v13
	v_pk_add_f16 v84, v21, v15
	v_pk_add_f16 v88, v9, v29
	v_pk_add_f16 v89, v11, v29
	v_pk_add_f16 v90, v17, v29
	v_pk_add_f16 v91, v19, v29
	v_pk_add_f16 v92, v21, v29
	v_pk_add_f16 v93, v23, v29
	v_pk_add_f16 v109, v25, v29
	v_pk_add_f16 v29, v27, v29
	v_pk_min_f16 v36, 0x7c00, v36 op_sel_hi:[0,1]
	v_pk_min_f16 v107, v37, v78
	v_pk_min_f16 v37, 0x7c00, v53 op_sel_hi:[0,1]
	v_pk_min_f16 v100, v39, v86
	;; [unrolled: 2-line block ×3, first 2 shown]
	v_pk_min_f16 v5, 0x7c00, v61 op_sel_hi:[0,1]
	v_pk_min_f16 v28, 0x7c00, v28 op_sel_hi:[0,1]
	v_pk_add_f16 v38, v18, v12
	v_pk_add_f16 v49, v8, v14
	;; [unrolled: 1-line block ×17, first 2 shown]
	ds_load_2addr_b64 v[12:15], v81 offset0:192 offset1:224
	v_pk_min_f16 v119, v36, v72
	v_pk_min_f16 v36, 0x7c00, v46 op_sel_hi:[0,1]
	v_pk_min_f16 v102, v37, v84
	v_pk_min_f16 v37, 0x7c00, v58 op_sel_hi:[0,1]
	v_pk_min_f16 v95, v39, v91
	v_pk_min_f16 v94, v5, v92
	;; [unrolled: 1-line block ×3, first 2 shown]
	v_pk_min_f16 v5, 0x7c00, v65 op_sel_hi:[0,1]
	v_pk_min_f16 v28, 0x7c00, v66 op_sel_hi:[0,1]
	v_pk_add_f16 v110, v9, v31
	v_pk_add_f16 v114, v19, v31
	;; [unrolled: 1-line block ×6, first 2 shown]
	s_waitcnt lgkmcnt(1)
	v_pk_add_f16 v123, v8, v32
	v_pk_add_f16 v124, v10, v32
	;; [unrolled: 1-line block ×4, first 2 shown]
	v_pk_min_f16 v38, 0x7c00, v38 op_sel_hi:[0,1]
	v_pk_min_f16 v108, v36, v77
	v_pk_min_f16 v36, 0x7c00, v52 op_sel_hi:[0,1]
	v_pk_min_f16 v97, v37, v89
	;; [unrolled: 2-line block ×3, first 2 shown]
	v_pk_min_f16 v87, v28, v113
	v_pk_min_f16 v5, 0x7c00, v70 op_sel_hi:[0,1]
	v_pk_min_f16 v28, 0x7c00, v30 op_sel_hi:[0,1]
	v_pk_add_f16 v125, v16, v32
	v_pk_add_f16 v128, v22, v32
	;; [unrolled: 1-line block ×10, first 2 shown]
	v_pk_min_f16 v117, v38, v74
	v_pk_min_f16 v38, 0x7c00, v49 op_sel_hi:[0,1]
	v_pk_min_f16 v103, v36, v83
	v_pk_min_f16 v86, v29, v114
	v_pk_min_f16 v29, 0x7c00, v123 op_sel_hi:[0,1]
	v_pk_min_f16 v30, 0x7c00, v124 op_sel_hi:[0,1]
	v_pk_min_f16 v83, v5, v122
	v_pk_min_f16 v82, v28, v31
	v_pk_min_f16 v5, 0x7c00, v126 op_sel_hi:[0,1]
	v_pk_min_f16 v28, 0x7c00, v127 op_sel_hi:[0,1]
	v_pk_add_f16 v132, v16, v34
	v_pk_add_f16 v133, v18, v34
	;; [unrolled: 1-line block ×11, first 2 shown]
	v_pk_min_f16 v106, v38, v79
	v_pk_min_f16 v36, 0x7c00, v57 op_sel_hi:[0,1]
	v_pk_min_f16 v80, v29, v137
	v_pk_min_f16 v79, v30, v138
	v_pk_min_f16 v29, 0x7c00, v128 op_sel_hi:[0,1]
	v_pk_min_f16 v30, 0x7c00, v129 op_sel_hi:[0,1]
	;; [unrolled: 1-line block ×3, first 2 shown]
	v_pk_min_f16 v77, v5, v140
	v_pk_min_f16 v76, v28, v141
	v_pk_min_f16 v5, 0x7c00, v130 op_sel_hi:[0,1]
	v_pk_min_f16 v28, 0x7c00, v131 op_sel_hi:[0,1]
	v_pk_add_f16 v34, v26, v34
	v_pk_add_f16 v146, v17, v35
	;; [unrolled: 1-line block ×6, first 2 shown]
	v_pk_min_f16 v98, v36, v88
	v_pk_min_f16 v36, 0x7c00, v62 op_sel_hi:[0,1]
	v_pk_min_f16 v37, 0x7c00, v63 op_sel_hi:[0,1]
	v_pk_min_f16 v75, v29, v142
	v_pk_min_f16 v74, v30, v143
	;; [unrolled: 1-line block ×3, first 2 shown]
	v_pk_min_f16 v29, 0x7c00, v132 op_sel_hi:[0,1]
	v_pk_min_f16 v30, 0x7c00, v133 op_sel_hi:[0,1]
	v_pk_min_f16 v31, 0x7c00, v134 op_sel_hi:[0,1]
	v_pk_min_f16 v32, 0x7c00, v135 op_sel_hi:[0,1]
	v_pk_min_f16 v33, 0x7c00, v136 op_sel_hi:[0,1]
	v_pk_min_f16 v72, v5, v144
	s_waitcnt lgkmcnt(0)
	v_pk_add_f16 v5, v16, v12
	v_pk_min_f16 v71, v28, v145
	v_pk_add_f16 v28, v18, v12
	v_pk_add_f16 v35, v27, v35
	;; [unrolled: 1-line block ×6, first 2 shown]
	v_pk_min_f16 v93, v36, v93
	v_pk_min_f16 v92, v37, v109
	v_pk_min_f16 v36, 0x7c00, v68 op_sel_hi:[0,1]
	v_pk_min_f16 v37, 0x7c00, v69 op_sel_hi:[0,1]
	;; [unrolled: 1-line block ×3, first 2 shown]
	v_pk_min_f16 v70, v29, v146
	v_pk_add_f16 v29, v20, v12
	v_pk_min_f16 v5, 0x7c00, v5 op_sel_hi:[0,1]
	v_pk_min_f16 v28, 0x7c00, v28 op_sel_hi:[0,1]
	v_pk_min_f16 v69, v30, v147
	v_pk_add_f16 v30, v22, v12
	v_pk_min_f16 v68, v31, v148
	v_pk_add_f16 v31, v24, v12
	;; [unrolled: 2-line block ×4, first 2 shown]
	v_pk_add_f16 v33, v19, v13
	v_pk_add_f16 v153, v9, v13
	;; [unrolled: 1-line block ×5, first 2 shown]
	v_pk_min_f16 v38, 0x7c00, v54 op_sel_hi:[0,1]
	v_pk_min_f16 v30, 0x7c00, v30 op_sel_hi:[0,1]
	v_pk_add_f16 v16, v16, v14
	v_pk_min_f16 v12, 0x7c00, v12 op_sel_hi:[0,1]
	v_pk_min_f16 v8, 0x7c00, v8 op_sel_hi:[0,1]
	v_pk_min_f16 v10, 0x7c00, v10 op_sel_hi:[0,1]
	v_pk_min_f16 v65, v34, v35
	v_pk_add_f16 v34, v21, v13
	v_pk_min_f16 v62, v5, v32
	v_pk_add_f16 v5, v23, v13
	;; [unrolled: 2-line block ×3, first 2 shown]
	v_pk_add_f16 v13, v27, v13
	v_pk_min_f16 v101, v38, v85
	v_pk_min_f16 v38, 0x7c00, v59 op_sel_hi:[0,1]
	v_pk_min_f16 v85, v36, v115
	v_pk_min_f16 v36, 0x7c00, v125 op_sel_hi:[0,1]
	v_pk_min_f16 v16, 0x7c00, v16 op_sel_hi:[0,1]
	v_pk_min_f16 v59, v30, v5
	v_pk_add_f16 v5, v18, v14
	v_pk_add_f16 v18, v20, v14
	v_pk_min_f16 v57, v12, v13
	v_pk_add_f16 v12, v17, v15
	v_pk_min_f16 v56, v8, v9
	;; [unrolled: 2-line block ×3, first 2 shown]
	v_pk_add_f16 v9, v24, v14
	v_pk_add_f16 v10, v26, v14
	v_pk_min_f16 v96, v38, v90
	v_pk_min_f16 v38, 0x7c00, v64 op_sel_hi:[0,1]
	v_pk_min_f16 v84, v37, v121
	v_pk_min_f16 v78, v36, v139
	v_pk_min_f16 v36, 0x7c00, v151 op_sel_hi:[0,1]
	v_pk_min_f16 v37, 0x7c00, v152 op_sel_hi:[0,1]
	;; [unrolled: 1-line block ×4, first 2 shown]
	v_pk_min_f16 v54, v16, v12
	v_pk_min_f16 v5, 0x7c00, v5 op_sel_hi:[0,1]
	v_pk_min_f16 v11, 0x7c00, v18 op_sel_hi:[0,1]
	;; [unrolled: 1-line block ×5, first 2 shown]
	v_pk_add_f16 v12, v19, v15
	v_pk_add_f16 v13, v21, v15
	;; [unrolled: 1-line block ×5, first 2 shown]
	v_pk_min_f16 v90, v38, v110
	v_pk_min_f16 v64, v36, v153
	;; [unrolled: 1-line block ×10, first 2 shown]
	ds_store_b16 v44, v3 offset:2048
	ds_store_b16 v44, v4 offset:2560
	;; [unrolled: 1-line block ×5, first 2 shown]
	s_waitcnt lgkmcnt(0)
	s_barrier
	buffer_gl0_inv
	s_cbranch_scc1 .LBB270_44
; %bb.27:
	v_add_nc_u32_e32 v8, 12, v6
	v_lshl_or_b32 v2, s14, 6, v7
	s_lshl_b32 s6, s7, 6
	v_add_nc_u32_e32 v10, 8, v6
	v_or_b32_e32 v45, 0x1000, v44
	v_mad_i64_i32 v[0:1], null, v8, s18, 0
	v_subrev_nc_u32_e32 v2, s6, v2
	v_mad_i64_i32 v[4:5], null, v8, s20, 0
	v_mad_i64_i32 v[8:9], null, v10, s18, 0
	s_delay_alu instid0(VALU_DEP_3) | instskip(SKIP_3) | instid1(VALU_DEP_4)
	v_ashrrev_i32_e32 v3, 31, v2
	v_lshlrev_b64 v[32:33], 1, v[0:1]
	v_add_nc_u32_e32 v0, s24, v7
	v_mad_i64_i32 v[6:7], null, v10, s20, 0
	v_lshlrev_b64 v[2:3], 1, v[2:3]
	v_lshlrev_b64 v[34:35], 1, v[4:5]
	s_delay_alu instid0(VALU_DEP_4)
	v_ashrrev_i32_e32 v1, 31, v0
	v_lshlrev_b64 v[38:39], 1, v[8:9]
	v_add_nc_u32_e32 v46, 0x1000, v43
	v_add_nc_u32_e32 v47, 0x1200, v44
	v_add_co_u32 v112, vcc_lo, s22, v2
	v_lshlrev_b64 v[0:1], 1, v[0:1]
	v_add_co_ci_u32_e32 v113, vcc_lo, s23, v3, vcc_lo
	v_lshlrev_b64 v[36:37], 1, v[6:7]
	v_or_b32_e32 v88, 0x800, v44
	v_lshl_add_u32 v109, v40, 3, 0x1200
	v_add_co_u32 v114, vcc_lo, s16, v0
	v_lshl_add_u32 v110, v41, 3, 0x800
	v_add_co_ci_u32_e32 v115, vcc_lo, s17, v1, vcc_lo
	s_add_i32 s5, s5, -8
	s_lshl_b64 s[6:7], s[18:19], 4
	s_lshl_b64 s[14:15], s[20:21], 4
	s_mov_b32 s16, 0
	s_and_b32 s4, exec_lo, s4
	s_branch .LBB270_30
.LBB270_28:                             ;   in Loop: Header=BB270_30 Depth=1
	v_add_co_u32 v0, vcc_lo, v114, v34
	v_add_co_ci_u32_e32 v1, vcc_lo, v115, v35, vcc_lo
	s_clause 0x1
	flat_load_u16 v11, v[0:1] offset:256
	flat_load_u16 v1, v[0:1] offset:384
	s_waitcnt vmcnt(1) lgkmcnt(1)
	v_mul_f16_e32 v0, v42, v11
	s_waitcnt vmcnt(0) lgkmcnt(0)
	v_mul_f16_e32 v1, v42, v1
.LBB270_29:                             ;   in Loop: Header=BB270_30 Depth=1
	ds_load_2addr_b64 v[124:127], v46 offset1:8
	ds_load_2addr_b64 v[89:92], v81 offset1:32
	ds_load_2addr_b64 v[128:131], v46 offset0:16 offset1:24
	ds_load_2addr_b64 v[132:135], v46 offset0:32 offset1:40
	;; [unrolled: 1-line block ×6, first 2 shown]
	v_pk_max_f16 v11, v85, v85
	v_pk_max_f16 v17, v83, v83
	;; [unrolled: 1-line block ×13, first 2 shown]
	s_waitcnt lgkmcnt(6)
	v_pk_add_f16 v84, v124, v89
	v_pk_add_f16 v85, v126, v89
	s_waitcnt lgkmcnt(5)
	v_pk_add_f16 v86, v128, v89
	v_pk_add_f16 v87, v130, v89
	;; [unrolled: 3-line block ×4, first 2 shown]
	v_pk_min_f16 v11, v11, v84
	v_pk_min_f16 v17, v17, v85
	;; [unrolled: 1-line block ×5, first 2 shown]
	v_pk_add_f16 v84, v124, v91
	v_pk_add_f16 v85, v126, v91
	;; [unrolled: 1-line block ×5, first 2 shown]
	v_pk_min_f16 v71, v71, v84
	v_pk_min_f16 v78, v78, v85
	;; [unrolled: 1-line block ×5, first 2 shown]
	v_pk_add_f16 v84, v134, v91
	v_pk_add_f16 v85, v136, v91
	v_pk_max_f16 v74, v74, v74
	v_pk_add_f16 v86, v138, v91
	v_pk_max_f16 v72, v72, v72
	s_waitcnt lgkmcnt(2)
	v_pk_add_f16 v87, v124, v140
	v_pk_max_f16 v70, v70, v70
	v_pk_add_f16 v89, v126, v140
	v_pk_max_f16 v68, v68, v68
	v_pk_min_f16 v66, v66, v84
	v_pk_min_f16 v74, v74, v85
	v_pk_min_f16 v72, v72, v86
	v_pk_min_f16 v70, v70, v87
	v_pk_min_f16 v68, v68, v89
	v_pk_add_f16 v84, v128, v140
	v_pk_max_f16 v61, v61, v61
	v_pk_add_f16 v85, v130, v140
	v_pk_max_f16 v69, v69, v69
	v_pk_add_f16 v86, v132, v140
	v_pk_max_f16 v67, v67, v67
	v_pk_add_f16 v87, v134, v140
	v_pk_max_f16 v65, v65, v65
	v_pk_add_f16 v89, v136, v140
	v_pk_max_f16 v63, v63, v63
	v_pk_min_f16 v61, v61, v84
	v_pk_min_f16 v69, v69, v85
	v_pk_min_f16 v67, v67, v86
	v_pk_min_f16 v65, v65, v87
	v_pk_min_f16 v63, v63, v89
	v_pk_add_f16 v84, v138, v140
	v_pk_max_f16 v56, v56, v56
	v_pk_add_f16 v85, v124, v142
	v_pk_max_f16 v64, v64, v64
	v_pk_add_f16 v86, v126, v142
	v_pk_max_f16 v62, v62, v62
	;; [unrolled: 15-line block ×3, first 2 shown]
	v_pk_add_f16 v87, v138, v142
	v_pk_max_f16 v55, v55, v55
	s_waitcnt lgkmcnt(1)
	v_pk_add_f16 v89, v124, v144
	v_pk_max_f16 v53, v53, v53
	v_pk_min_f16 v51, v51, v84
	v_pk_min_f16 v59, v59, v85
	v_pk_min_f16 v57, v57, v86
	v_pk_min_f16 v55, v55, v87
	v_pk_min_f16 v53, v53, v89
	v_pk_add_f16 v84, v126, v144
	v_pk_max_f16 v29, v29, v29
	v_pk_add_f16 v85, v128, v144
	v_pk_max_f16 v54, v54, v54
	v_pk_add_f16 v86, v130, v144
	v_pk_max_f16 v52, v52, v52
	v_pk_add_f16 v87, v132, v144
	v_pk_max_f16 v50, v50, v50
	v_pk_add_f16 v89, v134, v144
	v_pk_max_f16 v31, v31, v31
	v_pk_min_f16 v29, v29, v84
	v_pk_min_f16 v54, v54, v85
	v_pk_min_f16 v52, v52, v86
	v_pk_min_f16 v50, v50, v87
	v_pk_min_f16 v31, v31, v89
	v_pk_add_f16 v84, v136, v144
	v_pk_max_f16 v24, v24, v24
	v_pk_add_f16 v85, v138, v144
	v_pk_max_f16 v49, v49, v49
	v_pk_add_f16 v86, v124, v146
	v_pk_max_f16 v30, v30, v30
	v_pk_add_f16 v87, v126, v146
	v_pk_max_f16 v28, v28, v28
	;; [unrolled: 15-line block ×3, first 2 shown]
	v_pk_add_f16 v89, v138, v146
	v_pk_max_f16 v21, v21, v21
	v_pk_min_f16 v18, v18, v84
	v_pk_min_f16 v27, v27, v85
	;; [unrolled: 1-line block ×5, first 2 shown]
	s_waitcnt lgkmcnt(0)
	v_pk_add_f16 v84, v124, v148
	v_pk_max_f16 v12, v12, v12
	v_pk_add_f16 v85, v126, v148
	v_pk_max_f16 v22, v22, v22
	;; [unrolled: 2-line block ×5, first 2 shown]
	v_pk_min_f16 v12, v12, v84
	v_pk_min_f16 v22, v22, v85
	;; [unrolled: 1-line block ×5, first 2 shown]
	v_pk_add_f16 v84, v134, v148
	v_pk_max_f16 v6, v6, v6
	v_pk_add_f16 v85, v136, v148
	v_pk_max_f16 v15, v15, v15
	;; [unrolled: 2-line block ×5, first 2 shown]
	v_pk_min_f16 v6, v6, v84
	v_pk_min_f16 v15, v15, v85
	;; [unrolled: 1-line block ×5, first 2 shown]
	v_pk_add_f16 v84, v128, v150
	v_pk_max_f16 v4, v4, v4
	v_pk_add_f16 v85, v130, v150
	v_pk_max_f16 v9, v9, v9
	;; [unrolled: 2-line block ×5, first 2 shown]
	v_pk_max_f16 v82, v82, v82
	v_pk_min_f16 v4, v4, v84
	v_pk_min_f16 v9, v9, v85
	v_pk_min_f16 v7, v7, v86
	v_pk_min_f16 v5, v5, v87
	v_pk_min_f16 v3, v3, v89
	v_pk_add_f16 v84, v138, v150
	v_pk_max_f16 v2, v2, v2
	v_pk_add_f16 v85, v125, v90
	v_pk_add_f16 v86, v127, v90
	;; [unrolled: 1-line block ×4, first 2 shown]
	v_pk_min_f16 v80, v80, v93
	v_pk_min_f16 v83, v83, v94
	;; [unrolled: 1-line block ×8, first 2 shown]
	v_pk_add_f16 v11, v133, v90
	v_pk_add_f16 v17, v135, v90
	v_pk_add_f16 v19, v137, v90
	v_pk_add_f16 v79, v139, v90
	v_pk_add_f16 v84, v125, v92
	v_pk_min_f16 v116, v80, v11
	v_pk_min_f16 v111, v83, v17
	v_pk_min_f16 v108, v82, v19
	v_pk_min_f16 v107, v77, v79
	v_pk_min_f16 v106, v71, v84
	v_pk_add_f16 v11, v127, v92
	v_pk_add_f16 v17, v129, v92
	v_pk_add_f16 v19, v131, v92
	v_pk_add_f16 v71, v133, v92
	v_pk_add_f16 v77, v135, v92
	v_pk_min_f16 v105, v78, v11
	v_pk_min_f16 v104, v76, v17
	v_pk_min_f16 v103, v75, v19
	v_pk_min_f16 v102, v73, v71
	v_pk_min_f16 v101, v66, v77
	;; [unrolled: 10-line block ×11, first 2 shown]
	v_pk_add_f16 v4, v131, v151
	v_pk_add_f16 v6, v133, v151
	;; [unrolled: 1-line block ×5, first 2 shown]
	v_add_co_u32 v112, vcc_lo, v112, s6
	v_add_co_ci_u32_e32 v113, vcc_lo, s7, v113, vcc_lo
	v_add_co_u32 v114, vcc_lo, v114, s14
	v_pk_min_f16 v53, v9, v4
	v_pk_min_f16 v52, v7, v6
	;; [unrolled: 1-line block ×5, first 2 shown]
	v_add_co_ci_u32_e32 v115, vcc_lo, s15, v115, vcc_lo
	s_add_i32 s16, s16, 8
	ds_store_b16 v47, v121
	ds_store_b16 v88, v122
	ds_store_b16 v88, v123 offset:512
	ds_store_b16 v88, v0 offset:1024
	;; [unrolled: 1-line block ×3, first 2 shown]
	s_cmp_ge_i32 s16, s5
	s_waitcnt lgkmcnt(0)
	s_barrier
	buffer_gl0_inv
	s_cbranch_scc1 .LBB270_44
.LBB270_30:                             ; =>This Inner Loop Header: Depth=1
	s_and_b32 vcc_lo, exec_lo, s3
	s_cbranch_vccnz .LBB270_34
; %bb.31:                               ;   in Loop: Header=BB270_30 Depth=1
	v_add_co_u32 v0, vcc_lo, v112, v38
	v_add_co_ci_u32_e32 v1, vcc_lo, v113, v39, vcc_lo
	flat_load_u16 v0, v[0:1]
	s_waitcnt vmcnt(0) lgkmcnt(0)
	v_mul_f16_e32 v121, v42, v0
	s_and_b32 vcc_lo, exec_lo, s3
	s_cbranch_vccnz .LBB270_35
.LBB270_32:                             ;   in Loop: Header=BB270_30 Depth=1
	v_add_co_u32 v0, vcc_lo, v114, v36
	v_add_co_ci_u32_e32 v1, vcc_lo, v115, v37, vcc_lo
	s_clause 0x1
	flat_load_u16 v2, v[0:1]
	flat_load_u16 v0, v[0:1] offset:128
	s_waitcnt vmcnt(1) lgkmcnt(1)
	v_mul_f16_e32 v122, v42, v2
	s_waitcnt vmcnt(0) lgkmcnt(0)
	v_mul_f16_e32 v123, v42, v0
	s_and_b32 vcc_lo, exec_lo, s3
	s_cbranch_vccnz .LBB270_36
.LBB270_33:                             ;   in Loop: Header=BB270_30 Depth=1
	v_add_co_u32 v0, vcc_lo, v114, v36
	v_add_co_ci_u32_e32 v1, vcc_lo, v115, v37, vcc_lo
	s_clause 0x1
	flat_load_u16 v2, v[0:1] offset:256
	flat_load_u16 v0, v[0:1] offset:384
	s_waitcnt vmcnt(1) lgkmcnt(1)
	v_mul_f16_e32 v124, v42, v2
	s_waitcnt vmcnt(0) lgkmcnt(0)
	v_mul_f16_e32 v125, v42, v0
	s_branch .LBB270_37
.LBB270_34:                             ;   in Loop: Header=BB270_30 Depth=1
	v_mov_b32_e32 v121, 0
	s_and_b32 vcc_lo, exec_lo, s3
	s_cbranch_vccz .LBB270_32
.LBB270_35:                             ;   in Loop: Header=BB270_30 Depth=1
	v_dual_mov_b32 v122, 0 :: v_dual_mov_b32 v123, 0
	s_and_b32 vcc_lo, exec_lo, s3
	s_cbranch_vccz .LBB270_33
.LBB270_36:                             ;   in Loop: Header=BB270_30 Depth=1
	v_dual_mov_b32 v124, 0 :: v_dual_mov_b32 v125, 0
.LBB270_37:                             ;   in Loop: Header=BB270_30 Depth=1
	ds_load_2addr_b64 v[12:15], v109 offset1:8
	ds_load_2addr_b64 v[8:11], v109 offset0:16 offset1:24
	ds_load_2addr_b64 v[4:7], v109 offset0:32 offset1:40
	;; [unrolled: 1-line block ×3, first 2 shown]
	ds_load_2addr_b64 v[28:31], v110 offset1:32
	ds_load_2addr_b64 v[24:27], v110 offset0:64 offset1:96
	ds_load_2addr_b64 v[20:23], v110 offset0:128 offset1:160
	;; [unrolled: 1-line block ×3, first 2 shown]
	s_mov_b32 vcc_lo, s4
	ds_store_b16 v45, v121
	ds_store_b16 v44, v122
	ds_store_b16 v44, v123 offset:512
	ds_store_b16 v44, v124 offset:1024
	;; [unrolled: 1-line block ×3, first 2 shown]
	s_waitcnt lgkmcnt(0)
	s_barrier
	buffer_gl0_inv
	s_cbranch_vccz .LBB270_40
; %bb.38:                               ;   in Loop: Header=BB270_30 Depth=1
	v_add_co_u32 v121, vcc_lo, v112, v32
	v_add_co_ci_u32_e32 v122, vcc_lo, v113, v33, vcc_lo
	flat_load_u16 v121, v[121:122]
	s_waitcnt vmcnt(0) lgkmcnt(0)
	v_mul_f16_e32 v121, v42, v121
	s_and_b32 vcc_lo, exec_lo, s3
	s_cbranch_vccnz .LBB270_41
.LBB270_39:                             ;   in Loop: Header=BB270_30 Depth=1
	v_add_co_u32 v122, vcc_lo, v114, v34
	v_add_co_ci_u32_e32 v123, vcc_lo, v115, v35, vcc_lo
	s_clause 0x1
	flat_load_u16 v124, v[122:123]
	flat_load_u16 v123, v[122:123] offset:128
	s_waitcnt vmcnt(1) lgkmcnt(1)
	v_mul_f16_e32 v122, v42, v124
	s_waitcnt vmcnt(0) lgkmcnt(0)
	v_mul_f16_e32 v123, v42, v123
	s_branch .LBB270_42
.LBB270_40:                             ;   in Loop: Header=BB270_30 Depth=1
	v_mov_b32_e32 v121, 0
	s_and_b32 vcc_lo, exec_lo, s3
	s_cbranch_vccz .LBB270_39
.LBB270_41:                             ;   in Loop: Header=BB270_30 Depth=1
	v_dual_mov_b32 v122, 0 :: v_dual_mov_b32 v123, 0
.LBB270_42:                             ;   in Loop: Header=BB270_30 Depth=1
	v_pk_add_f16 v124, v12, v28
	v_pk_max_f16 v120, v120, v120
	v_pk_add_f16 v125, v14, v28
	v_pk_max_f16 v119, v119, v119
	;; [unrolled: 2-line block ×3, first 2 shown]
	v_pk_min_f16 v120, v120, v124
	v_pk_add_f16 v124, v10, v28
	v_pk_min_f16 v119, v119, v125
	v_pk_max_f16 v117, v117, v117
	v_pk_min_f16 v118, v118, v126
	v_pk_add_f16 v125, v4, v28
	v_pk_max_f16 v116, v116, v116
	v_pk_add_f16 v126, v6, v28
	v_pk_add_f16 v127, v0, v28
	;; [unrolled: 1-line block ×3, first 2 shown]
	v_pk_max_f16 v107, v107, v107
	v_pk_max_f16 v111, v111, v111
	;; [unrolled: 1-line block ×3, first 2 shown]
	v_pk_min_f16 v117, v117, v124
	v_pk_min_f16 v116, v116, v125
	;; [unrolled: 1-line block ×3, first 2 shown]
	v_pk_add_f16 v107, v12, v30
	v_pk_max_f16 v106, v106, v106
	v_pk_add_f16 v124, v14, v30
	v_pk_max_f16 v105, v105, v105
	v_pk_add_f16 v125, v8, v30
	v_pk_max_f16 v104, v104, v104
	v_pk_min_f16 v111, v111, v126
	v_pk_min_f16 v108, v108, v127
	v_pk_add_f16 v126, v10, v30
	v_pk_max_f16 v103, v103, v103
	v_pk_add_f16 v127, v4, v30
	v_pk_min_f16 v106, v106, v107
	v_pk_min_f16 v105, v105, v124
	;; [unrolled: 1-line block ×3, first 2 shown]
	v_pk_add_f16 v107, v6, v30
	v_pk_max_f16 v101, v101, v101
	v_pk_add_f16 v124, v0, v30
	v_pk_add_f16 v30, v2, v30
	v_pk_max_f16 v99, v99, v99
	v_pk_add_f16 v125, v12, v24
	v_pk_max_f16 v98, v98, v98
	v_pk_min_f16 v103, v103, v126
	v_pk_max_f16 v100, v100, v100
	v_pk_add_f16 v126, v14, v24
	v_pk_max_f16 v97, v97, v97
	v_pk_min_f16 v101, v101, v107
	v_pk_min_f16 v30, v99, v30
	;; [unrolled: 1-line block ×3, first 2 shown]
	v_pk_add_f16 v99, v8, v24
	v_pk_max_f16 v96, v96, v96
	v_pk_add_f16 v107, v10, v24
	v_pk_max_f16 v95, v95, v95
	;; [unrolled: 2-line block ×3, first 2 shown]
	v_pk_min_f16 v100, v100, v124
	v_pk_min_f16 v97, v97, v126
	v_pk_add_f16 v124, v4, v24
	v_pk_max_f16 v94, v94, v94
	v_pk_add_f16 v126, v0, v24
	v_pk_min_f16 v96, v96, v99
	v_pk_min_f16 v95, v95, v107
	;; [unrolled: 1-line block ×3, first 2 shown]
	v_pk_add_f16 v24, v2, v24
	v_pk_max_f16 v91, v91, v91
	v_pk_add_f16 v99, v12, v26
	v_pk_max_f16 v90, v90, v90
	;; [unrolled: 2-line block ×4, first 2 shown]
	v_pk_min_f16 v94, v94, v124
	v_pk_add_f16 v124, v8, v26
	v_pk_min_f16 v24, v91, v24
	v_pk_min_f16 v90, v90, v99
	;; [unrolled: 1-line block ×4, first 2 shown]
	v_pk_add_f16 v86, v4, v26
	v_pk_add_f16 v99, v6, v26
	;; [unrolled: 1-line block ×3, first 2 shown]
	v_pk_max_f16 v83, v83, v83
	v_pk_add_f16 v26, v2, v26
	v_pk_max_f16 v82, v82, v82
	v_pk_max_f16 v102, v102, v102
	;; [unrolled: 1-line block ×5, first 2 shown]
	v_pk_min_f16 v107, v83, v107
	v_pk_min_f16 v26, v82, v26
	v_pk_add_f16 v82, v8, v20
	v_pk_max_f16 v78, v78, v78
	v_pk_add_f16 v83, v10, v20
	v_pk_max_f16 v77, v77, v77
	v_pk_min_f16 v102, v102, v127
	v_pk_min_f16 v87, v87, v124
	v_pk_add_f16 v124, v12, v20
	v_pk_max_f16 v80, v80, v80
	v_pk_min_f16 v125, v85, v86
	v_pk_min_f16 v99, v84, v99
	v_pk_add_f16 v84, v4, v20
	v_pk_max_f16 v76, v76, v76
	v_pk_add_f16 v85, v6, v20
	v_pk_max_f16 v75, v75, v75
	v_pk_min_f16 v127, v78, v82
	v_pk_min_f16 v128, v77, v83
	v_pk_add_f16 v77, v14, v22
	v_pk_max_f16 v71, v71, v71
	v_pk_add_f16 v78, v8, v22
	v_pk_max_f16 v70, v70, v70
	v_pk_min_f16 v124, v80, v124
	v_pk_add_f16 v80, v14, v20
	v_pk_min_f16 v129, v76, v84
	v_pk_min_f16 v130, v75, v85
	v_pk_add_f16 v75, v0, v20
	v_pk_add_f16 v20, v2, v20
	v_pk_max_f16 v73, v73, v73
	v_pk_add_f16 v76, v12, v22
	v_pk_max_f16 v72, v72, v72
	v_pk_min_f16 v133, v71, v77
	v_pk_min_f16 v134, v70, v78
	v_pk_add_f16 v70, v10, v22
	v_pk_max_f16 v69, v69, v69
	v_pk_add_f16 v71, v4, v22
	v_pk_max_f16 v68, v68, v68
	v_pk_min_f16 v20, v73, v20
	v_pk_min_f16 v132, v72, v76
	v_pk_add_f16 v72, v6, v22
	v_pk_max_f16 v67, v67, v67
	v_pk_add_f16 v73, v0, v22
	v_pk_max_f16 v66, v66, v66
	;; [unrolled: 2-line block ×3, first 2 shown]
	v_pk_min_f16 v135, v69, v70
	v_pk_min_f16 v136, v68, v71
	v_pk_add_f16 v68, v10, v16
	v_pk_max_f16 v61, v61, v61
	v_pk_add_f16 v69, v4, v16
	v_pk_max_f16 v60, v60, v60
	v_pk_min_f16 v137, v67, v72
	v_pk_min_f16 v138, v66, v73
	;; [unrolled: 1-line block ×3, first 2 shown]
	v_pk_add_f16 v65, v12, v16
	v_pk_add_f16 v66, v14, v16
	;; [unrolled: 1-line block ×3, first 2 shown]
	v_pk_min_f16 v142, v61, v68
	v_pk_min_f16 v143, v60, v69
	v_pk_add_f16 v60, v6, v16
	v_pk_add_f16 v61, v0, v16
	;; [unrolled: 1-line block ×3, first 2 shown]
	v_pk_max_f16 v57, v57, v57
	v_pk_add_f16 v12, v12, v18
	v_pk_max_f16 v56, v56, v56
	v_pk_add_f16 v14, v14, v18
	v_pk_max_f16 v55, v55, v55
	v_pk_min_f16 v146, v57, v16
	v_pk_add_f16 v8, v8, v18
	v_pk_min_f16 v147, v56, v12
	v_pk_max_f16 v12, v54, v54
	v_pk_add_f16 v4, v4, v18
	v_pk_max_f16 v16, v52, v52
	v_pk_min_f16 v148, v55, v14
	v_pk_add_f16 v10, v10, v18
	v_pk_max_f16 v14, v53, v53
	v_pk_add_f16 v6, v6, v18
	v_pk_max_f16 v51, v51, v51
	v_pk_min_f16 v149, v12, v8
	v_pk_min_f16 v151, v16, v4
	v_pk_add_f16 v2, v2, v18
	v_pk_max_f16 v4, v49, v49
	v_pk_add_f16 v8, v15, v29
	v_pk_max_f16 v92, v92, v92
	v_pk_max_f16 v79, v79, v79
	v_pk_min_f16 v150, v14, v10
	v_pk_min_f16 v152, v51, v6
	v_pk_add_f16 v6, v13, v29
	v_pk_add_f16 v10, v9, v29
	v_pk_min_f16 v2, v4, v2
	v_pk_min_f16 v83, v119, v8
	v_pk_add_f16 v4, v5, v29
	v_pk_add_f16 v8, v1, v29
	v_pk_min_f16 v92, v92, v126
	v_pk_min_f16 v126, v79, v80
	v_pk_max_f16 v74, v74, v74
	v_pk_add_f16 v12, v11, v29
	v_pk_min_f16 v85, v120, v6
	v_pk_min_f16 v80, v118, v10
	v_pk_add_f16 v6, v7, v29
	v_pk_add_f16 v10, v3, v29
	v_pk_min_f16 v86, v116, v4
	v_pk_min_f16 v82, v108, v8
	v_pk_add_f16 v4, v15, v31
	;; [unrolled: 4-line block ×3, first 2 shown]
	v_pk_min_f16 v84, v111, v6
	v_pk_min_f16 v77, v28, v10
	v_pk_add_f16 v6, v9, v31
	v_pk_add_f16 v10, v5, v31
	v_pk_min_f16 v78, v105, v4
	v_pk_min_f16 v75, v103, v8
	v_pk_add_f16 v4, v1, v31
	v_pk_add_f16 v8, v13, v25
	v_pk_max_f16 v64, v64, v64
	v_pk_max_f16 v63, v63, v63
	v_pk_min_f16 v71, v106, v12
	v_pk_add_f16 v12, v7, v31
	v_pk_min_f16 v76, v104, v6
	v_pk_min_f16 v73, v102, v10
	v_pk_add_f16 v6, v3, v31
	v_pk_add_f16 v10, v15, v25
	v_pk_min_f16 v74, v100, v4
	v_pk_min_f16 v70, v98, v8
	v_pk_add_f16 v4, v11, v25
	v_pk_add_f16 v8, v7, v25
	v_pk_max_f16 v62, v62, v62
	v_pk_min_f16 v139, v64, v65
	v_pk_min_f16 v140, v63, v66
	v_pk_max_f16 v59, v59, v59
	v_pk_max_f16 v58, v58, v58
	v_pk_min_f16 v66, v101, v12
	v_pk_add_f16 v12, v9, v25
	v_pk_min_f16 v72, v30, v6
	v_pk_min_f16 v68, v97, v10
	v_pk_add_f16 v6, v5, v25
	v_pk_add_f16 v10, v1, v25
	v_pk_min_f16 v69, v95, v4
	v_pk_min_f16 v65, v93, v8
	v_pk_add_f16 v4, v13, v27
	v_pk_add_f16 v8, v9, v27
	v_pk_min_f16 v141, v62, v67
	v_pk_min_f16 v144, v59, v60
	;; [unrolled: 1-line block ×4, first 2 shown]
	v_pk_add_f16 v12, v3, v25
	v_pk_min_f16 v67, v94, v6
	v_pk_min_f16 v63, v92, v10
	v_pk_add_f16 v6, v15, v27
	v_pk_add_f16 v10, v11, v27
	v_pk_min_f16 v64, v90, v4
	v_pk_min_f16 v60, v87, v8
	v_pk_add_f16 v4, v7, v27
	v_pk_add_f16 v8, v3, v27
	;; [unrolled: 1-line block ×3, first 2 shown]
	v_pk_max_f16 v50, v50, v50
	v_pk_min_f16 v56, v24, v12
	v_pk_add_f16 v12, v5, v27
	v_pk_min_f16 v62, v89, v6
	v_pk_min_f16 v58, v91, v10
	v_pk_add_f16 v6, v1, v27
	v_pk_add_f16 v10, v13, v21
	v_pk_min_f16 v59, v99, v4
	v_pk_min_f16 v55, v26, v8
	v_pk_add_f16 v4, v9, v21
	;; [unrolled: 4-line block ×3, first 2 shown]
	v_pk_min_f16 v57, v107, v6
	v_pk_min_f16 v53, v124, v10
	v_pk_add_f16 v6, v11, v21
	v_pk_add_f16 v10, v7, v21
	v_pk_min_f16 v54, v127, v4
	v_pk_min_f16 v50, v129, v8
	v_pk_add_f16 v4, v3, v21
	v_pk_add_f16 v8, v15, v23
	v_pk_min_f16 v29, v126, v12
	v_pk_add_f16 v12, v1, v21
	v_pk_min_f16 v52, v128, v6
	v_pk_min_f16 v31, v130, v10
	v_pk_add_f16 v6, v13, v23
	v_pk_add_f16 v10, v9, v23
	v_pk_min_f16 v49, v20, v4
	v_pk_min_f16 v28, v133, v8
	v_pk_add_f16 v4, v5, v23
	v_pk_add_f16 v8, v1, v23
	v_pk_min_f16 v24, v131, v12
	v_pk_add_f16 v12, v11, v23
	;; [unrolled: 10-line block ×3, first 2 shown]
	v_pk_min_f16 v25, v137, v6
	v_pk_min_f16 v21, v22, v10
	v_pk_add_f16 v6, v9, v17
	v_pk_add_f16 v10, v5, v17
	;; [unrolled: 1-line block ×3, first 2 shown]
	v_pk_min_f16 v22, v140, v4
	v_pk_min_f16 v16, v142, v8
	v_pk_add_f16 v4, v1, v17
	v_pk_add_f16 v8, v3, v17
	;; [unrolled: 1-line block ×4, first 2 shown]
	v_pk_min_f16 v14, v143, v10
	v_pk_add_f16 v10, v13, v19
	v_pk_min_f16 v15, v145, v4
	v_pk_min_f16 v13, v146, v8
	;; [unrolled: 1-line block ×4, first 2 shown]
	v_pk_add_f16 v9, v11, v19
	v_pk_add_f16 v5, v5, v19
	;; [unrolled: 1-line block ×5, first 2 shown]
	v_pk_min_f16 v12, v139, v12
	v_pk_min_f16 v20, v141, v6
	;; [unrolled: 1-line block ×9, first 2 shown]
	s_and_b32 vcc_lo, exec_lo, s3
	s_cbranch_vccz .LBB270_28
; %bb.43:                               ;   in Loop: Header=BB270_30 Depth=1
	v_dual_mov_b32 v0, 0 :: v_dual_mov_b32 v1, 0
	s_branch .LBB270_29
.LBB270_44:
	s_load_b32 s5, s[0:1], 0x58
	v_add_nc_u32_e32 v88, s24, v41
	ds_load_b64 v[28:29], v43 offset:4608
	ds_load_b64 v[46:47], v81 offset:2048
	v_add_nc_u32_e32 v44, s13, v40
	v_cmp_neq_f16_e64 s3, 0, v48
	v_mov_b32_e32 v34, 0
	v_mov_b32_e32 v32, 0
	s_delay_alu instid0(VALU_DEP_4) | instskip(NEXT) | instid1(VALU_DEP_4)
	v_ashrrev_i32_e32 v45, 31, v44
	s_and_b32 vcc_lo, exec_lo, s3
	s_delay_alu instid0(VALU_DEP_1) | instskip(SKIP_2) | instid1(VALU_DEP_1)
	v_lshlrev_b64 v[30:31], 1, v[44:45]
	s_waitcnt lgkmcnt(0)
	v_mad_i64_i32 v[0:1], null, v88, s5, 0
	v_lshlrev_b64 v[0:1], 1, v[0:1]
	s_delay_alu instid0(VALU_DEP_1) | instskip(NEXT) | instid1(VALU_DEP_1)
	v_add_co_u32 v109, s4, s8, v0
	v_add_co_ci_u32_e64 v110, s4, s9, v1, s4
	s_cbranch_vccz .LBB270_46
; %bb.45:
	s_delay_alu instid0(VALU_DEP_2) | instskip(NEXT) | instid1(VALU_DEP_2)
	v_add_co_u32 v0, vcc_lo, v109, v30
	v_add_co_ci_u32_e32 v1, vcc_lo, v110, v31, vcc_lo
	flat_load_u16 v0, v[0:1]
	s_waitcnt vmcnt(0) lgkmcnt(0)
	v_mul_f16_e32 v32, v48, v0
.LBB270_46:
	s_clause 0x1
	s_load_b32 s4, s[0:1], 0x70
	s_load_b64 s[6:7], s[0:1], 0x78
	v_add_nc_u32_e32 v0, 0x1000, v43
	v_add_nc_u32_e32 v12, 0x800, v81
	v_pk_add_f16 v33, v28, v46
	v_pk_max_f16 v36, v120, v120
	ds_load_b64 v[24:25], v43 offset:5056
	ds_load_b64 v[26:27], v81 offset:3840
	ds_load_2addr_b64 v[8:11], v0 offset0:72 offset1:80
	ds_load_2addr_b64 v[4:7], v0 offset0:88 offset1:96
	;; [unrolled: 1-line block ×6, first 2 shown]
	v_pk_add_f16 v39, v29, v47
	v_pk_min_f16 v33, v36, v33
	v_add_nc_u32_e32 v35, 8, v44
	v_cndmask_b32_e64 v40, 0, 1, s3
	s_delay_alu instid0(VALU_DEP_3) | instskip(NEXT) | instid1(VALU_DEP_3)
	v_pk_min_f16 v33, v33, v39
	v_ashrrev_i32_e32 v36, 31, v35
	s_delay_alu instid0(VALU_DEP_3) | instskip(NEXT) | instid1(VALU_DEP_3)
	v_cmp_ne_u32_e64 s0, 1, v40
	v_lshrrev_b32_e32 v39, 16, v33
	s_waitcnt lgkmcnt(0)
	v_mad_i64_i32 v[37:38], null, v88, s4, 0
	s_mul_i32 s1, s12, s7
	s_mul_hi_u32 s7, s12, s6
	s_mul_i32 s6, s12, s6
	s_add_i32 s7, s7, s1
	v_min3_f16 v39, v32, v33, v39
	s_lshl_b64 s[6:7], s[6:7], 1
	s_delay_alu instid0(VALU_DEP_2) | instskip(SKIP_3) | instid1(VALU_DEP_2)
	v_lshlrev_b64 v[37:38], 1, v[37:38]
	s_add_u32 s1, s10, s6
	s_addc_u32 s6, s11, s7
	v_lshlrev_b64 v[32:33], 1, v[35:36]
	v_add_co_u32 v81, vcc_lo, s1, v37
	s_delay_alu instid0(VALU_DEP_3) | instskip(NEXT) | instid1(VALU_DEP_2)
	v_add_co_ci_u32_e32 v112, vcc_lo, s6, v38, vcc_lo
	v_add_co_u32 v37, vcc_lo, v81, v30
	s_delay_alu instid0(VALU_DEP_2)
	v_add_co_ci_u32_e32 v38, vcc_lo, v112, v31, vcc_lo
	s_and_not1_b32 vcc_lo, exec_lo, s3
	global_store_b16 v[37:38], v39, off
	s_cbranch_vccnz .LBB270_48
; %bb.47:
	v_add_co_u32 v34, vcc_lo, v109, v32
	v_add_co_ci_u32_e32 v35, vcc_lo, v110, v33, vcc_lo
	flat_load_u16 v34, v[34:35]
	s_waitcnt vmcnt(0) lgkmcnt(0)
	v_mul_f16_e32 v34, v48, v34
.LBB270_48:
	v_pk_add_f16 v35, v8, v46
	v_pk_max_f16 v36, v119, v119
	v_pk_add_f16 v37, v9, v47
	v_add_co_u32 v38, vcc_lo, v81, v32
	v_add_co_ci_u32_e32 v39, vcc_lo, v112, v33, vcc_lo
	s_delay_alu instid0(VALU_DEP_4) | instskip(SKIP_2) | instid1(VALU_DEP_2)
	v_pk_min_f16 v36, v36, v35
	v_add_nc_u32_e32 v35, 16, v44
	s_and_b32 vcc_lo, exec_lo, s0
	v_pk_min_f16 v40, v36, v37
	s_delay_alu instid0(VALU_DEP_2) | instskip(SKIP_1) | instid1(VALU_DEP_3)
	v_ashrrev_i32_e32 v36, 31, v35
	v_mov_b32_e32 v37, 0
	v_lshrrev_b32_e32 v41, 16, v40
	s_delay_alu instid0(VALU_DEP_1) | instskip(NEXT) | instid1(VALU_DEP_4)
	v_min3_f16 v40, v34, v40, v41
	v_lshlrev_b64 v[34:35], 1, v[35:36]
	v_mov_b32_e32 v36, 0
	global_store_b16 v[38:39], v40, off
	s_cbranch_vccnz .LBB270_50
; %bb.49:
	v_add_co_u32 v38, vcc_lo, v109, v34
	v_add_co_ci_u32_e32 v39, vcc_lo, v110, v35, vcc_lo
	flat_load_u16 v36, v[38:39]
	s_waitcnt vmcnt(0) lgkmcnt(0)
	v_mul_f16_e32 v36, v48, v36
.LBB270_50:
	v_pk_add_f16 v38, v10, v46
	v_pk_max_f16 v39, v118, v118
	v_pk_add_f16 v40, v11, v47
	v_add_co_u32 v42, vcc_lo, v81, v34
	v_add_co_ci_u32_e32 v43, vcc_lo, v112, v35, vcc_lo
	s_delay_alu instid0(VALU_DEP_4) | instskip(SKIP_2) | instid1(VALU_DEP_2)
	v_pk_min_f16 v39, v39, v38
	v_add_nc_u32_e32 v38, 24, v44
	s_and_b32 vcc_lo, exec_lo, s0
	v_pk_min_f16 v40, v39, v40
	s_delay_alu instid0(VALU_DEP_2) | instskip(NEXT) | instid1(VALU_DEP_2)
	v_ashrrev_i32_e32 v39, 31, v38
	v_lshrrev_b32_e32 v41, 16, v40
	s_delay_alu instid0(VALU_DEP_1) | instskip(NEXT) | instid1(VALU_DEP_3)
	v_min3_f16 v36, v36, v40, v41
	v_lshlrev_b64 v[40:41], 1, v[38:39]
	global_store_b16 v[42:43], v36, off
	s_cbranch_vccnz .LBB270_52
; %bb.51:
	v_add_co_u32 v36, vcc_lo, v109, v40
	v_add_co_ci_u32_e32 v37, vcc_lo, v110, v41, vcc_lo
	flat_load_u16 v36, v[36:37]
	s_waitcnt vmcnt(0) lgkmcnt(0)
	v_mul_f16_e32 v37, v48, v36
.LBB270_52:
	v_pk_add_f16 v36, v4, v46
	v_pk_max_f16 v38, v117, v117
	v_pk_add_f16 v39, v5, v47
	v_add_co_u32 v113, vcc_lo, v81, v40
	v_add_co_ci_u32_e32 v114, vcc_lo, v112, v41, vcc_lo
	s_delay_alu instid0(VALU_DEP_4) | instskip(SKIP_2) | instid1(VALU_DEP_2)
	v_pk_min_f16 v36, v38, v36
	v_add_nc_u32_e32 v38, 32, v44
	s_and_b32 vcc_lo, exec_lo, s0
	v_pk_min_f16 v42, v36, v39
	v_mov_b32_e32 v36, 0
	s_delay_alu instid0(VALU_DEP_2) | instskip(NEXT) | instid1(VALU_DEP_1)
	v_lshrrev_b32_e32 v43, 16, v42
	v_min3_f16 v45, v37, v42, v43
	v_mov_b32_e32 v37, 0
	v_ashrrev_i32_e32 v39, 31, v38
	global_store_b16 v[113:114], v45, off
	v_lshlrev_b64 v[42:43], 1, v[38:39]
	s_cbranch_vccnz .LBB270_54
; %bb.53:
	s_delay_alu instid0(VALU_DEP_1) | instskip(NEXT) | instid1(VALU_DEP_2)
	v_add_co_u32 v37, vcc_lo, v109, v42
	v_add_co_ci_u32_e32 v38, vcc_lo, v110, v43, vcc_lo
	flat_load_u16 v37, v[37:38]
	s_waitcnt vmcnt(0) lgkmcnt(0)
	v_mul_f16_e32 v37, v48, v37
.LBB270_54:
	v_pk_add_f16 v38, v6, v46
	v_pk_max_f16 v39, v116, v116
	v_pk_add_f16 v45, v7, v47
	s_delay_alu instid0(VALU_DEP_4) | instskip(SKIP_1) | instid1(VALU_DEP_4)
	v_add_co_u32 v113, vcc_lo, v81, v42
	v_add_co_ci_u32_e32 v114, vcc_lo, v112, v43, vcc_lo
	v_pk_min_f16 v39, v39, v38
	v_add_nc_u32_e32 v38, 40, v44
	s_and_b32 vcc_lo, exec_lo, s0
	s_delay_alu instid0(VALU_DEP_2) | instskip(NEXT) | instid1(VALU_DEP_2)
	v_pk_min_f16 v45, v39, v45
	v_ashrrev_i32_e32 v39, 31, v38
	s_delay_alu instid0(VALU_DEP_2) | instskip(NEXT) | instid1(VALU_DEP_2)
	v_lshrrev_b32_e32 v115, 16, v45
	v_lshlrev_b64 v[38:39], 1, v[38:39]
	s_delay_alu instid0(VALU_DEP_2)
	v_min3_f16 v37, v37, v45, v115
	global_store_b16 v[113:114], v37, off
	s_cbranch_vccnz .LBB270_56
; %bb.55:
	v_add_co_u32 v36, vcc_lo, v109, v38
	v_add_co_ci_u32_e32 v37, vcc_lo, v110, v39, vcc_lo
	flat_load_u16 v36, v[36:37]
	s_waitcnt vmcnt(0) lgkmcnt(0)
	v_mul_f16_e32 v36, v48, v36
.LBB270_56:
	v_pk_add_f16 v37, v0, v46
	v_pk_max_f16 v45, v111, v111
	v_pk_add_f16 v111, v1, v47
	v_add_nc_u32_e32 v113, 48, v44
	v_add_co_u32 v115, vcc_lo, v81, v38
	s_delay_alu instid0(VALU_DEP_4) | instskip(SKIP_1) | instid1(VALU_DEP_4)
	v_pk_min_f16 v37, v45, v37
	v_add_co_ci_u32_e32 v116, vcc_lo, v112, v39, vcc_lo
	v_ashrrev_i32_e32 v114, 31, v113
	s_and_b32 vcc_lo, exec_lo, s0
	s_delay_alu instid0(VALU_DEP_3) | instskip(SKIP_1) | instid1(VALU_DEP_2)
	v_pk_min_f16 v37, v37, v111
	v_mov_b32_e32 v111, 0
	v_lshrrev_b32_e32 v45, 16, v37
	s_delay_alu instid0(VALU_DEP_1)
	v_min3_f16 v117, v36, v37, v45
	v_lshlrev_b64 v[36:37], 1, v[113:114]
	v_mov_b32_e32 v45, 0
	global_store_b16 v[115:116], v117, off
	s_cbranch_vccnz .LBB270_58
; %bb.57:
	v_add_co_u32 v113, vcc_lo, v109, v36
	v_add_co_ci_u32_e32 v114, vcc_lo, v110, v37, vcc_lo
	flat_load_u16 v45, v[113:114]
	s_waitcnt vmcnt(0) lgkmcnt(0)
	v_mul_f16_e32 v45, v48, v45
.LBB270_58:
	v_pk_add_f16 v113, v2, v46
	v_pk_max_f16 v108, v108, v108
	v_pk_add_f16 v114, v3, v47
	v_add_co_u32 v115, vcc_lo, v81, v36
	v_add_co_ci_u32_e32 v116, vcc_lo, v112, v37, vcc_lo
	s_delay_alu instid0(VALU_DEP_4) | instskip(SKIP_2) | instid1(VALU_DEP_2)
	v_pk_min_f16 v108, v108, v113
	v_add_nc_u32_e32 v113, 56, v44
	s_and_b32 vcc_lo, exec_lo, s0
	v_pk_min_f16 v44, v108, v114
	s_delay_alu instid0(VALU_DEP_2) | instskip(NEXT) | instid1(VALU_DEP_2)
	v_ashrrev_i32_e32 v114, 31, v113
	v_lshrrev_b32_e32 v108, 16, v44
	s_delay_alu instid0(VALU_DEP_1) | instskip(NEXT) | instid1(VALU_DEP_3)
	v_min3_f16 v108, v45, v44, v108
	v_lshlrev_b64 v[44:45], 1, v[113:114]
	global_store_b16 v[115:116], v108, off
	s_cbranch_vccnz .LBB270_60
; %bb.59:
	v_add_co_u32 v108, vcc_lo, v109, v44
	v_add_co_ci_u32_e32 v109, vcc_lo, v110, v45, vcc_lo
	flat_load_u16 v108, v[108:109]
	s_waitcnt vmcnt(0) lgkmcnt(0)
	v_mul_f16_e32 v111, v48, v108
.LBB270_60:
	v_pk_add_f16 v46, v24, v46
	v_pk_max_f16 v107, v107, v107
	v_pk_add_f16 v47, v25, v47
	v_add_nc_u32_e32 v108, 32, v88
	v_add_co_u32 v113, vcc_lo, v81, v44
	s_delay_alu instid0(VALU_DEP_4) | instskip(SKIP_1) | instid1(VALU_DEP_2)
	v_pk_min_f16 v46, v107, v46
	v_add_co_ci_u32_e32 v114, vcc_lo, v112, v45, vcc_lo
	v_pk_min_f16 v107, v46, v47
	s_delay_alu instid0(VALU_DEP_1) | instskip(NEXT) | instid1(VALU_DEP_1)
	v_lshrrev_b32_e32 v81, 16, v107
	v_min3_f16 v81, v111, v107, v81
	v_mov_b32_e32 v107, 0
	v_mad_i64_i32 v[109:110], null, v108, s5, 0
	global_store_b16 v[113:114], v81, off
	v_lshlrev_b64 v[46:47], 1, v[109:110]
	v_mov_b32_e32 v109, 0
	s_delay_alu instid0(VALU_DEP_2) | instskip(NEXT) | instid1(VALU_DEP_3)
	v_add_co_u32 v46, vcc_lo, s8, v46
	v_add_co_ci_u32_e32 v47, vcc_lo, s9, v47, vcc_lo
	s_and_b32 vcc_lo, exec_lo, s0
	s_cbranch_vccnz .LBB270_62
; %bb.61:
	s_delay_alu instid0(VALU_DEP_2) | instskip(NEXT) | instid1(VALU_DEP_2)
	v_add_co_u32 v109, vcc_lo, v46, v30
	v_add_co_ci_u32_e32 v110, vcc_lo, v47, v31, vcc_lo
	flat_load_u16 v81, v[109:110]
	s_waitcnt vmcnt(0) lgkmcnt(0)
	v_mul_f16_e32 v109, v48, v81
.LBB270_62:
	v_pk_add_f16 v81, v28, v20
	v_pk_max_f16 v106, v106, v106
	v_mad_i64_i32 v[110:111], null, v108, s4, 0
	v_pk_add_f16 v108, v29, v21
	s_delay_alu instid0(VALU_DEP_3) | instskip(NEXT) | instid1(VALU_DEP_3)
	v_pk_min_f16 v81, v106, v81
	v_lshlrev_b64 v[110:111], 1, v[110:111]
	s_delay_alu instid0(VALU_DEP_2) | instskip(NEXT) | instid1(VALU_DEP_2)
	v_pk_min_f16 v108, v81, v108
	v_add_co_u32 v81, vcc_lo, s1, v110
	s_delay_alu instid0(VALU_DEP_2) | instskip(NEXT) | instid1(VALU_DEP_4)
	v_lshrrev_b32_e32 v112, 16, v108
	v_add_co_ci_u32_e32 v106, vcc_lo, s6, v111, vcc_lo
	s_delay_alu instid0(VALU_DEP_2) | instskip(NEXT) | instid1(VALU_DEP_4)
	v_min3_f16 v110, v109, v108, v112
	v_add_co_u32 v108, vcc_lo, v81, v30
	s_delay_alu instid0(VALU_DEP_3)
	v_add_co_ci_u32_e32 v109, vcc_lo, v106, v31, vcc_lo
	s_and_b32 vcc_lo, exec_lo, s0
	global_store_b16 v[108:109], v110, off
	s_cbranch_vccnz .LBB270_64
; %bb.63:
	v_add_co_u32 v107, vcc_lo, v46, v32
	v_add_co_ci_u32_e32 v108, vcc_lo, v47, v33, vcc_lo
	flat_load_u16 v107, v[107:108]
	s_waitcnt vmcnt(0) lgkmcnt(0)
	v_mul_f16_e32 v107, v48, v107
.LBB270_64:
	v_pk_add_f16 v108, v8, v20
	v_pk_max_f16 v105, v105, v105
	v_pk_add_f16 v109, v9, v21
	s_delay_alu instid0(VALU_DEP_2) | instskip(SKIP_1) | instid1(VALU_DEP_2)
	v_pk_min_f16 v105, v105, v108
	v_add_co_u32 v108, vcc_lo, v81, v32
	v_pk_min_f16 v105, v105, v109
	v_add_co_ci_u32_e32 v109, vcc_lo, v106, v33, vcc_lo
	s_and_b32 vcc_lo, exec_lo, s0
	s_delay_alu instid0(VALU_DEP_2) | instskip(NEXT) | instid1(VALU_DEP_1)
	v_lshrrev_b32_e32 v110, 16, v105
	v_min3_f16 v110, v107, v105, v110
	v_mov_b32_e32 v105, 0
	v_mov_b32_e32 v107, 0
	global_store_b16 v[108:109], v110, off
	s_cbranch_vccnz .LBB270_66
; %bb.65:
	v_add_co_u32 v107, vcc_lo, v46, v34
	v_add_co_ci_u32_e32 v108, vcc_lo, v47, v35, vcc_lo
	flat_load_u16 v107, v[107:108]
	s_waitcnt vmcnt(0) lgkmcnt(0)
	v_mul_f16_e32 v107, v48, v107
.LBB270_66:
	v_pk_add_f16 v108, v10, v20
	v_pk_max_f16 v104, v104, v104
	v_pk_add_f16 v109, v11, v21
	s_delay_alu instid0(VALU_DEP_2) | instskip(NEXT) | instid1(VALU_DEP_1)
	v_pk_min_f16 v104, v104, v108
	v_pk_min_f16 v104, v104, v109
	s_delay_alu instid0(VALU_DEP_1) | instskip(NEXT) | instid1(VALU_DEP_1)
	v_lshrrev_b32_e32 v108, 16, v104
	v_min3_f16 v104, v107, v104, v108
	v_add_co_u32 v107, vcc_lo, v81, v34
	v_add_co_ci_u32_e32 v108, vcc_lo, v106, v35, vcc_lo
	s_and_b32 vcc_lo, exec_lo, s0
	global_store_b16 v[107:108], v104, off
	s_cbranch_vccnz .LBB270_68
; %bb.67:
	v_add_co_u32 v104, vcc_lo, v46, v40
	v_add_co_ci_u32_e32 v105, vcc_lo, v47, v41, vcc_lo
	flat_load_u16 v104, v[104:105]
	s_waitcnt vmcnt(0) lgkmcnt(0)
	v_mul_f16_e32 v105, v48, v104
.LBB270_68:
	v_pk_add_f16 v104, v4, v20
	v_pk_max_f16 v103, v103, v103
	v_pk_add_f16 v107, v5, v21
	s_delay_alu instid0(VALU_DEP_2) | instskip(NEXT) | instid1(VALU_DEP_1)
	v_pk_min_f16 v103, v103, v104
	v_pk_min_f16 v103, v103, v107
	v_add_co_u32 v107, vcc_lo, v81, v40
	v_add_co_ci_u32_e32 v108, vcc_lo, v106, v41, vcc_lo
	s_delay_alu instid0(VALU_DEP_3) | instskip(SKIP_1) | instid1(VALU_DEP_1)
	v_lshrrev_b32_e32 v104, 16, v103
	s_and_b32 vcc_lo, exec_lo, s0
	v_min3_f16 v105, v105, v103, v104
	v_dual_mov_b32 v103, 0 :: v_dual_mov_b32 v104, 0
	global_store_b16 v[107:108], v105, off
	s_cbranch_vccnz .LBB270_70
; %bb.69:
	v_add_co_u32 v104, vcc_lo, v46, v42
	v_add_co_ci_u32_e32 v105, vcc_lo, v47, v43, vcc_lo
	flat_load_u16 v104, v[104:105]
	s_waitcnt vmcnt(0) lgkmcnt(0)
	v_mul_f16_e32 v104, v48, v104
.LBB270_70:
	v_pk_add_f16 v105, v6, v20
	v_pk_max_f16 v102, v102, v102
	v_pk_add_f16 v107, v7, v21
	s_delay_alu instid0(VALU_DEP_2) | instskip(NEXT) | instid1(VALU_DEP_1)
	v_pk_min_f16 v102, v102, v105
	v_pk_min_f16 v102, v102, v107
	s_delay_alu instid0(VALU_DEP_1) | instskip(NEXT) | instid1(VALU_DEP_1)
	v_lshrrev_b32_e32 v105, 16, v102
	v_min3_f16 v102, v104, v102, v105
	v_add_co_u32 v104, vcc_lo, v81, v42
	v_add_co_ci_u32_e32 v105, vcc_lo, v106, v43, vcc_lo
	s_and_b32 vcc_lo, exec_lo, s0
	global_store_b16 v[104:105], v102, off
	s_cbranch_vccnz .LBB270_72
; %bb.71:
	v_add_co_u32 v102, vcc_lo, v46, v38
	v_add_co_ci_u32_e32 v103, vcc_lo, v47, v39, vcc_lo
	flat_load_u16 v102, v[102:103]
	s_waitcnt vmcnt(0) lgkmcnt(0)
	v_mul_f16_e32 v103, v48, v102
.LBB270_72:
	v_pk_add_f16 v102, v0, v20
	v_pk_max_f16 v101, v101, v101
	v_pk_add_f16 v104, v1, v21
	s_delay_alu instid0(VALU_DEP_2) | instskip(NEXT) | instid1(VALU_DEP_1)
	v_pk_min_f16 v101, v101, v102
	v_pk_min_f16 v101, v101, v104
	v_add_co_u32 v104, vcc_lo, v81, v38
	v_add_co_ci_u32_e32 v105, vcc_lo, v106, v39, vcc_lo
	s_delay_alu instid0(VALU_DEP_3) | instskip(SKIP_1) | instid1(VALU_DEP_1)
	v_lshrrev_b32_e32 v102, 16, v101
	s_and_b32 vcc_lo, exec_lo, s0
	v_min3_f16 v103, v103, v101, v102
	v_dual_mov_b32 v101, 0 :: v_dual_mov_b32 v102, 0
	global_store_b16 v[104:105], v103, off
	s_cbranch_vccnz .LBB270_74
; %bb.73:
	v_add_co_u32 v102, vcc_lo, v46, v36
	v_add_co_ci_u32_e32 v103, vcc_lo, v47, v37, vcc_lo
	flat_load_u16 v102, v[102:103]
	s_waitcnt vmcnt(0) lgkmcnt(0)
	v_mul_f16_e32 v102, v48, v102
.LBB270_74:
	v_pk_add_f16 v103, v2, v20
	v_pk_max_f16 v100, v100, v100
	v_pk_add_f16 v104, v3, v21
	s_delay_alu instid0(VALU_DEP_2) | instskip(NEXT) | instid1(VALU_DEP_1)
	v_pk_min_f16 v100, v100, v103
	v_pk_min_f16 v100, v100, v104
	s_delay_alu instid0(VALU_DEP_1) | instskip(NEXT) | instid1(VALU_DEP_1)
	v_lshrrev_b32_e32 v103, 16, v100
	v_min3_f16 v100, v102, v100, v103
	v_add_co_u32 v102, vcc_lo, v81, v36
	v_add_co_ci_u32_e32 v103, vcc_lo, v106, v37, vcc_lo
	s_and_b32 vcc_lo, exec_lo, s0
	global_store_b16 v[102:103], v100, off
	s_cbranch_vccnz .LBB270_76
; %bb.75:
	v_add_co_u32 v46, vcc_lo, v46, v44
	v_add_co_ci_u32_e32 v47, vcc_lo, v47, v45, vcc_lo
	flat_load_u16 v46, v[46:47]
	s_waitcnt vmcnt(0) lgkmcnt(0)
	v_mul_f16_e32 v101, v48, v46
.LBB270_76:
	v_pk_add_f16 v20, v24, v20
	v_pk_max_f16 v47, v99, v99
	v_pk_add_f16 v21, v25, v21
	v_add_nc_u32_e32 v46, 64, v88
	v_add_co_u32 v102, vcc_lo, v81, v44
	s_delay_alu instid0(VALU_DEP_4) | instskip(SKIP_1) | instid1(VALU_DEP_2)
	v_pk_min_f16 v20, v47, v20
	v_add_co_ci_u32_e32 v103, vcc_lo, v106, v45, vcc_lo
	v_pk_min_f16 v47, v20, v21
	s_delay_alu instid0(VALU_DEP_1) | instskip(NEXT) | instid1(VALU_DEP_1)
	v_lshrrev_b32_e32 v81, 16, v47
	v_min3_f16 v47, v101, v47, v81
	v_mov_b32_e32 v81, 0
	v_mad_i64_i32 v[99:100], null, v46, s5, 0
	global_store_b16 v[102:103], v47, off
	v_lshlrev_b64 v[20:21], 1, v[99:100]
	v_mov_b32_e32 v99, 0
	s_delay_alu instid0(VALU_DEP_2) | instskip(NEXT) | instid1(VALU_DEP_3)
	v_add_co_u32 v20, vcc_lo, s8, v20
	v_add_co_ci_u32_e32 v21, vcc_lo, s9, v21, vcc_lo
	s_and_b32 vcc_lo, exec_lo, s0
	s_cbranch_vccnz .LBB270_78
; %bb.77:
	s_delay_alu instid0(VALU_DEP_2) | instskip(NEXT) | instid1(VALU_DEP_2)
	v_add_co_u32 v99, vcc_lo, v20, v30
	v_add_co_ci_u32_e32 v100, vcc_lo, v21, v31, vcc_lo
	flat_load_u16 v47, v[99:100]
	s_waitcnt vmcnt(0) lgkmcnt(0)
	v_mul_f16_e32 v99, v48, v47
.LBB270_78:
	v_pk_add_f16 v47, v28, v22
	v_pk_max_f16 v98, v98, v98
	v_mad_i64_i32 v[100:101], null, v46, s4, 0
	v_pk_add_f16 v46, v29, v23
	s_delay_alu instid0(VALU_DEP_3) | instskip(NEXT) | instid1(VALU_DEP_1)
	v_pk_min_f16 v47, v98, v47
	v_pk_min_f16 v98, v47, v46
	s_delay_alu instid0(VALU_DEP_4) | instskip(NEXT) | instid1(VALU_DEP_2)
	v_lshlrev_b64 v[46:47], 1, v[100:101]
	v_lshrrev_b32_e32 v100, 16, v98
	s_delay_alu instid0(VALU_DEP_2) | instskip(NEXT) | instid1(VALU_DEP_3)
	v_add_co_u32 v46, vcc_lo, s1, v46
	v_add_co_ci_u32_e32 v47, vcc_lo, s6, v47, vcc_lo
	s_delay_alu instid0(VALU_DEP_3) | instskip(NEXT) | instid1(VALU_DEP_3)
	v_min3_f16 v100, v99, v98, v100
	v_add_co_u32 v98, vcc_lo, v46, v30
	s_delay_alu instid0(VALU_DEP_3)
	v_add_co_ci_u32_e32 v99, vcc_lo, v47, v31, vcc_lo
	s_and_b32 vcc_lo, exec_lo, s0
	global_store_b16 v[98:99], v100, off
	s_cbranch_vccnz .LBB270_80
; %bb.79:
	v_add_co_u32 v98, vcc_lo, v20, v32
	v_add_co_ci_u32_e32 v99, vcc_lo, v21, v33, vcc_lo
	flat_load_u16 v81, v[98:99]
	s_waitcnt vmcnt(0) lgkmcnt(0)
	v_mul_f16_e32 v81, v48, v81
.LBB270_80:
	v_pk_add_f16 v98, v8, v22
	v_pk_max_f16 v97, v97, v97
	v_pk_add_f16 v99, v9, v23
	s_delay_alu instid0(VALU_DEP_2) | instskip(SKIP_1) | instid1(VALU_DEP_2)
	v_pk_min_f16 v97, v97, v98
	v_add_co_u32 v98, vcc_lo, v46, v32
	v_pk_min_f16 v97, v97, v99
	v_add_co_ci_u32_e32 v99, vcc_lo, v47, v33, vcc_lo
	s_and_b32 vcc_lo, exec_lo, s0
	s_delay_alu instid0(VALU_DEP_2) | instskip(NEXT) | instid1(VALU_DEP_1)
	v_lshrrev_b32_e32 v100, 16, v97
	v_min3_f16 v100, v81, v97, v100
	v_mov_b32_e32 v81, 0
	v_mov_b32_e32 v97, 0
	global_store_b16 v[98:99], v100, off
	s_cbranch_vccnz .LBB270_82
; %bb.81:
	v_add_co_u32 v97, vcc_lo, v20, v34
	v_add_co_ci_u32_e32 v98, vcc_lo, v21, v35, vcc_lo
	flat_load_u16 v97, v[97:98]
	s_waitcnt vmcnt(0) lgkmcnt(0)
	v_mul_f16_e32 v97, v48, v97
.LBB270_82:
	v_pk_add_f16 v98, v10, v22
	v_pk_max_f16 v96, v96, v96
	v_pk_add_f16 v99, v11, v23
	s_delay_alu instid0(VALU_DEP_2) | instskip(NEXT) | instid1(VALU_DEP_1)
	v_pk_min_f16 v96, v96, v98
	v_pk_min_f16 v96, v96, v99
	s_delay_alu instid0(VALU_DEP_1) | instskip(NEXT) | instid1(VALU_DEP_1)
	v_lshrrev_b32_e32 v98, 16, v96
	v_min3_f16 v98, v97, v96, v98
	v_add_co_u32 v96, vcc_lo, v46, v34
	v_add_co_ci_u32_e32 v97, vcc_lo, v47, v35, vcc_lo
	s_and_b32 vcc_lo, exec_lo, s0
	global_store_b16 v[96:97], v98, off
	s_cbranch_vccnz .LBB270_84
; %bb.83:
	v_add_co_u32 v96, vcc_lo, v20, v40
	v_add_co_ci_u32_e32 v97, vcc_lo, v21, v41, vcc_lo
	flat_load_u16 v81, v[96:97]
	s_waitcnt vmcnt(0) lgkmcnt(0)
	v_mul_f16_e32 v81, v48, v81
.LBB270_84:
	v_pk_add_f16 v96, v4, v22
	v_pk_max_f16 v95, v95, v95
	v_pk_add_f16 v97, v5, v23
	s_delay_alu instid0(VALU_DEP_2) | instskip(SKIP_1) | instid1(VALU_DEP_2)
	v_pk_min_f16 v95, v95, v96
	v_add_co_u32 v96, vcc_lo, v46, v40
	v_pk_min_f16 v95, v95, v97
	v_add_co_ci_u32_e32 v97, vcc_lo, v47, v41, vcc_lo
	s_and_b32 vcc_lo, exec_lo, s0
	s_delay_alu instid0(VALU_DEP_2) | instskip(NEXT) | instid1(VALU_DEP_1)
	v_lshrrev_b32_e32 v98, 16, v95
	v_min3_f16 v98, v81, v95, v98
	v_mov_b32_e32 v81, 0
	v_mov_b32_e32 v95, 0
	global_store_b16 v[96:97], v98, off
	s_cbranch_vccnz .LBB270_86
; %bb.85:
	v_add_co_u32 v95, vcc_lo, v20, v42
	v_add_co_ci_u32_e32 v96, vcc_lo, v21, v43, vcc_lo
	flat_load_u16 v95, v[95:96]
	s_waitcnt vmcnt(0) lgkmcnt(0)
	v_mul_f16_e32 v95, v48, v95
.LBB270_86:
	v_pk_add_f16 v96, v6, v22
	v_pk_max_f16 v94, v94, v94
	v_pk_add_f16 v97, v7, v23
	s_delay_alu instid0(VALU_DEP_2) | instskip(NEXT) | instid1(VALU_DEP_1)
	v_pk_min_f16 v94, v94, v96
	v_pk_min_f16 v94, v94, v97
	s_delay_alu instid0(VALU_DEP_1) | instskip(NEXT) | instid1(VALU_DEP_1)
	v_lshrrev_b32_e32 v96, 16, v94
	v_min3_f16 v96, v95, v94, v96
	v_add_co_u32 v94, vcc_lo, v46, v42
	;; [unrolled: 44-line block ×3, first 2 shown]
	v_add_co_ci_u32_e32 v93, vcc_lo, v47, v37, vcc_lo
	s_and_b32 vcc_lo, exec_lo, s0
	global_store_b16 v[92:93], v94, off
	s_cbranch_vccnz .LBB270_92
; %bb.91:
	v_add_co_u32 v20, vcc_lo, v20, v44
	v_add_co_ci_u32_e32 v21, vcc_lo, v21, v45, vcc_lo
	flat_load_u16 v20, v[20:21]
	s_waitcnt vmcnt(0) lgkmcnt(0)
	v_mul_f16_e32 v81, v48, v20
.LBB270_92:
	v_pk_add_f16 v22, v24, v22
	v_pk_max_f16 v91, v91, v91
	v_pk_add_f16 v23, v25, v23
	v_add_nc_u32_e32 v92, 0x60, v88
	s_delay_alu instid0(VALU_DEP_3) | instskip(NEXT) | instid1(VALU_DEP_1)
	v_pk_min_f16 v22, v91, v22
	v_pk_min_f16 v91, v22, v23
	v_add_co_u32 v22, vcc_lo, v46, v44
	v_add_co_ci_u32_e32 v23, vcc_lo, v47, v45, vcc_lo
	v_mov_b32_e32 v47, 0
	v_mad_i64_i32 v[20:21], null, v92, s5, 0
	v_lshrrev_b32_e32 v46, 16, v91
	s_delay_alu instid0(VALU_DEP_1) | instskip(NEXT) | instid1(VALU_DEP_3)
	v_min3_f16 v81, v81, v91, v46
	v_lshlrev_b64 v[20:21], 1, v[20:21]
	v_mov_b32_e32 v46, 0
	global_store_b16 v[22:23], v81, off
	v_add_co_u32 v20, vcc_lo, s8, v20
	v_add_co_ci_u32_e32 v21, vcc_lo, s9, v21, vcc_lo
	s_and_b32 vcc_lo, exec_lo, s0
	s_cbranch_vccnz .LBB270_94
; %bb.93:
	s_delay_alu instid0(VALU_DEP_2) | instskip(NEXT) | instid1(VALU_DEP_2)
	v_add_co_u32 v22, vcc_lo, v20, v30
	v_add_co_ci_u32_e32 v23, vcc_lo, v21, v31, vcc_lo
	flat_load_u16 v22, v[22:23]
	s_waitcnt vmcnt(0) lgkmcnt(0)
	v_mul_f16_e32 v47, v48, v22
.LBB270_94:
	v_pk_add_f16 v81, v28, v16
	v_pk_max_f16 v90, v90, v90
	v_mad_i64_i32 v[22:23], null, v92, s4, 0
	v_pk_add_f16 v91, v29, v17
	s_delay_alu instid0(VALU_DEP_3) | instskip(NEXT) | instid1(VALU_DEP_3)
	v_pk_min_f16 v81, v90, v81
	v_lshlrev_b64 v[22:23], 1, v[22:23]
	s_delay_alu instid0(VALU_DEP_2) | instskip(NEXT) | instid1(VALU_DEP_2)
	v_pk_min_f16 v81, v81, v91
	v_add_co_u32 v22, vcc_lo, s1, v22
	s_delay_alu instid0(VALU_DEP_2) | instskip(NEXT) | instid1(VALU_DEP_4)
	v_lshrrev_b32_e32 v90, 16, v81
	v_add_co_ci_u32_e32 v23, vcc_lo, s6, v23, vcc_lo
	s_delay_alu instid0(VALU_DEP_2) | instskip(NEXT) | instid1(VALU_DEP_4)
	v_min3_f16 v47, v47, v81, v90
	v_add_co_u32 v90, vcc_lo, v22, v30
	s_delay_alu instid0(VALU_DEP_3)
	v_add_co_ci_u32_e32 v91, vcc_lo, v23, v31, vcc_lo
	s_and_b32 vcc_lo, exec_lo, s0
	global_store_b16 v[90:91], v47, off
	s_cbranch_vccnz .LBB270_96
; %bb.95:
	v_add_co_u32 v46, vcc_lo, v20, v32
	v_add_co_ci_u32_e32 v47, vcc_lo, v21, v33, vcc_lo
	flat_load_u16 v46, v[46:47]
	s_waitcnt vmcnt(0) lgkmcnt(0)
	v_mul_f16_e32 v46, v48, v46
.LBB270_96:
	v_pk_add_f16 v47, v8, v16
	v_pk_max_f16 v81, v89, v89
	v_pk_add_f16 v89, v9, v17
	s_delay_alu instid0(VALU_DEP_2) | instskip(NEXT) | instid1(VALU_DEP_1)
	v_pk_min_f16 v47, v81, v47
	v_pk_min_f16 v47, v47, v89
	v_add_co_u32 v89, vcc_lo, v22, v32
	v_add_co_ci_u32_e32 v90, vcc_lo, v23, v33, vcc_lo
	s_delay_alu instid0(VALU_DEP_3) | instskip(SKIP_1) | instid1(VALU_DEP_1)
	v_lshrrev_b32_e32 v81, 16, v47
	s_and_b32 vcc_lo, exec_lo, s0
	v_min3_f16 v81, v46, v47, v81
	v_dual_mov_b32 v46, 0 :: v_dual_mov_b32 v47, 0
	global_store_b16 v[89:90], v81, off
	s_cbranch_vccnz .LBB270_98
; %bb.97:
	v_add_co_u32 v89, vcc_lo, v20, v34
	v_add_co_ci_u32_e32 v90, vcc_lo, v21, v35, vcc_lo
	flat_load_u16 v47, v[89:90]
	s_waitcnt vmcnt(0) lgkmcnt(0)
	v_mul_f16_e32 v47, v48, v47
.LBB270_98:
	v_pk_add_f16 v81, v10, v16
	v_pk_max_f16 v87, v87, v87
	v_pk_add_f16 v89, v11, v17
	s_delay_alu instid0(VALU_DEP_2) | instskip(NEXT) | instid1(VALU_DEP_1)
	v_pk_min_f16 v81, v87, v81
	v_pk_min_f16 v81, v81, v89
	v_add_co_u32 v89, vcc_lo, v22, v34
	v_add_co_ci_u32_e32 v90, vcc_lo, v23, v35, vcc_lo
	s_delay_alu instid0(VALU_DEP_3) | instskip(SKIP_1) | instid1(VALU_DEP_1)
	v_lshrrev_b32_e32 v87, 16, v81
	s_and_b32 vcc_lo, exec_lo, s0
	v_min3_f16 v47, v47, v81, v87
	global_store_b16 v[89:90], v47, off
	s_cbranch_vccnz .LBB270_100
; %bb.99:
	v_add_co_u32 v46, vcc_lo, v20, v40
	v_add_co_ci_u32_e32 v47, vcc_lo, v21, v41, vcc_lo
	flat_load_u16 v46, v[46:47]
	s_waitcnt vmcnt(0) lgkmcnt(0)
	v_mul_f16_e32 v46, v48, v46
.LBB270_100:
	v_pk_add_f16 v47, v4, v16
	v_pk_max_f16 v81, v86, v86
	v_pk_add_f16 v86, v5, v17
	s_delay_alu instid0(VALU_DEP_2) | instskip(NEXT) | instid1(VALU_DEP_1)
	v_pk_min_f16 v47, v81, v47
	v_pk_min_f16 v47, v47, v86
	v_add_co_u32 v86, vcc_lo, v22, v40
	v_add_co_ci_u32_e32 v87, vcc_lo, v23, v41, vcc_lo
	s_delay_alu instid0(VALU_DEP_3) | instskip(SKIP_1) | instid1(VALU_DEP_1)
	v_lshrrev_b32_e32 v81, 16, v47
	s_and_b32 vcc_lo, exec_lo, s0
	v_min3_f16 v81, v46, v47, v81
	v_dual_mov_b32 v46, 0 :: v_dual_mov_b32 v47, 0
	global_store_b16 v[86:87], v81, off
	s_cbranch_vccnz .LBB270_102
; %bb.101:
	v_add_co_u32 v86, vcc_lo, v20, v42
	v_add_co_ci_u32_e32 v87, vcc_lo, v21, v43, vcc_lo
	flat_load_u16 v47, v[86:87]
	s_waitcnt vmcnt(0) lgkmcnt(0)
	v_mul_f16_e32 v47, v48, v47
.LBB270_102:
	v_pk_add_f16 v81, v6, v16
	v_pk_max_f16 v85, v85, v85
	v_pk_add_f16 v86, v7, v17
	s_delay_alu instid0(VALU_DEP_2) | instskip(NEXT) | instid1(VALU_DEP_1)
	v_pk_min_f16 v81, v85, v81
	v_pk_min_f16 v81, v81, v86
	s_delay_alu instid0(VALU_DEP_1) | instskip(NEXT) | instid1(VALU_DEP_1)
	v_lshrrev_b32_e32 v85, 16, v81
	v_min3_f16 v47, v47, v81, v85
	v_add_co_u32 v85, vcc_lo, v22, v42
	v_add_co_ci_u32_e32 v86, vcc_lo, v23, v43, vcc_lo
	s_and_b32 vcc_lo, exec_lo, s0
	global_store_b16 v[85:86], v47, off
	s_cbranch_vccnz .LBB270_104
; %bb.103:
	v_add_co_u32 v46, vcc_lo, v20, v38
	v_add_co_ci_u32_e32 v47, vcc_lo, v21, v39, vcc_lo
	flat_load_u16 v46, v[46:47]
	s_waitcnt vmcnt(0) lgkmcnt(0)
	v_mul_f16_e32 v46, v48, v46
.LBB270_104:
	v_pk_add_f16 v47, v0, v16
	v_pk_max_f16 v81, v84, v84
	v_pk_add_f16 v84, v1, v17
	s_delay_alu instid0(VALU_DEP_2) | instskip(NEXT) | instid1(VALU_DEP_1)
	v_pk_min_f16 v47, v81, v47
	v_pk_min_f16 v47, v47, v84
	v_add_co_u32 v84, vcc_lo, v22, v38
	v_add_co_ci_u32_e32 v85, vcc_lo, v23, v39, vcc_lo
	s_delay_alu instid0(VALU_DEP_3) | instskip(SKIP_1) | instid1(VALU_DEP_1)
	v_lshrrev_b32_e32 v81, 16, v47
	s_and_b32 vcc_lo, exec_lo, s0
	v_min3_f16 v81, v46, v47, v81
	v_dual_mov_b32 v46, 0 :: v_dual_mov_b32 v47, 0
	global_store_b16 v[84:85], v81, off
	s_cbranch_vccnz .LBB270_106
; %bb.105:
	v_add_co_u32 v84, vcc_lo, v20, v36
	v_add_co_ci_u32_e32 v85, vcc_lo, v21, v37, vcc_lo
	flat_load_u16 v47, v[84:85]
	s_waitcnt vmcnt(0) lgkmcnt(0)
	v_mul_f16_e32 v47, v48, v47
.LBB270_106:
	v_pk_add_f16 v81, v2, v16
	v_pk_max_f16 v83, v83, v83
	v_pk_add_f16 v84, v3, v17
	s_delay_alu instid0(VALU_DEP_2) | instskip(NEXT) | instid1(VALU_DEP_1)
	v_pk_min_f16 v81, v83, v81
	v_pk_min_f16 v81, v81, v84
	s_delay_alu instid0(VALU_DEP_1) | instskip(NEXT) | instid1(VALU_DEP_1)
	v_lshrrev_b32_e32 v83, 16, v81
	v_min3_f16 v47, v47, v81, v83
	v_add_co_u32 v83, vcc_lo, v22, v36
	v_add_co_ci_u32_e32 v84, vcc_lo, v23, v37, vcc_lo
	s_and_b32 vcc_lo, exec_lo, s0
	global_store_b16 v[83:84], v47, off
	s_cbranch_vccnz .LBB270_108
; %bb.107:
	v_add_co_u32 v20, vcc_lo, v20, v44
	v_add_co_ci_u32_e32 v21, vcc_lo, v21, v45, vcc_lo
	flat_load_u16 v20, v[20:21]
	s_waitcnt vmcnt(0) lgkmcnt(0)
	v_mul_f16_e32 v46, v48, v20
.LBB270_108:
	v_add_nc_u32_e32 v20, 0x80, v88
	v_pk_add_f16 v16, v24, v16
	v_pk_max_f16 v21, v82, v82
	v_pk_add_f16 v17, v25, v17
	s_delay_alu instid0(VALU_DEP_4) | instskip(NEXT) | instid1(VALU_DEP_3)
	v_mad_i64_i32 v[81:82], null, v20, s5, 0
	v_pk_min_f16 v16, v21, v16
	s_delay_alu instid0(VALU_DEP_1) | instskip(NEXT) | instid1(VALU_DEP_3)
	v_pk_min_f16 v21, v16, v17
	v_lshlrev_b64 v[16:17], 1, v[81:82]
	v_add_co_u32 v81, vcc_lo, v22, v44
	v_add_co_ci_u32_e32 v82, vcc_lo, v23, v45, vcc_lo
	v_mov_b32_e32 v23, 0
	v_lshrrev_b32_e32 v22, 16, v21
	v_add_co_u32 v16, vcc_lo, s8, v16
	v_add_co_ci_u32_e32 v17, vcc_lo, s9, v17, vcc_lo
	s_delay_alu instid0(VALU_DEP_3)
	v_min3_f16 v21, v46, v21, v22
	v_mov_b32_e32 v22, 0
	s_and_b32 vcc_lo, exec_lo, s0
	global_store_b16 v[81:82], v21, off
	s_cbranch_vccnz .LBB270_110
; %bb.109:
	v_add_co_u32 v46, vcc_lo, v16, v30
	v_add_co_ci_u32_e32 v47, vcc_lo, v17, v31, vcc_lo
	flat_load_u16 v21, v[46:47]
	s_waitcnt vmcnt(0) lgkmcnt(0)
	v_mul_f16_e32 v23, v48, v21
.LBB270_110:
	v_pk_add_f16 v21, v28, v18
	v_pk_max_f16 v80, v80, v80
	v_mad_i64_i32 v[46:47], null, v20, s4, 0
	v_pk_add_f16 v20, v29, v19
	s_delay_alu instid0(VALU_DEP_3) | instskip(NEXT) | instid1(VALU_DEP_1)
	v_pk_min_f16 v21, v80, v21
	v_pk_min_f16 v80, v21, v20
	s_delay_alu instid0(VALU_DEP_4) | instskip(NEXT) | instid1(VALU_DEP_2)
	v_lshlrev_b64 v[20:21], 1, v[46:47]
	v_lshrrev_b32_e32 v46, 16, v80
	s_delay_alu instid0(VALU_DEP_2) | instskip(NEXT) | instid1(VALU_DEP_3)
	v_add_co_u32 v20, vcc_lo, s1, v20
	v_add_co_ci_u32_e32 v21, vcc_lo, s6, v21, vcc_lo
	s_delay_alu instid0(VALU_DEP_3) | instskip(NEXT) | instid1(VALU_DEP_3)
	v_min3_f16 v23, v23, v80, v46
	v_add_co_u32 v46, vcc_lo, v20, v30
	s_delay_alu instid0(VALU_DEP_3)
	v_add_co_ci_u32_e32 v47, vcc_lo, v21, v31, vcc_lo
	s_and_b32 vcc_lo, exec_lo, s0
	global_store_b16 v[46:47], v23, off
	s_cbranch_vccnz .LBB270_112
; %bb.111:
	v_add_co_u32 v22, vcc_lo, v16, v32
	v_add_co_ci_u32_e32 v23, vcc_lo, v17, v33, vcc_lo
	flat_load_u16 v22, v[22:23]
	s_waitcnt vmcnt(0) lgkmcnt(0)
	v_mul_f16_e32 v22, v48, v22
.LBB270_112:
	v_pk_add_f16 v23, v8, v18
	v_pk_max_f16 v46, v79, v79
	v_pk_add_f16 v47, v9, v19
	s_delay_alu instid0(VALU_DEP_2) | instskip(SKIP_1) | instid1(VALU_DEP_2)
	v_pk_min_f16 v23, v46, v23
	v_add_co_u32 v46, vcc_lo, v20, v32
	v_pk_min_f16 v23, v23, v47
	v_add_co_ci_u32_e32 v47, vcc_lo, v21, v33, vcc_lo
	s_and_b32 vcc_lo, exec_lo, s0
	s_delay_alu instid0(VALU_DEP_2) | instskip(NEXT) | instid1(VALU_DEP_1)
	v_lshrrev_b32_e32 v79, 16, v23
	v_min3_f16 v79, v22, v23, v79
	v_dual_mov_b32 v22, 0 :: v_dual_mov_b32 v23, 0
	global_store_b16 v[46:47], v79, off
	s_cbranch_vccnz .LBB270_114
; %bb.113:
	v_add_co_u32 v46, vcc_lo, v16, v34
	v_add_co_ci_u32_e32 v47, vcc_lo, v17, v35, vcc_lo
	flat_load_u16 v23, v[46:47]
	s_waitcnt vmcnt(0) lgkmcnt(0)
	v_mul_f16_e32 v23, v48, v23
.LBB270_114:
	v_pk_add_f16 v46, v10, v18
	v_pk_max_f16 v47, v78, v78
	v_pk_add_f16 v78, v11, v19
	s_delay_alu instid0(VALU_DEP_2) | instskip(NEXT) | instid1(VALU_DEP_1)
	v_pk_min_f16 v46, v47, v46
	v_pk_min_f16 v46, v46, v78
	s_delay_alu instid0(VALU_DEP_1) | instskip(NEXT) | instid1(VALU_DEP_1)
	v_lshrrev_b32_e32 v47, 16, v46
	v_min3_f16 v23, v23, v46, v47
	v_add_co_u32 v46, vcc_lo, v20, v34
	v_add_co_ci_u32_e32 v47, vcc_lo, v21, v35, vcc_lo
	s_and_b32 vcc_lo, exec_lo, s0
	global_store_b16 v[46:47], v23, off
	s_cbranch_vccnz .LBB270_116
; %bb.115:
	v_add_co_u32 v22, vcc_lo, v16, v40
	v_add_co_ci_u32_e32 v23, vcc_lo, v17, v41, vcc_lo
	flat_load_u16 v22, v[22:23]
	s_waitcnt vmcnt(0) lgkmcnt(0)
	v_mul_f16_e32 v22, v48, v22
.LBB270_116:
	v_pk_add_f16 v23, v4, v18
	v_pk_max_f16 v46, v77, v77
	v_pk_add_f16 v47, v5, v19
	s_delay_alu instid0(VALU_DEP_2) | instskip(SKIP_1) | instid1(VALU_DEP_2)
	v_pk_min_f16 v23, v46, v23
	v_add_co_u32 v46, vcc_lo, v20, v40
	v_pk_min_f16 v23, v23, v47
	v_add_co_ci_u32_e32 v47, vcc_lo, v21, v41, vcc_lo
	s_and_b32 vcc_lo, exec_lo, s0
	s_delay_alu instid0(VALU_DEP_2) | instskip(NEXT) | instid1(VALU_DEP_1)
	v_lshrrev_b32_e32 v77, 16, v23
	v_min3_f16 v77, v22, v23, v77
	v_dual_mov_b32 v22, 0 :: v_dual_mov_b32 v23, 0
	global_store_b16 v[46:47], v77, off
	s_cbranch_vccnz .LBB270_118
; %bb.117:
	v_add_co_u32 v46, vcc_lo, v16, v42
	v_add_co_ci_u32_e32 v47, vcc_lo, v17, v43, vcc_lo
	flat_load_u16 v23, v[46:47]
	s_waitcnt vmcnt(0) lgkmcnt(0)
	v_mul_f16_e32 v23, v48, v23
.LBB270_118:
	v_pk_add_f16 v46, v6, v18
	v_pk_max_f16 v47, v76, v76
	v_pk_add_f16 v76, v7, v19
	s_delay_alu instid0(VALU_DEP_2) | instskip(NEXT) | instid1(VALU_DEP_1)
	v_pk_min_f16 v46, v47, v46
	v_pk_min_f16 v46, v46, v76
	s_delay_alu instid0(VALU_DEP_1) | instskip(NEXT) | instid1(VALU_DEP_1)
	v_lshrrev_b32_e32 v47, 16, v46
	v_min3_f16 v23, v23, v46, v47
	v_add_co_u32 v46, vcc_lo, v20, v42
	;; [unrolled: 43-line block ×3, first 2 shown]
	v_add_co_ci_u32_e32 v47, vcc_lo, v21, v37, vcc_lo
	s_and_b32 vcc_lo, exec_lo, s0
	global_store_b16 v[46:47], v23, off
	s_cbranch_vccnz .LBB270_124
; %bb.123:
	v_add_co_u32 v16, vcc_lo, v16, v44
	v_add_co_ci_u32_e32 v17, vcc_lo, v17, v45, vcc_lo
	flat_load_u16 v16, v[16:17]
	s_waitcnt vmcnt(0) lgkmcnt(0)
	v_mul_f16_e32 v22, v48, v16
.LBB270_124:
	v_pk_add_f16 v18, v24, v18
	v_pk_max_f16 v46, v73, v73
	v_pk_add_f16 v19, v25, v19
	v_add_nc_u32_e32 v23, 0xa0, v88
	s_delay_alu instid0(VALU_DEP_3) | instskip(NEXT) | instid1(VALU_DEP_1)
	v_pk_min_f16 v18, v46, v18
	v_pk_min_f16 v46, v18, v19
	v_add_co_u32 v18, vcc_lo, v20, v44
	v_add_co_ci_u32_e32 v19, vcc_lo, v21, v45, vcc_lo
	s_delay_alu instid0(VALU_DEP_3) | instskip(SKIP_1) | instid1(VALU_DEP_2)
	v_lshrrev_b32_e32 v20, 16, v46
	v_mov_b32_e32 v21, 0
	v_min3_f16 v22, v22, v46, v20
	v_mov_b32_e32 v20, 0
	v_mad_i64_i32 v[16:17], null, v23, s5, 0
	global_store_b16 v[18:19], v22, off
	v_lshlrev_b64 v[16:17], 1, v[16:17]
	s_delay_alu instid0(VALU_DEP_1) | instskip(NEXT) | instid1(VALU_DEP_2)
	v_add_co_u32 v16, vcc_lo, s8, v16
	v_add_co_ci_u32_e32 v17, vcc_lo, s9, v17, vcc_lo
	s_and_b32 vcc_lo, exec_lo, s0
	s_cbranch_vccnz .LBB270_126
; %bb.125:
	s_delay_alu instid0(VALU_DEP_2) | instskip(NEXT) | instid1(VALU_DEP_2)
	v_add_co_u32 v18, vcc_lo, v16, v30
	v_add_co_ci_u32_e32 v19, vcc_lo, v17, v31, vcc_lo
	flat_load_u16 v18, v[18:19]
	s_waitcnt vmcnt(0) lgkmcnt(0)
	v_mul_f16_e32 v21, v48, v18
.LBB270_126:
	v_pk_add_f16 v22, v28, v12
	v_pk_max_f16 v46, v72, v72
	v_mad_i64_i32 v[18:19], null, v23, s4, 0
	v_pk_add_f16 v23, v29, v13
	s_delay_alu instid0(VALU_DEP_3) | instskip(NEXT) | instid1(VALU_DEP_3)
	v_pk_min_f16 v22, v46, v22
	v_lshlrev_b64 v[18:19], 1, v[18:19]
	s_delay_alu instid0(VALU_DEP_2) | instskip(NEXT) | instid1(VALU_DEP_2)
	v_pk_min_f16 v22, v22, v23
	v_add_co_u32 v18, vcc_lo, s1, v18
	s_delay_alu instid0(VALU_DEP_2) | instskip(NEXT) | instid1(VALU_DEP_4)
	v_lshrrev_b32_e32 v23, 16, v22
	v_add_co_ci_u32_e32 v19, vcc_lo, s6, v19, vcc_lo
	s_delay_alu instid0(VALU_DEP_2) | instskip(NEXT) | instid1(VALU_DEP_4)
	v_min3_f16 v23, v21, v22, v23
	v_add_co_u32 v21, vcc_lo, v18, v30
	s_delay_alu instid0(VALU_DEP_3)
	v_add_co_ci_u32_e32 v22, vcc_lo, v19, v31, vcc_lo
	s_and_b32 vcc_lo, exec_lo, s0
	global_store_b16 v[21:22], v23, off
	s_cbranch_vccnz .LBB270_128
; %bb.127:
	v_add_co_u32 v20, vcc_lo, v16, v32
	v_add_co_ci_u32_e32 v21, vcc_lo, v17, v33, vcc_lo
	flat_load_u16 v20, v[20:21]
	s_waitcnt vmcnt(0) lgkmcnt(0)
	v_mul_f16_e32 v20, v48, v20
.LBB270_128:
	v_pk_add_f16 v21, v8, v12
	v_pk_max_f16 v22, v71, v71
	v_pk_add_f16 v23, v9, v13
	s_delay_alu instid0(VALU_DEP_2) | instskip(SKIP_1) | instid1(VALU_DEP_2)
	v_pk_min_f16 v21, v22, v21
	v_add_co_u32 v22, vcc_lo, v18, v32
	v_pk_min_f16 v21, v21, v23
	v_add_co_ci_u32_e32 v23, vcc_lo, v19, v33, vcc_lo
	s_and_b32 vcc_lo, exec_lo, s0
	s_delay_alu instid0(VALU_DEP_2) | instskip(NEXT) | instid1(VALU_DEP_1)
	v_lshrrev_b32_e32 v46, 16, v21
	v_min3_f16 v46, v20, v21, v46
	v_dual_mov_b32 v20, 0 :: v_dual_mov_b32 v21, 0
	global_store_b16 v[22:23], v46, off
	s_cbranch_vccnz .LBB270_130
; %bb.129:
	v_add_co_u32 v21, vcc_lo, v16, v34
	v_add_co_ci_u32_e32 v22, vcc_lo, v17, v35, vcc_lo
	flat_load_u16 v21, v[21:22]
	s_waitcnt vmcnt(0) lgkmcnt(0)
	v_mul_f16_e32 v21, v48, v21
.LBB270_130:
	v_pk_add_f16 v22, v10, v12
	v_pk_max_f16 v23, v70, v70
	v_pk_add_f16 v46, v11, v13
	s_delay_alu instid0(VALU_DEP_2) | instskip(NEXT) | instid1(VALU_DEP_1)
	v_pk_min_f16 v22, v23, v22
	v_pk_min_f16 v22, v22, v46
	s_delay_alu instid0(VALU_DEP_1) | instskip(NEXT) | instid1(VALU_DEP_1)
	v_lshrrev_b32_e32 v23, 16, v22
	v_min3_f16 v23, v21, v22, v23
	v_add_co_u32 v21, vcc_lo, v18, v34
	v_add_co_ci_u32_e32 v22, vcc_lo, v19, v35, vcc_lo
	s_and_b32 vcc_lo, exec_lo, s0
	global_store_b16 v[21:22], v23, off
	s_cbranch_vccnz .LBB270_132
; %bb.131:
	v_add_co_u32 v20, vcc_lo, v16, v40
	v_add_co_ci_u32_e32 v21, vcc_lo, v17, v41, vcc_lo
	flat_load_u16 v20, v[20:21]
	s_waitcnt vmcnt(0) lgkmcnt(0)
	v_mul_f16_e32 v20, v48, v20
.LBB270_132:
	v_pk_add_f16 v21, v4, v12
	v_pk_max_f16 v22, v69, v69
	v_pk_add_f16 v23, v5, v13
	s_delay_alu instid0(VALU_DEP_2) | instskip(SKIP_1) | instid1(VALU_DEP_2)
	v_pk_min_f16 v21, v22, v21
	v_add_co_u32 v22, vcc_lo, v18, v40
	v_pk_min_f16 v21, v21, v23
	v_add_co_ci_u32_e32 v23, vcc_lo, v19, v41, vcc_lo
	s_and_b32 vcc_lo, exec_lo, s0
	s_delay_alu instid0(VALU_DEP_2) | instskip(NEXT) | instid1(VALU_DEP_1)
	v_lshrrev_b32_e32 v46, 16, v21
	v_min3_f16 v46, v20, v21, v46
	v_dual_mov_b32 v20, 0 :: v_dual_mov_b32 v21, 0
	global_store_b16 v[22:23], v46, off
	s_cbranch_vccnz .LBB270_134
; %bb.133:
	v_add_co_u32 v21, vcc_lo, v16, v42
	v_add_co_ci_u32_e32 v22, vcc_lo, v17, v43, vcc_lo
	flat_load_u16 v21, v[21:22]
	s_waitcnt vmcnt(0) lgkmcnt(0)
	v_mul_f16_e32 v21, v48, v21
.LBB270_134:
	v_pk_add_f16 v22, v6, v12
	v_pk_max_f16 v23, v68, v68
	v_pk_add_f16 v46, v7, v13
	s_delay_alu instid0(VALU_DEP_2) | instskip(NEXT) | instid1(VALU_DEP_1)
	v_pk_min_f16 v22, v23, v22
	v_pk_min_f16 v22, v22, v46
	s_delay_alu instid0(VALU_DEP_1) | instskip(NEXT) | instid1(VALU_DEP_1)
	v_lshrrev_b32_e32 v23, 16, v22
	v_min3_f16 v23, v21, v22, v23
	v_add_co_u32 v21, vcc_lo, v18, v42
	v_add_co_ci_u32_e32 v22, vcc_lo, v19, v43, vcc_lo
	s_and_b32 vcc_lo, exec_lo, s0
	global_store_b16 v[21:22], v23, off
	s_cbranch_vccnz .LBB270_136
; %bb.135:
	v_add_co_u32 v20, vcc_lo, v16, v38
	v_add_co_ci_u32_e32 v21, vcc_lo, v17, v39, vcc_lo
	flat_load_u16 v20, v[20:21]
	s_waitcnt vmcnt(0) lgkmcnt(0)
	v_mul_f16_e32 v20, v48, v20
.LBB270_136:
	v_pk_add_f16 v21, v0, v12
	v_pk_max_f16 v22, v67, v67
	v_pk_add_f16 v23, v1, v13
	s_delay_alu instid0(VALU_DEP_2) | instskip(SKIP_1) | instid1(VALU_DEP_2)
	v_pk_min_f16 v21, v22, v21
	v_add_co_u32 v22, vcc_lo, v18, v38
	v_pk_min_f16 v21, v21, v23
	v_add_co_ci_u32_e32 v23, vcc_lo, v19, v39, vcc_lo
	s_and_b32 vcc_lo, exec_lo, s0
	s_delay_alu instid0(VALU_DEP_2) | instskip(NEXT) | instid1(VALU_DEP_1)
	v_lshrrev_b32_e32 v46, 16, v21
	v_min3_f16 v46, v20, v21, v46
	v_dual_mov_b32 v20, 0 :: v_dual_mov_b32 v21, 0
	global_store_b16 v[22:23], v46, off
	s_cbranch_vccnz .LBB270_138
; %bb.137:
	v_add_co_u32 v21, vcc_lo, v16, v36
	v_add_co_ci_u32_e32 v22, vcc_lo, v17, v37, vcc_lo
	flat_load_u16 v21, v[21:22]
	s_waitcnt vmcnt(0) lgkmcnt(0)
	v_mul_f16_e32 v21, v48, v21
.LBB270_138:
	v_pk_add_f16 v22, v2, v12
	v_pk_max_f16 v23, v66, v66
	v_pk_add_f16 v46, v3, v13
	s_delay_alu instid0(VALU_DEP_2) | instskip(NEXT) | instid1(VALU_DEP_1)
	v_pk_min_f16 v22, v23, v22
	v_pk_min_f16 v22, v22, v46
	s_delay_alu instid0(VALU_DEP_1) | instskip(NEXT) | instid1(VALU_DEP_1)
	v_lshrrev_b32_e32 v23, 16, v22
	v_min3_f16 v23, v21, v22, v23
	v_add_co_u32 v21, vcc_lo, v18, v36
	v_add_co_ci_u32_e32 v22, vcc_lo, v19, v37, vcc_lo
	s_and_b32 vcc_lo, exec_lo, s0
	global_store_b16 v[21:22], v23, off
	s_cbranch_vccnz .LBB270_140
; %bb.139:
	v_add_co_u32 v16, vcc_lo, v16, v44
	v_add_co_ci_u32_e32 v17, vcc_lo, v17, v45, vcc_lo
	flat_load_u16 v16, v[16:17]
	s_waitcnt vmcnt(0) lgkmcnt(0)
	v_mul_f16_e32 v20, v48, v16
.LBB270_140:
	v_add_nc_u32_e32 v16, 0xc0, v88
	v_pk_add_f16 v12, v24, v12
	v_pk_max_f16 v17, v65, v65
	v_pk_add_f16 v13, v25, v13
	s_delay_alu instid0(VALU_DEP_4) | instskip(NEXT) | instid1(VALU_DEP_3)
	v_mad_i64_i32 v[21:22], null, v16, s5, 0
	v_pk_min_f16 v12, v17, v12
	s_delay_alu instid0(VALU_DEP_1) | instskip(NEXT) | instid1(VALU_DEP_3)
	v_pk_min_f16 v17, v12, v13
	v_lshlrev_b64 v[12:13], 1, v[21:22]
	v_add_co_u32 v21, vcc_lo, v18, v44
	v_add_co_ci_u32_e32 v22, vcc_lo, v19, v45, vcc_lo
	v_mov_b32_e32 v19, 0
	v_lshrrev_b32_e32 v18, 16, v17
	v_add_co_u32 v12, vcc_lo, s8, v12
	v_add_co_ci_u32_e32 v13, vcc_lo, s9, v13, vcc_lo
	s_delay_alu instid0(VALU_DEP_3)
	v_min3_f16 v17, v20, v17, v18
	v_mov_b32_e32 v18, 0
	s_and_b32 vcc_lo, exec_lo, s0
	global_store_b16 v[21:22], v17, off
	s_cbranch_vccnz .LBB270_142
; %bb.141:
	v_add_co_u32 v19, vcc_lo, v12, v30
	v_add_co_ci_u32_e32 v20, vcc_lo, v13, v31, vcc_lo
	flat_load_u16 v17, v[19:20]
	s_waitcnt vmcnt(0) lgkmcnt(0)
	v_mul_f16_e32 v19, v48, v17
.LBB270_142:
	v_pk_add_f16 v17, v28, v14
	v_pk_max_f16 v22, v64, v64
	v_mad_i64_i32 v[20:21], null, v16, s4, 0
	v_pk_add_f16 v16, v29, v15
	s_delay_alu instid0(VALU_DEP_3) | instskip(NEXT) | instid1(VALU_DEP_1)
	v_pk_min_f16 v17, v22, v17
	v_pk_min_f16 v22, v17, v16
	s_delay_alu instid0(VALU_DEP_4) | instskip(NEXT) | instid1(VALU_DEP_2)
	v_lshlrev_b64 v[16:17], 1, v[20:21]
	v_lshrrev_b32_e32 v20, 16, v22
	s_delay_alu instid0(VALU_DEP_2) | instskip(NEXT) | instid1(VALU_DEP_3)
	v_add_co_u32 v16, vcc_lo, s1, v16
	v_add_co_ci_u32_e32 v17, vcc_lo, s6, v17, vcc_lo
	s_delay_alu instid0(VALU_DEP_3) | instskip(NEXT) | instid1(VALU_DEP_3)
	v_min3_f16 v21, v19, v22, v20
	v_add_co_u32 v19, vcc_lo, v16, v30
	s_delay_alu instid0(VALU_DEP_3)
	v_add_co_ci_u32_e32 v20, vcc_lo, v17, v31, vcc_lo
	s_and_b32 vcc_lo, exec_lo, s0
	global_store_b16 v[19:20], v21, off
	s_cbranch_vccnz .LBB270_144
; %bb.143:
	v_add_co_u32 v18, vcc_lo, v12, v32
	v_add_co_ci_u32_e32 v19, vcc_lo, v13, v33, vcc_lo
	flat_load_u16 v18, v[18:19]
	s_waitcnt vmcnt(0) lgkmcnt(0)
	v_mul_f16_e32 v18, v48, v18
.LBB270_144:
	v_pk_add_f16 v19, v8, v14
	v_pk_max_f16 v20, v63, v63
	v_pk_add_f16 v21, v9, v15
	s_delay_alu instid0(VALU_DEP_2) | instskip(SKIP_1) | instid1(VALU_DEP_2)
	v_pk_min_f16 v19, v20, v19
	v_add_co_u32 v20, vcc_lo, v16, v32
	v_pk_min_f16 v19, v19, v21
	v_add_co_ci_u32_e32 v21, vcc_lo, v17, v33, vcc_lo
	s_and_b32 vcc_lo, exec_lo, s0
	s_delay_alu instid0(VALU_DEP_2) | instskip(NEXT) | instid1(VALU_DEP_1)
	v_lshrrev_b32_e32 v22, 16, v19
	v_min3_f16 v22, v18, v19, v22
	v_dual_mov_b32 v18, 0 :: v_dual_mov_b32 v19, 0
	global_store_b16 v[20:21], v22, off
	s_cbranch_vccnz .LBB270_146
; %bb.145:
	v_add_co_u32 v19, vcc_lo, v12, v34
	v_add_co_ci_u32_e32 v20, vcc_lo, v13, v35, vcc_lo
	flat_load_u16 v19, v[19:20]
	s_waitcnt vmcnt(0) lgkmcnt(0)
	v_mul_f16_e32 v19, v48, v19
.LBB270_146:
	v_pk_add_f16 v20, v10, v14
	v_pk_max_f16 v21, v62, v62
	v_pk_add_f16 v22, v11, v15
	s_delay_alu instid0(VALU_DEP_2) | instskip(NEXT) | instid1(VALU_DEP_1)
	v_pk_min_f16 v20, v21, v20
	v_pk_min_f16 v20, v20, v22
	s_delay_alu instid0(VALU_DEP_1) | instskip(NEXT) | instid1(VALU_DEP_1)
	v_lshrrev_b32_e32 v21, 16, v20
	v_min3_f16 v21, v19, v20, v21
	v_add_co_u32 v19, vcc_lo, v16, v34
	v_add_co_ci_u32_e32 v20, vcc_lo, v17, v35, vcc_lo
	s_and_b32 vcc_lo, exec_lo, s0
	global_store_b16 v[19:20], v21, off
	s_cbranch_vccnz .LBB270_148
; %bb.147:
	v_add_co_u32 v18, vcc_lo, v12, v40
	v_add_co_ci_u32_e32 v19, vcc_lo, v13, v41, vcc_lo
	flat_load_u16 v18, v[18:19]
	s_waitcnt vmcnt(0) lgkmcnt(0)
	v_mul_f16_e32 v18, v48, v18
.LBB270_148:
	v_pk_add_f16 v19, v4, v14
	v_pk_max_f16 v20, v61, v61
	v_pk_add_f16 v21, v5, v15
	s_delay_alu instid0(VALU_DEP_2) | instskip(SKIP_1) | instid1(VALU_DEP_2)
	v_pk_min_f16 v19, v20, v19
	v_add_co_u32 v20, vcc_lo, v16, v40
	v_pk_min_f16 v19, v19, v21
	v_add_co_ci_u32_e32 v21, vcc_lo, v17, v41, vcc_lo
	s_and_b32 vcc_lo, exec_lo, s0
	s_delay_alu instid0(VALU_DEP_2) | instskip(NEXT) | instid1(VALU_DEP_1)
	v_lshrrev_b32_e32 v22, 16, v19
	v_min3_f16 v22, v18, v19, v22
	v_dual_mov_b32 v18, 0 :: v_dual_mov_b32 v19, 0
	global_store_b16 v[20:21], v22, off
	s_cbranch_vccnz .LBB270_150
; %bb.149:
	v_add_co_u32 v19, vcc_lo, v12, v42
	v_add_co_ci_u32_e32 v20, vcc_lo, v13, v43, vcc_lo
	flat_load_u16 v19, v[19:20]
	s_waitcnt vmcnt(0) lgkmcnt(0)
	v_mul_f16_e32 v19, v48, v19
.LBB270_150:
	v_pk_add_f16 v20, v6, v14
	v_pk_max_f16 v21, v60, v60
	v_pk_add_f16 v22, v7, v15
	s_delay_alu instid0(VALU_DEP_2) | instskip(NEXT) | instid1(VALU_DEP_1)
	v_pk_min_f16 v20, v21, v20
	v_pk_min_f16 v20, v20, v22
	s_delay_alu instid0(VALU_DEP_1) | instskip(NEXT) | instid1(VALU_DEP_1)
	v_lshrrev_b32_e32 v21, 16, v20
	v_min3_f16 v21, v19, v20, v21
	v_add_co_u32 v19, vcc_lo, v16, v42
	;; [unrolled: 43-line block ×3, first 2 shown]
	v_add_co_ci_u32_e32 v20, vcc_lo, v17, v37, vcc_lo
	s_and_b32 vcc_lo, exec_lo, s0
	global_store_b16 v[19:20], v21, off
	s_cbranch_vccnz .LBB270_156
; %bb.155:
	v_add_co_u32 v12, vcc_lo, v12, v44
	v_add_co_ci_u32_e32 v13, vcc_lo, v13, v45, vcc_lo
	flat_load_u16 v12, v[12:13]
	s_waitcnt vmcnt(0) lgkmcnt(0)
	v_mul_f16_e32 v18, v48, v12
.LBB270_156:
	v_pk_add_f16 v14, v24, v14
	v_pk_max_f16 v20, v57, v57
	v_pk_add_f16 v15, v25, v15
	v_add_nc_u32_e32 v19, 0xe0, v88
	s_delay_alu instid0(VALU_DEP_3) | instskip(NEXT) | instid1(VALU_DEP_1)
	v_pk_min_f16 v14, v20, v14
	v_pk_min_f16 v20, v14, v15
	v_add_co_u32 v14, vcc_lo, v16, v44
	v_add_co_ci_u32_e32 v15, vcc_lo, v17, v45, vcc_lo
	s_delay_alu instid0(VALU_DEP_3) | instskip(SKIP_1) | instid1(VALU_DEP_2)
	v_lshrrev_b32_e32 v16, 16, v20
	v_mov_b32_e32 v17, 0
	v_min3_f16 v18, v18, v20, v16
	v_mov_b32_e32 v16, 0
	v_mad_i64_i32 v[12:13], null, v19, s5, 0
	global_store_b16 v[14:15], v18, off
	v_lshlrev_b64 v[12:13], 1, v[12:13]
	s_delay_alu instid0(VALU_DEP_1) | instskip(NEXT) | instid1(VALU_DEP_2)
	v_add_co_u32 v12, vcc_lo, s8, v12
	v_add_co_ci_u32_e32 v13, vcc_lo, s9, v13, vcc_lo
	s_and_b32 vcc_lo, exec_lo, s0
	s_cbranch_vccnz .LBB270_158
; %bb.157:
	s_delay_alu instid0(VALU_DEP_2) | instskip(NEXT) | instid1(VALU_DEP_2)
	v_add_co_u32 v14, vcc_lo, v12, v30
	v_add_co_ci_u32_e32 v15, vcc_lo, v13, v31, vcc_lo
	flat_load_u16 v14, v[14:15]
	s_waitcnt vmcnt(0) lgkmcnt(0)
	v_mul_f16_e32 v17, v48, v14
.LBB270_158:
	v_pk_add_f16 v18, v28, v26
	v_pk_max_f16 v20, v56, v56
	v_mad_i64_i32 v[14:15], null, v19, s4, 0
	v_pk_add_f16 v19, v29, v27
	s_delay_alu instid0(VALU_DEP_3) | instskip(NEXT) | instid1(VALU_DEP_3)
	v_pk_min_f16 v18, v20, v18
	v_lshlrev_b64 v[14:15], 1, v[14:15]
	s_delay_alu instid0(VALU_DEP_2) | instskip(NEXT) | instid1(VALU_DEP_2)
	v_pk_min_f16 v18, v18, v19
	v_add_co_u32 v14, vcc_lo, s1, v14
	s_delay_alu instid0(VALU_DEP_2) | instskip(NEXT) | instid1(VALU_DEP_4)
	v_lshrrev_b32_e32 v19, 16, v18
	v_add_co_ci_u32_e32 v15, vcc_lo, s6, v15, vcc_lo
	s_delay_alu instid0(VALU_DEP_2) | instskip(NEXT) | instid1(VALU_DEP_4)
	v_min3_f16 v19, v17, v18, v19
	v_add_co_u32 v17, vcc_lo, v14, v30
	s_delay_alu instid0(VALU_DEP_3)
	v_add_co_ci_u32_e32 v18, vcc_lo, v15, v31, vcc_lo
	s_and_b32 vcc_lo, exec_lo, s0
	global_store_b16 v[17:18], v19, off
	s_cbranch_vccnz .LBB270_160
; %bb.159:
	v_add_co_u32 v16, vcc_lo, v12, v32
	v_add_co_ci_u32_e32 v17, vcc_lo, v13, v33, vcc_lo
	flat_load_u16 v16, v[16:17]
	s_waitcnt vmcnt(0) lgkmcnt(0)
	v_mul_f16_e32 v16, v48, v16
.LBB270_160:
	v_pk_add_f16 v8, v8, v26
	v_pk_max_f16 v17, v55, v55
	v_pk_add_f16 v9, v9, v27
	s_delay_alu instid0(VALU_DEP_2) | instskip(SKIP_2) | instid1(VALU_DEP_3)
	v_pk_min_f16 v8, v17, v8
	v_add_co_u32 v17, vcc_lo, v14, v32
	v_add_co_ci_u32_e32 v18, vcc_lo, v15, v33, vcc_lo
	v_pk_min_f16 v8, v8, v9
	s_and_b32 vcc_lo, exec_lo, s0
	s_delay_alu instid0(VALU_DEP_1) | instskip(NEXT) | instid1(VALU_DEP_1)
	v_lshrrev_b32_e32 v9, 16, v8
	v_min3_f16 v16, v16, v8, v9
	v_dual_mov_b32 v8, 0 :: v_dual_mov_b32 v9, 0
	global_store_b16 v[17:18], v16, off
	s_cbranch_vccnz .LBB270_162
; %bb.161:
	v_add_co_u32 v16, vcc_lo, v12, v34
	v_add_co_ci_u32_e32 v17, vcc_lo, v13, v35, vcc_lo
	flat_load_u16 v9, v[16:17]
	s_waitcnt vmcnt(0) lgkmcnt(0)
	v_mul_f16_e32 v9, v48, v9
.LBB270_162:
	v_pk_add_f16 v10, v10, v26
	v_pk_max_f16 v16, v54, v54
	v_pk_add_f16 v11, v11, v27
	s_delay_alu instid0(VALU_DEP_2) | instskip(NEXT) | instid1(VALU_DEP_1)
	v_pk_min_f16 v10, v16, v10
	v_pk_min_f16 v10, v10, v11
	s_delay_alu instid0(VALU_DEP_1) | instskip(NEXT) | instid1(VALU_DEP_1)
	v_lshrrev_b32_e32 v11, 16, v10
	v_min3_f16 v11, v9, v10, v11
	v_add_co_u32 v9, vcc_lo, v14, v34
	v_add_co_ci_u32_e32 v10, vcc_lo, v15, v35, vcc_lo
	s_and_b32 vcc_lo, exec_lo, s0
	global_store_b16 v[9:10], v11, off
	s_cbranch_vccnz .LBB270_164
; %bb.163:
	v_add_co_u32 v8, vcc_lo, v12, v40
	v_add_co_ci_u32_e32 v9, vcc_lo, v13, v41, vcc_lo
	flat_load_u16 v8, v[8:9]
	s_waitcnt vmcnt(0) lgkmcnt(0)
	v_mul_f16_e32 v8, v48, v8
.LBB270_164:
	v_pk_add_f16 v4, v4, v26
	v_pk_max_f16 v9, v53, v53
	v_pk_add_f16 v5, v5, v27
	s_delay_alu instid0(VALU_DEP_2) | instskip(SKIP_2) | instid1(VALU_DEP_3)
	v_pk_min_f16 v4, v9, v4
	v_add_co_u32 v9, vcc_lo, v14, v40
	v_add_co_ci_u32_e32 v10, vcc_lo, v15, v41, vcc_lo
	v_pk_min_f16 v4, v4, v5
	s_and_b32 vcc_lo, exec_lo, s0
	s_delay_alu instid0(VALU_DEP_1) | instskip(NEXT) | instid1(VALU_DEP_1)
	v_lshrrev_b32_e32 v5, 16, v4
	v_min3_f16 v8, v8, v4, v5
	v_dual_mov_b32 v4, 0 :: v_dual_mov_b32 v5, 0
	global_store_b16 v[9:10], v8, off
	s_cbranch_vccnz .LBB270_166
; %bb.165:
	v_add_co_u32 v8, vcc_lo, v12, v42
	v_add_co_ci_u32_e32 v9, vcc_lo, v13, v43, vcc_lo
	flat_load_u16 v5, v[8:9]
	s_waitcnt vmcnt(0) lgkmcnt(0)
	v_mul_f16_e32 v5, v48, v5
.LBB270_166:
	v_pk_add_f16 v6, v6, v26
	v_pk_max_f16 v8, v52, v52
	v_pk_add_f16 v7, v7, v27
	s_delay_alu instid0(VALU_DEP_2) | instskip(NEXT) | instid1(VALU_DEP_1)
	v_pk_min_f16 v6, v8, v6
	v_pk_min_f16 v6, v6, v7
	s_delay_alu instid0(VALU_DEP_1) | instskip(NEXT) | instid1(VALU_DEP_1)
	v_lshrrev_b32_e32 v7, 16, v6
	v_min3_f16 v7, v5, v6, v7
	v_add_co_u32 v5, vcc_lo, v14, v42
	v_add_co_ci_u32_e32 v6, vcc_lo, v15, v43, vcc_lo
	s_and_b32 vcc_lo, exec_lo, s0
	global_store_b16 v[5:6], v7, off
	s_cbranch_vccnz .LBB270_168
; %bb.167:
	v_add_co_u32 v4, vcc_lo, v12, v38
	v_add_co_ci_u32_e32 v5, vcc_lo, v13, v39, vcc_lo
	flat_load_u16 v4, v[4:5]
	s_waitcnt vmcnt(0) lgkmcnt(0)
	v_mul_f16_e32 v4, v48, v4
.LBB270_168:
	v_pk_add_f16 v0, v0, v26
	v_pk_max_f16 v5, v51, v51
	v_pk_add_f16 v2, v2, v26
	v_pk_max_f16 v6, v50, v50
	v_pk_add_f16 v1, v1, v27
	v_pk_add_f16 v3, v3, v27
	v_pk_min_f16 v0, v5, v0
	s_delay_alu instid0(VALU_DEP_4) | instskip(NEXT) | instid1(VALU_DEP_2)
	v_pk_min_f16 v2, v6, v2
	v_pk_min_f16 v0, v0, v1
	s_delay_alu instid0(VALU_DEP_2) | instskip(NEXT) | instid1(VALU_DEP_2)
	v_pk_min_f16 v1, v2, v3
	v_lshrrev_b32_e32 v2, 16, v0
	s_delay_alu instid0(VALU_DEP_2) | instskip(NEXT) | instid1(VALU_DEP_2)
	v_lshrrev_b32_e32 v3, 16, v1
	v_min3_f16 v4, v4, v0, v2
	s_delay_alu instid0(VALU_DEP_2) | instskip(SKIP_2) | instid1(VALU_DEP_3)
	v_min_f16_e32 v0, v1, v3
	v_add_co_u32 v1, vcc_lo, v14, v38
	v_add_co_ci_u32_e32 v2, vcc_lo, v15, v39, vcc_lo
	v_max_f16_e32 v0, v0, v0
	s_mov_b32 vcc_lo, s2
	global_store_b16 v[1:2], v4, off
	s_cbranch_vccz .LBB270_171
; %bb.169:
	v_add_co_u32 v1, vcc_lo, v14, v36
	v_min_f16_e32 v3, 0, v0
	v_add_co_ci_u32_e32 v2, vcc_lo, v15, v37, vcc_lo
	s_mov_b32 s0, 0
	global_store_b16 v[1:2], v3, off
	s_cbranch_execz .LBB270_172
; %bb.170:
	v_mov_b32_e32 v0, s0
	s_branch .LBB270_173
.LBB270_171:
	s_mov_b32 s0, -1
.LBB270_172:
	v_add_co_u32 v1, vcc_lo, v12, v36
	v_add_co_ci_u32_e32 v2, vcc_lo, v13, v37, vcc_lo
	flat_load_u16 v1, v[1:2]
	s_waitcnt vmcnt(0) lgkmcnt(0)
	v_mul_f16_e32 v3, v48, v1
	v_add_co_u32 v1, vcc_lo, v14, v36
	v_add_co_ci_u32_e32 v2, vcc_lo, v15, v37, vcc_lo
	s_delay_alu instid0(VALU_DEP_3)
	v_min_f16_e32 v0, v3, v0
	v_add_co_u32 v3, vcc_lo, v12, v44
	v_add_co_ci_u32_e32 v4, vcc_lo, v13, v45, vcc_lo
	global_store_b16 v[1:2], v0, off
	flat_load_u16 v0, v[3:4]
	s_waitcnt vmcnt(0) lgkmcnt(0)
	v_mul_f16_e32 v0, v48, v0
.LBB270_173:
	v_pk_add_f16 v1, v24, v26
	v_pk_max_f16 v2, v49, v49
	v_pk_add_f16 v3, v25, v27
	s_delay_alu instid0(VALU_DEP_2) | instskip(NEXT) | instid1(VALU_DEP_1)
	v_pk_min_f16 v1, v2, v1
	v_pk_min_f16 v1, v1, v3
	s_delay_alu instid0(VALU_DEP_1) | instskip(NEXT) | instid1(VALU_DEP_1)
	v_lshrrev_b32_e32 v2, 16, v1
	v_min3_f16 v2, v0, v1, v2
	v_add_co_u32 v0, vcc_lo, v14, v44
	v_add_co_ci_u32_e32 v1, vcc_lo, v15, v45, vcc_lo
	global_store_b16 v[0:1], v2, off
	s_nop 0
	s_sendmsg sendmsg(MSG_DEALLOC_VGPRS)
	s_endpgm
	.section	.rodata,"a",@progbits
	.p2align	6, 0x0
	.amdhsa_kernel _ZN12_GLOBAL__N_120geam_min_plus_kernelIDF16_Dv2_DF16_S1_Li8ELi32ELi64ELi256ELi4ELi64ELi4ELi64ELi4ELc78ELc84ELb0ELb0ELb1EPKDF16_S2_DF16_EEviiiT16_PT17_ilS6_ilS4_S6_ilPT18_ili26rocblas_geam_ex_operation_
		.amdhsa_group_segment_fixed_size 5120
		.amdhsa_private_segment_fixed_size 0
		.amdhsa_kernarg_size 136
		.amdhsa_user_sgpr_count 14
		.amdhsa_user_sgpr_dispatch_ptr 0
		.amdhsa_user_sgpr_queue_ptr 0
		.amdhsa_user_sgpr_kernarg_segment_ptr 1
		.amdhsa_user_sgpr_dispatch_id 0
		.amdhsa_user_sgpr_private_segment_size 0
		.amdhsa_wavefront_size32 1
		.amdhsa_uses_dynamic_stack 0
		.amdhsa_enable_private_segment 0
		.amdhsa_system_sgpr_workgroup_id_x 1
		.amdhsa_system_sgpr_workgroup_id_y 0
		.amdhsa_system_sgpr_workgroup_id_z 1
		.amdhsa_system_sgpr_workgroup_info 0
		.amdhsa_system_vgpr_workitem_id 1
		.amdhsa_next_free_vgpr 155
		.amdhsa_next_free_sgpr 26
		.amdhsa_reserve_vcc 1
		.amdhsa_float_round_mode_32 0
		.amdhsa_float_round_mode_16_64 0
		.amdhsa_float_denorm_mode_32 3
		.amdhsa_float_denorm_mode_16_64 3
		.amdhsa_dx10_clamp 1
		.amdhsa_ieee_mode 1
		.amdhsa_fp16_overflow 0
		.amdhsa_workgroup_processor_mode 1
		.amdhsa_memory_ordered 1
		.amdhsa_forward_progress 0
		.amdhsa_shared_vgpr_count 0
		.amdhsa_exception_fp_ieee_invalid_op 0
		.amdhsa_exception_fp_denorm_src 0
		.amdhsa_exception_fp_ieee_div_zero 0
		.amdhsa_exception_fp_ieee_overflow 0
		.amdhsa_exception_fp_ieee_underflow 0
		.amdhsa_exception_fp_ieee_inexact 0
		.amdhsa_exception_int_div_zero 0
	.end_amdhsa_kernel
	.section	.text._ZN12_GLOBAL__N_120geam_min_plus_kernelIDF16_Dv2_DF16_S1_Li8ELi32ELi64ELi256ELi4ELi64ELi4ELi64ELi4ELc78ELc84ELb0ELb0ELb1EPKDF16_S2_DF16_EEviiiT16_PT17_ilS6_ilS4_S6_ilPT18_ili26rocblas_geam_ex_operation_,"axG",@progbits,_ZN12_GLOBAL__N_120geam_min_plus_kernelIDF16_Dv2_DF16_S1_Li8ELi32ELi64ELi256ELi4ELi64ELi4ELi64ELi4ELc78ELc84ELb0ELb0ELb1EPKDF16_S2_DF16_EEviiiT16_PT17_ilS6_ilS4_S6_ilPT18_ili26rocblas_geam_ex_operation_,comdat
.Lfunc_end270:
	.size	_ZN12_GLOBAL__N_120geam_min_plus_kernelIDF16_Dv2_DF16_S1_Li8ELi32ELi64ELi256ELi4ELi64ELi4ELi64ELi4ELc78ELc84ELb0ELb0ELb1EPKDF16_S2_DF16_EEviiiT16_PT17_ilS6_ilS4_S6_ilPT18_ili26rocblas_geam_ex_operation_, .Lfunc_end270-_ZN12_GLOBAL__N_120geam_min_plus_kernelIDF16_Dv2_DF16_S1_Li8ELi32ELi64ELi256ELi4ELi64ELi4ELi64ELi4ELc78ELc84ELb0ELb0ELb1EPKDF16_S2_DF16_EEviiiT16_PT17_ilS6_ilS4_S6_ilPT18_ili26rocblas_geam_ex_operation_
                                        ; -- End function
	.section	.AMDGPU.csdata,"",@progbits
; Kernel info:
; codeLenInByte = 18588
; NumSgprs: 28
; NumVgprs: 155
; ScratchSize: 0
; MemoryBound: 0
; FloatMode: 240
; IeeeMode: 1
; LDSByteSize: 5120 bytes/workgroup (compile time only)
; SGPRBlocks: 3
; VGPRBlocks: 19
; NumSGPRsForWavesPerEU: 28
; NumVGPRsForWavesPerEU: 155
; Occupancy: 9
; WaveLimiterHint : 1
; COMPUTE_PGM_RSRC2:SCRATCH_EN: 0
; COMPUTE_PGM_RSRC2:USER_SGPR: 14
; COMPUTE_PGM_RSRC2:TRAP_HANDLER: 0
; COMPUTE_PGM_RSRC2:TGID_X_EN: 1
; COMPUTE_PGM_RSRC2:TGID_Y_EN: 0
; COMPUTE_PGM_RSRC2:TGID_Z_EN: 1
; COMPUTE_PGM_RSRC2:TIDIG_COMP_CNT: 1
	.section	.text._ZN12_GLOBAL__N_120geam_min_plus_kernelIDF16_Dv2_DF16_S1_Li8ELi32ELi64ELi256ELi4ELi64ELi4ELi64ELi4ELc78ELc84ELb1ELb0ELb1EDF16_KDF16_DF16_EEviiiT16_PT17_ilS5_ilS3_S5_ilPT18_ili26rocblas_geam_ex_operation_,"axG",@progbits,_ZN12_GLOBAL__N_120geam_min_plus_kernelIDF16_Dv2_DF16_S1_Li8ELi32ELi64ELi256ELi4ELi64ELi4ELi64ELi4ELc78ELc84ELb1ELb0ELb1EDF16_KDF16_DF16_EEviiiT16_PT17_ilS5_ilS3_S5_ilPT18_ili26rocblas_geam_ex_operation_,comdat
	.globl	_ZN12_GLOBAL__N_120geam_min_plus_kernelIDF16_Dv2_DF16_S1_Li8ELi32ELi64ELi256ELi4ELi64ELi4ELi64ELi4ELc78ELc84ELb1ELb0ELb1EDF16_KDF16_DF16_EEviiiT16_PT17_ilS5_ilS3_S5_ilPT18_ili26rocblas_geam_ex_operation_ ; -- Begin function _ZN12_GLOBAL__N_120geam_min_plus_kernelIDF16_Dv2_DF16_S1_Li8ELi32ELi64ELi256ELi4ELi64ELi4ELi64ELi4ELc78ELc84ELb1ELb0ELb1EDF16_KDF16_DF16_EEviiiT16_PT17_ilS5_ilS3_S5_ilPT18_ili26rocblas_geam_ex_operation_
	.p2align	8
	.type	_ZN12_GLOBAL__N_120geam_min_plus_kernelIDF16_Dv2_DF16_S1_Li8ELi32ELi64ELi256ELi4ELi64ELi4ELi64ELi4ELc78ELc84ELb1ELb0ELb1EDF16_KDF16_DF16_EEviiiT16_PT17_ilS5_ilS3_S5_ilPT18_ili26rocblas_geam_ex_operation_,@function
_ZN12_GLOBAL__N_120geam_min_plus_kernelIDF16_Dv2_DF16_S1_Li8ELi32ELi64ELi256ELi4ELi64ELi4ELi64ELi4ELc78ELc84ELb1ELb0ELb1EDF16_KDF16_DF16_EEviiiT16_PT17_ilS5_ilS3_S5_ilPT18_ili26rocblas_geam_ex_operation_: ; @_ZN12_GLOBAL__N_120geam_min_plus_kernelIDF16_Dv2_DF16_S1_Li8ELi32ELi64ELi256ELi4ELi64ELi4ELi64ELi4ELc78ELc84ELb1ELb0ELb1EDF16_KDF16_DF16_EEviiiT16_PT17_ilS5_ilS3_S5_ilPT18_ili26rocblas_geam_ex_operation_
; %bb.0:
	s_clause 0x1
	s_load_b64 s[10:11], s[0:1], 0x8
	s_load_b128 s[4:7], s[0:1], 0x20
	s_waitcnt lgkmcnt(0)
	v_cmp_eq_f16_e64 s2, s11, 0
	s_delay_alu instid0(VALU_DEP_1)
	s_and_b32 vcc_lo, exec_lo, s2
	s_cbranch_vccnz .LBB271_3
; %bb.1:
	s_load_b64 s[8:9], s[0:1], 0x10
	s_mul_i32 s3, s15, s5
	s_mul_hi_u32 s5, s15, s4
	s_mul_i32 s4, s15, s4
	s_add_i32 s5, s5, s3
	s_delay_alu instid0(SALU_CYCLE_1)
	s_lshl_b64 s[4:5], s[4:5], 1
	s_waitcnt lgkmcnt(0)
	s_add_u32 s8, s8, s4
	s_addc_u32 s9, s9, s5
	s_and_not1_b32 vcc_lo, exec_lo, s2
	s_cbranch_vccnz .LBB271_4
.LBB271_2:
	s_mov_b32 s21, 0
	s_mov_b64 s[12:13], 0
	s_cbranch_execz .LBB271_5
	s_branch .LBB271_6
.LBB271_3:
	s_mov_b64 s[8:9], 0
	s_and_not1_b32 vcc_lo, exec_lo, s2
	s_cbranch_vccz .LBB271_2
.LBB271_4:
	s_mov_b32 s21, -1
                                        ; implicit-def: $sgpr12_sgpr13
.LBB271_5:
	s_load_b64 s[2:3], s[0:1], 0x38
	s_mov_b32 s21, 0
	s_waitcnt lgkmcnt(0)
	s_mul_i32 s3, s15, s3
	s_mul_hi_u32 s4, s15, s2
	s_mul_i32 s2, s15, s2
	s_add_i32 s3, s4, s3
	s_delay_alu instid0(SALU_CYCLE_1) | instskip(NEXT) | instid1(SALU_CYCLE_1)
	s_lshl_b64 s[2:3], s[2:3], 1
	s_add_u32 s12, s6, s2
	s_addc_u32 s13, s7, s3
.LBB271_6:
	s_clause 0x1
	s_load_b32 s20, s[0:1], 0x40
	s_load_b128 s[4:7], s[0:1], 0x58
	s_waitcnt lgkmcnt(0)
	v_cmp_eq_f16_e64 s2, s20, 0
	s_delay_alu instid0(VALU_DEP_1) | instskip(NEXT) | instid1(SALU_CYCLE_1)
	s_and_b32 s2, exec_lo, s2
	s_mov_b32 vcc_lo, s2
	s_cbranch_vccnz .LBB271_8
; %bb.7:
	s_load_b64 s[16:17], s[0:1], 0x48
	s_mul_i32 s3, s15, s5
	s_mul_hi_u32 s5, s15, s4
	s_delay_alu instid0(SALU_CYCLE_1) | instskip(SKIP_3) | instid1(SALU_CYCLE_1)
	s_add_i32 s3, s5, s3
	s_mul_i32 s5, s21, s4
	s_mul_i32 s4, s15, s4
	s_add_i32 s5, s3, s5
	s_lshl_b64 s[4:5], s[4:5], 1
	s_waitcnt lgkmcnt(0)
	s_add_u32 s4, s16, s4
	s_addc_u32 s5, s17, s5
	s_branch .LBB271_9
.LBB271_8:
	s_mov_b64 s[4:5], 0
.LBB271_9:
	s_clause 0x2
	s_load_b32 s3, s[0:1], 0x0
	s_load_b32 s16, s[0:1], 0x18
	;; [unrolled: 1-line block ×3, first 2 shown]
	v_bfe_u32 v162, v0, 10, 10
	v_and_b32_e32 v164, 0x3ff, v0
	s_delay_alu instid0(VALU_DEP_2) | instskip(NEXT) | instid1(VALU_DEP_2)
	v_lshlrev_b32_e32 v163, 3, v162
	v_lshlrev_b32_e32 v165, 3, v164
	s_delay_alu instid0(VALU_DEP_2) | instskip(NEXT) | instid1(VALU_DEP_1)
	v_add_nc_u32_e32 v0, v163, v164
	v_lshrrev_b32_e32 v2, 6, v0
	v_and_b32_e32 v15, 63, v0
	s_waitcnt lgkmcnt(0)
	s_add_i32 s3, s3, -1
	s_delay_alu instid0(SALU_CYCLE_1) | instskip(SKIP_4) | instid1(SALU_CYCLE_1)
	s_ashr_i32 s11, s3, 31
	v_mad_i64_i32 v[3:4], null, s18, v2, 0
	s_lshr_b32 s11, s11, 26
	v_add_nc_u32_e32 v16, 4, v2
	s_add_i32 s3, s3, s11
	s_ashr_i32 s3, s3, 6
	s_delay_alu instid0(SALU_CYCLE_1) | instskip(SKIP_3) | instid1(VALU_DEP_2)
	s_add_i32 s11, s3, 1
	s_not_b32 s3, s3
	v_cvt_f32_u32_e32 v1, s11
	v_lshlrev_b64 v[3:4], 1, v[3:4]
	v_rcp_iflag_f32_e32 v1, v1
	s_waitcnt_depctr 0xfff
	v_mul_f32_e32 v1, 0x4f7ffffe, v1
	s_delay_alu instid0(VALU_DEP_1) | instskip(NEXT) | instid1(VALU_DEP_1)
	v_cvt_u32_f32_e32 v1, v1
	v_readfirstlane_b32 s17, v1
	v_mad_i64_i32 v[0:1], null, s16, v2, 0
	s_delay_alu instid0(VALU_DEP_2) | instskip(NEXT) | instid1(SALU_CYCLE_1)
	s_mul_i32 s3, s3, s17
	s_mul_hi_u32 s3, s17, s3
	s_delay_alu instid0(SALU_CYCLE_1) | instskip(NEXT) | instid1(VALU_DEP_1)
	s_add_i32 s17, s17, s3
	v_lshlrev_b64 v[0:1], 1, v[0:1]
	s_mul_hi_u32 s3, s14, s17
	s_delay_alu instid0(SALU_CYCLE_1) | instskip(SKIP_2) | instid1(VALU_DEP_1)
	s_mul_i32 s17, s3, s11
	s_add_i32 s19, s3, 1
	s_sub_i32 s17, s14, s17
	v_add_co_u32 v7, vcc_lo, s8, v0
	s_sub_i32 s22, s17, s11
	s_cmp_ge_u32 s17, s11
	v_add_co_ci_u32_e32 v17, vcc_lo, s9, v1, vcc_lo
	s_cselect_b32 s3, s19, s3
	s_cselect_b32 s17, s22, s17
	s_add_i32 s19, s3, 1
	s_cmp_ge_u32 s17, s11
	v_add_co_u32 v3, vcc_lo, s12, v3
	s_cselect_b32 s3, s19, s3
	v_add_co_ci_u32_e32 v4, vcc_lo, s13, v4, vcc_lo
	s_mul_i32 s11, s3, s11
	s_lshl_b32 s22, s3, 8
	s_sub_i32 s3, s14, s11
	v_or_b32_e32 v5, s22, v15
	s_lshl_b32 s3, s3, 6
	s_cmp_lt_i32 s10, 9
	v_or_b32_e32 v13, s3, v15
	s_delay_alu instid0(VALU_DEP_2) | instskip(NEXT) | instid1(VALU_DEP_2)
	v_ashrrev_i32_e32 v6, 31, v5
	v_ashrrev_i32_e32 v14, 31, v13
	s_delay_alu instid0(VALU_DEP_2) | instskip(NEXT) | instid1(VALU_DEP_2)
	v_lshlrev_b64 v[8:9], 1, v[5:6]
	v_lshlrev_b64 v[0:1], 1, v[13:14]
	v_mad_i64_i32 v[13:14], null, s18, v16, 0
	s_delay_alu instid0(VALU_DEP_3) | instskip(NEXT) | instid1(VALU_DEP_4)
	v_add_co_u32 v3, vcc_lo, v3, v8
	v_add_co_ci_u32_e32 v4, vcc_lo, v4, v9, vcc_lo
	s_delay_alu instid0(VALU_DEP_4)
	v_add_co_u32 v5, vcc_lo, v7, v0
	v_add_co_ci_u32_e32 v6, vcc_lo, v17, v1, vcc_lo
	s_clause 0x2
	flat_load_u16 v17, v[3:4]
	flat_load_u16 v18, v[3:4] offset:128
	flat_load_u16 v19, v[3:4] offset:256
	flat_load_u16 v20, v[5:6]
	flat_load_u16 v21, v[3:4] offset:384
	v_lshlrev_b64 v[3:4], 1, v[13:14]
	v_mad_i64_i32 v[6:7], null, s16, v16, 0
	s_delay_alu instid0(VALU_DEP_2) | instskip(NEXT) | instid1(VALU_DEP_3)
	v_add_co_u32 v3, vcc_lo, s12, v3
	v_add_co_ci_u32_e32 v5, vcc_lo, s13, v4, vcc_lo
	s_delay_alu instid0(VALU_DEP_3) | instskip(NEXT) | instid1(VALU_DEP_3)
	v_lshlrev_b64 v[6:7], 1, v[6:7]
	v_add_co_u32 v4, vcc_lo, v3, v8
	s_delay_alu instid0(VALU_DEP_3)
	v_add_co_ci_u32_e32 v5, vcc_lo, v5, v9, vcc_lo
	s_clause 0x2
	flat_load_u16 v47, v[4:5]
	flat_load_u16 v48, v[4:5] offset:128
	flat_load_u16 v49, v[4:5] offset:256
	v_add_co_u32 v3, vcc_lo, s8, v6
	v_add_co_ci_u32_e32 v7, vcc_lo, s9, v7, vcc_lo
	s_delay_alu instid0(VALU_DEP_2) | instskip(NEXT) | instid1(VALU_DEP_2)
	v_add_co_u32 v6, vcc_lo, v3, v0
	v_add_co_ci_u32_e32 v7, vcc_lo, v7, v1, vcc_lo
	flat_load_u16 v3, v[6:7]
	flat_load_u16 v4, v[4:5] offset:384
	v_lshlrev_b32_e32 v5, 1, v2
	s_delay_alu instid0(VALU_DEP_1)
	v_lshl_add_u32 v166, v15, 3, v5
	v_add_nc_u32_e32 v5, 0x1000, v165
	s_waitcnt vmcnt(9) lgkmcnt(9)
	ds_store_b16 v166, v17
	s_waitcnt vmcnt(8) lgkmcnt(9)
	ds_store_b16 v166, v18 offset:512
	s_waitcnt vmcnt(7) lgkmcnt(9)
	ds_store_b16 v166, v19 offset:1024
	;; [unrolled: 2-line block ×4, first 2 shown]
	s_waitcnt vmcnt(0) lgkmcnt(0)
	s_barrier
	buffer_gl0_inv
	ds_load_2addr_b64 v[15:18], v5 offset1:8
	ds_load_2addr_b64 v[19:22], v163 offset1:32
	ds_load_2addr_b64 v[23:26], v5 offset0:16 offset1:24
	ds_load_2addr_b64 v[27:30], v5 offset0:32 offset1:40
	ds_load_2addr_b64 v[31:34], v5 offset0:48 offset1:56
	ds_load_2addr_b64 v[35:38], v163 offset0:64 offset1:96
	ds_load_2addr_b64 v[39:42], v163 offset0:128 offset1:160
	ds_load_2addr_b64 v[43:46], v163 offset0:192 offset1:224
	ds_store_b16 v166, v47 offset:2048
	ds_store_b16 v166, v48 offset:2560
	;; [unrolled: 1-line block ×3, first 2 shown]
	s_waitcnt lgkmcnt(9)
	v_pk_add_f16 v5, v15, v19
	v_pk_add_f16 v6, v17, v19
	s_waitcnt lgkmcnt(8)
	v_pk_add_f16 v7, v23, v19
	v_pk_add_f16 v47, v25, v19
	;; [unrolled: 3-line block ×4, first 2 shown]
	v_pk_add_f16 v51, v15, v21
	v_pk_add_f16 v52, v17, v21
	;; [unrolled: 1-line block ×8, first 2 shown]
	s_waitcnt lgkmcnt(5)
	v_pk_add_f16 v58, v15, v35
	v_pk_add_f16 v59, v17, v35
	;; [unrolled: 1-line block ×32, first 2 shown]
	s_waitcnt lgkmcnt(4)
	v_pk_add_f16 v36, v15, v39
	v_pk_add_f16 v38, v17, v39
	;; [unrolled: 1-line block ×16, first 2 shown]
	s_waitcnt lgkmcnt(3)
	v_pk_add_f16 v104, v15, v43
	v_pk_add_f16 v105, v17, v43
	;; [unrolled: 1-line block ×64, first 2 shown]
	v_pk_min_f16 v5, 0x7c00, v5 op_sel_hi:[0,1]
	v_pk_min_f16 v6, 0x7c00, v6 op_sel_hi:[0,1]
	;; [unrolled: 1-line block ×64, first 2 shown]
	v_pk_min_f16 v15, v5, v72
	v_pk_min_f16 v34, v6, v73
	;; [unrolled: 1-line block ×64, first 2 shown]
	ds_store_b16 v166, v3 offset:4608
	ds_store_b16 v166, v4 offset:3584
	scratch_store_b32 off, v166, off offset:304 ; 4-byte Folded Spill
	s_waitcnt lgkmcnt(0)
	s_waitcnt_vscnt null, 0x0
	s_barrier
	buffer_gl0_inv
	s_cbranch_scc1 .LBB271_13
; %bb.10:
	scratch_load_b32 v3, off, off offset:304 ; 4-byte Folded Reload
	scratch_store_b32 off, v162, off offset:368 ; 4-byte Folded Spill
	v_add_nc_u32_e32 v6, 12, v2
	v_add_co_u32 v162, vcc_lo, s8, v0
	v_lshl_add_u32 v0, v164, 3, 0x1200
	v_mov_b32_e32 v10, v20
	v_add_nc_u32_e32 v20, 8, v2
	v_add_co_ci_u32_e32 v21, vcc_lo, s9, v1, vcc_lo
	v_add_co_u32 v8, vcc_lo, s12, v8
	s_delay_alu instid0(VALU_DEP_3)
	v_mad_i64_i32 v[24:25], null, v20, s18, 0
	v_add_co_ci_u32_e32 v9, vcc_lo, s13, v9, vcc_lo
	v_mov_b32_e32 v42, v31
	v_mov_b32_e32 v46, v33
	s_ashr_i32 s17, s16, 31
	s_ashr_i32 s19, s18, 31
	s_add_i32 s14, s10, -8
	s_lshl_b64 s[8:9], s[16:17], 4
	s_lshl_b64 s[10:11], s[18:19], 4
	s_mov_b32 s12, 0
	v_mov_b32_e32 v43, v29
	v_mov_b32_e32 v45, v35
	s_waitcnt vmcnt(0)
	v_or_b32_e32 v4, 0x1000, v3
	s_clause 0x1
	scratch_store_b32 off, v4, off offset:308
	scratch_store_b32 off, v165, off offset:372
	v_add_nc_u32_e32 v4, 0x1000, v165
	scratch_store_b32 off, v0, off offset:324 ; 4-byte Folded Spill
	v_add_nc_u32_e32 v0, 0x800, v163
	scratch_store_b32 off, v4, off offset:312 ; 4-byte Folded Spill
	v_add_nc_u32_e32 v4, 0x1200, v3
	v_or_b32_e32 v3, 0x800, v3
	s_clause 0x3
	scratch_store_b32 off, v164, off offset:364
	scratch_store_b32 off, v0, off offset:328
	;; [unrolled: 1-line block ×4, first 2 shown]
	v_mad_i64_i32 v[2:3], null, v6, s16, 0
	v_mad_i64_i32 v[4:5], null, v6, s18, 0
	;; [unrolled: 1-line block ×3, first 2 shown]
	v_mov_b32_e32 v20, v10
	s_delay_alu instid0(VALU_DEP_4)
	v_lshlrev_b64 v[0:1], 1, v[2:3]
	scratch_store_b64 off, v[0:1], off offset:332 ; 8-byte Folded Spill
	v_lshlrev_b64 v[0:1], 1, v[4:5]
	scratch_store_b64 off, v[0:1], off offset:340 ; 8-byte Folded Spill
	;; [unrolled: 2-line block ×4, first 2 shown]
	v_mov_b32_e32 v0, v54
.LBB271_11:                             ; =>This Inner Loop Header: Depth=1
	s_clause 0x1
	scratch_load_b32 v1, off, off offset:324
	scratch_load_b32 v2, off, off offset:328
	v_pk_max_f16 v107, v36, v36
	v_pk_max_f16 v161, v161, v161
	;; [unrolled: 1-line block ×61, first 2 shown]
	s_add_i32 s12, s12, 8
	s_delay_alu instid0(SALU_CYCLE_1)
	s_cmp_ge_i32 s12, s14
	s_waitcnt vmcnt(1)
	ds_load_2addr_b64 v[184:187], v1 offset0:48 offset1:56
	s_waitcnt vmcnt(0)
	ds_load_2addr_b64 v[132:135], v2 offset0:192 offset1:224
	ds_load_2addr_b64 v[216:219], v1 offset1:8
	ds_load_2addr_b64 v[197:200], v1 offset0:32 offset1:40
	ds_load_2addr_b64 v[207:210], v1 offset0:16 offset1:24
	ds_load_2addr_b64 v[164:167], v2 offset0:128 offset1:160
	ds_load_2addr_b64 v[191:194], v2 offset0:64 offset1:96
	ds_load_2addr_b64 v[220:223], v2 offset1:32
	s_waitcnt lgkmcnt(6)
	v_pk_add_f16 v3, v186, v134
	s_waitcnt lgkmcnt(5)
	v_pk_add_f16 v1, v218, v134
	;; [unrolled: 2-line block ×3, first 2 shown]
	s_clause 0x1
	scratch_store_b32 off, v3, off offset:60
	scratch_store_b32 off, v1, off offset:108
	v_pk_add_f16 v3, v187, v135
	v_pk_add_f16 v1, v219, v135
	;; [unrolled: 1-line block ×3, first 2 shown]
	s_waitcnt lgkmcnt(0)
	v_pk_add_f16 v214, v207, v222
	v_pk_add_f16 v215, v207, v220
	s_clause 0x1
	scratch_store_b32 off, v3, off
	scratch_store_b32 off, v1, off offset:24
	v_pk_add_f16 v3, v184, v134
	v_pk_add_f16 v1, v216, v134
	;; [unrolled: 1-line block ×5, first 2 shown]
	scratch_store_b32 off, v3, off offset:68 ; 4-byte Folded Spill
	v_pk_add_f16 v3, v185, v135
	scratch_store_b32 off, v1, off offset:116 ; 4-byte Folded Spill
	v_pk_add_f16 v1, v217, v135
	v_pk_add_f16 v173, v209, v193
	v_pk_add_f16 v175, v218, v193
	scratch_store_b32 off, v3, off offset:4 ; 4-byte Folded Spill
	v_pk_add_f16 v3, v199, v134
	scratch_store_b32 off, v1, off offset:28 ; 4-byte Folded Spill
	v_pk_add_f16 v1, v186, v132
	v_pk_add_f16 v176, v216, v193
	v_pk_add_f16 v190, v210, v221
	;; [unrolled: 6-line block ×10, first 2 shown]
	v_pk_add_f16 v181, v185, v221
	v_pk_add_f16 v204, v199, v222
	scratch_store_b32 off, v1, off offset:156 ; 4-byte Folded Spill
	v_pk_add_f16 v1, v210, v133
	v_pk_add_f16 v205, v197, v222
	;; [unrolled: 1-line block ×5, first 2 shown]
	scratch_store_b32 off, v1, off offset:48 ; 4-byte Folded Spill
	v_pk_add_f16 v1, v207, v132
	v_pk_add_f16 v238, v218, v222
	v_pk_add_f16 v240, v218, v220
	v_pk_min_f16 v96, v96, v195
	v_pk_min_f16 v78, v78, v135
	scratch_store_b32 off, v1, off offset:164 ; 4-byte Folded Spill
	v_pk_add_f16 v1, v208, v133
	v_pk_min_f16 v81, v81, v168
	v_pk_min_f16 v96, v96, v169
	v_pk_min_f16 v82, v82, v170
	v_pk_min_f16 v83, v83, v172
	scratch_store_b32 off, v1, off offset:52 ; 4-byte Folded Spill
	v_pk_add_f16 v1, v218, v132
	v_pk_min_f16 v84, v84, v173
	v_pk_min_f16 v85, v85, v174
	v_pk_min_f16 v86, v86, v175
	v_pk_min_f16 v87, v87, v176
	scratch_store_b32 off, v1, off offset:172 ; 4-byte Folded Spill
	v_pk_add_f16 v1, v219, v133
	v_pk_min_f16 v88, v88, v177
	v_pk_min_f16 v89, v89, v178
	v_pk_min_f16 v90, v90, v180
	v_pk_min_f16 v91, v91, v182
	scratch_store_b32 off, v1, off offset:56 ; 4-byte Folded Spill
	v_pk_add_f16 v1, v216, v132
	v_pk_min_f16 v92, v92, v183
	v_pk_min_f16 v93, v93, v188
	v_pk_min_f16 v94, v94, v189
	v_pk_min_f16 v95, v95, v191
	scratch_store_b32 off, v1, off offset:180 ; 4-byte Folded Spill
	v_pk_add_f16 v1, v217, v133
	v_pk_min_f16 v97, v97, v196
	v_pk_min_f16 v99, v99, v204
	v_pk_min_f16 v100, v100, v205
	v_pk_min_f16 v101, v101, v212
	scratch_store_b32 off, v1, off offset:64 ; 4-byte Folded Spill
	v_pk_add_f16 v1, v186, v166
	v_pk_min_f16 v102, v102, v214
	v_pk_min_f16 v103, v103, v238
	v_pk_min_f16 v104, v104, v239
	v_pk_min_f16 v105, v105, v201
	scratch_store_b32 off, v1, off offset:192 ; 4-byte Folded Spill
	v_pk_add_f16 v1, v187, v167
	v_pk_min_f16 v106, v106, v202
	v_pk_min_f16 v107, v107, v203
	v_pk_min_f16 v39, v39, v215
	v_pk_min_f16 v34, v34, v240
	scratch_store_b32 off, v1, off offset:72 ; 4-byte Folded Spill
	v_pk_add_f16 v1, v184, v166
	v_pk_min_f16 v15, v15, v241
	v_pk_min_f16 v97, v97, v171
	v_pk_min_f16 v105, v105, v179
	v_pk_min_f16 v106, v106, v181
	scratch_store_b32 off, v1, off offset:196 ; 4-byte Folded Spill
	v_pk_add_f16 v1, v185, v167
	scratch_store_b32 off, v1, off offset:80 ; 4-byte Folded Spill
	v_pk_add_f16 v1, v199, v166
	;; [unrolled: 2-line block ×12, first 2 shown]
	v_pk_add_f16 v166, v217, v192
	scratch_store_b32 off, v1, off offset:244 ; 4-byte Folded Spill
	v_pk_add_f16 v1, v217, v167
	v_pk_add_f16 v167, v186, v193
	;; [unrolled: 1-line block ×3, first 2 shown]
	v_pk_min_f16 v95, v95, v166
	scratch_store_b32 off, v1, off offset:128 ; 4-byte Folded Spill
	v_pk_add_f16 v1, v186, v164
	v_pk_add_f16 v186, v200, v223
	v_pk_min_f16 v80, v80, v167
	v_pk_min_f16 v102, v102, v193
	scratch_store_b32 off, v1, off offset:252 ; 4-byte Folded Spill
	v_pk_add_f16 v1, v187, v165
	v_pk_min_f16 v99, v99, v186
	scratch_store_b32 off, v1, off offset:136 ; 4-byte Folded Spill
	v_pk_add_f16 v1, v184, v164
	v_pk_add_f16 v184, v200, v221
	scratch_store_b32 off, v1, off offset:260 ; 4-byte Folded Spill
	v_pk_add_f16 v1, v185, v165
	v_pk_min_f16 v107, v107, v184
	scratch_store_b32 off, v1, off offset:144 ; 4-byte Folded Spill
	v_pk_add_f16 v1, v199, v164
	v_pk_add_f16 v199, v219, v221
	;; [unrolled: 6-line block ×5, first 2 shown]
	v_pk_min_f16 v38, v38, v190
	scratch_store_b32 off, v1, off offset:292 ; 4-byte Folded Spill
	v_pk_add_f16 v1, v208, v165
	v_pk_min_f16 v79, v79, v164
	scratch_store_b32 off, v1, off offset:176 ; 4-byte Folded Spill
	v_pk_add_f16 v1, v219, v165
	scratch_store_b32 off, v1, off offset:184 ; 4-byte Folded Spill
	v_pk_add_f16 v1, v217, v165
	v_pk_add_f16 v165, v219, v192
	scratch_store_b32 off, v1, off offset:188 ; 4-byte Folded Spill
	v_pk_add_f16 v1, v187, v194
	v_pk_min_f16 v94, v94, v165
	scratch_store_b32 off, v1, off offset:200 ; 4-byte Folded Spill
	v_pk_add_f16 v1, v185, v194
	scratch_store_b32 off, v1, off offset:208 ; 4-byte Folded Spill
	v_pk_add_f16 v1, v200, v194
	;; [unrolled: 2-line block ×7, first 2 shown]
	v_pk_add_f16 v194, v208, v221
	scratch_store_b32 off, v1, off offset:256 ; 4-byte Folded Spill
	v_pk_add_f16 v1, v187, v192
	v_pk_add_f16 v187, v198, v223
	v_pk_min_f16 v39, v39, v194
	scratch_store_b32 off, v1, off offset:264 ; 4-byte Folded Spill
	v_pk_add_f16 v1, v185, v192
	v_pk_add_f16 v185, v198, v221
	v_pk_min_f16 v100, v100, v187
	scratch_store_b32 off, v1, off offset:272 ; 4-byte Folded Spill
	v_pk_add_f16 v1, v200, v192
	v_pk_add_f16 v200, v217, v221
	scratch_store_b32 off, v1, off offset:280 ; 4-byte Folded Spill
	v_pk_add_f16 v1, v198, v192
	v_pk_add_f16 v198, v217, v223
	v_pk_min_f16 v15, v15, v200
	scratch_store_b32 off, v1, off offset:288 ; 4-byte Folded Spill
	v_pk_add_f16 v1, v210, v192
	v_pk_min_f16 v104, v104, v198
	scratch_store_b32 off, v1, off offset:296 ; 4-byte Folded Spill
	v_pk_add_f16 v1, v208, v192
	v_pk_add_f16 v192, v210, v223
	scratch_store_b32 off, v1, off offset:300 ; 4-byte Folded Spill
	scratch_load_b64 v[1:2], off, off offset:348 ; 8-byte Folded Reload
	v_pk_min_f16 v101, v101, v192
	s_waitcnt vmcnt(0)
	v_add_co_u32 v207, vcc_lo, v162, v1
	v_add_co_ci_u32_e32 v208, vcc_lo, v21, v2, vcc_lo
	flat_load_u16 v210, v[207:208]
	scratch_load_b64 v[1:2], off, off offset:356 ; 8-byte Folded Reload
	s_waitcnt vmcnt(0)
	v_add_co_u32 v207, vcc_lo, v8, v1
	v_add_co_ci_u32_e32 v208, vcc_lo, v9, v2, vcc_lo
	s_clause 0x3
	flat_load_u16 v211, v[207:208]
	flat_load_u16 v213, v[207:208] offset:128
	flat_load_u16 v216, v[207:208] offset:256
	;; [unrolled: 1-line block ×3, first 2 shown]
	scratch_load_b32 v1, off, off offset:308 ; 4-byte Folded Reload
	s_waitcnt vmcnt(0) lgkmcnt(4)
	ds_store_b16 v1, v210
	scratch_load_b32 v1, off, off offset:304 ; 4-byte Folded Reload
	s_waitcnt vmcnt(0) lgkmcnt(4)
	ds_store_b16 v1, v211
	s_waitcnt lgkmcnt(4)
	ds_store_b16 v1, v213 offset:512
	s_waitcnt lgkmcnt(4)
	ds_store_b16 v1, v216 offset:1024
	;; [unrolled: 2-line block ×3, first 2 shown]
	s_waitcnt lgkmcnt(0)
	s_waitcnt_vscnt null, 0x0
	s_barrier
	buffer_gl0_inv
	scratch_load_b32 v1, off, off offset:312 ; 4-byte Folded Reload
	s_waitcnt vmcnt(0)
	ds_load_2addr_b64 v[218:221], v1 offset1:8
	ds_load_2addr_b64 v[222:225], v163 offset1:32
	scratch_load_b64 v[2:3], off, off offset:332 ; 8-byte Folded Reload
	ds_load_2addr_b64 v[226:229], v1 offset0:16 offset1:24
	ds_load_2addr_b64 v[230:233], v1 offset0:32 offset1:40
	;; [unrolled: 1-line block ×3, first 2 shown]
	v_mov_b32_e32 v1, v57
	s_waitcnt lgkmcnt(3)
	v_pk_add_f16 v207, v218, v222
	v_pk_add_f16 v208, v220, v222
	s_waitcnt lgkmcnt(2)
	v_pk_add_f16 v210, v226, v222
	v_pk_add_f16 v211, v228, v222
	;; [unrolled: 3-line block ×4, first 2 shown]
	v_pk_add_f16 v243, v218, v224
	v_pk_add_f16 v244, v220, v224
	;; [unrolled: 1-line block ×24, first 2 shown]
	ds_load_2addr_b64 v[222:225], v163 offset0:64 offset1:96
	v_pk_min_f16 v96, v96, v250
	v_pk_min_f16 v15, v15, v207
	;; [unrolled: 1-line block ×19, first 2 shown]
	s_waitcnt lgkmcnt(0)
	v_pk_add_f16 v6, v218, v222
	v_pk_add_f16 v7, v220, v222
	v_pk_add_f16 v10, v226, v222
	v_pk_add_f16 v14, v228, v222
	v_pk_add_f16 v48, v230, v222
	v_pk_add_f16 v26, v232, v222
	v_pk_add_f16 v27, v234, v222
	v_pk_add_f16 v49, v236, v222
	v_pk_add_f16 v50, v218, v224
	v_pk_add_f16 v51, v220, v224
	v_pk_add_f16 v28, v226, v224
	v_pk_add_f16 v29, v228, v224
	v_pk_add_f16 v52, v230, v224
	v_pk_add_f16 v30, v232, v224
	v_pk_add_f16 v31, v234, v224
	v_pk_add_f16 v53, v236, v224
	v_pk_add_f16 v33, v219, v223
	v_pk_add_f16 v54, v221, v223
	v_pk_add_f16 v35, v227, v223
	v_pk_add_f16 v55, v229, v223
	v_pk_add_f16 v56, v231, v223
	v_pk_add_f16 v44, v233, v223
	v_pk_add_f16 v57, v235, v223
	v_pk_add_f16 v98, v237, v223
	v_pk_add_f16 v58, v219, v225
	v_pk_add_f16 v59, v221, v225
	v_pk_add_f16 v60, v227, v225
	v_pk_add_f16 v116, v229, v225
	v_pk_add_f16 v117, v231, v225
	v_pk_add_f16 v61, v233, v225
	v_pk_add_f16 v118, v235, v225
	v_pk_add_f16 v119, v237, v225
	ds_load_2addr_b64 v[222:225], v163 offset0:128 offset1:160
	v_pk_min_f16 v6, v95, v6
	v_pk_min_f16 v7, v94, v7
	;; [unrolled: 1-line block ×14, first 2 shown]
	s_waitcnt lgkmcnt(0)
	v_pk_add_f16 v120, v218, v222
	v_pk_add_f16 v121, v220, v222
	;; [unrolled: 1-line block ×32, first 2 shown]
	ds_load_2addr_b64 v[222:225], v163 offset0:192 offset1:224
	s_waitcnt lgkmcnt(0)
	v_pk_add_f16 v69, v218, v222
	v_pk_add_f16 v149, v218, v224
	;; [unrolled: 1-line block ×32, first 2 shown]
	v_pk_max_f16 v237, v37, v37
	s_delay_alu instid0(VALU_DEP_1) | instskip(NEXT) | instid1(VALU_DEP_1)
	v_pk_min_f16 v135, v237, v206
	v_pk_min_f16 v135, v135, v185
	s_delay_alu instid0(VALU_DEP_1)
	v_pk_min_f16 v135, v135, v213
	s_waitcnt vmcnt(0)
	v_add_co_u32 v218, vcc_lo, v162, v2
	v_add_co_ci_u32_e32 v219, vcc_lo, v21, v3, vcc_lo
	flat_load_u16 v218, v[218:219]
	v_pk_max_f16 v219, v152, v152
	v_pk_max_f16 v152, v1, v1
	scratch_load_b64 v[1:2], off, off offset:340 ; 8-byte Folded Reload
	s_waitcnt vmcnt(0)
	v_add_co_u32 v36, vcc_lo, v8, v1
	v_add_co_ci_u32_e32 v37, vcc_lo, v9, v2, vcc_lo
	s_clause 0x3
	flat_load_u16 v1, v[36:37]
	flat_load_u16 v2, v[36:37] offset:128
	flat_load_u16 v3, v[36:37] offset:256
	;; [unrolled: 1-line block ×3, first 2 shown]
	s_clause 0x1
	scratch_load_b32 v36, off, off offset:60
	scratch_load_b32 v37, off, off offset:68
	v_add_co_u32 v162, vcc_lo, v162, s8
	v_add_co_ci_u32_e32 v21, vcc_lo, s9, v21, vcc_lo
	v_add_co_u32 v8, vcc_lo, v8, s10
	v_add_co_ci_u32_e32 v9, vcc_lo, s11, v9, vcc_lo
	scratch_load_b32 v5, off, off offset:316 ; 4-byte Folded Reload
	s_waitcnt vmcnt(2)
	v_pk_min_f16 v36, v219, v36
	s_waitcnt vmcnt(1)
	v_pk_min_f16 v37, v161, v37
	scratch_load_b32 v161, off, off offset:76 ; 4-byte Folded Reload
	s_waitcnt vmcnt(1) lgkmcnt(4)
	ds_store_b16 v5, v218
	scratch_load_b32 v5, off, off offset:320 ; 4-byte Folded Reload
	s_waitcnt vmcnt(1)
	v_pk_min_f16 v160, v160, v161
	scratch_load_b32 v161, off, off offset:84 ; 4-byte Folded Reload
	s_waitcnt vmcnt(0)
	v_pk_min_f16 v20, v20, v161
	;; [unrolled: 3-line block ×28, first 2 shown]
	scratch_load_b32 v161, off, off         ; 4-byte Folded Reload
	s_waitcnt vmcnt(0)
	v_pk_min_f16 v36, v36, v161
	scratch_load_b32 v161, off, off offset:4 ; 4-byte Folded Reload
	s_waitcnt vmcnt(0)
	v_pk_min_f16 v37, v37, v161
	scratch_load_b32 v161, off, off offset:8 ; 4-byte Folded Reload
	;; [unrolled: 3-line block ×4, first 2 shown]
	v_pk_min_f16 v20, v20, v230
	s_delay_alu instid0(VALU_DEP_1) | instskip(SKIP_4) | instid1(VALU_DEP_1)
	v_pk_min_f16 v20, v20, v231
	s_waitcnt vmcnt(0)
	v_pk_min_f16 v0, v0, v161
	scratch_load_b32 v161, off, off offset:20 ; 4-byte Folded Reload
	v_pk_min_f16 v0, v0, v228
	v_pk_min_f16 v0, v0, v229
	s_waitcnt vmcnt(0)
	v_pk_min_f16 v23, v23, v161
	scratch_load_b32 v161, off, off offset:24 ; 4-byte Folded Reload
	v_pk_min_f16 v23, v23, v226
	s_delay_alu instid0(VALU_DEP_1)
	v_pk_min_f16 v23, v23, v227
	s_waitcnt vmcnt(0)
	v_pk_min_f16 v159, v159, v161
	scratch_load_b32 v161, off, off offset:28 ; 4-byte Folded Reload
	s_waitcnt vmcnt(0)
	v_pk_min_f16 v158, v158, v161
	scratch_load_b32 v161, off, off offset:32 ; 4-byte Folded Reload
	s_waitcnt vmcnt(0)
	v_pk_min_f16 v157, v157, v161
	scratch_load_b32 v161, off, off offset:36 ; 4-byte Folded Reload
	s_waitcnt vmcnt(0)
	v_pk_min_f16 v156, v156, v161
	scratch_load_b32 v161, off, off offset:40 ; 4-byte Folded Reload
	v_pk_min_f16 v47, v156, v47
	s_delay_alu instid0(VALU_DEP_1)
	v_pk_min_f16 v156, v47, v236
	s_waitcnt vmcnt(0)
	v_pk_min_f16 v22, v22, v161
	scratch_load_b32 v161, off, off offset:44 ; 4-byte Folded Reload
	v_pk_min_f16 v22, v22, v111
	v_pk_min_f16 v111, v157, v222
	s_delay_alu instid0(VALU_DEP_2) | instskip(NEXT) | instid1(VALU_DEP_2)
	v_pk_min_f16 v22, v22, v109
	v_pk_min_f16 v157, v111, v223
	s_waitcnt vmcnt(0)
	v_pk_min_f16 v155, v155, v161
	scratch_load_b32 v161, off, off offset:48 ; 4-byte Folded Reload
	v_pk_min_f16 v110, v155, v110
	s_delay_alu instid0(VALU_DEP_1)
	v_pk_min_f16 v155, v110, v108
	s_waitcnt vmcnt(0)
	v_pk_min_f16 v154, v154, v161
	scratch_load_b32 v161, off, off offset:52 ; 4-byte Folded Reload
	s_waitcnt vmcnt(0)
	v_pk_min_f16 v153, v153, v161
	scratch_load_b32 v161, off, off offset:56 ; 4-byte Folded Reload
	;; [unrolled: 3-line block ×4, first 2 shown]
	v_pk_min_f16 v19, v19, v69
	v_pk_min_f16 v69, v154, v115
	;; [unrolled: 1-line block ×3, first 2 shown]
	s_delay_alu instid0(VALU_DEP_3) | instskip(NEXT) | instid1(VALU_DEP_3)
	v_pk_min_f16 v19, v19, v150
	v_pk_min_f16 v154, v69, v113
	s_delay_alu instid0(VALU_DEP_3)
	v_pk_min_f16 v159, v115, v221
	s_waitcnt vmcnt(0)
	v_pk_min_f16 v41, v41, v161
	scratch_load_b32 v161, off, off offset:80 ; 4-byte Folded Reload
	v_pk_min_f16 v41, v41, v65
	v_pk_min_f16 v65, v153, v114
	;; [unrolled: 1-line block ×3, first 2 shown]
	s_delay_alu instid0(VALU_DEP_3) | instskip(NEXT) | instid1(VALU_DEP_3)
	v_pk_min_f16 v41, v41, v147
	v_pk_min_f16 v153, v65, v112
	s_delay_alu instid0(VALU_DEP_3) | instskip(SKIP_4) | instid1(VALU_DEP_1)
	v_pk_min_f16 v158, v114, v17
	s_waitcnt vmcnt(0)
	v_pk_min_f16 v40, v40, v161
	scratch_load_b32 v161, off, off offset:88 ; 4-byte Folded Reload
	v_pk_min_f16 v40, v40, v131
	v_pk_min_f16 v40, v40, v146
	s_waitcnt vmcnt(0)
	v_pk_min_f16 v43, v43, v161
	scratch_load_b32 v161, off, off offset:96 ; 4-byte Folded Reload
	v_pk_min_f16 v43, v43, v130
	s_delay_alu instid0(VALU_DEP_1)
	v_pk_min_f16 v43, v43, v145
	s_waitcnt vmcnt(0)
	v_pk_min_f16 v42, v42, v161
	scratch_load_b32 v161, off, off offset:104 ; 4-byte Folded Reload
	v_pk_min_f16 v42, v42, v64
	v_pk_min_f16 v64, v152, v148
	s_delay_alu instid0(VALU_DEP_2) | instskip(SKIP_4) | instid1(VALU_DEP_1)
	v_pk_min_f16 v42, v42, v144
	s_waitcnt vmcnt(0)
	v_pk_min_f16 v46, v46, v161
	scratch_load_b32 v161, off, off offset:112 ; 4-byte Folded Reload
	v_pk_min_f16 v46, v46, v129
	v_pk_min_f16 v46, v46, v68
	s_waitcnt vmcnt(0)
	v_pk_min_f16 v45, v45, v161
	scratch_load_b32 v161, off, off offset:120 ; 4-byte Folded Reload
	v_pk_min_f16 v45, v45, v128
	s_delay_alu instid0(VALU_DEP_1) | instskip(SKIP_4) | instid1(VALU_DEP_1)
	v_pk_min_f16 v45, v45, v143
	s_waitcnt vmcnt(0)
	v_pk_min_f16 v70, v70, v161
	scratch_load_b32 v161, off, off offset:128 ; 4-byte Folded Reload
	v_pk_min_f16 v70, v70, v127
	v_pk_min_f16 v70, v70, v142
	s_waitcnt vmcnt(0)
	v_pk_min_f16 v71, v71, v161
	scratch_load_b32 v161, off, off offset:136 ; 4-byte Folded Reload
	v_pk_min_f16 v71, v71, v126
	s_delay_alu instid0(VALU_DEP_1) | instskip(SKIP_4) | instid1(VALU_DEP_1)
	;; [unrolled: 11-line block ×3, first 2 shown]
	v_pk_min_f16 v73, v73, v67
	s_waitcnt vmcnt(0)
	v_pk_min_f16 v74, v74, v161
	scratch_load_b32 v161, off, off offset:160 ; 4-byte Folded Reload
	v_pk_min_f16 v63, v74, v63
	v_pk_min_f16 v74, v63, v32
	s_waitcnt vmcnt(0)
	v_pk_min_f16 v75, v75, v161
	scratch_load_b32 v161, off, off offset:168 ; 4-byte Folded Reload
	v_pk_min_f16 v75, v75, v123
	s_delay_alu instid0(VALU_DEP_1)
	v_pk_min_f16 v75, v75, v139
	s_waitcnt vmcnt(0)
	v_pk_min_f16 v76, v76, v161
	scratch_load_b32 v161, off, off offset:176 ; 4-byte Folded Reload
	v_pk_min_f16 v76, v76, v122
	v_pk_min_f16 v122, v36, v224
	;; [unrolled: 1-line block ×3, first 2 shown]
	s_delay_alu instid0(VALU_DEP_3) | instskip(NEXT) | instid1(VALU_DEP_3)
	v_pk_min_f16 v76, v76, v138
	v_pk_min_f16 v152, v122, v225
	s_waitcnt vmcnt(0)
	v_pk_min_f16 v77, v77, v161
	scratch_load_b32 v161, off, off offset:184 ; 4-byte Folded Reload
	v_pk_min_f16 v62, v77, v62
	s_delay_alu instid0(VALU_DEP_1)
	v_pk_min_f16 v77, v62, v66
	s_waitcnt vmcnt(0)
	v_pk_min_f16 v78, v78, v161
	scratch_load_b32 v161, off, off offset:188 ; 4-byte Folded Reload
	v_pk_min_f16 v78, v78, v121
	v_pk_min_f16 v121, v37, v234
	;; [unrolled: 1-line block ×3, first 2 shown]
	s_delay_alu instid0(VALU_DEP_3)
	v_pk_min_f16 v78, v78, v137
	s_waitcnt vmcnt(0)
	v_pk_min_f16 v79, v79, v161
	scratch_load_b32 v161, off, off offset:200 ; 4-byte Folded Reload
	v_pk_min_f16 v79, v79, v120
	v_pk_min_f16 v120, v160, v232
	s_delay_alu instid0(VALU_DEP_2) | instskip(NEXT) | instid1(VALU_DEP_2)
	v_pk_min_f16 v79, v79, v136
	v_pk_min_f16 v160, v120, v233
	s_waitcnt vmcnt(0)
	v_pk_min_f16 v80, v80, v161
	scratch_load_b32 v161, off, off offset:208 ; 4-byte Folded Reload
	v_pk_min_f16 v53, v80, v53
	s_delay_alu instid0(VALU_DEP_1) | instskip(SKIP_4) | instid1(VALU_DEP_1)
	v_pk_min_f16 v80, v53, v119
	s_waitcnt vmcnt(0)
	v_pk_min_f16 v81, v81, v161
	scratch_load_b32 v161, off, off offset:216 ; 4-byte Folded Reload
	v_pk_min_f16 v31, v81, v31
	v_pk_min_f16 v81, v31, v118
	s_waitcnt vmcnt(0)
	v_pk_min_f16 v82, v82, v161
	scratch_load_b32 v161, off, off offset:224 ; 4-byte Folded Reload
	v_pk_min_f16 v30, v82, v30
	s_delay_alu instid0(VALU_DEP_1) | instskip(SKIP_4) | instid1(VALU_DEP_1)
	v_pk_min_f16 v82, v30, v61
	s_waitcnt vmcnt(0)
	v_pk_min_f16 v83, v83, v161
	scratch_load_b32 v161, off, off offset:232 ; 4-byte Folded Reload
	;; [unrolled: 11-line block ×5, first 2 shown]
	v_pk_min_f16 v27, v89, v27
	v_pk_min_f16 v89, v27, v57
	;; [unrolled: 1-line block ×3, first 2 shown]
	s_waitcnt vmcnt(0)
	v_pk_min_f16 v90, v90, v161
	scratch_load_b32 v161, off, off offset:288 ; 4-byte Folded Reload
	v_pk_min_f16 v26, v90, v26
	s_delay_alu instid0(VALU_DEP_1) | instskip(SKIP_4) | instid1(VALU_DEP_1)
	v_pk_min_f16 v90, v26, v44
	s_waitcnt vmcnt(0)
	v_pk_min_f16 v91, v91, v161
	scratch_load_b32 v161, off, off offset:296 ; 4-byte Folded Reload
	v_pk_min_f16 v48, v91, v48
	v_pk_min_f16 v91, v48, v56
	s_waitcnt vmcnt(0)
	v_pk_min_f16 v92, v92, v161
	scratch_load_b32 v161, off, off offset:300 ; 4-byte Folded Reload
	s_waitcnt lgkmcnt(4)
	ds_store_b16 v5, v1
	s_waitcnt lgkmcnt(4)
	ds_store_b16 v5, v2 offset:512
	s_waitcnt lgkmcnt(4)
	ds_store_b16 v5, v3 offset:1024
	;; [unrolled: 2-line block ×3, first 2 shown]
	s_waitcnt vmcnt(0) lgkmcnt(0)
	s_barrier
	v_pk_min_f16 v14, v92, v14
	buffer_gl0_inv
	v_pk_min_f16 v92, v14, v55
	v_pk_min_f16 v93, v93, v161
	;; [unrolled: 1-line block ×3, first 2 shown]
	s_delay_alu instid0(VALU_DEP_2) | instskip(NEXT) | instid1(VALU_DEP_1)
	v_pk_min_f16 v10, v93, v10
	v_pk_min_f16 v93, v10, v35
	s_cbranch_scc0 .LBB271_11
; %bb.12:
	s_clause 0x2
	scratch_load_b32 v164, off, off offset:364
	scratch_load_b32 v162, off, off offset:368
	;; [unrolled: 1-line block ×3, first 2 shown]
	v_mov_b32_e32 v54, v0
	s_branch .LBB271_14
.LBB271_13:
	v_dual_mov_b32 v43, v29 :: v_dual_mov_b32 v42, v31
	v_dual_mov_b32 v46, v33 :: v_dual_mov_b32 v45, v35
.LBB271_14:
	s_load_b32 s8, s[0:1], 0x50
	s_waitcnt vmcnt(1)
	v_dual_mov_b32 v53, v20 :: v_dual_add_nc_u32 v44, s22, v162
	s_delay_alu instid0(VALU_DEP_2)
	v_dual_mov_b32 v63, v46 :: v_dual_mov_b32 v60, v40
	s_waitcnt vmcnt(0)
	ds_load_b64 v[26:27], v165 offset:4608
	ds_load_b64 v[46:47], v163 offset:2048
	v_dual_mov_b32 v33, 0 :: v_dual_add_nc_u32 v48, s3, v164
	v_cmp_neq_f16_e64 s9, s20, 0
	v_dual_mov_b32 v62, v42 :: v_dual_mov_b32 v61, v43
	s_delay_alu instid0(VALU_DEP_3) | instskip(SKIP_2) | instid1(VALU_DEP_3)
	v_ashrrev_i32_e32 v49, 31, v48
	v_dual_mov_b32 v59, v41 :: v_dual_mov_b32 v58, v19
	v_dual_mov_b32 v56, v22 :: v_dual_mov_b32 v55, v23
	v_lshlrev_b64 v[28:29], 1, v[48:49]
	v_mov_b32_e32 v30, 0
	s_and_b32 vcc_lo, exec_lo, s9
	s_waitcnt lgkmcnt(0)
	v_mad_i64_i32 v[0:1], null, v44, s8, 0
	s_delay_alu instid0(VALU_DEP_1) | instskip(NEXT) | instid1(VALU_DEP_1)
	v_lshlrev_b64 v[0:1], 1, v[0:1]
	v_add_co_u32 v107, s3, s4, v0
	s_delay_alu instid0(VALU_DEP_1)
	v_add_co_ci_u32_e64 v108, s3, s5, v1, s3
	s_cbranch_vccz .LBB271_16
; %bb.15:
	s_delay_alu instid0(VALU_DEP_2) | instskip(NEXT) | instid1(VALU_DEP_2)
	v_add_co_u32 v0, vcc_lo, v107, v28
	v_add_co_ci_u32_e32 v1, vcc_lo, v108, v29, vcc_lo
	flat_load_u16 v0, v[0:1]
	s_waitcnt vmcnt(0) lgkmcnt(0)
	v_mul_f16_e32 v30, s20, v0
.LBB271_16:
	s_clause 0x1
	s_load_b32 s3, s[0:1], 0x68
	s_load_b64 s[0:1], s[0:1], 0x70
	v_add_nc_u32_e32 v0, 0x1000, v165
	v_pk_add_f16 v13, v26, v46
	v_pk_max_f16 v14, v15, v15
	v_add_nc_u32_e32 v12, 0x800, v163
	ds_load_b64 v[24:25], v165 offset:5056
	ds_load_b64 v[49:50], v163 offset:3840
	ds_load_2addr_b64 v[8:11], v0 offset0:72 offset1:80
	ds_load_2addr_b64 v[4:7], v0 offset0:88 offset1:96
	ds_load_2addr_b64 v[0:3], v0 offset0:104 offset1:112
	ds_load_2addr_b64 v[20:23], v12 offset0:32 offset1:64
	ds_load_2addr_b64 v[16:19], v12 offset0:96 offset1:128
	v_pk_add_f16 v31, v27, v47
	v_pk_min_f16 v35, v14, v13
	ds_load_2addr_b64 v[12:15], v12 offset0:160 offset1:192
	v_add_nc_u32_e32 v40, 8, v48
	v_cndmask_b32_e64 v32, 0, 1, s9
	v_pk_min_f16 v31, v35, v31
	s_delay_alu instid0(VALU_DEP_3) | instskip(NEXT) | instid1(VALU_DEP_2)
	v_ashrrev_i32_e32 v41, 31, v40
	v_lshrrev_b32_e32 v35, 16, v31
	s_waitcnt lgkmcnt(0)
	v_mad_i64_i32 v[42:43], null, v44, s3, 0
	s_mul_i32 s1, s15, s1
	s_mul_hi_u32 s10, s15, s0
	s_mul_i32 s11, s21, s0
	s_add_i32 s1, s10, s1
	s_mul_i32 s0, s15, s0
	s_add_i32 s1, s1, s11
	s_delay_alu instid0(VALU_DEP_1)
	v_lshlrev_b64 v[42:43], 1, v[42:43]
	s_lshl_b64 s[10:11], s[0:1], 1
	v_min3_f16 v35, v30, v31, v35
	s_add_u32 s1, s6, s10
	s_addc_u32 s6, s7, s11
	v_lshlrev_b64 v[30:31], 1, v[40:41]
	v_add_co_u32 v109, vcc_lo, s1, v42
	v_add_co_ci_u32_e32 v110, vcc_lo, s6, v43, vcc_lo
	v_cmp_ne_u32_e64 s0, 1, v32
	s_delay_alu instid0(VALU_DEP_3) | instskip(NEXT) | instid1(VALU_DEP_3)
	v_add_co_u32 v42, vcc_lo, v109, v28
	v_add_co_ci_u32_e32 v43, vcc_lo, v110, v29, vcc_lo
	s_and_not1_b32 vcc_lo, exec_lo, s9
	global_store_b16 v[42:43], v35, off
	s_cbranch_vccnz .LBB271_18
; %bb.17:
	v_add_co_u32 v40, vcc_lo, v107, v30
	v_add_co_ci_u32_e32 v41, vcc_lo, v108, v31, vcc_lo
	flat_load_u16 v32, v[40:41]
	s_waitcnt vmcnt(0) lgkmcnt(0)
	v_mul_f16_e32 v33, s20, v32
.LBB271_18:
	v_pk_add_f16 v32, v8, v46
	v_pk_max_f16 v34, v34, v34
	v_pk_add_f16 v35, v9, v47
	v_add_nc_u32_e32 v40, 16, v48
	v_add_co_u32 v111, vcc_lo, v109, v30
	s_delay_alu instid0(VALU_DEP_4) | instskip(SKIP_1) | instid1(VALU_DEP_4)
	v_pk_min_f16 v32, v34, v32
	v_add_co_ci_u32_e32 v112, vcc_lo, v110, v31, vcc_lo
	v_ashrrev_i32_e32 v41, 31, v40
	v_mov_b32_e32 v42, 0
	s_delay_alu instid0(VALU_DEP_4) | instskip(SKIP_1) | instid1(VALU_DEP_3)
	v_pk_min_f16 v32, v32, v35
	s_and_b32 vcc_lo, exec_lo, s0
	v_lshlrev_b64 v[51:52], 1, v[40:41]
	v_mov_b32_e32 v40, 0
	s_delay_alu instid0(VALU_DEP_3) | instskip(NEXT) | instid1(VALU_DEP_1)
	v_lshrrev_b32_e32 v34, 16, v32
	v_min3_f16 v32, v33, v32, v34
	global_store_b16 v[111:112], v32, off
	s_cbranch_vccnz .LBB271_20
; %bb.19:
	v_add_co_u32 v40, vcc_lo, v107, v51
	v_add_co_ci_u32_e32 v41, vcc_lo, v108, v52, vcc_lo
	flat_load_u16 v32, v[40:41]
	s_waitcnt vmcnt(0) lgkmcnt(0)
	v_mul_f16_e32 v40, s20, v32
.LBB271_20:
	v_pk_add_f16 v32, v10, v46
	v_pk_max_f16 v33, v39, v39
	v_pk_add_f16 v34, v11, v47
	v_dual_mov_b32 v64, v45 :: v_dual_add_nc_u32 v111, 24, v48
	v_add_co_u32 v113, vcc_lo, v109, v51
	s_delay_alu instid0(VALU_DEP_4) | instskip(SKIP_1) | instid1(VALU_DEP_4)
	v_pk_min_f16 v32, v33, v32
	v_add_co_ci_u32_e32 v114, vcc_lo, v110, v52, vcc_lo
	v_ashrrev_i32_e32 v112, 31, v111
	s_and_b32 vcc_lo, exec_lo, s0
	s_delay_alu instid0(VALU_DEP_3) | instskip(NEXT) | instid1(VALU_DEP_1)
	v_pk_min_f16 v32, v32, v34
	v_lshrrev_b32_e32 v33, 16, v32
	s_delay_alu instid0(VALU_DEP_1)
	v_min3_f16 v32, v40, v32, v33
	v_lshlrev_b64 v[40:41], 1, v[111:112]
	global_store_b16 v[113:114], v32, off
	s_cbranch_vccnz .LBB271_22
; %bb.21:
	v_add_co_u32 v42, vcc_lo, v107, v40
	v_add_co_ci_u32_e32 v43, vcc_lo, v108, v41, vcc_lo
	flat_load_u16 v32, v[42:43]
	s_waitcnt vmcnt(0) lgkmcnt(0)
	v_mul_f16_e32 v42, s20, v32
.LBB271_22:
	v_pk_add_f16 v32, v4, v46
	v_pk_max_f16 v33, v38, v38
	v_pk_add_f16 v34, v5, v47
	v_dual_mov_b32 v45, 0 :: v_dual_add_nc_u32 v38, 32, v48
	v_add_co_u32 v111, vcc_lo, v109, v40
	s_delay_alu instid0(VALU_DEP_4) | instskip(NEXT) | instid1(VALU_DEP_3)
	v_pk_min_f16 v32, v33, v32
	v_ashrrev_i32_e32 v39, 31, v38
	v_add_co_ci_u32_e32 v112, vcc_lo, v110, v41, vcc_lo
	s_and_b32 vcc_lo, exec_lo, s0
	s_delay_alu instid0(VALU_DEP_3) | instskip(NEXT) | instid1(VALU_DEP_1)
	v_pk_min_f16 v32, v32, v34
	v_lshrrev_b32_e32 v33, 16, v32
	s_delay_alu instid0(VALU_DEP_1)
	v_min3_f16 v32, v42, v32, v33
	v_lshlrev_b64 v[42:43], 1, v[38:39]
	v_mov_b32_e32 v38, 0
	global_store_b16 v[111:112], v32, off
	s_cbranch_vccnz .LBB271_24
; %bb.23:
	v_add_co_u32 v38, vcc_lo, v107, v42
	v_add_co_ci_u32_e32 v39, vcc_lo, v108, v43, vcc_lo
	flat_load_u16 v32, v[38:39]
	s_waitcnt vmcnt(0) lgkmcnt(0)
	v_mul_f16_e32 v38, s20, v32
.LBB271_24:
	v_pk_add_f16 v32, v6, v46
	v_pk_max_f16 v33, v37, v37
	v_pk_add_f16 v34, v7, v47
	v_add_nc_u32_e32 v111, 40, v48
	v_add_co_u32 v113, vcc_lo, v109, v42
	s_delay_alu instid0(VALU_DEP_4) | instskip(SKIP_1) | instid1(VALU_DEP_4)
	v_pk_min_f16 v32, v33, v32
	v_add_co_ci_u32_e32 v114, vcc_lo, v110, v43, vcc_lo
	v_ashrrev_i32_e32 v112, 31, v111
	s_and_b32 vcc_lo, exec_lo, s0
	s_delay_alu instid0(VALU_DEP_3) | instskip(NEXT) | instid1(VALU_DEP_1)
	v_pk_min_f16 v32, v32, v34
	v_lshrrev_b32_e32 v33, 16, v32
	s_delay_alu instid0(VALU_DEP_1)
	v_min3_f16 v32, v38, v32, v33
	v_lshlrev_b64 v[38:39], 1, v[111:112]
	global_store_b16 v[113:114], v32, off
	s_cbranch_vccnz .LBB271_26
; %bb.25:
	v_add_co_u32 v111, vcc_lo, v107, v38
	v_add_co_ci_u32_e32 v112, vcc_lo, v108, v39, vcc_lo
	flat_load_u16 v32, v[111:112]
	s_waitcnt vmcnt(0) lgkmcnt(0)
	v_mul_f16_e32 v45, s20, v32
.LBB271_26:
	v_pk_add_f16 v32, v0, v46
	v_pk_max_f16 v33, v36, v36
	v_pk_add_f16 v34, v1, v47
	v_dual_mov_b32 v111, 0 :: v_dual_add_nc_u32 v36, 48, v48
	v_add_co_u32 v112, vcc_lo, v109, v38
	s_delay_alu instid0(VALU_DEP_4) | instskip(NEXT) | instid1(VALU_DEP_3)
	v_pk_min_f16 v32, v33, v32
	v_ashrrev_i32_e32 v37, 31, v36
	v_add_co_ci_u32_e32 v113, vcc_lo, v110, v39, vcc_lo
	s_and_b32 vcc_lo, exec_lo, s0
	s_delay_alu instid0(VALU_DEP_3) | instskip(NEXT) | instid1(VALU_DEP_3)
	v_pk_min_f16 v32, v32, v34
	v_lshlrev_b64 v[36:37], 1, v[36:37]
	s_delay_alu instid0(VALU_DEP_2) | instskip(NEXT) | instid1(VALU_DEP_1)
	v_lshrrev_b32_e32 v33, 16, v32
	v_min3_f16 v32, v45, v32, v33
	v_mov_b32_e32 v45, 0
	global_store_b16 v[112:113], v32, off
	s_cbranch_vccnz .LBB271_28
; %bb.27:
	v_add_co_u32 v112, vcc_lo, v107, v36
	v_add_co_ci_u32_e32 v113, vcc_lo, v108, v37, vcc_lo
	flat_load_u16 v32, v[112:113]
	s_waitcnt vmcnt(0) lgkmcnt(0)
	v_mul_f16_e32 v45, s20, v32
.LBB271_28:
	v_pk_add_f16 v32, v2, v46
	v_pk_max_f16 v33, v106, v106
	v_pk_add_f16 v34, v3, v47
	v_add_nc_u32_e32 v112, 56, v48
	v_add_co_u32 v114, vcc_lo, v109, v36
	s_delay_alu instid0(VALU_DEP_4) | instskip(SKIP_1) | instid1(VALU_DEP_4)
	v_pk_min_f16 v32, v33, v32
	v_add_co_ci_u32_e32 v115, vcc_lo, v110, v37, vcc_lo
	v_ashrrev_i32_e32 v113, 31, v112
	s_and_b32 vcc_lo, exec_lo, s0
	s_delay_alu instid0(VALU_DEP_3) | instskip(NEXT) | instid1(VALU_DEP_2)
	v_pk_min_f16 v32, v32, v34
	v_lshlrev_b64 v[34:35], 1, v[112:113]
	s_delay_alu instid0(VALU_DEP_2) | instskip(NEXT) | instid1(VALU_DEP_1)
	v_lshrrev_b32_e32 v33, 16, v32
	v_min3_f16 v32, v45, v32, v33
	global_store_b16 v[114:115], v32, off
	s_cbranch_vccnz .LBB271_30
; %bb.29:
	v_add_co_u32 v106, vcc_lo, v107, v34
	v_add_co_ci_u32_e32 v107, vcc_lo, v108, v35, vcc_lo
	flat_load_u16 v32, v[106:107]
	s_waitcnt vmcnt(0) lgkmcnt(0)
	v_mul_f16_e32 v111, s20, v32
.LBB271_30:
	v_add_nc_u32_e32 v107, 32, v44
	v_pk_add_f16 v32, v24, v46
	v_pk_max_f16 v33, v105, v105
	v_pk_add_f16 v45, v25, v47
	v_add_co_u32 v109, vcc_lo, v109, v34
	v_mad_i64_i32 v[105:106], null, v107, s8, 0
	s_delay_alu instid0(VALU_DEP_4) | instskip(SKIP_2) | instid1(VALU_DEP_3)
	v_pk_min_f16 v32, v33, v32
	v_add_co_ci_u32_e32 v110, vcc_lo, v110, v35, vcc_lo
	v_mov_b32_e32 v108, 0
	v_pk_min_f16 v32, v32, v45
	v_lshlrev_b64 v[46:47], 1, v[105:106]
	v_mov_b32_e32 v106, 0
	s_delay_alu instid0(VALU_DEP_3) | instskip(NEXT) | instid1(VALU_DEP_3)
	v_lshrrev_b32_e32 v33, 16, v32
	v_add_co_u32 v46, vcc_lo, s4, v46
	s_delay_alu instid0(VALU_DEP_4) | instskip(NEXT) | instid1(VALU_DEP_3)
	v_add_co_ci_u32_e32 v47, vcc_lo, s5, v47, vcc_lo
	v_min3_f16 v32, v111, v32, v33
	s_and_b32 vcc_lo, exec_lo, s0
	global_store_b16 v[109:110], v32, off
	s_cbranch_vccnz .LBB271_32
; %bb.31:
	v_add_co_u32 v108, vcc_lo, v46, v28
	v_add_co_ci_u32_e32 v109, vcc_lo, v47, v29, vcc_lo
	flat_load_u16 v32, v[108:109]
	s_waitcnt vmcnt(0) lgkmcnt(0)
	v_mul_f16_e32 v108, s20, v32
.LBB271_32:
	v_pk_max_f16 v33, v104, v104
	v_mad_i64_i32 v[104:105], null, v107, s3, 0
	v_pk_add_f16 v32, v26, v20
	v_pk_add_f16 v45, v27, v21
	s_delay_alu instid0(VALU_DEP_2) | instskip(NEXT) | instid1(VALU_DEP_4)
	v_pk_min_f16 v32, v33, v32
	v_lshlrev_b64 v[104:105], 1, v[104:105]
	s_delay_alu instid0(VALU_DEP_2) | instskip(NEXT) | instid1(VALU_DEP_2)
	v_pk_min_f16 v32, v32, v45
	v_add_co_u32 v104, vcc_lo, s1, v104
	s_delay_alu instid0(VALU_DEP_3) | instskip(NEXT) | instid1(VALU_DEP_3)
	v_add_co_ci_u32_e32 v105, vcc_lo, s6, v105, vcc_lo
	v_lshrrev_b32_e32 v33, 16, v32
	s_delay_alu instid0(VALU_DEP_3) | instskip(NEXT) | instid1(VALU_DEP_2)
	v_add_co_u32 v107, vcc_lo, v104, v28
	v_min3_f16 v32, v108, v32, v33
	s_delay_alu instid0(VALU_DEP_4)
	v_add_co_ci_u32_e32 v108, vcc_lo, v105, v29, vcc_lo
	s_and_b32 vcc_lo, exec_lo, s0
	global_store_b16 v[107:108], v32, off
	s_cbranch_vccnz .LBB271_34
; %bb.33:
	v_add_co_u32 v106, vcc_lo, v46, v30
	v_add_co_ci_u32_e32 v107, vcc_lo, v47, v31, vcc_lo
	flat_load_u16 v32, v[106:107]
	s_waitcnt vmcnt(0) lgkmcnt(0)
	v_mul_f16_e32 v106, s20, v32
.LBB271_34:
	v_pk_add_f16 v32, v8, v20
	v_pk_max_f16 v33, v103, v103
	v_pk_add_f16 v45, v9, v21
	v_add_co_u32 v107, vcc_lo, v104, v30
	v_add_co_ci_u32_e32 v108, vcc_lo, v105, v31, vcc_lo
	s_delay_alu instid0(VALU_DEP_4) | instskip(SKIP_2) | instid1(VALU_DEP_2)
	v_pk_min_f16 v32, v33, v32
	v_mov_b32_e32 v103, 0
	s_and_b32 vcc_lo, exec_lo, s0
	v_pk_min_f16 v32, v32, v45
	s_delay_alu instid0(VALU_DEP_1) | instskip(NEXT) | instid1(VALU_DEP_1)
	v_lshrrev_b32_e32 v33, 16, v32
	v_min3_f16 v32, v106, v32, v33
	v_mov_b32_e32 v106, 0
	global_store_b16 v[107:108], v32, off
	s_cbranch_vccnz .LBB271_36
; %bb.35:
	v_add_co_u32 v106, vcc_lo, v46, v51
	v_add_co_ci_u32_e32 v107, vcc_lo, v47, v52, vcc_lo
	flat_load_u16 v32, v[106:107]
	s_waitcnt vmcnt(0) lgkmcnt(0)
	v_mul_f16_e32 v106, s20, v32
.LBB271_36:
	v_pk_add_f16 v32, v10, v20
	v_pk_max_f16 v33, v102, v102
	v_pk_add_f16 v45, v11, v21
	s_delay_alu instid0(VALU_DEP_2) | instskip(NEXT) | instid1(VALU_DEP_1)
	v_pk_min_f16 v32, v33, v32
	v_pk_min_f16 v32, v32, v45
	s_delay_alu instid0(VALU_DEP_1) | instskip(NEXT) | instid1(VALU_DEP_1)
	v_lshrrev_b32_e32 v33, 16, v32
	v_min3_f16 v32, v106, v32, v33
	v_add_co_u32 v106, vcc_lo, v104, v51
	v_add_co_ci_u32_e32 v107, vcc_lo, v105, v52, vcc_lo
	s_and_b32 vcc_lo, exec_lo, s0
	global_store_b16 v[106:107], v32, off
	s_cbranch_vccnz .LBB271_38
; %bb.37:
	v_add_co_u32 v102, vcc_lo, v46, v40
	v_add_co_ci_u32_e32 v103, vcc_lo, v47, v41, vcc_lo
	flat_load_u16 v32, v[102:103]
	s_waitcnt vmcnt(0) lgkmcnt(0)
	v_mul_f16_e32 v103, s20, v32
.LBB271_38:
	v_pk_add_f16 v32, v4, v20
	v_pk_max_f16 v33, v101, v101
	v_pk_add_f16 v45, v5, v21
	v_add_co_u32 v106, vcc_lo, v104, v40
	v_add_co_ci_u32_e32 v107, vcc_lo, v105, v41, vcc_lo
	s_delay_alu instid0(VALU_DEP_4) | instskip(SKIP_2) | instid1(VALU_DEP_2)
	v_pk_min_f16 v32, v33, v32
	v_dual_mov_b32 v101, 0 :: v_dual_mov_b32 v102, 0
	s_and_b32 vcc_lo, exec_lo, s0
	v_pk_min_f16 v32, v32, v45
	s_delay_alu instid0(VALU_DEP_1) | instskip(NEXT) | instid1(VALU_DEP_1)
	v_lshrrev_b32_e32 v33, 16, v32
	v_min3_f16 v32, v103, v32, v33
	global_store_b16 v[106:107], v32, off
	s_cbranch_vccnz .LBB271_40
; %bb.39:
	v_add_co_u32 v102, vcc_lo, v46, v42
	v_add_co_ci_u32_e32 v103, vcc_lo, v47, v43, vcc_lo
	flat_load_u16 v32, v[102:103]
	s_waitcnt vmcnt(0) lgkmcnt(0)
	v_mul_f16_e32 v102, s20, v32
.LBB271_40:
	v_pk_add_f16 v32, v6, v20
	v_pk_max_f16 v33, v100, v100
	v_pk_add_f16 v45, v7, v21
	s_delay_alu instid0(VALU_DEP_2) | instskip(NEXT) | instid1(VALU_DEP_1)
	v_pk_min_f16 v32, v33, v32
	v_pk_min_f16 v32, v32, v45
	s_delay_alu instid0(VALU_DEP_1) | instskip(NEXT) | instid1(VALU_DEP_1)
	v_lshrrev_b32_e32 v33, 16, v32
	v_min3_f16 v32, v102, v32, v33
	v_add_co_u32 v102, vcc_lo, v104, v42
	v_add_co_ci_u32_e32 v103, vcc_lo, v105, v43, vcc_lo
	s_and_b32 vcc_lo, exec_lo, s0
	global_store_b16 v[102:103], v32, off
	s_cbranch_vccnz .LBB271_42
; %bb.41:
	v_add_co_u32 v100, vcc_lo, v46, v38
	v_add_co_ci_u32_e32 v101, vcc_lo, v47, v39, vcc_lo
	flat_load_u16 v32, v[100:101]
	s_waitcnt vmcnt(0) lgkmcnt(0)
	v_mul_f16_e32 v101, s20, v32
.LBB271_42:
	v_pk_add_f16 v32, v0, v20
	v_pk_max_f16 v33, v99, v99
	v_pk_add_f16 v45, v1, v21
	v_add_co_u32 v102, vcc_lo, v104, v38
	v_add_co_ci_u32_e32 v103, vcc_lo, v105, v39, vcc_lo
	s_delay_alu instid0(VALU_DEP_4) | instskip(SKIP_2) | instid1(VALU_DEP_2)
	v_pk_min_f16 v32, v33, v32
	v_dual_mov_b32 v99, 0 :: v_dual_mov_b32 v100, 0
	s_and_b32 vcc_lo, exec_lo, s0
	v_pk_min_f16 v32, v32, v45
	s_delay_alu instid0(VALU_DEP_1) | instskip(NEXT) | instid1(VALU_DEP_1)
	v_lshrrev_b32_e32 v33, 16, v32
	v_min3_f16 v32, v101, v32, v33
	global_store_b16 v[102:103], v32, off
	s_cbranch_vccnz .LBB271_44
; %bb.43:
	v_add_co_u32 v100, vcc_lo, v46, v36
	v_add_co_ci_u32_e32 v101, vcc_lo, v47, v37, vcc_lo
	flat_load_u16 v32, v[100:101]
	s_waitcnt vmcnt(0) lgkmcnt(0)
	v_mul_f16_e32 v100, s20, v32
.LBB271_44:
	v_pk_add_f16 v32, v2, v20
	v_pk_max_f16 v33, v97, v97
	v_pk_add_f16 v45, v3, v21
	s_delay_alu instid0(VALU_DEP_2) | instskip(NEXT) | instid1(VALU_DEP_1)
	v_pk_min_f16 v32, v33, v32
	v_pk_min_f16 v32, v32, v45
	s_delay_alu instid0(VALU_DEP_1) | instskip(NEXT) | instid1(VALU_DEP_1)
	v_lshrrev_b32_e32 v33, 16, v32
	v_min3_f16 v32, v100, v32, v33
	v_add_co_u32 v100, vcc_lo, v104, v36
	v_add_co_ci_u32_e32 v101, vcc_lo, v105, v37, vcc_lo
	s_and_b32 vcc_lo, exec_lo, s0
	global_store_b16 v[100:101], v32, off
	s_cbranch_vccnz .LBB271_46
; %bb.45:
	v_add_co_u32 v46, vcc_lo, v46, v34
	v_add_co_ci_u32_e32 v47, vcc_lo, v47, v35, vcc_lo
	flat_load_u16 v32, v[46:47]
	s_waitcnt vmcnt(0) lgkmcnt(0)
	v_mul_f16_e32 v99, s20, v32
.LBB271_46:
	v_add_nc_u32_e32 v46, 64, v44
	v_pk_add_f16 v20, v24, v20
	v_pk_max_f16 v32, v96, v96
	v_pk_add_f16 v21, v25, v21
	v_add_co_u32 v100, vcc_lo, v104, v34
	v_mad_i64_i32 v[96:97], null, v46, s8, 0
	s_delay_alu instid0(VALU_DEP_4) | instskip(SKIP_1) | instid1(VALU_DEP_2)
	v_pk_min_f16 v20, v32, v20
	v_add_co_ci_u32_e32 v101, vcc_lo, v105, v35, vcc_lo
	v_pk_min_f16 v32, v20, v21
	s_delay_alu instid0(VALU_DEP_4) | instskip(SKIP_1) | instid1(VALU_DEP_3)
	v_lshlrev_b64 v[20:21], 1, v[96:97]
	v_dual_mov_b32 v97, 0 :: v_dual_mov_b32 v96, 0
	v_lshrrev_b32_e32 v33, 16, v32
	s_delay_alu instid0(VALU_DEP_3) | instskip(NEXT) | instid1(VALU_DEP_4)
	v_add_co_u32 v20, vcc_lo, s4, v20
	v_add_co_ci_u32_e32 v21, vcc_lo, s5, v21, vcc_lo
	s_delay_alu instid0(VALU_DEP_3)
	v_min3_f16 v32, v99, v32, v33
	s_and_b32 vcc_lo, exec_lo, s0
	global_store_b16 v[100:101], v32, off
	s_cbranch_vccnz .LBB271_48
; %bb.47:
	v_add_co_u32 v99, vcc_lo, v20, v28
	v_add_co_ci_u32_e32 v100, vcc_lo, v21, v29, vcc_lo
	flat_load_u16 v32, v[99:100]
	s_waitcnt vmcnt(0) lgkmcnt(0)
	v_mul_f16_e32 v97, s20, v32
.LBB271_48:
	v_mad_i64_i32 v[99:100], null, v46, s3, 0
	v_pk_add_f16 v32, v26, v22
	v_pk_max_f16 v33, v95, v95
	v_pk_add_f16 v45, v27, v23
	s_delay_alu instid0(VALU_DEP_2) | instskip(SKIP_1) | instid1(VALU_DEP_2)
	v_pk_min_f16 v32, v33, v32
	v_lshlrev_b64 v[46:47], 1, v[99:100]
	v_pk_min_f16 v32, v32, v45
	s_delay_alu instid0(VALU_DEP_2) | instskip(NEXT) | instid1(VALU_DEP_3)
	v_add_co_u32 v46, vcc_lo, s1, v46
	v_add_co_ci_u32_e32 v47, vcc_lo, s6, v47, vcc_lo
	s_delay_alu instid0(VALU_DEP_3) | instskip(NEXT) | instid1(VALU_DEP_3)
	v_lshrrev_b32_e32 v33, 16, v32
	v_add_co_u32 v99, vcc_lo, v46, v28
	s_delay_alu instid0(VALU_DEP_3) | instskip(NEXT) | instid1(VALU_DEP_3)
	v_add_co_ci_u32_e32 v100, vcc_lo, v47, v29, vcc_lo
	v_min3_f16 v32, v97, v32, v33
	s_and_b32 vcc_lo, exec_lo, s0
	global_store_b16 v[99:100], v32, off
	s_cbranch_vccnz .LBB271_50
; %bb.49:
	v_add_co_u32 v95, vcc_lo, v20, v30
	v_add_co_ci_u32_e32 v96, vcc_lo, v21, v31, vcc_lo
	flat_load_u16 v32, v[95:96]
	s_waitcnt vmcnt(0) lgkmcnt(0)
	v_mul_f16_e32 v96, s20, v32
.LBB271_50:
	v_pk_add_f16 v32, v8, v22
	v_pk_max_f16 v33, v94, v94
	v_pk_add_f16 v45, v9, v23
	v_add_co_u32 v99, vcc_lo, v46, v30
	v_add_co_ci_u32_e32 v100, vcc_lo, v47, v31, vcc_lo
	s_delay_alu instid0(VALU_DEP_4) | instskip(SKIP_2) | instid1(VALU_DEP_2)
	v_pk_min_f16 v32, v33, v32
	v_dual_mov_b32 v94, 0 :: v_dual_mov_b32 v95, 0
	s_and_b32 vcc_lo, exec_lo, s0
	v_pk_min_f16 v32, v32, v45
	s_delay_alu instid0(VALU_DEP_1) | instskip(NEXT) | instid1(VALU_DEP_1)
	v_lshrrev_b32_e32 v33, 16, v32
	v_min3_f16 v32, v96, v32, v33
	global_store_b16 v[99:100], v32, off
	s_cbranch_vccnz .LBB271_52
; %bb.51:
	v_add_co_u32 v95, vcc_lo, v20, v51
	v_add_co_ci_u32_e32 v96, vcc_lo, v21, v52, vcc_lo
	flat_load_u16 v32, v[95:96]
	s_waitcnt vmcnt(0) lgkmcnt(0)
	v_mul_f16_e32 v95, s20, v32
.LBB271_52:
	v_pk_add_f16 v32, v10, v22
	v_pk_max_f16 v33, v93, v93
	v_pk_add_f16 v45, v11, v23
	s_delay_alu instid0(VALU_DEP_2) | instskip(NEXT) | instid1(VALU_DEP_1)
	v_pk_min_f16 v32, v33, v32
	v_pk_min_f16 v32, v32, v45
	s_delay_alu instid0(VALU_DEP_1) | instskip(NEXT) | instid1(VALU_DEP_1)
	v_lshrrev_b32_e32 v33, 16, v32
	v_min3_f16 v32, v95, v32, v33
	v_add_co_u32 v95, vcc_lo, v46, v51
	v_add_co_ci_u32_e32 v96, vcc_lo, v47, v52, vcc_lo
	s_and_b32 vcc_lo, exec_lo, s0
	global_store_b16 v[95:96], v32, off
	s_cbranch_vccnz .LBB271_54
; %bb.53:
	v_add_co_u32 v93, vcc_lo, v20, v40
	v_add_co_ci_u32_e32 v94, vcc_lo, v21, v41, vcc_lo
	flat_load_u16 v32, v[93:94]
	s_waitcnt vmcnt(0) lgkmcnt(0)
	v_mul_f16_e32 v94, s20, v32
.LBB271_54:
	v_pk_add_f16 v32, v4, v22
	v_pk_max_f16 v33, v92, v92
	v_pk_add_f16 v45, v5, v23
	v_add_co_u32 v95, vcc_lo, v46, v40
	v_add_co_ci_u32_e32 v96, vcc_lo, v47, v41, vcc_lo
	s_delay_alu instid0(VALU_DEP_4) | instskip(SKIP_2) | instid1(VALU_DEP_2)
	v_pk_min_f16 v32, v33, v32
	v_dual_mov_b32 v92, 0 :: v_dual_mov_b32 v93, 0
	s_and_b32 vcc_lo, exec_lo, s0
	v_pk_min_f16 v32, v32, v45
	s_delay_alu instid0(VALU_DEP_1) | instskip(NEXT) | instid1(VALU_DEP_1)
	v_lshrrev_b32_e32 v33, 16, v32
	v_min3_f16 v32, v94, v32, v33
	global_store_b16 v[95:96], v32, off
	s_cbranch_vccnz .LBB271_56
; %bb.55:
	v_add_co_u32 v93, vcc_lo, v20, v42
	v_add_co_ci_u32_e32 v94, vcc_lo, v21, v43, vcc_lo
	flat_load_u16 v32, v[93:94]
	s_waitcnt vmcnt(0) lgkmcnt(0)
	v_mul_f16_e32 v93, s20, v32
.LBB271_56:
	v_pk_add_f16 v32, v6, v22
	v_pk_max_f16 v33, v91, v91
	v_pk_add_f16 v45, v7, v23
	s_delay_alu instid0(VALU_DEP_2) | instskip(NEXT) | instid1(VALU_DEP_1)
	v_pk_min_f16 v32, v33, v32
	v_pk_min_f16 v32, v32, v45
	s_delay_alu instid0(VALU_DEP_1) | instskip(NEXT) | instid1(VALU_DEP_1)
	v_lshrrev_b32_e32 v33, 16, v32
	v_min3_f16 v32, v93, v32, v33
	v_add_co_u32 v93, vcc_lo, v46, v42
	v_add_co_ci_u32_e32 v94, vcc_lo, v47, v43, vcc_lo
	;; [unrolled: 43-line block ×3, first 2 shown]
	s_and_b32 vcc_lo, exec_lo, s0
	global_store_b16 v[91:92], v32, off
	s_cbranch_vccnz .LBB271_62
; %bb.61:
	v_add_co_u32 v20, vcc_lo, v20, v34
	v_add_co_ci_u32_e32 v21, vcc_lo, v21, v35, vcc_lo
	flat_load_u16 v20, v[20:21]
	s_waitcnt vmcnt(0) lgkmcnt(0)
	v_mul_f16_e32 v90, s20, v20
.LBB271_62:
	v_pk_add_f16 v22, v24, v22
	v_pk_max_f16 v32, v88, v88
	v_add_nc_u32_e32 v89, 0x60, v44
	v_pk_add_f16 v23, v25, v23
	s_delay_alu instid0(VALU_DEP_3) | instskip(NEXT) | instid1(VALU_DEP_1)
	v_pk_min_f16 v22, v32, v22
	v_pk_min_f16 v32, v22, v23
	v_add_co_u32 v22, vcc_lo, v46, v34
	v_mov_b32_e32 v46, 0
	v_mad_i64_i32 v[20:21], null, v89, s8, 0
	s_delay_alu instid0(VALU_DEP_4) | instskip(SKIP_2) | instid1(VALU_DEP_3)
	v_lshrrev_b32_e32 v33, 16, v32
	v_add_co_ci_u32_e32 v23, vcc_lo, v47, v35, vcc_lo
	v_mov_b32_e32 v47, 0
	v_min3_f16 v32, v90, v32, v33
	v_lshlrev_b64 v[20:21], 1, v[20:21]
	global_store_b16 v[22:23], v32, off
	v_add_co_u32 v20, vcc_lo, s4, v20
	v_add_co_ci_u32_e32 v21, vcc_lo, s5, v21, vcc_lo
	s_and_b32 vcc_lo, exec_lo, s0
	s_cbranch_vccnz .LBB271_64
; %bb.63:
	s_delay_alu instid0(VALU_DEP_2) | instskip(NEXT) | instid1(VALU_DEP_2)
	v_add_co_u32 v22, vcc_lo, v20, v28
	v_add_co_ci_u32_e32 v23, vcc_lo, v21, v29, vcc_lo
	flat_load_u16 v22, v[22:23]
	s_waitcnt vmcnt(0) lgkmcnt(0)
	v_mul_f16_e32 v47, s20, v22
.LBB271_64:
	v_mad_i64_i32 v[22:23], null, v89, s3, 0
	v_pk_add_f16 v32, v26, v16
	v_pk_max_f16 v33, v87, v87
	v_pk_add_f16 v45, v27, v17
	s_delay_alu instid0(VALU_DEP_2) | instskip(SKIP_1) | instid1(VALU_DEP_2)
	v_pk_min_f16 v32, v33, v32
	v_lshlrev_b64 v[22:23], 1, v[22:23]
	v_pk_min_f16 v32, v32, v45
	s_delay_alu instid0(VALU_DEP_2) | instskip(NEXT) | instid1(VALU_DEP_3)
	v_add_co_u32 v22, vcc_lo, s1, v22
	v_add_co_ci_u32_e32 v23, vcc_lo, s6, v23, vcc_lo
	s_delay_alu instid0(VALU_DEP_3) | instskip(NEXT) | instid1(VALU_DEP_3)
	v_lshrrev_b32_e32 v33, 16, v32
	v_add_co_u32 v87, vcc_lo, v22, v28
	s_delay_alu instid0(VALU_DEP_3) | instskip(NEXT) | instid1(VALU_DEP_3)
	v_add_co_ci_u32_e32 v88, vcc_lo, v23, v29, vcc_lo
	v_min3_f16 v32, v47, v32, v33
	s_and_b32 vcc_lo, exec_lo, s0
	global_store_b16 v[87:88], v32, off
	s_cbranch_vccnz .LBB271_66
; %bb.65:
	v_add_co_u32 v46, vcc_lo, v20, v30
	v_add_co_ci_u32_e32 v47, vcc_lo, v21, v31, vcc_lo
	flat_load_u16 v32, v[46:47]
	s_waitcnt vmcnt(0) lgkmcnt(0)
	v_mul_f16_e32 v46, s20, v32
.LBB271_66:
	v_pk_add_f16 v32, v8, v16
	v_pk_max_f16 v33, v86, v86
	v_pk_add_f16 v45, v9, v17
	v_add_co_u32 v86, vcc_lo, v22, v30
	v_add_co_ci_u32_e32 v87, vcc_lo, v23, v31, vcc_lo
	s_delay_alu instid0(VALU_DEP_4) | instskip(SKIP_2) | instid1(VALU_DEP_2)
	v_pk_min_f16 v32, v33, v32
	s_and_b32 vcc_lo, exec_lo, s0
	v_mov_b32_e32 v47, 0
	v_pk_min_f16 v32, v32, v45
	s_delay_alu instid0(VALU_DEP_1) | instskip(NEXT) | instid1(VALU_DEP_1)
	v_lshrrev_b32_e32 v33, 16, v32
	v_min3_f16 v32, v46, v32, v33
	v_mov_b32_e32 v46, 0
	global_store_b16 v[86:87], v32, off
	s_cbranch_vccnz .LBB271_68
; %bb.67:
	v_add_co_u32 v86, vcc_lo, v20, v51
	v_add_co_ci_u32_e32 v87, vcc_lo, v21, v52, vcc_lo
	flat_load_u16 v32, v[86:87]
	s_waitcnt vmcnt(0) lgkmcnt(0)
	v_mul_f16_e32 v47, s20, v32
.LBB271_68:
	v_pk_add_f16 v32, v10, v16
	v_pk_max_f16 v33, v85, v85
	v_pk_add_f16 v45, v11, v17
	v_add_co_u32 v85, vcc_lo, v22, v51
	v_add_co_ci_u32_e32 v86, vcc_lo, v23, v52, vcc_lo
	s_delay_alu instid0(VALU_DEP_4) | instskip(SKIP_1) | instid1(VALU_DEP_1)
	v_pk_min_f16 v32, v33, v32
	s_and_b32 vcc_lo, exec_lo, s0
	v_pk_min_f16 v32, v32, v45
	s_delay_alu instid0(VALU_DEP_1) | instskip(NEXT) | instid1(VALU_DEP_1)
	v_lshrrev_b32_e32 v33, 16, v32
	v_min3_f16 v32, v47, v32, v33
	global_store_b16 v[85:86], v32, off
	s_cbranch_vccnz .LBB271_70
; %bb.69:
	v_add_co_u32 v46, vcc_lo, v20, v40
	v_add_co_ci_u32_e32 v47, vcc_lo, v21, v41, vcc_lo
	flat_load_u16 v32, v[46:47]
	s_waitcnt vmcnt(0) lgkmcnt(0)
	v_mul_f16_e32 v46, s20, v32
.LBB271_70:
	v_pk_add_f16 v32, v4, v16
	v_pk_max_f16 v33, v84, v84
	v_pk_add_f16 v45, v5, v17
	v_add_co_u32 v84, vcc_lo, v22, v40
	v_add_co_ci_u32_e32 v85, vcc_lo, v23, v41, vcc_lo
	s_delay_alu instid0(VALU_DEP_4) | instskip(SKIP_2) | instid1(VALU_DEP_2)
	v_pk_min_f16 v32, v33, v32
	s_and_b32 vcc_lo, exec_lo, s0
	v_mov_b32_e32 v47, 0
	v_pk_min_f16 v32, v32, v45
	s_delay_alu instid0(VALU_DEP_1) | instskip(NEXT) | instid1(VALU_DEP_1)
	v_lshrrev_b32_e32 v33, 16, v32
	v_min3_f16 v32, v46, v32, v33
	v_mov_b32_e32 v46, 0
	global_store_b16 v[84:85], v32, off
	s_cbranch_vccnz .LBB271_72
; %bb.71:
	v_add_co_u32 v84, vcc_lo, v20, v42
	v_add_co_ci_u32_e32 v85, vcc_lo, v21, v43, vcc_lo
	flat_load_u16 v32, v[84:85]
	s_waitcnt vmcnt(0) lgkmcnt(0)
	v_mul_f16_e32 v47, s20, v32
.LBB271_72:
	v_pk_add_f16 v32, v6, v16
	v_pk_max_f16 v33, v83, v83
	v_pk_add_f16 v45, v7, v17
	v_add_co_u32 v83, vcc_lo, v22, v42
	v_add_co_ci_u32_e32 v84, vcc_lo, v23, v43, vcc_lo
	s_delay_alu instid0(VALU_DEP_4) | instskip(SKIP_1) | instid1(VALU_DEP_1)
	v_pk_min_f16 v32, v33, v32
	s_and_b32 vcc_lo, exec_lo, s0
	v_pk_min_f16 v32, v32, v45
	s_delay_alu instid0(VALU_DEP_1) | instskip(NEXT) | instid1(VALU_DEP_1)
	v_lshrrev_b32_e32 v33, 16, v32
	v_min3_f16 v32, v47, v32, v33
	;; [unrolled: 44-line block ×3, first 2 shown]
	global_store_b16 v[81:82], v32, off
	s_cbranch_vccnz .LBB271_78
; %bb.77:
	v_add_co_u32 v20, vcc_lo, v20, v34
	v_add_co_ci_u32_e32 v21, vcc_lo, v21, v35, vcc_lo
	flat_load_u16 v20, v[20:21]
	s_waitcnt vmcnt(0) lgkmcnt(0)
	v_mul_f16_e32 v46, s20, v20
.LBB271_78:
	v_add_nc_u32_e32 v20, 0x80, v44
	v_pk_add_f16 v16, v24, v16
	v_pk_max_f16 v21, v80, v80
	v_pk_add_f16 v17, v25, v17
	s_delay_alu instid0(VALU_DEP_4) | instskip(NEXT) | instid1(VALU_DEP_3)
	v_mad_i64_i32 v[80:81], null, v20, s8, 0
	v_pk_min_f16 v16, v21, v16
	s_delay_alu instid0(VALU_DEP_1) | instskip(NEXT) | instid1(VALU_DEP_3)
	v_pk_min_f16 v21, v16, v17
	v_lshlrev_b64 v[16:17], 1, v[80:81]
	v_add_co_u32 v80, vcc_lo, v22, v34
	v_add_co_ci_u32_e32 v81, vcc_lo, v23, v35, vcc_lo
	v_mov_b32_e32 v23, 0
	v_lshrrev_b32_e32 v22, 16, v21
	v_add_co_u32 v16, vcc_lo, s4, v16
	v_add_co_ci_u32_e32 v17, vcc_lo, s5, v17, vcc_lo
	s_delay_alu instid0(VALU_DEP_3)
	v_min3_f16 v21, v46, v21, v22
	v_mov_b32_e32 v22, 0
	s_and_b32 vcc_lo, exec_lo, s0
	global_store_b16 v[80:81], v21, off
	s_cbranch_vccnz .LBB271_80
; %bb.79:
	v_add_co_u32 v46, vcc_lo, v16, v28
	v_add_co_ci_u32_e32 v47, vcc_lo, v17, v29, vcc_lo
	flat_load_u16 v21, v[46:47]
	s_waitcnt vmcnt(0) lgkmcnt(0)
	v_mul_f16_e32 v23, s20, v21
.LBB271_80:
	v_pk_add_f16 v21, v26, v18
	v_pk_max_f16 v32, v79, v79
	v_mad_i64_i32 v[46:47], null, v20, s3, 0
	v_pk_add_f16 v20, v27, v19
	s_delay_alu instid0(VALU_DEP_3) | instskip(NEXT) | instid1(VALU_DEP_1)
	v_pk_min_f16 v21, v32, v21
	v_pk_min_f16 v32, v21, v20
	s_delay_alu instid0(VALU_DEP_4) | instskip(NEXT) | instid1(VALU_DEP_2)
	v_lshlrev_b64 v[20:21], 1, v[46:47]
	v_lshrrev_b32_e32 v33, 16, v32
	s_delay_alu instid0(VALU_DEP_2) | instskip(NEXT) | instid1(VALU_DEP_3)
	v_add_co_u32 v20, vcc_lo, s1, v20
	v_add_co_ci_u32_e32 v21, vcc_lo, s6, v21, vcc_lo
	s_delay_alu instid0(VALU_DEP_3) | instskip(NEXT) | instid1(VALU_DEP_3)
	v_min3_f16 v23, v23, v32, v33
	v_add_co_u32 v46, vcc_lo, v20, v28
	s_delay_alu instid0(VALU_DEP_3)
	v_add_co_ci_u32_e32 v47, vcc_lo, v21, v29, vcc_lo
	s_and_b32 vcc_lo, exec_lo, s0
	global_store_b16 v[46:47], v23, off
	s_cbranch_vccnz .LBB271_82
; %bb.81:
	v_add_co_u32 v22, vcc_lo, v16, v30
	v_add_co_ci_u32_e32 v23, vcc_lo, v17, v31, vcc_lo
	flat_load_u16 v22, v[22:23]
	s_waitcnt vmcnt(0) lgkmcnt(0)
	v_mul_f16_e32 v22, s20, v22
.LBB271_82:
	v_pk_add_f16 v23, v8, v18
	v_pk_max_f16 v32, v78, v78
	v_pk_add_f16 v33, v9, v19
	v_add_co_u32 v46, vcc_lo, v20, v30
	v_add_co_ci_u32_e32 v47, vcc_lo, v21, v31, vcc_lo
	s_delay_alu instid0(VALU_DEP_4) | instskip(SKIP_1) | instid1(VALU_DEP_1)
	v_pk_min_f16 v23, v32, v23
	s_and_b32 vcc_lo, exec_lo, s0
	v_pk_min_f16 v23, v23, v33
	s_delay_alu instid0(VALU_DEP_1) | instskip(NEXT) | instid1(VALU_DEP_1)
	v_lshrrev_b32_e32 v32, 16, v23
	v_min3_f16 v32, v22, v23, v32
	v_dual_mov_b32 v22, 0 :: v_dual_mov_b32 v23, 0
	global_store_b16 v[46:47], v32, off
	s_cbranch_vccnz .LBB271_84
; %bb.83:
	v_add_co_u32 v46, vcc_lo, v16, v51
	v_add_co_ci_u32_e32 v47, vcc_lo, v17, v52, vcc_lo
	flat_load_u16 v23, v[46:47]
	s_waitcnt vmcnt(0) lgkmcnt(0)
	v_mul_f16_e32 v23, s20, v23
.LBB271_84:
	v_pk_add_f16 v32, v10, v18
	v_pk_max_f16 v33, v77, v77
	v_pk_add_f16 v45, v11, v19
	v_add_co_u32 v46, vcc_lo, v20, v51
	v_add_co_ci_u32_e32 v47, vcc_lo, v21, v52, vcc_lo
	s_delay_alu instid0(VALU_DEP_4) | instskip(SKIP_1) | instid1(VALU_DEP_1)
	v_pk_min_f16 v32, v33, v32
	s_and_b32 vcc_lo, exec_lo, s0
	v_pk_min_f16 v32, v32, v45
	s_delay_alu instid0(VALU_DEP_1) | instskip(NEXT) | instid1(VALU_DEP_1)
	v_lshrrev_b32_e32 v33, 16, v32
	v_min3_f16 v23, v23, v32, v33
	global_store_b16 v[46:47], v23, off
	s_cbranch_vccnz .LBB271_86
; %bb.85:
	v_add_co_u32 v22, vcc_lo, v16, v40
	v_add_co_ci_u32_e32 v23, vcc_lo, v17, v41, vcc_lo
	flat_load_u16 v22, v[22:23]
	s_waitcnt vmcnt(0) lgkmcnt(0)
	v_mul_f16_e32 v22, s20, v22
.LBB271_86:
	v_pk_add_f16 v23, v4, v18
	v_pk_max_f16 v32, v76, v76
	v_pk_add_f16 v33, v5, v19
	v_add_co_u32 v46, vcc_lo, v20, v40
	v_add_co_ci_u32_e32 v47, vcc_lo, v21, v41, vcc_lo
	s_delay_alu instid0(VALU_DEP_4) | instskip(SKIP_1) | instid1(VALU_DEP_1)
	v_pk_min_f16 v23, v32, v23
	s_and_b32 vcc_lo, exec_lo, s0
	v_pk_min_f16 v23, v23, v33
	s_delay_alu instid0(VALU_DEP_1) | instskip(NEXT) | instid1(VALU_DEP_1)
	v_lshrrev_b32_e32 v32, 16, v23
	v_min3_f16 v32, v22, v23, v32
	v_dual_mov_b32 v22, 0 :: v_dual_mov_b32 v23, 0
	global_store_b16 v[46:47], v32, off
	s_cbranch_vccnz .LBB271_88
; %bb.87:
	v_add_co_u32 v46, vcc_lo, v16, v42
	v_add_co_ci_u32_e32 v47, vcc_lo, v17, v43, vcc_lo
	flat_load_u16 v23, v[46:47]
	s_waitcnt vmcnt(0) lgkmcnt(0)
	v_mul_f16_e32 v23, s20, v23
.LBB271_88:
	v_pk_add_f16 v32, v6, v18
	v_pk_max_f16 v33, v75, v75
	v_pk_add_f16 v45, v7, v19
	v_add_co_u32 v46, vcc_lo, v20, v42
	v_add_co_ci_u32_e32 v47, vcc_lo, v21, v43, vcc_lo
	s_delay_alu instid0(VALU_DEP_4) | instskip(SKIP_1) | instid1(VALU_DEP_1)
	v_pk_min_f16 v32, v33, v32
	s_and_b32 vcc_lo, exec_lo, s0
	v_pk_min_f16 v32, v32, v45
	s_delay_alu instid0(VALU_DEP_1) | instskip(NEXT) | instid1(VALU_DEP_1)
	v_lshrrev_b32_e32 v33, 16, v32
	v_min3_f16 v23, v23, v32, v33
	;; [unrolled: 43-line block ×3, first 2 shown]
	global_store_b16 v[46:47], v23, off
	s_cbranch_vccnz .LBB271_94
; %bb.93:
	v_add_co_u32 v16, vcc_lo, v16, v34
	v_add_co_ci_u32_e32 v17, vcc_lo, v17, v35, vcc_lo
	flat_load_u16 v16, v[16:17]
	s_waitcnt vmcnt(0) lgkmcnt(0)
	v_mul_f16_e32 v22, s20, v16
.LBB271_94:
	v_pk_add_f16 v18, v24, v18
	v_pk_max_f16 v32, v72, v72
	v_pk_add_f16 v19, v25, v19
	v_add_nc_u32_e32 v23, 0xa0, v44
	s_delay_alu instid0(VALU_DEP_3) | instskip(NEXT) | instid1(VALU_DEP_1)
	v_pk_min_f16 v18, v32, v18
	v_pk_min_f16 v32, v18, v19
	v_add_co_u32 v18, vcc_lo, v20, v34
	v_add_co_ci_u32_e32 v19, vcc_lo, v21, v35, vcc_lo
	s_delay_alu instid0(VALU_DEP_3) | instskip(SKIP_1) | instid1(VALU_DEP_2)
	v_lshrrev_b32_e32 v20, 16, v32
	v_mov_b32_e32 v21, 0
	v_min3_f16 v22, v22, v32, v20
	v_mov_b32_e32 v20, 0
	v_mad_i64_i32 v[16:17], null, v23, s8, 0
	global_store_b16 v[18:19], v22, off
	v_lshlrev_b64 v[16:17], 1, v[16:17]
	s_delay_alu instid0(VALU_DEP_1) | instskip(NEXT) | instid1(VALU_DEP_2)
	v_add_co_u32 v16, vcc_lo, s4, v16
	v_add_co_ci_u32_e32 v17, vcc_lo, s5, v17, vcc_lo
	s_and_b32 vcc_lo, exec_lo, s0
	s_cbranch_vccnz .LBB271_96
; %bb.95:
	s_delay_alu instid0(VALU_DEP_2) | instskip(NEXT) | instid1(VALU_DEP_2)
	v_add_co_u32 v18, vcc_lo, v16, v28
	v_add_co_ci_u32_e32 v19, vcc_lo, v17, v29, vcc_lo
	flat_load_u16 v18, v[18:19]
	s_waitcnt vmcnt(0) lgkmcnt(0)
	v_mul_f16_e32 v21, s20, v18
.LBB271_96:
	v_pk_add_f16 v22, v26, v12
	v_pk_max_f16 v32, v71, v71
	v_mad_i64_i32 v[18:19], null, v23, s3, 0
	v_pk_add_f16 v23, v27, v13
	s_delay_alu instid0(VALU_DEP_3) | instskip(NEXT) | instid1(VALU_DEP_3)
	v_pk_min_f16 v22, v32, v22
	v_lshlrev_b64 v[18:19], 1, v[18:19]
	s_delay_alu instid0(VALU_DEP_2) | instskip(NEXT) | instid1(VALU_DEP_2)
	v_pk_min_f16 v22, v22, v23
	v_add_co_u32 v18, vcc_lo, s1, v18
	s_delay_alu instid0(VALU_DEP_2) | instskip(NEXT) | instid1(VALU_DEP_4)
	v_lshrrev_b32_e32 v23, 16, v22
	v_add_co_ci_u32_e32 v19, vcc_lo, s6, v19, vcc_lo
	s_delay_alu instid0(VALU_DEP_2) | instskip(NEXT) | instid1(VALU_DEP_4)
	v_min3_f16 v23, v21, v22, v23
	v_add_co_u32 v21, vcc_lo, v18, v28
	s_delay_alu instid0(VALU_DEP_3)
	v_add_co_ci_u32_e32 v22, vcc_lo, v19, v29, vcc_lo
	s_and_b32 vcc_lo, exec_lo, s0
	global_store_b16 v[21:22], v23, off
	s_cbranch_vccnz .LBB271_98
; %bb.97:
	v_add_co_u32 v20, vcc_lo, v16, v30
	v_add_co_ci_u32_e32 v21, vcc_lo, v17, v31, vcc_lo
	flat_load_u16 v20, v[20:21]
	s_waitcnt vmcnt(0) lgkmcnt(0)
	v_mul_f16_e32 v20, s20, v20
.LBB271_98:
	v_pk_add_f16 v21, v8, v12
	v_pk_max_f16 v22, v70, v70
	v_pk_add_f16 v23, v9, v13
	s_delay_alu instid0(VALU_DEP_2) | instskip(SKIP_1) | instid1(VALU_DEP_2)
	v_pk_min_f16 v21, v22, v21
	v_add_co_u32 v22, vcc_lo, v18, v30
	v_pk_min_f16 v21, v21, v23
	v_add_co_ci_u32_e32 v23, vcc_lo, v19, v31, vcc_lo
	s_and_b32 vcc_lo, exec_lo, s0
	s_delay_alu instid0(VALU_DEP_2) | instskip(NEXT) | instid1(VALU_DEP_1)
	v_lshrrev_b32_e32 v32, 16, v21
	v_min3_f16 v32, v20, v21, v32
	v_dual_mov_b32 v20, 0 :: v_dual_mov_b32 v21, 0
	global_store_b16 v[22:23], v32, off
	s_cbranch_vccnz .LBB271_100
; %bb.99:
	v_add_co_u32 v21, vcc_lo, v16, v51
	v_add_co_ci_u32_e32 v22, vcc_lo, v17, v52, vcc_lo
	flat_load_u16 v21, v[21:22]
	s_waitcnt vmcnt(0) lgkmcnt(0)
	v_mul_f16_e32 v21, s20, v21
.LBB271_100:
	v_pk_add_f16 v22, v10, v12
	v_pk_max_f16 v23, v64, v64
	v_pk_add_f16 v32, v11, v13
	s_delay_alu instid0(VALU_DEP_2) | instskip(NEXT) | instid1(VALU_DEP_1)
	v_pk_min_f16 v22, v23, v22
	v_pk_min_f16 v22, v22, v32
	s_delay_alu instid0(VALU_DEP_1) | instskip(NEXT) | instid1(VALU_DEP_1)
	v_lshrrev_b32_e32 v23, 16, v22
	v_min3_f16 v23, v21, v22, v23
	v_add_co_u32 v21, vcc_lo, v18, v51
	v_add_co_ci_u32_e32 v22, vcc_lo, v19, v52, vcc_lo
	s_and_b32 vcc_lo, exec_lo, s0
	global_store_b16 v[21:22], v23, off
	s_cbranch_vccnz .LBB271_102
; %bb.101:
	v_add_co_u32 v20, vcc_lo, v16, v40
	v_add_co_ci_u32_e32 v21, vcc_lo, v17, v41, vcc_lo
	flat_load_u16 v20, v[20:21]
	s_waitcnt vmcnt(0) lgkmcnt(0)
	v_mul_f16_e32 v20, s20, v20
.LBB271_102:
	v_pk_add_f16 v21, v4, v12
	v_pk_max_f16 v22, v63, v63
	v_pk_add_f16 v23, v5, v13
	s_delay_alu instid0(VALU_DEP_2) | instskip(SKIP_1) | instid1(VALU_DEP_2)
	v_pk_min_f16 v21, v22, v21
	v_add_co_u32 v22, vcc_lo, v18, v40
	v_pk_min_f16 v21, v21, v23
	v_add_co_ci_u32_e32 v23, vcc_lo, v19, v41, vcc_lo
	s_and_b32 vcc_lo, exec_lo, s0
	s_delay_alu instid0(VALU_DEP_2) | instskip(NEXT) | instid1(VALU_DEP_1)
	v_lshrrev_b32_e32 v32, 16, v21
	v_min3_f16 v32, v20, v21, v32
	v_dual_mov_b32 v20, 0 :: v_dual_mov_b32 v21, 0
	global_store_b16 v[22:23], v32, off
	s_cbranch_vccnz .LBB271_104
; %bb.103:
	v_add_co_u32 v21, vcc_lo, v16, v42
	v_add_co_ci_u32_e32 v22, vcc_lo, v17, v43, vcc_lo
	flat_load_u16 v21, v[21:22]
	s_waitcnt vmcnt(0) lgkmcnt(0)
	v_mul_f16_e32 v21, s20, v21
.LBB271_104:
	v_pk_add_f16 v22, v6, v12
	v_pk_max_f16 v23, v62, v62
	v_pk_add_f16 v32, v7, v13
	s_delay_alu instid0(VALU_DEP_2) | instskip(NEXT) | instid1(VALU_DEP_1)
	v_pk_min_f16 v22, v23, v22
	v_pk_min_f16 v22, v22, v32
	s_delay_alu instid0(VALU_DEP_1) | instskip(NEXT) | instid1(VALU_DEP_1)
	v_lshrrev_b32_e32 v23, 16, v22
	v_min3_f16 v23, v21, v22, v23
	v_add_co_u32 v21, vcc_lo, v18, v42
	;; [unrolled: 43-line block ×3, first 2 shown]
	v_add_co_ci_u32_e32 v22, vcc_lo, v19, v37, vcc_lo
	s_and_b32 vcc_lo, exec_lo, s0
	global_store_b16 v[21:22], v23, off
	s_cbranch_vccnz .LBB271_110
; %bb.109:
	v_add_co_u32 v16, vcc_lo, v16, v34
	v_add_co_ci_u32_e32 v17, vcc_lo, v17, v35, vcc_lo
	flat_load_u16 v16, v[16:17]
	s_waitcnt vmcnt(0) lgkmcnt(0)
	v_mul_f16_e32 v20, s20, v16
.LBB271_110:
	v_add_nc_u32_e32 v16, 0xc0, v44
	v_pk_add_f16 v12, v24, v12
	v_pk_max_f16 v17, v59, v59
	v_pk_add_f16 v13, v25, v13
	s_delay_alu instid0(VALU_DEP_4) | instskip(NEXT) | instid1(VALU_DEP_3)
	v_mad_i64_i32 v[21:22], null, v16, s8, 0
	v_pk_min_f16 v12, v17, v12
	s_delay_alu instid0(VALU_DEP_1) | instskip(NEXT) | instid1(VALU_DEP_3)
	v_pk_min_f16 v17, v12, v13
	v_lshlrev_b64 v[12:13], 1, v[21:22]
	v_add_co_u32 v21, vcc_lo, v18, v34
	v_add_co_ci_u32_e32 v22, vcc_lo, v19, v35, vcc_lo
	v_mov_b32_e32 v19, 0
	v_lshrrev_b32_e32 v18, 16, v17
	v_add_co_u32 v12, vcc_lo, s4, v12
	v_add_co_ci_u32_e32 v13, vcc_lo, s5, v13, vcc_lo
	s_delay_alu instid0(VALU_DEP_3)
	v_min3_f16 v17, v20, v17, v18
	v_mov_b32_e32 v18, 0
	s_and_b32 vcc_lo, exec_lo, s0
	global_store_b16 v[21:22], v17, off
	s_cbranch_vccnz .LBB271_112
; %bb.111:
	v_add_co_u32 v19, vcc_lo, v12, v28
	v_add_co_ci_u32_e32 v20, vcc_lo, v13, v29, vcc_lo
	flat_load_u16 v17, v[19:20]
	s_waitcnt vmcnt(0) lgkmcnt(0)
	v_mul_f16_e32 v19, s20, v17
.LBB271_112:
	v_pk_add_f16 v17, v26, v14
	v_pk_max_f16 v22, v58, v58
	v_mad_i64_i32 v[20:21], null, v16, s3, 0
	v_pk_add_f16 v16, v27, v15
	s_delay_alu instid0(VALU_DEP_3) | instskip(NEXT) | instid1(VALU_DEP_1)
	v_pk_min_f16 v17, v22, v17
	v_pk_min_f16 v22, v17, v16
	s_delay_alu instid0(VALU_DEP_4) | instskip(NEXT) | instid1(VALU_DEP_2)
	v_lshlrev_b64 v[16:17], 1, v[20:21]
	v_lshrrev_b32_e32 v20, 16, v22
	s_delay_alu instid0(VALU_DEP_2) | instskip(NEXT) | instid1(VALU_DEP_3)
	v_add_co_u32 v16, vcc_lo, s1, v16
	v_add_co_ci_u32_e32 v17, vcc_lo, s6, v17, vcc_lo
	s_delay_alu instid0(VALU_DEP_3) | instskip(NEXT) | instid1(VALU_DEP_3)
	v_min3_f16 v21, v19, v22, v20
	v_add_co_u32 v19, vcc_lo, v16, v28
	s_delay_alu instid0(VALU_DEP_3)
	v_add_co_ci_u32_e32 v20, vcc_lo, v17, v29, vcc_lo
	s_and_b32 vcc_lo, exec_lo, s0
	global_store_b16 v[19:20], v21, off
	s_cbranch_vccnz .LBB271_114
; %bb.113:
	v_add_co_u32 v18, vcc_lo, v12, v30
	v_add_co_ci_u32_e32 v19, vcc_lo, v13, v31, vcc_lo
	flat_load_u16 v18, v[18:19]
	s_waitcnt vmcnt(0) lgkmcnt(0)
	v_mul_f16_e32 v18, s20, v18
.LBB271_114:
	v_pk_add_f16 v19, v8, v14
	v_pk_max_f16 v20, v57, v57
	v_pk_add_f16 v21, v9, v15
	s_delay_alu instid0(VALU_DEP_2) | instskip(SKIP_1) | instid1(VALU_DEP_2)
	v_pk_min_f16 v19, v20, v19
	v_add_co_u32 v20, vcc_lo, v16, v30
	v_pk_min_f16 v19, v19, v21
	v_add_co_ci_u32_e32 v21, vcc_lo, v17, v31, vcc_lo
	s_and_b32 vcc_lo, exec_lo, s0
	s_delay_alu instid0(VALU_DEP_2) | instskip(NEXT) | instid1(VALU_DEP_1)
	v_lshrrev_b32_e32 v22, 16, v19
	v_min3_f16 v22, v18, v19, v22
	v_dual_mov_b32 v18, 0 :: v_dual_mov_b32 v19, 0
	global_store_b16 v[20:21], v22, off
	s_cbranch_vccnz .LBB271_116
; %bb.115:
	v_add_co_u32 v19, vcc_lo, v12, v51
	v_add_co_ci_u32_e32 v20, vcc_lo, v13, v52, vcc_lo
	flat_load_u16 v19, v[19:20]
	s_waitcnt vmcnt(0) lgkmcnt(0)
	v_mul_f16_e32 v19, s20, v19
.LBB271_116:
	v_pk_add_f16 v20, v10, v14
	v_pk_max_f16 v21, v153, v153
	v_pk_add_f16 v22, v11, v15
	s_delay_alu instid0(VALU_DEP_2) | instskip(NEXT) | instid1(VALU_DEP_1)
	v_pk_min_f16 v20, v21, v20
	v_pk_min_f16 v20, v20, v22
	s_delay_alu instid0(VALU_DEP_1) | instskip(NEXT) | instid1(VALU_DEP_1)
	v_lshrrev_b32_e32 v21, 16, v20
	v_min3_f16 v21, v19, v20, v21
	v_add_co_u32 v19, vcc_lo, v16, v51
	v_add_co_ci_u32_e32 v20, vcc_lo, v17, v52, vcc_lo
	s_and_b32 vcc_lo, exec_lo, s0
	global_store_b16 v[19:20], v21, off
	s_cbranch_vccnz .LBB271_118
; %bb.117:
	v_add_co_u32 v18, vcc_lo, v12, v40
	v_add_co_ci_u32_e32 v19, vcc_lo, v13, v41, vcc_lo
	flat_load_u16 v18, v[18:19]
	s_waitcnt vmcnt(0) lgkmcnt(0)
	v_mul_f16_e32 v18, s20, v18
.LBB271_118:
	v_pk_add_f16 v19, v4, v14
	v_pk_max_f16 v20, v154, v154
	v_pk_add_f16 v21, v5, v15
	s_delay_alu instid0(VALU_DEP_2) | instskip(SKIP_1) | instid1(VALU_DEP_2)
	v_pk_min_f16 v19, v20, v19
	v_add_co_u32 v20, vcc_lo, v16, v40
	v_pk_min_f16 v19, v19, v21
	v_add_co_ci_u32_e32 v21, vcc_lo, v17, v41, vcc_lo
	s_and_b32 vcc_lo, exec_lo, s0
	s_delay_alu instid0(VALU_DEP_2) | instskip(NEXT) | instid1(VALU_DEP_1)
	v_lshrrev_b32_e32 v22, 16, v19
	v_min3_f16 v22, v18, v19, v22
	v_dual_mov_b32 v18, 0 :: v_dual_mov_b32 v19, 0
	global_store_b16 v[20:21], v22, off
	s_cbranch_vccnz .LBB271_120
; %bb.119:
	v_add_co_u32 v19, vcc_lo, v12, v42
	v_add_co_ci_u32_e32 v20, vcc_lo, v13, v43, vcc_lo
	flat_load_u16 v19, v[19:20]
	s_waitcnt vmcnt(0) lgkmcnt(0)
	v_mul_f16_e32 v19, s20, v19
.LBB271_120:
	v_pk_add_f16 v20, v6, v14
	v_pk_max_f16 v21, v155, v155
	v_pk_add_f16 v22, v7, v15
	s_delay_alu instid0(VALU_DEP_2) | instskip(NEXT) | instid1(VALU_DEP_1)
	v_pk_min_f16 v20, v21, v20
	v_pk_min_f16 v20, v20, v22
	s_delay_alu instid0(VALU_DEP_1) | instskip(NEXT) | instid1(VALU_DEP_1)
	v_lshrrev_b32_e32 v21, 16, v20
	v_min3_f16 v21, v19, v20, v21
	v_add_co_u32 v19, vcc_lo, v16, v42
	;; [unrolled: 43-line block ×3, first 2 shown]
	v_add_co_ci_u32_e32 v20, vcc_lo, v17, v37, vcc_lo
	s_and_b32 vcc_lo, exec_lo, s0
	global_store_b16 v[19:20], v21, off
	s_cbranch_vccnz .LBB271_126
; %bb.125:
	v_add_co_u32 v12, vcc_lo, v12, v34
	v_add_co_ci_u32_e32 v13, vcc_lo, v13, v35, vcc_lo
	flat_load_u16 v12, v[12:13]
	s_waitcnt vmcnt(0) lgkmcnt(0)
	v_mul_f16_e32 v18, s20, v12
.LBB271_126:
	v_pk_add_f16 v14, v24, v14
	v_pk_max_f16 v20, v157, v157
	v_pk_add_f16 v15, v25, v15
	v_add_nc_u32_e32 v19, 0xe0, v44
	s_delay_alu instid0(VALU_DEP_3) | instskip(NEXT) | instid1(VALU_DEP_1)
	v_pk_min_f16 v14, v20, v14
	v_pk_min_f16 v20, v14, v15
	v_add_co_u32 v14, vcc_lo, v16, v34
	v_add_co_ci_u32_e32 v15, vcc_lo, v17, v35, vcc_lo
	s_delay_alu instid0(VALU_DEP_3) | instskip(SKIP_1) | instid1(VALU_DEP_2)
	v_lshrrev_b32_e32 v16, 16, v20
	v_mov_b32_e32 v17, 0
	v_min3_f16 v18, v18, v20, v16
	v_mov_b32_e32 v16, 0
	v_mad_i64_i32 v[12:13], null, v19, s8, 0
	global_store_b16 v[14:15], v18, off
	v_lshlrev_b64 v[12:13], 1, v[12:13]
	s_delay_alu instid0(VALU_DEP_1) | instskip(NEXT) | instid1(VALU_DEP_2)
	v_add_co_u32 v12, vcc_lo, s4, v12
	v_add_co_ci_u32_e32 v13, vcc_lo, s5, v13, vcc_lo
	s_and_b32 vcc_lo, exec_lo, s0
	s_cbranch_vccnz .LBB271_128
; %bb.127:
	s_delay_alu instid0(VALU_DEP_2) | instskip(NEXT) | instid1(VALU_DEP_2)
	v_add_co_u32 v14, vcc_lo, v12, v28
	v_add_co_ci_u32_e32 v15, vcc_lo, v13, v29, vcc_lo
	flat_load_u16 v14, v[14:15]
	s_waitcnt vmcnt(0) lgkmcnt(0)
	v_mul_f16_e32 v17, s20, v14
.LBB271_128:
	v_pk_add_f16 v18, v26, v49
	v_pk_max_f16 v20, v158, v158
	v_mad_i64_i32 v[14:15], null, v19, s3, 0
	v_pk_add_f16 v19, v27, v50
	s_delay_alu instid0(VALU_DEP_3) | instskip(NEXT) | instid1(VALU_DEP_3)
	v_pk_min_f16 v18, v20, v18
	v_lshlrev_b64 v[14:15], 1, v[14:15]
	s_delay_alu instid0(VALU_DEP_2) | instskip(NEXT) | instid1(VALU_DEP_2)
	v_pk_min_f16 v18, v18, v19
	v_add_co_u32 v14, vcc_lo, s1, v14
	s_delay_alu instid0(VALU_DEP_2) | instskip(NEXT) | instid1(VALU_DEP_4)
	v_lshrrev_b32_e32 v19, 16, v18
	v_add_co_ci_u32_e32 v15, vcc_lo, s6, v15, vcc_lo
	s_delay_alu instid0(VALU_DEP_2) | instskip(NEXT) | instid1(VALU_DEP_4)
	v_min3_f16 v19, v17, v18, v19
	v_add_co_u32 v17, vcc_lo, v14, v28
	s_delay_alu instid0(VALU_DEP_3)
	v_add_co_ci_u32_e32 v18, vcc_lo, v15, v29, vcc_lo
	s_and_b32 vcc_lo, exec_lo, s0
	global_store_b16 v[17:18], v19, off
	s_cbranch_vccnz .LBB271_130
; %bb.129:
	v_add_co_u32 v16, vcc_lo, v12, v30
	v_add_co_ci_u32_e32 v17, vcc_lo, v13, v31, vcc_lo
	flat_load_u16 v16, v[16:17]
	s_waitcnt vmcnt(0) lgkmcnt(0)
	v_mul_f16_e32 v16, s20, v16
.LBB271_130:
	v_pk_add_f16 v8, v8, v49
	v_pk_max_f16 v17, v159, v159
	v_pk_add_f16 v9, v9, v50
	s_delay_alu instid0(VALU_DEP_2) | instskip(SKIP_2) | instid1(VALU_DEP_3)
	v_pk_min_f16 v8, v17, v8
	v_add_co_u32 v17, vcc_lo, v14, v30
	v_add_co_ci_u32_e32 v18, vcc_lo, v15, v31, vcc_lo
	v_pk_min_f16 v8, v8, v9
	s_and_b32 vcc_lo, exec_lo, s0
	s_delay_alu instid0(VALU_DEP_1) | instskip(NEXT) | instid1(VALU_DEP_1)
	v_lshrrev_b32_e32 v9, 16, v8
	v_min3_f16 v16, v16, v8, v9
	v_dual_mov_b32 v8, 0 :: v_dual_mov_b32 v9, 0
	global_store_b16 v[17:18], v16, off
	s_cbranch_vccnz .LBB271_132
; %bb.131:
	v_add_co_u32 v16, vcc_lo, v12, v51
	v_add_co_ci_u32_e32 v17, vcc_lo, v13, v52, vcc_lo
	flat_load_u16 v9, v[16:17]
	s_waitcnt vmcnt(0) lgkmcnt(0)
	v_mul_f16_e32 v9, s20, v9
.LBB271_132:
	v_pk_add_f16 v10, v10, v49
	v_pk_max_f16 v16, v55, v55
	v_pk_add_f16 v11, v11, v50
	s_delay_alu instid0(VALU_DEP_2) | instskip(NEXT) | instid1(VALU_DEP_1)
	v_pk_min_f16 v10, v16, v10
	v_pk_min_f16 v10, v10, v11
	s_delay_alu instid0(VALU_DEP_1) | instskip(NEXT) | instid1(VALU_DEP_1)
	v_lshrrev_b32_e32 v11, 16, v10
	v_min3_f16 v11, v9, v10, v11
	v_add_co_u32 v9, vcc_lo, v14, v51
	v_add_co_ci_u32_e32 v10, vcc_lo, v15, v52, vcc_lo
	s_and_b32 vcc_lo, exec_lo, s0
	global_store_b16 v[9:10], v11, off
	s_cbranch_vccnz .LBB271_134
; %bb.133:
	v_add_co_u32 v8, vcc_lo, v12, v40
	v_add_co_ci_u32_e32 v9, vcc_lo, v13, v41, vcc_lo
	flat_load_u16 v8, v[8:9]
	s_waitcnt vmcnt(0) lgkmcnt(0)
	v_mul_f16_e32 v8, s20, v8
.LBB271_134:
	v_pk_add_f16 v4, v4, v49
	v_pk_max_f16 v9, v54, v54
	v_pk_add_f16 v5, v5, v50
	s_delay_alu instid0(VALU_DEP_2) | instskip(SKIP_2) | instid1(VALU_DEP_3)
	v_pk_min_f16 v4, v9, v4
	v_add_co_u32 v9, vcc_lo, v14, v40
	v_add_co_ci_u32_e32 v10, vcc_lo, v15, v41, vcc_lo
	v_pk_min_f16 v4, v4, v5
	s_and_b32 vcc_lo, exec_lo, s0
	s_delay_alu instid0(VALU_DEP_1) | instskip(NEXT) | instid1(VALU_DEP_1)
	v_lshrrev_b32_e32 v5, 16, v4
	v_min3_f16 v8, v8, v4, v5
	v_dual_mov_b32 v4, 0 :: v_dual_mov_b32 v5, 0
	global_store_b16 v[9:10], v8, off
	s_cbranch_vccnz .LBB271_136
; %bb.135:
	v_add_co_u32 v8, vcc_lo, v12, v42
	v_add_co_ci_u32_e32 v9, vcc_lo, v13, v43, vcc_lo
	flat_load_u16 v5, v[8:9]
	s_waitcnt vmcnt(0) lgkmcnt(0)
	v_mul_f16_e32 v5, s20, v5
.LBB271_136:
	v_pk_add_f16 v6, v6, v49
	v_pk_max_f16 v8, v53, v53
	v_pk_add_f16 v7, v7, v50
	s_delay_alu instid0(VALU_DEP_2) | instskip(NEXT) | instid1(VALU_DEP_1)
	v_pk_min_f16 v6, v8, v6
	v_pk_min_f16 v6, v6, v7
	s_delay_alu instid0(VALU_DEP_1) | instskip(NEXT) | instid1(VALU_DEP_1)
	v_lshrrev_b32_e32 v7, 16, v6
	v_min3_f16 v7, v5, v6, v7
	v_add_co_u32 v5, vcc_lo, v14, v42
	v_add_co_ci_u32_e32 v6, vcc_lo, v15, v43, vcc_lo
	s_and_b32 vcc_lo, exec_lo, s0
	global_store_b16 v[5:6], v7, off
	s_cbranch_vccnz .LBB271_138
; %bb.137:
	v_add_co_u32 v4, vcc_lo, v12, v38
	v_add_co_ci_u32_e32 v5, vcc_lo, v13, v39, vcc_lo
	flat_load_u16 v4, v[4:5]
	s_waitcnt vmcnt(0) lgkmcnt(0)
	v_mul_f16_e32 v4, s20, v4
.LBB271_138:
	v_pk_add_f16 v0, v0, v49
	v_pk_max_f16 v5, v160, v160
	v_pk_add_f16 v2, v2, v49
	v_pk_max_f16 v6, v161, v161
	v_pk_add_f16 v1, v1, v50
	v_pk_add_f16 v3, v3, v50
	v_pk_min_f16 v0, v5, v0
	s_delay_alu instid0(VALU_DEP_4) | instskip(NEXT) | instid1(VALU_DEP_2)
	v_pk_min_f16 v2, v6, v2
	v_pk_min_f16 v0, v0, v1
	s_delay_alu instid0(VALU_DEP_2) | instskip(NEXT) | instid1(VALU_DEP_2)
	v_pk_min_f16 v1, v2, v3
	v_lshrrev_b32_e32 v2, 16, v0
	s_delay_alu instid0(VALU_DEP_2) | instskip(NEXT) | instid1(VALU_DEP_2)
	v_lshrrev_b32_e32 v3, 16, v1
	v_min3_f16 v4, v4, v0, v2
	s_delay_alu instid0(VALU_DEP_2) | instskip(SKIP_2) | instid1(VALU_DEP_3)
	v_min_f16_e32 v0, v1, v3
	v_add_co_u32 v1, vcc_lo, v14, v38
	v_add_co_ci_u32_e32 v2, vcc_lo, v15, v39, vcc_lo
	v_max_f16_e32 v0, v0, v0
	s_mov_b32 vcc_lo, s2
	global_store_b16 v[1:2], v4, off
	s_cbranch_vccz .LBB271_141
; %bb.139:
	v_add_co_u32 v1, vcc_lo, v14, v36
	v_min_f16_e32 v3, 0, v0
	v_add_co_ci_u32_e32 v2, vcc_lo, v15, v37, vcc_lo
	s_mov_b32 s0, 0
	global_store_b16 v[1:2], v3, off
	s_cbranch_execz .LBB271_142
; %bb.140:
	v_mov_b32_e32 v0, s0
	s_branch .LBB271_143
.LBB271_141:
	s_mov_b32 s0, -1
.LBB271_142:
	v_add_co_u32 v1, vcc_lo, v12, v36
	v_add_co_ci_u32_e32 v2, vcc_lo, v13, v37, vcc_lo
	flat_load_u16 v1, v[1:2]
	s_waitcnt vmcnt(0) lgkmcnt(0)
	v_mul_f16_e32 v3, s20, v1
	v_add_co_u32 v1, vcc_lo, v14, v36
	v_add_co_ci_u32_e32 v2, vcc_lo, v15, v37, vcc_lo
	s_delay_alu instid0(VALU_DEP_3)
	v_min_f16_e32 v0, v3, v0
	v_add_co_u32 v3, vcc_lo, v12, v34
	v_add_co_ci_u32_e32 v4, vcc_lo, v13, v35, vcc_lo
	global_store_b16 v[1:2], v0, off
	flat_load_u16 v0, v[3:4]
	s_waitcnt vmcnt(0) lgkmcnt(0)
	v_mul_f16_e32 v0, s20, v0
.LBB271_143:
	v_pk_add_f16 v1, v24, v49
	v_pk_max_f16 v2, v152, v152
	v_pk_add_f16 v3, v25, v50
	s_delay_alu instid0(VALU_DEP_2) | instskip(NEXT) | instid1(VALU_DEP_1)
	v_pk_min_f16 v1, v2, v1
	v_pk_min_f16 v1, v1, v3
	s_delay_alu instid0(VALU_DEP_1) | instskip(NEXT) | instid1(VALU_DEP_1)
	v_lshrrev_b32_e32 v2, 16, v1
	v_min3_f16 v2, v0, v1, v2
	v_add_co_u32 v0, vcc_lo, v14, v34
	v_add_co_ci_u32_e32 v1, vcc_lo, v15, v35, vcc_lo
	global_store_b16 v[0:1], v2, off
	s_nop 0
	s_sendmsg sendmsg(MSG_DEALLOC_VGPRS)
	s_endpgm
	.section	.rodata,"a",@progbits
	.p2align	6, 0x0
	.amdhsa_kernel _ZN12_GLOBAL__N_120geam_min_plus_kernelIDF16_Dv2_DF16_S1_Li8ELi32ELi64ELi256ELi4ELi64ELi4ELi64ELi4ELc78ELc84ELb1ELb0ELb1EDF16_KDF16_DF16_EEviiiT16_PT17_ilS5_ilS3_S5_ilPT18_ili26rocblas_geam_ex_operation_
		.amdhsa_group_segment_fixed_size 5120
		.amdhsa_private_segment_fixed_size 380
		.amdhsa_kernarg_size 128
		.amdhsa_user_sgpr_count 14
		.amdhsa_user_sgpr_dispatch_ptr 0
		.amdhsa_user_sgpr_queue_ptr 0
		.amdhsa_user_sgpr_kernarg_segment_ptr 1
		.amdhsa_user_sgpr_dispatch_id 0
		.amdhsa_user_sgpr_private_segment_size 0
		.amdhsa_wavefront_size32 1
		.amdhsa_uses_dynamic_stack 0
		.amdhsa_enable_private_segment 1
		.amdhsa_system_sgpr_workgroup_id_x 1
		.amdhsa_system_sgpr_workgroup_id_y 0
		.amdhsa_system_sgpr_workgroup_id_z 1
		.amdhsa_system_sgpr_workgroup_info 0
		.amdhsa_system_vgpr_workitem_id 1
		.amdhsa_next_free_vgpr 256
		.amdhsa_next_free_sgpr 23
		.amdhsa_reserve_vcc 1
		.amdhsa_float_round_mode_32 0
		.amdhsa_float_round_mode_16_64 0
		.amdhsa_float_denorm_mode_32 3
		.amdhsa_float_denorm_mode_16_64 3
		.amdhsa_dx10_clamp 1
		.amdhsa_ieee_mode 1
		.amdhsa_fp16_overflow 0
		.amdhsa_workgroup_processor_mode 1
		.amdhsa_memory_ordered 1
		.amdhsa_forward_progress 0
		.amdhsa_shared_vgpr_count 0
		.amdhsa_exception_fp_ieee_invalid_op 0
		.amdhsa_exception_fp_denorm_src 0
		.amdhsa_exception_fp_ieee_div_zero 0
		.amdhsa_exception_fp_ieee_overflow 0
		.amdhsa_exception_fp_ieee_underflow 0
		.amdhsa_exception_fp_ieee_inexact 0
		.amdhsa_exception_int_div_zero 0
	.end_amdhsa_kernel
	.section	.text._ZN12_GLOBAL__N_120geam_min_plus_kernelIDF16_Dv2_DF16_S1_Li8ELi32ELi64ELi256ELi4ELi64ELi4ELi64ELi4ELc78ELc84ELb1ELb0ELb1EDF16_KDF16_DF16_EEviiiT16_PT17_ilS5_ilS3_S5_ilPT18_ili26rocblas_geam_ex_operation_,"axG",@progbits,_ZN12_GLOBAL__N_120geam_min_plus_kernelIDF16_Dv2_DF16_S1_Li8ELi32ELi64ELi256ELi4ELi64ELi4ELi64ELi4ELc78ELc84ELb1ELb0ELb1EDF16_KDF16_DF16_EEviiiT16_PT17_ilS5_ilS3_S5_ilPT18_ili26rocblas_geam_ex_operation_,comdat
.Lfunc_end271:
	.size	_ZN12_GLOBAL__N_120geam_min_plus_kernelIDF16_Dv2_DF16_S1_Li8ELi32ELi64ELi256ELi4ELi64ELi4ELi64ELi4ELc78ELc84ELb1ELb0ELb1EDF16_KDF16_DF16_EEviiiT16_PT17_ilS5_ilS3_S5_ilPT18_ili26rocblas_geam_ex_operation_, .Lfunc_end271-_ZN12_GLOBAL__N_120geam_min_plus_kernelIDF16_Dv2_DF16_S1_Li8ELi32ELi64ELi256ELi4ELi64ELi4ELi64ELi4ELc78ELc84ELb1ELb0ELb1EDF16_KDF16_DF16_EEviiiT16_PT17_ilS5_ilS3_S5_ilPT18_ili26rocblas_geam_ex_operation_
                                        ; -- End function
	.section	.AMDGPU.csdata,"",@progbits
; Kernel info:
; codeLenInByte = 19424
; NumSgprs: 25
; NumVgprs: 256
; ScratchSize: 380
; MemoryBound: 0
; FloatMode: 240
; IeeeMode: 1
; LDSByteSize: 5120 bytes/workgroup (compile time only)
; SGPRBlocks: 3
; VGPRBlocks: 31
; NumSGPRsForWavesPerEU: 25
; NumVGPRsForWavesPerEU: 256
; Occupancy: 5
; WaveLimiterHint : 1
; COMPUTE_PGM_RSRC2:SCRATCH_EN: 1
; COMPUTE_PGM_RSRC2:USER_SGPR: 14
; COMPUTE_PGM_RSRC2:TRAP_HANDLER: 0
; COMPUTE_PGM_RSRC2:TGID_X_EN: 1
; COMPUTE_PGM_RSRC2:TGID_Y_EN: 0
; COMPUTE_PGM_RSRC2:TGID_Z_EN: 1
; COMPUTE_PGM_RSRC2:TIDIG_COMP_CNT: 1
	.section	.text._ZN12_GLOBAL__N_120geam_min_plus_kernelIDF16_Dv2_DF16_S1_Li8ELi32ELi64ELi256ELi4ELi64ELi4ELi64ELi4ELc78ELc84ELb0ELb0ELb1EDF16_KDF16_DF16_EEviiiT16_PT17_ilS5_ilS3_S5_ilPT18_ili26rocblas_geam_ex_operation_,"axG",@progbits,_ZN12_GLOBAL__N_120geam_min_plus_kernelIDF16_Dv2_DF16_S1_Li8ELi32ELi64ELi256ELi4ELi64ELi4ELi64ELi4ELc78ELc84ELb0ELb0ELb1EDF16_KDF16_DF16_EEviiiT16_PT17_ilS5_ilS3_S5_ilPT18_ili26rocblas_geam_ex_operation_,comdat
	.globl	_ZN12_GLOBAL__N_120geam_min_plus_kernelIDF16_Dv2_DF16_S1_Li8ELi32ELi64ELi256ELi4ELi64ELi4ELi64ELi4ELc78ELc84ELb0ELb0ELb1EDF16_KDF16_DF16_EEviiiT16_PT17_ilS5_ilS3_S5_ilPT18_ili26rocblas_geam_ex_operation_ ; -- Begin function _ZN12_GLOBAL__N_120geam_min_plus_kernelIDF16_Dv2_DF16_S1_Li8ELi32ELi64ELi256ELi4ELi64ELi4ELi64ELi4ELc78ELc84ELb0ELb0ELb1EDF16_KDF16_DF16_EEviiiT16_PT17_ilS5_ilS3_S5_ilPT18_ili26rocblas_geam_ex_operation_
	.p2align	8
	.type	_ZN12_GLOBAL__N_120geam_min_plus_kernelIDF16_Dv2_DF16_S1_Li8ELi32ELi64ELi256ELi4ELi64ELi4ELi64ELi4ELc78ELc84ELb0ELb0ELb1EDF16_KDF16_DF16_EEviiiT16_PT17_ilS5_ilS3_S5_ilPT18_ili26rocblas_geam_ex_operation_,@function
_ZN12_GLOBAL__N_120geam_min_plus_kernelIDF16_Dv2_DF16_S1_Li8ELi32ELi64ELi256ELi4ELi64ELi4ELi64ELi4ELc78ELc84ELb0ELb0ELb1EDF16_KDF16_DF16_EEviiiT16_PT17_ilS5_ilS3_S5_ilPT18_ili26rocblas_geam_ex_operation_: ; @_ZN12_GLOBAL__N_120geam_min_plus_kernelIDF16_Dv2_DF16_S1_Li8ELi32ELi64ELi256ELi4ELi64ELi4ELi64ELi4ELc78ELc84ELb0ELb0ELb1EDF16_KDF16_DF16_EEviiiT16_PT17_ilS5_ilS3_S5_ilPT18_ili26rocblas_geam_ex_operation_
; %bb.0:
	s_clause 0x1
	s_load_b64 s[12:13], s[0:1], 0x8
	s_load_b128 s[4:7], s[0:1], 0x20
	s_waitcnt lgkmcnt(0)
	v_cmp_eq_f16_e64 s2, s13, 0
	s_delay_alu instid0(VALU_DEP_1)
	s_and_b32 vcc_lo, exec_lo, s2
	s_cbranch_vccnz .LBB272_3
; %bb.1:
	s_load_b64 s[8:9], s[0:1], 0x10
	s_mul_i32 s3, s15, s5
	s_mul_hi_u32 s5, s15, s4
	s_mul_i32 s4, s15, s4
	s_add_i32 s5, s5, s3
	s_delay_alu instid0(SALU_CYCLE_1)
	s_lshl_b64 s[4:5], s[4:5], 1
	s_waitcnt lgkmcnt(0)
	s_add_u32 s16, s8, s4
	s_addc_u32 s17, s9, s5
	v_cndmask_b32_e64 v1, 0, 1, s2
	s_and_not1_b32 vcc_lo, exec_lo, s2
	s_delay_alu instid0(VALU_DEP_1)
	v_cmp_ne_u32_e64 s4, 1, v1
	s_cbranch_vccnz .LBB272_4
.LBB272_2:
	s_mov_b32 s22, 0
	s_mov_b64 s[18:19], 0
	s_cbranch_execz .LBB272_5
	s_branch .LBB272_6
.LBB272_3:
	s_mov_b64 s[16:17], 0
	v_cndmask_b32_e64 v1, 0, 1, s2
	s_and_not1_b32 vcc_lo, exec_lo, s2
	s_delay_alu instid0(VALU_DEP_1)
	v_cmp_ne_u32_e64 s4, 1, v1
	s_cbranch_vccz .LBB272_2
.LBB272_4:
	s_mov_b32 s22, -1
                                        ; implicit-def: $sgpr18_sgpr19
.LBB272_5:
	s_load_b64 s[2:3], s[0:1], 0x38
	s_mov_b32 s22, 0
	s_waitcnt lgkmcnt(0)
	s_mul_i32 s3, s15, s3
	s_mul_hi_u32 s5, s15, s2
	s_mul_i32 s2, s15, s2
	s_add_i32 s3, s5, s3
	s_delay_alu instid0(SALU_CYCLE_1) | instskip(NEXT) | instid1(SALU_CYCLE_1)
	s_lshl_b64 s[2:3], s[2:3], 1
	s_add_u32 s18, s6, s2
	s_addc_u32 s19, s7, s3
.LBB272_6:
	s_clause 0x1
	s_load_b32 s5, s[0:1], 0x40
	s_load_b128 s[8:11], s[0:1], 0x58
	s_waitcnt lgkmcnt(0)
	v_cmp_eq_f16_e64 s2, s5, 0
	s_delay_alu instid0(VALU_DEP_1) | instskip(NEXT) | instid1(SALU_CYCLE_1)
	s_and_b32 s2, exec_lo, s2
	s_mov_b32 vcc_lo, s2
	s_cbranch_vccnz .LBB272_8
; %bb.7:
	s_load_b64 s[6:7], s[0:1], 0x48
	s_mul_i32 s3, s15, s9
	s_mul_hi_u32 s9, s15, s8
	s_delay_alu instid0(SALU_CYCLE_1) | instskip(SKIP_3) | instid1(SALU_CYCLE_1)
	s_add_i32 s3, s9, s3
	s_mul_i32 s9, s22, s8
	s_mul_i32 s8, s15, s8
	s_add_i32 s9, s3, s9
	s_lshl_b64 s[8:9], s[8:9], 1
	s_waitcnt lgkmcnt(0)
	s_add_u32 s6, s6, s8
	s_addc_u32 s7, s7, s9
	s_branch .LBB272_9
.LBB272_8:
	s_mov_b64 s[6:7], 0
.LBB272_9:
	s_clause 0x1
	s_load_b32 s3, s[0:1], 0x0
	s_load_b32 s8, s[0:1], 0x18
	v_and_b32_e32 v40, 0x3ff, v0
	v_bfe_u32 v41, v0, 10, 10
	s_delay_alu instid0(VALU_DEP_1) | instskip(NEXT) | instid1(VALU_DEP_1)
	v_lshl_add_u32 v0, v41, 3, v40
	v_and_b32_e32 v7, 63, v0
	v_lshrrev_b32_e32 v6, 6, v0
	s_waitcnt lgkmcnt(0)
	s_add_i32 s3, s3, -1
	s_delay_alu instid0(SALU_CYCLE_1) | instskip(NEXT) | instid1(SALU_CYCLE_1)
	s_ashr_i32 s9, s3, 31
	s_lshr_b32 s9, s9, 26
	s_delay_alu instid0(SALU_CYCLE_1) | instskip(NEXT) | instid1(SALU_CYCLE_1)
	s_add_i32 s3, s3, s9
	s_ashr_i32 s3, s3, 6
	s_delay_alu instid0(SALU_CYCLE_1) | instskip(SKIP_2) | instid1(VALU_DEP_1)
	s_add_i32 s21, s3, 1
	s_not_b32 s3, s3
	v_cvt_f32_u32_e32 v1, s21
	v_rcp_iflag_f32_e32 v1, v1
	s_waitcnt_depctr 0xfff
	v_mul_f32_e32 v1, 0x4f7ffffe, v1
	s_delay_alu instid0(VALU_DEP_1) | instskip(NEXT) | instid1(VALU_DEP_1)
	v_cvt_u32_f32_e32 v1, v1
	v_readfirstlane_b32 s9, v1
	s_delay_alu instid0(VALU_DEP_1) | instskip(NEXT) | instid1(SALU_CYCLE_1)
	s_mul_i32 s3, s3, s9
	s_mul_hi_u32 s3, s9, s3
	s_delay_alu instid0(SALU_CYCLE_1) | instskip(NEXT) | instid1(SALU_CYCLE_1)
	s_add_i32 s9, s9, s3
	s_mul_hi_u32 s3, s14, s9
	s_ashr_i32 s9, s8, 31
	s_mul_i32 s20, s3, s21
	s_add_i32 s23, s3, 1
	s_sub_i32 s20, s14, s20
	s_delay_alu instid0(SALU_CYCLE_1)
	s_sub_i32 s24, s20, s21
	s_cmp_ge_u32 s20, s21
	s_cselect_b32 s3, s23, s3
	s_cselect_b32 s20, s24, s20
	s_add_i32 s23, s3, 1
	s_cmp_ge_u32 s20, s21
	s_mov_b32 s20, -1
	s_cselect_b32 s3, s23, s3
	s_and_b32 vcc_lo, exec_lo, s4
	s_mul_i32 s26, s3, s21
	s_delay_alu instid0(SALU_CYCLE_1) | instskip(NEXT) | instid1(SALU_CYCLE_1)
	s_sub_i32 s21, s14, s26
	s_lshl_b32 s23, s21, 6
	s_cbranch_vccnz .LBB272_11
; %bb.10:
	v_mov_b32_e32 v1, 0
	s_mov_b32 s20, 0
	s_branch .LBB272_12
.LBB272_11:
                                        ; implicit-def: $vgpr0_vgpr1
.LBB272_12:
	v_or_b32_e32 v2, s23, v7
	v_cmp_neq_f16_e64 s25, s13, 0
	s_and_not1_b32 vcc_lo, exec_lo, s20
	s_delay_alu instid0(VALU_DEP_2)
	v_ashrrev_i32_e32 v3, 31, v2
	s_cbranch_vccnz .LBB272_14
; %bb.13:
	v_mad_i64_i32 v[0:1], null, s8, v6, 0
	s_delay_alu instid0(VALU_DEP_2) | instskip(NEXT) | instid1(VALU_DEP_2)
	v_lshlrev_b64 v[4:5], 1, v[2:3]
	v_lshlrev_b64 v[0:1], 1, v[0:1]
	s_delay_alu instid0(VALU_DEP_1) | instskip(NEXT) | instid1(VALU_DEP_2)
	v_add_co_u32 v0, vcc_lo, s16, v0
	v_add_co_ci_u32_e32 v1, vcc_lo, s17, v1, vcc_lo
	s_delay_alu instid0(VALU_DEP_2) | instskip(NEXT) | instid1(VALU_DEP_2)
	v_add_co_u32 v0, vcc_lo, v0, v4
	v_add_co_ci_u32_e32 v1, vcc_lo, v1, v5, vcc_lo
	flat_load_u16 v0, v[0:1]
	v_mov_b32_e32 v1, 0
	s_waitcnt vmcnt(0) lgkmcnt(0)
	v_mul_f16_e32 v8, s13, v0
	s_branch .LBB272_15
.LBB272_14:
	v_mov_b32_e32 v8, s20
.LBB272_15:
	s_load_b32 s20, s[0:1], 0x30
	s_lshl_b32 s24, s3, 8
	v_cndmask_b32_e64 v9, 0, 1, s25
	s_delay_alu instid0(VALU_DEP_1)
	v_cmp_ne_u32_e64 s3, 1, v9
	s_waitcnt lgkmcnt(0)
	s_ashr_i32 s21, s20, 31
	v_mul_lo_u32 v4, v1, s20
	v_mad_u64_u32 v[0:1], null, v6, s20, 0
	v_mul_lo_u32 v5, v6, s21
	s_delay_alu instid0(VALU_DEP_1) | instskip(NEXT) | instid1(VALU_DEP_1)
	v_add3_u32 v1, v1, v5, v4
	v_lshlrev_b64 v[4:5], 1, v[0:1]
	v_or_b32_e32 v0, s24, v7
	s_delay_alu instid0(VALU_DEP_1) | instskip(NEXT) | instid1(VALU_DEP_3)
	v_ashrrev_i32_e32 v1, 31, v0
	v_add_co_u32 v4, vcc_lo, s18, v4
	s_delay_alu instid0(VALU_DEP_4)
	v_add_co_ci_u32_e32 v5, vcc_lo, s19, v5, vcc_lo
	s_and_not1_b32 vcc_lo, exec_lo, s25
	s_cbranch_vccnz .LBB272_20
; %bb.16:
	v_lshlrev_b64 v[9:10], 1, v[0:1]
	s_delay_alu instid0(VALU_DEP_1) | instskip(NEXT) | instid1(VALU_DEP_2)
	v_add_co_u32 v9, vcc_lo, v4, v9
	v_add_co_ci_u32_e32 v10, vcc_lo, v5, v10, vcc_lo
	s_clause 0x1
	flat_load_u16 v11, v[9:10]
	flat_load_u16 v10, v[9:10] offset:128
	s_waitcnt vmcnt(1) lgkmcnt(1)
	v_mul_f16_e32 v9, s13, v11
	s_waitcnt vmcnt(0) lgkmcnt(0)
	v_mul_f16_e32 v10, s13, v10
	s_and_b32 vcc_lo, exec_lo, s3
	s_cbranch_vccnz .LBB272_21
.LBB272_17:
	v_lshlrev_b64 v[11:12], 1, v[0:1]
	s_delay_alu instid0(VALU_DEP_1) | instskip(NEXT) | instid1(VALU_DEP_2)
	v_add_co_u32 v4, vcc_lo, v4, v11
	v_add_co_ci_u32_e32 v5, vcc_lo, v5, v12, vcc_lo
	s_clause 0x1
	flat_load_u16 v11, v[4:5] offset:256
	flat_load_u16 v4, v[4:5] offset:384
	s_waitcnt vmcnt(1) lgkmcnt(1)
	v_mul_f16_e32 v11, s13, v11
	s_waitcnt vmcnt(0) lgkmcnt(0)
	v_mul_f16_e32 v12, s13, v4
	v_add_nc_u32_e32 v13, 4, v6
	s_and_b32 vcc_lo, exec_lo, s4
	s_cbranch_vccnz .LBB272_22
.LBB272_18:
	v_mov_b32_e32 v5, 0
	s_mov_b32 s4, 0
	s_cbranch_execz .LBB272_23
; %bb.19:
	v_mov_b32_e32 v2, s4
	s_branch .LBB272_24
.LBB272_20:
	v_dual_mov_b32 v9, 0 :: v_dual_mov_b32 v10, 0
	s_and_b32 vcc_lo, exec_lo, s3
	s_cbranch_vccz .LBB272_17
.LBB272_21:
	v_dual_mov_b32 v11, 0 :: v_dual_mov_b32 v12, 0
	v_add_nc_u32_e32 v13, 4, v6
	s_and_b32 vcc_lo, exec_lo, s4
	s_cbranch_vccz .LBB272_18
.LBB272_22:
	s_mov_b32 s4, -1
                                        ; implicit-def: $vgpr4_vgpr5
.LBB272_23:
	s_delay_alu instid0(VALU_DEP_1) | instskip(SKIP_1) | instid1(VALU_DEP_2)
	v_mad_i64_i32 v[4:5], null, s8, v13, 0
	v_lshlrev_b64 v[2:3], 1, v[2:3]
	v_lshlrev_b64 v[4:5], 1, v[4:5]
	s_delay_alu instid0(VALU_DEP_1) | instskip(NEXT) | instid1(VALU_DEP_2)
	v_add_co_u32 v4, vcc_lo, s16, v4
	v_add_co_ci_u32_e32 v5, vcc_lo, s17, v5, vcc_lo
	s_delay_alu instid0(VALU_DEP_2) | instskip(NEXT) | instid1(VALU_DEP_2)
	v_add_co_u32 v2, vcc_lo, v4, v2
	v_add_co_ci_u32_e32 v3, vcc_lo, v5, v3, vcc_lo
	v_mov_b32_e32 v5, 0
	flat_load_u16 v2, v[2:3]
	s_waitcnt vmcnt(0) lgkmcnt(0)
	v_mul_f16_e32 v2, s13, v2
.LBB272_24:
	v_mul_lo_u32 v5, v5, s20
	v_mul_lo_u32 v14, v13, s21
	v_mad_u64_u32 v[3:4], null, v13, s20, 0
	s_delay_alu instid0(VALU_DEP_1) | instskip(NEXT) | instid1(VALU_DEP_1)
	v_add3_u32 v4, v4, v14, v5
	v_lshlrev_b64 v[3:4], 1, v[3:4]
	s_delay_alu instid0(VALU_DEP_1) | instskip(NEXT) | instid1(VALU_DEP_2)
	v_add_co_u32 v5, vcc_lo, s18, v3
	v_add_co_ci_u32_e32 v13, vcc_lo, s19, v4, vcc_lo
	s_and_b32 vcc_lo, exec_lo, s3
	s_cbranch_vccnz .LBB272_27
; %bb.25:
	v_lshlrev_b64 v[3:4], 1, v[0:1]
	s_delay_alu instid0(VALU_DEP_1) | instskip(NEXT) | instid1(VALU_DEP_2)
	v_add_co_u32 v3, vcc_lo, v5, v3
	v_add_co_ci_u32_e32 v4, vcc_lo, v13, v4, vcc_lo
	s_clause 0x1
	flat_load_u16 v14, v[3:4]
	flat_load_u16 v4, v[3:4] offset:128
	s_waitcnt vmcnt(1) lgkmcnt(1)
	v_mul_f16_e32 v3, s13, v14
	s_waitcnt vmcnt(0) lgkmcnt(0)
	v_mul_f16_e32 v4, s13, v4
	s_and_b32 vcc_lo, exec_lo, s3
	s_cbranch_vccnz .LBB272_28
.LBB272_26:
	v_lshlrev_b64 v[0:1], 1, v[0:1]
	s_delay_alu instid0(VALU_DEP_1) | instskip(NEXT) | instid1(VALU_DEP_2)
	v_add_co_u32 v0, vcc_lo, v5, v0
	v_add_co_ci_u32_e32 v1, vcc_lo, v13, v1, vcc_lo
	s_clause 0x1
	flat_load_u16 v5, v[0:1] offset:256
	flat_load_u16 v1, v[0:1] offset:384
	s_waitcnt vmcnt(1) lgkmcnt(1)
	v_mul_f16_e32 v0, s13, v5
	s_waitcnt vmcnt(0) lgkmcnt(0)
	v_mul_f16_e32 v1, s13, v1
	s_branch .LBB272_29
.LBB272_27:
	v_dual_mov_b32 v3, 0 :: v_dual_mov_b32 v4, 0
	s_and_b32 vcc_lo, exec_lo, s3
	s_cbranch_vccz .LBB272_26
.LBB272_28:
	v_dual_mov_b32 v0, 0 :: v_dual_mov_b32 v1, 0
.LBB272_29:
	v_lshlrev_b32_e32 v5, 1, v6
	v_lshlrev_b32_e32 v42, 3, v40
	v_lshlrev_b32_e32 v43, 3, v41
	s_cmp_lt_i32 s12, 9
	s_delay_alu instid0(VALU_DEP_3) | instskip(NEXT) | instid1(VALU_DEP_3)
	v_lshl_add_u32 v44, v7, 3, v5
	v_add_nc_u32_e32 v5, 0x1000, v42
	ds_store_b16 v44, v9
	ds_store_b16 v44, v10 offset:512
	ds_store_b16 v44, v11 offset:1024
	;; [unrolled: 1-line block ×4, first 2 shown]
	s_waitcnt lgkmcnt(0)
	s_barrier
	buffer_gl0_inv
	ds_load_2addr_b64 v[8:11], v5 offset1:8
	ds_load_2addr_b64 v[12:15], v43 offset1:32
	ds_load_2addr_b64 v[16:19], v5 offset0:16 offset1:24
	ds_load_2addr_b64 v[20:23], v5 offset0:32 offset1:40
	;; [unrolled: 1-line block ×5, first 2 shown]
	s_waitcnt lgkmcnt(5)
	v_pk_add_f16 v5, v8, v12
	v_pk_add_f16 v70, v9, v13
	s_waitcnt lgkmcnt(3)
	v_pk_add_f16 v39, v20, v12
	v_pk_add_f16 v45, v22, v12
	;; [unrolled: 1-line block ×3, first 2 shown]
	v_pk_min_f16 v5, 0x7c00, v5 op_sel_hi:[0,1]
	v_pk_add_f16 v49, v10, v14
	v_pk_add_f16 v50, v16, v14
	;; [unrolled: 1-line block ×4, first 2 shown]
	v_pk_min_f16 v39, 0x7c00, v39 op_sel_hi:[0,1]
	v_pk_min_f16 v118, v5, v70
	v_pk_min_f16 v5, 0x7c00, v45 op_sel_hi:[0,1]
	s_waitcnt lgkmcnt(2)
	v_pk_add_f16 v47, v26, v12
	v_pk_add_f16 v54, v24, v14
	;; [unrolled: 1-line block ×6, first 2 shown]
	v_pk_min_f16 v37, 0x7c00, v37 op_sel_hi:[0,1]
	v_pk_min_f16 v114, v39, v74
	v_pk_min_f16 v39, 0x7c00, v49 op_sel_hi:[0,1]
	v_pk_min_f16 v109, v5, v75
	v_pk_min_f16 v5, 0x7c00, v50 op_sel_hi:[0,1]
	v_pk_add_f16 v36, v10, v12
	v_pk_add_f16 v52, v20, v14
	s_waitcnt lgkmcnt(1)
	v_pk_add_f16 v56, v8, v28
	v_pk_add_f16 v57, v10, v28
	;; [unrolled: 1-line block ×11, first 2 shown]
	v_pk_min_f16 v116, v37, v72
	v_pk_min_f16 v37, 0x7c00, v47 op_sel_hi:[0,1]
	v_pk_min_f16 v103, v39, v79
	v_pk_min_f16 v39, 0x7c00, v54 op_sel_hi:[0,1]
	;; [unrolled: 2-line block ×3, first 2 shown]
	v_pk_add_f16 v46, v24, v12
	v_pk_add_f16 v64, v10, v30
	;; [unrolled: 1-line block ×13, first 2 shown]
	v_pk_min_f16 v36, 0x7c00, v36 op_sel_hi:[0,1]
	v_pk_min_f16 v105, v37, v77
	v_pk_min_f16 v37, 0x7c00, v52 op_sel_hi:[0,1]
	v_pk_min_f16 v98, v39, v84
	;; [unrolled: 2-line block ×3, first 2 shown]
	v_pk_min_f16 v5, 0x7c00, v60 op_sel_hi:[0,1]
	v_pk_min_f16 v28, 0x7c00, v28 op_sel_hi:[0,1]
	v_pk_add_f16 v38, v18, v12
	v_pk_add_f16 v48, v8, v14
	;; [unrolled: 1-line block ×17, first 2 shown]
	ds_load_2addr_b64 v[12:15], v43 offset0:192 offset1:224
	v_pk_min_f16 v117, v36, v71
	v_pk_min_f16 v36, 0x7c00, v46 op_sel_hi:[0,1]
	v_pk_min_f16 v100, v37, v82
	v_pk_min_f16 v37, 0x7c00, v57 op_sel_hi:[0,1]
	v_pk_min_f16 v93, v39, v89
	v_pk_min_f16 v92, v5, v90
	v_pk_min_f16 v89, v28, v29
	v_pk_min_f16 v5, 0x7c00, v64 op_sel_hi:[0,1]
	v_pk_min_f16 v28, 0x7c00, v65 op_sel_hi:[0,1]
	v_pk_add_f16 v108, v9, v31
	v_pk_add_f16 v112, v19, v31
	;; [unrolled: 1-line block ×6, first 2 shown]
	s_waitcnt lgkmcnt(1)
	v_pk_add_f16 v121, v8, v32
	v_pk_add_f16 v122, v10, v32
	;; [unrolled: 1-line block ×4, first 2 shown]
	v_pk_min_f16 v38, 0x7c00, v38 op_sel_hi:[0,1]
	v_pk_min_f16 v106, v36, v76
	v_pk_min_f16 v36, 0x7c00, v51 op_sel_hi:[0,1]
	v_pk_min_f16 v95, v37, v87
	;; [unrolled: 2-line block ×3, first 2 shown]
	v_pk_min_f16 v85, v28, v111
	v_pk_min_f16 v5, 0x7c00, v69 op_sel_hi:[0,1]
	v_pk_min_f16 v28, 0x7c00, v30 op_sel_hi:[0,1]
	v_pk_add_f16 v123, v16, v32
	v_pk_add_f16 v126, v22, v32
	;; [unrolled: 1-line block ×10, first 2 shown]
	v_pk_min_f16 v115, v38, v73
	v_pk_min_f16 v38, 0x7c00, v48 op_sel_hi:[0,1]
	v_pk_min_f16 v101, v36, v81
	v_pk_min_f16 v84, v29, v112
	v_pk_min_f16 v29, 0x7c00, v121 op_sel_hi:[0,1]
	v_pk_min_f16 v30, 0x7c00, v122 op_sel_hi:[0,1]
	v_pk_min_f16 v81, v5, v120
	v_pk_min_f16 v80, v28, v31
	v_pk_min_f16 v5, 0x7c00, v124 op_sel_hi:[0,1]
	v_pk_min_f16 v28, 0x7c00, v125 op_sel_hi:[0,1]
	v_pk_add_f16 v130, v16, v34
	v_pk_add_f16 v131, v18, v34
	;; [unrolled: 1-line block ×11, first 2 shown]
	v_pk_min_f16 v104, v38, v78
	v_pk_min_f16 v36, 0x7c00, v56 op_sel_hi:[0,1]
	v_pk_min_f16 v79, v29, v135
	v_pk_min_f16 v78, v30, v136
	v_pk_min_f16 v29, 0x7c00, v126 op_sel_hi:[0,1]
	v_pk_min_f16 v30, 0x7c00, v127 op_sel_hi:[0,1]
	;; [unrolled: 1-line block ×3, first 2 shown]
	v_pk_min_f16 v76, v5, v138
	v_pk_min_f16 v75, v28, v139
	v_pk_min_f16 v5, 0x7c00, v128 op_sel_hi:[0,1]
	v_pk_min_f16 v28, 0x7c00, v129 op_sel_hi:[0,1]
	v_pk_add_f16 v34, v26, v34
	v_pk_add_f16 v144, v17, v35
	;; [unrolled: 1-line block ×6, first 2 shown]
	v_pk_min_f16 v96, v36, v86
	v_pk_min_f16 v36, 0x7c00, v61 op_sel_hi:[0,1]
	v_pk_min_f16 v37, 0x7c00, v62 op_sel_hi:[0,1]
	v_pk_min_f16 v74, v29, v140
	v_pk_min_f16 v73, v30, v141
	v_pk_min_f16 v72, v31, v33
	v_pk_min_f16 v29, 0x7c00, v130 op_sel_hi:[0,1]
	v_pk_min_f16 v30, 0x7c00, v131 op_sel_hi:[0,1]
	v_pk_min_f16 v31, 0x7c00, v132 op_sel_hi:[0,1]
	v_pk_min_f16 v32, 0x7c00, v133 op_sel_hi:[0,1]
	v_pk_min_f16 v33, 0x7c00, v134 op_sel_hi:[0,1]
	v_pk_min_f16 v71, v5, v142
	s_waitcnt lgkmcnt(0)
	v_pk_add_f16 v5, v16, v12
	v_pk_min_f16 v70, v28, v143
	v_pk_add_f16 v28, v18, v12
	v_pk_add_f16 v35, v27, v35
	;; [unrolled: 1-line block ×6, first 2 shown]
	v_pk_min_f16 v91, v36, v91
	v_pk_min_f16 v90, v37, v107
	v_pk_min_f16 v36, 0x7c00, v67 op_sel_hi:[0,1]
	v_pk_min_f16 v37, 0x7c00, v68 op_sel_hi:[0,1]
	;; [unrolled: 1-line block ×3, first 2 shown]
	v_pk_min_f16 v69, v29, v144
	v_pk_add_f16 v29, v20, v12
	v_pk_min_f16 v5, 0x7c00, v5 op_sel_hi:[0,1]
	v_pk_min_f16 v28, 0x7c00, v28 op_sel_hi:[0,1]
	v_pk_min_f16 v68, v30, v145
	v_pk_add_f16 v30, v22, v12
	v_pk_min_f16 v67, v31, v146
	v_pk_add_f16 v31, v24, v12
	;; [unrolled: 2-line block ×4, first 2 shown]
	v_pk_add_f16 v33, v19, v13
	v_pk_add_f16 v151, v9, v13
	;; [unrolled: 1-line block ×5, first 2 shown]
	v_pk_min_f16 v38, 0x7c00, v53 op_sel_hi:[0,1]
	v_pk_min_f16 v30, 0x7c00, v30 op_sel_hi:[0,1]
	v_pk_add_f16 v16, v16, v14
	v_pk_min_f16 v12, 0x7c00, v12 op_sel_hi:[0,1]
	v_pk_min_f16 v8, 0x7c00, v8 op_sel_hi:[0,1]
	;; [unrolled: 1-line block ×3, first 2 shown]
	v_pk_min_f16 v64, v34, v35
	v_pk_add_f16 v34, v21, v13
	v_pk_min_f16 v61, v5, v32
	v_pk_add_f16 v5, v23, v13
	;; [unrolled: 2-line block ×3, first 2 shown]
	v_pk_add_f16 v13, v27, v13
	v_pk_min_f16 v99, v38, v83
	v_pk_min_f16 v38, 0x7c00, v58 op_sel_hi:[0,1]
	v_pk_min_f16 v83, v36, v113
	v_pk_min_f16 v36, 0x7c00, v123 op_sel_hi:[0,1]
	v_pk_min_f16 v16, 0x7c00, v16 op_sel_hi:[0,1]
	v_pk_min_f16 v58, v30, v5
	v_pk_add_f16 v5, v18, v14
	v_pk_add_f16 v18, v20, v14
	v_pk_min_f16 v56, v12, v13
	v_pk_add_f16 v12, v17, v15
	v_pk_min_f16 v55, v8, v9
	;; [unrolled: 2-line block ×3, first 2 shown]
	v_pk_add_f16 v9, v24, v14
	v_pk_add_f16 v10, v26, v14
	v_pk_min_f16 v94, v38, v88
	v_pk_min_f16 v38, 0x7c00, v63 op_sel_hi:[0,1]
	v_pk_min_f16 v82, v37, v119
	v_pk_min_f16 v77, v36, v137
	v_pk_min_f16 v36, 0x7c00, v149 op_sel_hi:[0,1]
	v_pk_min_f16 v37, 0x7c00, v150 op_sel_hi:[0,1]
	v_pk_min_f16 v29, 0x7c00, v29 op_sel_hi:[0,1]
	v_pk_min_f16 v31, 0x7c00, v31 op_sel_hi:[0,1]
	v_pk_min_f16 v53, v16, v12
	v_pk_min_f16 v5, 0x7c00, v5 op_sel_hi:[0,1]
	v_pk_min_f16 v11, 0x7c00, v18 op_sel_hi:[0,1]
	;; [unrolled: 1-line block ×5, first 2 shown]
	v_pk_add_f16 v12, v19, v15
	v_pk_add_f16 v13, v21, v15
	;; [unrolled: 1-line block ×5, first 2 shown]
	v_pk_min_f16 v88, v38, v108
	v_pk_min_f16 v63, v36, v151
	;; [unrolled: 1-line block ×10, first 2 shown]
	ds_store_b16 v44, v3 offset:2048
	ds_store_b16 v44, v4 offset:2560
	;; [unrolled: 1-line block ×5, first 2 shown]
	s_waitcnt lgkmcnt(0)
	s_barrier
	buffer_gl0_inv
	s_cbranch_scc1 .LBB272_47
; %bb.30:
	v_add_nc_u32_e32 v8, 12, v6
	v_lshl_or_b32 v2, s14, 6, v7
	s_lshl_b32 s4, s26, 6
	v_add_nc_u32_e32 v10, 8, v6
	v_or_b32_e32 v45, 0x1000, v44
	v_mad_i64_i32 v[0:1], null, v8, s8, 0
	v_subrev_nc_u32_e32 v2, s4, v2
	v_mad_i64_i32 v[4:5], null, v8, s20, 0
	v_mad_i64_i32 v[8:9], null, v10, s8, 0
	s_delay_alu instid0(VALU_DEP_3) | instskip(SKIP_3) | instid1(VALU_DEP_4)
	v_ashrrev_i32_e32 v3, 31, v2
	v_lshlrev_b64 v[32:33], 1, v[0:1]
	v_add_nc_u32_e32 v0, s24, v7
	v_mad_i64_i32 v[6:7], null, v10, s20, 0
	v_lshlrev_b64 v[2:3], 1, v[2:3]
	v_lshlrev_b64 v[34:35], 1, v[4:5]
	s_delay_alu instid0(VALU_DEP_4)
	v_ashrrev_i32_e32 v1, 31, v0
	v_lshlrev_b64 v[38:39], 1, v[8:9]
	v_add_nc_u32_e32 v46, 0x1000, v42
	v_add_nc_u32_e32 v47, 0x1200, v44
	v_add_co_u32 v110, vcc_lo, s16, v2
	v_lshlrev_b64 v[0:1], 1, v[0:1]
	v_add_co_ci_u32_e32 v111, vcc_lo, s17, v3, vcc_lo
	v_lshlrev_b64 v[36:37], 1, v[6:7]
	v_or_b32_e32 v86, 0x800, v44
	v_lshl_add_u32 v107, v40, 3, 0x1200
	v_add_co_u32 v112, vcc_lo, s18, v0
	v_lshl_add_u32 v108, v41, 3, 0x800
	v_add_co_ci_u32_e32 v113, vcc_lo, s19, v1, vcc_lo
	s_add_i32 s12, s12, -8
	s_lshl_b64 s[8:9], s[8:9], 4
	s_lshl_b64 s[16:17], s[20:21], 4
	s_mov_b32 s14, 0
	s_and_b32 s4, exec_lo, s25
	s_branch .LBB272_33
.LBB272_31:                             ;   in Loop: Header=BB272_33 Depth=1
	v_add_co_u32 v0, vcc_lo, v112, v34
	v_add_co_ci_u32_e32 v1, vcc_lo, v113, v35, vcc_lo
	s_clause 0x1
	flat_load_u16 v11, v[0:1] offset:256
	flat_load_u16 v1, v[0:1] offset:384
	s_waitcnt vmcnt(1) lgkmcnt(1)
	v_mul_f16_e32 v0, s13, v11
	s_waitcnt vmcnt(0) lgkmcnt(0)
	v_mul_f16_e32 v1, s13, v1
.LBB272_32:                             ;   in Loop: Header=BB272_33 Depth=1
	ds_load_2addr_b64 v[122:125], v46 offset1:8
	ds_load_2addr_b64 v[87:90], v43 offset1:32
	ds_load_2addr_b64 v[126:129], v46 offset0:16 offset1:24
	ds_load_2addr_b64 v[130:133], v46 offset0:32 offset1:40
	;; [unrolled: 1-line block ×6, first 2 shown]
	v_pk_max_f16 v11, v83, v83
	v_pk_max_f16 v17, v81, v81
	;; [unrolled: 1-line block ×13, first 2 shown]
	s_waitcnt lgkmcnt(6)
	v_pk_add_f16 v82, v122, v87
	v_pk_add_f16 v83, v124, v87
	s_waitcnt lgkmcnt(5)
	v_pk_add_f16 v84, v126, v87
	v_pk_add_f16 v85, v128, v87
	;; [unrolled: 3-line block ×4, first 2 shown]
	v_pk_min_f16 v11, v11, v82
	v_pk_min_f16 v17, v17, v83
	;; [unrolled: 1-line block ×5, first 2 shown]
	v_pk_add_f16 v82, v122, v89
	v_pk_add_f16 v83, v124, v89
	;; [unrolled: 1-line block ×5, first 2 shown]
	v_pk_min_f16 v70, v70, v82
	v_pk_min_f16 v77, v77, v83
	;; [unrolled: 1-line block ×5, first 2 shown]
	v_pk_add_f16 v82, v132, v89
	v_pk_add_f16 v83, v134, v89
	v_pk_max_f16 v73, v73, v73
	v_pk_add_f16 v84, v136, v89
	v_pk_max_f16 v71, v71, v71
	s_waitcnt lgkmcnt(2)
	v_pk_add_f16 v85, v122, v138
	v_pk_max_f16 v69, v69, v69
	v_pk_add_f16 v87, v124, v138
	v_pk_max_f16 v67, v67, v67
	v_pk_min_f16 v65, v65, v82
	v_pk_min_f16 v73, v73, v83
	v_pk_min_f16 v71, v71, v84
	v_pk_min_f16 v69, v69, v85
	v_pk_min_f16 v67, v67, v87
	v_pk_add_f16 v82, v126, v138
	v_pk_max_f16 v60, v60, v60
	v_pk_add_f16 v83, v128, v138
	v_pk_max_f16 v68, v68, v68
	v_pk_add_f16 v84, v130, v138
	v_pk_max_f16 v66, v66, v66
	v_pk_add_f16 v85, v132, v138
	v_pk_max_f16 v64, v64, v64
	v_pk_add_f16 v87, v134, v138
	v_pk_max_f16 v62, v62, v62
	v_pk_min_f16 v60, v60, v82
	v_pk_min_f16 v68, v68, v83
	v_pk_min_f16 v66, v66, v84
	v_pk_min_f16 v64, v64, v85
	v_pk_min_f16 v62, v62, v87
	v_pk_add_f16 v82, v136, v138
	v_pk_max_f16 v55, v55, v55
	v_pk_add_f16 v83, v122, v140
	v_pk_max_f16 v63, v63, v63
	v_pk_add_f16 v84, v124, v140
	v_pk_max_f16 v61, v61, v61
	;; [unrolled: 15-line block ×3, first 2 shown]
	v_pk_add_f16 v85, v136, v140
	v_pk_max_f16 v54, v54, v54
	s_waitcnt lgkmcnt(1)
	v_pk_add_f16 v87, v122, v142
	v_pk_max_f16 v52, v52, v52
	v_pk_min_f16 v50, v50, v82
	v_pk_min_f16 v58, v58, v83
	v_pk_min_f16 v56, v56, v84
	v_pk_min_f16 v54, v54, v85
	v_pk_min_f16 v52, v52, v87
	v_pk_add_f16 v82, v124, v142
	v_pk_max_f16 v29, v29, v29
	v_pk_add_f16 v83, v126, v142
	v_pk_max_f16 v53, v53, v53
	v_pk_add_f16 v84, v128, v142
	v_pk_max_f16 v51, v51, v51
	v_pk_add_f16 v85, v130, v142
	v_pk_max_f16 v49, v49, v49
	v_pk_add_f16 v87, v132, v142
	v_pk_max_f16 v31, v31, v31
	v_pk_min_f16 v29, v29, v82
	v_pk_min_f16 v53, v53, v83
	v_pk_min_f16 v51, v51, v84
	v_pk_min_f16 v49, v49, v85
	v_pk_min_f16 v31, v31, v87
	v_pk_add_f16 v82, v134, v142
	v_pk_max_f16 v24, v24, v24
	v_pk_add_f16 v83, v136, v142
	v_pk_max_f16 v48, v48, v48
	v_pk_add_f16 v84, v122, v144
	v_pk_max_f16 v30, v30, v30
	v_pk_add_f16 v85, v124, v144
	v_pk_max_f16 v28, v28, v28
	;; [unrolled: 15-line block ×3, first 2 shown]
	v_pk_add_f16 v87, v136, v144
	v_pk_max_f16 v21, v21, v21
	v_pk_min_f16 v18, v18, v82
	v_pk_min_f16 v27, v27, v83
	v_pk_min_f16 v25, v25, v84
	v_pk_min_f16 v23, v23, v85
	v_pk_min_f16 v21, v21, v87
	s_waitcnt lgkmcnt(0)
	v_pk_add_f16 v82, v122, v146
	v_pk_max_f16 v12, v12, v12
	v_pk_add_f16 v83, v124, v146
	v_pk_max_f16 v22, v22, v22
	;; [unrolled: 2-line block ×5, first 2 shown]
	v_pk_min_f16 v12, v12, v82
	v_pk_min_f16 v22, v22, v83
	;; [unrolled: 1-line block ×5, first 2 shown]
	v_pk_add_f16 v82, v132, v146
	v_pk_max_f16 v6, v6, v6
	v_pk_add_f16 v83, v134, v146
	v_pk_max_f16 v15, v15, v15
	;; [unrolled: 2-line block ×5, first 2 shown]
	v_pk_min_f16 v6, v6, v82
	v_pk_min_f16 v15, v15, v83
	;; [unrolled: 1-line block ×5, first 2 shown]
	v_pk_add_f16 v82, v126, v148
	v_pk_max_f16 v4, v4, v4
	v_pk_add_f16 v83, v128, v148
	v_pk_max_f16 v9, v9, v9
	v_pk_add_f16 v84, v130, v148
	v_pk_max_f16 v7, v7, v7
	v_pk_add_f16 v85, v132, v148
	v_pk_max_f16 v5, v5, v5
	v_pk_add_f16 v87, v134, v148
	v_pk_max_f16 v3, v3, v3
	v_pk_max_f16 v80, v80, v80
	v_pk_min_f16 v4, v4, v82
	v_pk_min_f16 v9, v9, v83
	;; [unrolled: 1-line block ×5, first 2 shown]
	v_pk_add_f16 v82, v136, v148
	v_pk_max_f16 v2, v2, v2
	v_pk_add_f16 v83, v123, v88
	v_pk_add_f16 v84, v125, v88
	;; [unrolled: 1-line block ×4, first 2 shown]
	v_pk_min_f16 v79, v79, v91
	v_pk_min_f16 v81, v81, v92
	;; [unrolled: 1-line block ×8, first 2 shown]
	v_pk_add_f16 v11, v131, v88
	v_pk_add_f16 v17, v133, v88
	v_pk_add_f16 v19, v135, v88
	v_pk_add_f16 v78, v137, v88
	v_pk_add_f16 v82, v123, v90
	v_pk_min_f16 v114, v79, v11
	v_pk_min_f16 v109, v81, v17
	v_pk_min_f16 v106, v80, v19
	v_pk_min_f16 v105, v76, v78
	v_pk_min_f16 v104, v70, v82
	v_pk_add_f16 v11, v125, v90
	v_pk_add_f16 v17, v127, v90
	v_pk_add_f16 v19, v129, v90
	v_pk_add_f16 v70, v131, v90
	v_pk_add_f16 v76, v133, v90
	v_pk_min_f16 v103, v77, v11
	v_pk_min_f16 v102, v75, v17
	v_pk_min_f16 v101, v74, v19
	v_pk_min_f16 v100, v72, v70
	v_pk_min_f16 v99, v65, v76
	v_pk_add_f16 v11, v135, v90
	v_pk_add_f16 v17, v137, v90
	v_pk_add_f16 v19, v123, v139
	v_pk_add_f16 v65, v125, v139
	v_pk_add_f16 v70, v127, v139
	v_pk_min_f16 v98, v73, v11
	v_pk_min_f16 v97, v71, v17
	v_pk_min_f16 v96, v69, v19
	v_pk_min_f16 v95, v67, v65
	v_pk_min_f16 v94, v60, v70
	v_pk_add_f16 v11, v129, v139
	v_pk_add_f16 v17, v131, v139
	v_pk_add_f16 v19, v133, v139
	v_pk_add_f16 v60, v135, v139
	v_pk_add_f16 v65, v137, v139
	v_pk_min_f16 v93, v68, v11
	v_pk_min_f16 v92, v66, v17
	v_pk_min_f16 v91, v64, v19
	v_pk_min_f16 v90, v62, v60
	v_pk_min_f16 v89, v55, v65
	v_pk_add_f16 v11, v123, v141
	v_pk_add_f16 v17, v125, v141
	v_pk_add_f16 v19, v127, v141
	v_pk_add_f16 v55, v129, v141
	v_pk_add_f16 v60, v131, v141
	v_pk_min_f16 v88, v63, v11
	v_pk_min_f16 v87, v61, v17
	v_pk_min_f16 v85, v59, v19
	v_pk_min_f16 v84, v57, v55
	v_pk_min_f16 v83, v50, v60
	v_pk_add_f16 v11, v133, v141
	v_pk_add_f16 v17, v135, v141
	v_pk_add_f16 v19, v137, v141
	v_pk_add_f16 v50, v123, v143
	v_pk_add_f16 v55, v125, v143
	v_pk_min_f16 v82, v58, v11
	v_pk_min_f16 v81, v56, v17
	v_pk_min_f16 v80, v54, v19
	v_pk_min_f16 v79, v52, v50
	v_pk_min_f16 v78, v29, v55
	v_pk_add_f16 v11, v127, v143
	v_pk_add_f16 v17, v129, v143
	v_pk_add_f16 v19, v131, v143
	v_pk_add_f16 v29, v133, v143
	v_pk_add_f16 v50, v135, v143
	v_pk_min_f16 v77, v53, v11
	v_pk_min_f16 v76, v51, v17
	v_pk_min_f16 v75, v49, v19
	v_pk_min_f16 v74, v31, v29
	v_pk_min_f16 v73, v24, v50
	v_pk_add_f16 v11, v137, v143
	v_pk_add_f16 v17, v123, v145
	v_pk_add_f16 v19, v125, v145
	v_pk_add_f16 v24, v127, v145
	v_pk_add_f16 v29, v129, v145
	v_pk_min_f16 v72, v48, v11
	v_pk_min_f16 v71, v30, v17
	v_pk_min_f16 v70, v28, v19
	v_pk_min_f16 v69, v26, v24
	v_pk_min_f16 v68, v18, v29
	v_pk_add_f16 v11, v131, v145
	v_pk_add_f16 v17, v133, v145
	v_pk_add_f16 v18, v135, v145
	v_pk_add_f16 v19, v137, v145
	v_pk_add_f16 v24, v123, v147
	v_pk_min_f16 v67, v27, v11
	v_pk_min_f16 v66, v25, v17
	v_pk_min_f16 v65, v23, v18
	v_pk_min_f16 v64, v21, v19
	v_pk_min_f16 v63, v12, v24
	v_pk_add_f16 v11, v125, v147
	v_pk_add_f16 v12, v127, v147
	v_pk_add_f16 v17, v129, v147
	v_pk_add_f16 v18, v131, v147
	v_pk_add_f16 v19, v133, v147
	v_pk_min_f16 v62, v22, v11
	v_pk_min_f16 v61, v20, v12
	v_pk_min_f16 v60, v16, v17
	v_pk_min_f16 v59, v14, v18
	v_pk_min_f16 v58, v6, v19
	v_pk_add_f16 v6, v135, v147
	v_pk_add_f16 v11, v137, v147
	v_pk_add_f16 v12, v123, v149
	v_pk_add_f16 v14, v125, v149
	v_pk_add_f16 v16, v127, v149
	v_pk_min_f16 v57, v15, v6
	v_pk_min_f16 v56, v13, v11
	v_pk_min_f16 v55, v10, v12
	v_pk_min_f16 v54, v8, v14
	v_pk_min_f16 v53, v4, v16
	v_pk_add_f16 v4, v129, v149
	v_pk_add_f16 v6, v131, v149
	;; [unrolled: 1-line block ×5, first 2 shown]
	v_add_co_u32 v110, vcc_lo, v110, s8
	v_add_co_ci_u32_e32 v111, vcc_lo, s9, v111, vcc_lo
	v_add_co_u32 v112, vcc_lo, v112, s16
	v_pk_min_f16 v52, v9, v4
	v_pk_min_f16 v51, v7, v6
	;; [unrolled: 1-line block ×5, first 2 shown]
	v_add_co_ci_u32_e32 v113, vcc_lo, s17, v113, vcc_lo
	s_add_i32 s14, s14, 8
	ds_store_b16 v47, v119
	ds_store_b16 v86, v120
	ds_store_b16 v86, v121 offset:512
	ds_store_b16 v86, v0 offset:1024
	;; [unrolled: 1-line block ×3, first 2 shown]
	s_cmp_ge_i32 s14, s12
	s_waitcnt lgkmcnt(0)
	s_barrier
	buffer_gl0_inv
	s_cbranch_scc1 .LBB272_47
.LBB272_33:                             ; =>This Inner Loop Header: Depth=1
	s_and_b32 vcc_lo, exec_lo, s3
	s_cbranch_vccnz .LBB272_37
; %bb.34:                               ;   in Loop: Header=BB272_33 Depth=1
	v_add_co_u32 v0, vcc_lo, v110, v38
	v_add_co_ci_u32_e32 v1, vcc_lo, v111, v39, vcc_lo
	flat_load_u16 v0, v[0:1]
	s_waitcnt vmcnt(0) lgkmcnt(0)
	v_mul_f16_e32 v119, s13, v0
	s_and_b32 vcc_lo, exec_lo, s3
	s_cbranch_vccnz .LBB272_38
.LBB272_35:                             ;   in Loop: Header=BB272_33 Depth=1
	v_add_co_u32 v0, vcc_lo, v112, v36
	v_add_co_ci_u32_e32 v1, vcc_lo, v113, v37, vcc_lo
	s_clause 0x1
	flat_load_u16 v2, v[0:1]
	flat_load_u16 v0, v[0:1] offset:128
	s_waitcnt vmcnt(1) lgkmcnt(1)
	v_mul_f16_e32 v120, s13, v2
	s_waitcnt vmcnt(0) lgkmcnt(0)
	v_mul_f16_e32 v121, s13, v0
	s_and_b32 vcc_lo, exec_lo, s3
	s_cbranch_vccnz .LBB272_39
.LBB272_36:                             ;   in Loop: Header=BB272_33 Depth=1
	v_add_co_u32 v0, vcc_lo, v112, v36
	v_add_co_ci_u32_e32 v1, vcc_lo, v113, v37, vcc_lo
	s_clause 0x1
	flat_load_u16 v2, v[0:1] offset:256
	flat_load_u16 v0, v[0:1] offset:384
	s_waitcnt vmcnt(1) lgkmcnt(1)
	v_mul_f16_e32 v122, s13, v2
	s_waitcnt vmcnt(0) lgkmcnt(0)
	v_mul_f16_e32 v123, s13, v0
	s_branch .LBB272_40
.LBB272_37:                             ;   in Loop: Header=BB272_33 Depth=1
	v_mov_b32_e32 v119, 0
	s_and_b32 vcc_lo, exec_lo, s3
	s_cbranch_vccz .LBB272_35
.LBB272_38:                             ;   in Loop: Header=BB272_33 Depth=1
	v_dual_mov_b32 v120, 0 :: v_dual_mov_b32 v121, 0
	s_and_b32 vcc_lo, exec_lo, s3
	s_cbranch_vccz .LBB272_36
.LBB272_39:                             ;   in Loop: Header=BB272_33 Depth=1
	v_dual_mov_b32 v122, 0 :: v_dual_mov_b32 v123, 0
.LBB272_40:                             ;   in Loop: Header=BB272_33 Depth=1
	ds_load_2addr_b64 v[12:15], v107 offset1:8
	ds_load_2addr_b64 v[8:11], v107 offset0:16 offset1:24
	ds_load_2addr_b64 v[4:7], v107 offset0:32 offset1:40
	;; [unrolled: 1-line block ×3, first 2 shown]
	ds_load_2addr_b64 v[28:31], v108 offset1:32
	ds_load_2addr_b64 v[24:27], v108 offset0:64 offset1:96
	ds_load_2addr_b64 v[20:23], v108 offset0:128 offset1:160
	;; [unrolled: 1-line block ×3, first 2 shown]
	s_mov_b32 vcc_lo, s4
	ds_store_b16 v45, v119
	ds_store_b16 v44, v120
	ds_store_b16 v44, v121 offset:512
	ds_store_b16 v44, v122 offset:1024
	;; [unrolled: 1-line block ×3, first 2 shown]
	s_waitcnt lgkmcnt(0)
	s_barrier
	buffer_gl0_inv
	s_cbranch_vccz .LBB272_43
; %bb.41:                               ;   in Loop: Header=BB272_33 Depth=1
	v_add_co_u32 v119, vcc_lo, v110, v32
	v_add_co_ci_u32_e32 v120, vcc_lo, v111, v33, vcc_lo
	flat_load_u16 v119, v[119:120]
	s_waitcnt vmcnt(0) lgkmcnt(0)
	v_mul_f16_e32 v119, s13, v119
	s_and_b32 vcc_lo, exec_lo, s3
	s_cbranch_vccnz .LBB272_44
.LBB272_42:                             ;   in Loop: Header=BB272_33 Depth=1
	v_add_co_u32 v120, vcc_lo, v112, v34
	v_add_co_ci_u32_e32 v121, vcc_lo, v113, v35, vcc_lo
	s_clause 0x1
	flat_load_u16 v122, v[120:121]
	flat_load_u16 v121, v[120:121] offset:128
	s_waitcnt vmcnt(1) lgkmcnt(1)
	v_mul_f16_e32 v120, s13, v122
	s_waitcnt vmcnt(0) lgkmcnt(0)
	v_mul_f16_e32 v121, s13, v121
	s_branch .LBB272_45
.LBB272_43:                             ;   in Loop: Header=BB272_33 Depth=1
	v_mov_b32_e32 v119, 0
	s_and_b32 vcc_lo, exec_lo, s3
	s_cbranch_vccz .LBB272_42
.LBB272_44:                             ;   in Loop: Header=BB272_33 Depth=1
	v_dual_mov_b32 v120, 0 :: v_dual_mov_b32 v121, 0
.LBB272_45:                             ;   in Loop: Header=BB272_33 Depth=1
	v_pk_add_f16 v122, v12, v28
	v_pk_max_f16 v118, v118, v118
	v_pk_add_f16 v123, v14, v28
	v_pk_max_f16 v117, v117, v117
	;; [unrolled: 2-line block ×3, first 2 shown]
	v_pk_min_f16 v118, v118, v122
	v_pk_add_f16 v122, v10, v28
	v_pk_min_f16 v117, v117, v123
	v_pk_max_f16 v115, v115, v115
	v_pk_min_f16 v116, v116, v124
	v_pk_add_f16 v123, v4, v28
	v_pk_max_f16 v114, v114, v114
	v_pk_add_f16 v124, v6, v28
	v_pk_add_f16 v125, v0, v28
	;; [unrolled: 1-line block ×3, first 2 shown]
	v_pk_max_f16 v105, v105, v105
	v_pk_max_f16 v109, v109, v109
	;; [unrolled: 1-line block ×3, first 2 shown]
	v_pk_min_f16 v115, v115, v122
	v_pk_min_f16 v114, v114, v123
	;; [unrolled: 1-line block ×3, first 2 shown]
	v_pk_add_f16 v105, v12, v30
	v_pk_max_f16 v104, v104, v104
	v_pk_add_f16 v122, v14, v30
	v_pk_max_f16 v103, v103, v103
	v_pk_add_f16 v123, v8, v30
	v_pk_max_f16 v102, v102, v102
	v_pk_min_f16 v109, v109, v124
	v_pk_min_f16 v106, v106, v125
	v_pk_add_f16 v124, v10, v30
	v_pk_max_f16 v101, v101, v101
	v_pk_add_f16 v125, v4, v30
	v_pk_min_f16 v104, v104, v105
	v_pk_min_f16 v103, v103, v122
	;; [unrolled: 1-line block ×3, first 2 shown]
	v_pk_add_f16 v105, v6, v30
	v_pk_max_f16 v99, v99, v99
	v_pk_add_f16 v122, v0, v30
	v_pk_add_f16 v30, v2, v30
	v_pk_max_f16 v97, v97, v97
	v_pk_add_f16 v123, v12, v24
	v_pk_max_f16 v96, v96, v96
	v_pk_min_f16 v101, v101, v124
	v_pk_max_f16 v98, v98, v98
	v_pk_add_f16 v124, v14, v24
	v_pk_max_f16 v95, v95, v95
	v_pk_min_f16 v99, v99, v105
	v_pk_min_f16 v30, v97, v30
	;; [unrolled: 1-line block ×3, first 2 shown]
	v_pk_add_f16 v97, v8, v24
	v_pk_max_f16 v94, v94, v94
	v_pk_add_f16 v105, v10, v24
	v_pk_max_f16 v93, v93, v93
	;; [unrolled: 2-line block ×3, first 2 shown]
	v_pk_min_f16 v98, v98, v122
	v_pk_min_f16 v95, v95, v124
	v_pk_add_f16 v122, v4, v24
	v_pk_max_f16 v92, v92, v92
	v_pk_add_f16 v124, v0, v24
	v_pk_min_f16 v94, v94, v97
	v_pk_min_f16 v93, v93, v105
	;; [unrolled: 1-line block ×3, first 2 shown]
	v_pk_add_f16 v24, v2, v24
	v_pk_max_f16 v89, v89, v89
	v_pk_add_f16 v97, v12, v26
	v_pk_max_f16 v88, v88, v88
	;; [unrolled: 2-line block ×4, first 2 shown]
	v_pk_min_f16 v92, v92, v122
	v_pk_add_f16 v122, v8, v26
	v_pk_min_f16 v24, v89, v24
	v_pk_min_f16 v88, v88, v97
	;; [unrolled: 1-line block ×4, first 2 shown]
	v_pk_add_f16 v84, v4, v26
	v_pk_add_f16 v97, v6, v26
	;; [unrolled: 1-line block ×3, first 2 shown]
	v_pk_max_f16 v81, v81, v81
	v_pk_add_f16 v26, v2, v26
	v_pk_max_f16 v80, v80, v80
	v_pk_max_f16 v100, v100, v100
	;; [unrolled: 1-line block ×5, first 2 shown]
	v_pk_min_f16 v105, v81, v105
	v_pk_min_f16 v26, v80, v26
	v_pk_add_f16 v80, v8, v20
	v_pk_max_f16 v77, v77, v77
	v_pk_add_f16 v81, v10, v20
	v_pk_max_f16 v76, v76, v76
	v_pk_min_f16 v100, v100, v125
	v_pk_min_f16 v85, v85, v122
	v_pk_add_f16 v122, v12, v20
	v_pk_max_f16 v79, v79, v79
	v_pk_min_f16 v123, v83, v84
	v_pk_min_f16 v97, v82, v97
	v_pk_add_f16 v82, v4, v20
	v_pk_max_f16 v75, v75, v75
	v_pk_add_f16 v83, v6, v20
	v_pk_max_f16 v74, v74, v74
	v_pk_min_f16 v125, v77, v80
	v_pk_min_f16 v126, v76, v81
	v_pk_add_f16 v76, v14, v22
	v_pk_max_f16 v70, v70, v70
	v_pk_add_f16 v77, v8, v22
	v_pk_max_f16 v69, v69, v69
	v_pk_min_f16 v122, v79, v122
	v_pk_add_f16 v79, v14, v20
	v_pk_min_f16 v127, v75, v82
	v_pk_min_f16 v128, v74, v83
	v_pk_add_f16 v74, v0, v20
	v_pk_add_f16 v20, v2, v20
	v_pk_max_f16 v72, v72, v72
	v_pk_add_f16 v75, v12, v22
	v_pk_max_f16 v71, v71, v71
	v_pk_min_f16 v131, v70, v76
	v_pk_min_f16 v132, v69, v77
	v_pk_add_f16 v69, v10, v22
	v_pk_max_f16 v68, v68, v68
	v_pk_add_f16 v70, v4, v22
	v_pk_max_f16 v67, v67, v67
	v_pk_min_f16 v20, v72, v20
	v_pk_min_f16 v130, v71, v75
	v_pk_add_f16 v71, v6, v22
	v_pk_max_f16 v66, v66, v66
	v_pk_add_f16 v72, v0, v22
	v_pk_max_f16 v65, v65, v65
	;; [unrolled: 2-line block ×3, first 2 shown]
	v_pk_min_f16 v133, v68, v69
	v_pk_min_f16 v134, v67, v70
	v_pk_add_f16 v67, v10, v16
	v_pk_max_f16 v60, v60, v60
	v_pk_add_f16 v68, v4, v16
	v_pk_max_f16 v59, v59, v59
	v_pk_min_f16 v135, v66, v71
	v_pk_min_f16 v136, v65, v72
	v_pk_min_f16 v22, v64, v22
	v_pk_add_f16 v64, v12, v16
	v_pk_add_f16 v65, v14, v16
	;; [unrolled: 1-line block ×3, first 2 shown]
	v_pk_min_f16 v140, v60, v67
	v_pk_min_f16 v141, v59, v68
	v_pk_add_f16 v59, v6, v16
	v_pk_add_f16 v60, v0, v16
	;; [unrolled: 1-line block ×3, first 2 shown]
	v_pk_max_f16 v56, v56, v56
	v_pk_add_f16 v12, v12, v18
	v_pk_max_f16 v55, v55, v55
	v_pk_add_f16 v14, v14, v18
	v_pk_max_f16 v54, v54, v54
	v_pk_min_f16 v144, v56, v16
	v_pk_add_f16 v8, v8, v18
	v_pk_min_f16 v145, v55, v12
	v_pk_max_f16 v12, v53, v53
	v_pk_add_f16 v4, v4, v18
	v_pk_max_f16 v16, v51, v51
	v_pk_min_f16 v146, v54, v14
	v_pk_add_f16 v10, v10, v18
	v_pk_max_f16 v14, v52, v52
	v_pk_add_f16 v6, v6, v18
	v_pk_max_f16 v50, v50, v50
	v_pk_min_f16 v147, v12, v8
	v_pk_min_f16 v149, v16, v4
	v_pk_add_f16 v2, v2, v18
	v_pk_max_f16 v4, v48, v48
	v_pk_add_f16 v8, v15, v29
	v_pk_max_f16 v90, v90, v90
	v_pk_max_f16 v78, v78, v78
	v_pk_min_f16 v148, v14, v10
	v_pk_min_f16 v150, v50, v6
	v_pk_add_f16 v6, v13, v29
	v_pk_add_f16 v10, v9, v29
	v_pk_min_f16 v2, v4, v2
	v_pk_min_f16 v81, v117, v8
	v_pk_add_f16 v4, v5, v29
	v_pk_add_f16 v8, v1, v29
	v_pk_min_f16 v90, v90, v124
	v_pk_min_f16 v124, v78, v79
	v_pk_max_f16 v73, v73, v73
	v_pk_add_f16 v12, v11, v29
	v_pk_min_f16 v83, v118, v6
	v_pk_min_f16 v79, v116, v10
	v_pk_add_f16 v6, v7, v29
	v_pk_add_f16 v10, v3, v29
	v_pk_min_f16 v84, v114, v4
	v_pk_min_f16 v80, v106, v8
	v_pk_add_f16 v4, v15, v31
	;; [unrolled: 4-line block ×3, first 2 shown]
	v_pk_min_f16 v82, v109, v6
	v_pk_min_f16 v76, v28, v10
	v_pk_add_f16 v6, v9, v31
	v_pk_add_f16 v10, v5, v31
	v_pk_min_f16 v77, v103, v4
	v_pk_min_f16 v74, v101, v8
	v_pk_add_f16 v4, v1, v31
	v_pk_add_f16 v8, v13, v25
	v_pk_max_f16 v63, v63, v63
	v_pk_max_f16 v62, v62, v62
	v_pk_min_f16 v70, v104, v12
	v_pk_add_f16 v12, v7, v31
	v_pk_min_f16 v75, v102, v6
	v_pk_min_f16 v72, v100, v10
	v_pk_add_f16 v6, v3, v31
	v_pk_add_f16 v10, v15, v25
	v_pk_min_f16 v73, v98, v4
	v_pk_min_f16 v69, v96, v8
	v_pk_add_f16 v4, v11, v25
	v_pk_add_f16 v8, v7, v25
	v_pk_max_f16 v61, v61, v61
	v_pk_min_f16 v137, v63, v64
	v_pk_min_f16 v138, v62, v65
	v_pk_max_f16 v58, v58, v58
	v_pk_max_f16 v57, v57, v57
	v_pk_min_f16 v65, v99, v12
	v_pk_add_f16 v12, v9, v25
	v_pk_min_f16 v71, v30, v6
	v_pk_min_f16 v67, v95, v10
	v_pk_add_f16 v6, v5, v25
	v_pk_add_f16 v10, v1, v25
	v_pk_min_f16 v68, v93, v4
	v_pk_min_f16 v64, v91, v8
	v_pk_add_f16 v4, v13, v27
	v_pk_add_f16 v8, v9, v27
	v_pk_min_f16 v139, v61, v66
	v_pk_min_f16 v142, v58, v59
	;; [unrolled: 1-line block ×4, first 2 shown]
	v_pk_add_f16 v12, v3, v25
	v_pk_min_f16 v66, v92, v6
	v_pk_min_f16 v62, v90, v10
	v_pk_add_f16 v6, v15, v27
	v_pk_add_f16 v10, v11, v27
	v_pk_min_f16 v63, v88, v4
	v_pk_min_f16 v59, v85, v8
	v_pk_add_f16 v4, v7, v27
	v_pk_add_f16 v8, v3, v27
	;; [unrolled: 1-line block ×3, first 2 shown]
	v_pk_max_f16 v49, v49, v49
	v_pk_min_f16 v55, v24, v12
	v_pk_add_f16 v12, v5, v27
	v_pk_min_f16 v61, v87, v6
	v_pk_min_f16 v57, v89, v10
	v_pk_add_f16 v6, v1, v27
	v_pk_add_f16 v10, v13, v21
	v_pk_min_f16 v58, v97, v4
	v_pk_min_f16 v54, v26, v8
	v_pk_add_f16 v4, v9, v21
	;; [unrolled: 4-line block ×3, first 2 shown]
	v_pk_min_f16 v56, v105, v6
	v_pk_min_f16 v52, v122, v10
	v_pk_add_f16 v6, v11, v21
	v_pk_add_f16 v10, v7, v21
	v_pk_min_f16 v53, v125, v4
	v_pk_min_f16 v49, v127, v8
	v_pk_add_f16 v4, v3, v21
	v_pk_add_f16 v8, v15, v23
	v_pk_min_f16 v29, v124, v12
	v_pk_add_f16 v12, v1, v21
	v_pk_min_f16 v51, v126, v6
	v_pk_min_f16 v31, v128, v10
	v_pk_add_f16 v6, v13, v23
	v_pk_add_f16 v10, v9, v23
	v_pk_min_f16 v48, v20, v4
	v_pk_min_f16 v28, v131, v8
	v_pk_add_f16 v4, v5, v23
	v_pk_add_f16 v8, v1, v23
	v_pk_min_f16 v24, v129, v12
	v_pk_add_f16 v12, v11, v23
	;; [unrolled: 10-line block ×3, first 2 shown]
	v_pk_min_f16 v25, v135, v6
	v_pk_min_f16 v21, v22, v10
	v_pk_add_f16 v6, v9, v17
	v_pk_add_f16 v10, v5, v17
	;; [unrolled: 1-line block ×3, first 2 shown]
	v_pk_min_f16 v22, v138, v4
	v_pk_min_f16 v16, v140, v8
	v_pk_add_f16 v4, v1, v17
	v_pk_add_f16 v8, v3, v17
	;; [unrolled: 1-line block ×4, first 2 shown]
	v_pk_min_f16 v14, v141, v10
	v_pk_add_f16 v10, v13, v19
	v_pk_min_f16 v15, v143, v4
	v_pk_min_f16 v13, v144, v8
	;; [unrolled: 1-line block ×4, first 2 shown]
	v_pk_add_f16 v9, v11, v19
	v_pk_add_f16 v5, v5, v19
	;; [unrolled: 1-line block ×5, first 2 shown]
	v_pk_min_f16 v12, v137, v12
	v_pk_min_f16 v20, v139, v6
	;; [unrolled: 1-line block ×9, first 2 shown]
	s_and_b32 vcc_lo, exec_lo, s3
	s_cbranch_vccz .LBB272_31
; %bb.46:                               ;   in Loop: Header=BB272_33 Depth=1
	v_dual_mov_b32 v0, 0 :: v_dual_mov_b32 v1, 0
	s_branch .LBB272_32
.LBB272_47:
	s_load_b32 s4, s[0:1], 0x50
	v_add_nc_u32_e32 v86, s24, v41
	ds_load_b64 v[28:29], v42 offset:4608
	ds_load_b64 v[46:47], v43 offset:2048
	v_add_nc_u32_e32 v44, s23, v40
	v_cmp_neq_f16_e64 s9, s5, 0
	v_mov_b32_e32 v34, 0
	v_mov_b32_e32 v32, 0
	s_delay_alu instid0(VALU_DEP_4) | instskip(NEXT) | instid1(VALU_DEP_4)
	v_ashrrev_i32_e32 v45, 31, v44
	s_and_b32 vcc_lo, exec_lo, s9
	s_delay_alu instid0(VALU_DEP_1) | instskip(SKIP_2) | instid1(VALU_DEP_1)
	v_lshlrev_b64 v[30:31], 1, v[44:45]
	s_waitcnt lgkmcnt(0)
	v_mad_i64_i32 v[0:1], null, v86, s4, 0
	v_lshlrev_b64 v[0:1], 1, v[0:1]
	s_delay_alu instid0(VALU_DEP_1) | instskip(NEXT) | instid1(VALU_DEP_1)
	v_add_co_u32 v107, s3, s6, v0
	v_add_co_ci_u32_e64 v108, s3, s7, v1, s3
	s_cbranch_vccz .LBB272_49
; %bb.48:
	s_delay_alu instid0(VALU_DEP_2) | instskip(NEXT) | instid1(VALU_DEP_2)
	v_add_co_u32 v0, vcc_lo, v107, v30
	v_add_co_ci_u32_e32 v1, vcc_lo, v108, v31, vcc_lo
	flat_load_u16 v0, v[0:1]
	s_waitcnt vmcnt(0) lgkmcnt(0)
	v_mul_f16_e32 v32, s5, v0
.LBB272_49:
	s_clause 0x1
	s_load_b32 s3, s[0:1], 0x68
	s_load_b64 s[0:1], s[0:1], 0x70
	v_add_nc_u32_e32 v0, 0x1000, v42
	v_pk_add_f16 v13, v28, v46
	v_pk_max_f16 v14, v118, v118
	v_add_nc_u32_e32 v12, 0x800, v43
	ds_load_b64 v[24:25], v42 offset:5056
	ds_load_b64 v[26:27], v43 offset:3840
	ds_load_2addr_b64 v[8:11], v0 offset0:72 offset1:80
	ds_load_2addr_b64 v[4:7], v0 offset0:88 offset1:96
	;; [unrolled: 1-line block ×5, first 2 shown]
	v_pk_add_f16 v33, v29, v47
	v_pk_min_f16 v40, v14, v13
	ds_load_2addr_b64 v[12:15], v12 offset0:160 offset1:192
	v_add_nc_u32_e32 v35, 8, v44
	v_cndmask_b32_e64 v39, 0, 1, s9
	v_pk_min_f16 v33, v40, v33
	s_delay_alu instid0(VALU_DEP_3) | instskip(NEXT) | instid1(VALU_DEP_2)
	v_ashrrev_i32_e32 v36, 31, v35
	v_lshrrev_b32_e32 v40, 16, v33
	s_waitcnt lgkmcnt(0)
	v_mad_i64_i32 v[37:38], null, v86, s3, 0
	s_mul_i32 s1, s15, s1
	s_mul_hi_u32 s8, s15, s0
	s_mul_i32 s12, s22, s0
	s_add_i32 s1, s8, s1
	s_mul_i32 s0, s15, s0
	s_add_i32 s1, s1, s12
	s_delay_alu instid0(VALU_DEP_1)
	v_lshlrev_b64 v[37:38], 1, v[37:38]
	s_lshl_b64 s[12:13], s[0:1], 1
	v_min3_f16 v40, v32, v33, v40
	s_add_u32 s1, s10, s12
	s_addc_u32 s8, s11, s13
	v_lshlrev_b64 v[32:33], 1, v[35:36]
	v_add_co_u32 v110, vcc_lo, s1, v37
	v_add_co_ci_u32_e32 v111, vcc_lo, s8, v38, vcc_lo
	v_cmp_ne_u32_e64 s0, 1, v39
	s_delay_alu instid0(VALU_DEP_3) | instskip(NEXT) | instid1(VALU_DEP_3)
	v_add_co_u32 v37, vcc_lo, v110, v30
	v_add_co_ci_u32_e32 v38, vcc_lo, v111, v31, vcc_lo
	s_and_not1_b32 vcc_lo, exec_lo, s9
	global_store_b16 v[37:38], v40, off
	s_cbranch_vccnz .LBB272_51
; %bb.50:
	v_add_co_u32 v34, vcc_lo, v107, v32
	v_add_co_ci_u32_e32 v35, vcc_lo, v108, v33, vcc_lo
	flat_load_u16 v34, v[34:35]
	s_waitcnt vmcnt(0) lgkmcnt(0)
	v_mul_f16_e32 v34, s5, v34
.LBB272_51:
	v_pk_add_f16 v35, v8, v46
	v_pk_max_f16 v36, v117, v117
	v_pk_add_f16 v37, v9, v47
	v_add_co_u32 v38, vcc_lo, v110, v32
	v_add_co_ci_u32_e32 v39, vcc_lo, v111, v33, vcc_lo
	s_delay_alu instid0(VALU_DEP_4) | instskip(SKIP_2) | instid1(VALU_DEP_2)
	v_pk_min_f16 v36, v36, v35
	v_add_nc_u32_e32 v35, 16, v44
	s_and_b32 vcc_lo, exec_lo, s0
	v_pk_min_f16 v40, v36, v37
	s_delay_alu instid0(VALU_DEP_2) | instskip(SKIP_1) | instid1(VALU_DEP_3)
	v_ashrrev_i32_e32 v36, 31, v35
	v_mov_b32_e32 v37, 0
	v_lshrrev_b32_e32 v41, 16, v40
	s_delay_alu instid0(VALU_DEP_1) | instskip(NEXT) | instid1(VALU_DEP_4)
	v_min3_f16 v40, v34, v40, v41
	v_lshlrev_b64 v[34:35], 1, v[35:36]
	v_mov_b32_e32 v36, 0
	global_store_b16 v[38:39], v40, off
	s_cbranch_vccnz .LBB272_53
; %bb.52:
	v_add_co_u32 v38, vcc_lo, v107, v34
	v_add_co_ci_u32_e32 v39, vcc_lo, v108, v35, vcc_lo
	flat_load_u16 v36, v[38:39]
	s_waitcnt vmcnt(0) lgkmcnt(0)
	v_mul_f16_e32 v36, s5, v36
.LBB272_53:
	v_pk_add_f16 v38, v10, v46
	v_pk_max_f16 v39, v116, v116
	v_pk_add_f16 v40, v11, v47
	v_add_co_u32 v42, vcc_lo, v110, v34
	v_add_co_ci_u32_e32 v43, vcc_lo, v111, v35, vcc_lo
	s_delay_alu instid0(VALU_DEP_4) | instskip(SKIP_2) | instid1(VALU_DEP_2)
	v_pk_min_f16 v39, v39, v38
	v_add_nc_u32_e32 v38, 24, v44
	s_and_b32 vcc_lo, exec_lo, s0
	v_pk_min_f16 v40, v39, v40
	s_delay_alu instid0(VALU_DEP_2) | instskip(NEXT) | instid1(VALU_DEP_2)
	v_ashrrev_i32_e32 v39, 31, v38
	v_lshrrev_b32_e32 v41, 16, v40
	s_delay_alu instid0(VALU_DEP_1) | instskip(NEXT) | instid1(VALU_DEP_3)
	v_min3_f16 v36, v36, v40, v41
	v_lshlrev_b64 v[40:41], 1, v[38:39]
	global_store_b16 v[42:43], v36, off
	s_cbranch_vccnz .LBB272_55
; %bb.54:
	v_add_co_u32 v36, vcc_lo, v107, v40
	v_add_co_ci_u32_e32 v37, vcc_lo, v108, v41, vcc_lo
	flat_load_u16 v36, v[36:37]
	s_waitcnt vmcnt(0) lgkmcnt(0)
	v_mul_f16_e32 v37, s5, v36
.LBB272_55:
	v_pk_add_f16 v36, v4, v46
	v_pk_max_f16 v38, v115, v115
	v_pk_add_f16 v39, v5, v47
	v_add_co_u32 v112, vcc_lo, v110, v40
	v_add_co_ci_u32_e32 v113, vcc_lo, v111, v41, vcc_lo
	s_delay_alu instid0(VALU_DEP_4) | instskip(SKIP_2) | instid1(VALU_DEP_2)
	v_pk_min_f16 v36, v38, v36
	v_add_nc_u32_e32 v38, 32, v44
	s_and_b32 vcc_lo, exec_lo, s0
	v_pk_min_f16 v42, v36, v39
	v_mov_b32_e32 v36, 0
	s_delay_alu instid0(VALU_DEP_2) | instskip(NEXT) | instid1(VALU_DEP_1)
	v_lshrrev_b32_e32 v43, 16, v42
	v_min3_f16 v45, v37, v42, v43
	v_mov_b32_e32 v37, 0
	v_ashrrev_i32_e32 v39, 31, v38
	global_store_b16 v[112:113], v45, off
	v_lshlrev_b64 v[42:43], 1, v[38:39]
	s_cbranch_vccnz .LBB272_57
; %bb.56:
	s_delay_alu instid0(VALU_DEP_1) | instskip(NEXT) | instid1(VALU_DEP_2)
	v_add_co_u32 v37, vcc_lo, v107, v42
	v_add_co_ci_u32_e32 v38, vcc_lo, v108, v43, vcc_lo
	flat_load_u16 v37, v[37:38]
	s_waitcnt vmcnt(0) lgkmcnt(0)
	v_mul_f16_e32 v37, s5, v37
.LBB272_57:
	v_pk_add_f16 v38, v6, v46
	v_pk_max_f16 v39, v114, v114
	v_pk_add_f16 v45, v7, v47
	s_delay_alu instid0(VALU_DEP_4) | instskip(SKIP_1) | instid1(VALU_DEP_4)
	v_add_co_u32 v112, vcc_lo, v110, v42
	v_add_co_ci_u32_e32 v113, vcc_lo, v111, v43, vcc_lo
	v_pk_min_f16 v39, v39, v38
	v_add_nc_u32_e32 v38, 40, v44
	s_and_b32 vcc_lo, exec_lo, s0
	s_delay_alu instid0(VALU_DEP_2) | instskip(NEXT) | instid1(VALU_DEP_2)
	v_pk_min_f16 v45, v39, v45
	v_ashrrev_i32_e32 v39, 31, v38
	s_delay_alu instid0(VALU_DEP_2) | instskip(NEXT) | instid1(VALU_DEP_2)
	v_lshrrev_b32_e32 v114, 16, v45
	v_lshlrev_b64 v[38:39], 1, v[38:39]
	s_delay_alu instid0(VALU_DEP_2)
	v_min3_f16 v37, v37, v45, v114
	global_store_b16 v[112:113], v37, off
	s_cbranch_vccnz .LBB272_59
; %bb.58:
	v_add_co_u32 v36, vcc_lo, v107, v38
	v_add_co_ci_u32_e32 v37, vcc_lo, v108, v39, vcc_lo
	flat_load_u16 v36, v[36:37]
	s_waitcnt vmcnt(0) lgkmcnt(0)
	v_mul_f16_e32 v36, s5, v36
.LBB272_59:
	v_pk_add_f16 v37, v0, v46
	v_pk_max_f16 v45, v109, v109
	v_pk_add_f16 v109, v1, v47
	v_add_nc_u32_e32 v112, 48, v44
	v_add_co_u32 v114, vcc_lo, v110, v38
	s_delay_alu instid0(VALU_DEP_4) | instskip(SKIP_2) | instid1(VALU_DEP_2)
	v_pk_min_f16 v37, v45, v37
	v_add_co_ci_u32_e32 v115, vcc_lo, v111, v39, vcc_lo
	s_and_b32 vcc_lo, exec_lo, s0
	v_pk_min_f16 v37, v37, v109
	v_mov_b32_e32 v109, 0
	v_ashrrev_i32_e32 v113, 31, v112
	s_delay_alu instid0(VALU_DEP_3) | instskip(NEXT) | instid1(VALU_DEP_1)
	v_lshrrev_b32_e32 v45, 16, v37
	v_min3_f16 v116, v36, v37, v45
	s_delay_alu instid0(VALU_DEP_3)
	v_lshlrev_b64 v[36:37], 1, v[112:113]
	v_mov_b32_e32 v45, 0
	global_store_b16 v[114:115], v116, off
	s_cbranch_vccnz .LBB272_61
; %bb.60:
	v_add_co_u32 v112, vcc_lo, v107, v36
	v_add_co_ci_u32_e32 v113, vcc_lo, v108, v37, vcc_lo
	flat_load_u16 v45, v[112:113]
	s_waitcnt vmcnt(0) lgkmcnt(0)
	v_mul_f16_e32 v45, s5, v45
.LBB272_61:
	v_pk_add_f16 v112, v2, v46
	v_pk_max_f16 v106, v106, v106
	v_pk_add_f16 v113, v3, v47
	v_add_co_u32 v114, vcc_lo, v110, v36
	v_add_co_ci_u32_e32 v115, vcc_lo, v111, v37, vcc_lo
	s_delay_alu instid0(VALU_DEP_4) | instskip(SKIP_2) | instid1(VALU_DEP_2)
	v_pk_min_f16 v106, v106, v112
	v_add_nc_u32_e32 v112, 56, v44
	s_and_b32 vcc_lo, exec_lo, s0
	v_pk_min_f16 v44, v106, v113
	s_delay_alu instid0(VALU_DEP_2) | instskip(NEXT) | instid1(VALU_DEP_2)
	v_ashrrev_i32_e32 v113, 31, v112
	v_lshrrev_b32_e32 v106, 16, v44
	s_delay_alu instid0(VALU_DEP_1) | instskip(NEXT) | instid1(VALU_DEP_3)
	v_min3_f16 v106, v45, v44, v106
	v_lshlrev_b64 v[44:45], 1, v[112:113]
	global_store_b16 v[114:115], v106, off
	s_cbranch_vccnz .LBB272_63
; %bb.62:
	v_add_co_u32 v106, vcc_lo, v107, v44
	v_add_co_ci_u32_e32 v107, vcc_lo, v108, v45, vcc_lo
	flat_load_u16 v106, v[106:107]
	s_waitcnt vmcnt(0) lgkmcnt(0)
	v_mul_f16_e32 v109, s5, v106
.LBB272_63:
	v_add_nc_u32_e32 v107, 32, v86
	v_pk_add_f16 v46, v24, v46
	v_pk_max_f16 v108, v105, v105
	v_pk_add_f16 v47, v25, v47
	v_add_co_u32 v110, vcc_lo, v110, v44
	v_mad_i64_i32 v[105:106], null, v107, s4, 0
	s_delay_alu instid0(VALU_DEP_4) | instskip(SKIP_1) | instid1(VALU_DEP_2)
	v_pk_min_f16 v46, v108, v46
	v_add_co_ci_u32_e32 v111, vcc_lo, v111, v45, vcc_lo
	v_pk_min_f16 v108, v46, v47
	s_delay_alu instid0(VALU_DEP_4) | instskip(SKIP_1) | instid1(VALU_DEP_3)
	v_lshlrev_b64 v[46:47], 1, v[105:106]
	v_mov_b32_e32 v106, 0
	v_lshrrev_b32_e32 v105, 16, v108
	s_delay_alu instid0(VALU_DEP_3) | instskip(NEXT) | instid1(VALU_DEP_4)
	v_add_co_u32 v46, vcc_lo, s6, v46
	v_add_co_ci_u32_e32 v47, vcc_lo, s7, v47, vcc_lo
	s_delay_alu instid0(VALU_DEP_3)
	v_min3_f16 v105, v109, v108, v105
	v_mov_b32_e32 v108, 0
	s_and_b32 vcc_lo, exec_lo, s0
	global_store_b16 v[110:111], v105, off
	s_cbranch_vccnz .LBB272_65
; %bb.64:
	v_add_co_u32 v108, vcc_lo, v46, v30
	v_add_co_ci_u32_e32 v109, vcc_lo, v47, v31, vcc_lo
	flat_load_u16 v105, v[108:109]
	s_waitcnt vmcnt(0) lgkmcnt(0)
	v_mul_f16_e32 v108, s5, v105
.LBB272_65:
	v_pk_add_f16 v109, v28, v20
	v_pk_max_f16 v110, v104, v104
	v_mad_i64_i32 v[104:105], null, v107, s3, 0
	v_pk_add_f16 v107, v29, v21
	s_delay_alu instid0(VALU_DEP_3) | instskip(NEXT) | instid1(VALU_DEP_3)
	v_pk_min_f16 v109, v110, v109
	v_lshlrev_b64 v[104:105], 1, v[104:105]
	s_delay_alu instid0(VALU_DEP_2) | instskip(NEXT) | instid1(VALU_DEP_2)
	v_pk_min_f16 v107, v109, v107
	v_add_co_u32 v104, vcc_lo, s1, v104
	s_delay_alu instid0(VALU_DEP_2) | instskip(NEXT) | instid1(VALU_DEP_4)
	v_lshrrev_b32_e32 v109, 16, v107
	v_add_co_ci_u32_e32 v105, vcc_lo, s8, v105, vcc_lo
	s_delay_alu instid0(VALU_DEP_2) | instskip(NEXT) | instid1(VALU_DEP_4)
	v_min3_f16 v109, v108, v107, v109
	v_add_co_u32 v107, vcc_lo, v104, v30
	s_delay_alu instid0(VALU_DEP_3)
	v_add_co_ci_u32_e32 v108, vcc_lo, v105, v31, vcc_lo
	s_and_b32 vcc_lo, exec_lo, s0
	global_store_b16 v[107:108], v109, off
	s_cbranch_vccnz .LBB272_67
; %bb.66:
	v_add_co_u32 v106, vcc_lo, v46, v32
	v_add_co_ci_u32_e32 v107, vcc_lo, v47, v33, vcc_lo
	flat_load_u16 v106, v[106:107]
	s_waitcnt vmcnt(0) lgkmcnt(0)
	v_mul_f16_e32 v106, s5, v106
.LBB272_67:
	v_pk_add_f16 v107, v8, v20
	v_pk_max_f16 v103, v103, v103
	v_pk_add_f16 v108, v9, v21
	s_delay_alu instid0(VALU_DEP_2) | instskip(SKIP_1) | instid1(VALU_DEP_2)
	v_pk_min_f16 v103, v103, v107
	v_add_co_u32 v107, vcc_lo, v104, v32
	v_pk_min_f16 v103, v103, v108
	v_add_co_ci_u32_e32 v108, vcc_lo, v105, v33, vcc_lo
	s_and_b32 vcc_lo, exec_lo, s0
	s_delay_alu instid0(VALU_DEP_2) | instskip(NEXT) | instid1(VALU_DEP_1)
	v_lshrrev_b32_e32 v109, 16, v103
	v_min3_f16 v109, v106, v103, v109
	v_dual_mov_b32 v103, 0 :: v_dual_mov_b32 v106, 0
	global_store_b16 v[107:108], v109, off
	s_cbranch_vccnz .LBB272_69
; %bb.68:
	v_add_co_u32 v106, vcc_lo, v46, v34
	v_add_co_ci_u32_e32 v107, vcc_lo, v47, v35, vcc_lo
	flat_load_u16 v106, v[106:107]
	s_waitcnt vmcnt(0) lgkmcnt(0)
	v_mul_f16_e32 v106, s5, v106
.LBB272_69:
	v_pk_add_f16 v107, v10, v20
	v_pk_max_f16 v102, v102, v102
	v_pk_add_f16 v108, v11, v21
	s_delay_alu instid0(VALU_DEP_2) | instskip(NEXT) | instid1(VALU_DEP_1)
	v_pk_min_f16 v102, v102, v107
	v_pk_min_f16 v102, v102, v108
	s_delay_alu instid0(VALU_DEP_1) | instskip(NEXT) | instid1(VALU_DEP_1)
	v_lshrrev_b32_e32 v107, 16, v102
	v_min3_f16 v102, v106, v102, v107
	v_add_co_u32 v106, vcc_lo, v104, v34
	v_add_co_ci_u32_e32 v107, vcc_lo, v105, v35, vcc_lo
	s_and_b32 vcc_lo, exec_lo, s0
	global_store_b16 v[106:107], v102, off
	s_cbranch_vccnz .LBB272_71
; %bb.70:
	v_add_co_u32 v102, vcc_lo, v46, v40
	v_add_co_ci_u32_e32 v103, vcc_lo, v47, v41, vcc_lo
	flat_load_u16 v102, v[102:103]
	s_waitcnt vmcnt(0) lgkmcnt(0)
	v_mul_f16_e32 v103, s5, v102
.LBB272_71:
	v_pk_add_f16 v102, v4, v20
	v_pk_max_f16 v101, v101, v101
	v_pk_add_f16 v106, v5, v21
	s_delay_alu instid0(VALU_DEP_2) | instskip(NEXT) | instid1(VALU_DEP_1)
	v_pk_min_f16 v101, v101, v102
	v_pk_min_f16 v101, v101, v106
	v_add_co_u32 v106, vcc_lo, v104, v40
	v_add_co_ci_u32_e32 v107, vcc_lo, v105, v41, vcc_lo
	s_delay_alu instid0(VALU_DEP_3) | instskip(SKIP_1) | instid1(VALU_DEP_1)
	v_lshrrev_b32_e32 v102, 16, v101
	s_and_b32 vcc_lo, exec_lo, s0
	v_min3_f16 v103, v103, v101, v102
	v_dual_mov_b32 v101, 0 :: v_dual_mov_b32 v102, 0
	global_store_b16 v[106:107], v103, off
	s_cbranch_vccnz .LBB272_73
; %bb.72:
	v_add_co_u32 v102, vcc_lo, v46, v42
	v_add_co_ci_u32_e32 v103, vcc_lo, v47, v43, vcc_lo
	flat_load_u16 v102, v[102:103]
	s_waitcnt vmcnt(0) lgkmcnt(0)
	v_mul_f16_e32 v102, s5, v102
.LBB272_73:
	v_pk_add_f16 v103, v6, v20
	v_pk_max_f16 v100, v100, v100
	v_pk_add_f16 v106, v7, v21
	s_delay_alu instid0(VALU_DEP_2) | instskip(NEXT) | instid1(VALU_DEP_1)
	v_pk_min_f16 v100, v100, v103
	v_pk_min_f16 v100, v100, v106
	s_delay_alu instid0(VALU_DEP_1) | instskip(NEXT) | instid1(VALU_DEP_1)
	v_lshrrev_b32_e32 v103, 16, v100
	v_min3_f16 v100, v102, v100, v103
	v_add_co_u32 v102, vcc_lo, v104, v42
	v_add_co_ci_u32_e32 v103, vcc_lo, v105, v43, vcc_lo
	s_and_b32 vcc_lo, exec_lo, s0
	global_store_b16 v[102:103], v100, off
	s_cbranch_vccnz .LBB272_75
; %bb.74:
	v_add_co_u32 v100, vcc_lo, v46, v38
	v_add_co_ci_u32_e32 v101, vcc_lo, v47, v39, vcc_lo
	flat_load_u16 v100, v[100:101]
	s_waitcnt vmcnt(0) lgkmcnt(0)
	v_mul_f16_e32 v101, s5, v100
.LBB272_75:
	v_pk_add_f16 v100, v0, v20
	v_pk_max_f16 v99, v99, v99
	v_pk_add_f16 v102, v1, v21
	s_delay_alu instid0(VALU_DEP_2) | instskip(NEXT) | instid1(VALU_DEP_1)
	v_pk_min_f16 v99, v99, v100
	v_pk_min_f16 v99, v99, v102
	v_add_co_u32 v102, vcc_lo, v104, v38
	v_add_co_ci_u32_e32 v103, vcc_lo, v105, v39, vcc_lo
	s_delay_alu instid0(VALU_DEP_3) | instskip(SKIP_1) | instid1(VALU_DEP_1)
	v_lshrrev_b32_e32 v100, 16, v99
	s_and_b32 vcc_lo, exec_lo, s0
	v_min3_f16 v101, v101, v99, v100
	v_dual_mov_b32 v99, 0 :: v_dual_mov_b32 v100, 0
	global_store_b16 v[102:103], v101, off
	s_cbranch_vccnz .LBB272_77
; %bb.76:
	v_add_co_u32 v100, vcc_lo, v46, v36
	v_add_co_ci_u32_e32 v101, vcc_lo, v47, v37, vcc_lo
	flat_load_u16 v100, v[100:101]
	s_waitcnt vmcnt(0) lgkmcnt(0)
	v_mul_f16_e32 v100, s5, v100
.LBB272_77:
	v_pk_add_f16 v101, v2, v20
	v_pk_max_f16 v98, v98, v98
	v_pk_add_f16 v102, v3, v21
	s_delay_alu instid0(VALU_DEP_2) | instskip(NEXT) | instid1(VALU_DEP_1)
	v_pk_min_f16 v98, v98, v101
	v_pk_min_f16 v98, v98, v102
	s_delay_alu instid0(VALU_DEP_1) | instskip(NEXT) | instid1(VALU_DEP_1)
	v_lshrrev_b32_e32 v101, 16, v98
	v_min3_f16 v98, v100, v98, v101
	v_add_co_u32 v100, vcc_lo, v104, v36
	v_add_co_ci_u32_e32 v101, vcc_lo, v105, v37, vcc_lo
	s_and_b32 vcc_lo, exec_lo, s0
	global_store_b16 v[100:101], v98, off
	s_cbranch_vccnz .LBB272_79
; %bb.78:
	v_add_co_u32 v46, vcc_lo, v46, v44
	v_add_co_ci_u32_e32 v47, vcc_lo, v47, v45, vcc_lo
	flat_load_u16 v46, v[46:47]
	s_waitcnt vmcnt(0) lgkmcnt(0)
	v_mul_f16_e32 v99, s5, v46
.LBB272_79:
	v_add_nc_u32_e32 v46, 64, v86
	v_pk_add_f16 v20, v24, v20
	v_pk_max_f16 v47, v97, v97
	v_pk_add_f16 v21, v25, v21
	v_add_co_u32 v100, vcc_lo, v104, v44
	v_mad_i64_i32 v[97:98], null, v46, s4, 0
	s_delay_alu instid0(VALU_DEP_4) | instskip(SKIP_1) | instid1(VALU_DEP_2)
	v_pk_min_f16 v20, v47, v20
	v_add_co_ci_u32_e32 v101, vcc_lo, v105, v45, vcc_lo
	v_pk_min_f16 v47, v20, v21
	s_delay_alu instid0(VALU_DEP_4) | instskip(SKIP_1) | instid1(VALU_DEP_3)
	v_lshlrev_b64 v[20:21], 1, v[97:98]
	v_mov_b32_e32 v98, 0
	v_lshrrev_b32_e32 v97, 16, v47
	s_delay_alu instid0(VALU_DEP_3) | instskip(NEXT) | instid1(VALU_DEP_4)
	v_add_co_u32 v20, vcc_lo, s6, v20
	v_add_co_ci_u32_e32 v21, vcc_lo, s7, v21, vcc_lo
	s_delay_alu instid0(VALU_DEP_3)
	v_min3_f16 v47, v99, v47, v97
	v_mov_b32_e32 v97, 0
	s_and_b32 vcc_lo, exec_lo, s0
	global_store_b16 v[100:101], v47, off
	s_cbranch_vccnz .LBB272_81
; %bb.80:
	v_add_co_u32 v98, vcc_lo, v20, v30
	v_add_co_ci_u32_e32 v99, vcc_lo, v21, v31, vcc_lo
	flat_load_u16 v47, v[98:99]
	s_waitcnt vmcnt(0) lgkmcnt(0)
	v_mul_f16_e32 v98, s5, v47
.LBB272_81:
	v_pk_add_f16 v47, v28, v22
	v_pk_max_f16 v96, v96, v96
	v_mad_i64_i32 v[99:100], null, v46, s3, 0
	v_pk_add_f16 v46, v29, v23
	s_delay_alu instid0(VALU_DEP_3) | instskip(NEXT) | instid1(VALU_DEP_1)
	v_pk_min_f16 v47, v96, v47
	v_pk_min_f16 v96, v47, v46
	s_delay_alu instid0(VALU_DEP_4) | instskip(NEXT) | instid1(VALU_DEP_2)
	v_lshlrev_b64 v[46:47], 1, v[99:100]
	v_lshrrev_b32_e32 v99, 16, v96
	s_delay_alu instid0(VALU_DEP_2) | instskip(NEXT) | instid1(VALU_DEP_3)
	v_add_co_u32 v46, vcc_lo, s1, v46
	v_add_co_ci_u32_e32 v47, vcc_lo, s8, v47, vcc_lo
	s_delay_alu instid0(VALU_DEP_3) | instskip(NEXT) | instid1(VALU_DEP_3)
	v_min3_f16 v96, v98, v96, v99
	v_add_co_u32 v98, vcc_lo, v46, v30
	s_delay_alu instid0(VALU_DEP_3)
	v_add_co_ci_u32_e32 v99, vcc_lo, v47, v31, vcc_lo
	s_and_b32 vcc_lo, exec_lo, s0
	global_store_b16 v[98:99], v96, off
	s_cbranch_vccnz .LBB272_83
; %bb.82:
	v_add_co_u32 v96, vcc_lo, v20, v32
	v_add_co_ci_u32_e32 v97, vcc_lo, v21, v33, vcc_lo
	flat_load_u16 v96, v[96:97]
	s_waitcnt vmcnt(0) lgkmcnt(0)
	v_mul_f16_e32 v97, s5, v96
.LBB272_83:
	v_pk_add_f16 v96, v8, v22
	v_pk_max_f16 v95, v95, v95
	v_pk_add_f16 v98, v9, v23
	s_delay_alu instid0(VALU_DEP_2) | instskip(NEXT) | instid1(VALU_DEP_1)
	v_pk_min_f16 v95, v95, v96
	v_pk_min_f16 v95, v95, v98
	v_add_co_u32 v98, vcc_lo, v46, v32
	v_add_co_ci_u32_e32 v99, vcc_lo, v47, v33, vcc_lo
	s_delay_alu instid0(VALU_DEP_3) | instskip(SKIP_1) | instid1(VALU_DEP_1)
	v_lshrrev_b32_e32 v96, 16, v95
	s_and_b32 vcc_lo, exec_lo, s0
	v_min3_f16 v97, v97, v95, v96
	v_dual_mov_b32 v95, 0 :: v_dual_mov_b32 v96, 0
	global_store_b16 v[98:99], v97, off
	s_cbranch_vccnz .LBB272_85
; %bb.84:
	v_add_co_u32 v96, vcc_lo, v20, v34
	v_add_co_ci_u32_e32 v97, vcc_lo, v21, v35, vcc_lo
	flat_load_u16 v96, v[96:97]
	s_waitcnt vmcnt(0) lgkmcnt(0)
	v_mul_f16_e32 v96, s5, v96
.LBB272_85:
	v_pk_add_f16 v97, v10, v22
	v_pk_max_f16 v94, v94, v94
	v_pk_add_f16 v98, v11, v23
	s_delay_alu instid0(VALU_DEP_2) | instskip(NEXT) | instid1(VALU_DEP_1)
	v_pk_min_f16 v94, v94, v97
	v_pk_min_f16 v94, v94, v98
	s_delay_alu instid0(VALU_DEP_1) | instskip(NEXT) | instid1(VALU_DEP_1)
	v_lshrrev_b32_e32 v97, 16, v94
	v_min3_f16 v94, v96, v94, v97
	v_add_co_u32 v96, vcc_lo, v46, v34
	v_add_co_ci_u32_e32 v97, vcc_lo, v47, v35, vcc_lo
	s_and_b32 vcc_lo, exec_lo, s0
	global_store_b16 v[96:97], v94, off
	s_cbranch_vccnz .LBB272_87
; %bb.86:
	v_add_co_u32 v94, vcc_lo, v20, v40
	v_add_co_ci_u32_e32 v95, vcc_lo, v21, v41, vcc_lo
	flat_load_u16 v94, v[94:95]
	s_waitcnt vmcnt(0) lgkmcnt(0)
	v_mul_f16_e32 v95, s5, v94
.LBB272_87:
	v_pk_add_f16 v94, v4, v22
	v_pk_max_f16 v93, v93, v93
	v_pk_add_f16 v96, v5, v23
	s_delay_alu instid0(VALU_DEP_2) | instskip(NEXT) | instid1(VALU_DEP_1)
	v_pk_min_f16 v93, v93, v94
	v_pk_min_f16 v93, v93, v96
	v_add_co_u32 v96, vcc_lo, v46, v40
	v_add_co_ci_u32_e32 v97, vcc_lo, v47, v41, vcc_lo
	s_delay_alu instid0(VALU_DEP_3) | instskip(SKIP_1) | instid1(VALU_DEP_1)
	v_lshrrev_b32_e32 v94, 16, v93
	s_and_b32 vcc_lo, exec_lo, s0
	v_min3_f16 v95, v95, v93, v94
	v_dual_mov_b32 v93, 0 :: v_dual_mov_b32 v94, 0
	global_store_b16 v[96:97], v95, off
	s_cbranch_vccnz .LBB272_89
; %bb.88:
	v_add_co_u32 v94, vcc_lo, v20, v42
	v_add_co_ci_u32_e32 v95, vcc_lo, v21, v43, vcc_lo
	flat_load_u16 v94, v[94:95]
	s_waitcnt vmcnt(0) lgkmcnt(0)
	v_mul_f16_e32 v94, s5, v94
.LBB272_89:
	v_pk_add_f16 v95, v6, v22
	v_pk_max_f16 v92, v92, v92
	v_pk_add_f16 v96, v7, v23
	s_delay_alu instid0(VALU_DEP_2) | instskip(NEXT) | instid1(VALU_DEP_1)
	v_pk_min_f16 v92, v92, v95
	v_pk_min_f16 v92, v92, v96
	s_delay_alu instid0(VALU_DEP_1) | instskip(NEXT) | instid1(VALU_DEP_1)
	v_lshrrev_b32_e32 v95, 16, v92
	v_min3_f16 v92, v94, v92, v95
	v_add_co_u32 v94, vcc_lo, v46, v42
	;; [unrolled: 43-line block ×3, first 2 shown]
	v_add_co_ci_u32_e32 v93, vcc_lo, v47, v37, vcc_lo
	s_and_b32 vcc_lo, exec_lo, s0
	global_store_b16 v[92:93], v90, off
	s_cbranch_vccnz .LBB272_95
; %bb.94:
	v_add_co_u32 v20, vcc_lo, v20, v44
	v_add_co_ci_u32_e32 v21, vcc_lo, v21, v45, vcc_lo
	flat_load_u16 v20, v[20:21]
	s_waitcnt vmcnt(0) lgkmcnt(0)
	v_mul_f16_e32 v91, s5, v20
.LBB272_95:
	v_pk_add_f16 v22, v24, v22
	v_pk_max_f16 v89, v89, v89
	v_pk_add_f16 v23, v25, v23
	v_add_nc_u32_e32 v90, 0x60, v86
	s_delay_alu instid0(VALU_DEP_3) | instskip(NEXT) | instid1(VALU_DEP_1)
	v_pk_min_f16 v22, v89, v22
	v_pk_min_f16 v89, v22, v23
	v_add_co_u32 v22, vcc_lo, v46, v44
	v_add_co_ci_u32_e32 v23, vcc_lo, v47, v45, vcc_lo
	v_mov_b32_e32 v47, 0
	v_mad_i64_i32 v[20:21], null, v90, s4, 0
	v_lshrrev_b32_e32 v46, 16, v89
	s_delay_alu instid0(VALU_DEP_1) | instskip(NEXT) | instid1(VALU_DEP_3)
	v_min3_f16 v89, v91, v89, v46
	v_lshlrev_b64 v[20:21], 1, v[20:21]
	v_mov_b32_e32 v46, 0
	global_store_b16 v[22:23], v89, off
	v_add_co_u32 v20, vcc_lo, s6, v20
	v_add_co_ci_u32_e32 v21, vcc_lo, s7, v21, vcc_lo
	s_and_b32 vcc_lo, exec_lo, s0
	s_cbranch_vccnz .LBB272_97
; %bb.96:
	s_delay_alu instid0(VALU_DEP_2) | instskip(NEXT) | instid1(VALU_DEP_2)
	v_add_co_u32 v22, vcc_lo, v20, v30
	v_add_co_ci_u32_e32 v23, vcc_lo, v21, v31, vcc_lo
	flat_load_u16 v22, v[22:23]
	s_waitcnt vmcnt(0) lgkmcnt(0)
	v_mul_f16_e32 v47, s5, v22
.LBB272_97:
	v_pk_add_f16 v89, v28, v16
	v_pk_max_f16 v88, v88, v88
	v_mad_i64_i32 v[22:23], null, v90, s3, 0
	v_pk_add_f16 v90, v29, v17
	s_delay_alu instid0(VALU_DEP_3) | instskip(NEXT) | instid1(VALU_DEP_3)
	v_pk_min_f16 v88, v88, v89
	v_lshlrev_b64 v[22:23], 1, v[22:23]
	s_delay_alu instid0(VALU_DEP_2) | instskip(NEXT) | instid1(VALU_DEP_2)
	v_pk_min_f16 v88, v88, v90
	v_add_co_u32 v22, vcc_lo, s1, v22
	s_delay_alu instid0(VALU_DEP_2) | instskip(NEXT) | instid1(VALU_DEP_4)
	v_lshrrev_b32_e32 v89, 16, v88
	v_add_co_ci_u32_e32 v23, vcc_lo, s8, v23, vcc_lo
	s_delay_alu instid0(VALU_DEP_2) | instskip(NEXT) | instid1(VALU_DEP_4)
	v_min3_f16 v47, v47, v88, v89
	v_add_co_u32 v88, vcc_lo, v22, v30
	s_delay_alu instid0(VALU_DEP_3)
	v_add_co_ci_u32_e32 v89, vcc_lo, v23, v31, vcc_lo
	s_and_b32 vcc_lo, exec_lo, s0
	global_store_b16 v[88:89], v47, off
	s_cbranch_vccnz .LBB272_99
; %bb.98:
	v_add_co_u32 v46, vcc_lo, v20, v32
	v_add_co_ci_u32_e32 v47, vcc_lo, v21, v33, vcc_lo
	flat_load_u16 v46, v[46:47]
	s_waitcnt vmcnt(0) lgkmcnt(0)
	v_mul_f16_e32 v46, s5, v46
.LBB272_99:
	v_pk_add_f16 v47, v8, v16
	v_pk_max_f16 v87, v87, v87
	v_pk_add_f16 v88, v9, v17
	s_delay_alu instid0(VALU_DEP_2) | instskip(SKIP_1) | instid1(VALU_DEP_2)
	v_pk_min_f16 v47, v87, v47
	v_add_co_u32 v87, vcc_lo, v22, v32
	v_pk_min_f16 v47, v47, v88
	v_add_co_ci_u32_e32 v88, vcc_lo, v23, v33, vcc_lo
	s_and_b32 vcc_lo, exec_lo, s0
	s_delay_alu instid0(VALU_DEP_2) | instskip(NEXT) | instid1(VALU_DEP_1)
	v_lshrrev_b32_e32 v89, 16, v47
	v_min3_f16 v89, v46, v47, v89
	v_dual_mov_b32 v46, 0 :: v_dual_mov_b32 v47, 0
	global_store_b16 v[87:88], v89, off
	s_cbranch_vccnz .LBB272_101
; %bb.100:
	v_add_co_u32 v87, vcc_lo, v20, v34
	v_add_co_ci_u32_e32 v88, vcc_lo, v21, v35, vcc_lo
	flat_load_u16 v47, v[87:88]
	s_waitcnt vmcnt(0) lgkmcnt(0)
	v_mul_f16_e32 v47, s5, v47
.LBB272_101:
	v_pk_add_f16 v87, v10, v16
	v_pk_max_f16 v85, v85, v85
	v_pk_add_f16 v88, v11, v17
	s_delay_alu instid0(VALU_DEP_2) | instskip(NEXT) | instid1(VALU_DEP_1)
	v_pk_min_f16 v85, v85, v87
	v_pk_min_f16 v85, v85, v88
	s_delay_alu instid0(VALU_DEP_1) | instskip(NEXT) | instid1(VALU_DEP_1)
	v_lshrrev_b32_e32 v87, 16, v85
	v_min3_f16 v47, v47, v85, v87
	v_add_co_u32 v87, vcc_lo, v22, v34
	v_add_co_ci_u32_e32 v88, vcc_lo, v23, v35, vcc_lo
	s_and_b32 vcc_lo, exec_lo, s0
	global_store_b16 v[87:88], v47, off
	s_cbranch_vccnz .LBB272_103
; %bb.102:
	v_add_co_u32 v46, vcc_lo, v20, v40
	v_add_co_ci_u32_e32 v47, vcc_lo, v21, v41, vcc_lo
	flat_load_u16 v46, v[46:47]
	s_waitcnt vmcnt(0) lgkmcnt(0)
	v_mul_f16_e32 v46, s5, v46
.LBB272_103:
	v_pk_add_f16 v47, v4, v16
	v_pk_max_f16 v84, v84, v84
	v_pk_add_f16 v85, v5, v17
	s_delay_alu instid0(VALU_DEP_2) | instskip(SKIP_1) | instid1(VALU_DEP_2)
	v_pk_min_f16 v47, v84, v47
	v_add_co_u32 v84, vcc_lo, v22, v40
	v_pk_min_f16 v47, v47, v85
	v_add_co_ci_u32_e32 v85, vcc_lo, v23, v41, vcc_lo
	s_and_b32 vcc_lo, exec_lo, s0
	s_delay_alu instid0(VALU_DEP_2) | instskip(NEXT) | instid1(VALU_DEP_1)
	v_lshrrev_b32_e32 v87, 16, v47
	v_min3_f16 v87, v46, v47, v87
	v_dual_mov_b32 v46, 0 :: v_dual_mov_b32 v47, 0
	global_store_b16 v[84:85], v87, off
	s_cbranch_vccnz .LBB272_105
; %bb.104:
	v_add_co_u32 v84, vcc_lo, v20, v42
	v_add_co_ci_u32_e32 v85, vcc_lo, v21, v43, vcc_lo
	flat_load_u16 v47, v[84:85]
	s_waitcnt vmcnt(0) lgkmcnt(0)
	v_mul_f16_e32 v47, s5, v47
.LBB272_105:
	v_pk_add_f16 v84, v6, v16
	v_pk_max_f16 v83, v83, v83
	v_pk_add_f16 v85, v7, v17
	s_delay_alu instid0(VALU_DEP_2) | instskip(NEXT) | instid1(VALU_DEP_1)
	v_pk_min_f16 v83, v83, v84
	v_pk_min_f16 v83, v83, v85
	s_delay_alu instid0(VALU_DEP_1) | instskip(NEXT) | instid1(VALU_DEP_1)
	v_lshrrev_b32_e32 v84, 16, v83
	v_min3_f16 v47, v47, v83, v84
	v_add_co_u32 v83, vcc_lo, v22, v42
	;; [unrolled: 43-line block ×3, first 2 shown]
	v_add_co_ci_u32_e32 v82, vcc_lo, v23, v37, vcc_lo
	s_and_b32 vcc_lo, exec_lo, s0
	global_store_b16 v[81:82], v47, off
	s_cbranch_vccnz .LBB272_111
; %bb.110:
	v_add_co_u32 v20, vcc_lo, v20, v44
	v_add_co_ci_u32_e32 v21, vcc_lo, v21, v45, vcc_lo
	flat_load_u16 v20, v[20:21]
	s_waitcnt vmcnt(0) lgkmcnt(0)
	v_mul_f16_e32 v46, s5, v20
.LBB272_111:
	v_add_nc_u32_e32 v20, 0x80, v86
	v_pk_add_f16 v16, v24, v16
	v_pk_max_f16 v21, v80, v80
	v_pk_add_f16 v17, v25, v17
	s_delay_alu instid0(VALU_DEP_4) | instskip(NEXT) | instid1(VALU_DEP_3)
	v_mad_i64_i32 v[80:81], null, v20, s4, 0
	v_pk_min_f16 v16, v21, v16
	s_delay_alu instid0(VALU_DEP_1) | instskip(NEXT) | instid1(VALU_DEP_3)
	v_pk_min_f16 v21, v16, v17
	v_lshlrev_b64 v[16:17], 1, v[80:81]
	v_add_co_u32 v80, vcc_lo, v22, v44
	v_add_co_ci_u32_e32 v81, vcc_lo, v23, v45, vcc_lo
	v_mov_b32_e32 v23, 0
	v_lshrrev_b32_e32 v22, 16, v21
	v_add_co_u32 v16, vcc_lo, s6, v16
	v_add_co_ci_u32_e32 v17, vcc_lo, s7, v17, vcc_lo
	s_delay_alu instid0(VALU_DEP_3)
	v_min3_f16 v21, v46, v21, v22
	v_mov_b32_e32 v22, 0
	s_and_b32 vcc_lo, exec_lo, s0
	global_store_b16 v[80:81], v21, off
	s_cbranch_vccnz .LBB272_113
; %bb.112:
	v_add_co_u32 v46, vcc_lo, v16, v30
	v_add_co_ci_u32_e32 v47, vcc_lo, v17, v31, vcc_lo
	flat_load_u16 v21, v[46:47]
	s_waitcnt vmcnt(0) lgkmcnt(0)
	v_mul_f16_e32 v23, s5, v21
.LBB272_113:
	v_pk_add_f16 v21, v28, v18
	v_pk_max_f16 v79, v79, v79
	v_mad_i64_i32 v[46:47], null, v20, s3, 0
	v_pk_add_f16 v20, v29, v19
	s_delay_alu instid0(VALU_DEP_3) | instskip(NEXT) | instid1(VALU_DEP_1)
	v_pk_min_f16 v21, v79, v21
	v_pk_min_f16 v79, v21, v20
	s_delay_alu instid0(VALU_DEP_4) | instskip(NEXT) | instid1(VALU_DEP_2)
	v_lshlrev_b64 v[20:21], 1, v[46:47]
	v_lshrrev_b32_e32 v46, 16, v79
	s_delay_alu instid0(VALU_DEP_2) | instskip(NEXT) | instid1(VALU_DEP_3)
	v_add_co_u32 v20, vcc_lo, s1, v20
	v_add_co_ci_u32_e32 v21, vcc_lo, s8, v21, vcc_lo
	s_delay_alu instid0(VALU_DEP_3) | instskip(NEXT) | instid1(VALU_DEP_3)
	v_min3_f16 v23, v23, v79, v46
	v_add_co_u32 v46, vcc_lo, v20, v30
	s_delay_alu instid0(VALU_DEP_3)
	v_add_co_ci_u32_e32 v47, vcc_lo, v21, v31, vcc_lo
	s_and_b32 vcc_lo, exec_lo, s0
	global_store_b16 v[46:47], v23, off
	s_cbranch_vccnz .LBB272_115
; %bb.114:
	v_add_co_u32 v22, vcc_lo, v16, v32
	v_add_co_ci_u32_e32 v23, vcc_lo, v17, v33, vcc_lo
	flat_load_u16 v22, v[22:23]
	s_waitcnt vmcnt(0) lgkmcnt(0)
	v_mul_f16_e32 v22, s5, v22
.LBB272_115:
	v_pk_add_f16 v23, v8, v18
	v_pk_max_f16 v46, v78, v78
	v_pk_add_f16 v47, v9, v19
	s_delay_alu instid0(VALU_DEP_2) | instskip(SKIP_1) | instid1(VALU_DEP_2)
	v_pk_min_f16 v23, v46, v23
	v_add_co_u32 v46, vcc_lo, v20, v32
	v_pk_min_f16 v23, v23, v47
	v_add_co_ci_u32_e32 v47, vcc_lo, v21, v33, vcc_lo
	s_and_b32 vcc_lo, exec_lo, s0
	s_delay_alu instid0(VALU_DEP_2) | instskip(NEXT) | instid1(VALU_DEP_1)
	v_lshrrev_b32_e32 v78, 16, v23
	v_min3_f16 v78, v22, v23, v78
	v_dual_mov_b32 v22, 0 :: v_dual_mov_b32 v23, 0
	global_store_b16 v[46:47], v78, off
	s_cbranch_vccnz .LBB272_117
; %bb.116:
	v_add_co_u32 v46, vcc_lo, v16, v34
	v_add_co_ci_u32_e32 v47, vcc_lo, v17, v35, vcc_lo
	flat_load_u16 v23, v[46:47]
	s_waitcnt vmcnt(0) lgkmcnt(0)
	v_mul_f16_e32 v23, s5, v23
.LBB272_117:
	v_pk_add_f16 v46, v10, v18
	v_pk_max_f16 v47, v77, v77
	v_pk_add_f16 v77, v11, v19
	s_delay_alu instid0(VALU_DEP_2) | instskip(NEXT) | instid1(VALU_DEP_1)
	v_pk_min_f16 v46, v47, v46
	v_pk_min_f16 v46, v46, v77
	s_delay_alu instid0(VALU_DEP_1) | instskip(NEXT) | instid1(VALU_DEP_1)
	v_lshrrev_b32_e32 v47, 16, v46
	v_min3_f16 v23, v23, v46, v47
	v_add_co_u32 v46, vcc_lo, v20, v34
	v_add_co_ci_u32_e32 v47, vcc_lo, v21, v35, vcc_lo
	s_and_b32 vcc_lo, exec_lo, s0
	global_store_b16 v[46:47], v23, off
	s_cbranch_vccnz .LBB272_119
; %bb.118:
	v_add_co_u32 v22, vcc_lo, v16, v40
	v_add_co_ci_u32_e32 v23, vcc_lo, v17, v41, vcc_lo
	flat_load_u16 v22, v[22:23]
	s_waitcnt vmcnt(0) lgkmcnt(0)
	v_mul_f16_e32 v22, s5, v22
.LBB272_119:
	v_pk_add_f16 v23, v4, v18
	v_pk_max_f16 v46, v76, v76
	v_pk_add_f16 v47, v5, v19
	s_delay_alu instid0(VALU_DEP_2) | instskip(SKIP_1) | instid1(VALU_DEP_2)
	v_pk_min_f16 v23, v46, v23
	v_add_co_u32 v46, vcc_lo, v20, v40
	v_pk_min_f16 v23, v23, v47
	v_add_co_ci_u32_e32 v47, vcc_lo, v21, v41, vcc_lo
	s_and_b32 vcc_lo, exec_lo, s0
	s_delay_alu instid0(VALU_DEP_2) | instskip(NEXT) | instid1(VALU_DEP_1)
	v_lshrrev_b32_e32 v76, 16, v23
	v_min3_f16 v76, v22, v23, v76
	v_dual_mov_b32 v22, 0 :: v_dual_mov_b32 v23, 0
	global_store_b16 v[46:47], v76, off
	s_cbranch_vccnz .LBB272_121
; %bb.120:
	v_add_co_u32 v46, vcc_lo, v16, v42
	v_add_co_ci_u32_e32 v47, vcc_lo, v17, v43, vcc_lo
	flat_load_u16 v23, v[46:47]
	s_waitcnt vmcnt(0) lgkmcnt(0)
	v_mul_f16_e32 v23, s5, v23
.LBB272_121:
	v_pk_add_f16 v46, v6, v18
	v_pk_max_f16 v47, v75, v75
	v_pk_add_f16 v75, v7, v19
	s_delay_alu instid0(VALU_DEP_2) | instskip(NEXT) | instid1(VALU_DEP_1)
	v_pk_min_f16 v46, v47, v46
	v_pk_min_f16 v46, v46, v75
	s_delay_alu instid0(VALU_DEP_1) | instskip(NEXT) | instid1(VALU_DEP_1)
	v_lshrrev_b32_e32 v47, 16, v46
	v_min3_f16 v23, v23, v46, v47
	v_add_co_u32 v46, vcc_lo, v20, v42
	;; [unrolled: 43-line block ×3, first 2 shown]
	v_add_co_ci_u32_e32 v47, vcc_lo, v21, v37, vcc_lo
	s_and_b32 vcc_lo, exec_lo, s0
	global_store_b16 v[46:47], v23, off
	s_cbranch_vccnz .LBB272_127
; %bb.126:
	v_add_co_u32 v16, vcc_lo, v16, v44
	v_add_co_ci_u32_e32 v17, vcc_lo, v17, v45, vcc_lo
	flat_load_u16 v16, v[16:17]
	s_waitcnt vmcnt(0) lgkmcnt(0)
	v_mul_f16_e32 v22, s5, v16
.LBB272_127:
	v_pk_add_f16 v18, v24, v18
	v_pk_max_f16 v46, v72, v72
	v_pk_add_f16 v19, v25, v19
	v_add_nc_u32_e32 v23, 0xa0, v86
	s_delay_alu instid0(VALU_DEP_3) | instskip(NEXT) | instid1(VALU_DEP_1)
	v_pk_min_f16 v18, v46, v18
	v_pk_min_f16 v46, v18, v19
	v_add_co_u32 v18, vcc_lo, v20, v44
	v_add_co_ci_u32_e32 v19, vcc_lo, v21, v45, vcc_lo
	s_delay_alu instid0(VALU_DEP_3) | instskip(SKIP_1) | instid1(VALU_DEP_2)
	v_lshrrev_b32_e32 v20, 16, v46
	v_mov_b32_e32 v21, 0
	v_min3_f16 v22, v22, v46, v20
	v_mov_b32_e32 v20, 0
	v_mad_i64_i32 v[16:17], null, v23, s4, 0
	global_store_b16 v[18:19], v22, off
	v_lshlrev_b64 v[16:17], 1, v[16:17]
	s_delay_alu instid0(VALU_DEP_1) | instskip(NEXT) | instid1(VALU_DEP_2)
	v_add_co_u32 v16, vcc_lo, s6, v16
	v_add_co_ci_u32_e32 v17, vcc_lo, s7, v17, vcc_lo
	s_and_b32 vcc_lo, exec_lo, s0
	s_cbranch_vccnz .LBB272_129
; %bb.128:
	s_delay_alu instid0(VALU_DEP_2) | instskip(NEXT) | instid1(VALU_DEP_2)
	v_add_co_u32 v18, vcc_lo, v16, v30
	v_add_co_ci_u32_e32 v19, vcc_lo, v17, v31, vcc_lo
	flat_load_u16 v18, v[18:19]
	s_waitcnt vmcnt(0) lgkmcnt(0)
	v_mul_f16_e32 v21, s5, v18
.LBB272_129:
	v_pk_add_f16 v22, v28, v12
	v_pk_max_f16 v46, v71, v71
	v_mad_i64_i32 v[18:19], null, v23, s3, 0
	v_pk_add_f16 v23, v29, v13
	s_delay_alu instid0(VALU_DEP_3) | instskip(NEXT) | instid1(VALU_DEP_3)
	v_pk_min_f16 v22, v46, v22
	v_lshlrev_b64 v[18:19], 1, v[18:19]
	s_delay_alu instid0(VALU_DEP_2) | instskip(NEXT) | instid1(VALU_DEP_2)
	v_pk_min_f16 v22, v22, v23
	v_add_co_u32 v18, vcc_lo, s1, v18
	s_delay_alu instid0(VALU_DEP_2) | instskip(NEXT) | instid1(VALU_DEP_4)
	v_lshrrev_b32_e32 v23, 16, v22
	v_add_co_ci_u32_e32 v19, vcc_lo, s8, v19, vcc_lo
	s_delay_alu instid0(VALU_DEP_2) | instskip(NEXT) | instid1(VALU_DEP_4)
	v_min3_f16 v23, v21, v22, v23
	v_add_co_u32 v21, vcc_lo, v18, v30
	s_delay_alu instid0(VALU_DEP_3)
	v_add_co_ci_u32_e32 v22, vcc_lo, v19, v31, vcc_lo
	s_and_b32 vcc_lo, exec_lo, s0
	global_store_b16 v[21:22], v23, off
	s_cbranch_vccnz .LBB272_131
; %bb.130:
	v_add_co_u32 v20, vcc_lo, v16, v32
	v_add_co_ci_u32_e32 v21, vcc_lo, v17, v33, vcc_lo
	flat_load_u16 v20, v[20:21]
	s_waitcnt vmcnt(0) lgkmcnt(0)
	v_mul_f16_e32 v20, s5, v20
.LBB272_131:
	v_pk_add_f16 v21, v8, v12
	v_pk_max_f16 v22, v70, v70
	v_pk_add_f16 v23, v9, v13
	s_delay_alu instid0(VALU_DEP_2) | instskip(SKIP_1) | instid1(VALU_DEP_2)
	v_pk_min_f16 v21, v22, v21
	v_add_co_u32 v22, vcc_lo, v18, v32
	v_pk_min_f16 v21, v21, v23
	v_add_co_ci_u32_e32 v23, vcc_lo, v19, v33, vcc_lo
	s_and_b32 vcc_lo, exec_lo, s0
	s_delay_alu instid0(VALU_DEP_2) | instskip(NEXT) | instid1(VALU_DEP_1)
	v_lshrrev_b32_e32 v46, 16, v21
	v_min3_f16 v46, v20, v21, v46
	v_dual_mov_b32 v20, 0 :: v_dual_mov_b32 v21, 0
	global_store_b16 v[22:23], v46, off
	s_cbranch_vccnz .LBB272_133
; %bb.132:
	v_add_co_u32 v21, vcc_lo, v16, v34
	v_add_co_ci_u32_e32 v22, vcc_lo, v17, v35, vcc_lo
	flat_load_u16 v21, v[21:22]
	s_waitcnt vmcnt(0) lgkmcnt(0)
	v_mul_f16_e32 v21, s5, v21
.LBB272_133:
	v_pk_add_f16 v22, v10, v12
	v_pk_max_f16 v23, v69, v69
	v_pk_add_f16 v46, v11, v13
	s_delay_alu instid0(VALU_DEP_2) | instskip(NEXT) | instid1(VALU_DEP_1)
	v_pk_min_f16 v22, v23, v22
	v_pk_min_f16 v22, v22, v46
	s_delay_alu instid0(VALU_DEP_1) | instskip(NEXT) | instid1(VALU_DEP_1)
	v_lshrrev_b32_e32 v23, 16, v22
	v_min3_f16 v23, v21, v22, v23
	v_add_co_u32 v21, vcc_lo, v18, v34
	v_add_co_ci_u32_e32 v22, vcc_lo, v19, v35, vcc_lo
	s_and_b32 vcc_lo, exec_lo, s0
	global_store_b16 v[21:22], v23, off
	s_cbranch_vccnz .LBB272_135
; %bb.134:
	v_add_co_u32 v20, vcc_lo, v16, v40
	v_add_co_ci_u32_e32 v21, vcc_lo, v17, v41, vcc_lo
	flat_load_u16 v20, v[20:21]
	s_waitcnt vmcnt(0) lgkmcnt(0)
	v_mul_f16_e32 v20, s5, v20
.LBB272_135:
	v_pk_add_f16 v21, v4, v12
	v_pk_max_f16 v22, v68, v68
	v_pk_add_f16 v23, v5, v13
	s_delay_alu instid0(VALU_DEP_2) | instskip(SKIP_1) | instid1(VALU_DEP_2)
	v_pk_min_f16 v21, v22, v21
	v_add_co_u32 v22, vcc_lo, v18, v40
	v_pk_min_f16 v21, v21, v23
	v_add_co_ci_u32_e32 v23, vcc_lo, v19, v41, vcc_lo
	s_and_b32 vcc_lo, exec_lo, s0
	s_delay_alu instid0(VALU_DEP_2) | instskip(NEXT) | instid1(VALU_DEP_1)
	v_lshrrev_b32_e32 v46, 16, v21
	v_min3_f16 v46, v20, v21, v46
	v_dual_mov_b32 v20, 0 :: v_dual_mov_b32 v21, 0
	global_store_b16 v[22:23], v46, off
	s_cbranch_vccnz .LBB272_137
; %bb.136:
	v_add_co_u32 v21, vcc_lo, v16, v42
	v_add_co_ci_u32_e32 v22, vcc_lo, v17, v43, vcc_lo
	flat_load_u16 v21, v[21:22]
	s_waitcnt vmcnt(0) lgkmcnt(0)
	v_mul_f16_e32 v21, s5, v21
.LBB272_137:
	v_pk_add_f16 v22, v6, v12
	v_pk_max_f16 v23, v67, v67
	v_pk_add_f16 v46, v7, v13
	s_delay_alu instid0(VALU_DEP_2) | instskip(NEXT) | instid1(VALU_DEP_1)
	v_pk_min_f16 v22, v23, v22
	v_pk_min_f16 v22, v22, v46
	s_delay_alu instid0(VALU_DEP_1) | instskip(NEXT) | instid1(VALU_DEP_1)
	v_lshrrev_b32_e32 v23, 16, v22
	v_min3_f16 v23, v21, v22, v23
	v_add_co_u32 v21, vcc_lo, v18, v42
	;; [unrolled: 43-line block ×3, first 2 shown]
	v_add_co_ci_u32_e32 v22, vcc_lo, v19, v37, vcc_lo
	s_and_b32 vcc_lo, exec_lo, s0
	global_store_b16 v[21:22], v23, off
	s_cbranch_vccnz .LBB272_143
; %bb.142:
	v_add_co_u32 v16, vcc_lo, v16, v44
	v_add_co_ci_u32_e32 v17, vcc_lo, v17, v45, vcc_lo
	flat_load_u16 v16, v[16:17]
	s_waitcnt vmcnt(0) lgkmcnt(0)
	v_mul_f16_e32 v20, s5, v16
.LBB272_143:
	v_add_nc_u32_e32 v16, 0xc0, v86
	v_pk_add_f16 v12, v24, v12
	v_pk_max_f16 v17, v64, v64
	v_pk_add_f16 v13, v25, v13
	s_delay_alu instid0(VALU_DEP_4) | instskip(NEXT) | instid1(VALU_DEP_3)
	v_mad_i64_i32 v[21:22], null, v16, s4, 0
	v_pk_min_f16 v12, v17, v12
	s_delay_alu instid0(VALU_DEP_1) | instskip(NEXT) | instid1(VALU_DEP_3)
	v_pk_min_f16 v17, v12, v13
	v_lshlrev_b64 v[12:13], 1, v[21:22]
	v_add_co_u32 v21, vcc_lo, v18, v44
	v_add_co_ci_u32_e32 v22, vcc_lo, v19, v45, vcc_lo
	v_mov_b32_e32 v19, 0
	v_lshrrev_b32_e32 v18, 16, v17
	v_add_co_u32 v12, vcc_lo, s6, v12
	v_add_co_ci_u32_e32 v13, vcc_lo, s7, v13, vcc_lo
	s_delay_alu instid0(VALU_DEP_3)
	v_min3_f16 v17, v20, v17, v18
	v_mov_b32_e32 v18, 0
	s_and_b32 vcc_lo, exec_lo, s0
	global_store_b16 v[21:22], v17, off
	s_cbranch_vccnz .LBB272_145
; %bb.144:
	v_add_co_u32 v19, vcc_lo, v12, v30
	v_add_co_ci_u32_e32 v20, vcc_lo, v13, v31, vcc_lo
	flat_load_u16 v17, v[19:20]
	s_waitcnt vmcnt(0) lgkmcnt(0)
	v_mul_f16_e32 v19, s5, v17
.LBB272_145:
	v_pk_add_f16 v17, v28, v14
	v_pk_max_f16 v22, v63, v63
	v_mad_i64_i32 v[20:21], null, v16, s3, 0
	v_pk_add_f16 v16, v29, v15
	s_delay_alu instid0(VALU_DEP_3) | instskip(NEXT) | instid1(VALU_DEP_1)
	v_pk_min_f16 v17, v22, v17
	v_pk_min_f16 v22, v17, v16
	s_delay_alu instid0(VALU_DEP_4) | instskip(NEXT) | instid1(VALU_DEP_2)
	v_lshlrev_b64 v[16:17], 1, v[20:21]
	v_lshrrev_b32_e32 v20, 16, v22
	s_delay_alu instid0(VALU_DEP_2) | instskip(NEXT) | instid1(VALU_DEP_3)
	v_add_co_u32 v16, vcc_lo, s1, v16
	v_add_co_ci_u32_e32 v17, vcc_lo, s8, v17, vcc_lo
	s_delay_alu instid0(VALU_DEP_3) | instskip(NEXT) | instid1(VALU_DEP_3)
	v_min3_f16 v21, v19, v22, v20
	v_add_co_u32 v19, vcc_lo, v16, v30
	s_delay_alu instid0(VALU_DEP_3)
	v_add_co_ci_u32_e32 v20, vcc_lo, v17, v31, vcc_lo
	s_and_b32 vcc_lo, exec_lo, s0
	global_store_b16 v[19:20], v21, off
	s_cbranch_vccnz .LBB272_147
; %bb.146:
	v_add_co_u32 v18, vcc_lo, v12, v32
	v_add_co_ci_u32_e32 v19, vcc_lo, v13, v33, vcc_lo
	flat_load_u16 v18, v[18:19]
	s_waitcnt vmcnt(0) lgkmcnt(0)
	v_mul_f16_e32 v18, s5, v18
.LBB272_147:
	v_pk_add_f16 v19, v8, v14
	v_pk_max_f16 v20, v62, v62
	v_pk_add_f16 v21, v9, v15
	s_delay_alu instid0(VALU_DEP_2) | instskip(SKIP_1) | instid1(VALU_DEP_2)
	v_pk_min_f16 v19, v20, v19
	v_add_co_u32 v20, vcc_lo, v16, v32
	v_pk_min_f16 v19, v19, v21
	v_add_co_ci_u32_e32 v21, vcc_lo, v17, v33, vcc_lo
	s_and_b32 vcc_lo, exec_lo, s0
	s_delay_alu instid0(VALU_DEP_2) | instskip(NEXT) | instid1(VALU_DEP_1)
	v_lshrrev_b32_e32 v22, 16, v19
	v_min3_f16 v22, v18, v19, v22
	v_dual_mov_b32 v18, 0 :: v_dual_mov_b32 v19, 0
	global_store_b16 v[20:21], v22, off
	s_cbranch_vccnz .LBB272_149
; %bb.148:
	v_add_co_u32 v19, vcc_lo, v12, v34
	v_add_co_ci_u32_e32 v20, vcc_lo, v13, v35, vcc_lo
	flat_load_u16 v19, v[19:20]
	s_waitcnt vmcnt(0) lgkmcnt(0)
	v_mul_f16_e32 v19, s5, v19
.LBB272_149:
	v_pk_add_f16 v20, v10, v14
	v_pk_max_f16 v21, v61, v61
	v_pk_add_f16 v22, v11, v15
	s_delay_alu instid0(VALU_DEP_2) | instskip(NEXT) | instid1(VALU_DEP_1)
	v_pk_min_f16 v20, v21, v20
	v_pk_min_f16 v20, v20, v22
	s_delay_alu instid0(VALU_DEP_1) | instskip(NEXT) | instid1(VALU_DEP_1)
	v_lshrrev_b32_e32 v21, 16, v20
	v_min3_f16 v21, v19, v20, v21
	v_add_co_u32 v19, vcc_lo, v16, v34
	v_add_co_ci_u32_e32 v20, vcc_lo, v17, v35, vcc_lo
	s_and_b32 vcc_lo, exec_lo, s0
	global_store_b16 v[19:20], v21, off
	s_cbranch_vccnz .LBB272_151
; %bb.150:
	v_add_co_u32 v18, vcc_lo, v12, v40
	v_add_co_ci_u32_e32 v19, vcc_lo, v13, v41, vcc_lo
	flat_load_u16 v18, v[18:19]
	s_waitcnt vmcnt(0) lgkmcnt(0)
	v_mul_f16_e32 v18, s5, v18
.LBB272_151:
	v_pk_add_f16 v19, v4, v14
	v_pk_max_f16 v20, v60, v60
	v_pk_add_f16 v21, v5, v15
	s_delay_alu instid0(VALU_DEP_2) | instskip(SKIP_1) | instid1(VALU_DEP_2)
	v_pk_min_f16 v19, v20, v19
	v_add_co_u32 v20, vcc_lo, v16, v40
	v_pk_min_f16 v19, v19, v21
	v_add_co_ci_u32_e32 v21, vcc_lo, v17, v41, vcc_lo
	s_and_b32 vcc_lo, exec_lo, s0
	s_delay_alu instid0(VALU_DEP_2) | instskip(NEXT) | instid1(VALU_DEP_1)
	v_lshrrev_b32_e32 v22, 16, v19
	v_min3_f16 v22, v18, v19, v22
	v_dual_mov_b32 v18, 0 :: v_dual_mov_b32 v19, 0
	global_store_b16 v[20:21], v22, off
	s_cbranch_vccnz .LBB272_153
; %bb.152:
	v_add_co_u32 v19, vcc_lo, v12, v42
	v_add_co_ci_u32_e32 v20, vcc_lo, v13, v43, vcc_lo
	flat_load_u16 v19, v[19:20]
	s_waitcnt vmcnt(0) lgkmcnt(0)
	v_mul_f16_e32 v19, s5, v19
.LBB272_153:
	v_pk_add_f16 v20, v6, v14
	v_pk_max_f16 v21, v59, v59
	v_pk_add_f16 v22, v7, v15
	s_delay_alu instid0(VALU_DEP_2) | instskip(NEXT) | instid1(VALU_DEP_1)
	v_pk_min_f16 v20, v21, v20
	v_pk_min_f16 v20, v20, v22
	s_delay_alu instid0(VALU_DEP_1) | instskip(NEXT) | instid1(VALU_DEP_1)
	v_lshrrev_b32_e32 v21, 16, v20
	v_min3_f16 v21, v19, v20, v21
	v_add_co_u32 v19, vcc_lo, v16, v42
	;; [unrolled: 43-line block ×3, first 2 shown]
	v_add_co_ci_u32_e32 v20, vcc_lo, v17, v37, vcc_lo
	s_and_b32 vcc_lo, exec_lo, s0
	global_store_b16 v[19:20], v21, off
	s_cbranch_vccnz .LBB272_159
; %bb.158:
	v_add_co_u32 v12, vcc_lo, v12, v44
	v_add_co_ci_u32_e32 v13, vcc_lo, v13, v45, vcc_lo
	flat_load_u16 v12, v[12:13]
	s_waitcnt vmcnt(0) lgkmcnt(0)
	v_mul_f16_e32 v18, s5, v12
.LBB272_159:
	v_pk_add_f16 v14, v24, v14
	v_pk_max_f16 v20, v56, v56
	v_pk_add_f16 v15, v25, v15
	v_add_nc_u32_e32 v19, 0xe0, v86
	s_delay_alu instid0(VALU_DEP_3) | instskip(NEXT) | instid1(VALU_DEP_1)
	v_pk_min_f16 v14, v20, v14
	v_pk_min_f16 v20, v14, v15
	v_add_co_u32 v14, vcc_lo, v16, v44
	v_add_co_ci_u32_e32 v15, vcc_lo, v17, v45, vcc_lo
	s_delay_alu instid0(VALU_DEP_3) | instskip(SKIP_1) | instid1(VALU_DEP_2)
	v_lshrrev_b32_e32 v16, 16, v20
	v_mov_b32_e32 v17, 0
	v_min3_f16 v18, v18, v20, v16
	v_mov_b32_e32 v16, 0
	v_mad_i64_i32 v[12:13], null, v19, s4, 0
	global_store_b16 v[14:15], v18, off
	v_lshlrev_b64 v[12:13], 1, v[12:13]
	s_delay_alu instid0(VALU_DEP_1) | instskip(NEXT) | instid1(VALU_DEP_2)
	v_add_co_u32 v12, vcc_lo, s6, v12
	v_add_co_ci_u32_e32 v13, vcc_lo, s7, v13, vcc_lo
	s_and_b32 vcc_lo, exec_lo, s0
	s_cbranch_vccnz .LBB272_161
; %bb.160:
	s_delay_alu instid0(VALU_DEP_2) | instskip(NEXT) | instid1(VALU_DEP_2)
	v_add_co_u32 v14, vcc_lo, v12, v30
	v_add_co_ci_u32_e32 v15, vcc_lo, v13, v31, vcc_lo
	flat_load_u16 v14, v[14:15]
	s_waitcnt vmcnt(0) lgkmcnt(0)
	v_mul_f16_e32 v17, s5, v14
.LBB272_161:
	v_pk_add_f16 v18, v28, v26
	v_pk_max_f16 v20, v55, v55
	v_mad_i64_i32 v[14:15], null, v19, s3, 0
	v_pk_add_f16 v19, v29, v27
	s_delay_alu instid0(VALU_DEP_3) | instskip(NEXT) | instid1(VALU_DEP_3)
	v_pk_min_f16 v18, v20, v18
	v_lshlrev_b64 v[14:15], 1, v[14:15]
	s_delay_alu instid0(VALU_DEP_2) | instskip(NEXT) | instid1(VALU_DEP_2)
	v_pk_min_f16 v18, v18, v19
	v_add_co_u32 v14, vcc_lo, s1, v14
	s_delay_alu instid0(VALU_DEP_2) | instskip(NEXT) | instid1(VALU_DEP_4)
	v_lshrrev_b32_e32 v19, 16, v18
	v_add_co_ci_u32_e32 v15, vcc_lo, s8, v15, vcc_lo
	s_delay_alu instid0(VALU_DEP_2) | instskip(NEXT) | instid1(VALU_DEP_4)
	v_min3_f16 v19, v17, v18, v19
	v_add_co_u32 v17, vcc_lo, v14, v30
	s_delay_alu instid0(VALU_DEP_3)
	v_add_co_ci_u32_e32 v18, vcc_lo, v15, v31, vcc_lo
	s_and_b32 vcc_lo, exec_lo, s0
	global_store_b16 v[17:18], v19, off
	s_cbranch_vccnz .LBB272_163
; %bb.162:
	v_add_co_u32 v16, vcc_lo, v12, v32
	v_add_co_ci_u32_e32 v17, vcc_lo, v13, v33, vcc_lo
	flat_load_u16 v16, v[16:17]
	s_waitcnt vmcnt(0) lgkmcnt(0)
	v_mul_f16_e32 v16, s5, v16
.LBB272_163:
	v_pk_add_f16 v8, v8, v26
	v_pk_max_f16 v17, v54, v54
	v_pk_add_f16 v9, v9, v27
	s_delay_alu instid0(VALU_DEP_2) | instskip(SKIP_2) | instid1(VALU_DEP_3)
	v_pk_min_f16 v8, v17, v8
	v_add_co_u32 v17, vcc_lo, v14, v32
	v_add_co_ci_u32_e32 v18, vcc_lo, v15, v33, vcc_lo
	v_pk_min_f16 v8, v8, v9
	s_and_b32 vcc_lo, exec_lo, s0
	s_delay_alu instid0(VALU_DEP_1) | instskip(NEXT) | instid1(VALU_DEP_1)
	v_lshrrev_b32_e32 v9, 16, v8
	v_min3_f16 v16, v16, v8, v9
	v_dual_mov_b32 v8, 0 :: v_dual_mov_b32 v9, 0
	global_store_b16 v[17:18], v16, off
	s_cbranch_vccnz .LBB272_165
; %bb.164:
	v_add_co_u32 v16, vcc_lo, v12, v34
	v_add_co_ci_u32_e32 v17, vcc_lo, v13, v35, vcc_lo
	flat_load_u16 v9, v[16:17]
	s_waitcnt vmcnt(0) lgkmcnt(0)
	v_mul_f16_e32 v9, s5, v9
.LBB272_165:
	v_pk_add_f16 v10, v10, v26
	v_pk_max_f16 v16, v53, v53
	v_pk_add_f16 v11, v11, v27
	s_delay_alu instid0(VALU_DEP_2) | instskip(NEXT) | instid1(VALU_DEP_1)
	v_pk_min_f16 v10, v16, v10
	v_pk_min_f16 v10, v10, v11
	s_delay_alu instid0(VALU_DEP_1) | instskip(NEXT) | instid1(VALU_DEP_1)
	v_lshrrev_b32_e32 v11, 16, v10
	v_min3_f16 v11, v9, v10, v11
	v_add_co_u32 v9, vcc_lo, v14, v34
	v_add_co_ci_u32_e32 v10, vcc_lo, v15, v35, vcc_lo
	s_and_b32 vcc_lo, exec_lo, s0
	global_store_b16 v[9:10], v11, off
	s_cbranch_vccnz .LBB272_167
; %bb.166:
	v_add_co_u32 v8, vcc_lo, v12, v40
	v_add_co_ci_u32_e32 v9, vcc_lo, v13, v41, vcc_lo
	flat_load_u16 v8, v[8:9]
	s_waitcnt vmcnt(0) lgkmcnt(0)
	v_mul_f16_e32 v8, s5, v8
.LBB272_167:
	v_pk_add_f16 v4, v4, v26
	v_pk_max_f16 v9, v52, v52
	v_pk_add_f16 v5, v5, v27
	s_delay_alu instid0(VALU_DEP_2) | instskip(SKIP_2) | instid1(VALU_DEP_3)
	v_pk_min_f16 v4, v9, v4
	v_add_co_u32 v9, vcc_lo, v14, v40
	v_add_co_ci_u32_e32 v10, vcc_lo, v15, v41, vcc_lo
	v_pk_min_f16 v4, v4, v5
	s_and_b32 vcc_lo, exec_lo, s0
	s_delay_alu instid0(VALU_DEP_1) | instskip(NEXT) | instid1(VALU_DEP_1)
	v_lshrrev_b32_e32 v5, 16, v4
	v_min3_f16 v8, v8, v4, v5
	v_dual_mov_b32 v4, 0 :: v_dual_mov_b32 v5, 0
	global_store_b16 v[9:10], v8, off
	s_cbranch_vccnz .LBB272_169
; %bb.168:
	v_add_co_u32 v8, vcc_lo, v12, v42
	v_add_co_ci_u32_e32 v9, vcc_lo, v13, v43, vcc_lo
	flat_load_u16 v5, v[8:9]
	s_waitcnt vmcnt(0) lgkmcnt(0)
	v_mul_f16_e32 v5, s5, v5
.LBB272_169:
	v_pk_add_f16 v6, v6, v26
	v_pk_max_f16 v8, v51, v51
	v_pk_add_f16 v7, v7, v27
	s_delay_alu instid0(VALU_DEP_2) | instskip(NEXT) | instid1(VALU_DEP_1)
	v_pk_min_f16 v6, v8, v6
	v_pk_min_f16 v6, v6, v7
	s_delay_alu instid0(VALU_DEP_1) | instskip(NEXT) | instid1(VALU_DEP_1)
	v_lshrrev_b32_e32 v7, 16, v6
	v_min3_f16 v7, v5, v6, v7
	v_add_co_u32 v5, vcc_lo, v14, v42
	v_add_co_ci_u32_e32 v6, vcc_lo, v15, v43, vcc_lo
	s_and_b32 vcc_lo, exec_lo, s0
	global_store_b16 v[5:6], v7, off
	s_cbranch_vccnz .LBB272_171
; %bb.170:
	v_add_co_u32 v4, vcc_lo, v12, v38
	v_add_co_ci_u32_e32 v5, vcc_lo, v13, v39, vcc_lo
	flat_load_u16 v4, v[4:5]
	s_waitcnt vmcnt(0) lgkmcnt(0)
	v_mul_f16_e32 v4, s5, v4
.LBB272_171:
	v_pk_add_f16 v0, v0, v26
	v_pk_max_f16 v5, v50, v50
	v_pk_add_f16 v2, v2, v26
	v_pk_max_f16 v6, v49, v49
	v_pk_add_f16 v1, v1, v27
	v_pk_add_f16 v3, v3, v27
	v_pk_min_f16 v0, v5, v0
	s_delay_alu instid0(VALU_DEP_4) | instskip(NEXT) | instid1(VALU_DEP_2)
	v_pk_min_f16 v2, v6, v2
	v_pk_min_f16 v0, v0, v1
	s_delay_alu instid0(VALU_DEP_2) | instskip(NEXT) | instid1(VALU_DEP_2)
	v_pk_min_f16 v1, v2, v3
	v_lshrrev_b32_e32 v2, 16, v0
	s_delay_alu instid0(VALU_DEP_2) | instskip(NEXT) | instid1(VALU_DEP_2)
	v_lshrrev_b32_e32 v3, 16, v1
	v_min3_f16 v4, v4, v0, v2
	s_delay_alu instid0(VALU_DEP_2) | instskip(SKIP_2) | instid1(VALU_DEP_3)
	v_min_f16_e32 v0, v1, v3
	v_add_co_u32 v1, vcc_lo, v14, v38
	v_add_co_ci_u32_e32 v2, vcc_lo, v15, v39, vcc_lo
	v_max_f16_e32 v0, v0, v0
	s_mov_b32 vcc_lo, s2
	global_store_b16 v[1:2], v4, off
	s_cbranch_vccz .LBB272_174
; %bb.172:
	v_add_co_u32 v1, vcc_lo, v14, v36
	v_min_f16_e32 v3, 0, v0
	v_add_co_ci_u32_e32 v2, vcc_lo, v15, v37, vcc_lo
	s_mov_b32 s0, 0
	global_store_b16 v[1:2], v3, off
	s_cbranch_execz .LBB272_175
; %bb.173:
	v_mov_b32_e32 v0, s0
	s_branch .LBB272_176
.LBB272_174:
	s_mov_b32 s0, -1
.LBB272_175:
	v_add_co_u32 v1, vcc_lo, v12, v36
	v_add_co_ci_u32_e32 v2, vcc_lo, v13, v37, vcc_lo
	flat_load_u16 v1, v[1:2]
	s_waitcnt vmcnt(0) lgkmcnt(0)
	v_mul_f16_e32 v3, s5, v1
	v_add_co_u32 v1, vcc_lo, v14, v36
	v_add_co_ci_u32_e32 v2, vcc_lo, v15, v37, vcc_lo
	s_delay_alu instid0(VALU_DEP_3)
	v_min_f16_e32 v0, v3, v0
	v_add_co_u32 v3, vcc_lo, v12, v44
	v_add_co_ci_u32_e32 v4, vcc_lo, v13, v45, vcc_lo
	global_store_b16 v[1:2], v0, off
	flat_load_u16 v0, v[3:4]
	s_waitcnt vmcnt(0) lgkmcnt(0)
	v_mul_f16_e32 v0, s5, v0
.LBB272_176:
	v_pk_add_f16 v1, v24, v26
	v_pk_max_f16 v2, v48, v48
	v_pk_add_f16 v3, v25, v27
	s_delay_alu instid0(VALU_DEP_2) | instskip(NEXT) | instid1(VALU_DEP_1)
	v_pk_min_f16 v1, v2, v1
	v_pk_min_f16 v1, v1, v3
	s_delay_alu instid0(VALU_DEP_1) | instskip(NEXT) | instid1(VALU_DEP_1)
	v_lshrrev_b32_e32 v2, 16, v1
	v_min3_f16 v2, v0, v1, v2
	v_add_co_u32 v0, vcc_lo, v14, v44
	v_add_co_ci_u32_e32 v1, vcc_lo, v15, v45, vcc_lo
	global_store_b16 v[0:1], v2, off
	s_nop 0
	s_sendmsg sendmsg(MSG_DEALLOC_VGPRS)
	s_endpgm
	.section	.rodata,"a",@progbits
	.p2align	6, 0x0
	.amdhsa_kernel _ZN12_GLOBAL__N_120geam_min_plus_kernelIDF16_Dv2_DF16_S1_Li8ELi32ELi64ELi256ELi4ELi64ELi4ELi64ELi4ELc78ELc84ELb0ELb0ELb1EDF16_KDF16_DF16_EEviiiT16_PT17_ilS5_ilS3_S5_ilPT18_ili26rocblas_geam_ex_operation_
		.amdhsa_group_segment_fixed_size 5120
		.amdhsa_private_segment_fixed_size 0
		.amdhsa_kernarg_size 128
		.amdhsa_user_sgpr_count 14
		.amdhsa_user_sgpr_dispatch_ptr 0
		.amdhsa_user_sgpr_queue_ptr 0
		.amdhsa_user_sgpr_kernarg_segment_ptr 1
		.amdhsa_user_sgpr_dispatch_id 0
		.amdhsa_user_sgpr_private_segment_size 0
		.amdhsa_wavefront_size32 1
		.amdhsa_uses_dynamic_stack 0
		.amdhsa_enable_private_segment 0
		.amdhsa_system_sgpr_workgroup_id_x 1
		.amdhsa_system_sgpr_workgroup_id_y 0
		.amdhsa_system_sgpr_workgroup_id_z 1
		.amdhsa_system_sgpr_workgroup_info 0
		.amdhsa_system_vgpr_workitem_id 1
		.amdhsa_next_free_vgpr 153
		.amdhsa_next_free_sgpr 27
		.amdhsa_reserve_vcc 1
		.amdhsa_float_round_mode_32 0
		.amdhsa_float_round_mode_16_64 0
		.amdhsa_float_denorm_mode_32 3
		.amdhsa_float_denorm_mode_16_64 3
		.amdhsa_dx10_clamp 1
		.amdhsa_ieee_mode 1
		.amdhsa_fp16_overflow 0
		.amdhsa_workgroup_processor_mode 1
		.amdhsa_memory_ordered 1
		.amdhsa_forward_progress 0
		.amdhsa_shared_vgpr_count 0
		.amdhsa_exception_fp_ieee_invalid_op 0
		.amdhsa_exception_fp_denorm_src 0
		.amdhsa_exception_fp_ieee_div_zero 0
		.amdhsa_exception_fp_ieee_overflow 0
		.amdhsa_exception_fp_ieee_underflow 0
		.amdhsa_exception_fp_ieee_inexact 0
		.amdhsa_exception_int_div_zero 0
	.end_amdhsa_kernel
	.section	.text._ZN12_GLOBAL__N_120geam_min_plus_kernelIDF16_Dv2_DF16_S1_Li8ELi32ELi64ELi256ELi4ELi64ELi4ELi64ELi4ELc78ELc84ELb0ELb0ELb1EDF16_KDF16_DF16_EEviiiT16_PT17_ilS5_ilS3_S5_ilPT18_ili26rocblas_geam_ex_operation_,"axG",@progbits,_ZN12_GLOBAL__N_120geam_min_plus_kernelIDF16_Dv2_DF16_S1_Li8ELi32ELi64ELi256ELi4ELi64ELi4ELi64ELi4ELc78ELc84ELb0ELb0ELb1EDF16_KDF16_DF16_EEviiiT16_PT17_ilS5_ilS3_S5_ilPT18_ili26rocblas_geam_ex_operation_,comdat
.Lfunc_end272:
	.size	_ZN12_GLOBAL__N_120geam_min_plus_kernelIDF16_Dv2_DF16_S1_Li8ELi32ELi64ELi256ELi4ELi64ELi4ELi64ELi4ELc78ELc84ELb0ELb0ELb1EDF16_KDF16_DF16_EEviiiT16_PT17_ilS5_ilS3_S5_ilPT18_ili26rocblas_geam_ex_operation_, .Lfunc_end272-_ZN12_GLOBAL__N_120geam_min_plus_kernelIDF16_Dv2_DF16_S1_Li8ELi32ELi64ELi256ELi4ELi64ELi4ELi64ELi4ELc78ELc84ELb0ELb0ELb1EDF16_KDF16_DF16_EEviiiT16_PT17_ilS5_ilS3_S5_ilPT18_ili26rocblas_geam_ex_operation_
                                        ; -- End function
	.section	.AMDGPU.csdata,"",@progbits
; Kernel info:
; codeLenInByte = 18604
; NumSgprs: 29
; NumVgprs: 153
; ScratchSize: 0
; MemoryBound: 0
; FloatMode: 240
; IeeeMode: 1
; LDSByteSize: 5120 bytes/workgroup (compile time only)
; SGPRBlocks: 3
; VGPRBlocks: 19
; NumSGPRsForWavesPerEU: 29
; NumVGPRsForWavesPerEU: 153
; Occupancy: 9
; WaveLimiterHint : 1
; COMPUTE_PGM_RSRC2:SCRATCH_EN: 0
; COMPUTE_PGM_RSRC2:USER_SGPR: 14
; COMPUTE_PGM_RSRC2:TRAP_HANDLER: 0
; COMPUTE_PGM_RSRC2:TGID_X_EN: 1
; COMPUTE_PGM_RSRC2:TGID_Y_EN: 0
; COMPUTE_PGM_RSRC2:TGID_Z_EN: 1
; COMPUTE_PGM_RSRC2:TIDIG_COMP_CNT: 1
	.section	.text._ZN12_GLOBAL__N_120geam_min_plus_kernelIDF16_Dv2_DF16_S1_Li8ELi32ELi64ELi256ELi4ELi64ELi4ELi64ELi4ELc78ELc84ELb0ELb1ELb1EPKDF16_S2_DF16_EEviiiT16_PT17_ilS6_ilS4_S6_ilPT18_ili26rocblas_geam_ex_operation_,"axG",@progbits,_ZN12_GLOBAL__N_120geam_min_plus_kernelIDF16_Dv2_DF16_S1_Li8ELi32ELi64ELi256ELi4ELi64ELi4ELi64ELi4ELc78ELc84ELb0ELb1ELb1EPKDF16_S2_DF16_EEviiiT16_PT17_ilS6_ilS4_S6_ilPT18_ili26rocblas_geam_ex_operation_,comdat
	.globl	_ZN12_GLOBAL__N_120geam_min_plus_kernelIDF16_Dv2_DF16_S1_Li8ELi32ELi64ELi256ELi4ELi64ELi4ELi64ELi4ELc78ELc84ELb0ELb1ELb1EPKDF16_S2_DF16_EEviiiT16_PT17_ilS6_ilS4_S6_ilPT18_ili26rocblas_geam_ex_operation_ ; -- Begin function _ZN12_GLOBAL__N_120geam_min_plus_kernelIDF16_Dv2_DF16_S1_Li8ELi32ELi64ELi256ELi4ELi64ELi4ELi64ELi4ELc78ELc84ELb0ELb1ELb1EPKDF16_S2_DF16_EEviiiT16_PT17_ilS6_ilS4_S6_ilPT18_ili26rocblas_geam_ex_operation_
	.p2align	8
	.type	_ZN12_GLOBAL__N_120geam_min_plus_kernelIDF16_Dv2_DF16_S1_Li8ELi32ELi64ELi256ELi4ELi64ELi4ELi64ELi4ELc78ELc84ELb0ELb1ELb1EPKDF16_S2_DF16_EEviiiT16_PT17_ilS6_ilS4_S6_ilPT18_ili26rocblas_geam_ex_operation_,@function
_ZN12_GLOBAL__N_120geam_min_plus_kernelIDF16_Dv2_DF16_S1_Li8ELi32ELi64ELi256ELi4ELi64ELi4ELi64ELi4ELc78ELc84ELb0ELb1ELb1EPKDF16_S2_DF16_EEviiiT16_PT17_ilS6_ilS4_S6_ilPT18_ili26rocblas_geam_ex_operation_: ; @_ZN12_GLOBAL__N_120geam_min_plus_kernelIDF16_Dv2_DF16_S1_Li8ELi32ELi64ELi256ELi4ELi64ELi4ELi64ELi4ELc78ELc84ELb0ELb1ELb1EPKDF16_S2_DF16_EEviiiT16_PT17_ilS6_ilS4_S6_ilPT18_ili26rocblas_geam_ex_operation_
; %bb.0:
	s_clause 0x1
	s_load_b128 s[16:19], s[0:1], 0x10
	s_load_b128 s[4:7], s[0:1], 0x40
	s_mov_b32 s20, s15
	s_mov_b32 s21, 0
	v_mov_b32_e32 v1, 0
	s_lshl_b64 s[2:3], s[20:21], 1
	s_load_b128 s[8:11], s[0:1], 0x28
	s_mov_b64 s[22:23], 0
	s_mov_b64 s[24:25], 0
	s_waitcnt lgkmcnt(0)
	s_add_u32 s12, s16, s2
	s_addc_u32 s13, s17, s3
	s_add_u32 s2, s6, s2
	global_load_u16 v46, v1, s[12:13]
	s_addc_u32 s3, s7, s3
	global_load_u16 v48, v1, s[2:3]
	s_load_b64 s[12:13], s[0:1], 0x50
	s_waitcnt vmcnt(1)
	v_cmp_eq_f16_e64 s3, 0, v46
	v_cmp_neq_f16_e64 s2, 0, v46
	s_delay_alu instid0(VALU_DEP_2)
	s_and_b32 vcc_lo, exec_lo, s3
	s_cbranch_vccnz .LBB273_2
; %bb.1:
	s_mul_i32 s6, s20, s9
	s_mul_hi_u32 s7, s20, s8
	s_delay_alu instid0(SALU_CYCLE_1) | instskip(SKIP_1) | instid1(SALU_CYCLE_1)
	s_add_i32 s7, s7, s6
	s_mul_i32 s6, s20, s8
	s_lshl_b64 s[6:7], s[6:7], 1
	s_delay_alu instid0(SALU_CYCLE_1)
	s_add_u32 s24, s18, s6
	s_addc_u32 s25, s19, s7
.LBB273_2:
	s_delay_alu instid0(VALU_DEP_1)
	s_and_not1_b32 vcc_lo, exec_lo, s2
	s_cbranch_vccnz .LBB273_4
; %bb.3:
	s_mul_i32 s2, s20, s5
	s_mul_hi_u32 s5, s20, s4
	s_mul_i32 s4, s20, s4
	s_add_i32 s5, s5, s2
	s_delay_alu instid0(SALU_CYCLE_1) | instskip(NEXT) | instid1(SALU_CYCLE_1)
	s_lshl_b64 s[4:5], s[4:5], 1
	s_add_u32 s22, s10, s4
	s_addc_u32 s23, s11, s5
.LBB273_4:
	s_load_b128 s[8:11], s[0:1], 0x60
	s_waitcnt vmcnt(0)
	v_cmp_eq_f16_e32 vcc_lo, 0, v48
	v_cmp_neq_f16_e64 s2, 0, v48
	s_cbranch_vccnz .LBB273_6
; %bb.5:
	s_waitcnt lgkmcnt(0)
	s_mul_i32 s4, s20, s9
	s_mul_hi_u32 s5, s20, s8
	s_delay_alu instid0(SALU_CYCLE_1) | instskip(SKIP_1) | instid1(SALU_CYCLE_1)
	s_add_i32 s5, s5, s4
	s_mul_i32 s4, s20, s8
	s_lshl_b64 s[4:5], s[4:5], 1
	s_delay_alu instid0(SALU_CYCLE_1)
	s_add_u32 s12, s12, s4
	s_addc_u32 s13, s13, s5
	s_branch .LBB273_7
.LBB273_6:
	s_waitcnt lgkmcnt(0)
	s_mov_b64 s[12:13], 0
.LBB273_7:
	s_clause 0x1
	s_load_b128 s[16:19], s[0:1], 0x0
	s_load_b32 s26, s[0:1], 0x20
	v_and_b32_e32 v44, 0x3ff, v0
	v_bfe_u32 v45, v0, 10, 10
	s_waitcnt lgkmcnt(0)
	s_add_i32 s4, s16, -1
	s_ashr_i32 s27, s26, 31
	s_ashr_i32 s5, s4, 31
	s_delay_alu instid0(SALU_CYCLE_1) | instskip(NEXT) | instid1(SALU_CYCLE_1)
	s_lshr_b32 s5, s5, 26
	s_add_i32 s5, s4, s5
	s_delay_alu instid0(SALU_CYCLE_1) | instskip(NEXT) | instid1(SALU_CYCLE_1)
	s_ashr_i32 s5, s5, 6
	s_add_i32 s6, s5, 1
	s_not_b32 s5, s5
	v_cvt_f32_u32_e32 v1, s6
	s_delay_alu instid0(VALU_DEP_1) | instskip(SKIP_2) | instid1(VALU_DEP_1)
	v_rcp_iflag_f32_e32 v1, v1
	s_waitcnt_depctr 0xfff
	v_mul_f32_e32 v1, 0x4f7ffffe, v1
	v_cvt_u32_f32_e32 v1, v1
	s_delay_alu instid0(VALU_DEP_1) | instskip(SKIP_1) | instid1(VALU_DEP_2)
	v_readfirstlane_b32 s7, v1
	v_lshl_add_u32 v1, v45, 3, v44
	s_mul_i32 s5, s5, s7
	s_delay_alu instid0(VALU_DEP_1) | instskip(SKIP_3) | instid1(SALU_CYCLE_1)
	v_and_b32_e32 v0, 63, v1
	s_mul_hi_u32 s5, s7, s5
	v_lshrrev_b32_e32 v47, 6, v1
	s_add_i32 s7, s7, s5
	s_mul_hi_u32 s5, s14, s7
	s_delay_alu instid0(SALU_CYCLE_1) | instskip(SKIP_2) | instid1(SALU_CYCLE_1)
	s_mul_i32 s7, s5, s6
	s_add_i32 s8, s5, 1
	s_sub_i32 s7, s14, s7
	s_sub_i32 s9, s7, s6
	s_cmp_ge_u32 s7, s6
	s_cselect_b32 s5, s8, s5
	s_cselect_b32 s7, s9, s7
	s_add_i32 s8, s5, 1
	s_cmp_ge_u32 s7, s6
	s_cselect_b32 s5, s8, s5
	s_add_i32 s28, s18, -1
	s_mul_i32 s6, s5, s6
	v_cmp_le_i32_e64 s8, s18, v47
	s_sub_i32 s6, s14, s6
	v_min_i32_e32 v2, s28, v47
	s_lshl_b32 s19, s6, 6
	s_delay_alu instid0(SALU_CYCLE_1) | instskip(NEXT) | instid1(VALU_DEP_2)
	v_or_b32_e32 v1, s19, v0
	v_ashrrev_i32_e32 v3, 31, v2
	s_delay_alu instid0(VALU_DEP_2) | instskip(SKIP_2) | instid1(VALU_DEP_1)
	v_cmp_le_i32_e32 vcc_lo, s16, v1
	v_min_i32_e32 v20, s4, v1
                                        ; implicit-def: $vgpr1
	s_or_b32 s6, vcc_lo, s8
	v_ashrrev_i32_e32 v21, 31, v20
	s_or_b32 s4, s3, s6
	s_delay_alu instid0(SALU_CYCLE_1) | instskip(NEXT) | instid1(SALU_CYCLE_1)
	s_xor_b32 s4, s4, -1
	s_and_saveexec_b32 s7, s4
	s_delay_alu instid0(SALU_CYCLE_1)
	s_xor_b32 s7, exec_lo, s7
	s_cbranch_execz .LBB273_9
; %bb.8:
	v_mad_i64_i32 v[4:5], null, s26, v2, 0
	v_lshlrev_b64 v[6:7], 1, v[20:21]
	s_delay_alu instid0(VALU_DEP_2) | instskip(NEXT) | instid1(VALU_DEP_1)
	v_lshlrev_b64 v[4:5], 1, v[4:5]
	v_add_co_u32 v1, s4, s24, v4
	s_delay_alu instid0(VALU_DEP_1) | instskip(NEXT) | instid1(VALU_DEP_2)
	v_add_co_ci_u32_e64 v5, s4, s25, v5, s4
	v_add_co_u32 v4, s4, v1, v6
	s_delay_alu instid0(VALU_DEP_1)
	v_add_co_ci_u32_e64 v5, s4, v5, v7, s4
	flat_load_u16 v1, v[4:5]
	s_waitcnt vmcnt(0) lgkmcnt(0)
	v_mul_f16_e32 v1, v46, v1
.LBB273_9:
	s_and_not1_saveexec_b32 s4, s7
; %bb.10:
	v_cndmask_b32_e64 v1, 0, 0x7c00, s6
; %bb.11:
	s_or_b32 exec_lo, exec_lo, s4
	s_load_b32 s29, s[0:1], 0x38
	s_lshl_b32 s21, s5, 8
	s_delay_alu instid0(SALU_CYCLE_1) | instskip(NEXT) | instid1(VALU_DEP_1)
	v_or_b32_e32 v22, s21, v0
	v_cmp_le_i32_e64 s4, s17, v22
	v_ashrrev_i32_e32 v23, 31, v22
	s_delay_alu instid0(VALU_DEP_2)
	s_or_b32 s6, s4, s8
	s_waitcnt lgkmcnt(0)
	s_ashr_i32 s14, s29, 31
	v_mul_lo_u32 v5, v3, s29
	v_mad_u64_u32 v[3:4], null, v2, s29, 0
	v_mul_lo_u32 v2, v2, s14
	s_delay_alu instid0(VALU_DEP_1) | instskip(SKIP_1) | instid1(VALU_DEP_2)
	v_add3_u32 v4, v4, v2, v5
	v_cndmask_b32_e64 v2, 0, 0x7c00, s6
	v_lshlrev_b64 v[3:4], 1, v[3:4]
	s_delay_alu instid0(VALU_DEP_1) | instskip(NEXT) | instid1(VALU_DEP_1)
	v_add_co_u32 v6, s5, s22, v3
	v_add_co_ci_u32_e64 v7, s5, s23, v4, s5
	s_or_b32 s5, s3, s6
	s_delay_alu instid0(SALU_CYCLE_1) | instskip(NEXT) | instid1(SALU_CYCLE_1)
	s_xor_b32 s5, s5, -1
	s_and_saveexec_b32 s6, s5
	s_cbranch_execz .LBB273_13
; %bb.12:
	v_lshlrev_b64 v[2:3], 1, v[22:23]
	s_delay_alu instid0(VALU_DEP_1) | instskip(NEXT) | instid1(VALU_DEP_1)
	v_add_co_u32 v2, s5, v6, v2
	v_add_co_ci_u32_e64 v3, s5, v7, v3, s5
	flat_load_u16 v2, v[2:3]
	s_waitcnt vmcnt(0) lgkmcnt(0)
	v_mul_f16_e32 v2, v46, v2
.LBB273_13:
	s_or_b32 exec_lo, exec_lo, s6
	v_or_b32_e32 v3, 64, v22
	s_add_i32 s9, s17, -1
	s_delay_alu instid0(VALU_DEP_1) | instskip(SKIP_1) | instid1(VALU_DEP_2)
	v_cmp_le_i32_e64 s5, s17, v3
	v_min_i32_e32 v24, s9, v3
	s_or_b32 s6, s5, s8
	s_delay_alu instid0(VALU_DEP_1) | instskip(SKIP_2) | instid1(SALU_CYCLE_1)
	v_ashrrev_i32_e32 v25, 31, v24
	v_cndmask_b32_e64 v3, 0, 0x7c00, s6
	s_or_b32 s6, s3, s6
	s_xor_b32 s6, s6, -1
	s_delay_alu instid0(SALU_CYCLE_1)
	s_and_saveexec_b32 s7, s6
	s_cbranch_execz .LBB273_15
; %bb.14:
	v_lshlrev_b64 v[3:4], 1, v[24:25]
	s_delay_alu instid0(VALU_DEP_1) | instskip(NEXT) | instid1(VALU_DEP_1)
	v_add_co_u32 v3, s6, v6, v3
	v_add_co_ci_u32_e64 v4, s6, v7, v4, s6
	flat_load_u16 v3, v[3:4]
	s_waitcnt vmcnt(0) lgkmcnt(0)
	v_mul_f16_e32 v3, v46, v3
.LBB273_15:
	s_or_b32 exec_lo, exec_lo, s7
	v_or_b32_e32 v4, 0x80, v22
	s_delay_alu instid0(VALU_DEP_1) | instskip(SKIP_1) | instid1(VALU_DEP_2)
	v_cmp_le_i32_e64 s6, s17, v4
	v_min_i32_e32 v26, s9, v4
	s_or_b32 s7, s6, s8
	s_delay_alu instid0(VALU_DEP_1) | instskip(SKIP_2) | instid1(SALU_CYCLE_1)
	v_ashrrev_i32_e32 v27, 31, v26
	v_cndmask_b32_e64 v4, 0, 0x7c00, s7
	s_or_b32 s7, s3, s7
	s_xor_b32 s7, s7, -1
	s_delay_alu instid0(SALU_CYCLE_1)
	s_and_saveexec_b32 s15, s7
	s_cbranch_execz .LBB273_17
; %bb.16:
	v_lshlrev_b64 v[4:5], 1, v[26:27]
	s_delay_alu instid0(VALU_DEP_1) | instskip(NEXT) | instid1(VALU_DEP_1)
	v_add_co_u32 v4, s7, v6, v4
	v_add_co_ci_u32_e64 v5, s7, v7, v5, s7
	flat_load_u16 v4, v[4:5]
	s_waitcnt vmcnt(0) lgkmcnt(0)
	v_mul_f16_e32 v4, v46, v4
.LBB273_17:
	s_or_b32 exec_lo, exec_lo, s15
	v_or_b32_e32 v5, 0xc0, v22
	s_delay_alu instid0(VALU_DEP_1) | instskip(SKIP_1) | instid1(VALU_DEP_2)
	v_cmp_le_i32_e64 s7, s17, v5
	v_min_i32_e32 v28, s9, v5
	s_or_b32 s8, s7, s8
	s_delay_alu instid0(VALU_DEP_1) | instskip(SKIP_2) | instid1(SALU_CYCLE_1)
	v_ashrrev_i32_e32 v29, 31, v28
	v_cndmask_b32_e64 v5, 0, 0x7c00, s8
	s_or_b32 s8, s3, s8
	s_xor_b32 s8, s8, -1
	s_delay_alu instid0(SALU_CYCLE_1)
	s_and_saveexec_b32 s9, s8
	s_cbranch_execz .LBB273_19
; %bb.18:
	v_lshlrev_b64 v[8:9], 1, v[28:29]
	s_delay_alu instid0(VALU_DEP_1) | instskip(NEXT) | instid1(VALU_DEP_1)
	v_add_co_u32 v5, s8, v6, v8
	v_add_co_ci_u32_e64 v6, s8, v7, v9, s8
	flat_load_u16 v5, v[5:6]
	s_waitcnt vmcnt(0) lgkmcnt(0)
	v_mul_f16_e32 v5, v46, v5
.LBB273_19:
	s_or_b32 exec_lo, exec_lo, s9
	v_add_nc_u32_e32 v6, 4, v47
                                        ; implicit-def: $vgpr30
	s_delay_alu instid0(VALU_DEP_1) | instskip(SKIP_1) | instid1(VALU_DEP_2)
	v_cmp_le_i32_e64 s8, s18, v6
	v_min_i32_e32 v6, s28, v6
	s_or_b32 s15, vcc_lo, s8
	s_delay_alu instid0(VALU_DEP_1) | instskip(SKIP_1) | instid1(SALU_CYCLE_1)
	v_ashrrev_i32_e32 v7, 31, v6
	s_or_b32 s9, s3, s15
	s_xor_b32 s9, s9, -1
	s_delay_alu instid0(SALU_CYCLE_1) | instskip(NEXT) | instid1(SALU_CYCLE_1)
	s_and_saveexec_b32 s30, s9
	s_xor_b32 s30, exec_lo, s30
	s_cbranch_execz .LBB273_21
; %bb.20:
	v_mad_i64_i32 v[8:9], null, s26, v6, 0
	v_lshlrev_b64 v[10:11], 1, v[20:21]
	s_delay_alu instid0(VALU_DEP_2) | instskip(NEXT) | instid1(VALU_DEP_1)
	v_lshlrev_b64 v[8:9], 1, v[8:9]
	v_add_co_u32 v8, s9, s24, v8
	s_delay_alu instid0(VALU_DEP_1) | instskip(NEXT) | instid1(VALU_DEP_2)
	v_add_co_ci_u32_e64 v9, s9, s25, v9, s9
	v_add_co_u32 v8, s9, v8, v10
	s_delay_alu instid0(VALU_DEP_1)
	v_add_co_ci_u32_e64 v9, s9, v9, v11, s9
	flat_load_u16 v8, v[8:9]
	s_waitcnt vmcnt(0) lgkmcnt(0)
	v_mul_f16_e32 v30, v46, v8
.LBB273_21:
	s_and_not1_saveexec_b32 s9, s30
; %bb.22:
	v_cndmask_b32_e64 v30, 0, 0x7c00, s15
; %bb.23:
	s_or_b32 exec_lo, exec_lo, s9
	v_mul_lo_u32 v9, v7, s29
	v_mul_lo_u32 v10, v6, s14
	v_mad_u64_u32 v[7:8], null, v6, s29, 0
	s_delay_alu instid0(VALU_DEP_1) | instskip(NEXT) | instid1(VALU_DEP_1)
	v_add3_u32 v8, v8, v10, v9
	v_lshlrev_b64 v[6:7], 1, v[7:8]
	s_delay_alu instid0(VALU_DEP_1) | instskip(NEXT) | instid1(VALU_DEP_1)
	v_add_co_u32 v6, s9, s22, v6
	v_add_co_ci_u32_e64 v7, s9, s23, v7, s9
	s_or_b32 s9, s4, s8
	s_delay_alu instid0(SALU_CYCLE_1) | instskip(SKIP_1) | instid1(SALU_CYCLE_1)
	v_cndmask_b32_e64 v31, 0, 0x7c00, s9
	s_or_b32 s9, s3, s9
	s_xor_b32 s9, s9, -1
	s_delay_alu instid0(SALU_CYCLE_1)
	s_and_saveexec_b32 s14, s9
	s_cbranch_execz .LBB273_25
; %bb.24:
	v_lshlrev_b64 v[8:9], 1, v[22:23]
	s_delay_alu instid0(VALU_DEP_1) | instskip(NEXT) | instid1(VALU_DEP_1)
	v_add_co_u32 v8, s9, v6, v8
	v_add_co_ci_u32_e64 v9, s9, v7, v9, s9
	flat_load_u16 v8, v[8:9]
	s_waitcnt vmcnt(0) lgkmcnt(0)
	v_mul_f16_e32 v31, v46, v8
.LBB273_25:
	s_or_b32 exec_lo, exec_lo, s14
	s_or_b32 s9, s5, s8
	s_delay_alu instid0(SALU_CYCLE_1) | instskip(SKIP_1) | instid1(SALU_CYCLE_1)
	v_cndmask_b32_e64 v32, 0, 0x7c00, s9
	s_or_b32 s9, s3, s9
	s_xor_b32 s9, s9, -1
	s_delay_alu instid0(SALU_CYCLE_1)
	s_and_saveexec_b32 s14, s9
	s_cbranch_execz .LBB273_27
; %bb.26:
	v_lshlrev_b64 v[8:9], 1, v[24:25]
	s_delay_alu instid0(VALU_DEP_1) | instskip(NEXT) | instid1(VALU_DEP_1)
	v_add_co_u32 v8, s9, v6, v8
	v_add_co_ci_u32_e64 v9, s9, v7, v9, s9
	flat_load_u16 v8, v[8:9]
	s_waitcnt vmcnt(0) lgkmcnt(0)
	v_mul_f16_e32 v32, v46, v8
.LBB273_27:
	s_or_b32 exec_lo, exec_lo, s14
	;; [unrolled: 18-line block ×4, first 2 shown]
	v_lshlrev_b32_e32 v6, 1, v47
	v_lshlrev_b32_e32 v77, 3, v44
	;; [unrolled: 1-line block ×3, first 2 shown]
	s_cmp_lt_i32 s18, 9
	s_delay_alu instid0(VALU_DEP_3) | instskip(NEXT) | instid1(VALU_DEP_3)
	v_lshl_add_u32 v98, v0, 3, v6
	v_add_nc_u32_e32 v0, 0x1000, v77
	ds_store_b16 v98, v2
	ds_store_b16 v98, v3 offset:512
	ds_store_b16 v98, v4 offset:1024
	;; [unrolled: 1-line block ×4, first 2 shown]
	s_waitcnt lgkmcnt(0)
	s_barrier
	buffer_gl0_inv
	ds_load_2addr_b64 v[16:19], v0 offset1:8
	ds_load_2addr_b64 v[35:38], v85 offset1:32
	ds_load_2addr_b64 v[12:15], v0 offset0:16 offset1:24
	ds_load_2addr_b64 v[4:7], v0 offset0:32 offset1:40
	;; [unrolled: 1-line block ×6, first 2 shown]
	ds_store_b16 v98, v31 offset:2048
	ds_store_b16 v98, v32 offset:2560
	;; [unrolled: 1-line block ×5, first 2 shown]
	s_waitcnt lgkmcnt(0)
	s_barrier
	buffer_gl0_inv
	v_pk_add_f16 v43, v16, v35
	v_pk_add_f16 v53, v18, v35
	;; [unrolled: 1-line block ×10, first 2 shown]
	v_pk_min_f16 v116, 0x7c00, v82 op_sel_hi:[0,1]
	v_pk_min_f16 v117, 0x7c00, v83 op_sel_hi:[0,1]
	v_pk_add_f16 v82, v0, v49
	v_pk_add_f16 v83, v16, v51
	v_pk_min_f16 v118, 0x7c00, v84 op_sel_hi:[0,1]
	v_pk_min_f16 v119, 0x7c00, v86 op_sel_hi:[0,1]
	v_pk_add_f16 v84, v18, v51
	v_pk_add_f16 v86, v12, v51
	;; [unrolled: 4-line block ×5, first 2 shown]
	v_pk_add_f16 v57, v6, v35
	v_pk_add_f16 v58, v0, v35
	;; [unrolled: 1-line block ×3, first 2 shown]
	v_pk_min_f16 v43, 0x7c00, v43 op_sel_hi:[0,1]
	v_pk_add_f16 v59, v16, v37
	v_pk_add_f16 v60, v18, v37
	;; [unrolled: 1-line block ×25, first 2 shown]
	v_pk_min_f16 v120, 0x7c00, v87 op_sel_hi:[0,1]
	v_pk_add_f16 v49, v2, v49
	v_pk_add_f16 v51, v2, v51
	v_pk_min_f16 v127, 0x7c00, v84 op_sel_hi:[0,1]
	v_pk_min_f16 v128, 0x7c00, v86 op_sel_hi:[0,1]
	v_pk_add_f16 v84, v12, v8
	v_pk_add_f16 v86, v14, v8
	;; [unrolled: 1-line block ×3, first 2 shown]
	v_pk_min_f16 v129, 0x7c00, v82 op_sel_hi:[0,1]
	v_pk_min_f16 v130, 0x7c00, v83 op_sel_hi:[0,1]
	v_pk_add_f16 v82, v6, v8
	v_pk_add_f16 v83, v0, v8
	;; [unrolled: 1-line block ×12, first 2 shown]
	v_pk_min_f16 v53, 0x7c00, v53 op_sel_hi:[0,1]
	v_pk_min_f16 v56, 0x7c00, v56 op_sel_hi:[0,1]
	;; [unrolled: 1-line block ×3, first 2 shown]
	v_pk_add_f16 v82, v19, v36
	v_pk_min_f16 v115, v43, v10
	v_pk_add_f16 v10, v5, v36
	v_pk_min_f16 v35, 0x7c00, v35 op_sel_hi:[0,1]
	v_pk_min_f16 v60, 0x7c00, v60 op_sel_hi:[0,1]
	;; [unrolled: 1-line block ×4, first 2 shown]
	v_pk_add_f16 v83, v13, v36
	v_pk_add_f16 v84, v15, v36
	v_pk_min_f16 v114, v53, v82
	v_pk_add_f16 v43, v7, v36
	v_pk_add_f16 v53, v1, v36
	;; [unrolled: 1-line block ×3, first 2 shown]
	v_pk_min_f16 v111, v56, v10
	v_pk_add_f16 v10, v19, v38
	v_pk_min_f16 v54, 0x7c00, v54 op_sel_hi:[0,1]
	v_pk_min_f16 v57, 0x7c00, v57 op_sel_hi:[0,1]
	;; [unrolled: 1-line block ×6, first 2 shown]
	v_pk_min_f16 v108, v35, v36
	v_pk_add_f16 v35, v13, v38
	v_pk_add_f16 v36, v15, v38
	v_pk_min_f16 v106, v60, v10
	v_pk_add_f16 v10, v1, v38
	v_pk_min_f16 v37, 0x7c00, v37 op_sel_hi:[0,1]
	v_pk_min_f16 v66, 0x7c00, v66 op_sel_hi:[0,1]
	;; [unrolled: 1-line block ×4, first 2 shown]
	v_pk_min_f16 v113, v54, v83
	v_pk_add_f16 v54, v17, v38
	v_pk_min_f16 v110, v57, v43
	v_pk_min_f16 v109, v58, v53
	v_pk_add_f16 v43, v5, v38
	v_pk_add_f16 v53, v7, v38
	v_pk_min_f16 v105, v61, v35
	v_pk_min_f16 v104, v62, v36
	v_pk_add_f16 v35, v3, v38
	v_pk_add_f16 v36, v17, v40
	;; [unrolled: 1-line block ×3, first 2 shown]
	v_pk_min_f16 v101, v65, v10
	v_pk_add_f16 v10, v15, v40
	v_pk_min_f16 v70, 0x7c00, v70 op_sel_hi:[0,1]
	v_pk_min_f16 v71, 0x7c00, v71 op_sel_hi:[0,1]
	;; [unrolled: 1-line block ×5, first 2 shown]
	v_pk_min_f16 v100, v37, v35
	v_pk_min_f16 v99, v66, v36
	;; [unrolled: 1-line block ×3, first 2 shown]
	v_pk_add_f16 v35, v5, v40
	v_pk_add_f16 v36, v7, v40
	;; [unrolled: 1-line block ×4, first 2 shown]
	v_pk_min_f16 v95, v69, v10
	v_pk_add_f16 v10, v17, v42
	v_pk_min_f16 v55, 0x7c00, v55 op_sel_hi:[0,1]
	v_pk_min_f16 v74, 0x7c00, v74 op_sel_hi:[0,1]
	;; [unrolled: 1-line block ×6, first 2 shown]
	v_pk_min_f16 v94, v70, v35
	v_pk_min_f16 v93, v71, v36
	v_pk_min_f16 v92, v72, v37
	v_pk_min_f16 v91, v39, v38
	v_pk_add_f16 v35, v19, v42
	v_pk_add_f16 v36, v13, v42
	v_pk_add_f16 v37, v15, v42
	v_pk_add_f16 v38, v5, v42
	v_pk_min_f16 v90, v73, v10
	v_pk_add_f16 v10, v7, v42
	v_pk_min_f16 v80, 0x7c00, v80 op_sel_hi:[0,1]
	v_pk_min_f16 v41, 0x7c00, v41 op_sel_hi:[0,1]
	;; [unrolled: 1-line block ×5, first 2 shown]
	v_pk_min_f16 v112, v55, v84
	v_pk_min_f16 v89, v74, v35
	;; [unrolled: 1-line block ×5, first 2 shown]
	v_pk_add_f16 v35, v1, v42
	v_pk_add_f16 v36, v3, v42
	;; [unrolled: 1-line block ×4, first 2 shown]
	v_pk_min_f16 v84, v79, v10
	v_pk_add_f16 v10, v13, v50
	v_pk_min_f16 v63, 0x7c00, v63 op_sel_hi:[0,1]
	v_pk_min_f16 v49, 0x7c00, v49 op_sel_hi:[0,1]
	v_pk_min_f16 v83, v80, v35
	v_pk_min_f16 v82, v41, v36
	;; [unrolled: 1-line block ×4, first 2 shown]
	v_pk_add_f16 v35, v15, v50
	v_pk_add_f16 v36, v5, v50
	;; [unrolled: 1-line block ×4, first 2 shown]
	v_pk_min_f16 v79, v117, v10
	v_pk_add_f16 v10, v3, v50
	v_pk_min_f16 v68, 0x7c00, v68 op_sel_hi:[0,1]
	v_pk_min_f16 v103, v63, v43
	v_pk_add_f16 v43, v13, v40
	v_pk_min_f16 v78, v118, v35
	v_pk_min_f16 v76, v119, v36
	;; [unrolled: 1-line block ×4, first 2 shown]
	v_pk_add_f16 v35, v17, v52
	v_pk_add_f16 v36, v19, v52
	;; [unrolled: 1-line block ×4, first 2 shown]
	v_pk_min_f16 v73, v49, v10
	v_pk_add_f16 v10, v5, v52
	v_pk_min_f16 v64, 0x7c00, v64 op_sel_hi:[0,1]
	v_pk_min_f16 v51, 0x7c00, v51 op_sel_hi:[0,1]
	v_pk_min_f16 v96, v68, v43
	v_pk_min_f16 v72, v122, v35
	;; [unrolled: 1-line block ×5, first 2 shown]
	v_pk_add_f16 v35, v7, v52
	v_pk_add_f16 v36, v1, v52
	;; [unrolled: 1-line block ×4, first 2 shown]
	v_pk_min_f16 v68, v126, v10
	v_pk_add_f16 v10, v19, v9
	v_pk_min_f16 v59, 0x7c00, v59 op_sel_hi:[0,1]
	v_pk_min_f16 v8, 0x7c00, v8 op_sel_hi:[0,1]
	v_pk_min_f16 v102, v64, v53
	v_pk_min_f16 v67, v127, v35
	;; [unrolled: 1-line block ×5, first 2 shown]
	v_pk_add_f16 v35, v13, v9
	v_pk_add_f16 v36, v15, v9
	;; [unrolled: 1-line block ×4, first 2 shown]
	v_pk_min_f16 v63, v130, v10
	v_pk_add_f16 v10, v1, v9
	v_pk_add_f16 v9, v3, v9
	v_pk_min_f16 v16, 0x7c00, v16 op_sel_hi:[0,1]
	v_pk_min_f16 v18, 0x7c00, v18 op_sel_hi:[0,1]
	v_pk_min_f16 v12, 0x7c00, v12 op_sel_hi:[0,1]
	v_pk_min_f16 v14, 0x7c00, v14 op_sel_hi:[0,1]
	v_pk_min_f16 v4, 0x7c00, v4 op_sel_hi:[0,1]
	v_pk_min_f16 v6, 0x7c00, v6 op_sel_hi:[0,1]
	v_pk_min_f16 v0, 0x7c00, v0 op_sel_hi:[0,1]
	v_pk_min_f16 v2, 0x7c00, v2 op_sel_hi:[0,1]
	v_pk_min_f16 v107, v59, v54
	v_pk_add_f16 v17, v17, v11
	v_pk_add_f16 v19, v19, v11
	;; [unrolled: 1-line block ×3, first 2 shown]
	v_pk_min_f16 v59, v8, v9
	v_pk_add_f16 v8, v15, v11
	v_pk_add_f16 v5, v5, v11
	;; [unrolled: 1-line block ×5, first 2 shown]
	v_pk_min_f16 v62, v131, v35
	v_pk_min_f16 v60, v132, v36
	;; [unrolled: 1-line block ×13, first 2 shown]
	s_cbranch_scc1 .LBB273_54
; %bb.32:
	v_add_nc_u32_e32 v0, v85, v44
	v_lshlrev_b64 v[32:33], 1, v[22:23]
	v_lshlrev_b64 v[34:35], 1, v[24:25]
	v_lshlrev_b64 v[36:37], 1, v[26:27]
	v_lshlrev_b64 v[42:43], 1, v[28:29]
	v_lshrrev_b32_e32 v2, 6, v0
	v_lshlrev_b64 v[0:1], 1, v[20:21]
	v_or_b32_e32 v116, 0x1000, v98
	v_add_nc_u32_e32 v117, 0x1000, v77
	v_add_nc_u32_e32 v118, 0x1200, v98
	;; [unrolled: 1-line block ×4, first 2 shown]
	v_add_co_u32 v121, s8, s24, v0
	v_or_b32_e32 v119, 0x800, v98
	s_delay_alu instid0(VALU_DEP_4) | instskip(NEXT) | instid1(VALU_DEP_4)
	v_mad_i64_i32 v[2:3], null, v4, s26, 0
	v_mad_i64_i32 v[4:5], null, v6, s26, 0
	v_lshl_add_u32 v120, v44, 3, 0x1200
	v_add_co_ci_u32_e64 v122, s8, s25, v1, s8
	v_add_nc_u32_e32 v123, 0x800, v85
	v_lshlrev_b64 v[38:39], 1, v[2:3]
	s_add_i32 s24, s18, -8
	v_lshlrev_b64 v[40:41], 1, v[4:5]
	s_lshl_b64 s[14:15], s[26:27], 4
	s_mov_b32 s25, 0
	s_branch .LBB273_34
.LBB273_33:                             ;   in Loop: Header=BB273_34 Depth=1
	s_or_b32 exec_lo, exec_lo, s9
	ds_load_2addr_b64 v[128:131], v117 offset1:8
	ds_load_2addr_b64 v[88:91], v85 offset1:32
	ds_load_2addr_b64 v[132:135], v117 offset0:16 offset1:24
	ds_load_2addr_b64 v[136:139], v117 offset0:32 offset1:40
	;; [unrolled: 1-line block ×6, first 2 shown]
	v_pk_max_f16 v11, v86, v86
	v_pk_max_f16 v15, v83, v83
	;; [unrolled: 1-line block ×13, first 2 shown]
	s_waitcnt lgkmcnt(6)
	v_pk_add_f16 v83, v128, v88
	v_pk_add_f16 v84, v130, v88
	s_waitcnt lgkmcnt(5)
	v_pk_add_f16 v86, v132, v88
	v_pk_add_f16 v87, v134, v88
	;; [unrolled: 3-line block ×4, first 2 shown]
	v_pk_min_f16 v11, v11, v83
	v_pk_min_f16 v15, v15, v84
	;; [unrolled: 1-line block ×5, first 2 shown]
	v_pk_add_f16 v83, v128, v90
	v_pk_add_f16 v84, v130, v90
	;; [unrolled: 1-line block ×5, first 2 shown]
	v_pk_min_f16 v71, v71, v83
	v_pk_min_f16 v79, v79, v84
	;; [unrolled: 1-line block ×5, first 2 shown]
	v_pk_add_f16 v83, v138, v90
	v_pk_add_f16 v84, v140, v90
	v_pk_max_f16 v74, v74, v74
	v_pk_add_f16 v86, v142, v90
	v_pk_max_f16 v72, v72, v72
	s_waitcnt lgkmcnt(2)
	v_pk_add_f16 v87, v128, v144
	v_pk_max_f16 v70, v70, v70
	v_pk_add_f16 v88, v130, v144
	v_pk_max_f16 v68, v68, v68
	v_pk_min_f16 v66, v66, v83
	v_pk_min_f16 v74, v74, v84
	v_pk_min_f16 v72, v72, v86
	v_pk_min_f16 v70, v70, v87
	v_pk_min_f16 v68, v68, v88
	v_pk_add_f16 v83, v132, v144
	v_pk_max_f16 v61, v61, v61
	v_pk_add_f16 v84, v134, v144
	v_pk_max_f16 v69, v69, v69
	v_pk_add_f16 v86, v136, v144
	v_pk_max_f16 v67, v67, v67
	v_pk_add_f16 v87, v138, v144
	v_pk_max_f16 v65, v65, v65
	v_pk_add_f16 v88, v140, v144
	v_pk_max_f16 v63, v63, v63
	v_pk_min_f16 v61, v61, v83
	v_pk_min_f16 v69, v69, v84
	v_pk_min_f16 v67, v67, v86
	v_pk_min_f16 v65, v65, v87
	v_pk_min_f16 v63, v63, v88
	v_pk_add_f16 v83, v142, v144
	v_pk_max_f16 v56, v56, v56
	v_pk_add_f16 v84, v128, v146
	v_pk_max_f16 v64, v64, v64
	v_pk_add_f16 v86, v130, v146
	v_pk_max_f16 v62, v62, v62
	;; [unrolled: 15-line block ×3, first 2 shown]
	v_pk_add_f16 v87, v142, v146
	v_pk_max_f16 v55, v55, v55
	s_waitcnt lgkmcnt(1)
	v_pk_add_f16 v88, v128, v148
	v_pk_max_f16 v53, v53, v53
	v_pk_min_f16 v51, v51, v83
	v_pk_min_f16 v59, v59, v84
	v_pk_min_f16 v57, v57, v86
	v_pk_min_f16 v55, v55, v87
	v_pk_min_f16 v53, v53, v88
	v_pk_add_f16 v83, v130, v148
	v_pk_max_f16 v29, v29, v29
	v_pk_add_f16 v84, v132, v148
	v_pk_max_f16 v54, v54, v54
	v_pk_add_f16 v86, v134, v148
	v_pk_max_f16 v52, v52, v52
	v_pk_add_f16 v87, v136, v148
	v_pk_max_f16 v50, v50, v50
	v_pk_add_f16 v88, v138, v148
	v_pk_max_f16 v31, v31, v31
	v_pk_min_f16 v29, v29, v83
	v_pk_min_f16 v54, v54, v84
	v_pk_min_f16 v52, v52, v86
	v_pk_min_f16 v50, v50, v87
	v_pk_min_f16 v31, v31, v88
	v_pk_add_f16 v83, v140, v148
	v_pk_max_f16 v24, v24, v24
	v_pk_add_f16 v84, v142, v148
	v_pk_max_f16 v49, v49, v49
	v_pk_add_f16 v86, v128, v150
	v_pk_max_f16 v30, v30, v30
	v_pk_add_f16 v87, v130, v150
	v_pk_max_f16 v28, v28, v28
	;; [unrolled: 15-line block ×3, first 2 shown]
	v_pk_add_f16 v88, v142, v150
	v_pk_max_f16 v21, v21, v21
	v_pk_min_f16 v18, v18, v83
	v_pk_min_f16 v27, v27, v84
	;; [unrolled: 1-line block ×5, first 2 shown]
	s_waitcnt lgkmcnt(0)
	v_pk_add_f16 v83, v128, v152
	v_pk_max_f16 v10, v10, v10
	v_pk_add_f16 v84, v130, v152
	v_pk_max_f16 v22, v22, v22
	;; [unrolled: 2-line block ×5, first 2 shown]
	v_pk_min_f16 v10, v10, v83
	v_pk_min_f16 v22, v22, v84
	;; [unrolled: 1-line block ×5, first 2 shown]
	v_pk_add_f16 v83, v138, v152
	v_pk_max_f16 v6, v6, v6
	v_pk_add_f16 v84, v140, v152
	v_pk_max_f16 v13, v13, v13
	;; [unrolled: 2-line block ×5, first 2 shown]
	v_pk_min_f16 v6, v6, v83
	v_pk_min_f16 v13, v13, v84
	;; [unrolled: 1-line block ×5, first 2 shown]
	v_pk_add_f16 v83, v132, v154
	v_pk_max_f16 v2, v2, v2
	v_pk_add_f16 v84, v134, v154
	v_pk_max_f16 v7, v7, v7
	;; [unrolled: 2-line block ×5, first 2 shown]
	v_pk_max_f16 v82, v82, v82
	v_pk_min_f16 v2, v2, v83
	v_pk_min_f16 v7, v7, v84
	;; [unrolled: 1-line block ×5, first 2 shown]
	v_pk_add_f16 v83, v142, v154
	v_pk_max_f16 v1, v1, v1
	v_pk_add_f16 v84, v129, v89
	v_pk_add_f16 v86, v131, v89
	;; [unrolled: 1-line block ×4, first 2 shown]
	v_pk_min_f16 v80, v80, v92
	v_pk_min_f16 v81, v81, v93
	;; [unrolled: 1-line block ×8, first 2 shown]
	v_pk_add_f16 v11, v137, v89
	v_pk_add_f16 v15, v139, v89
	v_pk_add_f16 v17, v141, v89
	v_pk_add_f16 v19, v143, v89
	v_pk_add_f16 v83, v129, v91
	v_pk_min_f16 v111, v80, v11
	v_pk_min_f16 v110, v81, v15
	v_pk_min_f16 v109, v82, v17
	v_pk_min_f16 v108, v78, v19
	v_pk_min_f16 v107, v71, v83
	v_pk_add_f16 v11, v131, v91
	v_pk_add_f16 v15, v133, v91
	v_pk_add_f16 v17, v135, v91
	v_pk_add_f16 v19, v137, v91
	v_pk_add_f16 v71, v139, v91
	v_pk_min_f16 v106, v79, v11
	v_pk_min_f16 v105, v76, v15
	v_pk_min_f16 v104, v75, v17
	v_pk_min_f16 v103, v73, v19
	v_pk_min_f16 v102, v66, v71
	;; [unrolled: 10-line block ×11, first 2 shown]
	v_pk_add_f16 v2, v135, v155
	v_pk_add_f16 v6, v137, v155
	;; [unrolled: 1-line block ×5, first 2 shown]
	v_add_co_u32 v121, s8, v121, s14
	v_pk_min_f16 v53, v7, v2
	v_pk_min_f16 v52, v5, v6
	;; [unrolled: 1-line block ×5, first 2 shown]
	v_add_co_ci_u32_e64 v122, s8, s15, v122, s8
	s_add_i32 s25, s25, 8
	ds_store_b16 v118, v124
	ds_store_b16 v119, v125
	ds_store_b16 v119, v126 offset:512
	ds_store_b16 v119, v127 offset:1024
	;; [unrolled: 1-line block ×3, first 2 shown]
	s_cmp_ge_i32 s25, s24
	s_waitcnt lgkmcnt(0)
	s_barrier
	buffer_gl0_inv
	s_cbranch_scc1 .LBB273_54
.LBB273_34:                             ; =>This Inner Loop Header: Depth=1
	v_add_nc_u32_e32 v124, s25, v47
	s_delay_alu instid0(VALU_DEP_1) | instskip(NEXT) | instid1(VALU_DEP_1)
	v_add_nc_u32_e32 v0, 8, v124
	v_cmp_le_i32_e64 s8, s18, v0
	s_delay_alu instid0(VALU_DEP_1) | instskip(NEXT) | instid1(SALU_CYCLE_1)
	s_or_b32 s9, vcc_lo, s8
	v_cndmask_b32_e64 v125, 0, 0x7c00, s9
	s_or_b32 s9, s3, s9
	s_delay_alu instid0(SALU_CYCLE_1) | instskip(NEXT) | instid1(SALU_CYCLE_1)
	s_xor_b32 s9, s9, -1
	s_and_saveexec_b32 s26, s9
	s_cbranch_execz .LBB273_36
; %bb.35:                               ;   in Loop: Header=BB273_34 Depth=1
	v_add_co_u32 v1, s9, v121, v40
	s_delay_alu instid0(VALU_DEP_1)
	v_add_co_ci_u32_e64 v2, s9, v122, v41, s9
	flat_load_u16 v1, v[1:2]
	s_waitcnt vmcnt(0) lgkmcnt(0)
	v_mul_f16_e32 v125, v46, v1
.LBB273_36:                             ;   in Loop: Header=BB273_34 Depth=1
	s_or_b32 exec_lo, exec_lo, s26
	v_min_i32_e32 v2, s28, v0
	s_delay_alu instid0(VALU_DEP_1) | instskip(NEXT) | instid1(VALU_DEP_1)
	v_mad_i64_i32 v[0:1], null, v2, s29, 0
	v_lshlrev_b64 v[0:1], 1, v[0:1]
	s_delay_alu instid0(VALU_DEP_1) | instskip(NEXT) | instid1(VALU_DEP_1)
	v_add_co_u32 v0, s9, s22, v0
	v_add_co_ci_u32_e64 v1, s9, s23, v1, s9
	s_or_b32 s9, s4, s8
	s_delay_alu instid0(SALU_CYCLE_1) | instskip(SKIP_1) | instid1(SALU_CYCLE_1)
	v_cndmask_b32_e64 v126, 0, 0x7c00, s9
	s_or_b32 s9, s3, s9
	s_xor_b32 s9, s9, -1
	s_delay_alu instid0(SALU_CYCLE_1)
	s_and_saveexec_b32 s26, s9
	s_cbranch_execz .LBB273_38
; %bb.37:                               ;   in Loop: Header=BB273_34 Depth=1
	v_add_co_u32 v2, s9, v0, v32
	s_delay_alu instid0(VALU_DEP_1)
	v_add_co_ci_u32_e64 v3, s9, v1, v33, s9
	flat_load_u16 v2, v[2:3]
	s_waitcnt vmcnt(0) lgkmcnt(0)
	v_mul_f16_e32 v126, v46, v2
.LBB273_38:                             ;   in Loop: Header=BB273_34 Depth=1
	s_or_b32 exec_lo, exec_lo, s26
	s_or_b32 s9, s5, s8
	s_delay_alu instid0(SALU_CYCLE_1) | instskip(SKIP_1) | instid1(SALU_CYCLE_1)
	v_cndmask_b32_e64 v127, 0, 0x7c00, s9
	s_or_b32 s9, s3, s9
	s_xor_b32 s9, s9, -1
	s_delay_alu instid0(SALU_CYCLE_1)
	s_and_saveexec_b32 s26, s9
	s_cbranch_execz .LBB273_40
; %bb.39:                               ;   in Loop: Header=BB273_34 Depth=1
	v_add_co_u32 v2, s9, v0, v34
	s_delay_alu instid0(VALU_DEP_1)
	v_add_co_ci_u32_e64 v3, s9, v1, v35, s9
	flat_load_u16 v2, v[2:3]
	s_waitcnt vmcnt(0) lgkmcnt(0)
	v_mul_f16_e32 v127, v46, v2
.LBB273_40:                             ;   in Loop: Header=BB273_34 Depth=1
	s_or_b32 exec_lo, exec_lo, s26
	s_or_b32 s9, s6, s8
	s_delay_alu instid0(SALU_CYCLE_1) | instskip(SKIP_1) | instid1(SALU_CYCLE_1)
	v_cndmask_b32_e64 v128, 0, 0x7c00, s9
	s_or_b32 s9, s3, s9
	s_xor_b32 s9, s9, -1
	s_delay_alu instid0(SALU_CYCLE_1)
	s_and_saveexec_b32 s26, s9
	s_cbranch_execz .LBB273_42
; %bb.41:                               ;   in Loop: Header=BB273_34 Depth=1
	v_add_co_u32 v2, s9, v0, v36
	s_delay_alu instid0(VALU_DEP_1)
	v_add_co_ci_u32_e64 v3, s9, v1, v37, s9
	flat_load_u16 v2, v[2:3]
	s_waitcnt vmcnt(0) lgkmcnt(0)
	v_mul_f16_e64 v128, v46, v2
.LBB273_42:                             ;   in Loop: Header=BB273_34 Depth=1
	s_or_b32 exec_lo, exec_lo, s26
	s_or_b32 s8, s7, s8
	s_delay_alu instid0(SALU_CYCLE_1) | instskip(SKIP_1) | instid1(SALU_CYCLE_1)
	v_cndmask_b32_e64 v129, 0, 0x7c00, s8
	s_or_b32 s8, s3, s8
	s_xor_b32 s8, s8, -1
	s_delay_alu instid0(SALU_CYCLE_1)
	s_and_saveexec_b32 s9, s8
	s_cbranch_execz .LBB273_44
; %bb.43:                               ;   in Loop: Header=BB273_34 Depth=1
	v_add_co_u32 v0, s8, v0, v42
	s_delay_alu instid0(VALU_DEP_1)
	v_add_co_ci_u32_e64 v1, s8, v1, v43, s8
	flat_load_u16 v0, v[0:1]
	s_waitcnt vmcnt(0) lgkmcnt(0)
	v_mul_f16_e64 v129, v46, v0
.LBB273_44:                             ;   in Loop: Header=BB273_34 Depth=1
	s_or_b32 exec_lo, exec_lo, s9
	ds_load_2addr_b64 v[12:15], v120 offset1:8
	ds_load_2addr_b64 v[8:11], v120 offset0:16 offset1:24
	ds_load_2addr_b64 v[4:7], v120 offset0:32 offset1:40
	;; [unrolled: 1-line block ×3, first 2 shown]
	ds_load_2addr_b64 v[28:31], v123 offset1:32
	ds_load_2addr_b64 v[24:27], v123 offset0:64 offset1:96
	ds_load_2addr_b64 v[20:23], v123 offset0:128 offset1:160
	;; [unrolled: 1-line block ×3, first 2 shown]
	v_add_nc_u32_e32 v130, 12, v124
	ds_store_b16 v116, v125
	ds_store_b16 v98, v126
	ds_store_b16 v98, v127 offset:512
	ds_store_b16 v98, v128 offset:1024
	;; [unrolled: 1-line block ×3, first 2 shown]
	s_waitcnt lgkmcnt(0)
	s_barrier
	buffer_gl0_inv
	v_cmp_le_i32_e64 s8, s18, v130
	s_delay_alu instid0(VALU_DEP_1) | instskip(NEXT) | instid1(SALU_CYCLE_1)
	s_or_b32 s9, vcc_lo, s8
	v_cndmask_b32_e64 v124, 0, 0x7c00, s9
	s_or_b32 s9, s3, s9
	s_delay_alu instid0(SALU_CYCLE_1) | instskip(NEXT) | instid1(SALU_CYCLE_1)
	s_xor_b32 s9, s9, -1
	s_and_saveexec_b32 s26, s9
	s_delay_alu instid0(SALU_CYCLE_1)
	s_xor_b32 s26, exec_lo, s26
	s_cbranch_execz .LBB273_46
; %bb.45:                               ;   in Loop: Header=BB273_34 Depth=1
	v_add_co_u32 v124, s9, v121, v38
	s_delay_alu instid0(VALU_DEP_1)
	v_add_co_ci_u32_e64 v125, s9, v122, v39, s9
	flat_load_u16 v124, v[124:125]
	s_waitcnt vmcnt(0) lgkmcnt(0)
	v_mul_f16_e32 v124, v46, v124
.LBB273_46:                             ;   in Loop: Header=BB273_34 Depth=1
	s_or_b32 exec_lo, exec_lo, s26
	v_min_i32_e32 v127, s28, v130
	s_delay_alu instid0(VALU_DEP_1) | instskip(NEXT) | instid1(VALU_DEP_1)
	v_mad_i64_i32 v[125:126], null, v127, s29, 0
	v_lshlrev_b64 v[125:126], 1, v[125:126]
	s_delay_alu instid0(VALU_DEP_1) | instskip(NEXT) | instid1(VALU_DEP_1)
	v_add_co_u32 v128, s9, s22, v125
	v_add_co_ci_u32_e64 v129, s9, s23, v126, s9
	s_or_b32 s9, s4, s8
	s_delay_alu instid0(SALU_CYCLE_1) | instskip(SKIP_1) | instid1(SALU_CYCLE_1)
	v_cndmask_b32_e64 v125, 0, 0x7c00, s9
	s_or_b32 s9, s3, s9
	s_xor_b32 s9, s9, -1
	s_delay_alu instid0(SALU_CYCLE_1)
	s_and_saveexec_b32 s26, s9
	s_cbranch_execz .LBB273_48
; %bb.47:                               ;   in Loop: Header=BB273_34 Depth=1
	v_add_co_u32 v125, s9, v128, v32
	s_delay_alu instid0(VALU_DEP_1)
	v_add_co_ci_u32_e64 v126, s9, v129, v33, s9
	flat_load_u16 v125, v[125:126]
	s_waitcnt vmcnt(0) lgkmcnt(0)
	v_mul_f16_e32 v125, v46, v125
.LBB273_48:                             ;   in Loop: Header=BB273_34 Depth=1
	s_or_b32 exec_lo, exec_lo, s26
	s_or_b32 s9, s5, s8
	s_delay_alu instid0(SALU_CYCLE_1) | instskip(SKIP_1) | instid1(SALU_CYCLE_1)
	v_cndmask_b32_e64 v126, 0, 0x7c00, s9
	s_or_b32 s9, s3, s9
	s_xor_b32 s9, s9, -1
	s_delay_alu instid0(SALU_CYCLE_1)
	s_and_saveexec_b32 s26, s9
	s_cbranch_execz .LBB273_50
; %bb.49:                               ;   in Loop: Header=BB273_34 Depth=1
	v_add_co_u32 v126, s9, v128, v34
	s_delay_alu instid0(VALU_DEP_1)
	v_add_co_ci_u32_e64 v127, s9, v129, v35, s9
	flat_load_u16 v126, v[126:127]
	s_waitcnt vmcnt(0) lgkmcnt(0)
	v_mul_f16_e32 v126, v46, v126
.LBB273_50:                             ;   in Loop: Header=BB273_34 Depth=1
	s_or_b32 exec_lo, exec_lo, s26
	;; [unrolled: 17-line block ×3, first 2 shown]
	v_pk_add_f16 v130, v12, v28
	v_pk_max_f16 v115, v115, v115
	v_pk_add_f16 v131, v14, v28
	v_pk_max_f16 v114, v114, v114
	;; [unrolled: 2-line block ×3, first 2 shown]
	v_pk_min_f16 v115, v115, v130
	v_pk_add_f16 v130, v10, v28
	v_pk_min_f16 v114, v114, v131
	v_pk_max_f16 v112, v112, v112
	v_pk_min_f16 v113, v113, v132
	v_pk_add_f16 v131, v4, v28
	v_pk_max_f16 v111, v111, v111
	v_pk_add_f16 v132, v6, v28
	v_pk_add_f16 v133, v0, v28
	;; [unrolled: 1-line block ×3, first 2 shown]
	v_pk_max_f16 v108, v108, v108
	v_pk_max_f16 v110, v110, v110
	;; [unrolled: 1-line block ×3, first 2 shown]
	v_pk_min_f16 v112, v112, v130
	v_pk_min_f16 v111, v111, v131
	;; [unrolled: 1-line block ×3, first 2 shown]
	v_pk_add_f16 v108, v12, v30
	v_pk_max_f16 v107, v107, v107
	v_pk_add_f16 v130, v14, v30
	v_pk_max_f16 v106, v106, v106
	;; [unrolled: 2-line block ×3, first 2 shown]
	v_pk_min_f16 v110, v110, v132
	v_pk_min_f16 v109, v109, v133
	v_pk_add_f16 v132, v10, v30
	v_pk_max_f16 v104, v104, v104
	v_pk_add_f16 v133, v4, v30
	v_pk_min_f16 v107, v107, v108
	v_pk_min_f16 v106, v106, v130
	;; [unrolled: 1-line block ×3, first 2 shown]
	v_pk_add_f16 v108, v6, v30
	v_pk_max_f16 v102, v102, v102
	v_pk_add_f16 v130, v0, v30
	v_pk_add_f16 v30, v2, v30
	v_pk_max_f16 v100, v100, v100
	v_pk_add_f16 v131, v12, v24
	v_pk_max_f16 v99, v99, v99
	v_pk_min_f16 v104, v104, v132
	v_pk_max_f16 v101, v101, v101
	v_pk_add_f16 v132, v14, v24
	v_pk_max_f16 v97, v97, v97
	v_pk_min_f16 v102, v102, v108
	v_pk_min_f16 v30, v100, v30
	;; [unrolled: 1-line block ×3, first 2 shown]
	v_pk_add_f16 v100, v8, v24
	v_pk_max_f16 v96, v96, v96
	v_pk_add_f16 v108, v10, v24
	v_pk_max_f16 v95, v95, v95
	;; [unrolled: 2-line block ×3, first 2 shown]
	v_pk_min_f16 v101, v101, v130
	v_pk_min_f16 v97, v97, v132
	v_pk_add_f16 v130, v4, v24
	v_pk_max_f16 v94, v94, v94
	v_pk_add_f16 v132, v0, v24
	v_pk_min_f16 v96, v96, v100
	v_pk_min_f16 v95, v95, v108
	;; [unrolled: 1-line block ×3, first 2 shown]
	v_pk_add_f16 v24, v2, v24
	v_pk_max_f16 v91, v91, v91
	v_pk_add_f16 v100, v12, v26
	v_pk_max_f16 v90, v90, v90
	;; [unrolled: 2-line block ×4, first 2 shown]
	v_pk_min_f16 v94, v94, v130
	v_pk_add_f16 v130, v8, v26
	v_pk_max_f16 v88, v88, v88
	v_pk_min_f16 v24, v91, v24
	v_pk_min_f16 v90, v90, v100
	;; [unrolled: 1-line block ×4, first 2 shown]
	v_pk_add_f16 v87, v4, v26
	v_pk_max_f16 v86, v86, v86
	v_pk_add_f16 v100, v6, v26
	v_pk_max_f16 v84, v84, v84
	;; [unrolled: 2-line block ×4, first 2 shown]
	v_pk_max_f16 v103, v103, v103
	v_pk_min_f16 v88, v88, v130
	v_pk_add_f16 v130, v12, v20
	v_pk_max_f16 v81, v81, v81
	v_pk_min_f16 v131, v86, v87
	v_pk_min_f16 v100, v84, v100
	;; [unrolled: 1-line block ×4, first 2 shown]
	v_pk_add_f16 v82, v8, v20
	v_pk_max_f16 v79, v79, v79
	v_pk_add_f16 v83, v10, v20
	v_pk_max_f16 v78, v78, v78
	;; [unrolled: 2-line block ×4, first 2 shown]
	v_pk_min_f16 v103, v103, v133
	v_pk_min_f16 v130, v81, v130
	v_pk_add_f16 v81, v14, v20
	v_pk_min_f16 v133, v79, v82
	v_pk_min_f16 v134, v78, v83
	;; [unrolled: 1-line block ×4, first 2 shown]
	v_pk_add_f16 v75, v0, v20
	v_pk_add_f16 v20, v2, v20
	v_pk_max_f16 v73, v73, v73
	v_pk_add_f16 v76, v12, v22
	v_pk_max_f16 v72, v72, v72
	;; [unrolled: 2-line block ×4, first 2 shown]
	v_pk_min_f16 v20, v73, v20
	v_pk_min_f16 v138, v72, v76
	;; [unrolled: 1-line block ×3, first 2 shown]
	v_pk_max_f16 v69, v69, v69
	v_pk_min_f16 v140, v70, v79
	v_pk_add_f16 v70, v10, v22
	v_pk_add_f16 v71, v4, v22
	;; [unrolled: 1-line block ×5, first 2 shown]
	v_pk_max_f16 v65, v65, v65
	v_pk_max_f16 v68, v68, v68
	;; [unrolled: 1-line block ×4, first 2 shown]
	v_pk_min_f16 v141, v69, v70
	v_pk_min_f16 v22, v65, v22
	v_pk_add_f16 v65, v12, v16
	v_pk_add_f16 v69, v4, v16
	v_pk_max_f16 v58, v58, v58
	v_pk_add_f16 v12, v12, v18
	v_pk_max_f16 v57, v57, v57
	v_pk_min_f16 v142, v68, v71
	v_pk_min_f16 v143, v67, v72
	;; [unrolled: 1-line block ×3, first 2 shown]
	v_pk_add_f16 v66, v14, v16
	v_pk_add_f16 v67, v8, v16
	;; [unrolled: 1-line block ×3, first 2 shown]
	v_pk_max_f16 v60, v60, v60
	v_pk_min_f16 v149, v58, v69
	v_pk_add_f16 v58, v6, v16
	v_pk_add_f16 v14, v14, v18
	v_pk_max_f16 v55, v55, v55
	v_pk_min_f16 v153, v57, v12
	v_pk_add_f16 v8, v8, v18
	v_pk_max_f16 v12, v54, v54
	v_pk_add_f16 v6, v6, v18
	v_pk_max_f16 v51, v51, v51
	v_pk_min_f16 v148, v60, v68
	v_pk_add_f16 v60, v0, v16
	v_pk_add_f16 v16, v2, v16
	v_pk_min_f16 v154, v55, v14
	v_pk_add_f16 v10, v10, v18
	v_pk_max_f16 v14, v53, v53
	v_pk_min_f16 v155, v12, v8
	v_pk_min_f16 v157, v51, v6
	v_pk_add_f16 v2, v2, v18
	v_pk_max_f16 v6, v49, v49
	v_pk_add_f16 v8, v13, v29
	v_pk_max_f16 v92, v92, v92
	v_pk_max_f16 v80, v80, v80
	v_pk_min_f16 v156, v14, v10
	v_pk_add_f16 v10, v15, v29
	v_pk_add_f16 v12, v9, v29
	v_pk_min_f16 v158, v6, v2
	v_pk_min_f16 v86, v115, v8
	v_pk_add_f16 v2, v5, v29
	v_pk_add_f16 v8, v1, v29
	v_pk_min_f16 v92, v92, v132
	v_pk_min_f16 v132, v80, v81
	v_pk_max_f16 v74, v74, v74
	v_pk_min_f16 v83, v114, v10
	v_pk_min_f16 v81, v113, v12
	v_pk_add_f16 v6, v7, v29
	v_pk_add_f16 v10, v3, v29
	v_pk_add_f16 v12, v13, v31
	v_pk_min_f16 v87, v111, v2
	v_pk_min_f16 v82, v109, v8
	v_pk_add_f16 v2, v15, v31
	v_pk_add_f16 v8, v11, v31
	v_pk_min_f16 v137, v74, v75
	v_pk_max_f16 v63, v63, v63
	v_pk_min_f16 v84, v110, v6
	v_pk_min_f16 v78, v28, v10
	;; [unrolled: 1-line block ×3, first 2 shown]
	v_pk_add_f16 v6, v9, v31
	v_pk_add_f16 v10, v5, v31
	;; [unrolled: 1-line block ×3, first 2 shown]
	v_pk_min_f16 v79, v106, v2
	v_pk_min_f16 v75, v104, v8
	v_pk_add_f16 v2, v1, v31
	v_pk_add_f16 v8, v13, v25
	v_pk_max_f16 v64, v64, v64
	v_pk_min_f16 v146, v63, v66
	v_pk_max_f16 v61, v61, v61
	v_pk_min_f16 v76, v105, v6
	v_pk_min_f16 v73, v103, v10
	;; [unrolled: 1-line block ×3, first 2 shown]
	v_pk_add_f16 v6, v3, v31
	v_pk_add_f16 v10, v15, v25
	;; [unrolled: 1-line block ×3, first 2 shown]
	v_pk_min_f16 v74, v101, v2
	v_pk_min_f16 v70, v99, v8
	v_pk_add_f16 v2, v11, v25
	v_pk_add_f16 v8, v7, v25
	v_pk_max_f16 v62, v62, v62
	v_pk_min_f16 v145, v64, v65
	v_pk_max_f16 v56, v56, v56
	v_pk_min_f16 v151, v61, v60
	v_pk_min_f16 v72, v30, v6
	;; [unrolled: 1-line block ×4, first 2 shown]
	v_pk_add_f16 v6, v5, v25
	v_pk_add_f16 v10, v1, v25
	;; [unrolled: 1-line block ×3, first 2 shown]
	v_pk_min_f16 v69, v95, v2
	v_pk_min_f16 v65, v93, v8
	v_pk_add_f16 v2, v13, v27
	v_pk_add_f16 v8, v9, v27
	v_pk_min_f16 v147, v62, v67
	v_pk_max_f16 v59, v59, v59
	v_pk_min_f16 v150, v56, v58
	v_pk_min_f16 v67, v94, v6
	;; [unrolled: 1-line block ×4, first 2 shown]
	v_pk_add_f16 v6, v15, v27
	v_pk_add_f16 v10, v11, v27
	;; [unrolled: 1-line block ×3, first 2 shown]
	v_pk_min_f16 v64, v90, v2
	v_pk_min_f16 v60, v88, v8
	v_pk_add_f16 v2, v7, v27
	v_pk_add_f16 v8, v3, v27
	v_pk_min_f16 v152, v59, v16
	v_pk_add_f16 v0, v0, v18
	v_pk_max_f16 v50, v50, v50
	v_pk_min_f16 v62, v89, v6
	v_pk_min_f16 v58, v91, v10
	;; [unrolled: 1-line block ×3, first 2 shown]
	v_pk_add_f16 v6, v1, v27
	v_pk_add_f16 v10, v13, v21
	;; [unrolled: 1-line block ×3, first 2 shown]
	v_pk_min_f16 v59, v100, v2
	v_pk_min_f16 v55, v26, v8
	v_pk_add_f16 v2, v9, v21
	v_pk_add_f16 v8, v5, v21
	v_pk_min_f16 v0, v50, v0
	v_pk_add_f16 v14, v11, v29
	v_pk_min_f16 v57, v108, v6
	v_pk_min_f16 v53, v130, v10
	;; [unrolled: 1-line block ×3, first 2 shown]
	v_pk_add_f16 v6, v11, v21
	v_pk_add_f16 v10, v7, v21
	v_pk_add_f16 v12, v1, v21
	v_pk_min_f16 v54, v133, v2
	v_pk_min_f16 v50, v135, v8
	v_pk_add_f16 v2, v3, v21
	v_pk_add_f16 v8, v15, v23
	v_pk_max_f16 v16, v52, v52
	v_pk_min_f16 v52, v134, v6
	v_pk_min_f16 v31, v136, v10
	v_pk_min_f16 v24, v137, v12
	v_pk_add_f16 v6, v13, v23
	v_pk_add_f16 v10, v9, v23
	;; [unrolled: 1-line block ×3, first 2 shown]
	v_pk_min_f16 v49, v20, v2
	v_pk_min_f16 v28, v139, v8
	v_pk_add_f16 v2, v5, v23
	v_pk_add_f16 v8, v1, v23
	;; [unrolled: 1-line block ×3, first 2 shown]
	v_pk_min_f16 v30, v138, v6
	v_pk_min_f16 v26, v140, v10
	;; [unrolled: 1-line block ×3, first 2 shown]
	v_pk_add_f16 v6, v7, v23
	v_pk_add_f16 v10, v3, v23
	;; [unrolled: 1-line block ×3, first 2 shown]
	v_pk_min_f16 v27, v142, v2
	v_pk_min_f16 v23, v144, v8
	v_pk_add_f16 v2, v15, v17
	v_pk_add_f16 v8, v11, v17
	v_pk_min_f16 v4, v16, v4
	v_pk_min_f16 v25, v143, v6
	;; [unrolled: 1-line block ×4, first 2 shown]
	v_pk_add_f16 v6, v9, v17
	v_pk_add_f16 v12, v5, v17
	v_pk_add_f16 v88, v7, v17
	v_pk_min_f16 v22, v146, v2
	v_pk_min_f16 v16, v148, v8
	v_pk_add_f16 v2, v1, v17
	v_pk_add_f16 v8, v3, v17
	;; [unrolled: 1-line block ×4, first 2 shown]
	v_pk_min_f16 v80, v112, v14
	v_pk_min_f16 v20, v147, v6
	;; [unrolled: 1-line block ×4, first 2 shown]
	v_pk_add_f16 v88, v9, v19
	v_pk_min_f16 v12, v152, v8
	v_pk_min_f16 v9, v153, v17
	;; [unrolled: 1-line block ×3, first 2 shown]
	v_pk_add_f16 v11, v11, v19
	v_pk_add_f16 v5, v5, v19
	;; [unrolled: 1-line block ×5, first 2 shown]
	s_or_b32 s8, s7, s8
	v_pk_min_f16 v13, v151, v2
	v_pk_min_f16 v2, v155, v88
	;; [unrolled: 1-line block ×7, first 2 shown]
	v_cndmask_b32_e64 v0, 0, 0x7c00, s8
	s_or_b32 s8, s3, s8
	s_delay_alu instid0(SALU_CYCLE_1) | instskip(NEXT) | instid1(SALU_CYCLE_1)
	s_xor_b32 s8, s8, -1
	s_and_saveexec_b32 s9, s8
	s_cbranch_execz .LBB273_33
; %bb.53:                               ;   in Loop: Header=BB273_34 Depth=1
	v_add_co_u32 v88, s8, v128, v42
	s_delay_alu instid0(VALU_DEP_1)
	v_add_co_ci_u32_e64 v89, s8, v129, v43, s8
	flat_load_u16 v0, v[88:89]
	s_waitcnt vmcnt(0) lgkmcnt(0)
	v_mul_f16_e32 v0, v46, v0
	s_branch .LBB273_33
.LBB273_54:
	s_clause 0x2
	s_load_b64 s[4:5], s[0:1], 0x78
	s_load_b32 s14, s[0:1], 0x58
	s_load_b32 s9, s[0:1], 0x70
	v_add_nc_u32_e32 v0, 0x1000, v77
	v_add_nc_u32_e32 v4, 0x800, v85
	;; [unrolled: 1-line block ×4, first 2 shown]
	ds_load_2addr_b64 v[16:19], v0 offset0:64 offset1:72
	ds_load_2addr_b64 v[12:15], v0 offset0:80 offset1:88
	;; [unrolled: 1-line block ×4, first 2 shown]
	ds_load_2addr_b64 v[28:31], v4 offset1:32
	ds_load_2addr_b64 v[24:27], v4 offset0:64 offset1:96
	ds_load_2addr_b64 v[20:23], v4 offset0:128 offset1:160
	;; [unrolled: 1-line block ×3, first 2 shown]
	v_cndmask_b32_e64 v77, 0, 1, s2
	v_cmp_gt_i32_e64 s8, s17, v85
	v_cmp_gt_i32_e64 s0, s16, v32
	v_ashrrev_i32_e32 v33, 31, v32
	s_waitcnt lgkmcnt(0)
	s_mul_i32 s1, s20, s5
	v_mad_i64_i32 v[34:35], null, v85, s14, 0
	v_mad_i64_i32 v[36:37], null, v85, s9, 0
	s_mul_hi_u32 s3, s20, s4
	s_mul_i32 s4, s20, s4
	s_add_i32 s5, s3, s1
	s_delay_alu instid0(SALU_CYCLE_1) | instskip(NEXT) | instid1(VALU_DEP_2)
	s_lshl_b64 s[4:5], s[4:5], 1
	v_lshlrev_b64 v[34:35], 1, v[34:35]
	s_delay_alu instid0(VALU_DEP_2) | instskip(SKIP_3) | instid1(VALU_DEP_2)
	v_lshlrev_b64 v[36:37], 1, v[36:37]
	s_add_u32 s10, s10, s4
	s_addc_u32 s11, s11, s5
	s_and_b32 s1, s0, s8
	v_add_co_u32 v117, vcc_lo, s12, v34
	v_add_co_ci_u32_e32 v118, vcc_lo, s13, v35, vcc_lo
	v_add_co_u32 v98, vcc_lo, s10, v36
	v_add_co_ci_u32_e32 v116, vcc_lo, s11, v37, vcc_lo
	s_and_saveexec_b32 s3, s1
	s_delay_alu instid0(SALU_CYCLE_1)
	s_xor_b32 s1, exec_lo, s3
	s_cbranch_execz .LBB273_59
; %bb.55:
	s_and_not1_b32 vcc_lo, exec_lo, s2
	s_cbranch_vccnz .LBB273_57
; %bb.56:
	v_lshlrev_b64 v[34:35], 1, v[32:33]
	s_delay_alu instid0(VALU_DEP_1) | instskip(NEXT) | instid1(VALU_DEP_2)
	v_add_co_u32 v34, vcc_lo, v117, v34
	v_add_co_ci_u32_e32 v35, vcc_lo, v118, v35, vcc_lo
	flat_load_u16 v34, v[34:35]
	s_waitcnt vmcnt(0) lgkmcnt(0)
	v_mul_f16_e32 v34, v48, v34
	s_branch .LBB273_58
.LBB273_57:
	v_mov_b32_e32 v34, 0
.LBB273_58:
	v_pk_add_f16 v35, v16, v28
	v_pk_max_f16 v36, v115, v115
	v_pk_add_f16 v37, v17, v29
	s_delay_alu instid0(VALU_DEP_2) | instskip(NEXT) | instid1(VALU_DEP_1)
	v_pk_min_f16 v35, v36, v35
	v_pk_min_f16 v37, v35, v37
	v_lshlrev_b64 v[35:36], 1, v[32:33]
	s_delay_alu instid0(VALU_DEP_2) | instskip(NEXT) | instid1(VALU_DEP_1)
	v_lshrrev_b32_e32 v38, 16, v37
	v_min3_f16 v37, v34, v37, v38
	s_delay_alu instid0(VALU_DEP_3) | instskip(NEXT) | instid1(VALU_DEP_4)
	v_add_co_u32 v34, vcc_lo, v98, v35
	v_add_co_ci_u32_e32 v35, vcc_lo, v116, v36, vcc_lo
	global_store_b16 v[34:35], v37, off
.LBB273_59:
	s_or_b32 exec_lo, exec_lo, s1
	v_add_nc_u32_e32 v34, 8, v32
	s_delay_alu instid0(VALU_DEP_1) | instskip(SKIP_1) | instid1(VALU_DEP_2)
	v_cmp_gt_i32_e64 s1, s16, v34
	v_ashrrev_i32_e32 v35, 31, v34
	s_and_b32 s3, s1, s8
	s_delay_alu instid0(SALU_CYCLE_1)
	s_and_saveexec_b32 s2, s3
	s_cbranch_execz .LBB273_64
; %bb.60:
	v_cmp_ne_u32_e32 vcc_lo, 1, v77
	s_cbranch_vccnz .LBB273_62
; %bb.61:
	v_lshlrev_b64 v[36:37], 1, v[34:35]
	s_delay_alu instid0(VALU_DEP_1) | instskip(NEXT) | instid1(VALU_DEP_2)
	v_add_co_u32 v36, vcc_lo, v117, v36
	v_add_co_ci_u32_e32 v37, vcc_lo, v118, v37, vcc_lo
	flat_load_u16 v36, v[36:37]
	s_waitcnt vmcnt(0) lgkmcnt(0)
	v_mul_f16_e32 v36, v48, v36
	s_branch .LBB273_63
.LBB273_62:
	v_mov_b32_e32 v36, 0
.LBB273_63:
	v_pk_add_f16 v37, v18, v28
	v_pk_max_f16 v38, v114, v114
	v_pk_add_f16 v39, v19, v29
	s_delay_alu instid0(VALU_DEP_2) | instskip(NEXT) | instid1(VALU_DEP_1)
	v_pk_min_f16 v37, v38, v37
	v_pk_min_f16 v39, v37, v39
	v_lshlrev_b64 v[37:38], 1, v[34:35]
	s_delay_alu instid0(VALU_DEP_2) | instskip(NEXT) | instid1(VALU_DEP_1)
	v_lshrrev_b32_e32 v40, 16, v39
	v_min3_f16 v39, v36, v39, v40
	s_delay_alu instid0(VALU_DEP_3) | instskip(NEXT) | instid1(VALU_DEP_4)
	v_add_co_u32 v36, vcc_lo, v98, v37
	v_add_co_ci_u32_e32 v37, vcc_lo, v116, v38, vcc_lo
	global_store_b16 v[36:37], v39, off
.LBB273_64:
	s_or_b32 exec_lo, exec_lo, s2
	v_add_nc_u32_e32 v36, 16, v32
	s_delay_alu instid0(VALU_DEP_1) | instskip(SKIP_1) | instid1(VALU_DEP_2)
	v_cmp_gt_i32_e64 s2, s16, v36
	v_ashrrev_i32_e32 v37, 31, v36
	s_and_b32 s4, s2, s8
	s_delay_alu instid0(SALU_CYCLE_1)
	s_and_saveexec_b32 s3, s4
	s_cbranch_execz .LBB273_69
; %bb.65:
	v_cmp_ne_u32_e32 vcc_lo, 1, v77
	s_cbranch_vccnz .LBB273_67
; %bb.66:
	v_lshlrev_b64 v[38:39], 1, v[36:37]
	s_delay_alu instid0(VALU_DEP_1) | instskip(NEXT) | instid1(VALU_DEP_2)
	v_add_co_u32 v38, vcc_lo, v117, v38
	v_add_co_ci_u32_e32 v39, vcc_lo, v118, v39, vcc_lo
	flat_load_u16 v38, v[38:39]
	s_waitcnt vmcnt(0) lgkmcnt(0)
	v_mul_f16_e32 v38, v48, v38
	s_branch .LBB273_68
.LBB273_67:
	v_mov_b32_e32 v38, 0
.LBB273_68:
	v_pk_add_f16 v39, v12, v28
	v_pk_max_f16 v40, v113, v113
	v_pk_add_f16 v41, v13, v29
	s_delay_alu instid0(VALU_DEP_2) | instskip(NEXT) | instid1(VALU_DEP_1)
	v_pk_min_f16 v39, v40, v39
	v_pk_min_f16 v41, v39, v41
	v_lshlrev_b64 v[39:40], 1, v[36:37]
	s_delay_alu instid0(VALU_DEP_2) | instskip(NEXT) | instid1(VALU_DEP_1)
	v_lshrrev_b32_e32 v42, 16, v41
	v_min3_f16 v41, v38, v41, v42
	s_delay_alu instid0(VALU_DEP_3) | instskip(NEXT) | instid1(VALU_DEP_4)
	v_add_co_u32 v38, vcc_lo, v98, v39
	v_add_co_ci_u32_e32 v39, vcc_lo, v116, v40, vcc_lo
	global_store_b16 v[38:39], v41, off
.LBB273_69:
	s_or_b32 exec_lo, exec_lo, s3
	v_add_nc_u32_e32 v38, 24, v32
	s_delay_alu instid0(VALU_DEP_1) | instskip(SKIP_1) | instid1(VALU_DEP_2)
	v_cmp_gt_i32_e64 s3, s16, v38
	v_ashrrev_i32_e32 v39, 31, v38
	s_and_b32 s5, s3, s8
	s_delay_alu instid0(SALU_CYCLE_1)
	s_and_saveexec_b32 s4, s5
	s_cbranch_execz .LBB273_74
; %bb.70:
	v_cmp_ne_u32_e32 vcc_lo, 1, v77
	s_cbranch_vccnz .LBB273_72
; %bb.71:
	v_lshlrev_b64 v[40:41], 1, v[38:39]
	s_delay_alu instid0(VALU_DEP_1) | instskip(NEXT) | instid1(VALU_DEP_2)
	v_add_co_u32 v40, vcc_lo, v117, v40
	v_add_co_ci_u32_e32 v41, vcc_lo, v118, v41, vcc_lo
	flat_load_u16 v40, v[40:41]
	s_waitcnt vmcnt(0) lgkmcnt(0)
	v_mul_f16_e32 v40, v48, v40
	s_branch .LBB273_73
.LBB273_72:
	v_mov_b32_e32 v40, 0
.LBB273_73:
	v_pk_add_f16 v41, v14, v28
	v_pk_max_f16 v42, v112, v112
	v_pk_add_f16 v43, v15, v29
	s_delay_alu instid0(VALU_DEP_2) | instskip(NEXT) | instid1(VALU_DEP_1)
	v_pk_min_f16 v41, v42, v41
	v_pk_min_f16 v43, v41, v43
	v_lshlrev_b64 v[41:42], 1, v[38:39]
	s_delay_alu instid0(VALU_DEP_2) | instskip(NEXT) | instid1(VALU_DEP_1)
	v_lshrrev_b32_e32 v44, 16, v43
	v_min3_f16 v43, v40, v43, v44
	s_delay_alu instid0(VALU_DEP_3) | instskip(NEXT) | instid1(VALU_DEP_4)
	v_add_co_u32 v40, vcc_lo, v98, v41
	v_add_co_ci_u32_e32 v41, vcc_lo, v116, v42, vcc_lo
	global_store_b16 v[40:41], v43, off
.LBB273_74:
	s_or_b32 exec_lo, exec_lo, s4
	v_add_nc_u32_e32 v40, 32, v32
	s_delay_alu instid0(VALU_DEP_1) | instskip(SKIP_1) | instid1(VALU_DEP_2)
	v_cmp_gt_i32_e64 s4, s16, v40
	v_ashrrev_i32_e32 v41, 31, v40
	s_and_b32 s6, s4, s8
	s_delay_alu instid0(SALU_CYCLE_1)
	s_and_saveexec_b32 s5, s6
	s_cbranch_execz .LBB273_79
; %bb.75:
	v_cmp_ne_u32_e32 vcc_lo, 1, v77
	s_cbranch_vccnz .LBB273_77
; %bb.76:
	v_lshlrev_b64 v[42:43], 1, v[40:41]
	s_delay_alu instid0(VALU_DEP_1) | instskip(NEXT) | instid1(VALU_DEP_2)
	v_add_co_u32 v42, vcc_lo, v117, v42
	v_add_co_ci_u32_e32 v43, vcc_lo, v118, v43, vcc_lo
	flat_load_u16 v42, v[42:43]
	s_waitcnt vmcnt(0) lgkmcnt(0)
	v_mul_f16_e32 v42, v48, v42
	s_branch .LBB273_78
.LBB273_77:
	v_mov_b32_e32 v42, 0
.LBB273_78:
	v_pk_add_f16 v43, v8, v28
	v_pk_max_f16 v44, v111, v111
	v_pk_add_f16 v45, v9, v29
	s_delay_alu instid0(VALU_DEP_2) | instskip(NEXT) | instid1(VALU_DEP_1)
	v_pk_min_f16 v43, v44, v43
	v_pk_min_f16 v45, v43, v45
	v_lshlrev_b64 v[43:44], 1, v[40:41]
	s_delay_alu instid0(VALU_DEP_2) | instskip(NEXT) | instid1(VALU_DEP_1)
	v_lshrrev_b32_e32 v46, 16, v45
	v_min3_f16 v45, v42, v45, v46
	s_delay_alu instid0(VALU_DEP_3) | instskip(NEXT) | instid1(VALU_DEP_4)
	v_add_co_u32 v42, vcc_lo, v98, v43
	v_add_co_ci_u32_e32 v43, vcc_lo, v116, v44, vcc_lo
	global_store_b16 v[42:43], v45, off
.LBB273_79:
	s_or_b32 exec_lo, exec_lo, s5
	v_add_nc_u32_e32 v42, 40, v32
	s_delay_alu instid0(VALU_DEP_1) | instskip(SKIP_1) | instid1(VALU_DEP_2)
	v_cmp_gt_i32_e64 s5, s16, v42
	v_ashrrev_i32_e32 v43, 31, v42
	s_and_b32 s7, s5, s8
	s_delay_alu instid0(SALU_CYCLE_1)
	s_and_saveexec_b32 s6, s7
	s_cbranch_execz .LBB273_84
; %bb.80:
	v_cmp_ne_u32_e32 vcc_lo, 1, v77
	s_cbranch_vccnz .LBB273_82
; %bb.81:
	v_lshlrev_b64 v[44:45], 1, v[42:43]
	s_delay_alu instid0(VALU_DEP_1) | instskip(NEXT) | instid1(VALU_DEP_2)
	v_add_co_u32 v44, vcc_lo, v117, v44
	v_add_co_ci_u32_e32 v45, vcc_lo, v118, v45, vcc_lo
	flat_load_u16 v44, v[44:45]
	s_waitcnt vmcnt(0) lgkmcnt(0)
	v_mul_f16_e32 v44, v48, v44
	s_branch .LBB273_83
.LBB273_82:
	v_mov_b32_e32 v44, 0
.LBB273_83:
	v_pk_add_f16 v45, v10, v28
	v_pk_max_f16 v46, v110, v110
	v_pk_add_f16 v47, v11, v29
	s_delay_alu instid0(VALU_DEP_2) | instskip(NEXT) | instid1(VALU_DEP_1)
	v_pk_min_f16 v45, v46, v45
	v_pk_min_f16 v47, v45, v47
	v_lshlrev_b64 v[45:46], 1, v[42:43]
	s_delay_alu instid0(VALU_DEP_2) | instskip(NEXT) | instid1(VALU_DEP_1)
	v_lshrrev_b32_e32 v110, 16, v47
	v_min3_f16 v47, v44, v47, v110
	s_delay_alu instid0(VALU_DEP_3) | instskip(NEXT) | instid1(VALU_DEP_4)
	v_add_co_u32 v44, vcc_lo, v98, v45
	v_add_co_ci_u32_e32 v45, vcc_lo, v116, v46, vcc_lo
	global_store_b16 v[44:45], v47, off
.LBB273_84:
	s_or_b32 exec_lo, exec_lo, s6
	v_add_nc_u32_e32 v44, 48, v32
	s_delay_alu instid0(VALU_DEP_1) | instskip(SKIP_1) | instid1(VALU_DEP_2)
	v_cmp_gt_i32_e64 s6, s16, v44
	v_ashrrev_i32_e32 v45, 31, v44
	s_and_b32 s15, s6, s8
	s_delay_alu instid0(SALU_CYCLE_1)
	s_and_saveexec_b32 s7, s15
	s_cbranch_execz .LBB273_89
; %bb.85:
	v_cmp_ne_u32_e32 vcc_lo, 1, v77
	s_cbranch_vccnz .LBB273_87
; %bb.86:
	v_lshlrev_b64 v[46:47], 1, v[44:45]
	s_delay_alu instid0(VALU_DEP_1) | instskip(NEXT) | instid1(VALU_DEP_2)
	v_add_co_u32 v46, vcc_lo, v117, v46
	v_add_co_ci_u32_e32 v47, vcc_lo, v118, v47, vcc_lo
	flat_load_u16 v46, v[46:47]
	s_waitcnt vmcnt(0) lgkmcnt(0)
	v_mul_f16_e32 v46, v48, v46
	s_branch .LBB273_88
.LBB273_87:
	v_mov_b32_e32 v46, 0
.LBB273_88:
	v_pk_add_f16 v47, v0, v28
	v_pk_max_f16 v109, v109, v109
	v_pk_add_f16 v110, v1, v29
	s_delay_alu instid0(VALU_DEP_2) | instskip(NEXT) | instid1(VALU_DEP_1)
	v_pk_min_f16 v47, v109, v47
	v_pk_min_f16 v47, v47, v110
	v_lshlrev_b64 v[109:110], 1, v[44:45]
	s_delay_alu instid0(VALU_DEP_2) | instskip(NEXT) | instid1(VALU_DEP_1)
	v_lshrrev_b32_e32 v111, 16, v47
	v_min3_f16 v111, v46, v47, v111
	s_delay_alu instid0(VALU_DEP_3) | instskip(NEXT) | instid1(VALU_DEP_4)
	v_add_co_u32 v46, vcc_lo, v98, v109
	v_add_co_ci_u32_e32 v47, vcc_lo, v116, v110, vcc_lo
	global_store_b16 v[46:47], v111, off
.LBB273_89:
	s_or_b32 exec_lo, exec_lo, s7
	v_add_nc_u32_e32 v46, 56, v32
	s_delay_alu instid0(VALU_DEP_1) | instskip(SKIP_1) | instid1(VALU_DEP_2)
	v_cmp_gt_i32_e64 s7, s16, v46
	v_ashrrev_i32_e32 v47, 31, v46
	s_and_b32 s15, s7, s8
	s_delay_alu instid0(SALU_CYCLE_1)
	s_and_saveexec_b32 s8, s15
	s_cbranch_execz .LBB273_94
; %bb.90:
	v_cmp_ne_u32_e32 vcc_lo, 1, v77
	s_cbranch_vccnz .LBB273_92
; %bb.91:
	v_lshlrev_b64 v[109:110], 1, v[46:47]
	s_delay_alu instid0(VALU_DEP_1) | instskip(NEXT) | instid1(VALU_DEP_2)
	v_add_co_u32 v109, vcc_lo, v117, v109
	v_add_co_ci_u32_e32 v110, vcc_lo, v118, v110, vcc_lo
	flat_load_u16 v109, v[109:110]
	s_waitcnt vmcnt(0) lgkmcnt(0)
	v_mul_f16_e32 v109, v48, v109
	s_branch .LBB273_93
.LBB273_92:
	v_mov_b32_e32 v109, 0
.LBB273_93:
	v_pk_add_f16 v28, v2, v28
	v_pk_max_f16 v108, v108, v108
	v_pk_add_f16 v29, v3, v29
	s_delay_alu instid0(VALU_DEP_2) | instskip(NEXT) | instid1(VALU_DEP_1)
	v_pk_min_f16 v28, v108, v28
	v_pk_min_f16 v108, v28, v29
	v_lshlrev_b64 v[28:29], 1, v[46:47]
	s_delay_alu instid0(VALU_DEP_2) | instskip(NEXT) | instid1(VALU_DEP_2)
	v_lshrrev_b32_e32 v110, 16, v108
	v_add_co_u32 v28, vcc_lo, v98, v28
	s_delay_alu instid0(VALU_DEP_3) | instskip(NEXT) | instid1(VALU_DEP_3)
	v_add_co_ci_u32_e32 v29, vcc_lo, v116, v29, vcc_lo
	v_min3_f16 v108, v109, v108, v110
	global_store_b16 v[28:29], v108, off
.LBB273_94:
	s_or_b32 exec_lo, exec_lo, s8
	v_add_nc_u32_e32 v98, 32, v85
	s_delay_alu instid0(VALU_DEP_1) | instskip(SKIP_2) | instid1(VALU_DEP_3)
	v_mad_i64_i32 v[28:29], null, v98, s14, 0
	v_mad_i64_i32 v[108:109], null, v98, s9, 0
	v_cmp_gt_i32_e64 s8, s17, v98
	v_lshlrev_b64 v[28:29], 1, v[28:29]
	s_delay_alu instid0(VALU_DEP_2) | instskip(NEXT) | instid1(VALU_DEP_3)
	s_and_b32 s16, s0, s8
	v_lshlrev_b64 v[109:110], 1, v[108:109]
	s_delay_alu instid0(VALU_DEP_2) | instskip(NEXT) | instid1(VALU_DEP_3)
	v_add_co_u32 v98, vcc_lo, s12, v28
	v_add_co_ci_u32_e32 v108, vcc_lo, s13, v29, vcc_lo
	s_delay_alu instid0(VALU_DEP_3) | instskip(NEXT) | instid1(VALU_DEP_4)
	v_add_co_u32 v28, vcc_lo, s10, v109
	v_add_co_ci_u32_e32 v29, vcc_lo, s11, v110, vcc_lo
	s_and_saveexec_b32 s15, s16
	s_cbranch_execnz .LBB273_102
; %bb.95:
	s_or_b32 exec_lo, exec_lo, s15
	s_and_b32 s16, s1, s8
	s_delay_alu instid0(SALU_CYCLE_1)
	s_and_saveexec_b32 s15, s16
	s_cbranch_execnz .LBB273_106
.LBB273_96:
	s_or_b32 exec_lo, exec_lo, s15
	s_and_b32 s16, s2, s8
	s_delay_alu instid0(SALU_CYCLE_1)
	s_and_saveexec_b32 s15, s16
	s_cbranch_execnz .LBB273_110
.LBB273_97:
	s_or_b32 exec_lo, exec_lo, s15
	s_and_b32 s16, s3, s8
	s_delay_alu instid0(SALU_CYCLE_1)
	s_and_saveexec_b32 s15, s16
	s_cbranch_execnz .LBB273_114
.LBB273_98:
	s_or_b32 exec_lo, exec_lo, s15
	s_and_b32 s16, s4, s8
	s_delay_alu instid0(SALU_CYCLE_1)
	s_and_saveexec_b32 s15, s16
	s_cbranch_execnz .LBB273_118
.LBB273_99:
	s_or_b32 exec_lo, exec_lo, s15
	s_and_b32 s16, s5, s8
	s_delay_alu instid0(SALU_CYCLE_1)
	s_and_saveexec_b32 s15, s16
	s_cbranch_execnz .LBB273_122
.LBB273_100:
	s_or_b32 exec_lo, exec_lo, s15
	s_and_b32 s16, s6, s8
	s_delay_alu instid0(SALU_CYCLE_1)
	s_and_saveexec_b32 s15, s16
	s_cbranch_execnz .LBB273_126
.LBB273_101:
	s_or_b32 exec_lo, exec_lo, s15
	s_and_b32 s15, s7, s8
	s_delay_alu instid0(SALU_CYCLE_1)
	s_and_saveexec_b32 s8, s15
	s_cbranch_execnz .LBB273_130
	s_branch .LBB273_134
.LBB273_102:
	v_cmp_ne_u32_e32 vcc_lo, 1, v77
	s_cbranch_vccnz .LBB273_104
; %bb.103:
	v_lshlrev_b64 v[109:110], 1, v[32:33]
	s_delay_alu instid0(VALU_DEP_1) | instskip(NEXT) | instid1(VALU_DEP_2)
	v_add_co_u32 v109, vcc_lo, v98, v109
	v_add_co_ci_u32_e32 v110, vcc_lo, v108, v110, vcc_lo
	flat_load_u16 v109, v[109:110]
	s_waitcnt vmcnt(0) lgkmcnt(0)
	v_mul_f16_e32 v109, v48, v109
	s_branch .LBB273_105
.LBB273_104:
	v_mov_b32_e32 v109, 0
.LBB273_105:
	v_pk_add_f16 v110, v16, v30
	v_pk_max_f16 v107, v107, v107
	v_pk_add_f16 v111, v17, v31
	s_delay_alu instid0(VALU_DEP_2) | instskip(NEXT) | instid1(VALU_DEP_1)
	v_pk_min_f16 v107, v107, v110
	v_pk_min_f16 v107, v107, v111
	v_lshlrev_b64 v[110:111], 1, v[32:33]
	s_delay_alu instid0(VALU_DEP_2) | instskip(NEXT) | instid1(VALU_DEP_1)
	v_lshrrev_b32_e32 v112, 16, v107
	v_min3_f16 v107, v109, v107, v112
	s_delay_alu instid0(VALU_DEP_3) | instskip(NEXT) | instid1(VALU_DEP_4)
	v_add_co_u32 v109, vcc_lo, v28, v110
	v_add_co_ci_u32_e32 v110, vcc_lo, v29, v111, vcc_lo
	global_store_b16 v[109:110], v107, off
	s_or_b32 exec_lo, exec_lo, s15
	s_and_b32 s16, s1, s8
	s_delay_alu instid0(SALU_CYCLE_1)
	s_and_saveexec_b32 s15, s16
	s_cbranch_execz .LBB273_96
.LBB273_106:
	v_cmp_ne_u32_e32 vcc_lo, 1, v77
	s_cbranch_vccnz .LBB273_108
; %bb.107:
	v_lshlrev_b64 v[109:110], 1, v[34:35]
	s_delay_alu instid0(VALU_DEP_1) | instskip(NEXT) | instid1(VALU_DEP_2)
	v_add_co_u32 v109, vcc_lo, v98, v109
	v_add_co_ci_u32_e32 v110, vcc_lo, v108, v110, vcc_lo
	flat_load_u16 v107, v[109:110]
	s_waitcnt vmcnt(0) lgkmcnt(0)
	v_mul_f16_e32 v107, v48, v107
	s_branch .LBB273_109
.LBB273_108:
	v_mov_b32_e32 v107, 0
.LBB273_109:
	v_pk_add_f16 v109, v18, v30
	v_pk_max_f16 v106, v106, v106
	v_pk_add_f16 v110, v19, v31
	s_delay_alu instid0(VALU_DEP_2) | instskip(NEXT) | instid1(VALU_DEP_1)
	v_pk_min_f16 v106, v106, v109
	v_pk_min_f16 v106, v106, v110
	v_lshlrev_b64 v[109:110], 1, v[34:35]
	s_delay_alu instid0(VALU_DEP_2) | instskip(NEXT) | instid1(VALU_DEP_1)
	v_lshrrev_b32_e32 v111, 16, v106
	v_min3_f16 v111, v107, v106, v111
	s_delay_alu instid0(VALU_DEP_3) | instskip(NEXT) | instid1(VALU_DEP_4)
	v_add_co_u32 v106, vcc_lo, v28, v109
	v_add_co_ci_u32_e32 v107, vcc_lo, v29, v110, vcc_lo
	global_store_b16 v[106:107], v111, off
	s_or_b32 exec_lo, exec_lo, s15
	s_and_b32 s16, s2, s8
	s_delay_alu instid0(SALU_CYCLE_1)
	s_and_saveexec_b32 s15, s16
	s_cbranch_execz .LBB273_97
.LBB273_110:
	v_cmp_ne_u32_e32 vcc_lo, 1, v77
	s_cbranch_vccnz .LBB273_112
; %bb.111:
	v_lshlrev_b64 v[106:107], 1, v[36:37]
	s_delay_alu instid0(VALU_DEP_1) | instskip(NEXT) | instid1(VALU_DEP_2)
	v_add_co_u32 v106, vcc_lo, v98, v106
	v_add_co_ci_u32_e32 v107, vcc_lo, v108, v107, vcc_lo
	flat_load_u16 v106, v[106:107]
	s_waitcnt vmcnt(0) lgkmcnt(0)
	v_mul_f16_e32 v106, v48, v106
	s_branch .LBB273_113
.LBB273_112:
	v_mov_b32_e32 v106, 0
.LBB273_113:
	v_pk_add_f16 v107, v12, v30
	v_pk_max_f16 v105, v105, v105
	v_pk_add_f16 v109, v13, v31
	s_delay_alu instid0(VALU_DEP_2) | instskip(NEXT) | instid1(VALU_DEP_1)
	v_pk_min_f16 v105, v105, v107
	v_pk_min_f16 v105, v105, v109
	v_lshlrev_b64 v[109:110], 1, v[36:37]
	s_delay_alu instid0(VALU_DEP_2) | instskip(NEXT) | instid1(VALU_DEP_1)
	v_lshrrev_b32_e32 v107, 16, v105
	v_min3_f16 v107, v106, v105, v107
	s_delay_alu instid0(VALU_DEP_3) | instskip(NEXT) | instid1(VALU_DEP_4)
	v_add_co_u32 v105, vcc_lo, v28, v109
	v_add_co_ci_u32_e32 v106, vcc_lo, v29, v110, vcc_lo
	global_store_b16 v[105:106], v107, off
	s_or_b32 exec_lo, exec_lo, s15
	s_and_b32 s16, s3, s8
	s_delay_alu instid0(SALU_CYCLE_1)
	s_and_saveexec_b32 s15, s16
	s_cbranch_execz .LBB273_98
.LBB273_114:
	v_cmp_ne_u32_e32 vcc_lo, 1, v77
	s_cbranch_vccnz .LBB273_116
; %bb.115:
	v_lshlrev_b64 v[105:106], 1, v[38:39]
	s_delay_alu instid0(VALU_DEP_1) | instskip(NEXT) | instid1(VALU_DEP_2)
	v_add_co_u32 v105, vcc_lo, v98, v105
	v_add_co_ci_u32_e32 v106, vcc_lo, v108, v106, vcc_lo
	flat_load_u16 v105, v[105:106]
	s_waitcnt vmcnt(0) lgkmcnt(0)
	v_mul_f16_e32 v105, v48, v105
	s_branch .LBB273_117
.LBB273_116:
	v_mov_b32_e32 v105, 0
.LBB273_117:
	v_pk_add_f16 v106, v14, v30
	v_pk_max_f16 v104, v104, v104
	v_pk_add_f16 v107, v15, v31
	s_delay_alu instid0(VALU_DEP_2) | instskip(NEXT) | instid1(VALU_DEP_1)
	v_pk_min_f16 v104, v104, v106
	v_pk_min_f16 v104, v104, v107
	v_lshlrev_b64 v[106:107], 1, v[38:39]
	s_delay_alu instid0(VALU_DEP_2) | instskip(NEXT) | instid1(VALU_DEP_1)
	v_lshrrev_b32_e32 v109, 16, v104
	v_min3_f16 v109, v105, v104, v109
	s_delay_alu instid0(VALU_DEP_3) | instskip(NEXT) | instid1(VALU_DEP_4)
	v_add_co_u32 v104, vcc_lo, v28, v106
	v_add_co_ci_u32_e32 v105, vcc_lo, v29, v107, vcc_lo
	global_store_b16 v[104:105], v109, off
	s_or_b32 exec_lo, exec_lo, s15
	s_and_b32 s16, s4, s8
	s_delay_alu instid0(SALU_CYCLE_1)
	s_and_saveexec_b32 s15, s16
	s_cbranch_execz .LBB273_99
.LBB273_118:
	v_cmp_ne_u32_e32 vcc_lo, 1, v77
	s_cbranch_vccnz .LBB273_120
; %bb.119:
	v_lshlrev_b64 v[104:105], 1, v[40:41]
	s_delay_alu instid0(VALU_DEP_1) | instskip(NEXT) | instid1(VALU_DEP_2)
	v_add_co_u32 v104, vcc_lo, v98, v104
	v_add_co_ci_u32_e32 v105, vcc_lo, v108, v105, vcc_lo
	flat_load_u16 v104, v[104:105]
	s_waitcnt vmcnt(0) lgkmcnt(0)
	v_mul_f16_e32 v104, v48, v104
	s_branch .LBB273_121
.LBB273_120:
	v_mov_b32_e32 v104, 0
.LBB273_121:
	v_pk_add_f16 v105, v8, v30
	v_pk_max_f16 v103, v103, v103
	v_pk_add_f16 v106, v9, v31
	s_delay_alu instid0(VALU_DEP_2) | instskip(NEXT) | instid1(VALU_DEP_1)
	v_pk_min_f16 v103, v103, v105
	v_pk_min_f16 v103, v103, v106
	v_lshlrev_b64 v[105:106], 1, v[40:41]
	s_delay_alu instid0(VALU_DEP_2) | instskip(NEXT) | instid1(VALU_DEP_1)
	v_lshrrev_b32_e32 v107, 16, v103
	v_min3_f16 v107, v104, v103, v107
	s_delay_alu instid0(VALU_DEP_3) | instskip(NEXT) | instid1(VALU_DEP_4)
	v_add_co_u32 v103, vcc_lo, v28, v105
	v_add_co_ci_u32_e32 v104, vcc_lo, v29, v106, vcc_lo
	global_store_b16 v[103:104], v107, off
	s_or_b32 exec_lo, exec_lo, s15
	s_and_b32 s16, s5, s8
	s_delay_alu instid0(SALU_CYCLE_1)
	s_and_saveexec_b32 s15, s16
	s_cbranch_execz .LBB273_100
.LBB273_122:
	v_cmp_ne_u32_e32 vcc_lo, 1, v77
	s_cbranch_vccnz .LBB273_124
; %bb.123:
	v_lshlrev_b64 v[103:104], 1, v[42:43]
	s_delay_alu instid0(VALU_DEP_1) | instskip(NEXT) | instid1(VALU_DEP_2)
	v_add_co_u32 v103, vcc_lo, v98, v103
	v_add_co_ci_u32_e32 v104, vcc_lo, v108, v104, vcc_lo
	flat_load_u16 v103, v[103:104]
	s_waitcnt vmcnt(0) lgkmcnt(0)
	v_mul_f16_e32 v103, v48, v103
	s_branch .LBB273_125
.LBB273_124:
	v_mov_b32_e32 v103, 0
.LBB273_125:
	v_pk_add_f16 v104, v10, v30
	v_pk_max_f16 v102, v102, v102
	v_pk_add_f16 v105, v11, v31
	s_delay_alu instid0(VALU_DEP_2) | instskip(NEXT) | instid1(VALU_DEP_1)
	v_pk_min_f16 v102, v102, v104
	v_pk_min_f16 v102, v102, v105
	v_lshlrev_b64 v[104:105], 1, v[42:43]
	s_delay_alu instid0(VALU_DEP_2) | instskip(NEXT) | instid1(VALU_DEP_1)
	v_lshrrev_b32_e32 v106, 16, v102
	v_min3_f16 v106, v103, v102, v106
	s_delay_alu instid0(VALU_DEP_3) | instskip(NEXT) | instid1(VALU_DEP_4)
	v_add_co_u32 v102, vcc_lo, v28, v104
	v_add_co_ci_u32_e32 v103, vcc_lo, v29, v105, vcc_lo
	global_store_b16 v[102:103], v106, off
	s_or_b32 exec_lo, exec_lo, s15
	s_and_b32 s16, s6, s8
	s_delay_alu instid0(SALU_CYCLE_1)
	s_and_saveexec_b32 s15, s16
	s_cbranch_execz .LBB273_101
.LBB273_126:
	v_cmp_ne_u32_e32 vcc_lo, 1, v77
	s_cbranch_vccnz .LBB273_128
; %bb.127:
	v_lshlrev_b64 v[102:103], 1, v[44:45]
	s_delay_alu instid0(VALU_DEP_1) | instskip(NEXT) | instid1(VALU_DEP_2)
	v_add_co_u32 v102, vcc_lo, v98, v102
	v_add_co_ci_u32_e32 v103, vcc_lo, v108, v103, vcc_lo
	flat_load_u16 v102, v[102:103]
	s_waitcnt vmcnt(0) lgkmcnt(0)
	v_mul_f16_e32 v102, v48, v102
	s_branch .LBB273_129
.LBB273_128:
	v_mov_b32_e32 v102, 0
.LBB273_129:
	v_pk_add_f16 v103, v0, v30
	v_pk_max_f16 v101, v101, v101
	v_pk_add_f16 v104, v1, v31
	s_delay_alu instid0(VALU_DEP_2) | instskip(NEXT) | instid1(VALU_DEP_1)
	v_pk_min_f16 v101, v101, v103
	v_pk_min_f16 v101, v101, v104
	v_lshlrev_b64 v[103:104], 1, v[44:45]
	s_delay_alu instid0(VALU_DEP_2) | instskip(NEXT) | instid1(VALU_DEP_1)
	v_lshrrev_b32_e32 v105, 16, v101
	v_min3_f16 v105, v102, v101, v105
	s_delay_alu instid0(VALU_DEP_3) | instskip(NEXT) | instid1(VALU_DEP_4)
	v_add_co_u32 v101, vcc_lo, v28, v103
	v_add_co_ci_u32_e32 v102, vcc_lo, v29, v104, vcc_lo
	global_store_b16 v[101:102], v105, off
	s_or_b32 exec_lo, exec_lo, s15
	s_and_b32 s15, s7, s8
	s_delay_alu instid0(SALU_CYCLE_1)
	s_and_saveexec_b32 s8, s15
	s_cbranch_execz .LBB273_134
.LBB273_130:
	v_cmp_ne_u32_e32 vcc_lo, 1, v77
	s_cbranch_vccnz .LBB273_132
; %bb.131:
	v_lshlrev_b64 v[101:102], 1, v[46:47]
	s_delay_alu instid0(VALU_DEP_1) | instskip(NEXT) | instid1(VALU_DEP_2)
	v_add_co_u32 v101, vcc_lo, v98, v101
	v_add_co_ci_u32_e32 v102, vcc_lo, v108, v102, vcc_lo
	flat_load_u16 v98, v[101:102]
	s_waitcnt vmcnt(0) lgkmcnt(0)
	v_mul_f16_e32 v98, v48, v98
	s_branch .LBB273_133
.LBB273_132:
	v_mov_b32_e32 v98, 0
.LBB273_133:
	v_pk_add_f16 v30, v2, v30
	v_pk_max_f16 v100, v100, v100
	v_pk_add_f16 v31, v3, v31
	s_delay_alu instid0(VALU_DEP_2) | instskip(NEXT) | instid1(VALU_DEP_1)
	v_pk_min_f16 v30, v100, v30
	v_pk_min_f16 v100, v30, v31
	v_lshlrev_b64 v[30:31], 1, v[46:47]
	s_delay_alu instid0(VALU_DEP_2) | instskip(NEXT) | instid1(VALU_DEP_2)
	v_lshrrev_b32_e32 v101, 16, v100
	v_add_co_u32 v28, vcc_lo, v28, v30
	s_delay_alu instid0(VALU_DEP_3) | instskip(NEXT) | instid1(VALU_DEP_3)
	v_add_co_ci_u32_e32 v29, vcc_lo, v29, v31, vcc_lo
	v_min3_f16 v98, v98, v100, v101
	global_store_b16 v[28:29], v98, off
.LBB273_134:
	s_or_b32 exec_lo, exec_lo, s8
	v_add_nc_u32_e32 v98, 64, v85
	s_delay_alu instid0(VALU_DEP_1) | instskip(SKIP_2) | instid1(VALU_DEP_3)
	v_mad_i64_i32 v[28:29], null, v98, s14, 0
	v_mad_i64_i32 v[30:31], null, v98, s9, 0
	v_cmp_gt_i32_e64 s8, s17, v98
	v_lshlrev_b64 v[28:29], 1, v[28:29]
	s_delay_alu instid0(VALU_DEP_2) | instskip(NEXT) | instid1(VALU_DEP_3)
	s_and_b32 s16, s0, s8
	v_lshlrev_b64 v[100:101], 1, v[30:31]
	s_delay_alu instid0(VALU_DEP_2) | instskip(NEXT) | instid1(VALU_DEP_3)
	v_add_co_u32 v30, vcc_lo, s12, v28
	v_add_co_ci_u32_e32 v31, vcc_lo, s13, v29, vcc_lo
	s_delay_alu instid0(VALU_DEP_3) | instskip(NEXT) | instid1(VALU_DEP_4)
	v_add_co_u32 v28, vcc_lo, s10, v100
	v_add_co_ci_u32_e32 v29, vcc_lo, s11, v101, vcc_lo
	s_and_saveexec_b32 s15, s16
	s_cbranch_execnz .LBB273_142
; %bb.135:
	s_or_b32 exec_lo, exec_lo, s15
	s_and_b32 s16, s1, s8
	s_delay_alu instid0(SALU_CYCLE_1)
	s_and_saveexec_b32 s15, s16
	s_cbranch_execnz .LBB273_146
.LBB273_136:
	s_or_b32 exec_lo, exec_lo, s15
	s_and_b32 s16, s2, s8
	s_delay_alu instid0(SALU_CYCLE_1)
	s_and_saveexec_b32 s15, s16
	s_cbranch_execnz .LBB273_150
.LBB273_137:
	s_or_b32 exec_lo, exec_lo, s15
	s_and_b32 s16, s3, s8
	s_delay_alu instid0(SALU_CYCLE_1)
	s_and_saveexec_b32 s15, s16
	s_cbranch_execnz .LBB273_154
.LBB273_138:
	s_or_b32 exec_lo, exec_lo, s15
	s_and_b32 s16, s4, s8
	s_delay_alu instid0(SALU_CYCLE_1)
	s_and_saveexec_b32 s15, s16
	s_cbranch_execnz .LBB273_158
.LBB273_139:
	s_or_b32 exec_lo, exec_lo, s15
	s_and_b32 s16, s5, s8
	s_delay_alu instid0(SALU_CYCLE_1)
	s_and_saveexec_b32 s15, s16
	s_cbranch_execnz .LBB273_162
.LBB273_140:
	s_or_b32 exec_lo, exec_lo, s15
	s_and_b32 s16, s6, s8
	s_delay_alu instid0(SALU_CYCLE_1)
	s_and_saveexec_b32 s15, s16
	s_cbranch_execnz .LBB273_166
.LBB273_141:
	s_or_b32 exec_lo, exec_lo, s15
	s_and_b32 s15, s7, s8
	s_delay_alu instid0(SALU_CYCLE_1)
	s_and_saveexec_b32 s8, s15
	s_cbranch_execnz .LBB273_170
	s_branch .LBB273_174
.LBB273_142:
	v_cmp_ne_u32_e32 vcc_lo, 1, v77
	s_cbranch_vccnz .LBB273_144
; %bb.143:
	v_lshlrev_b64 v[100:101], 1, v[32:33]
	s_delay_alu instid0(VALU_DEP_1) | instskip(NEXT) | instid1(VALU_DEP_2)
	v_add_co_u32 v100, vcc_lo, v30, v100
	v_add_co_ci_u32_e32 v101, vcc_lo, v31, v101, vcc_lo
	flat_load_u16 v98, v[100:101]
	s_waitcnt vmcnt(0) lgkmcnt(0)
	v_mul_f16_e32 v98, v48, v98
	s_branch .LBB273_145
.LBB273_144:
	v_mov_b32_e32 v98, 0
.LBB273_145:
	v_pk_add_f16 v100, v16, v24
	v_pk_max_f16 v99, v99, v99
	v_pk_add_f16 v101, v17, v25
	s_delay_alu instid0(VALU_DEP_2) | instskip(NEXT) | instid1(VALU_DEP_1)
	v_pk_min_f16 v99, v99, v100
	v_pk_min_f16 v101, v99, v101
	v_lshlrev_b64 v[99:100], 1, v[32:33]
	s_delay_alu instid0(VALU_DEP_2) | instskip(NEXT) | instid1(VALU_DEP_1)
	v_lshrrev_b32_e32 v102, 16, v101
	v_min3_f16 v101, v98, v101, v102
	s_delay_alu instid0(VALU_DEP_3) | instskip(NEXT) | instid1(VALU_DEP_4)
	v_add_co_u32 v98, vcc_lo, v28, v99
	v_add_co_ci_u32_e32 v99, vcc_lo, v29, v100, vcc_lo
	global_store_b16 v[98:99], v101, off
	s_or_b32 exec_lo, exec_lo, s15
	s_and_b32 s16, s1, s8
	s_delay_alu instid0(SALU_CYCLE_1)
	s_and_saveexec_b32 s15, s16
	s_cbranch_execz .LBB273_136
.LBB273_146:
	v_cmp_ne_u32_e32 vcc_lo, 1, v77
	s_cbranch_vccnz .LBB273_148
; %bb.147:
	v_lshlrev_b64 v[98:99], 1, v[34:35]
	s_delay_alu instid0(VALU_DEP_1) | instskip(NEXT) | instid1(VALU_DEP_2)
	v_add_co_u32 v98, vcc_lo, v30, v98
	v_add_co_ci_u32_e32 v99, vcc_lo, v31, v99, vcc_lo
	flat_load_u16 v98, v[98:99]
	s_waitcnt vmcnt(0) lgkmcnt(0)
	v_mul_f16_e32 v98, v48, v98
	s_branch .LBB273_149
.LBB273_148:
	v_mov_b32_e32 v98, 0
.LBB273_149:
	v_pk_add_f16 v99, v18, v24
	v_pk_max_f16 v97, v97, v97
	v_pk_add_f16 v100, v19, v25
	s_delay_alu instid0(VALU_DEP_2) | instskip(NEXT) | instid1(VALU_DEP_1)
	v_pk_min_f16 v97, v97, v99
	v_pk_min_f16 v97, v97, v100
	v_lshlrev_b64 v[99:100], 1, v[34:35]
	s_delay_alu instid0(VALU_DEP_2) | instskip(NEXT) | instid1(VALU_DEP_1)
	v_lshrrev_b32_e32 v101, 16, v97
	v_min3_f16 v101, v98, v97, v101
	s_delay_alu instid0(VALU_DEP_3) | instskip(NEXT) | instid1(VALU_DEP_4)
	v_add_co_u32 v97, vcc_lo, v28, v99
	v_add_co_ci_u32_e32 v98, vcc_lo, v29, v100, vcc_lo
	global_store_b16 v[97:98], v101, off
	s_or_b32 exec_lo, exec_lo, s15
	s_and_b32 s16, s2, s8
	s_delay_alu instid0(SALU_CYCLE_1)
	s_and_saveexec_b32 s15, s16
	s_cbranch_execz .LBB273_137
.LBB273_150:
	v_cmp_ne_u32_e32 vcc_lo, 1, v77
	s_cbranch_vccnz .LBB273_152
; %bb.151:
	v_lshlrev_b64 v[97:98], 1, v[36:37]
	s_delay_alu instid0(VALU_DEP_1) | instskip(NEXT) | instid1(VALU_DEP_2)
	v_add_co_u32 v97, vcc_lo, v30, v97
	v_add_co_ci_u32_e32 v98, vcc_lo, v31, v98, vcc_lo
	flat_load_u16 v97, v[97:98]
	s_waitcnt vmcnt(0) lgkmcnt(0)
	v_mul_f16_e32 v97, v48, v97
	s_branch .LBB273_153
.LBB273_152:
	v_mov_b32_e32 v97, 0
.LBB273_153:
	v_pk_add_f16 v98, v12, v24
	v_pk_max_f16 v96, v96, v96
	v_pk_add_f16 v99, v13, v25
	s_delay_alu instid0(VALU_DEP_2) | instskip(NEXT) | instid1(VALU_DEP_1)
	v_pk_min_f16 v96, v96, v98
	v_pk_min_f16 v96, v96, v99
	v_lshlrev_b64 v[98:99], 1, v[36:37]
	s_delay_alu instid0(VALU_DEP_2) | instskip(NEXT) | instid1(VALU_DEP_1)
	v_lshrrev_b32_e32 v100, 16, v96
	v_min3_f16 v100, v97, v96, v100
	s_delay_alu instid0(VALU_DEP_3) | instskip(NEXT) | instid1(VALU_DEP_4)
	v_add_co_u32 v96, vcc_lo, v28, v98
	v_add_co_ci_u32_e32 v97, vcc_lo, v29, v99, vcc_lo
	global_store_b16 v[96:97], v100, off
	s_or_b32 exec_lo, exec_lo, s15
	s_and_b32 s16, s3, s8
	s_delay_alu instid0(SALU_CYCLE_1)
	s_and_saveexec_b32 s15, s16
	s_cbranch_execz .LBB273_138
.LBB273_154:
	v_cmp_ne_u32_e32 vcc_lo, 1, v77
	s_cbranch_vccnz .LBB273_156
; %bb.155:
	v_lshlrev_b64 v[96:97], 1, v[38:39]
	s_delay_alu instid0(VALU_DEP_1) | instskip(NEXT) | instid1(VALU_DEP_2)
	v_add_co_u32 v96, vcc_lo, v30, v96
	v_add_co_ci_u32_e32 v97, vcc_lo, v31, v97, vcc_lo
	flat_load_u16 v96, v[96:97]
	s_waitcnt vmcnt(0) lgkmcnt(0)
	v_mul_f16_e32 v96, v48, v96
	s_branch .LBB273_157
.LBB273_156:
	v_mov_b32_e32 v96, 0
.LBB273_157:
	v_pk_add_f16 v97, v14, v24
	v_pk_max_f16 v95, v95, v95
	v_pk_add_f16 v98, v15, v25
	s_delay_alu instid0(VALU_DEP_2) | instskip(NEXT) | instid1(VALU_DEP_1)
	v_pk_min_f16 v95, v95, v97
	v_pk_min_f16 v95, v95, v98
	v_lshlrev_b64 v[97:98], 1, v[38:39]
	s_delay_alu instid0(VALU_DEP_2) | instskip(NEXT) | instid1(VALU_DEP_1)
	v_lshrrev_b32_e32 v99, 16, v95
	v_min3_f16 v99, v96, v95, v99
	s_delay_alu instid0(VALU_DEP_3) | instskip(NEXT) | instid1(VALU_DEP_4)
	v_add_co_u32 v95, vcc_lo, v28, v97
	v_add_co_ci_u32_e32 v96, vcc_lo, v29, v98, vcc_lo
	global_store_b16 v[95:96], v99, off
	s_or_b32 exec_lo, exec_lo, s15
	s_and_b32 s16, s4, s8
	s_delay_alu instid0(SALU_CYCLE_1)
	s_and_saveexec_b32 s15, s16
	s_cbranch_execz .LBB273_139
.LBB273_158:
	v_cmp_ne_u32_e32 vcc_lo, 1, v77
	s_cbranch_vccnz .LBB273_160
; %bb.159:
	v_lshlrev_b64 v[95:96], 1, v[40:41]
	s_delay_alu instid0(VALU_DEP_1) | instskip(NEXT) | instid1(VALU_DEP_2)
	v_add_co_u32 v95, vcc_lo, v30, v95
	v_add_co_ci_u32_e32 v96, vcc_lo, v31, v96, vcc_lo
	flat_load_u16 v95, v[95:96]
	s_waitcnt vmcnt(0) lgkmcnt(0)
	v_mul_f16_e32 v95, v48, v95
	s_branch .LBB273_161
.LBB273_160:
	v_mov_b32_e32 v95, 0
.LBB273_161:
	v_pk_add_f16 v96, v8, v24
	v_pk_max_f16 v94, v94, v94
	v_pk_add_f16 v97, v9, v25
	s_delay_alu instid0(VALU_DEP_2) | instskip(NEXT) | instid1(VALU_DEP_1)
	v_pk_min_f16 v94, v94, v96
	v_pk_min_f16 v94, v94, v97
	v_lshlrev_b64 v[96:97], 1, v[40:41]
	s_delay_alu instid0(VALU_DEP_2) | instskip(NEXT) | instid1(VALU_DEP_1)
	v_lshrrev_b32_e32 v98, 16, v94
	v_min3_f16 v98, v95, v94, v98
	s_delay_alu instid0(VALU_DEP_3) | instskip(NEXT) | instid1(VALU_DEP_4)
	v_add_co_u32 v94, vcc_lo, v28, v96
	v_add_co_ci_u32_e32 v95, vcc_lo, v29, v97, vcc_lo
	global_store_b16 v[94:95], v98, off
	s_or_b32 exec_lo, exec_lo, s15
	s_and_b32 s16, s5, s8
	s_delay_alu instid0(SALU_CYCLE_1)
	s_and_saveexec_b32 s15, s16
	s_cbranch_execz .LBB273_140
.LBB273_162:
	v_cmp_ne_u32_e32 vcc_lo, 1, v77
	s_cbranch_vccnz .LBB273_164
; %bb.163:
	v_lshlrev_b64 v[94:95], 1, v[42:43]
	s_delay_alu instid0(VALU_DEP_1) | instskip(NEXT) | instid1(VALU_DEP_2)
	v_add_co_u32 v94, vcc_lo, v30, v94
	v_add_co_ci_u32_e32 v95, vcc_lo, v31, v95, vcc_lo
	flat_load_u16 v94, v[94:95]
	s_waitcnt vmcnt(0) lgkmcnt(0)
	v_mul_f16_e32 v94, v48, v94
	s_branch .LBB273_165
.LBB273_164:
	v_mov_b32_e32 v94, 0
.LBB273_165:
	v_pk_add_f16 v95, v10, v24
	v_pk_max_f16 v93, v93, v93
	v_pk_add_f16 v96, v11, v25
	s_delay_alu instid0(VALU_DEP_2) | instskip(NEXT) | instid1(VALU_DEP_1)
	v_pk_min_f16 v93, v93, v95
	v_pk_min_f16 v93, v93, v96
	v_lshlrev_b64 v[95:96], 1, v[42:43]
	s_delay_alu instid0(VALU_DEP_2) | instskip(NEXT) | instid1(VALU_DEP_1)
	v_lshrrev_b32_e32 v97, 16, v93
	v_min3_f16 v97, v94, v93, v97
	s_delay_alu instid0(VALU_DEP_3) | instskip(NEXT) | instid1(VALU_DEP_4)
	v_add_co_u32 v93, vcc_lo, v28, v95
	v_add_co_ci_u32_e32 v94, vcc_lo, v29, v96, vcc_lo
	global_store_b16 v[93:94], v97, off
	s_or_b32 exec_lo, exec_lo, s15
	s_and_b32 s16, s6, s8
	s_delay_alu instid0(SALU_CYCLE_1)
	s_and_saveexec_b32 s15, s16
	s_cbranch_execz .LBB273_141
.LBB273_166:
	v_cmp_ne_u32_e32 vcc_lo, 1, v77
	s_cbranch_vccnz .LBB273_168
; %bb.167:
	v_lshlrev_b64 v[93:94], 1, v[44:45]
	s_delay_alu instid0(VALU_DEP_1) | instskip(NEXT) | instid1(VALU_DEP_2)
	v_add_co_u32 v93, vcc_lo, v30, v93
	v_add_co_ci_u32_e32 v94, vcc_lo, v31, v94, vcc_lo
	flat_load_u16 v93, v[93:94]
	s_waitcnt vmcnt(0) lgkmcnt(0)
	v_mul_f16_e32 v93, v48, v93
	s_branch .LBB273_169
.LBB273_168:
	v_mov_b32_e32 v93, 0
.LBB273_169:
	v_pk_add_f16 v94, v0, v24
	v_pk_max_f16 v92, v92, v92
	v_pk_add_f16 v95, v1, v25
	s_delay_alu instid0(VALU_DEP_2) | instskip(NEXT) | instid1(VALU_DEP_1)
	v_pk_min_f16 v92, v92, v94
	v_pk_min_f16 v92, v92, v95
	v_lshlrev_b64 v[94:95], 1, v[44:45]
	s_delay_alu instid0(VALU_DEP_2) | instskip(NEXT) | instid1(VALU_DEP_1)
	v_lshrrev_b32_e32 v96, 16, v92
	v_min3_f16 v96, v93, v92, v96
	s_delay_alu instid0(VALU_DEP_3) | instskip(NEXT) | instid1(VALU_DEP_4)
	v_add_co_u32 v92, vcc_lo, v28, v94
	v_add_co_ci_u32_e32 v93, vcc_lo, v29, v95, vcc_lo
	global_store_b16 v[92:93], v96, off
	s_or_b32 exec_lo, exec_lo, s15
	s_and_b32 s15, s7, s8
	s_delay_alu instid0(SALU_CYCLE_1)
	s_and_saveexec_b32 s8, s15
	s_cbranch_execz .LBB273_174
.LBB273_170:
	v_cmp_ne_u32_e32 vcc_lo, 1, v77
	s_cbranch_vccnz .LBB273_172
; %bb.171:
	v_lshlrev_b64 v[92:93], 1, v[46:47]
	s_delay_alu instid0(VALU_DEP_1) | instskip(NEXT) | instid1(VALU_DEP_2)
	v_add_co_u32 v30, vcc_lo, v30, v92
	v_add_co_ci_u32_e32 v31, vcc_lo, v31, v93, vcc_lo
	flat_load_u16 v30, v[30:31]
	s_waitcnt vmcnt(0) lgkmcnt(0)
	v_mul_f16_e32 v30, v48, v30
	s_branch .LBB273_173
.LBB273_172:
	v_mov_b32_e32 v30, 0
.LBB273_173:
	v_pk_add_f16 v24, v2, v24
	v_pk_max_f16 v31, v91, v91
	v_pk_add_f16 v25, v3, v25
	s_delay_alu instid0(VALU_DEP_2) | instskip(NEXT) | instid1(VALU_DEP_1)
	v_pk_min_f16 v24, v31, v24
	v_pk_min_f16 v31, v24, v25
	v_lshlrev_b64 v[24:25], 1, v[46:47]
	s_delay_alu instid0(VALU_DEP_2) | instskip(NEXT) | instid1(VALU_DEP_2)
	v_lshrrev_b32_e32 v91, 16, v31
	v_add_co_u32 v24, vcc_lo, v28, v24
	s_delay_alu instid0(VALU_DEP_3) | instskip(NEXT) | instid1(VALU_DEP_3)
	v_add_co_ci_u32_e32 v25, vcc_lo, v29, v25, vcc_lo
	v_min3_f16 v30, v30, v31, v91
	global_store_b16 v[24:25], v30, off
.LBB273_174:
	s_or_b32 exec_lo, exec_lo, s8
	v_add_nc_u32_e32 v30, 0x60, v85
	s_delay_alu instid0(VALU_DEP_1) | instskip(SKIP_2) | instid1(VALU_DEP_3)
	v_mad_i64_i32 v[24:25], null, v30, s14, 0
	v_mad_i64_i32 v[28:29], null, v30, s9, 0
	v_cmp_gt_i32_e64 s8, s17, v30
	v_lshlrev_b64 v[24:25], 1, v[24:25]
	s_delay_alu instid0(VALU_DEP_2) | instskip(NEXT) | instid1(VALU_DEP_3)
	s_and_b32 s16, s0, s8
	v_lshlrev_b64 v[30:31], 1, v[28:29]
	s_delay_alu instid0(VALU_DEP_2) | instskip(NEXT) | instid1(VALU_DEP_3)
	v_add_co_u32 v28, vcc_lo, s12, v24
	v_add_co_ci_u32_e32 v29, vcc_lo, s13, v25, vcc_lo
	s_delay_alu instid0(VALU_DEP_3) | instskip(NEXT) | instid1(VALU_DEP_4)
	v_add_co_u32 v24, vcc_lo, s10, v30
	v_add_co_ci_u32_e32 v25, vcc_lo, s11, v31, vcc_lo
	s_and_saveexec_b32 s15, s16
	s_cbranch_execnz .LBB273_182
; %bb.175:
	s_or_b32 exec_lo, exec_lo, s15
	s_and_b32 s16, s1, s8
	s_delay_alu instid0(SALU_CYCLE_1)
	s_and_saveexec_b32 s15, s16
	s_cbranch_execnz .LBB273_186
.LBB273_176:
	s_or_b32 exec_lo, exec_lo, s15
	s_and_b32 s16, s2, s8
	s_delay_alu instid0(SALU_CYCLE_1)
	s_and_saveexec_b32 s15, s16
	s_cbranch_execnz .LBB273_190
.LBB273_177:
	s_or_b32 exec_lo, exec_lo, s15
	s_and_b32 s16, s3, s8
	s_delay_alu instid0(SALU_CYCLE_1)
	s_and_saveexec_b32 s15, s16
	s_cbranch_execnz .LBB273_194
.LBB273_178:
	s_or_b32 exec_lo, exec_lo, s15
	s_and_b32 s16, s4, s8
	s_delay_alu instid0(SALU_CYCLE_1)
	s_and_saveexec_b32 s15, s16
	s_cbranch_execnz .LBB273_198
.LBB273_179:
	s_or_b32 exec_lo, exec_lo, s15
	s_and_b32 s16, s5, s8
	s_delay_alu instid0(SALU_CYCLE_1)
	s_and_saveexec_b32 s15, s16
	s_cbranch_execnz .LBB273_202
.LBB273_180:
	s_or_b32 exec_lo, exec_lo, s15
	s_and_b32 s16, s6, s8
	s_delay_alu instid0(SALU_CYCLE_1)
	s_and_saveexec_b32 s15, s16
	s_cbranch_execnz .LBB273_206
.LBB273_181:
	s_or_b32 exec_lo, exec_lo, s15
	s_and_b32 s15, s7, s8
	s_delay_alu instid0(SALU_CYCLE_1)
	s_and_saveexec_b32 s8, s15
	s_cbranch_execnz .LBB273_210
	s_branch .LBB273_214
.LBB273_182:
	v_cmp_ne_u32_e32 vcc_lo, 1, v77
	s_cbranch_vccnz .LBB273_184
; %bb.183:
	v_lshlrev_b64 v[30:31], 1, v[32:33]
	s_delay_alu instid0(VALU_DEP_1) | instskip(NEXT) | instid1(VALU_DEP_2)
	v_add_co_u32 v30, vcc_lo, v28, v30
	v_add_co_ci_u32_e32 v31, vcc_lo, v29, v31, vcc_lo
	flat_load_u16 v30, v[30:31]
	s_waitcnt vmcnt(0) lgkmcnt(0)
	v_mul_f16_e32 v30, v48, v30
	s_branch .LBB273_185
.LBB273_184:
	v_mov_b32_e32 v30, 0
.LBB273_185:
	v_pk_add_f16 v31, v16, v26
	v_pk_max_f16 v90, v90, v90
	v_pk_add_f16 v91, v17, v27
	s_delay_alu instid0(VALU_DEP_2) | instskip(NEXT) | instid1(VALU_DEP_1)
	v_pk_min_f16 v31, v90, v31
	v_pk_min_f16 v31, v31, v91
	v_lshlrev_b64 v[90:91], 1, v[32:33]
	s_delay_alu instid0(VALU_DEP_2) | instskip(NEXT) | instid1(VALU_DEP_1)
	v_lshrrev_b32_e32 v92, 16, v31
	v_min3_f16 v92, v30, v31, v92
	s_delay_alu instid0(VALU_DEP_3) | instskip(NEXT) | instid1(VALU_DEP_4)
	v_add_co_u32 v30, vcc_lo, v24, v90
	v_add_co_ci_u32_e32 v31, vcc_lo, v25, v91, vcc_lo
	global_store_b16 v[30:31], v92, off
	s_or_b32 exec_lo, exec_lo, s15
	s_and_b32 s16, s1, s8
	s_delay_alu instid0(SALU_CYCLE_1)
	s_and_saveexec_b32 s15, s16
	s_cbranch_execz .LBB273_176
.LBB273_186:
	v_cmp_ne_u32_e32 vcc_lo, 1, v77
	s_cbranch_vccnz .LBB273_188
; %bb.187:
	v_lshlrev_b64 v[30:31], 1, v[34:35]
	s_delay_alu instid0(VALU_DEP_1) | instskip(NEXT) | instid1(VALU_DEP_2)
	v_add_co_u32 v30, vcc_lo, v28, v30
	v_add_co_ci_u32_e32 v31, vcc_lo, v29, v31, vcc_lo
	flat_load_u16 v30, v[30:31]
	s_waitcnt vmcnt(0) lgkmcnt(0)
	v_mul_f16_e32 v30, v48, v30
	s_branch .LBB273_189
.LBB273_188:
	v_mov_b32_e32 v30, 0
.LBB273_189:
	v_pk_add_f16 v31, v18, v26
	v_pk_max_f16 v89, v89, v89
	v_pk_add_f16 v90, v19, v27
	s_delay_alu instid0(VALU_DEP_2) | instskip(NEXT) | instid1(VALU_DEP_1)
	v_pk_min_f16 v31, v89, v31
	v_pk_min_f16 v31, v31, v90
	v_lshlrev_b64 v[89:90], 1, v[34:35]
	s_delay_alu instid0(VALU_DEP_2) | instskip(NEXT) | instid1(VALU_DEP_1)
	v_lshrrev_b32_e32 v91, 16, v31
	v_min3_f16 v91, v30, v31, v91
	s_delay_alu instid0(VALU_DEP_3) | instskip(NEXT) | instid1(VALU_DEP_4)
	v_add_co_u32 v30, vcc_lo, v24, v89
	v_add_co_ci_u32_e32 v31, vcc_lo, v25, v90, vcc_lo
	global_store_b16 v[30:31], v91, off
	s_or_b32 exec_lo, exec_lo, s15
	s_and_b32 s16, s2, s8
	s_delay_alu instid0(SALU_CYCLE_1)
	s_and_saveexec_b32 s15, s16
	s_cbranch_execz .LBB273_177
.LBB273_190:
	v_cmp_ne_u32_e32 vcc_lo, 1, v77
	s_cbranch_vccnz .LBB273_192
; %bb.191:
	v_lshlrev_b64 v[30:31], 1, v[36:37]
	s_delay_alu instid0(VALU_DEP_1) | instskip(NEXT) | instid1(VALU_DEP_2)
	v_add_co_u32 v30, vcc_lo, v28, v30
	v_add_co_ci_u32_e32 v31, vcc_lo, v29, v31, vcc_lo
	flat_load_u16 v30, v[30:31]
	s_waitcnt vmcnt(0) lgkmcnt(0)
	v_mul_f16_e32 v30, v48, v30
	s_branch .LBB273_193
.LBB273_192:
	v_mov_b32_e32 v30, 0
.LBB273_193:
	v_pk_add_f16 v31, v12, v26
	v_pk_max_f16 v88, v88, v88
	v_pk_add_f16 v89, v13, v27
	s_delay_alu instid0(VALU_DEP_2) | instskip(NEXT) | instid1(VALU_DEP_1)
	v_pk_min_f16 v31, v88, v31
	v_pk_min_f16 v31, v31, v89
	v_lshlrev_b64 v[88:89], 1, v[36:37]
	s_delay_alu instid0(VALU_DEP_2) | instskip(NEXT) | instid1(VALU_DEP_1)
	v_lshrrev_b32_e32 v90, 16, v31
	v_min3_f16 v90, v30, v31, v90
	s_delay_alu instid0(VALU_DEP_3) | instskip(NEXT) | instid1(VALU_DEP_4)
	v_add_co_u32 v30, vcc_lo, v24, v88
	v_add_co_ci_u32_e32 v31, vcc_lo, v25, v89, vcc_lo
	global_store_b16 v[30:31], v90, off
	s_or_b32 exec_lo, exec_lo, s15
	s_and_b32 s16, s3, s8
	s_delay_alu instid0(SALU_CYCLE_1)
	s_and_saveexec_b32 s15, s16
	s_cbranch_execz .LBB273_178
.LBB273_194:
	v_cmp_ne_u32_e32 vcc_lo, 1, v77
	s_cbranch_vccnz .LBB273_196
; %bb.195:
	v_lshlrev_b64 v[30:31], 1, v[38:39]
	s_delay_alu instid0(VALU_DEP_1) | instskip(NEXT) | instid1(VALU_DEP_2)
	v_add_co_u32 v30, vcc_lo, v28, v30
	v_add_co_ci_u32_e32 v31, vcc_lo, v29, v31, vcc_lo
	flat_load_u16 v30, v[30:31]
	s_waitcnt vmcnt(0) lgkmcnt(0)
	v_mul_f16_e32 v30, v48, v30
	s_branch .LBB273_197
.LBB273_196:
	v_mov_b32_e32 v30, 0
.LBB273_197:
	v_pk_add_f16 v31, v14, v26
	v_pk_max_f16 v87, v87, v87
	v_pk_add_f16 v88, v15, v27
	s_delay_alu instid0(VALU_DEP_2) | instskip(NEXT) | instid1(VALU_DEP_1)
	v_pk_min_f16 v31, v87, v31
	v_pk_min_f16 v31, v31, v88
	v_lshlrev_b64 v[87:88], 1, v[38:39]
	s_delay_alu instid0(VALU_DEP_2) | instskip(NEXT) | instid1(VALU_DEP_1)
	v_lshrrev_b32_e32 v89, 16, v31
	v_min3_f16 v89, v30, v31, v89
	s_delay_alu instid0(VALU_DEP_3) | instskip(NEXT) | instid1(VALU_DEP_4)
	v_add_co_u32 v30, vcc_lo, v24, v87
	v_add_co_ci_u32_e32 v31, vcc_lo, v25, v88, vcc_lo
	global_store_b16 v[30:31], v89, off
	s_or_b32 exec_lo, exec_lo, s15
	s_and_b32 s16, s4, s8
	s_delay_alu instid0(SALU_CYCLE_1)
	s_and_saveexec_b32 s15, s16
	s_cbranch_execz .LBB273_179
.LBB273_198:
	v_cmp_ne_u32_e32 vcc_lo, 1, v77
	s_cbranch_vccnz .LBB273_200
; %bb.199:
	v_lshlrev_b64 v[30:31], 1, v[40:41]
	s_delay_alu instid0(VALU_DEP_1) | instskip(NEXT) | instid1(VALU_DEP_2)
	v_add_co_u32 v30, vcc_lo, v28, v30
	v_add_co_ci_u32_e32 v31, vcc_lo, v29, v31, vcc_lo
	flat_load_u16 v30, v[30:31]
	s_waitcnt vmcnt(0) lgkmcnt(0)
	v_mul_f16_e32 v30, v48, v30
	s_branch .LBB273_201
.LBB273_200:
	v_mov_b32_e32 v30, 0
.LBB273_201:
	v_pk_add_f16 v31, v8, v26
	v_pk_max_f16 v86, v86, v86
	v_pk_add_f16 v87, v9, v27
	s_delay_alu instid0(VALU_DEP_2) | instskip(NEXT) | instid1(VALU_DEP_1)
	v_pk_min_f16 v31, v86, v31
	v_pk_min_f16 v31, v31, v87
	v_lshlrev_b64 v[86:87], 1, v[40:41]
	s_delay_alu instid0(VALU_DEP_2) | instskip(NEXT) | instid1(VALU_DEP_1)
	v_lshrrev_b32_e32 v88, 16, v31
	v_min3_f16 v88, v30, v31, v88
	s_delay_alu instid0(VALU_DEP_3) | instskip(NEXT) | instid1(VALU_DEP_4)
	v_add_co_u32 v30, vcc_lo, v24, v86
	v_add_co_ci_u32_e32 v31, vcc_lo, v25, v87, vcc_lo
	global_store_b16 v[30:31], v88, off
	s_or_b32 exec_lo, exec_lo, s15
	s_and_b32 s16, s5, s8
	s_delay_alu instid0(SALU_CYCLE_1)
	s_and_saveexec_b32 s15, s16
	s_cbranch_execz .LBB273_180
.LBB273_202:
	v_cmp_ne_u32_e32 vcc_lo, 1, v77
	s_cbranch_vccnz .LBB273_204
; %bb.203:
	v_lshlrev_b64 v[30:31], 1, v[42:43]
	s_delay_alu instid0(VALU_DEP_1) | instskip(NEXT) | instid1(VALU_DEP_2)
	v_add_co_u32 v30, vcc_lo, v28, v30
	v_add_co_ci_u32_e32 v31, vcc_lo, v29, v31, vcc_lo
	flat_load_u16 v30, v[30:31]
	s_waitcnt vmcnt(0) lgkmcnt(0)
	v_mul_f16_e32 v30, v48, v30
	s_branch .LBB273_205
.LBB273_204:
	v_mov_b32_e32 v30, 0
.LBB273_205:
	v_pk_add_f16 v31, v10, v26
	v_pk_max_f16 v84, v84, v84
	v_pk_add_f16 v86, v11, v27
	s_delay_alu instid0(VALU_DEP_2) | instskip(NEXT) | instid1(VALU_DEP_1)
	v_pk_min_f16 v31, v84, v31
	v_pk_min_f16 v31, v31, v86
	v_lshlrev_b64 v[86:87], 1, v[42:43]
	s_delay_alu instid0(VALU_DEP_2) | instskip(NEXT) | instid1(VALU_DEP_1)
	v_lshrrev_b32_e32 v84, 16, v31
	v_min3_f16 v84, v30, v31, v84
	s_delay_alu instid0(VALU_DEP_3) | instskip(NEXT) | instid1(VALU_DEP_4)
	v_add_co_u32 v30, vcc_lo, v24, v86
	v_add_co_ci_u32_e32 v31, vcc_lo, v25, v87, vcc_lo
	global_store_b16 v[30:31], v84, off
	s_or_b32 exec_lo, exec_lo, s15
	s_and_b32 s16, s6, s8
	s_delay_alu instid0(SALU_CYCLE_1)
	s_and_saveexec_b32 s15, s16
	s_cbranch_execz .LBB273_181
.LBB273_206:
	v_cmp_ne_u32_e32 vcc_lo, 1, v77
	s_cbranch_vccnz .LBB273_208
; %bb.207:
	v_lshlrev_b64 v[30:31], 1, v[44:45]
	s_delay_alu instid0(VALU_DEP_1) | instskip(NEXT) | instid1(VALU_DEP_2)
	v_add_co_u32 v30, vcc_lo, v28, v30
	v_add_co_ci_u32_e32 v31, vcc_lo, v29, v31, vcc_lo
	flat_load_u16 v30, v[30:31]
	s_waitcnt vmcnt(0) lgkmcnt(0)
	v_mul_f16_e32 v30, v48, v30
	s_branch .LBB273_209
.LBB273_208:
	v_mov_b32_e32 v30, 0
.LBB273_209:
	v_pk_add_f16 v31, v0, v26
	v_pk_max_f16 v83, v83, v83
	v_pk_add_f16 v84, v1, v27
	s_delay_alu instid0(VALU_DEP_2) | instskip(NEXT) | instid1(VALU_DEP_1)
	v_pk_min_f16 v31, v83, v31
	v_pk_min_f16 v31, v31, v84
	v_lshlrev_b64 v[83:84], 1, v[44:45]
	s_delay_alu instid0(VALU_DEP_2) | instskip(NEXT) | instid1(VALU_DEP_1)
	v_lshrrev_b32_e32 v86, 16, v31
	v_min3_f16 v86, v30, v31, v86
	s_delay_alu instid0(VALU_DEP_3) | instskip(NEXT) | instid1(VALU_DEP_4)
	v_add_co_u32 v30, vcc_lo, v24, v83
	v_add_co_ci_u32_e32 v31, vcc_lo, v25, v84, vcc_lo
	global_store_b16 v[30:31], v86, off
	s_or_b32 exec_lo, exec_lo, s15
	s_and_b32 s15, s7, s8
	s_delay_alu instid0(SALU_CYCLE_1)
	s_and_saveexec_b32 s8, s15
	s_cbranch_execz .LBB273_214
.LBB273_210:
	v_cmp_ne_u32_e32 vcc_lo, 1, v77
	s_cbranch_vccnz .LBB273_212
; %bb.211:
	v_lshlrev_b64 v[30:31], 1, v[46:47]
	s_delay_alu instid0(VALU_DEP_1) | instskip(NEXT) | instid1(VALU_DEP_2)
	v_add_co_u32 v28, vcc_lo, v28, v30
	v_add_co_ci_u32_e32 v29, vcc_lo, v29, v31, vcc_lo
	flat_load_u16 v28, v[28:29]
	s_waitcnt vmcnt(0) lgkmcnt(0)
	v_mul_f16_e32 v28, v48, v28
	s_branch .LBB273_213
.LBB273_212:
	v_mov_b32_e32 v28, 0
.LBB273_213:
	v_pk_add_f16 v26, v2, v26
	v_pk_max_f16 v29, v82, v82
	v_pk_add_f16 v27, v3, v27
	s_delay_alu instid0(VALU_DEP_2) | instskip(NEXT) | instid1(VALU_DEP_1)
	v_pk_min_f16 v26, v29, v26
	v_pk_min_f16 v29, v26, v27
	v_lshlrev_b64 v[26:27], 1, v[46:47]
	s_delay_alu instid0(VALU_DEP_2) | instskip(NEXT) | instid1(VALU_DEP_2)
	v_lshrrev_b32_e32 v30, 16, v29
	v_add_co_u32 v24, vcc_lo, v24, v26
	s_delay_alu instid0(VALU_DEP_3) | instskip(NEXT) | instid1(VALU_DEP_3)
	v_add_co_ci_u32_e32 v25, vcc_lo, v25, v27, vcc_lo
	v_min3_f16 v28, v28, v29, v30
	global_store_b16 v[24:25], v28, off
.LBB273_214:
	s_or_b32 exec_lo, exec_lo, s8
	v_add_nc_u32_e32 v28, 0x80, v85
	s_delay_alu instid0(VALU_DEP_1) | instskip(SKIP_2) | instid1(VALU_DEP_3)
	v_mad_i64_i32 v[24:25], null, v28, s14, 0
	v_mad_i64_i32 v[26:27], null, v28, s9, 0
	v_cmp_gt_i32_e64 s8, s17, v28
	v_lshlrev_b64 v[24:25], 1, v[24:25]
	s_delay_alu instid0(VALU_DEP_2) | instskip(NEXT) | instid1(VALU_DEP_3)
	s_and_b32 s16, s0, s8
	v_lshlrev_b64 v[28:29], 1, v[26:27]
	s_delay_alu instid0(VALU_DEP_2) | instskip(NEXT) | instid1(VALU_DEP_3)
	v_add_co_u32 v26, vcc_lo, s12, v24
	v_add_co_ci_u32_e32 v27, vcc_lo, s13, v25, vcc_lo
	s_delay_alu instid0(VALU_DEP_3) | instskip(NEXT) | instid1(VALU_DEP_4)
	v_add_co_u32 v24, vcc_lo, s10, v28
	v_add_co_ci_u32_e32 v25, vcc_lo, s11, v29, vcc_lo
	s_and_saveexec_b32 s15, s16
	s_cbranch_execnz .LBB273_222
; %bb.215:
	s_or_b32 exec_lo, exec_lo, s15
	s_and_b32 s16, s1, s8
	s_delay_alu instid0(SALU_CYCLE_1)
	s_and_saveexec_b32 s15, s16
	s_cbranch_execnz .LBB273_226
.LBB273_216:
	s_or_b32 exec_lo, exec_lo, s15
	s_and_b32 s16, s2, s8
	s_delay_alu instid0(SALU_CYCLE_1)
	s_and_saveexec_b32 s15, s16
	s_cbranch_execnz .LBB273_230
.LBB273_217:
	s_or_b32 exec_lo, exec_lo, s15
	s_and_b32 s16, s3, s8
	s_delay_alu instid0(SALU_CYCLE_1)
	s_and_saveexec_b32 s15, s16
	s_cbranch_execnz .LBB273_234
.LBB273_218:
	s_or_b32 exec_lo, exec_lo, s15
	s_and_b32 s16, s4, s8
	s_delay_alu instid0(SALU_CYCLE_1)
	s_and_saveexec_b32 s15, s16
	s_cbranch_execnz .LBB273_238
.LBB273_219:
	s_or_b32 exec_lo, exec_lo, s15
	s_and_b32 s16, s5, s8
	s_delay_alu instid0(SALU_CYCLE_1)
	s_and_saveexec_b32 s15, s16
	s_cbranch_execnz .LBB273_242
.LBB273_220:
	s_or_b32 exec_lo, exec_lo, s15
	s_and_b32 s16, s6, s8
	s_delay_alu instid0(SALU_CYCLE_1)
	s_and_saveexec_b32 s15, s16
	s_cbranch_execnz .LBB273_246
.LBB273_221:
	s_or_b32 exec_lo, exec_lo, s15
	s_and_b32 s15, s7, s8
	s_delay_alu instid0(SALU_CYCLE_1)
	s_and_saveexec_b32 s8, s15
	s_cbranch_execnz .LBB273_250
	s_branch .LBB273_254
.LBB273_222:
	v_cmp_ne_u32_e32 vcc_lo, 1, v77
	s_cbranch_vccnz .LBB273_224
; %bb.223:
	v_lshlrev_b64 v[28:29], 1, v[32:33]
	s_delay_alu instid0(VALU_DEP_1) | instskip(NEXT) | instid1(VALU_DEP_2)
	v_add_co_u32 v28, vcc_lo, v26, v28
	v_add_co_ci_u32_e32 v29, vcc_lo, v27, v29, vcc_lo
	flat_load_u16 v28, v[28:29]
	s_waitcnt vmcnt(0) lgkmcnt(0)
	v_mul_f16_e32 v28, v48, v28
	s_branch .LBB273_225
.LBB273_224:
	v_mov_b32_e32 v28, 0
.LBB273_225:
	v_pk_add_f16 v29, v16, v20
	v_pk_max_f16 v30, v81, v81
	v_pk_add_f16 v31, v17, v21
	s_delay_alu instid0(VALU_DEP_2) | instskip(NEXT) | instid1(VALU_DEP_1)
	v_pk_min_f16 v29, v30, v29
	v_pk_min_f16 v31, v29, v31
	v_lshlrev_b64 v[29:30], 1, v[32:33]
	s_delay_alu instid0(VALU_DEP_2) | instskip(NEXT) | instid1(VALU_DEP_1)
	v_lshrrev_b32_e32 v81, 16, v31
	v_min3_f16 v31, v28, v31, v81
	s_delay_alu instid0(VALU_DEP_3) | instskip(NEXT) | instid1(VALU_DEP_4)
	v_add_co_u32 v28, vcc_lo, v24, v29
	v_add_co_ci_u32_e32 v29, vcc_lo, v25, v30, vcc_lo
	global_store_b16 v[28:29], v31, off
	s_or_b32 exec_lo, exec_lo, s15
	s_and_b32 s16, s1, s8
	s_delay_alu instid0(SALU_CYCLE_1)
	s_and_saveexec_b32 s15, s16
	s_cbranch_execz .LBB273_216
.LBB273_226:
	v_cmp_ne_u32_e32 vcc_lo, 1, v77
	s_cbranch_vccnz .LBB273_228
; %bb.227:
	v_lshlrev_b64 v[28:29], 1, v[34:35]
	s_delay_alu instid0(VALU_DEP_1) | instskip(NEXT) | instid1(VALU_DEP_2)
	v_add_co_u32 v28, vcc_lo, v26, v28
	v_add_co_ci_u32_e32 v29, vcc_lo, v27, v29, vcc_lo
	flat_load_u16 v28, v[28:29]
	s_waitcnt vmcnt(0) lgkmcnt(0)
	v_mul_f16_e32 v28, v48, v28
	s_branch .LBB273_229
.LBB273_228:
	v_mov_b32_e32 v28, 0
.LBB273_229:
	v_pk_add_f16 v29, v18, v20
	v_pk_max_f16 v30, v80, v80
	v_pk_add_f16 v31, v19, v21
	s_delay_alu instid0(VALU_DEP_2) | instskip(NEXT) | instid1(VALU_DEP_1)
	v_pk_min_f16 v29, v30, v29
	v_pk_min_f16 v31, v29, v31
	v_lshlrev_b64 v[29:30], 1, v[34:35]
	s_delay_alu instid0(VALU_DEP_2) | instskip(NEXT) | instid1(VALU_DEP_1)
	v_lshrrev_b32_e32 v80, 16, v31
	v_min3_f16 v31, v28, v31, v80
	s_delay_alu instid0(VALU_DEP_3) | instskip(NEXT) | instid1(VALU_DEP_4)
	v_add_co_u32 v28, vcc_lo, v24, v29
	v_add_co_ci_u32_e32 v29, vcc_lo, v25, v30, vcc_lo
	global_store_b16 v[28:29], v31, off
	s_or_b32 exec_lo, exec_lo, s15
	s_and_b32 s16, s2, s8
	s_delay_alu instid0(SALU_CYCLE_1)
	s_and_saveexec_b32 s15, s16
	s_cbranch_execz .LBB273_217
.LBB273_230:
	v_cmp_ne_u32_e32 vcc_lo, 1, v77
	s_cbranch_vccnz .LBB273_232
; %bb.231:
	v_lshlrev_b64 v[28:29], 1, v[36:37]
	s_delay_alu instid0(VALU_DEP_1) | instskip(NEXT) | instid1(VALU_DEP_2)
	v_add_co_u32 v28, vcc_lo, v26, v28
	v_add_co_ci_u32_e32 v29, vcc_lo, v27, v29, vcc_lo
	flat_load_u16 v28, v[28:29]
	s_waitcnt vmcnt(0) lgkmcnt(0)
	v_mul_f16_e32 v28, v48, v28
	s_branch .LBB273_233
.LBB273_232:
	v_mov_b32_e32 v28, 0
.LBB273_233:
	v_pk_add_f16 v29, v12, v20
	v_pk_max_f16 v30, v79, v79
	v_pk_add_f16 v31, v13, v21
	s_delay_alu instid0(VALU_DEP_2) | instskip(NEXT) | instid1(VALU_DEP_1)
	v_pk_min_f16 v29, v30, v29
	v_pk_min_f16 v31, v29, v31
	v_lshlrev_b64 v[29:30], 1, v[36:37]
	s_delay_alu instid0(VALU_DEP_2) | instskip(NEXT) | instid1(VALU_DEP_1)
	v_lshrrev_b32_e32 v79, 16, v31
	v_min3_f16 v31, v28, v31, v79
	s_delay_alu instid0(VALU_DEP_3) | instskip(NEXT) | instid1(VALU_DEP_4)
	v_add_co_u32 v28, vcc_lo, v24, v29
	v_add_co_ci_u32_e32 v29, vcc_lo, v25, v30, vcc_lo
	global_store_b16 v[28:29], v31, off
	s_or_b32 exec_lo, exec_lo, s15
	s_and_b32 s16, s3, s8
	s_delay_alu instid0(SALU_CYCLE_1)
	s_and_saveexec_b32 s15, s16
	s_cbranch_execz .LBB273_218
.LBB273_234:
	v_cmp_ne_u32_e32 vcc_lo, 1, v77
	s_cbranch_vccnz .LBB273_236
; %bb.235:
	v_lshlrev_b64 v[28:29], 1, v[38:39]
	s_delay_alu instid0(VALU_DEP_1) | instskip(NEXT) | instid1(VALU_DEP_2)
	v_add_co_u32 v28, vcc_lo, v26, v28
	v_add_co_ci_u32_e32 v29, vcc_lo, v27, v29, vcc_lo
	flat_load_u16 v28, v[28:29]
	s_waitcnt vmcnt(0) lgkmcnt(0)
	v_mul_f16_e32 v28, v48, v28
	s_branch .LBB273_237
.LBB273_236:
	v_mov_b32_e32 v28, 0
.LBB273_237:
	v_pk_add_f16 v29, v14, v20
	v_pk_max_f16 v30, v78, v78
	v_pk_add_f16 v31, v15, v21
	s_delay_alu instid0(VALU_DEP_2) | instskip(NEXT) | instid1(VALU_DEP_1)
	v_pk_min_f16 v29, v30, v29
	v_pk_min_f16 v31, v29, v31
	v_lshlrev_b64 v[29:30], 1, v[38:39]
	s_delay_alu instid0(VALU_DEP_2) | instskip(NEXT) | instid1(VALU_DEP_1)
	v_lshrrev_b32_e32 v78, 16, v31
	v_min3_f16 v31, v28, v31, v78
	s_delay_alu instid0(VALU_DEP_3) | instskip(NEXT) | instid1(VALU_DEP_4)
	v_add_co_u32 v28, vcc_lo, v24, v29
	v_add_co_ci_u32_e32 v29, vcc_lo, v25, v30, vcc_lo
	global_store_b16 v[28:29], v31, off
	s_or_b32 exec_lo, exec_lo, s15
	s_and_b32 s16, s4, s8
	s_delay_alu instid0(SALU_CYCLE_1)
	s_and_saveexec_b32 s15, s16
	s_cbranch_execz .LBB273_219
.LBB273_238:
	v_cmp_ne_u32_e32 vcc_lo, 1, v77
	s_cbranch_vccnz .LBB273_240
; %bb.239:
	v_lshlrev_b64 v[28:29], 1, v[40:41]
	s_delay_alu instid0(VALU_DEP_1) | instskip(NEXT) | instid1(VALU_DEP_2)
	v_add_co_u32 v28, vcc_lo, v26, v28
	v_add_co_ci_u32_e32 v29, vcc_lo, v27, v29, vcc_lo
	flat_load_u16 v28, v[28:29]
	s_waitcnt vmcnt(0) lgkmcnt(0)
	v_mul_f16_e32 v28, v48, v28
	s_branch .LBB273_241
.LBB273_240:
	v_mov_b32_e32 v28, 0
.LBB273_241:
	v_pk_add_f16 v29, v8, v20
	v_pk_max_f16 v30, v76, v76
	v_pk_add_f16 v31, v9, v21
	s_delay_alu instid0(VALU_DEP_2) | instskip(NEXT) | instid1(VALU_DEP_1)
	v_pk_min_f16 v29, v30, v29
	v_pk_min_f16 v31, v29, v31
	v_lshlrev_b64 v[29:30], 1, v[40:41]
	s_delay_alu instid0(VALU_DEP_2) | instskip(NEXT) | instid1(VALU_DEP_1)
	v_lshrrev_b32_e32 v76, 16, v31
	v_min3_f16 v31, v28, v31, v76
	s_delay_alu instid0(VALU_DEP_3) | instskip(NEXT) | instid1(VALU_DEP_4)
	v_add_co_u32 v28, vcc_lo, v24, v29
	v_add_co_ci_u32_e32 v29, vcc_lo, v25, v30, vcc_lo
	global_store_b16 v[28:29], v31, off
	s_or_b32 exec_lo, exec_lo, s15
	s_and_b32 s16, s5, s8
	s_delay_alu instid0(SALU_CYCLE_1)
	s_and_saveexec_b32 s15, s16
	s_cbranch_execz .LBB273_220
.LBB273_242:
	v_cmp_ne_u32_e32 vcc_lo, 1, v77
	s_cbranch_vccnz .LBB273_244
; %bb.243:
	v_lshlrev_b64 v[28:29], 1, v[42:43]
	s_delay_alu instid0(VALU_DEP_1) | instskip(NEXT) | instid1(VALU_DEP_2)
	v_add_co_u32 v28, vcc_lo, v26, v28
	v_add_co_ci_u32_e32 v29, vcc_lo, v27, v29, vcc_lo
	flat_load_u16 v28, v[28:29]
	s_waitcnt vmcnt(0) lgkmcnt(0)
	v_mul_f16_e32 v28, v48, v28
	s_branch .LBB273_245
.LBB273_244:
	v_mov_b32_e32 v28, 0
.LBB273_245:
	v_pk_add_f16 v29, v10, v20
	v_pk_max_f16 v30, v75, v75
	v_pk_add_f16 v31, v11, v21
	s_delay_alu instid0(VALU_DEP_2) | instskip(NEXT) | instid1(VALU_DEP_1)
	v_pk_min_f16 v29, v30, v29
	v_pk_min_f16 v31, v29, v31
	v_lshlrev_b64 v[29:30], 1, v[42:43]
	s_delay_alu instid0(VALU_DEP_2) | instskip(NEXT) | instid1(VALU_DEP_1)
	v_lshrrev_b32_e32 v75, 16, v31
	v_min3_f16 v31, v28, v31, v75
	s_delay_alu instid0(VALU_DEP_3) | instskip(NEXT) | instid1(VALU_DEP_4)
	v_add_co_u32 v28, vcc_lo, v24, v29
	v_add_co_ci_u32_e32 v29, vcc_lo, v25, v30, vcc_lo
	global_store_b16 v[28:29], v31, off
	s_or_b32 exec_lo, exec_lo, s15
	s_and_b32 s16, s6, s8
	s_delay_alu instid0(SALU_CYCLE_1)
	s_and_saveexec_b32 s15, s16
	s_cbranch_execz .LBB273_221
.LBB273_246:
	v_cmp_ne_u32_e32 vcc_lo, 1, v77
	s_cbranch_vccnz .LBB273_248
; %bb.247:
	v_lshlrev_b64 v[28:29], 1, v[44:45]
	s_delay_alu instid0(VALU_DEP_1) | instskip(NEXT) | instid1(VALU_DEP_2)
	v_add_co_u32 v28, vcc_lo, v26, v28
	v_add_co_ci_u32_e32 v29, vcc_lo, v27, v29, vcc_lo
	flat_load_u16 v28, v[28:29]
	s_waitcnt vmcnt(0) lgkmcnt(0)
	v_mul_f16_e32 v28, v48, v28
	s_branch .LBB273_249
.LBB273_248:
	v_mov_b32_e32 v28, 0
.LBB273_249:
	v_pk_add_f16 v29, v0, v20
	v_pk_max_f16 v30, v74, v74
	v_pk_add_f16 v31, v1, v21
	s_delay_alu instid0(VALU_DEP_2) | instskip(NEXT) | instid1(VALU_DEP_1)
	v_pk_min_f16 v29, v30, v29
	v_pk_min_f16 v31, v29, v31
	v_lshlrev_b64 v[29:30], 1, v[44:45]
	s_delay_alu instid0(VALU_DEP_2) | instskip(NEXT) | instid1(VALU_DEP_1)
	v_lshrrev_b32_e32 v74, 16, v31
	v_min3_f16 v31, v28, v31, v74
	s_delay_alu instid0(VALU_DEP_3) | instskip(NEXT) | instid1(VALU_DEP_4)
	v_add_co_u32 v28, vcc_lo, v24, v29
	v_add_co_ci_u32_e32 v29, vcc_lo, v25, v30, vcc_lo
	global_store_b16 v[28:29], v31, off
	s_or_b32 exec_lo, exec_lo, s15
	s_and_b32 s15, s7, s8
	s_delay_alu instid0(SALU_CYCLE_1)
	s_and_saveexec_b32 s8, s15
	s_cbranch_execz .LBB273_254
.LBB273_250:
	v_cmp_ne_u32_e32 vcc_lo, 1, v77
	s_cbranch_vccnz .LBB273_252
; %bb.251:
	v_lshlrev_b64 v[28:29], 1, v[46:47]
	s_delay_alu instid0(VALU_DEP_1) | instskip(NEXT) | instid1(VALU_DEP_2)
	v_add_co_u32 v26, vcc_lo, v26, v28
	v_add_co_ci_u32_e32 v27, vcc_lo, v27, v29, vcc_lo
	flat_load_u16 v26, v[26:27]
	s_waitcnt vmcnt(0) lgkmcnt(0)
	v_mul_f16_e32 v26, v48, v26
	s_branch .LBB273_253
.LBB273_252:
	v_mov_b32_e32 v26, 0
.LBB273_253:
	v_pk_add_f16 v20, v2, v20
	v_pk_max_f16 v27, v73, v73
	v_pk_add_f16 v21, v3, v21
	s_delay_alu instid0(VALU_DEP_2) | instskip(NEXT) | instid1(VALU_DEP_1)
	v_pk_min_f16 v20, v27, v20
	v_pk_min_f16 v27, v20, v21
	v_lshlrev_b64 v[20:21], 1, v[46:47]
	s_delay_alu instid0(VALU_DEP_2) | instskip(NEXT) | instid1(VALU_DEP_2)
	v_lshrrev_b32_e32 v28, 16, v27
	v_add_co_u32 v20, vcc_lo, v24, v20
	s_delay_alu instid0(VALU_DEP_3) | instskip(NEXT) | instid1(VALU_DEP_3)
	v_add_co_ci_u32_e32 v21, vcc_lo, v25, v21, vcc_lo
	v_min3_f16 v26, v26, v27, v28
	global_store_b16 v[20:21], v26, off
.LBB273_254:
	s_or_b32 exec_lo, exec_lo, s8
	v_add_nc_u32_e32 v26, 0xa0, v85
	s_delay_alu instid0(VALU_DEP_1) | instskip(SKIP_2) | instid1(VALU_DEP_3)
	v_mad_i64_i32 v[20:21], null, v26, s14, 0
	v_mad_i64_i32 v[24:25], null, v26, s9, 0
	v_cmp_gt_i32_e64 s8, s17, v26
	v_lshlrev_b64 v[20:21], 1, v[20:21]
	s_delay_alu instid0(VALU_DEP_2) | instskip(NEXT) | instid1(VALU_DEP_3)
	s_and_b32 s16, s0, s8
	v_lshlrev_b64 v[26:27], 1, v[24:25]
	s_delay_alu instid0(VALU_DEP_2) | instskip(NEXT) | instid1(VALU_DEP_3)
	v_add_co_u32 v24, vcc_lo, s12, v20
	v_add_co_ci_u32_e32 v25, vcc_lo, s13, v21, vcc_lo
	s_delay_alu instid0(VALU_DEP_3) | instskip(NEXT) | instid1(VALU_DEP_4)
	v_add_co_u32 v20, vcc_lo, s10, v26
	v_add_co_ci_u32_e32 v21, vcc_lo, s11, v27, vcc_lo
	s_and_saveexec_b32 s15, s16
	s_cbranch_execnz .LBB273_262
; %bb.255:
	s_or_b32 exec_lo, exec_lo, s15
	s_and_b32 s16, s1, s8
	s_delay_alu instid0(SALU_CYCLE_1)
	s_and_saveexec_b32 s15, s16
	s_cbranch_execnz .LBB273_266
.LBB273_256:
	s_or_b32 exec_lo, exec_lo, s15
	s_and_b32 s16, s2, s8
	s_delay_alu instid0(SALU_CYCLE_1)
	s_and_saveexec_b32 s15, s16
	s_cbranch_execnz .LBB273_270
.LBB273_257:
	s_or_b32 exec_lo, exec_lo, s15
	s_and_b32 s16, s3, s8
	s_delay_alu instid0(SALU_CYCLE_1)
	s_and_saveexec_b32 s15, s16
	s_cbranch_execnz .LBB273_274
.LBB273_258:
	s_or_b32 exec_lo, exec_lo, s15
	s_and_b32 s16, s4, s8
	s_delay_alu instid0(SALU_CYCLE_1)
	s_and_saveexec_b32 s15, s16
	s_cbranch_execnz .LBB273_278
.LBB273_259:
	s_or_b32 exec_lo, exec_lo, s15
	s_and_b32 s16, s5, s8
	s_delay_alu instid0(SALU_CYCLE_1)
	s_and_saveexec_b32 s15, s16
	s_cbranch_execnz .LBB273_282
.LBB273_260:
	s_or_b32 exec_lo, exec_lo, s15
	s_and_b32 s16, s6, s8
	s_delay_alu instid0(SALU_CYCLE_1)
	s_and_saveexec_b32 s15, s16
	s_cbranch_execnz .LBB273_286
.LBB273_261:
	s_or_b32 exec_lo, exec_lo, s15
	s_and_b32 s15, s7, s8
	s_delay_alu instid0(SALU_CYCLE_1)
	s_and_saveexec_b32 s8, s15
	s_cbranch_execnz .LBB273_290
	s_branch .LBB273_294
.LBB273_262:
	v_cmp_ne_u32_e32 vcc_lo, 1, v77
	s_cbranch_vccnz .LBB273_264
; %bb.263:
	v_lshlrev_b64 v[26:27], 1, v[32:33]
	s_delay_alu instid0(VALU_DEP_1) | instskip(NEXT) | instid1(VALU_DEP_2)
	v_add_co_u32 v26, vcc_lo, v24, v26
	v_add_co_ci_u32_e32 v27, vcc_lo, v25, v27, vcc_lo
	flat_load_u16 v26, v[26:27]
	s_waitcnt vmcnt(0) lgkmcnt(0)
	v_mul_f16_e32 v26, v48, v26
	s_branch .LBB273_265
.LBB273_264:
	v_mov_b32_e32 v26, 0
.LBB273_265:
	v_pk_add_f16 v27, v16, v22
	v_pk_max_f16 v28, v72, v72
	v_pk_add_f16 v29, v17, v23
	s_delay_alu instid0(VALU_DEP_2) | instskip(NEXT) | instid1(VALU_DEP_1)
	v_pk_min_f16 v27, v28, v27
	v_pk_min_f16 v29, v27, v29
	v_lshlrev_b64 v[27:28], 1, v[32:33]
	s_delay_alu instid0(VALU_DEP_2) | instskip(NEXT) | instid1(VALU_DEP_1)
	v_lshrrev_b32_e32 v30, 16, v29
	v_min3_f16 v29, v26, v29, v30
	s_delay_alu instid0(VALU_DEP_3) | instskip(NEXT) | instid1(VALU_DEP_4)
	v_add_co_u32 v26, vcc_lo, v20, v27
	v_add_co_ci_u32_e32 v27, vcc_lo, v21, v28, vcc_lo
	global_store_b16 v[26:27], v29, off
	s_or_b32 exec_lo, exec_lo, s15
	s_and_b32 s16, s1, s8
	s_delay_alu instid0(SALU_CYCLE_1)
	s_and_saveexec_b32 s15, s16
	s_cbranch_execz .LBB273_256
.LBB273_266:
	v_cmp_ne_u32_e32 vcc_lo, 1, v77
	s_cbranch_vccnz .LBB273_268
; %bb.267:
	v_lshlrev_b64 v[26:27], 1, v[34:35]
	s_delay_alu instid0(VALU_DEP_1) | instskip(NEXT) | instid1(VALU_DEP_2)
	v_add_co_u32 v26, vcc_lo, v24, v26
	v_add_co_ci_u32_e32 v27, vcc_lo, v25, v27, vcc_lo
	flat_load_u16 v26, v[26:27]
	s_waitcnt vmcnt(0) lgkmcnt(0)
	v_mul_f16_e32 v26, v48, v26
	s_branch .LBB273_269
.LBB273_268:
	v_mov_b32_e32 v26, 0
.LBB273_269:
	v_pk_add_f16 v27, v18, v22
	v_pk_max_f16 v28, v71, v71
	v_pk_add_f16 v29, v19, v23
	s_delay_alu instid0(VALU_DEP_2) | instskip(NEXT) | instid1(VALU_DEP_1)
	v_pk_min_f16 v27, v28, v27
	v_pk_min_f16 v29, v27, v29
	v_lshlrev_b64 v[27:28], 1, v[34:35]
	s_delay_alu instid0(VALU_DEP_2) | instskip(NEXT) | instid1(VALU_DEP_1)
	v_lshrrev_b32_e32 v30, 16, v29
	v_min3_f16 v29, v26, v29, v30
	s_delay_alu instid0(VALU_DEP_3) | instskip(NEXT) | instid1(VALU_DEP_4)
	v_add_co_u32 v26, vcc_lo, v20, v27
	v_add_co_ci_u32_e32 v27, vcc_lo, v21, v28, vcc_lo
	global_store_b16 v[26:27], v29, off
	s_or_b32 exec_lo, exec_lo, s15
	s_and_b32 s16, s2, s8
	s_delay_alu instid0(SALU_CYCLE_1)
	s_and_saveexec_b32 s15, s16
	s_cbranch_execz .LBB273_257
.LBB273_270:
	v_cmp_ne_u32_e32 vcc_lo, 1, v77
	s_cbranch_vccnz .LBB273_272
; %bb.271:
	v_lshlrev_b64 v[26:27], 1, v[36:37]
	s_delay_alu instid0(VALU_DEP_1) | instskip(NEXT) | instid1(VALU_DEP_2)
	v_add_co_u32 v26, vcc_lo, v24, v26
	v_add_co_ci_u32_e32 v27, vcc_lo, v25, v27, vcc_lo
	flat_load_u16 v26, v[26:27]
	s_waitcnt vmcnt(0) lgkmcnt(0)
	v_mul_f16_e32 v26, v48, v26
	s_branch .LBB273_273
.LBB273_272:
	v_mov_b32_e32 v26, 0
.LBB273_273:
	v_pk_add_f16 v27, v12, v22
	v_pk_max_f16 v28, v70, v70
	v_pk_add_f16 v29, v13, v23
	s_delay_alu instid0(VALU_DEP_2) | instskip(NEXT) | instid1(VALU_DEP_1)
	v_pk_min_f16 v27, v28, v27
	v_pk_min_f16 v29, v27, v29
	v_lshlrev_b64 v[27:28], 1, v[36:37]
	s_delay_alu instid0(VALU_DEP_2) | instskip(NEXT) | instid1(VALU_DEP_1)
	v_lshrrev_b32_e32 v30, 16, v29
	v_min3_f16 v29, v26, v29, v30
	s_delay_alu instid0(VALU_DEP_3) | instskip(NEXT) | instid1(VALU_DEP_4)
	v_add_co_u32 v26, vcc_lo, v20, v27
	v_add_co_ci_u32_e32 v27, vcc_lo, v21, v28, vcc_lo
	global_store_b16 v[26:27], v29, off
	s_or_b32 exec_lo, exec_lo, s15
	s_and_b32 s16, s3, s8
	s_delay_alu instid0(SALU_CYCLE_1)
	s_and_saveexec_b32 s15, s16
	s_cbranch_execz .LBB273_258
.LBB273_274:
	v_cmp_ne_u32_e32 vcc_lo, 1, v77
	s_cbranch_vccnz .LBB273_276
; %bb.275:
	v_lshlrev_b64 v[26:27], 1, v[38:39]
	s_delay_alu instid0(VALU_DEP_1) | instskip(NEXT) | instid1(VALU_DEP_2)
	v_add_co_u32 v26, vcc_lo, v24, v26
	v_add_co_ci_u32_e32 v27, vcc_lo, v25, v27, vcc_lo
	flat_load_u16 v26, v[26:27]
	s_waitcnt vmcnt(0) lgkmcnt(0)
	v_mul_f16_e32 v26, v48, v26
	s_branch .LBB273_277
.LBB273_276:
	v_mov_b32_e32 v26, 0
.LBB273_277:
	v_pk_add_f16 v27, v14, v22
	v_pk_max_f16 v28, v69, v69
	v_pk_add_f16 v29, v15, v23
	s_delay_alu instid0(VALU_DEP_2) | instskip(NEXT) | instid1(VALU_DEP_1)
	v_pk_min_f16 v27, v28, v27
	v_pk_min_f16 v29, v27, v29
	v_lshlrev_b64 v[27:28], 1, v[38:39]
	s_delay_alu instid0(VALU_DEP_2) | instskip(NEXT) | instid1(VALU_DEP_1)
	v_lshrrev_b32_e32 v30, 16, v29
	v_min3_f16 v29, v26, v29, v30
	s_delay_alu instid0(VALU_DEP_3) | instskip(NEXT) | instid1(VALU_DEP_4)
	v_add_co_u32 v26, vcc_lo, v20, v27
	v_add_co_ci_u32_e32 v27, vcc_lo, v21, v28, vcc_lo
	global_store_b16 v[26:27], v29, off
	s_or_b32 exec_lo, exec_lo, s15
	s_and_b32 s16, s4, s8
	s_delay_alu instid0(SALU_CYCLE_1)
	s_and_saveexec_b32 s15, s16
	s_cbranch_execz .LBB273_259
.LBB273_278:
	v_cmp_ne_u32_e32 vcc_lo, 1, v77
	s_cbranch_vccnz .LBB273_280
; %bb.279:
	v_lshlrev_b64 v[26:27], 1, v[40:41]
	s_delay_alu instid0(VALU_DEP_1) | instskip(NEXT) | instid1(VALU_DEP_2)
	v_add_co_u32 v26, vcc_lo, v24, v26
	v_add_co_ci_u32_e32 v27, vcc_lo, v25, v27, vcc_lo
	flat_load_u16 v26, v[26:27]
	s_waitcnt vmcnt(0) lgkmcnt(0)
	v_mul_f16_e32 v26, v48, v26
	s_branch .LBB273_281
.LBB273_280:
	v_mov_b32_e32 v26, 0
.LBB273_281:
	v_pk_add_f16 v27, v8, v22
	v_pk_max_f16 v28, v68, v68
	v_pk_add_f16 v29, v9, v23
	s_delay_alu instid0(VALU_DEP_2) | instskip(NEXT) | instid1(VALU_DEP_1)
	v_pk_min_f16 v27, v28, v27
	v_pk_min_f16 v29, v27, v29
	v_lshlrev_b64 v[27:28], 1, v[40:41]
	s_delay_alu instid0(VALU_DEP_2) | instskip(NEXT) | instid1(VALU_DEP_1)
	v_lshrrev_b32_e32 v30, 16, v29
	v_min3_f16 v29, v26, v29, v30
	s_delay_alu instid0(VALU_DEP_3) | instskip(NEXT) | instid1(VALU_DEP_4)
	v_add_co_u32 v26, vcc_lo, v20, v27
	v_add_co_ci_u32_e32 v27, vcc_lo, v21, v28, vcc_lo
	global_store_b16 v[26:27], v29, off
	s_or_b32 exec_lo, exec_lo, s15
	s_and_b32 s16, s5, s8
	s_delay_alu instid0(SALU_CYCLE_1)
	s_and_saveexec_b32 s15, s16
	s_cbranch_execz .LBB273_260
.LBB273_282:
	v_cmp_ne_u32_e32 vcc_lo, 1, v77
	s_cbranch_vccnz .LBB273_284
; %bb.283:
	v_lshlrev_b64 v[26:27], 1, v[42:43]
	s_delay_alu instid0(VALU_DEP_1) | instskip(NEXT) | instid1(VALU_DEP_2)
	v_add_co_u32 v26, vcc_lo, v24, v26
	v_add_co_ci_u32_e32 v27, vcc_lo, v25, v27, vcc_lo
	flat_load_u16 v26, v[26:27]
	s_waitcnt vmcnt(0) lgkmcnt(0)
	v_mul_f16_e32 v26, v48, v26
	s_branch .LBB273_285
.LBB273_284:
	v_mov_b32_e32 v26, 0
.LBB273_285:
	v_pk_add_f16 v27, v10, v22
	v_pk_max_f16 v28, v67, v67
	v_pk_add_f16 v29, v11, v23
	s_delay_alu instid0(VALU_DEP_2) | instskip(NEXT) | instid1(VALU_DEP_1)
	v_pk_min_f16 v27, v28, v27
	v_pk_min_f16 v29, v27, v29
	v_lshlrev_b64 v[27:28], 1, v[42:43]
	s_delay_alu instid0(VALU_DEP_2) | instskip(NEXT) | instid1(VALU_DEP_1)
	v_lshrrev_b32_e32 v30, 16, v29
	v_min3_f16 v29, v26, v29, v30
	s_delay_alu instid0(VALU_DEP_3) | instskip(NEXT) | instid1(VALU_DEP_4)
	v_add_co_u32 v26, vcc_lo, v20, v27
	v_add_co_ci_u32_e32 v27, vcc_lo, v21, v28, vcc_lo
	global_store_b16 v[26:27], v29, off
	s_or_b32 exec_lo, exec_lo, s15
	s_and_b32 s16, s6, s8
	s_delay_alu instid0(SALU_CYCLE_1)
	s_and_saveexec_b32 s15, s16
	s_cbranch_execz .LBB273_261
.LBB273_286:
	v_cmp_ne_u32_e32 vcc_lo, 1, v77
	s_cbranch_vccnz .LBB273_288
; %bb.287:
	v_lshlrev_b64 v[26:27], 1, v[44:45]
	s_delay_alu instid0(VALU_DEP_1) | instskip(NEXT) | instid1(VALU_DEP_2)
	v_add_co_u32 v26, vcc_lo, v24, v26
	v_add_co_ci_u32_e32 v27, vcc_lo, v25, v27, vcc_lo
	flat_load_u16 v26, v[26:27]
	s_waitcnt vmcnt(0) lgkmcnt(0)
	v_mul_f16_e32 v26, v48, v26
	s_branch .LBB273_289
.LBB273_288:
	v_mov_b32_e32 v26, 0
.LBB273_289:
	v_pk_add_f16 v27, v0, v22
	v_pk_max_f16 v28, v66, v66
	v_pk_add_f16 v29, v1, v23
	s_delay_alu instid0(VALU_DEP_2) | instskip(NEXT) | instid1(VALU_DEP_1)
	v_pk_min_f16 v27, v28, v27
	v_pk_min_f16 v29, v27, v29
	v_lshlrev_b64 v[27:28], 1, v[44:45]
	s_delay_alu instid0(VALU_DEP_2) | instskip(NEXT) | instid1(VALU_DEP_1)
	v_lshrrev_b32_e32 v30, 16, v29
	v_min3_f16 v29, v26, v29, v30
	s_delay_alu instid0(VALU_DEP_3) | instskip(NEXT) | instid1(VALU_DEP_4)
	v_add_co_u32 v26, vcc_lo, v20, v27
	v_add_co_ci_u32_e32 v27, vcc_lo, v21, v28, vcc_lo
	global_store_b16 v[26:27], v29, off
	s_or_b32 exec_lo, exec_lo, s15
	s_and_b32 s15, s7, s8
	s_delay_alu instid0(SALU_CYCLE_1)
	s_and_saveexec_b32 s8, s15
	s_cbranch_execz .LBB273_294
.LBB273_290:
	v_cmp_ne_u32_e32 vcc_lo, 1, v77
	s_cbranch_vccnz .LBB273_292
; %bb.291:
	v_lshlrev_b64 v[26:27], 1, v[46:47]
	s_delay_alu instid0(VALU_DEP_1) | instskip(NEXT) | instid1(VALU_DEP_2)
	v_add_co_u32 v24, vcc_lo, v24, v26
	v_add_co_ci_u32_e32 v25, vcc_lo, v25, v27, vcc_lo
	flat_load_u16 v24, v[24:25]
	s_waitcnt vmcnt(0) lgkmcnt(0)
	v_mul_f16_e32 v24, v48, v24
	s_branch .LBB273_293
.LBB273_292:
	v_mov_b32_e32 v24, 0
.LBB273_293:
	v_pk_add_f16 v22, v2, v22
	v_pk_max_f16 v25, v65, v65
	v_pk_add_f16 v23, v3, v23
	s_delay_alu instid0(VALU_DEP_2) | instskip(NEXT) | instid1(VALU_DEP_1)
	v_pk_min_f16 v22, v25, v22
	v_pk_min_f16 v25, v22, v23
	v_lshlrev_b64 v[22:23], 1, v[46:47]
	s_delay_alu instid0(VALU_DEP_2) | instskip(NEXT) | instid1(VALU_DEP_2)
	v_lshrrev_b32_e32 v26, 16, v25
	v_add_co_u32 v20, vcc_lo, v20, v22
	s_delay_alu instid0(VALU_DEP_3) | instskip(NEXT) | instid1(VALU_DEP_3)
	v_add_co_ci_u32_e32 v21, vcc_lo, v21, v23, vcc_lo
	v_min3_f16 v24, v24, v25, v26
	global_store_b16 v[20:21], v24, off
.LBB273_294:
	s_or_b32 exec_lo, exec_lo, s8
	v_add_nc_u32_e32 v24, 0xc0, v85
	s_delay_alu instid0(VALU_DEP_1) | instskip(SKIP_2) | instid1(VALU_DEP_3)
	v_mad_i64_i32 v[20:21], null, v24, s14, 0
	v_mad_i64_i32 v[22:23], null, v24, s9, 0
	v_cmp_gt_i32_e64 s8, s17, v24
	v_lshlrev_b64 v[20:21], 1, v[20:21]
	s_delay_alu instid0(VALU_DEP_2) | instskip(NEXT) | instid1(VALU_DEP_3)
	s_and_b32 s16, s0, s8
	v_lshlrev_b64 v[24:25], 1, v[22:23]
	s_delay_alu instid0(VALU_DEP_2) | instskip(NEXT) | instid1(VALU_DEP_3)
	v_add_co_u32 v22, vcc_lo, s12, v20
	v_add_co_ci_u32_e32 v23, vcc_lo, s13, v21, vcc_lo
	s_delay_alu instid0(VALU_DEP_3) | instskip(NEXT) | instid1(VALU_DEP_4)
	v_add_co_u32 v20, vcc_lo, s10, v24
	v_add_co_ci_u32_e32 v21, vcc_lo, s11, v25, vcc_lo
	s_and_saveexec_b32 s15, s16
	s_cbranch_execnz .LBB273_302
; %bb.295:
	s_or_b32 exec_lo, exec_lo, s15
	s_and_b32 s16, s1, s8
	s_delay_alu instid0(SALU_CYCLE_1)
	s_and_saveexec_b32 s15, s16
	s_cbranch_execnz .LBB273_306
.LBB273_296:
	s_or_b32 exec_lo, exec_lo, s15
	s_and_b32 s16, s2, s8
	s_delay_alu instid0(SALU_CYCLE_1)
	s_and_saveexec_b32 s15, s16
	s_cbranch_execnz .LBB273_310
.LBB273_297:
	s_or_b32 exec_lo, exec_lo, s15
	s_and_b32 s16, s3, s8
	s_delay_alu instid0(SALU_CYCLE_1)
	s_and_saveexec_b32 s15, s16
	s_cbranch_execnz .LBB273_314
.LBB273_298:
	s_or_b32 exec_lo, exec_lo, s15
	s_and_b32 s16, s4, s8
	s_delay_alu instid0(SALU_CYCLE_1)
	s_and_saveexec_b32 s15, s16
	s_cbranch_execnz .LBB273_318
.LBB273_299:
	s_or_b32 exec_lo, exec_lo, s15
	s_and_b32 s16, s5, s8
	s_delay_alu instid0(SALU_CYCLE_1)
	s_and_saveexec_b32 s15, s16
	s_cbranch_execnz .LBB273_322
.LBB273_300:
	s_or_b32 exec_lo, exec_lo, s15
	s_and_b32 s16, s6, s8
	s_delay_alu instid0(SALU_CYCLE_1)
	s_and_saveexec_b32 s15, s16
	s_cbranch_execnz .LBB273_326
.LBB273_301:
	s_or_b32 exec_lo, exec_lo, s15
	s_and_b32 s15, s7, s8
	s_delay_alu instid0(SALU_CYCLE_1)
	s_and_saveexec_b32 s8, s15
	s_cbranch_execnz .LBB273_330
	s_branch .LBB273_334
.LBB273_302:
	v_cmp_ne_u32_e32 vcc_lo, 1, v77
	s_cbranch_vccnz .LBB273_304
; %bb.303:
	v_lshlrev_b64 v[24:25], 1, v[32:33]
	s_delay_alu instid0(VALU_DEP_1) | instskip(NEXT) | instid1(VALU_DEP_2)
	v_add_co_u32 v24, vcc_lo, v22, v24
	v_add_co_ci_u32_e32 v25, vcc_lo, v23, v25, vcc_lo
	flat_load_u16 v24, v[24:25]
	s_waitcnt vmcnt(0) lgkmcnt(0)
	v_mul_f16_e32 v24, v48, v24
	s_branch .LBB273_305
.LBB273_304:
	v_mov_b32_e32 v24, 0
.LBB273_305:
	v_pk_add_f16 v25, v16, v4
	v_pk_max_f16 v26, v64, v64
	v_pk_add_f16 v27, v17, v5
	s_delay_alu instid0(VALU_DEP_2) | instskip(NEXT) | instid1(VALU_DEP_1)
	v_pk_min_f16 v25, v26, v25
	v_pk_min_f16 v27, v25, v27
	v_lshlrev_b64 v[25:26], 1, v[32:33]
	s_delay_alu instid0(VALU_DEP_2) | instskip(NEXT) | instid1(VALU_DEP_1)
	v_lshrrev_b32_e32 v28, 16, v27
	v_min3_f16 v27, v24, v27, v28
	s_delay_alu instid0(VALU_DEP_3) | instskip(NEXT) | instid1(VALU_DEP_4)
	v_add_co_u32 v24, vcc_lo, v20, v25
	v_add_co_ci_u32_e32 v25, vcc_lo, v21, v26, vcc_lo
	global_store_b16 v[24:25], v27, off
	s_or_b32 exec_lo, exec_lo, s15
	s_and_b32 s16, s1, s8
	s_delay_alu instid0(SALU_CYCLE_1)
	s_and_saveexec_b32 s15, s16
	s_cbranch_execz .LBB273_296
.LBB273_306:
	v_cmp_ne_u32_e32 vcc_lo, 1, v77
	s_cbranch_vccnz .LBB273_308
; %bb.307:
	v_lshlrev_b64 v[24:25], 1, v[34:35]
	s_delay_alu instid0(VALU_DEP_1) | instskip(NEXT) | instid1(VALU_DEP_2)
	v_add_co_u32 v24, vcc_lo, v22, v24
	v_add_co_ci_u32_e32 v25, vcc_lo, v23, v25, vcc_lo
	flat_load_u16 v24, v[24:25]
	s_waitcnt vmcnt(0) lgkmcnt(0)
	v_mul_f16_e32 v24, v48, v24
	s_branch .LBB273_309
.LBB273_308:
	v_mov_b32_e32 v24, 0
.LBB273_309:
	v_pk_add_f16 v25, v18, v4
	v_pk_max_f16 v26, v63, v63
	v_pk_add_f16 v27, v19, v5
	s_delay_alu instid0(VALU_DEP_2) | instskip(NEXT) | instid1(VALU_DEP_1)
	v_pk_min_f16 v25, v26, v25
	v_pk_min_f16 v27, v25, v27
	v_lshlrev_b64 v[25:26], 1, v[34:35]
	s_delay_alu instid0(VALU_DEP_2) | instskip(NEXT) | instid1(VALU_DEP_1)
	v_lshrrev_b32_e32 v28, 16, v27
	v_min3_f16 v27, v24, v27, v28
	s_delay_alu instid0(VALU_DEP_3) | instskip(NEXT) | instid1(VALU_DEP_4)
	v_add_co_u32 v24, vcc_lo, v20, v25
	v_add_co_ci_u32_e32 v25, vcc_lo, v21, v26, vcc_lo
	global_store_b16 v[24:25], v27, off
	s_or_b32 exec_lo, exec_lo, s15
	s_and_b32 s16, s2, s8
	s_delay_alu instid0(SALU_CYCLE_1)
	s_and_saveexec_b32 s15, s16
	s_cbranch_execz .LBB273_297
.LBB273_310:
	v_cmp_ne_u32_e32 vcc_lo, 1, v77
	s_cbranch_vccnz .LBB273_312
; %bb.311:
	v_lshlrev_b64 v[24:25], 1, v[36:37]
	s_delay_alu instid0(VALU_DEP_1) | instskip(NEXT) | instid1(VALU_DEP_2)
	v_add_co_u32 v24, vcc_lo, v22, v24
	v_add_co_ci_u32_e32 v25, vcc_lo, v23, v25, vcc_lo
	flat_load_u16 v24, v[24:25]
	s_waitcnt vmcnt(0) lgkmcnt(0)
	v_mul_f16_e32 v24, v48, v24
	s_branch .LBB273_313
.LBB273_312:
	v_mov_b32_e32 v24, 0
.LBB273_313:
	v_pk_add_f16 v25, v12, v4
	v_pk_max_f16 v26, v62, v62
	v_pk_add_f16 v27, v13, v5
	s_delay_alu instid0(VALU_DEP_2) | instskip(NEXT) | instid1(VALU_DEP_1)
	v_pk_min_f16 v25, v26, v25
	v_pk_min_f16 v27, v25, v27
	v_lshlrev_b64 v[25:26], 1, v[36:37]
	s_delay_alu instid0(VALU_DEP_2) | instskip(NEXT) | instid1(VALU_DEP_1)
	v_lshrrev_b32_e32 v28, 16, v27
	v_min3_f16 v27, v24, v27, v28
	s_delay_alu instid0(VALU_DEP_3) | instskip(NEXT) | instid1(VALU_DEP_4)
	v_add_co_u32 v24, vcc_lo, v20, v25
	v_add_co_ci_u32_e32 v25, vcc_lo, v21, v26, vcc_lo
	global_store_b16 v[24:25], v27, off
	s_or_b32 exec_lo, exec_lo, s15
	s_and_b32 s16, s3, s8
	s_delay_alu instid0(SALU_CYCLE_1)
	s_and_saveexec_b32 s15, s16
	s_cbranch_execz .LBB273_298
.LBB273_314:
	v_cmp_ne_u32_e32 vcc_lo, 1, v77
	s_cbranch_vccnz .LBB273_316
; %bb.315:
	v_lshlrev_b64 v[24:25], 1, v[38:39]
	s_delay_alu instid0(VALU_DEP_1) | instskip(NEXT) | instid1(VALU_DEP_2)
	v_add_co_u32 v24, vcc_lo, v22, v24
	v_add_co_ci_u32_e32 v25, vcc_lo, v23, v25, vcc_lo
	flat_load_u16 v24, v[24:25]
	s_waitcnt vmcnt(0) lgkmcnt(0)
	v_mul_f16_e32 v24, v48, v24
	s_branch .LBB273_317
.LBB273_316:
	v_mov_b32_e32 v24, 0
.LBB273_317:
	v_pk_add_f16 v25, v14, v4
	v_pk_max_f16 v26, v60, v60
	v_pk_add_f16 v27, v15, v5
	s_delay_alu instid0(VALU_DEP_2) | instskip(NEXT) | instid1(VALU_DEP_1)
	v_pk_min_f16 v25, v26, v25
	v_pk_min_f16 v27, v25, v27
	v_lshlrev_b64 v[25:26], 1, v[38:39]
	s_delay_alu instid0(VALU_DEP_2) | instskip(NEXT) | instid1(VALU_DEP_1)
	v_lshrrev_b32_e32 v28, 16, v27
	v_min3_f16 v27, v24, v27, v28
	s_delay_alu instid0(VALU_DEP_3) | instskip(NEXT) | instid1(VALU_DEP_4)
	v_add_co_u32 v24, vcc_lo, v20, v25
	v_add_co_ci_u32_e32 v25, vcc_lo, v21, v26, vcc_lo
	global_store_b16 v[24:25], v27, off
	s_or_b32 exec_lo, exec_lo, s15
	s_and_b32 s16, s4, s8
	s_delay_alu instid0(SALU_CYCLE_1)
	s_and_saveexec_b32 s15, s16
	s_cbranch_execz .LBB273_299
.LBB273_318:
	v_cmp_ne_u32_e32 vcc_lo, 1, v77
	s_cbranch_vccnz .LBB273_320
; %bb.319:
	v_lshlrev_b64 v[24:25], 1, v[40:41]
	s_delay_alu instid0(VALU_DEP_1) | instskip(NEXT) | instid1(VALU_DEP_2)
	v_add_co_u32 v24, vcc_lo, v22, v24
	v_add_co_ci_u32_e32 v25, vcc_lo, v23, v25, vcc_lo
	flat_load_u16 v24, v[24:25]
	s_waitcnt vmcnt(0) lgkmcnt(0)
	v_mul_f16_e32 v24, v48, v24
	s_branch .LBB273_321
.LBB273_320:
	v_mov_b32_e32 v24, 0
.LBB273_321:
	v_pk_add_f16 v25, v8, v4
	v_pk_max_f16 v26, v58, v58
	v_pk_add_f16 v27, v9, v5
	s_delay_alu instid0(VALU_DEP_2) | instskip(NEXT) | instid1(VALU_DEP_1)
	v_pk_min_f16 v25, v26, v25
	v_pk_min_f16 v27, v25, v27
	v_lshlrev_b64 v[25:26], 1, v[40:41]
	s_delay_alu instid0(VALU_DEP_2) | instskip(NEXT) | instid1(VALU_DEP_1)
	v_lshrrev_b32_e32 v28, 16, v27
	v_min3_f16 v27, v24, v27, v28
	s_delay_alu instid0(VALU_DEP_3) | instskip(NEXT) | instid1(VALU_DEP_4)
	v_add_co_u32 v24, vcc_lo, v20, v25
	v_add_co_ci_u32_e32 v25, vcc_lo, v21, v26, vcc_lo
	global_store_b16 v[24:25], v27, off
	s_or_b32 exec_lo, exec_lo, s15
	s_and_b32 s16, s5, s8
	s_delay_alu instid0(SALU_CYCLE_1)
	s_and_saveexec_b32 s15, s16
	s_cbranch_execz .LBB273_300
.LBB273_322:
	v_cmp_ne_u32_e32 vcc_lo, 1, v77
	s_cbranch_vccnz .LBB273_324
; %bb.323:
	v_lshlrev_b64 v[24:25], 1, v[42:43]
	s_delay_alu instid0(VALU_DEP_1) | instskip(NEXT) | instid1(VALU_DEP_2)
	v_add_co_u32 v24, vcc_lo, v22, v24
	v_add_co_ci_u32_e32 v25, vcc_lo, v23, v25, vcc_lo
	flat_load_u16 v24, v[24:25]
	s_waitcnt vmcnt(0) lgkmcnt(0)
	v_mul_f16_e32 v24, v48, v24
	s_branch .LBB273_325
.LBB273_324:
	v_mov_b32_e32 v24, 0
.LBB273_325:
	v_pk_add_f16 v25, v10, v4
	v_pk_max_f16 v26, v56, v56
	v_pk_add_f16 v27, v11, v5
	s_delay_alu instid0(VALU_DEP_2) | instskip(NEXT) | instid1(VALU_DEP_1)
	v_pk_min_f16 v25, v26, v25
	v_pk_min_f16 v27, v25, v27
	v_lshlrev_b64 v[25:26], 1, v[42:43]
	s_delay_alu instid0(VALU_DEP_2) | instskip(NEXT) | instid1(VALU_DEP_1)
	v_lshrrev_b32_e32 v28, 16, v27
	v_min3_f16 v27, v24, v27, v28
	s_delay_alu instid0(VALU_DEP_3) | instskip(NEXT) | instid1(VALU_DEP_4)
	v_add_co_u32 v24, vcc_lo, v20, v25
	v_add_co_ci_u32_e32 v25, vcc_lo, v21, v26, vcc_lo
	global_store_b16 v[24:25], v27, off
	s_or_b32 exec_lo, exec_lo, s15
	s_and_b32 s16, s6, s8
	s_delay_alu instid0(SALU_CYCLE_1)
	s_and_saveexec_b32 s15, s16
	s_cbranch_execz .LBB273_301
.LBB273_326:
	v_cmp_ne_u32_e32 vcc_lo, 1, v77
	s_cbranch_vccnz .LBB273_328
; %bb.327:
	v_lshlrev_b64 v[24:25], 1, v[44:45]
	s_delay_alu instid0(VALU_DEP_1) | instskip(NEXT) | instid1(VALU_DEP_2)
	v_add_co_u32 v24, vcc_lo, v22, v24
	v_add_co_ci_u32_e32 v25, vcc_lo, v23, v25, vcc_lo
	flat_load_u16 v24, v[24:25]
	s_waitcnt vmcnt(0) lgkmcnt(0)
	v_mul_f16_e32 v24, v48, v24
	s_branch .LBB273_329
.LBB273_328:
	v_mov_b32_e32 v24, 0
.LBB273_329:
	v_pk_add_f16 v25, v0, v4
	v_pk_max_f16 v26, v61, v61
	v_pk_add_f16 v27, v1, v5
	s_delay_alu instid0(VALU_DEP_2) | instskip(NEXT) | instid1(VALU_DEP_1)
	v_pk_min_f16 v25, v26, v25
	v_pk_min_f16 v27, v25, v27
	v_lshlrev_b64 v[25:26], 1, v[44:45]
	s_delay_alu instid0(VALU_DEP_2) | instskip(NEXT) | instid1(VALU_DEP_1)
	v_lshrrev_b32_e32 v28, 16, v27
	v_min3_f16 v27, v24, v27, v28
	s_delay_alu instid0(VALU_DEP_3) | instskip(NEXT) | instid1(VALU_DEP_4)
	v_add_co_u32 v24, vcc_lo, v20, v25
	v_add_co_ci_u32_e32 v25, vcc_lo, v21, v26, vcc_lo
	global_store_b16 v[24:25], v27, off
	s_or_b32 exec_lo, exec_lo, s15
	s_and_b32 s15, s7, s8
	s_delay_alu instid0(SALU_CYCLE_1)
	s_and_saveexec_b32 s8, s15
	s_cbranch_execz .LBB273_334
.LBB273_330:
	v_cmp_ne_u32_e32 vcc_lo, 1, v77
	s_cbranch_vccnz .LBB273_332
; %bb.331:
	v_lshlrev_b64 v[24:25], 1, v[46:47]
	s_delay_alu instid0(VALU_DEP_1) | instskip(NEXT) | instid1(VALU_DEP_2)
	v_add_co_u32 v22, vcc_lo, v22, v24
	v_add_co_ci_u32_e32 v23, vcc_lo, v23, v25, vcc_lo
	flat_load_u16 v22, v[22:23]
	s_waitcnt vmcnt(0) lgkmcnt(0)
	v_mul_f16_e32 v22, v48, v22
	s_branch .LBB273_333
.LBB273_332:
	v_mov_b32_e32 v22, 0
.LBB273_333:
	v_pk_add_f16 v4, v2, v4
	v_pk_max_f16 v23, v59, v59
	v_pk_add_f16 v5, v3, v5
	s_delay_alu instid0(VALU_DEP_2) | instskip(NEXT) | instid1(VALU_DEP_1)
	v_pk_min_f16 v4, v23, v4
	v_pk_min_f16 v23, v4, v5
	v_lshlrev_b64 v[4:5], 1, v[46:47]
	s_delay_alu instid0(VALU_DEP_2) | instskip(NEXT) | instid1(VALU_DEP_2)
	v_lshrrev_b32_e32 v24, 16, v23
	v_add_co_u32 v4, vcc_lo, v20, v4
	s_delay_alu instid0(VALU_DEP_3) | instskip(NEXT) | instid1(VALU_DEP_3)
	v_add_co_ci_u32_e32 v5, vcc_lo, v21, v5, vcc_lo
	v_min3_f16 v22, v22, v23, v24
	global_store_b16 v[4:5], v22, off
.LBB273_334:
	s_or_b32 exec_lo, exec_lo, s8
	v_add_nc_u32_e32 v22, 0xe0, v85
	s_delay_alu instid0(VALU_DEP_1) | instskip(SKIP_2) | instid1(VALU_DEP_3)
	v_mad_i64_i32 v[4:5], null, v22, s14, 0
	v_mad_i64_i32 v[20:21], null, v22, s9, 0
	v_cmp_gt_i32_e64 s8, s17, v22
	v_lshlrev_b64 v[4:5], 1, v[4:5]
	s_delay_alu instid0(VALU_DEP_2) | instskip(NEXT) | instid1(VALU_DEP_3)
	s_and_b32 s9, s0, s8
	v_lshlrev_b64 v[20:21], 1, v[20:21]
	s_delay_alu instid0(VALU_DEP_2) | instskip(NEXT) | instid1(VALU_DEP_3)
	v_add_co_u32 v22, vcc_lo, s12, v4
	v_add_co_ci_u32_e32 v23, vcc_lo, s13, v5, vcc_lo
	s_delay_alu instid0(VALU_DEP_3) | instskip(NEXT) | instid1(VALU_DEP_4)
	v_add_co_u32 v20, vcc_lo, s10, v20
	v_add_co_ci_u32_e32 v21, vcc_lo, s11, v21, vcc_lo
	s_and_saveexec_b32 s0, s9
	s_cbranch_execnz .LBB273_343
; %bb.335:
	s_or_b32 exec_lo, exec_lo, s0
	s_and_b32 s1, s1, s8
	s_delay_alu instid0(SALU_CYCLE_1)
	s_and_saveexec_b32 s0, s1
	s_cbranch_execnz .LBB273_347
.LBB273_336:
	s_or_b32 exec_lo, exec_lo, s0
	s_and_b32 s1, s2, s8
	s_delay_alu instid0(SALU_CYCLE_1)
	s_and_saveexec_b32 s0, s1
	s_cbranch_execnz .LBB273_351
.LBB273_337:
	s_or_b32 exec_lo, exec_lo, s0
	s_and_b32 s1, s3, s8
	s_delay_alu instid0(SALU_CYCLE_1)
	s_and_saveexec_b32 s0, s1
	s_cbranch_execnz .LBB273_355
.LBB273_338:
	s_or_b32 exec_lo, exec_lo, s0
	s_and_b32 s1, s4, s8
	s_delay_alu instid0(SALU_CYCLE_1)
	s_and_saveexec_b32 s0, s1
	s_cbranch_execnz .LBB273_359
.LBB273_339:
	s_or_b32 exec_lo, exec_lo, s0
	s_and_b32 s1, s5, s8
	s_delay_alu instid0(SALU_CYCLE_1)
	s_and_saveexec_b32 s0, s1
	s_cbranch_execnz .LBB273_363
.LBB273_340:
	s_or_b32 exec_lo, exec_lo, s0
	s_and_b32 s1, s6, s8
	s_delay_alu instid0(SALU_CYCLE_1)
	s_and_saveexec_b32 s0, s1
	s_cbranch_execnz .LBB273_367
.LBB273_341:
	s_or_b32 exec_lo, exec_lo, s0
	s_and_b32 s0, s7, s8
	s_delay_alu instid0(SALU_CYCLE_1)
	s_and_saveexec_b32 s1, s0
	s_cbranch_execnz .LBB273_371
.LBB273_342:
	s_nop 0
	s_sendmsg sendmsg(MSG_DEALLOC_VGPRS)
	s_endpgm
.LBB273_343:
	v_cmp_ne_u32_e32 vcc_lo, 1, v77
	v_lshlrev_b64 v[4:5], 1, v[32:33]
	s_cbranch_vccnz .LBB273_345
; %bb.344:
	s_delay_alu instid0(VALU_DEP_1) | instskip(NEXT) | instid1(VALU_DEP_2)
	v_add_co_u32 v24, vcc_lo, v22, v4
	v_add_co_ci_u32_e32 v25, vcc_lo, v23, v5, vcc_lo
	flat_load_u16 v24, v[24:25]
	s_waitcnt vmcnt(0) lgkmcnt(0)
	v_mul_f16_e32 v24, v48, v24
	s_branch .LBB273_346
.LBB273_345:
	v_mov_b32_e32 v24, 0
.LBB273_346:
	v_pk_add_f16 v16, v16, v6
	v_pk_max_f16 v25, v57, v57
	v_pk_add_f16 v17, v17, v7
	v_add_co_u32 v4, vcc_lo, v20, v4
	v_add_co_ci_u32_e32 v5, vcc_lo, v21, v5, vcc_lo
	s_delay_alu instid0(VALU_DEP_4) | instskip(NEXT) | instid1(VALU_DEP_1)
	v_pk_min_f16 v16, v25, v16
	v_pk_min_f16 v16, v16, v17
	s_delay_alu instid0(VALU_DEP_1) | instskip(NEXT) | instid1(VALU_DEP_1)
	v_lshrrev_b32_e32 v17, 16, v16
	v_min3_f16 v16, v24, v16, v17
	global_store_b16 v[4:5], v16, off
	s_or_b32 exec_lo, exec_lo, s0
	s_and_b32 s1, s1, s8
	s_delay_alu instid0(SALU_CYCLE_1)
	s_and_saveexec_b32 s0, s1
	s_cbranch_execz .LBB273_336
.LBB273_347:
	v_cmp_ne_u32_e32 vcc_lo, 1, v77
	v_lshlrev_b64 v[4:5], 1, v[34:35]
	s_cbranch_vccnz .LBB273_349
; %bb.348:
	s_delay_alu instid0(VALU_DEP_1) | instskip(NEXT) | instid1(VALU_DEP_2)
	v_add_co_u32 v16, vcc_lo, v22, v4
	v_add_co_ci_u32_e32 v17, vcc_lo, v23, v5, vcc_lo
	flat_load_u16 v16, v[16:17]
	s_waitcnt vmcnt(0) lgkmcnt(0)
	v_mul_f16_e32 v16, v48, v16
	s_branch .LBB273_350
.LBB273_349:
	v_mov_b32_e32 v16, 0
.LBB273_350:
	v_pk_add_f16 v17, v18, v6
	v_pk_max_f16 v18, v55, v55
	v_pk_add_f16 v19, v19, v7
	v_add_co_u32 v4, vcc_lo, v20, v4
	v_add_co_ci_u32_e32 v5, vcc_lo, v21, v5, vcc_lo
	s_delay_alu instid0(VALU_DEP_4) | instskip(NEXT) | instid1(VALU_DEP_1)
	v_pk_min_f16 v17, v18, v17
	v_pk_min_f16 v17, v17, v19
	s_delay_alu instid0(VALU_DEP_1) | instskip(NEXT) | instid1(VALU_DEP_1)
	v_lshrrev_b32_e32 v18, 16, v17
	v_min3_f16 v16, v16, v17, v18
	global_store_b16 v[4:5], v16, off
	s_or_b32 exec_lo, exec_lo, s0
	s_and_b32 s1, s2, s8
	s_delay_alu instid0(SALU_CYCLE_1)
	s_and_saveexec_b32 s0, s1
	s_cbranch_execz .LBB273_337
.LBB273_351:
	v_cmp_ne_u32_e32 vcc_lo, 1, v77
	v_lshlrev_b64 v[4:5], 1, v[36:37]
	s_cbranch_vccnz .LBB273_353
; %bb.352:
	s_delay_alu instid0(VALU_DEP_1) | instskip(NEXT) | instid1(VALU_DEP_2)
	v_add_co_u32 v16, vcc_lo, v22, v4
	v_add_co_ci_u32_e32 v17, vcc_lo, v23, v5, vcc_lo
	flat_load_u16 v16, v[16:17]
	s_waitcnt vmcnt(0) lgkmcnt(0)
	v_mul_f16_e32 v16, v48, v16
	s_branch .LBB273_354
.LBB273_353:
	v_mov_b32_e32 v16, 0
.LBB273_354:
	v_pk_add_f16 v12, v12, v6
	v_pk_max_f16 v17, v54, v54
	v_pk_add_f16 v13, v13, v7
	v_add_co_u32 v4, vcc_lo, v20, v4
	v_add_co_ci_u32_e32 v5, vcc_lo, v21, v5, vcc_lo
	s_delay_alu instid0(VALU_DEP_4) | instskip(NEXT) | instid1(VALU_DEP_1)
	v_pk_min_f16 v12, v17, v12
	v_pk_min_f16 v12, v12, v13
	s_delay_alu instid0(VALU_DEP_1) | instskip(NEXT) | instid1(VALU_DEP_1)
	v_lshrrev_b32_e32 v13, 16, v12
	v_min3_f16 v12, v16, v12, v13
	global_store_b16 v[4:5], v12, off
	s_or_b32 exec_lo, exec_lo, s0
	s_and_b32 s1, s3, s8
	s_delay_alu instid0(SALU_CYCLE_1)
	s_and_saveexec_b32 s0, s1
	s_cbranch_execz .LBB273_338
.LBB273_355:
	v_cmp_ne_u32_e32 vcc_lo, 1, v77
	v_lshlrev_b64 v[4:5], 1, v[38:39]
	s_cbranch_vccnz .LBB273_357
; %bb.356:
	s_delay_alu instid0(VALU_DEP_1) | instskip(NEXT) | instid1(VALU_DEP_2)
	v_add_co_u32 v12, vcc_lo, v22, v4
	v_add_co_ci_u32_e32 v13, vcc_lo, v23, v5, vcc_lo
	flat_load_u16 v12, v[12:13]
	s_waitcnt vmcnt(0) lgkmcnt(0)
	v_mul_f16_e32 v12, v48, v12
	s_branch .LBB273_358
.LBB273_357:
	v_mov_b32_e32 v12, 0
.LBB273_358:
	v_pk_add_f16 v13, v14, v6
	v_pk_max_f16 v14, v53, v53
	v_pk_add_f16 v15, v15, v7
	v_add_co_u32 v4, vcc_lo, v20, v4
	v_add_co_ci_u32_e32 v5, vcc_lo, v21, v5, vcc_lo
	s_delay_alu instid0(VALU_DEP_4) | instskip(NEXT) | instid1(VALU_DEP_1)
	v_pk_min_f16 v13, v14, v13
	v_pk_min_f16 v13, v13, v15
	s_delay_alu instid0(VALU_DEP_1) | instskip(NEXT) | instid1(VALU_DEP_1)
	v_lshrrev_b32_e32 v14, 16, v13
	v_min3_f16 v12, v12, v13, v14
	global_store_b16 v[4:5], v12, off
	s_or_b32 exec_lo, exec_lo, s0
	s_and_b32 s1, s4, s8
	s_delay_alu instid0(SALU_CYCLE_1)
	s_and_saveexec_b32 s0, s1
	s_cbranch_execz .LBB273_339
.LBB273_359:
	v_cmp_ne_u32_e32 vcc_lo, 1, v77
	v_lshlrev_b64 v[4:5], 1, v[40:41]
	s_cbranch_vccnz .LBB273_361
; %bb.360:
	s_delay_alu instid0(VALU_DEP_1) | instskip(NEXT) | instid1(VALU_DEP_2)
	v_add_co_u32 v12, vcc_lo, v22, v4
	v_add_co_ci_u32_e32 v13, vcc_lo, v23, v5, vcc_lo
	flat_load_u16 v12, v[12:13]
	s_waitcnt vmcnt(0) lgkmcnt(0)
	v_mul_f16_e32 v12, v48, v12
	s_branch .LBB273_362
.LBB273_361:
	v_mov_b32_e32 v12, 0
.LBB273_362:
	v_pk_add_f16 v8, v8, v6
	v_pk_max_f16 v13, v52, v52
	v_pk_add_f16 v9, v9, v7
	v_add_co_u32 v4, vcc_lo, v20, v4
	v_add_co_ci_u32_e32 v5, vcc_lo, v21, v5, vcc_lo
	s_delay_alu instid0(VALU_DEP_4) | instskip(NEXT) | instid1(VALU_DEP_1)
	v_pk_min_f16 v8, v13, v8
	v_pk_min_f16 v8, v8, v9
	s_delay_alu instid0(VALU_DEP_1) | instskip(NEXT) | instid1(VALU_DEP_1)
	v_lshrrev_b32_e32 v9, 16, v8
	v_min3_f16 v8, v12, v8, v9
	global_store_b16 v[4:5], v8, off
	s_or_b32 exec_lo, exec_lo, s0
	s_and_b32 s1, s5, s8
	s_delay_alu instid0(SALU_CYCLE_1)
	s_and_saveexec_b32 s0, s1
	s_cbranch_execz .LBB273_340
.LBB273_363:
	v_cmp_ne_u32_e32 vcc_lo, 1, v77
	v_lshlrev_b64 v[4:5], 1, v[42:43]
	s_cbranch_vccnz .LBB273_365
; %bb.364:
	s_delay_alu instid0(VALU_DEP_1) | instskip(NEXT) | instid1(VALU_DEP_2)
	v_add_co_u32 v8, vcc_lo, v22, v4
	v_add_co_ci_u32_e32 v9, vcc_lo, v23, v5, vcc_lo
	flat_load_u16 v8, v[8:9]
	s_waitcnt vmcnt(0) lgkmcnt(0)
	v_mul_f16_e32 v8, v48, v8
	s_branch .LBB273_366
.LBB273_365:
	v_mov_b32_e32 v8, 0
.LBB273_366:
	v_pk_add_f16 v9, v10, v6
	v_pk_max_f16 v10, v51, v51
	v_pk_add_f16 v11, v11, v7
	v_add_co_u32 v4, vcc_lo, v20, v4
	v_add_co_ci_u32_e32 v5, vcc_lo, v21, v5, vcc_lo
	s_delay_alu instid0(VALU_DEP_4) | instskip(NEXT) | instid1(VALU_DEP_1)
	v_pk_min_f16 v9, v10, v9
	v_pk_min_f16 v9, v9, v11
	s_delay_alu instid0(VALU_DEP_1) | instskip(NEXT) | instid1(VALU_DEP_1)
	v_lshrrev_b32_e32 v10, 16, v9
	v_min3_f16 v8, v8, v9, v10
	global_store_b16 v[4:5], v8, off
	s_or_b32 exec_lo, exec_lo, s0
	s_and_b32 s1, s6, s8
	s_delay_alu instid0(SALU_CYCLE_1)
	s_and_saveexec_b32 s0, s1
	s_cbranch_execz .LBB273_341
.LBB273_367:
	v_cmp_ne_u32_e32 vcc_lo, 1, v77
	v_lshlrev_b64 v[4:5], 1, v[44:45]
	s_cbranch_vccnz .LBB273_369
; %bb.368:
	s_delay_alu instid0(VALU_DEP_1) | instskip(NEXT) | instid1(VALU_DEP_2)
	v_add_co_u32 v8, vcc_lo, v22, v4
	v_add_co_ci_u32_e32 v9, vcc_lo, v23, v5, vcc_lo
	flat_load_u16 v8, v[8:9]
	s_waitcnt vmcnt(0) lgkmcnt(0)
	v_mul_f16_e32 v8, v48, v8
	s_branch .LBB273_370
.LBB273_369:
	v_mov_b32_e32 v8, 0
.LBB273_370:
	v_pk_add_f16 v0, v0, v6
	v_pk_max_f16 v9, v50, v50
	v_pk_add_f16 v1, v1, v7
	s_delay_alu instid0(VALU_DEP_2) | instskip(NEXT) | instid1(VALU_DEP_1)
	v_pk_min_f16 v0, v9, v0
	v_pk_min_f16 v0, v0, v1
	s_delay_alu instid0(VALU_DEP_1) | instskip(NEXT) | instid1(VALU_DEP_1)
	v_lshrrev_b32_e32 v1, 16, v0
	v_min3_f16 v8, v8, v0, v1
	v_add_co_u32 v0, vcc_lo, v20, v4
	v_add_co_ci_u32_e32 v1, vcc_lo, v21, v5, vcc_lo
	global_store_b16 v[0:1], v8, off
	s_or_b32 exec_lo, exec_lo, s0
	s_and_b32 s0, s7, s8
	s_delay_alu instid0(SALU_CYCLE_1)
	s_and_saveexec_b32 s1, s0
	s_cbranch_execz .LBB273_342
.LBB273_371:
	v_cmp_ne_u32_e32 vcc_lo, 1, v77
	v_lshlrev_b64 v[0:1], 1, v[46:47]
	s_cbranch_vccnz .LBB273_373
; %bb.372:
	s_delay_alu instid0(VALU_DEP_1) | instskip(NEXT) | instid1(VALU_DEP_2)
	v_add_co_u32 v4, vcc_lo, v22, v0
	v_add_co_ci_u32_e32 v5, vcc_lo, v23, v1, vcc_lo
	flat_load_u16 v4, v[4:5]
	s_waitcnt vmcnt(0) lgkmcnt(0)
	v_mul_f16_e32 v4, v48, v4
	s_branch .LBB273_374
.LBB273_373:
	v_mov_b32_e32 v4, 0
.LBB273_374:
	v_pk_add_f16 v2, v2, v6
	v_pk_max_f16 v5, v49, v49
	v_pk_add_f16 v3, v3, v7
	v_add_co_u32 v0, vcc_lo, v20, v0
	v_add_co_ci_u32_e32 v1, vcc_lo, v21, v1, vcc_lo
	s_delay_alu instid0(VALU_DEP_4) | instskip(NEXT) | instid1(VALU_DEP_1)
	v_pk_min_f16 v2, v5, v2
	v_pk_min_f16 v2, v2, v3
	s_delay_alu instid0(VALU_DEP_1) | instskip(NEXT) | instid1(VALU_DEP_1)
	v_lshrrev_b32_e32 v3, 16, v2
	v_min3_f16 v2, v4, v2, v3
	global_store_b16 v[0:1], v2, off
	s_nop 0
	s_sendmsg sendmsg(MSG_DEALLOC_VGPRS)
	s_endpgm
	.section	.rodata,"a",@progbits
	.p2align	6, 0x0
	.amdhsa_kernel _ZN12_GLOBAL__N_120geam_min_plus_kernelIDF16_Dv2_DF16_S1_Li8ELi32ELi64ELi256ELi4ELi64ELi4ELi64ELi4ELc78ELc84ELb0ELb1ELb1EPKDF16_S2_DF16_EEviiiT16_PT17_ilS6_ilS4_S6_ilPT18_ili26rocblas_geam_ex_operation_
		.amdhsa_group_segment_fixed_size 5120
		.amdhsa_private_segment_fixed_size 0
		.amdhsa_kernarg_size 136
		.amdhsa_user_sgpr_count 14
		.amdhsa_user_sgpr_dispatch_ptr 0
		.amdhsa_user_sgpr_queue_ptr 0
		.amdhsa_user_sgpr_kernarg_segment_ptr 1
		.amdhsa_user_sgpr_dispatch_id 0
		.amdhsa_user_sgpr_private_segment_size 0
		.amdhsa_wavefront_size32 1
		.amdhsa_uses_dynamic_stack 0
		.amdhsa_enable_private_segment 0
		.amdhsa_system_sgpr_workgroup_id_x 1
		.amdhsa_system_sgpr_workgroup_id_y 0
		.amdhsa_system_sgpr_workgroup_id_z 1
		.amdhsa_system_sgpr_workgroup_info 0
		.amdhsa_system_vgpr_workitem_id 1
		.amdhsa_next_free_vgpr 159
		.amdhsa_next_free_sgpr 31
		.amdhsa_reserve_vcc 1
		.amdhsa_float_round_mode_32 0
		.amdhsa_float_round_mode_16_64 0
		.amdhsa_float_denorm_mode_32 3
		.amdhsa_float_denorm_mode_16_64 3
		.amdhsa_dx10_clamp 1
		.amdhsa_ieee_mode 1
		.amdhsa_fp16_overflow 0
		.amdhsa_workgroup_processor_mode 1
		.amdhsa_memory_ordered 1
		.amdhsa_forward_progress 0
		.amdhsa_shared_vgpr_count 0
		.amdhsa_exception_fp_ieee_invalid_op 0
		.amdhsa_exception_fp_denorm_src 0
		.amdhsa_exception_fp_ieee_div_zero 0
		.amdhsa_exception_fp_ieee_overflow 0
		.amdhsa_exception_fp_ieee_underflow 0
		.amdhsa_exception_fp_ieee_inexact 0
		.amdhsa_exception_int_div_zero 0
	.end_amdhsa_kernel
	.section	.text._ZN12_GLOBAL__N_120geam_min_plus_kernelIDF16_Dv2_DF16_S1_Li8ELi32ELi64ELi256ELi4ELi64ELi4ELi64ELi4ELc78ELc84ELb0ELb1ELb1EPKDF16_S2_DF16_EEviiiT16_PT17_ilS6_ilS4_S6_ilPT18_ili26rocblas_geam_ex_operation_,"axG",@progbits,_ZN12_GLOBAL__N_120geam_min_plus_kernelIDF16_Dv2_DF16_S1_Li8ELi32ELi64ELi256ELi4ELi64ELi4ELi64ELi4ELc78ELc84ELb0ELb1ELb1EPKDF16_S2_DF16_EEviiiT16_PT17_ilS6_ilS4_S6_ilPT18_ili26rocblas_geam_ex_operation_,comdat
.Lfunc_end273:
	.size	_ZN12_GLOBAL__N_120geam_min_plus_kernelIDF16_Dv2_DF16_S1_Li8ELi32ELi64ELi256ELi4ELi64ELi4ELi64ELi4ELc78ELc84ELb0ELb1ELb1EPKDF16_S2_DF16_EEviiiT16_PT17_ilS6_ilS4_S6_ilPT18_ili26rocblas_geam_ex_operation_, .Lfunc_end273-_ZN12_GLOBAL__N_120geam_min_plus_kernelIDF16_Dv2_DF16_S1_Li8ELi32ELi64ELi256ELi4ELi64ELi4ELi64ELi4ELc78ELc84ELb0ELb1ELb1EPKDF16_S2_DF16_EEviiiT16_PT17_ilS6_ilS4_S6_ilPT18_ili26rocblas_geam_ex_operation_
                                        ; -- End function
	.section	.AMDGPU.csdata,"",@progbits
; Kernel info:
; codeLenInByte = 23484
; NumSgprs: 33
; NumVgprs: 159
; ScratchSize: 0
; MemoryBound: 0
; FloatMode: 240
; IeeeMode: 1
; LDSByteSize: 5120 bytes/workgroup (compile time only)
; SGPRBlocks: 4
; VGPRBlocks: 19
; NumSGPRsForWavesPerEU: 33
; NumVGPRsForWavesPerEU: 159
; Occupancy: 9
; WaveLimiterHint : 0
; COMPUTE_PGM_RSRC2:SCRATCH_EN: 0
; COMPUTE_PGM_RSRC2:USER_SGPR: 14
; COMPUTE_PGM_RSRC2:TRAP_HANDLER: 0
; COMPUTE_PGM_RSRC2:TGID_X_EN: 1
; COMPUTE_PGM_RSRC2:TGID_Y_EN: 0
; COMPUTE_PGM_RSRC2:TGID_Z_EN: 1
; COMPUTE_PGM_RSRC2:TIDIG_COMP_CNT: 1
	.section	.text._ZN12_GLOBAL__N_120geam_min_plus_kernelIDF16_Dv2_DF16_S1_Li8ELi32ELi64ELi256ELi4ELi64ELi4ELi64ELi4ELc78ELc84ELb1ELb1ELb1EDF16_KDF16_DF16_EEviiiT16_PT17_ilS5_ilS3_S5_ilPT18_ili26rocblas_geam_ex_operation_,"axG",@progbits,_ZN12_GLOBAL__N_120geam_min_plus_kernelIDF16_Dv2_DF16_S1_Li8ELi32ELi64ELi256ELi4ELi64ELi4ELi64ELi4ELc78ELc84ELb1ELb1ELb1EDF16_KDF16_DF16_EEviiiT16_PT17_ilS5_ilS3_S5_ilPT18_ili26rocblas_geam_ex_operation_,comdat
	.globl	_ZN12_GLOBAL__N_120geam_min_plus_kernelIDF16_Dv2_DF16_S1_Li8ELi32ELi64ELi256ELi4ELi64ELi4ELi64ELi4ELc78ELc84ELb1ELb1ELb1EDF16_KDF16_DF16_EEviiiT16_PT17_ilS5_ilS3_S5_ilPT18_ili26rocblas_geam_ex_operation_ ; -- Begin function _ZN12_GLOBAL__N_120geam_min_plus_kernelIDF16_Dv2_DF16_S1_Li8ELi32ELi64ELi256ELi4ELi64ELi4ELi64ELi4ELc78ELc84ELb1ELb1ELb1EDF16_KDF16_DF16_EEviiiT16_PT17_ilS5_ilS3_S5_ilPT18_ili26rocblas_geam_ex_operation_
	.p2align	8
	.type	_ZN12_GLOBAL__N_120geam_min_plus_kernelIDF16_Dv2_DF16_S1_Li8ELi32ELi64ELi256ELi4ELi64ELi4ELi64ELi4ELc78ELc84ELb1ELb1ELb1EDF16_KDF16_DF16_EEviiiT16_PT17_ilS5_ilS3_S5_ilPT18_ili26rocblas_geam_ex_operation_,@function
_ZN12_GLOBAL__N_120geam_min_plus_kernelIDF16_Dv2_DF16_S1_Li8ELi32ELi64ELi256ELi4ELi64ELi4ELi64ELi4ELc78ELc84ELb1ELb1ELb1EDF16_KDF16_DF16_EEviiiT16_PT17_ilS5_ilS3_S5_ilPT18_ili26rocblas_geam_ex_operation_: ; @_ZN12_GLOBAL__N_120geam_min_plus_kernelIDF16_Dv2_DF16_S1_Li8ELi32ELi64ELi256ELi4ELi64ELi4ELi64ELi4ELc78ELc84ELb1ELb1ELb1EDF16_KDF16_DF16_EEviiiT16_PT17_ilS5_ilS3_S5_ilPT18_ili26rocblas_geam_ex_operation_
; %bb.0:
	s_clause 0x1
	s_load_b128 s[16:19], s[0:1], 0x0
	s_load_b128 s[4:7], s[0:1], 0x20
	s_waitcnt lgkmcnt(0)
	v_cmp_eq_f16_e64 s2, s19, 0
	s_delay_alu instid0(VALU_DEP_1)
	s_and_b32 vcc_lo, exec_lo, s2
	s_cbranch_vccnz .LBB274_3
; %bb.1:
	s_load_b64 s[8:9], s[0:1], 0x10
	s_mul_i32 s3, s15, s5
	s_mul_hi_u32 s5, s15, s4
	s_mul_i32 s4, s15, s4
	s_add_i32 s5, s5, s3
	s_delay_alu instid0(SALU_CYCLE_1)
	s_lshl_b64 s[4:5], s[4:5], 1
	s_waitcnt lgkmcnt(0)
	s_add_u32 s20, s8, s4
	s_addc_u32 s21, s9, s5
	s_and_not1_b32 vcc_lo, exec_lo, s2
	s_cbranch_vccnz .LBB274_4
.LBB274_2:
	s_mov_b32 s27, 0
	s_mov_b64 s[22:23], 0
	s_cbranch_execz .LBB274_5
	s_branch .LBB274_6
.LBB274_3:
	s_mov_b64 s[20:21], 0
	s_and_not1_b32 vcc_lo, exec_lo, s2
	s_cbranch_vccz .LBB274_2
.LBB274_4:
	s_mov_b32 s27, -1
                                        ; implicit-def: $sgpr22_sgpr23
.LBB274_5:
	s_load_b64 s[2:3], s[0:1], 0x38
	s_mov_b32 s27, 0
	s_waitcnt lgkmcnt(0)
	s_mul_i32 s3, s15, s3
	s_mul_hi_u32 s4, s15, s2
	s_mul_i32 s2, s15, s2
	s_add_i32 s3, s4, s3
	s_delay_alu instid0(SALU_CYCLE_1) | instskip(NEXT) | instid1(SALU_CYCLE_1)
	s_lshl_b64 s[2:3], s[2:3], 1
	s_add_u32 s22, s6, s2
	s_addc_u32 s23, s7, s3
.LBB274_6:
	s_clause 0x1
	s_load_b32 s19, s[0:1], 0x40
	s_load_b128 s[8:11], s[0:1], 0x58
	s_waitcnt lgkmcnt(0)
	v_cmp_eq_f16_e64 s2, s19, 0
	v_cmp_neq_f16_e64 s26, s19, 0
	s_delay_alu instid0(VALU_DEP_2)
	s_and_b32 vcc_lo, exec_lo, s2
	s_cbranch_vccnz .LBB274_8
; %bb.7:
	s_load_b64 s[2:3], s[0:1], 0x48
	s_mul_i32 s4, s15, s9
	s_mul_hi_u32 s5, s15, s8
	s_delay_alu instid0(SALU_CYCLE_1) | instskip(SKIP_1) | instid1(SALU_CYCLE_1)
	s_add_i32 s4, s5, s4
	s_mul_i32 s5, s27, s8
	s_add_i32 s5, s4, s5
	s_mul_i32 s4, s15, s8
	s_delay_alu instid0(SALU_CYCLE_1)
	s_lshl_b64 s[4:5], s[4:5], 1
	s_waitcnt lgkmcnt(0)
	s_add_u32 s12, s2, s4
	s_addc_u32 s13, s3, s5
	s_branch .LBB274_9
.LBB274_8:
	s_mov_b64 s[12:13], 0
.LBB274_9:
	s_add_i32 s2, s16, -1
	s_load_b32 s8, s[0:1], 0x18
	s_ashr_i32 s3, s2, 31
	v_and_b32_e32 v40, 0x3ff, v0
	s_lshr_b32 s3, s3, 26
	v_bfe_u32 v41, v0, 10, 10
	s_add_i32 s2, s2, s3
	v_mov_b32_e32 v2, 0x7c00
	s_ashr_i32 s2, s2, 6
	s_delay_alu instid0(VALU_DEP_2) | instskip(SKIP_3) | instid1(VALU_DEP_2)
	v_lshl_add_u32 v0, v41, 3, v40
	s_add_i32 s4, s2, 1
	s_not_b32 s2, s2
	v_cvt_f32_u32_e32 v1, s4
	v_lshrrev_b32_e32 v42, 6, v0
	s_delay_alu instid0(VALU_DEP_2) | instskip(SKIP_4) | instid1(VALU_DEP_1)
	v_rcp_iflag_f32_e32 v1, v1
	s_waitcnt lgkmcnt(0)
	s_ashr_i32 s9, s8, 31
	s_waitcnt_depctr 0xfff
	v_mul_f32_e32 v1, 0x4f7ffffe, v1
	v_cvt_u32_f32_e32 v1, v1
	s_delay_alu instid0(VALU_DEP_1) | instskip(SKIP_1) | instid1(VALU_DEP_2)
	v_readfirstlane_b32 s3, v1
	v_dual_mov_b32 v0, 0x7c00 :: v_dual_and_b32 v1, 63, v0
	s_mul_i32 s2, s2, s3
	s_delay_alu instid0(SALU_CYCLE_1) | instskip(NEXT) | instid1(SALU_CYCLE_1)
	s_mul_hi_u32 s2, s3, s2
	s_add_i32 s3, s3, s2
	s_delay_alu instid0(SALU_CYCLE_1) | instskip(NEXT) | instid1(SALU_CYCLE_1)
	s_mul_hi_u32 s2, s14, s3
	s_mul_i32 s3, s2, s4
	s_add_i32 s5, s2, 1
	s_sub_i32 s3, s14, s3
	s_delay_alu instid0(SALU_CYCLE_1)
	s_sub_i32 s6, s3, s4
	s_cmp_ge_u32 s3, s4
	s_cselect_b32 s2, s5, s2
	s_cselect_b32 s3, s6, s3
	s_add_i32 s5, s2, 1
	s_cmp_ge_u32 s3, s4
	v_cmp_le_i32_e64 s6, s18, v42
	s_cselect_b32 s3, s5, s2
	s_delay_alu instid0(SALU_CYCLE_1) | instskip(NEXT) | instid1(SALU_CYCLE_1)
	s_mul_i32 s2, s3, s4
	s_sub_i32 s2, s14, s2
	s_delay_alu instid0(SALU_CYCLE_1) | instskip(NEXT) | instid1(SALU_CYCLE_1)
	s_lshl_b32 s28, s2, 6
	v_or_b32_e32 v20, s28, v1
	s_delay_alu instid0(VALU_DEP_1) | instskip(SKIP_2) | instid1(SALU_CYCLE_1)
	v_cmp_le_i32_e32 vcc_lo, s16, v20
	v_ashrrev_i32_e32 v21, 31, v20
	s_or_b32 s2, vcc_lo, s6
	s_xor_b32 s2, s2, -1
	s_delay_alu instid0(SALU_CYCLE_1)
	s_and_saveexec_b32 s4, s2
	s_cbranch_execz .LBB274_11
; %bb.10:
	v_mad_i64_i32 v[2:3], null, s8, v42, 0
	v_lshlrev_b64 v[4:5], 1, v[20:21]
	s_delay_alu instid0(VALU_DEP_2) | instskip(NEXT) | instid1(VALU_DEP_1)
	v_lshlrev_b64 v[2:3], 1, v[2:3]
	v_add_co_u32 v2, s2, s20, v2
	s_delay_alu instid0(VALU_DEP_1) | instskip(NEXT) | instid1(VALU_DEP_2)
	v_add_co_ci_u32_e64 v3, s2, s21, v3, s2
	v_add_co_u32 v2, s2, v2, v4
	s_delay_alu instid0(VALU_DEP_1)
	v_add_co_ci_u32_e64 v3, s2, v3, v5, s2
	flat_load_u16 v2, v[2:3]
.LBB274_11:
	s_or_b32 exec_lo, exec_lo, s4
	s_load_b32 s24, s[0:1], 0x30
	s_lshl_b32 s29, s3, 8
	s_delay_alu instid0(SALU_CYCLE_1) | instskip(NEXT) | instid1(VALU_DEP_1)
	v_or_b32_e32 v22, s29, v1
	v_cmp_le_i32_e64 s2, s17, v22
	v_ashrrev_i32_e32 v23, 31, v22
	s_waitcnt lgkmcnt(0)
	v_mad_i64_i32 v[3:4], null, v42, s24, 0
	s_delay_alu instid0(VALU_DEP_1) | instskip(NEXT) | instid1(VALU_DEP_1)
	v_lshlrev_b64 v[3:4], 1, v[3:4]
	v_add_co_u32 v6, s3, s22, v3
	s_delay_alu instid0(VALU_DEP_1) | instskip(SKIP_1) | instid1(SALU_CYCLE_1)
	v_add_co_ci_u32_e64 v7, s3, s23, v4, s3
	s_or_b32 s3, s2, s6
	s_xor_b32 s3, s3, -1
	s_delay_alu instid0(SALU_CYCLE_1)
	s_and_saveexec_b32 s4, s3
	s_cbranch_execz .LBB274_13
; %bb.12:
	v_lshlrev_b64 v[3:4], 1, v[22:23]
	s_delay_alu instid0(VALU_DEP_1) | instskip(NEXT) | instid1(VALU_DEP_1)
	v_add_co_u32 v3, s3, v6, v3
	v_add_co_ci_u32_e64 v4, s3, v7, v4, s3
	flat_load_u16 v0, v[3:4]
.LBB274_13:
	s_or_b32 exec_lo, exec_lo, s4
	v_or_b32_e32 v3, 64, v22
	v_mov_b32_e32 v4, 0x7c00
	s_delay_alu instid0(VALU_DEP_2) | instskip(SKIP_1) | instid1(VALU_DEP_2)
	v_cmp_le_i32_e64 s3, s17, v3
	v_mov_b32_e32 v3, 0x7c00
	s_or_b32 s4, s3, s6
	s_delay_alu instid0(SALU_CYCLE_1) | instskip(NEXT) | instid1(SALU_CYCLE_1)
	s_xor_b32 s4, s4, -1
	s_and_saveexec_b32 s5, s4
	s_cbranch_execz .LBB274_15
; %bb.14:
	v_lshlrev_b64 v[4:5], 1, v[22:23]
	s_delay_alu instid0(VALU_DEP_1) | instskip(NEXT) | instid1(VALU_DEP_1)
	v_add_co_u32 v4, s4, v6, v4
	v_add_co_ci_u32_e64 v5, s4, v7, v5, s4
	flat_load_u16 v4, v[4:5] offset:128
.LBB274_15:
	s_or_b32 exec_lo, exec_lo, s5
	v_or_b32_e32 v5, 0x80, v22
	s_ashr_i32 s25, s24, 31
	s_delay_alu instid0(VALU_DEP_1) | instskip(NEXT) | instid1(VALU_DEP_1)
	v_cmp_le_i32_e64 s4, s17, v5
	s_or_b32 s5, s4, s6
	s_delay_alu instid0(SALU_CYCLE_1) | instskip(NEXT) | instid1(SALU_CYCLE_1)
	s_xor_b32 s5, s5, -1
	s_and_saveexec_b32 s7, s5
	s_cbranch_execz .LBB274_17
; %bb.16:
	v_lshlrev_b64 v[8:9], 1, v[22:23]
	s_delay_alu instid0(VALU_DEP_1) | instskip(NEXT) | instid1(VALU_DEP_1)
	v_add_co_u32 v8, s5, v6, v8
	v_add_co_ci_u32_e64 v9, s5, v7, v9, s5
	flat_load_u16 v3, v[8:9] offset:256
.LBB274_17:
	s_or_b32 exec_lo, exec_lo, s7
	v_or_b32_e32 v5, 0xc0, v22
	v_mov_b32_e32 v24, 0x7c00
	s_delay_alu instid0(VALU_DEP_2) | instskip(SKIP_1) | instid1(VALU_DEP_2)
	v_cmp_le_i32_e64 s5, s17, v5
	v_mov_b32_e32 v5, 0x7c00
	s_or_b32 s6, s5, s6
	s_delay_alu instid0(SALU_CYCLE_1) | instskip(NEXT) | instid1(SALU_CYCLE_1)
	s_xor_b32 s6, s6, -1
	s_and_saveexec_b32 s7, s6
	s_cbranch_execz .LBB274_19
; %bb.18:
	v_lshlrev_b64 v[8:9], 1, v[22:23]
	s_delay_alu instid0(VALU_DEP_1) | instskip(NEXT) | instid1(VALU_DEP_1)
	v_add_co_u32 v5, s6, v6, v8
	v_add_co_ci_u32_e64 v6, s6, v7, v9, s6
	flat_load_u16 v5, v[5:6] offset:384
.LBB274_19:
	s_or_b32 exec_lo, exec_lo, s7
	v_add_nc_u32_e32 v6, 4, v42
	s_delay_alu instid0(VALU_DEP_1) | instskip(NEXT) | instid1(VALU_DEP_1)
	v_cmp_le_i32_e64 s6, s18, v6
	s_or_b32 s7, vcc_lo, s6
	s_delay_alu instid0(SALU_CYCLE_1) | instskip(NEXT) | instid1(SALU_CYCLE_1)
	s_xor_b32 s7, s7, -1
	s_and_saveexec_b32 s14, s7
	s_cbranch_execz .LBB274_21
; %bb.20:
	v_mad_i64_i32 v[7:8], null, s8, v6, 0
	v_lshlrev_b64 v[9:10], 1, v[20:21]
	s_delay_alu instid0(VALU_DEP_2) | instskip(NEXT) | instid1(VALU_DEP_1)
	v_lshlrev_b64 v[7:8], 1, v[7:8]
	v_add_co_u32 v7, s7, s20, v7
	s_delay_alu instid0(VALU_DEP_1) | instskip(NEXT) | instid1(VALU_DEP_2)
	v_add_co_ci_u32_e64 v8, s7, s21, v8, s7
	v_add_co_u32 v7, s7, v7, v9
	s_delay_alu instid0(VALU_DEP_1)
	v_add_co_ci_u32_e64 v8, s7, v8, v10, s7
	flat_load_u16 v24, v[7:8]
.LBB274_21:
	s_or_b32 exec_lo, exec_lo, s14
	v_mad_i64_i32 v[7:8], null, v6, s24, 0
	v_dual_mov_b32 v25, 0x7c00 :: v_dual_mov_b32 v26, 0x7c00
	s_delay_alu instid0(VALU_DEP_2) | instskip(NEXT) | instid1(VALU_DEP_1)
	v_lshlrev_b64 v[6:7], 1, v[7:8]
	v_add_co_u32 v6, s7, s22, v6
	s_delay_alu instid0(VALU_DEP_1) | instskip(SKIP_1) | instid1(SALU_CYCLE_1)
	v_add_co_ci_u32_e64 v7, s7, s23, v7, s7
	s_or_b32 s7, s2, s6
	s_xor_b32 s7, s7, -1
	s_delay_alu instid0(SALU_CYCLE_1)
	s_and_saveexec_b32 s14, s7
	s_cbranch_execz .LBB274_23
; %bb.22:
	v_lshlrev_b64 v[8:9], 1, v[22:23]
	s_delay_alu instid0(VALU_DEP_1) | instskip(NEXT) | instid1(VALU_DEP_1)
	v_add_co_u32 v8, s7, v6, v8
	v_add_co_ci_u32_e64 v9, s7, v7, v9, s7
	flat_load_u16 v26, v[8:9]
.LBB274_23:
	s_or_b32 exec_lo, exec_lo, s14
	s_or_b32 s7, s3, s6
	s_delay_alu instid0(SALU_CYCLE_1) | instskip(NEXT) | instid1(SALU_CYCLE_1)
	s_xor_b32 s7, s7, -1
	s_and_saveexec_b32 s14, s7
	s_cbranch_execz .LBB274_25
; %bb.24:
	v_lshlrev_b64 v[8:9], 1, v[22:23]
	s_delay_alu instid0(VALU_DEP_1) | instskip(NEXT) | instid1(VALU_DEP_1)
	v_add_co_u32 v8, s7, v6, v8
	v_add_co_ci_u32_e64 v9, s7, v7, v9, s7
	flat_load_u16 v25, v[8:9] offset:128
.LBB274_25:
	s_or_b32 exec_lo, exec_lo, s14
	v_dual_mov_b32 v27, 0x7c00 :: v_dual_mov_b32 v28, 0x7c00
	s_or_b32 s7, s4, s6
	s_delay_alu instid0(SALU_CYCLE_1) | instskip(NEXT) | instid1(SALU_CYCLE_1)
	s_xor_b32 s7, s7, -1
	s_and_saveexec_b32 s14, s7
	s_cbranch_execz .LBB274_27
; %bb.26:
	v_lshlrev_b64 v[8:9], 1, v[22:23]
	s_delay_alu instid0(VALU_DEP_1) | instskip(NEXT) | instid1(VALU_DEP_1)
	v_add_co_u32 v8, s7, v6, v8
	v_add_co_ci_u32_e64 v9, s7, v7, v9, s7
	flat_load_u16 v28, v[8:9] offset:256
.LBB274_27:
	s_or_b32 exec_lo, exec_lo, s14
	s_or_b32 s6, s5, s6
	s_delay_alu instid0(SALU_CYCLE_1) | instskip(NEXT) | instid1(SALU_CYCLE_1)
	s_xor_b32 s6, s6, -1
	s_and_saveexec_b32 s7, s6
	s_cbranch_execz .LBB274_29
; %bb.28:
	v_lshlrev_b64 v[8:9], 1, v[22:23]
	s_delay_alu instid0(VALU_DEP_1) | instskip(NEXT) | instid1(VALU_DEP_1)
	v_add_co_u32 v6, s6, v6, v8
	v_add_co_ci_u32_e64 v7, s6, v7, v9, s6
	flat_load_u16 v27, v[6:7] offset:384
.LBB274_29:
	s_or_b32 exec_lo, exec_lo, s7
	v_lshlrev_b32_e32 v6, 1, v42
	v_lshlrev_b32_e32 v43, 3, v40
	;; [unrolled: 1-line block ×3, first 2 shown]
	s_cmp_lt_i32 s18, 9
	s_delay_alu instid0(VALU_DEP_3) | instskip(NEXT) | instid1(VALU_DEP_3)
	v_lshl_add_u32 v45, v1, 3, v6
	v_add_nc_u32_e32 v1, 0x1000, v43
	s_waitcnt vmcnt(0) lgkmcnt(0)
	ds_store_b16 v45, v0
	ds_store_b16 v45, v4 offset:512
	ds_store_b16 v45, v3 offset:1024
	;; [unrolled: 1-line block ×4, first 2 shown]
	s_waitcnt lgkmcnt(0)
	s_barrier
	buffer_gl0_inv
	ds_load_2addr_b64 v[16:19], v1 offset1:8
	ds_load_2addr_b64 v[29:32], v44 offset1:32
	ds_load_2addr_b64 v[12:15], v1 offset0:16 offset1:24
	ds_load_2addr_b64 v[4:7], v1 offset0:32 offset1:40
	;; [unrolled: 1-line block ×6, first 2 shown]
	ds_store_b16 v45, v26 offset:2048
	ds_store_b16 v45, v25 offset:2560
	;; [unrolled: 1-line block ×5, first 2 shown]
	s_waitcnt lgkmcnt(0)
	s_barrier
	buffer_gl0_inv
	v_pk_add_f16 v37, v16, v29
	v_pk_add_f16 v38, v18, v29
	;; [unrolled: 1-line block ×11, first 2 shown]
	v_pk_min_f16 v83, 0x7c00, v78 op_sel_hi:[0,1]
	v_pk_add_f16 v78, v0, v47
	v_pk_add_f16 v47, v2, v47
	v_pk_min_f16 v112, 0x7c00, v79 op_sel_hi:[0,1]
	v_pk_min_f16 v113, 0x7c00, v80 op_sel_hi:[0,1]
	v_pk_add_f16 v79, v16, v49
	v_pk_add_f16 v80, v18, v49
	v_pk_min_f16 v114, 0x7c00, v78 op_sel_hi:[0,1]
	v_pk_min_f16 v115, 0x7c00, v47 op_sel_hi:[0,1]
	v_pk_add_f16 v47, v14, v49
	v_pk_add_f16 v78, v4, v49
	;; [unrolled: 1-line block ×3, first 2 shown]
	v_pk_min_f16 v116, 0x7c00, v79 op_sel_hi:[0,1]
	v_pk_min_f16 v117, 0x7c00, v80 op_sel_hi:[0,1]
	v_pk_add_f16 v79, v6, v49
	v_pk_add_f16 v80, v0, v49
	v_pk_min_f16 v119, 0x7c00, v47 op_sel_hi:[0,1]
	v_pk_min_f16 v120, 0x7c00, v78 op_sel_hi:[0,1]
	v_pk_add_f16 v47, v16, v8
	v_pk_add_f16 v78, v18, v8
	;; [unrolled: 1-line block ×5, first 2 shown]
	v_pk_min_f16 v37, 0x7c00, v37 op_sel_hi:[0,1]
	v_pk_add_f16 v54, v16, v31
	v_pk_add_f16 v55, v18, v31
	;; [unrolled: 1-line block ×24, first 2 shown]
	v_pk_min_f16 v118, 0x7c00, v81 op_sel_hi:[0,1]
	v_pk_add_f16 v49, v2, v49
	v_pk_min_f16 v121, 0x7c00, v79 op_sel_hi:[0,1]
	v_pk_min_f16 v122, 0x7c00, v80 op_sel_hi:[0,1]
	v_pk_add_f16 v79, v12, v8
	v_pk_add_f16 v80, v14, v8
	;; [unrolled: 1-line block ×3, first 2 shown]
	v_pk_min_f16 v123, 0x7c00, v47 op_sel_hi:[0,1]
	v_pk_min_f16 v124, 0x7c00, v78 op_sel_hi:[0,1]
	v_pk_add_f16 v47, v6, v8
	v_pk_add_f16 v78, v0, v8
	;; [unrolled: 1-line block ×12, first 2 shown]
	v_pk_min_f16 v38, 0x7c00, v38 op_sel_hi:[0,1]
	v_pk_min_f16 v51, 0x7c00, v51 op_sel_hi:[0,1]
	;; [unrolled: 1-line block ×3, first 2 shown]
	v_pk_add_f16 v47, v19, v30
	v_pk_min_f16 v111, v37, v10
	v_pk_add_f16 v10, v5, v30
	v_pk_min_f16 v29, 0x7c00, v29 op_sel_hi:[0,1]
	v_pk_min_f16 v55, 0x7c00, v55 op_sel_hi:[0,1]
	;; [unrolled: 1-line block ×4, first 2 shown]
	v_pk_add_f16 v78, v13, v30
	v_pk_add_f16 v79, v15, v30
	v_pk_min_f16 v110, v38, v47
	v_pk_add_f16 v37, v7, v30
	v_pk_add_f16 v38, v1, v30
	;; [unrolled: 1-line block ×3, first 2 shown]
	v_pk_min_f16 v107, v51, v10
	v_pk_add_f16 v10, v19, v32
	v_pk_min_f16 v39, 0x7c00, v39 op_sel_hi:[0,1]
	v_pk_min_f16 v46, 0x7c00, v46 op_sel_hi:[0,1]
	;; [unrolled: 1-line block ×7, first 2 shown]
	v_pk_min_f16 v106, v29, v30
	v_pk_add_f16 v29, v13, v32
	v_pk_add_f16 v30, v15, v32
	v_pk_min_f16 v104, v55, v10
	v_pk_add_f16 v10, v1, v32
	v_pk_min_f16 v31, 0x7c00, v31 op_sel_hi:[0,1]
	v_pk_min_f16 v61, 0x7c00, v61 op_sel_hi:[0,1]
	;; [unrolled: 1-line block ×4, first 2 shown]
	v_pk_min_f16 v109, v39, v78
	v_pk_min_f16 v108, v46, v79
	v_pk_add_f16 v39, v17, v32
	v_pk_min_f16 v47, v52, v37
	v_pk_min_f16 v46, v53, v38
	v_pk_add_f16 v37, v5, v32
	v_pk_add_f16 v38, v7, v32
	v_pk_min_f16 v103, v56, v29
	v_pk_min_f16 v102, v57, v30
	v_pk_add_f16 v29, v3, v32
	v_pk_add_f16 v30, v17, v34
	;; [unrolled: 1-line block ×3, first 2 shown]
	v_pk_min_f16 v99, v60, v10
	v_pk_add_f16 v10, v15, v34
	v_pk_min_f16 v65, 0x7c00, v65 op_sel_hi:[0,1]
	v_pk_min_f16 v66, 0x7c00, v66 op_sel_hi:[0,1]
	;; [unrolled: 1-line block ×5, first 2 shown]
	v_pk_min_f16 v98, v31, v29
	v_pk_min_f16 v97, v61, v30
	;; [unrolled: 1-line block ×3, first 2 shown]
	v_pk_add_f16 v29, v5, v34
	v_pk_add_f16 v30, v7, v34
	;; [unrolled: 1-line block ×4, first 2 shown]
	v_pk_min_f16 v94, v64, v10
	v_pk_add_f16 v10, v17, v36
	v_pk_min_f16 v69, 0x7c00, v69 op_sel_hi:[0,1]
	v_pk_min_f16 v70, 0x7c00, v70 op_sel_hi:[0,1]
	;; [unrolled: 1-line block ×5, first 2 shown]
	v_pk_min_f16 v93, v65, v29
	v_pk_min_f16 v92, v66, v30
	v_pk_min_f16 v91, v67, v31
	v_pk_min_f16 v90, v33, v32
	v_pk_add_f16 v29, v19, v36
	v_pk_add_f16 v30, v13, v36
	;; [unrolled: 1-line block ×4, first 2 shown]
	v_pk_min_f16 v89, v68, v10
	v_pk_add_f16 v10, v7, v36
	v_pk_min_f16 v74, 0x7c00, v74 op_sel_hi:[0,1]
	v_pk_min_f16 v35, 0x7c00, v35 op_sel_hi:[0,1]
	v_pk_min_f16 v75, 0x7c00, v75 op_sel_hi:[0,1]
	v_pk_min_f16 v76, 0x7c00, v76 op_sel_hi:[0,1]
	v_pk_min_f16 v77, 0x7c00, v77 op_sel_hi:[0,1]
	v_pk_min_f16 v88, v69, v29
	v_pk_min_f16 v87, v70, v30
	;; [unrolled: 1-line block ×4, first 2 shown]
	v_pk_add_f16 v29, v1, v36
	v_pk_add_f16 v30, v3, v36
	;; [unrolled: 1-line block ×4, first 2 shown]
	v_pk_min_f16 v84, v73, v10
	v_pk_add_f16 v10, v13, v48
	v_pk_min_f16 v126, 0x7c00, v80 op_sel_hi:[0,1]
	v_pk_min_f16 v127, 0x7c00, v81 op_sel_hi:[0,1]
	v_pk_min_f16 v82, v74, v29
	v_pk_min_f16 v81, v35, v30
	;; [unrolled: 1-line block ×4, first 2 shown]
	v_pk_add_f16 v29, v15, v48
	v_pk_add_f16 v30, v5, v48
	;; [unrolled: 1-line block ×4, first 2 shown]
	v_pk_min_f16 v78, v77, v10
	v_pk_add_f16 v10, v3, v48
	v_pk_min_f16 v58, 0x7c00, v58 op_sel_hi:[0,1]
	v_pk_min_f16 v77, v83, v29
	v_pk_min_f16 v75, v112, v30
	;; [unrolled: 1-line block ×4, first 2 shown]
	v_pk_add_f16 v29, v17, v50
	v_pk_add_f16 v30, v19, v50
	;; [unrolled: 1-line block ×4, first 2 shown]
	v_pk_min_f16 v72, v115, v10
	v_pk_add_f16 v10, v5, v50
	v_pk_min_f16 v63, 0x7c00, v63 op_sel_hi:[0,1]
	v_pk_min_f16 v49, 0x7c00, v49 op_sel_hi:[0,1]
	v_pk_min_f16 v101, v58, v37
	v_pk_add_f16 v37, v13, v34
	v_pk_min_f16 v71, v116, v29
	v_pk_min_f16 v70, v117, v30
	v_pk_min_f16 v69, v118, v31
	v_pk_min_f16 v68, v119, v32
	v_pk_add_f16 v29, v7, v50
	v_pk_add_f16 v30, v1, v50
	;; [unrolled: 1-line block ×4, first 2 shown]
	v_pk_min_f16 v67, v120, v10
	v_pk_add_f16 v10, v19, v9
	v_pk_min_f16 v8, 0x7c00, v8 op_sel_hi:[0,1]
	v_pk_min_f16 v95, v63, v37
	v_pk_min_f16 v66, v121, v29
	;; [unrolled: 1-line block ×5, first 2 shown]
	v_pk_add_f16 v29, v13, v9
	v_pk_add_f16 v30, v15, v9
	;; [unrolled: 1-line block ×4, first 2 shown]
	v_pk_min_f16 v62, v124, v10
	v_pk_add_f16 v10, v1, v9
	v_pk_add_f16 v9, v3, v9
	v_pk_min_f16 v54, 0x7c00, v54 op_sel_hi:[0,1]
	v_pk_min_f16 v59, 0x7c00, v59 op_sel_hi:[0,1]
	;; [unrolled: 1-line block ×10, first 2 shown]
	v_pk_add_f16 v17, v17, v11
	v_pk_add_f16 v19, v19, v11
	v_pk_add_f16 v13, v13, v11
	v_pk_min_f16 v58, v8, v9
	v_pk_add_f16 v8, v15, v11
	v_pk_add_f16 v5, v5, v11
	;; [unrolled: 1-line block ×5, first 2 shown]
	v_pk_min_f16 v105, v54, v39
	v_pk_min_f16 v100, v59, v38
	v_pk_min_f16 v61, v125, v29
	v_pk_min_f16 v59, v126, v30
	v_pk_min_f16 v57, v127, v31
	v_pk_min_f16 v55, v128, v32
	v_pk_min_f16 v60, v129, v10
	v_pk_min_f16 v56, v16, v17
	v_pk_min_f16 v54, v18, v19
	v_pk_min_f16 v53, v12, v13
	v_pk_min_f16 v52, v14, v8
	v_pk_min_f16 v51, v4, v5
	v_pk_min_f16 v50, v6, v7
	v_pk_min_f16 v49, v0, v1
	v_pk_min_f16 v48, v2, v3
	s_cbranch_scc1 .LBB274_52
; %bb.30:
	v_add_nc_u32_e32 v0, v44, v40
	v_or_b32_e32 v76, 0x1000, v45
	v_add_nc_u32_e32 v83, 0x1000, v43
	v_add_nc_u32_e32 v112, 0x1200, v45
	v_or_b32_e32 v113, 0x800, v45
	v_lshrrev_b32_e32 v2, 6, v0
	v_lshlrev_b64 v[0:1], 1, v[20:21]
	v_lshl_add_u32 v116, v40, 3, 0x1200
	v_add_nc_u32_e32 v117, 0x800, v44
	s_add_i32 s14, s18, -8
	v_add_nc_u32_e32 v6, 8, v2
	v_add_nc_u32_e32 v10, 12, v2
	v_add_co_u32 v114, s6, s20, v0
	s_delay_alu instid0(VALU_DEP_1) | instskip(NEXT) | instid1(VALU_DEP_4)
	v_add_co_ci_u32_e64 v115, s6, s21, v1, s6
	v_mad_i64_i32 v[2:3], null, v6, s8, 0
	v_mad_i64_i32 v[4:5], null, v6, s24, 0
	;; [unrolled: 1-line block ×4, first 2 shown]
	v_lshlrev_b64 v[0:1], 1, v[22:23]
	v_lshlrev_b64 v[32:33], 1, v[2:3]
	;; [unrolled: 1-line block ×3, first 2 shown]
	s_lshl_b64 s[8:9], s[8:9], 4
	v_lshlrev_b64 v[36:37], 1, v[6:7]
	s_lshl_b64 s[20:21], s[24:25], 4
	v_add_co_u32 v118, s6, s22, v0
	v_lshlrev_b64 v[38:39], 1, v[8:9]
	v_add_co_ci_u32_e64 v119, s6, s23, v1, s6
	s_mov_b32 s22, 0
	s_branch .LBB274_32
.LBB274_31:                             ;   in Loop: Header=BB274_32 Depth=1
	s_or_b32 exec_lo, exec_lo, s7
	ds_load_2addr_b64 v[125:128], v83 offset1:8
	ds_load_2addr_b64 v[84:87], v44 offset1:32
	ds_load_2addr_b64 v[129:132], v83 offset0:16 offset1:24
	ds_load_2addr_b64 v[133:136], v83 offset0:32 offset1:40
	;; [unrolled: 1-line block ×6, first 2 shown]
	v_pk_max_f16 v11, v81, v81
	v_pk_max_f16 v15, v79, v79
	v_pk_max_f16 v17, v77, v77
	v_pk_max_f16 v19, v75, v75
	v_pk_max_f16 v75, v82, v82
	v_pk_max_f16 v77, v80, v80
	v_pk_max_f16 v67, v67, v67
	v_pk_max_f16 v74, v74, v74
	v_pk_max_f16 v72, v72, v72
	v_pk_max_f16 v71, v71, v71
	v_pk_max_f16 v62, v62, v62
	v_pk_max_f16 v70, v70, v70
	v_pk_max_f16 v68, v68, v68
	s_waitcnt lgkmcnt(6)
	v_pk_add_f16 v79, v125, v84
	v_pk_add_f16 v80, v127, v84
	s_waitcnt lgkmcnt(5)
	v_pk_add_f16 v81, v129, v84
	v_pk_add_f16 v82, v131, v84
	v_pk_max_f16 v66, v66, v66
	v_pk_min_f16 v11, v11, v79
	v_pk_min_f16 v15, v15, v80
	;; [unrolled: 1-line block ×4, first 2 shown]
	v_pk_add_f16 v79, v125, v86
	v_pk_add_f16 v80, v127, v86
	;; [unrolled: 1-line block ×4, first 2 shown]
	v_pk_max_f16 v57, v57, v57
	v_pk_min_f16 v67, v67, v79
	v_pk_min_f16 v74, v74, v80
	;; [unrolled: 1-line block ×4, first 2 shown]
	s_waitcnt lgkmcnt(4)
	v_pk_add_f16 v79, v135, v86
	s_waitcnt lgkmcnt(3)
	v_pk_add_f16 v80, v137, v86
	v_pk_add_f16 v81, v139, v86
	s_waitcnt lgkmcnt(2)
	v_pk_add_f16 v82, v125, v141
	v_pk_max_f16 v65, v65, v65
	v_pk_min_f16 v62, v62, v79
	v_pk_min_f16 v70, v70, v80
	;; [unrolled: 1-line block ×4, first 2 shown]
	v_pk_add_f16 v79, v129, v141
	v_pk_add_f16 v80, v131, v141
	;; [unrolled: 1-line block ×3, first 2 shown]
	v_pk_max_f16 v63, v63, v63
	v_pk_add_f16 v82, v135, v141
	v_pk_max_f16 v61, v61, v61
	v_pk_add_f16 v88, v133, v84
	v_pk_add_f16 v89, v135, v84
	;; [unrolled: 1-line block ×4, first 2 shown]
	v_pk_max_f16 v73, v73, v73
	v_pk_min_f16 v57, v57, v79
	v_pk_min_f16 v65, v65, v80
	;; [unrolled: 1-line block ×4, first 2 shown]
	v_pk_add_f16 v79, v139, v141
	v_pk_max_f16 v52, v52, v52
	v_pk_add_f16 v80, v125, v143
	v_pk_max_f16 v60, v60, v60
	;; [unrolled: 2-line block ×4, first 2 shown]
	v_pk_min_f16 v73, v73, v84
	v_pk_add_f16 v84, v133, v86
	v_pk_max_f16 v69, v69, v69
	v_pk_min_f16 v52, v52, v79
	v_pk_min_f16 v60, v60, v80
	;; [unrolled: 1-line block ×4, first 2 shown]
	v_pk_add_f16 v79, v133, v143
	v_pk_max_f16 v47, v47, v47
	v_pk_add_f16 v80, v135, v143
	v_pk_max_f16 v55, v55, v55
	;; [unrolled: 2-line block ×4, first 2 shown]
	v_pk_min_f16 v69, v69, v84
	v_pk_add_f16 v84, v127, v141
	v_pk_max_f16 v64, v64, v64
	v_pk_min_f16 v79, v47, v79
	v_pk_min_f16 v55, v55, v80
	;; [unrolled: 1-line block ×4, first 2 shown]
	s_waitcnt lgkmcnt(1)
	v_pk_add_f16 v47, v127, v145
	v_pk_max_f16 v28, v28, v28
	v_pk_add_f16 v80, v129, v145
	v_pk_max_f16 v50, v50, v50
	;; [unrolled: 2-line block ×4, first 2 shown]
	v_pk_min_f16 v64, v64, v84
	v_pk_add_f16 v84, v137, v141
	v_pk_min_f16 v28, v28, v47
	v_pk_min_f16 v50, v50, v80
	;; [unrolled: 1-line block ×4, first 2 shown]
	v_pk_add_f16 v47, v139, v145
	v_pk_max_f16 v31, v31, v31
	v_pk_add_f16 v80, v125, v147
	v_pk_max_f16 v29, v29, v29
	;; [unrolled: 2-line block ×5, first 2 shown]
	v_pk_min_f16 v31, v31, v47
	v_pk_min_f16 v29, v29, v80
	;; [unrolled: 1-line block ×4, first 2 shown]
	v_pk_add_f16 v47, v133, v147
	v_pk_max_f16 v26, v26, v26
	v_pk_add_f16 v80, v135, v147
	v_pk_max_f16 v23, v23, v23
	;; [unrolled: 2-line block ×4, first 2 shown]
	v_pk_min_f16 v24, v24, v46
	v_pk_add_f16 v46, v131, v147
	v_pk_max_f16 v16, v16, v16
	v_pk_min_f16 v26, v26, v47
	v_pk_min_f16 v23, v23, v80
	;; [unrolled: 1-line block ×4, first 2 shown]
	s_waitcnt lgkmcnt(0)
	v_pk_add_f16 v47, v127, v149
	v_pk_max_f16 v21, v21, v21
	v_pk_add_f16 v80, v129, v149
	v_pk_max_f16 v18, v18, v18
	;; [unrolled: 2-line block ×4, first 2 shown]
	v_pk_min_f16 v16, v16, v46
	v_pk_add_f16 v46, v125, v149
	v_pk_max_f16 v10, v10, v10
	v_pk_min_f16 v21, v21, v47
	v_pk_min_f16 v18, v18, v80
	;; [unrolled: 1-line block ×4, first 2 shown]
	v_pk_add_f16 v47, v137, v149
	v_pk_max_f16 v13, v13, v13
	v_pk_add_f16 v80, v139, v149
	v_pk_max_f16 v9, v9, v9
	;; [unrolled: 2-line block ×4, first 2 shown]
	v_pk_min_f16 v10, v10, v46
	v_pk_add_f16 v46, v135, v149
	v_pk_max_f16 v4, v4, v4
	v_pk_min_f16 v13, v13, v47
	v_pk_min_f16 v9, v9, v80
	;; [unrolled: 1-line block ×4, first 2 shown]
	v_pk_add_f16 v47, v131, v151
	v_pk_max_f16 v7, v7, v7
	v_pk_add_f16 v80, v133, v151
	v_pk_max_f16 v5, v5, v5
	;; [unrolled: 2-line block ×4, first 2 shown]
	v_pk_max_f16 v78, v78, v78
	v_pk_min_f16 v4, v4, v46
	v_pk_add_f16 v46, v129, v151
	v_pk_max_f16 v2, v2, v2
	v_pk_min_f16 v7, v7, v47
	v_pk_min_f16 v5, v5, v80
	;; [unrolled: 1-line block ×4, first 2 shown]
	v_pk_add_f16 v47, v126, v85
	v_pk_add_f16 v80, v128, v85
	;; [unrolled: 1-line block ×4, first 2 shown]
	v_pk_min_f16 v75, v75, v88
	v_pk_min_f16 v77, v77, v89
	;; [unrolled: 1-line block ×4, first 2 shown]
	v_pk_add_f16 v46, v139, v151
	v_pk_max_f16 v0, v0, v0
	v_pk_min_f16 v111, v11, v47
	v_pk_min_f16 v110, v15, v80
	;; [unrolled: 1-line block ×4, first 2 shown]
	v_pk_add_f16 v11, v134, v85
	v_pk_add_f16 v15, v136, v85
	;; [unrolled: 1-line block ×5, first 2 shown]
	v_pk_min_f16 v0, v0, v46
	v_pk_min_f16 v107, v75, v11
	;; [unrolled: 1-line block ×6, first 2 shown]
	v_pk_add_f16 v11, v128, v87
	v_pk_add_f16 v15, v130, v87
	;; [unrolled: 1-line block ×5, first 2 shown]
	v_pk_max_f16 v59, v59, v59
	v_pk_min_f16 v104, v74, v11
	v_pk_min_f16 v103, v72, v15
	v_pk_min_f16 v102, v71, v17
	v_pk_min_f16 v101, v69, v19
	v_pk_min_f16 v100, v62, v67
	v_pk_add_f16 v11, v138, v87
	v_pk_add_f16 v15, v140, v87
	v_pk_add_f16 v17, v126, v142
	v_pk_add_f16 v19, v128, v142
	v_pk_add_f16 v62, v130, v142
	v_pk_min_f16 v59, v59, v84
	v_pk_add_f16 v84, v131, v143
	v_pk_max_f16 v54, v54, v54
	v_pk_min_f16 v99, v70, v11
	v_pk_min_f16 v98, v68, v15
	v_pk_min_f16 v97, v66, v17
	v_pk_min_f16 v96, v64, v19
	v_pk_min_f16 v95, v57, v62
	v_pk_add_f16 v11, v132, v142
	v_pk_add_f16 v15, v134, v142
	v_pk_add_f16 v17, v136, v142
	v_pk_add_f16 v19, v138, v142
	v_pk_add_f16 v57, v140, v142
	v_pk_min_f16 v54, v54, v84
	v_pk_add_f16 v84, v125, v145
	;; [unrolled: 13-line block ×3, first 2 shown]
	v_pk_max_f16 v30, v30, v30
	v_pk_min_f16 v89, v60, v11
	v_pk_min_f16 v88, v58, v15
	;; [unrolled: 1-line block ×5, first 2 shown]
	v_pk_add_f16 v11, v136, v144
	v_pk_add_f16 v15, v138, v144
	;; [unrolled: 1-line block ×5, first 2 shown]
	v_pk_min_f16 v30, v30, v84
	v_pk_min_f16 v84, v55, v11
	;; [unrolled: 1-line block ×6, first 2 shown]
	v_pk_add_f16 v11, v130, v146
	v_pk_add_f16 v15, v132, v146
	v_pk_add_f16 v17, v134, v146
	v_pk_add_f16 v19, v136, v146
	v_pk_add_f16 v28, v138, v146
	v_pk_min_f16 v78, v50, v11
	v_pk_min_f16 v77, v48, v15
	v_pk_min_f16 v75, v141, v17
	v_pk_min_f16 v74, v30, v19
	v_pk_min_f16 v73, v24, v28
	v_pk_add_f16 v11, v140, v146
	v_pk_add_f16 v15, v126, v148
	v_pk_add_f16 v17, v128, v148
	v_pk_add_f16 v19, v130, v148
	v_pk_add_f16 v24, v132, v148
	v_pk_min_f16 v72, v31, v11
	v_pk_min_f16 v71, v29, v15
	v_pk_min_f16 v70, v27, v17
	v_pk_min_f16 v69, v25, v19
	v_pk_min_f16 v68, v16, v24
	;; [unrolled: 10-line block ×5, first 2 shown]
	v_pk_add_f16 v2, v132, v152
	v_pk_add_f16 v4, v134, v152
	;; [unrolled: 1-line block ×5, first 2 shown]
	v_add_co_u32 v114, s6, v114, s8
	s_delay_alu instid0(VALU_DEP_1)
	v_add_co_ci_u32_e64 v115, s6, s9, v115, s6
	v_add_co_u32 v118, s6, v118, s20
	v_pk_min_f16 v52, v7, v2
	v_pk_min_f16 v51, v5, v4
	;; [unrolled: 1-line block ×5, first 2 shown]
	v_add_co_ci_u32_e64 v119, s6, s21, v119, s6
	s_add_i32 s22, s22, 8
	s_waitcnt vmcnt(0)
	ds_store_b16 v112, v120
	ds_store_b16 v113, v122
	ds_store_b16 v113, v121 offset:512
	ds_store_b16 v113, v124 offset:1024
	;; [unrolled: 1-line block ×3, first 2 shown]
	s_cmp_ge_i32 s22, s14
	s_waitcnt lgkmcnt(0)
	s_barrier
	buffer_gl0_inv
	s_cbranch_scc1 .LBB274_52
.LBB274_32:                             ; =>This Inner Loop Header: Depth=1
	v_dual_mov_b32 v122, 0x7c00 :: v_dual_add_nc_u32 v121, s22, v42
	s_delay_alu instid0(VALU_DEP_1) | instskip(NEXT) | instid1(VALU_DEP_1)
	v_dual_mov_b32 v123, 0x7c00 :: v_dual_add_nc_u32 v0, 8, v121
	v_cmp_le_i32_e64 s6, s18, v0
	s_delay_alu instid0(VALU_DEP_1) | instskip(NEXT) | instid1(SALU_CYCLE_1)
	s_or_b32 s7, vcc_lo, s6
	s_xor_b32 s7, s7, -1
	s_delay_alu instid0(SALU_CYCLE_1)
	s_and_saveexec_b32 s23, s7
	s_cbranch_execz .LBB274_34
; %bb.33:                               ;   in Loop: Header=BB274_32 Depth=1
	v_add_co_u32 v0, s7, v114, v32
	s_delay_alu instid0(VALU_DEP_1)
	v_add_co_ci_u32_e64 v1, s7, v115, v33, s7
	flat_load_u16 v123, v[0:1]
.LBB274_34:                             ;   in Loop: Header=BB274_32 Depth=1
	s_or_b32 exec_lo, exec_lo, s23
	s_or_b32 s7, s2, s6
	s_delay_alu instid0(SALU_CYCLE_1) | instskip(NEXT) | instid1(SALU_CYCLE_1)
	s_xor_b32 s7, s7, -1
	s_and_saveexec_b32 s23, s7
	s_cbranch_execz .LBB274_36
; %bb.35:                               ;   in Loop: Header=BB274_32 Depth=1
	v_add_co_u32 v0, s7, v118, v34
	s_delay_alu instid0(VALU_DEP_1)
	v_add_co_ci_u32_e64 v1, s7, v119, v35, s7
	flat_load_u16 v122, v[0:1]
.LBB274_36:                             ;   in Loop: Header=BB274_32 Depth=1
	s_or_b32 exec_lo, exec_lo, s23
	v_dual_mov_b32 v124, 0x7c00 :: v_dual_mov_b32 v125, 0x7c00
	s_or_b32 s7, s3, s6
	s_delay_alu instid0(SALU_CYCLE_1) | instskip(NEXT) | instid1(SALU_CYCLE_1)
	s_xor_b32 s7, s7, -1
	s_and_saveexec_b32 s23, s7
	s_cbranch_execz .LBB274_38
; %bb.37:                               ;   in Loop: Header=BB274_32 Depth=1
	v_add_co_u32 v0, s7, v118, v34
	s_delay_alu instid0(VALU_DEP_1)
	v_add_co_ci_u32_e64 v1, s7, v119, v35, s7
	flat_load_u16 v125, v[0:1] offset:128
.LBB274_38:                             ;   in Loop: Header=BB274_32 Depth=1
	s_or_b32 exec_lo, exec_lo, s23
	s_or_b32 s7, s4, s6
	s_delay_alu instid0(SALU_CYCLE_1) | instskip(NEXT) | instid1(SALU_CYCLE_1)
	s_xor_b32 s7, s7, -1
	s_and_saveexec_b32 s23, s7
	s_cbranch_execz .LBB274_40
; %bb.39:                               ;   in Loop: Header=BB274_32 Depth=1
	v_add_co_u32 v0, s7, v118, v34
	s_delay_alu instid0(VALU_DEP_1)
	v_add_co_ci_u32_e64 v1, s7, v119, v35, s7
	flat_load_u16 v124, v[0:1] offset:256
.LBB274_40:                             ;   in Loop: Header=BB274_32 Depth=1
	s_or_b32 exec_lo, exec_lo, s23
	v_mov_b32_e32 v120, 0x7c00
	v_mov_b32_e32 v126, 0x7c00
	s_or_b32 s6, s5, s6
	s_delay_alu instid0(SALU_CYCLE_1) | instskip(NEXT) | instid1(SALU_CYCLE_1)
	s_xor_b32 s6, s6, -1
	s_and_saveexec_b32 s7, s6
	s_cbranch_execz .LBB274_42
; %bb.41:                               ;   in Loop: Header=BB274_32 Depth=1
	v_add_co_u32 v0, s6, v118, v34
	s_delay_alu instid0(VALU_DEP_1)
	v_add_co_ci_u32_e64 v1, s6, v119, v35, s6
	flat_load_u16 v126, v[0:1] offset:384
.LBB274_42:                             ;   in Loop: Header=BB274_32 Depth=1
	s_or_b32 exec_lo, exec_lo, s7
	ds_load_2addr_b64 v[12:15], v116 offset1:8
	ds_load_2addr_b64 v[8:11], v116 offset0:16 offset1:24
	ds_load_2addr_b64 v[4:7], v116 offset0:32 offset1:40
	;; [unrolled: 1-line block ×3, first 2 shown]
	ds_load_2addr_b64 v[28:31], v117 offset1:32
	ds_load_2addr_b64 v[24:27], v117 offset0:64 offset1:96
	ds_load_2addr_b64 v[20:23], v117 offset0:128 offset1:160
	;; [unrolled: 1-line block ×3, first 2 shown]
	v_add_nc_u32_e32 v121, 12, v121
	s_waitcnt vmcnt(0) lgkmcnt(8)
	ds_store_b16 v76, v123
	ds_store_b16 v45, v122
	ds_store_b16 v45, v125 offset:512
	ds_store_b16 v45, v124 offset:1024
	;; [unrolled: 1-line block ×3, first 2 shown]
	s_waitcnt lgkmcnt(0)
	s_barrier
	buffer_gl0_inv
	v_cmp_le_i32_e64 s6, s18, v121
	s_delay_alu instid0(VALU_DEP_1) | instskip(NEXT) | instid1(SALU_CYCLE_1)
	s_or_b32 s7, vcc_lo, s6
	s_xor_b32 s7, s7, -1
	s_delay_alu instid0(SALU_CYCLE_1) | instskip(NEXT) | instid1(SALU_CYCLE_1)
	s_and_saveexec_b32 s23, s7
	s_xor_b32 s23, exec_lo, s23
	s_cbranch_execz .LBB274_44
; %bb.43:                               ;   in Loop: Header=BB274_32 Depth=1
	v_add_co_u32 v120, s7, v114, v38
	s_delay_alu instid0(VALU_DEP_1)
	v_add_co_ci_u32_e64 v121, s7, v115, v39, s7
	flat_load_u16 v120, v[120:121]
.LBB274_44:                             ;   in Loop: Header=BB274_32 Depth=1
	s_or_b32 exec_lo, exec_lo, s23
	v_dual_mov_b32 v121, 0x7c00 :: v_dual_mov_b32 v122, 0x7c00
	s_or_b32 s7, s2, s6
	s_delay_alu instid0(SALU_CYCLE_1) | instskip(NEXT) | instid1(SALU_CYCLE_1)
	s_xor_b32 s7, s7, -1
	s_and_saveexec_b32 s23, s7
	s_cbranch_execz .LBB274_46
; %bb.45:                               ;   in Loop: Header=BB274_32 Depth=1
	v_add_co_u32 v122, s7, v118, v36
	s_delay_alu instid0(VALU_DEP_1)
	v_add_co_ci_u32_e64 v123, s7, v119, v37, s7
	flat_load_u16 v122, v[122:123]
.LBB274_46:                             ;   in Loop: Header=BB274_32 Depth=1
	s_or_b32 exec_lo, exec_lo, s23
	s_or_b32 s7, s3, s6
	s_delay_alu instid0(SALU_CYCLE_1) | instskip(NEXT) | instid1(SALU_CYCLE_1)
	s_xor_b32 s7, s7, -1
	s_and_saveexec_b32 s23, s7
	s_cbranch_execz .LBB274_48
; %bb.47:                               ;   in Loop: Header=BB274_32 Depth=1
	v_add_co_u32 v123, s7, v118, v36
	s_delay_alu instid0(VALU_DEP_1)
	v_add_co_ci_u32_e64 v124, s7, v119, v37, s7
	flat_load_u16 v121, v[123:124] offset:128
.LBB274_48:                             ;   in Loop: Header=BB274_32 Depth=1
	s_or_b32 exec_lo, exec_lo, s23
	v_dual_mov_b32 v123, 0x7c00 :: v_dual_mov_b32 v124, 0x7c00
	s_or_b32 s7, s4, s6
	s_delay_alu instid0(SALU_CYCLE_1) | instskip(NEXT) | instid1(SALU_CYCLE_1)
	s_xor_b32 s7, s7, -1
	s_and_saveexec_b32 s23, s7
	s_cbranch_execz .LBB274_50
; %bb.49:                               ;   in Loop: Header=BB274_32 Depth=1
	v_add_co_u32 v124, s7, v118, v36
	s_delay_alu instid0(VALU_DEP_1)
	v_add_co_ci_u32_e64 v125, s7, v119, v37, s7
	flat_load_u16 v124, v[124:125] offset:256
.LBB274_50:                             ;   in Loop: Header=BB274_32 Depth=1
	s_or_b32 exec_lo, exec_lo, s23
	v_pk_add_f16 v125, v12, v28
	v_pk_max_f16 v111, v111, v111
	v_pk_add_f16 v126, v14, v28
	v_pk_max_f16 v110, v110, v110
	v_pk_add_f16 v127, v8, v28
	v_pk_max_f16 v109, v109, v109
	v_pk_min_f16 v111, v111, v125
	v_pk_add_f16 v125, v10, v28
	v_pk_min_f16 v110, v110, v126
	v_pk_max_f16 v108, v108, v108
	v_pk_min_f16 v109, v109, v127
	v_pk_add_f16 v126, v4, v28
	v_pk_add_f16 v127, v6, v28
	;; [unrolled: 1-line block ×4, first 2 shown]
	v_pk_max_f16 v106, v106, v106
	v_pk_max_f16 v107, v107, v107
	;; [unrolled: 1-line block ×4, first 2 shown]
	v_pk_min_f16 v108, v108, v125
	v_pk_min_f16 v28, v106, v28
	v_pk_add_f16 v106, v12, v30
	v_pk_max_f16 v105, v105, v105
	v_pk_add_f16 v125, v14, v30
	v_pk_max_f16 v104, v104, v104
	v_pk_min_f16 v107, v107, v126
	v_pk_min_f16 v47, v47, v127
	;; [unrolled: 1-line block ×3, first 2 shown]
	v_pk_add_f16 v126, v8, v30
	v_pk_max_f16 v103, v103, v103
	v_pk_add_f16 v127, v10, v30
	v_pk_max_f16 v102, v102, v102
	v_pk_add_f16 v128, v4, v30
	v_pk_min_f16 v105, v105, v106
	v_pk_min_f16 v104, v104, v125
	v_pk_add_f16 v106, v6, v30
	v_pk_max_f16 v100, v100, v100
	v_pk_add_f16 v125, v0, v30
	v_pk_max_f16 v99, v99, v99
	;; [unrolled: 2-line block ×3, first 2 shown]
	v_pk_min_f16 v103, v103, v126
	v_pk_min_f16 v102, v102, v127
	v_pk_add_f16 v126, v12, v24
	v_pk_max_f16 v97, v97, v97
	v_pk_add_f16 v127, v14, v24
	v_pk_max_f16 v96, v96, v96
	v_pk_min_f16 v100, v100, v106
	v_pk_min_f16 v99, v99, v125
	;; [unrolled: 1-line block ×3, first 2 shown]
	v_pk_add_f16 v98, v8, v24
	v_pk_max_f16 v95, v95, v95
	v_pk_add_f16 v106, v10, v24
	v_pk_max_f16 v94, v94, v94
	;; [unrolled: 2-line block ×3, first 2 shown]
	v_pk_min_f16 v97, v97, v126
	v_pk_min_f16 v96, v96, v127
	v_pk_add_f16 v126, v6, v24
	v_pk_max_f16 v92, v92, v92
	v_pk_add_f16 v127, v0, v24
	v_pk_min_f16 v95, v95, v98
	v_pk_min_f16 v94, v94, v106
	;; [unrolled: 1-line block ×3, first 2 shown]
	v_pk_add_f16 v24, v2, v24
	v_pk_max_f16 v90, v90, v90
	v_pk_add_f16 v98, v12, v26
	v_pk_max_f16 v89, v89, v89
	;; [unrolled: 2-line block ×4, first 2 shown]
	v_pk_min_f16 v92, v92, v126
	v_pk_add_f16 v126, v10, v26
	v_pk_min_f16 v24, v90, v24
	v_pk_min_f16 v89, v89, v98
	;; [unrolled: 1-line block ×4, first 2 shown]
	v_pk_add_f16 v90, v4, v26
	v_pk_max_f16 v85, v85, v85
	v_pk_add_f16 v98, v6, v26
	v_pk_max_f16 v84, v84, v84
	;; [unrolled: 2-line block ×5, first 2 shown]
	v_pk_max_f16 v101, v101, v101
	v_pk_max_f16 v91, v91, v91
	v_pk_min_f16 v85, v85, v90
	v_pk_min_f16 v84, v84, v98
	;; [unrolled: 1-line block ×5, first 2 shown]
	v_pk_add_f16 v81, v8, v20
	v_pk_max_f16 v78, v78, v78
	v_pk_add_f16 v82, v10, v20
	v_pk_max_f16 v77, v77, v77
	;; [unrolled: 2-line block ×4, first 2 shown]
	v_pk_min_f16 v101, v101, v128
	v_pk_min_f16 v91, v91, v127
	v_pk_add_f16 v80, v14, v20
	v_pk_min_f16 v127, v78, v81
	v_pk_min_f16 v128, v77, v82
	;; [unrolled: 1-line block ×4, first 2 shown]
	v_pk_add_f16 v74, v0, v20
	v_pk_add_f16 v20, v2, v20
	v_pk_max_f16 v72, v72, v72
	v_pk_add_f16 v75, v12, v22
	v_pk_max_f16 v71, v71, v71
	;; [unrolled: 2-line block ×4, first 2 shown]
	v_pk_min_f16 v20, v72, v20
	v_pk_min_f16 v130, v71, v75
	;; [unrolled: 1-line block ×3, first 2 shown]
	v_pk_add_f16 v70, v4, v22
	v_pk_min_f16 v132, v69, v78
	v_pk_add_f16 v69, v10, v22
	v_pk_max_f16 v67, v67, v67
	v_pk_add_f16 v71, v6, v22
	v_pk_add_f16 v72, v0, v22
	;; [unrolled: 1-line block ×3, first 2 shown]
	v_pk_max_f16 v64, v64, v64
	v_pk_max_f16 v66, v66, v66
	;; [unrolled: 1-line block ×3, first 2 shown]
	v_pk_min_f16 v134, v67, v70
	v_pk_max_f16 v63, v63, v63
	v_pk_min_f16 v137, v64, v22
	v_pk_add_f16 v22, v12, v16
	v_pk_add_f16 v67, v4, v16
	v_pk_max_f16 v57, v57, v57
	v_pk_min_f16 v135, v66, v71
	v_pk_min_f16 v136, v65, v72
	v_pk_add_f16 v64, v14, v16
	v_pk_add_f16 v65, v8, v16
	;; [unrolled: 1-line block ×3, first 2 shown]
	v_pk_min_f16 v138, v63, v22
	v_pk_min_f16 v142, v57, v67
	v_pk_add_f16 v22, v6, v16
	v_pk_max_f16 v55, v55, v55
	v_pk_add_f16 v57, v0, v16
	v_pk_add_f16 v16, v2, v16
	v_pk_max_f16 v58, v58, v58
	v_pk_add_f16 v12, v12, v18
	v_pk_max_f16 v56, v56, v56
	v_pk_min_f16 v143, v55, v22
	v_pk_add_f16 v4, v4, v18
	v_pk_min_f16 v145, v58, v16
	v_pk_max_f16 v16, v51, v51
	v_pk_add_f16 v6, v6, v18
	v_pk_max_f16 v22, v50, v50
	v_pk_add_f16 v14, v14, v18
	v_pk_max_f16 v54, v54, v54
	v_pk_min_f16 v146, v56, v12
	v_pk_add_f16 v8, v8, v18
	v_pk_max_f16 v12, v53, v53
	v_pk_min_f16 v150, v16, v4
	v_pk_min_f16 v151, v22, v6
	v_pk_add_f16 v2, v2, v18
	v_pk_max_f16 v4, v48, v48
	v_pk_add_f16 v6, v13, v29
	v_pk_max_f16 v86, v86, v86
	v_pk_max_f16 v79, v79, v79
	v_pk_min_f16 v147, v54, v14
	v_pk_add_f16 v10, v10, v18
	v_pk_max_f16 v14, v52, v52
	v_pk_min_f16 v148, v12, v8
	v_pk_add_f16 v8, v15, v29
	v_pk_min_f16 v152, v4, v2
	v_pk_min_f16 v81, v111, v6
	v_pk_add_f16 v2, v5, v29
	v_pk_add_f16 v6, v1, v29
	v_pk_min_f16 v86, v86, v126
	v_pk_min_f16 v126, v79, v80
	v_pk_max_f16 v73, v73, v73
	v_pk_min_f16 v149, v14, v10
	v_pk_add_f16 v10, v9, v29
	v_pk_min_f16 v79, v110, v8
	v_pk_add_f16 v4, v7, v29
	v_pk_add_f16 v8, v3, v29
	v_pk_min_f16 v82, v107, v2
	v_pk_min_f16 v78, v46, v6
	v_pk_add_f16 v2, v15, v31
	v_pk_add_f16 v6, v11, v31
	v_pk_min_f16 v129, v73, v74
	v_pk_max_f16 v68, v68, v68
	v_pk_max_f16 v59, v59, v59
	v_pk_min_f16 v77, v109, v10
	v_pk_add_f16 v10, v13, v31
	v_pk_min_f16 v80, v47, v4
	v_pk_min_f16 v73, v28, v8
	v_pk_add_f16 v4, v9, v31
	v_pk_add_f16 v8, v5, v31
	v_pk_min_f16 v74, v104, v2
	v_pk_min_f16 v71, v102, v6
	v_pk_add_f16 v2, v1, v31
	v_pk_add_f16 v6, v13, v25
	v_pk_min_f16 v133, v68, v69
	v_pk_max_f16 v62, v62, v62
	v_pk_max_f16 v61, v61, v61
	v_pk_min_f16 v141, v59, v66
	v_pk_min_f16 v67, v105, v10
	v_pk_add_f16 v10, v7, v31
	v_pk_min_f16 v72, v103, v4
	v_pk_min_f16 v69, v101, v8
	v_pk_add_f16 v4, v3, v31
	v_pk_add_f16 v8, v15, v25
	v_pk_min_f16 v70, v99, v2
	v_pk_min_f16 v66, v97, v6
	v_pk_add_f16 v2, v11, v25
	v_pk_add_f16 v6, v7, v25
	v_pk_min_f16 v139, v62, v64
	v_pk_min_f16 v140, v61, v65
	v_pk_max_f16 v59, v60, v60
	v_pk_min_f16 v62, v100, v10
	v_pk_add_f16 v10, v9, v25
	v_pk_min_f16 v68, v30, v4
	v_pk_min_f16 v64, v96, v8
	v_pk_add_f16 v4, v5, v25
	v_pk_add_f16 v8, v1, v25
	v_pk_min_f16 v65, v94, v2
	v_pk_min_f16 v61, v92, v6
	v_pk_add_f16 v2, v13, v27
	;; [unrolled: 4-line block ×3, first 2 shown]
	v_pk_min_f16 v63, v93, v4
	v_pk_min_f16 v59, v91, v8
	v_pk_add_f16 v4, v15, v27
	v_pk_add_f16 v8, v11, v27
	v_pk_min_f16 v60, v89, v2
	v_pk_min_f16 v56, v87, v6
	v_pk_add_f16 v2, v7, v27
	v_pk_add_f16 v6, v3, v27
	;; [unrolled: 1-line block ×3, first 2 shown]
	v_pk_max_f16 v49, v49, v49
	v_pk_min_f16 v52, v24, v10
	v_pk_add_f16 v10, v5, v27
	v_pk_min_f16 v58, v88, v4
	v_pk_min_f16 v54, v86, v8
	v_pk_add_f16 v4, v1, v27
	v_pk_add_f16 v8, v13, v21
	v_pk_min_f16 v55, v84, v2
	v_pk_min_f16 v51, v26, v6
	v_pk_add_f16 v2, v9, v21
	;; [unrolled: 4-line block ×3, first 2 shown]
	v_pk_min_f16 v53, v90, v4
	v_pk_min_f16 v49, v98, v8
	v_pk_add_f16 v4, v11, v21
	v_pk_add_f16 v8, v7, v21
	v_pk_min_f16 v50, v127, v2
	v_pk_min_f16 v46, v106, v6
	v_pk_add_f16 v2, v3, v21
	v_pk_add_f16 v6, v15, v23
	v_pk_min_f16 v28, v126, v10
	v_pk_add_f16 v10, v1, v21
	v_pk_min_f16 v48, v128, v4
	v_pk_min_f16 v30, v125, v8
	v_pk_add_f16 v4, v13, v23
	v_pk_add_f16 v8, v9, v23
	v_pk_min_f16 v31, v20, v2
	v_pk_min_f16 v27, v131, v6
	v_pk_add_f16 v2, v5, v23
	v_pk_add_f16 v6, v1, v23
	;; [unrolled: 1-line block ×3, first 2 shown]
	v_pk_min_f16 v24, v129, v10
	v_pk_add_f16 v10, v11, v23
	v_pk_min_f16 v29, v130, v4
	v_pk_min_f16 v25, v132, v8
	v_pk_add_f16 v4, v7, v23
	v_pk_add_f16 v8, v3, v23
	v_pk_min_f16 v26, v134, v2
	v_pk_min_f16 v22, v136, v6
	v_pk_add_f16 v2, v15, v17
	v_pk_add_f16 v6, v11, v17
	v_pk_min_f16 v16, v133, v10
	v_pk_add_f16 v10, v13, v17
	v_pk_min_f16 v23, v135, v4
	v_pk_min_f16 v20, v137, v8
	v_pk_add_f16 v4, v9, v17
	v_pk_add_f16 v8, v5, v17
	;; [unrolled: 1-line block ×3, first 2 shown]
	v_pk_min_f16 v21, v139, v2
	v_pk_min_f16 v14, v141, v6
	v_pk_add_f16 v2, v1, v17
	v_pk_add_f16 v6, v3, v17
	;; [unrolled: 1-line block ×4, first 2 shown]
	v_pk_min_f16 v75, v108, v12
	v_pk_min_f16 v12, v142, v8
	v_pk_add_f16 v8, v13, v19
	v_pk_min_f16 v13, v144, v2
	v_pk_min_f16 v9, v145, v6
	;; [unrolled: 1-line block ×4, first 2 shown]
	v_pk_add_f16 v11, v11, v19
	v_pk_add_f16 v5, v5, v19
	v_pk_add_f16 v15, v7, v19
	v_pk_add_f16 v1, v1, v19
	v_pk_add_f16 v17, v3, v19
	v_pk_min_f16 v10, v138, v10
	v_pk_min_f16 v18, v140, v4
	;; [unrolled: 1-line block ×9, first 2 shown]
	s_or_b32 s6, s5, s6
	s_delay_alu instid0(SALU_CYCLE_1) | instskip(NEXT) | instid1(SALU_CYCLE_1)
	s_xor_b32 s6, s6, -1
	s_and_saveexec_b32 s7, s6
	s_cbranch_execz .LBB274_31
; %bb.51:                               ;   in Loop: Header=BB274_32 Depth=1
	v_add_co_u32 v84, s6, v118, v36
	s_delay_alu instid0(VALU_DEP_1)
	v_add_co_ci_u32_e64 v85, s6, v119, v37, s6
	flat_load_u16 v123, v[84:85] offset:384
	s_branch .LBB274_31
.LBB274_52:
	s_clause 0x2
	s_load_b64 s[2:3], s[0:1], 0x70
	s_load_b32 s14, s[0:1], 0x50
	s_load_b32 s9, s[0:1], 0x68
	v_add_nc_u32_e32 v0, 0x1000, v43
	v_add_nc_u32_e32 v83, s29, v41
	;; [unrolled: 1-line block ×4, first 2 shown]
	ds_load_2addr_b64 v[16:19], v0 offset0:64 offset1:72
	ds_load_2addr_b64 v[12:15], v0 offset0:80 offset1:88
	;; [unrolled: 1-line block ×4, first 2 shown]
	ds_load_2addr_b64 v[28:31], v4 offset1:32
	ds_load_2addr_b64 v[24:27], v4 offset0:64 offset1:96
	ds_load_2addr_b64 v[20:23], v4 offset0:128 offset1:160
	;; [unrolled: 1-line block ×3, first 2 shown]
	v_cmp_gt_i32_e64 s8, s17, v83
	v_cndmask_b32_e64 v76, 0, 1, s26
	v_cmp_gt_i32_e64 s0, s16, v32
	v_ashrrev_i32_e32 v33, 31, v32
	s_waitcnt lgkmcnt(0)
	s_mul_i32 s1, s15, s3
	v_mad_i64_i32 v[34:35], null, v83, s14, 0
	v_mad_i64_i32 v[36:37], null, v83, s9, 0
	s_mul_hi_u32 s3, s15, s2
	s_mul_i32 s4, s27, s2
	s_add_i32 s1, s3, s1
	s_mul_i32 s2, s15, s2
	s_delay_alu instid0(VALU_DEP_2) | instskip(SKIP_1) | instid1(VALU_DEP_2)
	v_lshlrev_b64 v[34:35], 1, v[34:35]
	s_add_i32 s3, s1, s4
	v_lshlrev_b64 v[36:37], 1, v[36:37]
	s_lshl_b64 s[2:3], s[2:3], 1
	s_delay_alu instid0(SALU_CYCLE_1) | instskip(NEXT) | instid1(VALU_DEP_2)
	s_add_u32 s10, s10, s2
	v_add_co_u32 v114, vcc_lo, s12, v34
	v_add_co_ci_u32_e32 v115, vcc_lo, s13, v35, vcc_lo
	s_addc_u32 s11, s11, s3
	v_add_co_u32 v112, vcc_lo, s10, v36
	v_add_co_ci_u32_e32 v113, vcc_lo, s11, v37, vcc_lo
	s_and_b32 s1, s0, s8
	s_delay_alu instid0(SALU_CYCLE_1) | instskip(NEXT) | instid1(SALU_CYCLE_1)
	s_and_saveexec_b32 s2, s1
	s_xor_b32 s1, exec_lo, s2
	s_cbranch_execz .LBB274_57
; %bb.53:
	s_and_not1_b32 vcc_lo, exec_lo, s26
	s_cbranch_vccnz .LBB274_55
; %bb.54:
	v_lshlrev_b64 v[34:35], 1, v[32:33]
	s_delay_alu instid0(VALU_DEP_1) | instskip(NEXT) | instid1(VALU_DEP_2)
	v_add_co_u32 v34, vcc_lo, v114, v34
	v_add_co_ci_u32_e32 v35, vcc_lo, v115, v35, vcc_lo
	flat_load_u16 v34, v[34:35]
	s_waitcnt vmcnt(0) lgkmcnt(0)
	v_mul_f16_e32 v34, s19, v34
	s_branch .LBB274_56
.LBB274_55:
	v_mov_b32_e32 v34, 0
.LBB274_56:
	v_pk_add_f16 v35, v16, v28
	v_pk_max_f16 v36, v111, v111
	v_pk_add_f16 v37, v17, v29
	s_delay_alu instid0(VALU_DEP_2) | instskip(NEXT) | instid1(VALU_DEP_1)
	v_pk_min_f16 v35, v36, v35
	v_pk_min_f16 v37, v35, v37
	v_lshlrev_b64 v[35:36], 1, v[32:33]
	s_delay_alu instid0(VALU_DEP_2) | instskip(NEXT) | instid1(VALU_DEP_1)
	v_lshrrev_b32_e32 v38, 16, v37
	v_min3_f16 v37, v34, v37, v38
	s_delay_alu instid0(VALU_DEP_3) | instskip(NEXT) | instid1(VALU_DEP_4)
	v_add_co_u32 v34, vcc_lo, v112, v35
	v_add_co_ci_u32_e32 v35, vcc_lo, v113, v36, vcc_lo
	global_store_b16 v[34:35], v37, off
.LBB274_57:
	s_or_b32 exec_lo, exec_lo, s1
	v_add_nc_u32_e32 v34, 8, v32
	s_delay_alu instid0(VALU_DEP_1) | instskip(SKIP_1) | instid1(VALU_DEP_2)
	v_cmp_gt_i32_e64 s1, s16, v34
	v_ashrrev_i32_e32 v35, 31, v34
	s_and_b32 s3, s1, s8
	s_delay_alu instid0(SALU_CYCLE_1)
	s_and_saveexec_b32 s2, s3
	s_cbranch_execz .LBB274_62
; %bb.58:
	v_cmp_ne_u32_e32 vcc_lo, 1, v76
	s_cbranch_vccnz .LBB274_60
; %bb.59:
	v_lshlrev_b64 v[36:37], 1, v[34:35]
	s_delay_alu instid0(VALU_DEP_1) | instskip(NEXT) | instid1(VALU_DEP_2)
	v_add_co_u32 v36, vcc_lo, v114, v36
	v_add_co_ci_u32_e32 v37, vcc_lo, v115, v37, vcc_lo
	flat_load_u16 v36, v[36:37]
	s_waitcnt vmcnt(0) lgkmcnt(0)
	v_mul_f16_e32 v36, s19, v36
	s_branch .LBB274_61
.LBB274_60:
	v_mov_b32_e32 v36, 0
.LBB274_61:
	v_pk_add_f16 v37, v18, v28
	v_pk_max_f16 v38, v110, v110
	v_pk_add_f16 v39, v19, v29
	s_delay_alu instid0(VALU_DEP_2) | instskip(NEXT) | instid1(VALU_DEP_1)
	v_pk_min_f16 v37, v38, v37
	v_pk_min_f16 v39, v37, v39
	v_lshlrev_b64 v[37:38], 1, v[34:35]
	s_delay_alu instid0(VALU_DEP_2) | instskip(NEXT) | instid1(VALU_DEP_1)
	v_lshrrev_b32_e32 v40, 16, v39
	v_min3_f16 v39, v36, v39, v40
	s_delay_alu instid0(VALU_DEP_3) | instskip(NEXT) | instid1(VALU_DEP_4)
	v_add_co_u32 v36, vcc_lo, v112, v37
	v_add_co_ci_u32_e32 v37, vcc_lo, v113, v38, vcc_lo
	global_store_b16 v[36:37], v39, off
.LBB274_62:
	s_or_b32 exec_lo, exec_lo, s2
	v_add_nc_u32_e32 v36, 16, v32
	s_delay_alu instid0(VALU_DEP_1) | instskip(SKIP_1) | instid1(VALU_DEP_2)
	v_cmp_gt_i32_e64 s2, s16, v36
	v_ashrrev_i32_e32 v37, 31, v36
	s_and_b32 s4, s2, s8
	s_delay_alu instid0(SALU_CYCLE_1)
	s_and_saveexec_b32 s3, s4
	s_cbranch_execz .LBB274_67
; %bb.63:
	v_cmp_ne_u32_e32 vcc_lo, 1, v76
	s_cbranch_vccnz .LBB274_65
; %bb.64:
	v_lshlrev_b64 v[38:39], 1, v[36:37]
	s_delay_alu instid0(VALU_DEP_1) | instskip(NEXT) | instid1(VALU_DEP_2)
	v_add_co_u32 v38, vcc_lo, v114, v38
	v_add_co_ci_u32_e32 v39, vcc_lo, v115, v39, vcc_lo
	flat_load_u16 v38, v[38:39]
	s_waitcnt vmcnt(0) lgkmcnt(0)
	v_mul_f16_e32 v38, s19, v38
	s_branch .LBB274_66
.LBB274_65:
	v_mov_b32_e32 v38, 0
.LBB274_66:
	v_pk_add_f16 v39, v12, v28
	v_pk_max_f16 v40, v109, v109
	v_pk_add_f16 v41, v13, v29
	s_delay_alu instid0(VALU_DEP_2) | instskip(NEXT) | instid1(VALU_DEP_1)
	v_pk_min_f16 v39, v40, v39
	v_pk_min_f16 v41, v39, v41
	v_lshlrev_b64 v[39:40], 1, v[36:37]
	s_delay_alu instid0(VALU_DEP_2) | instskip(NEXT) | instid1(VALU_DEP_1)
	v_lshrrev_b32_e32 v42, 16, v41
	v_min3_f16 v41, v38, v41, v42
	s_delay_alu instid0(VALU_DEP_3) | instskip(NEXT) | instid1(VALU_DEP_4)
	v_add_co_u32 v38, vcc_lo, v112, v39
	v_add_co_ci_u32_e32 v39, vcc_lo, v113, v40, vcc_lo
	global_store_b16 v[38:39], v41, off
.LBB274_67:
	;; [unrolled: 39-line block ×6, first 2 shown]
	s_or_b32 exec_lo, exec_lo, s7
	v_add_nc_u32_e32 v46, 56, v32
	s_delay_alu instid0(VALU_DEP_1) | instskip(SKIP_1) | instid1(VALU_DEP_2)
	v_cmp_gt_i32_e64 s7, s16, v46
	v_ashrrev_i32_e32 v47, 31, v46
	s_and_b32 s15, s7, s8
	s_delay_alu instid0(SALU_CYCLE_1)
	s_and_saveexec_b32 s8, s15
	s_cbranch_execz .LBB274_92
; %bb.88:
	v_cmp_ne_u32_e32 vcc_lo, 1, v76
	s_cbranch_vccnz .LBB274_90
; %bb.89:
	v_lshlrev_b64 v[107:108], 1, v[46:47]
	s_delay_alu instid0(VALU_DEP_1) | instskip(NEXT) | instid1(VALU_DEP_2)
	v_add_co_u32 v107, vcc_lo, v114, v107
	v_add_co_ci_u32_e32 v108, vcc_lo, v115, v108, vcc_lo
	flat_load_u16 v107, v[107:108]
	s_waitcnt vmcnt(0) lgkmcnt(0)
	v_mul_f16_e32 v107, s19, v107
	s_branch .LBB274_91
.LBB274_90:
	v_mov_b32_e32 v107, 0
.LBB274_91:
	v_pk_add_f16 v28, v2, v28
	v_pk_max_f16 v106, v106, v106
	v_pk_add_f16 v29, v3, v29
	s_delay_alu instid0(VALU_DEP_2) | instskip(NEXT) | instid1(VALU_DEP_1)
	v_pk_min_f16 v28, v106, v28
	v_pk_min_f16 v106, v28, v29
	v_lshlrev_b64 v[28:29], 1, v[46:47]
	s_delay_alu instid0(VALU_DEP_2) | instskip(NEXT) | instid1(VALU_DEP_2)
	v_lshrrev_b32_e32 v108, 16, v106
	v_add_co_u32 v28, vcc_lo, v112, v28
	s_delay_alu instid0(VALU_DEP_3) | instskip(NEXT) | instid1(VALU_DEP_3)
	v_add_co_ci_u32_e32 v29, vcc_lo, v113, v29, vcc_lo
	v_min3_f16 v106, v107, v106, v108
	global_store_b16 v[28:29], v106, off
.LBB274_92:
	s_or_b32 exec_lo, exec_lo, s8
	v_add_nc_u32_e32 v108, 32, v83
	s_delay_alu instid0(VALU_DEP_1) | instskip(SKIP_2) | instid1(VALU_DEP_3)
	v_mad_i64_i32 v[28:29], null, v108, s14, 0
	v_mad_i64_i32 v[106:107], null, v108, s9, 0
	v_cmp_gt_i32_e64 s8, s17, v108
	v_lshlrev_b64 v[28:29], 1, v[28:29]
	s_delay_alu instid0(VALU_DEP_2) | instskip(NEXT) | instid1(VALU_DEP_3)
	s_and_b32 s16, s0, s8
	v_lshlrev_b64 v[108:109], 1, v[106:107]
	s_delay_alu instid0(VALU_DEP_2) | instskip(NEXT) | instid1(VALU_DEP_3)
	v_add_co_u32 v106, vcc_lo, s12, v28
	v_add_co_ci_u32_e32 v107, vcc_lo, s13, v29, vcc_lo
	s_delay_alu instid0(VALU_DEP_3) | instskip(NEXT) | instid1(VALU_DEP_4)
	v_add_co_u32 v28, vcc_lo, s10, v108
	v_add_co_ci_u32_e32 v29, vcc_lo, s11, v109, vcc_lo
	s_and_saveexec_b32 s15, s16
	s_cbranch_execnz .LBB274_100
; %bb.93:
	s_or_b32 exec_lo, exec_lo, s15
	s_and_b32 s16, s1, s8
	s_delay_alu instid0(SALU_CYCLE_1)
	s_and_saveexec_b32 s15, s16
	s_cbranch_execnz .LBB274_104
.LBB274_94:
	s_or_b32 exec_lo, exec_lo, s15
	s_and_b32 s16, s2, s8
	s_delay_alu instid0(SALU_CYCLE_1)
	s_and_saveexec_b32 s15, s16
	s_cbranch_execnz .LBB274_108
.LBB274_95:
	s_or_b32 exec_lo, exec_lo, s15
	s_and_b32 s16, s3, s8
	s_delay_alu instid0(SALU_CYCLE_1)
	s_and_saveexec_b32 s15, s16
	s_cbranch_execnz .LBB274_112
.LBB274_96:
	s_or_b32 exec_lo, exec_lo, s15
	s_and_b32 s16, s4, s8
	s_delay_alu instid0(SALU_CYCLE_1)
	s_and_saveexec_b32 s15, s16
	s_cbranch_execnz .LBB274_116
.LBB274_97:
	s_or_b32 exec_lo, exec_lo, s15
	s_and_b32 s16, s5, s8
	s_delay_alu instid0(SALU_CYCLE_1)
	s_and_saveexec_b32 s15, s16
	s_cbranch_execnz .LBB274_120
.LBB274_98:
	s_or_b32 exec_lo, exec_lo, s15
	s_and_b32 s16, s6, s8
	s_delay_alu instid0(SALU_CYCLE_1)
	s_and_saveexec_b32 s15, s16
	s_cbranch_execnz .LBB274_124
.LBB274_99:
	s_or_b32 exec_lo, exec_lo, s15
	s_and_b32 s15, s7, s8
	s_delay_alu instid0(SALU_CYCLE_1)
	s_and_saveexec_b32 s8, s15
	s_cbranch_execnz .LBB274_128
	s_branch .LBB274_132
.LBB274_100:
	v_cmp_ne_u32_e32 vcc_lo, 1, v76
	s_cbranch_vccnz .LBB274_102
; %bb.101:
	v_lshlrev_b64 v[108:109], 1, v[32:33]
	s_delay_alu instid0(VALU_DEP_1) | instskip(NEXT) | instid1(VALU_DEP_2)
	v_add_co_u32 v108, vcc_lo, v106, v108
	v_add_co_ci_u32_e32 v109, vcc_lo, v107, v109, vcc_lo
	flat_load_u16 v108, v[108:109]
	s_waitcnt vmcnt(0) lgkmcnt(0)
	v_mul_f16_e32 v108, s19, v108
	s_branch .LBB274_103
.LBB274_102:
	v_mov_b32_e32 v108, 0
.LBB274_103:
	v_pk_add_f16 v109, v16, v30
	v_pk_max_f16 v105, v105, v105
	v_pk_add_f16 v110, v17, v31
	s_delay_alu instid0(VALU_DEP_2) | instskip(NEXT) | instid1(VALU_DEP_1)
	v_pk_min_f16 v105, v105, v109
	v_pk_min_f16 v105, v105, v110
	v_lshlrev_b64 v[109:110], 1, v[32:33]
	s_delay_alu instid0(VALU_DEP_2) | instskip(NEXT) | instid1(VALU_DEP_1)
	v_lshrrev_b32_e32 v111, 16, v105
	v_min3_f16 v105, v108, v105, v111
	s_delay_alu instid0(VALU_DEP_3) | instskip(NEXT) | instid1(VALU_DEP_4)
	v_add_co_u32 v108, vcc_lo, v28, v109
	v_add_co_ci_u32_e32 v109, vcc_lo, v29, v110, vcc_lo
	global_store_b16 v[108:109], v105, off
	s_or_b32 exec_lo, exec_lo, s15
	s_and_b32 s16, s1, s8
	s_delay_alu instid0(SALU_CYCLE_1)
	s_and_saveexec_b32 s15, s16
	s_cbranch_execz .LBB274_94
.LBB274_104:
	v_cmp_ne_u32_e32 vcc_lo, 1, v76
	s_cbranch_vccnz .LBB274_106
; %bb.105:
	v_lshlrev_b64 v[108:109], 1, v[34:35]
	s_delay_alu instid0(VALU_DEP_1) | instskip(NEXT) | instid1(VALU_DEP_2)
	v_add_co_u32 v108, vcc_lo, v106, v108
	v_add_co_ci_u32_e32 v109, vcc_lo, v107, v109, vcc_lo
	flat_load_u16 v105, v[108:109]
	s_waitcnt vmcnt(0) lgkmcnt(0)
	v_mul_f16_e32 v105, s19, v105
	s_branch .LBB274_107
.LBB274_106:
	v_mov_b32_e32 v105, 0
.LBB274_107:
	v_pk_add_f16 v108, v18, v30
	v_pk_max_f16 v104, v104, v104
	v_pk_add_f16 v109, v19, v31
	s_delay_alu instid0(VALU_DEP_2) | instskip(NEXT) | instid1(VALU_DEP_1)
	v_pk_min_f16 v104, v104, v108
	v_pk_min_f16 v104, v104, v109
	v_lshlrev_b64 v[108:109], 1, v[34:35]
	s_delay_alu instid0(VALU_DEP_2) | instskip(NEXT) | instid1(VALU_DEP_1)
	v_lshrrev_b32_e32 v110, 16, v104
	v_min3_f16 v110, v105, v104, v110
	s_delay_alu instid0(VALU_DEP_3) | instskip(NEXT) | instid1(VALU_DEP_4)
	v_add_co_u32 v104, vcc_lo, v28, v108
	v_add_co_ci_u32_e32 v105, vcc_lo, v29, v109, vcc_lo
	global_store_b16 v[104:105], v110, off
	s_or_b32 exec_lo, exec_lo, s15
	s_and_b32 s16, s2, s8
	s_delay_alu instid0(SALU_CYCLE_1)
	s_and_saveexec_b32 s15, s16
	s_cbranch_execz .LBB274_95
.LBB274_108:
	v_cmp_ne_u32_e32 vcc_lo, 1, v76
	s_cbranch_vccnz .LBB274_110
; %bb.109:
	v_lshlrev_b64 v[104:105], 1, v[36:37]
	s_delay_alu instid0(VALU_DEP_1) | instskip(NEXT) | instid1(VALU_DEP_2)
	v_add_co_u32 v104, vcc_lo, v106, v104
	v_add_co_ci_u32_e32 v105, vcc_lo, v107, v105, vcc_lo
	flat_load_u16 v104, v[104:105]
	s_waitcnt vmcnt(0) lgkmcnt(0)
	v_mul_f16_e32 v104, s19, v104
	s_branch .LBB274_111
.LBB274_110:
	v_mov_b32_e32 v104, 0
.LBB274_111:
	v_pk_add_f16 v105, v12, v30
	v_pk_max_f16 v103, v103, v103
	v_pk_add_f16 v108, v13, v31
	s_delay_alu instid0(VALU_DEP_2) | instskip(NEXT) | instid1(VALU_DEP_1)
	v_pk_min_f16 v103, v103, v105
	v_pk_min_f16 v103, v103, v108
	v_lshlrev_b64 v[108:109], 1, v[36:37]
	s_delay_alu instid0(VALU_DEP_2) | instskip(NEXT) | instid1(VALU_DEP_1)
	v_lshrrev_b32_e32 v105, 16, v103
	v_min3_f16 v105, v104, v103, v105
	s_delay_alu instid0(VALU_DEP_3) | instskip(NEXT) | instid1(VALU_DEP_4)
	v_add_co_u32 v103, vcc_lo, v28, v108
	v_add_co_ci_u32_e32 v104, vcc_lo, v29, v109, vcc_lo
	global_store_b16 v[103:104], v105, off
	s_or_b32 exec_lo, exec_lo, s15
	s_and_b32 s16, s3, s8
	s_delay_alu instid0(SALU_CYCLE_1)
	s_and_saveexec_b32 s15, s16
	s_cbranch_execz .LBB274_96
.LBB274_112:
	v_cmp_ne_u32_e32 vcc_lo, 1, v76
	s_cbranch_vccnz .LBB274_114
; %bb.113:
	v_lshlrev_b64 v[103:104], 1, v[38:39]
	s_delay_alu instid0(VALU_DEP_1) | instskip(NEXT) | instid1(VALU_DEP_2)
	v_add_co_u32 v103, vcc_lo, v106, v103
	v_add_co_ci_u32_e32 v104, vcc_lo, v107, v104, vcc_lo
	flat_load_u16 v103, v[103:104]
	s_waitcnt vmcnt(0) lgkmcnt(0)
	v_mul_f16_e32 v103, s19, v103
	s_branch .LBB274_115
.LBB274_114:
	v_mov_b32_e32 v103, 0
.LBB274_115:
	v_pk_add_f16 v104, v14, v30
	v_pk_max_f16 v102, v102, v102
	v_pk_add_f16 v105, v15, v31
	s_delay_alu instid0(VALU_DEP_2) | instskip(NEXT) | instid1(VALU_DEP_1)
	v_pk_min_f16 v102, v102, v104
	v_pk_min_f16 v102, v102, v105
	v_lshlrev_b64 v[104:105], 1, v[38:39]
	s_delay_alu instid0(VALU_DEP_2) | instskip(NEXT) | instid1(VALU_DEP_1)
	v_lshrrev_b32_e32 v108, 16, v102
	v_min3_f16 v108, v103, v102, v108
	s_delay_alu instid0(VALU_DEP_3) | instskip(NEXT) | instid1(VALU_DEP_4)
	v_add_co_u32 v102, vcc_lo, v28, v104
	v_add_co_ci_u32_e32 v103, vcc_lo, v29, v105, vcc_lo
	global_store_b16 v[102:103], v108, off
	s_or_b32 exec_lo, exec_lo, s15
	s_and_b32 s16, s4, s8
	s_delay_alu instid0(SALU_CYCLE_1)
	s_and_saveexec_b32 s15, s16
	s_cbranch_execz .LBB274_97
.LBB274_116:
	v_cmp_ne_u32_e32 vcc_lo, 1, v76
	s_cbranch_vccnz .LBB274_118
; %bb.117:
	v_lshlrev_b64 v[102:103], 1, v[40:41]
	s_delay_alu instid0(VALU_DEP_1) | instskip(NEXT) | instid1(VALU_DEP_2)
	v_add_co_u32 v102, vcc_lo, v106, v102
	v_add_co_ci_u32_e32 v103, vcc_lo, v107, v103, vcc_lo
	flat_load_u16 v102, v[102:103]
	s_waitcnt vmcnt(0) lgkmcnt(0)
	v_mul_f16_e32 v102, s19, v102
	s_branch .LBB274_119
.LBB274_118:
	v_mov_b32_e32 v102, 0
.LBB274_119:
	v_pk_add_f16 v103, v8, v30
	v_pk_max_f16 v101, v101, v101
	v_pk_add_f16 v104, v9, v31
	s_delay_alu instid0(VALU_DEP_2) | instskip(NEXT) | instid1(VALU_DEP_1)
	v_pk_min_f16 v101, v101, v103
	v_pk_min_f16 v101, v101, v104
	v_lshlrev_b64 v[103:104], 1, v[40:41]
	s_delay_alu instid0(VALU_DEP_2) | instskip(NEXT) | instid1(VALU_DEP_1)
	v_lshrrev_b32_e32 v105, 16, v101
	v_min3_f16 v105, v102, v101, v105
	s_delay_alu instid0(VALU_DEP_3) | instskip(NEXT) | instid1(VALU_DEP_4)
	v_add_co_u32 v101, vcc_lo, v28, v103
	v_add_co_ci_u32_e32 v102, vcc_lo, v29, v104, vcc_lo
	global_store_b16 v[101:102], v105, off
	s_or_b32 exec_lo, exec_lo, s15
	s_and_b32 s16, s5, s8
	s_delay_alu instid0(SALU_CYCLE_1)
	s_and_saveexec_b32 s15, s16
	s_cbranch_execz .LBB274_98
.LBB274_120:
	v_cmp_ne_u32_e32 vcc_lo, 1, v76
	s_cbranch_vccnz .LBB274_122
; %bb.121:
	v_lshlrev_b64 v[101:102], 1, v[42:43]
	s_delay_alu instid0(VALU_DEP_1) | instskip(NEXT) | instid1(VALU_DEP_2)
	v_add_co_u32 v101, vcc_lo, v106, v101
	v_add_co_ci_u32_e32 v102, vcc_lo, v107, v102, vcc_lo
	flat_load_u16 v101, v[101:102]
	s_waitcnt vmcnt(0) lgkmcnt(0)
	v_mul_f16_e32 v101, s19, v101
	s_branch .LBB274_123
.LBB274_122:
	v_mov_b32_e32 v101, 0
.LBB274_123:
	v_pk_add_f16 v102, v10, v30
	v_pk_max_f16 v100, v100, v100
	v_pk_add_f16 v103, v11, v31
	s_delay_alu instid0(VALU_DEP_2) | instskip(NEXT) | instid1(VALU_DEP_1)
	v_pk_min_f16 v100, v100, v102
	v_pk_min_f16 v100, v100, v103
	v_lshlrev_b64 v[102:103], 1, v[42:43]
	s_delay_alu instid0(VALU_DEP_2) | instskip(NEXT) | instid1(VALU_DEP_1)
	v_lshrrev_b32_e32 v104, 16, v100
	v_min3_f16 v104, v101, v100, v104
	s_delay_alu instid0(VALU_DEP_3) | instskip(NEXT) | instid1(VALU_DEP_4)
	v_add_co_u32 v100, vcc_lo, v28, v102
	v_add_co_ci_u32_e32 v101, vcc_lo, v29, v103, vcc_lo
	global_store_b16 v[100:101], v104, off
	s_or_b32 exec_lo, exec_lo, s15
	s_and_b32 s16, s6, s8
	s_delay_alu instid0(SALU_CYCLE_1)
	s_and_saveexec_b32 s15, s16
	s_cbranch_execz .LBB274_99
.LBB274_124:
	v_cmp_ne_u32_e32 vcc_lo, 1, v76
	s_cbranch_vccnz .LBB274_126
; %bb.125:
	v_lshlrev_b64 v[100:101], 1, v[44:45]
	s_delay_alu instid0(VALU_DEP_1) | instskip(NEXT) | instid1(VALU_DEP_2)
	v_add_co_u32 v100, vcc_lo, v106, v100
	v_add_co_ci_u32_e32 v101, vcc_lo, v107, v101, vcc_lo
	flat_load_u16 v100, v[100:101]
	s_waitcnt vmcnt(0) lgkmcnt(0)
	v_mul_f16_e32 v100, s19, v100
	s_branch .LBB274_127
.LBB274_126:
	v_mov_b32_e32 v100, 0
.LBB274_127:
	v_pk_add_f16 v101, v0, v30
	v_pk_max_f16 v99, v99, v99
	v_pk_add_f16 v102, v1, v31
	s_delay_alu instid0(VALU_DEP_2) | instskip(NEXT) | instid1(VALU_DEP_1)
	v_pk_min_f16 v99, v99, v101
	v_pk_min_f16 v99, v99, v102
	v_lshlrev_b64 v[101:102], 1, v[44:45]
	s_delay_alu instid0(VALU_DEP_2) | instskip(NEXT) | instid1(VALU_DEP_1)
	v_lshrrev_b32_e32 v103, 16, v99
	v_min3_f16 v103, v100, v99, v103
	s_delay_alu instid0(VALU_DEP_3) | instskip(NEXT) | instid1(VALU_DEP_4)
	v_add_co_u32 v99, vcc_lo, v28, v101
	v_add_co_ci_u32_e32 v100, vcc_lo, v29, v102, vcc_lo
	global_store_b16 v[99:100], v103, off
	s_or_b32 exec_lo, exec_lo, s15
	s_and_b32 s15, s7, s8
	s_delay_alu instid0(SALU_CYCLE_1)
	s_and_saveexec_b32 s8, s15
	s_cbranch_execz .LBB274_132
.LBB274_128:
	v_cmp_ne_u32_e32 vcc_lo, 1, v76
	s_cbranch_vccnz .LBB274_130
; %bb.129:
	v_lshlrev_b64 v[99:100], 1, v[46:47]
	s_delay_alu instid0(VALU_DEP_1) | instskip(NEXT) | instid1(VALU_DEP_2)
	v_add_co_u32 v99, vcc_lo, v106, v99
	v_add_co_ci_u32_e32 v100, vcc_lo, v107, v100, vcc_lo
	flat_load_u16 v99, v[99:100]
	s_waitcnt vmcnt(0) lgkmcnt(0)
	v_mul_f16_e32 v99, s19, v99
	s_branch .LBB274_131
.LBB274_130:
	v_mov_b32_e32 v99, 0
.LBB274_131:
	v_pk_add_f16 v30, v2, v30
	v_pk_max_f16 v98, v98, v98
	v_pk_add_f16 v31, v3, v31
	s_delay_alu instid0(VALU_DEP_2) | instskip(NEXT) | instid1(VALU_DEP_1)
	v_pk_min_f16 v30, v98, v30
	v_pk_min_f16 v98, v30, v31
	v_lshlrev_b64 v[30:31], 1, v[46:47]
	s_delay_alu instid0(VALU_DEP_2) | instskip(NEXT) | instid1(VALU_DEP_2)
	v_lshrrev_b32_e32 v100, 16, v98
	v_add_co_u32 v28, vcc_lo, v28, v30
	s_delay_alu instid0(VALU_DEP_3) | instskip(NEXT) | instid1(VALU_DEP_3)
	v_add_co_ci_u32_e32 v29, vcc_lo, v29, v31, vcc_lo
	v_min3_f16 v98, v99, v98, v100
	global_store_b16 v[28:29], v98, off
.LBB274_132:
	s_or_b32 exec_lo, exec_lo, s8
	v_add_nc_u32_e32 v98, 64, v83
	s_delay_alu instid0(VALU_DEP_1) | instskip(SKIP_2) | instid1(VALU_DEP_3)
	v_mad_i64_i32 v[28:29], null, v98, s14, 0
	v_mad_i64_i32 v[30:31], null, v98, s9, 0
	v_cmp_gt_i32_e64 s8, s17, v98
	v_lshlrev_b64 v[28:29], 1, v[28:29]
	s_delay_alu instid0(VALU_DEP_2) | instskip(NEXT) | instid1(VALU_DEP_3)
	s_and_b32 s16, s0, s8
	v_lshlrev_b64 v[98:99], 1, v[30:31]
	s_delay_alu instid0(VALU_DEP_2) | instskip(NEXT) | instid1(VALU_DEP_3)
	v_add_co_u32 v30, vcc_lo, s12, v28
	v_add_co_ci_u32_e32 v31, vcc_lo, s13, v29, vcc_lo
	s_delay_alu instid0(VALU_DEP_3) | instskip(NEXT) | instid1(VALU_DEP_4)
	v_add_co_u32 v28, vcc_lo, s10, v98
	v_add_co_ci_u32_e32 v29, vcc_lo, s11, v99, vcc_lo
	s_and_saveexec_b32 s15, s16
	s_cbranch_execnz .LBB274_140
; %bb.133:
	s_or_b32 exec_lo, exec_lo, s15
	s_and_b32 s16, s1, s8
	s_delay_alu instid0(SALU_CYCLE_1)
	s_and_saveexec_b32 s15, s16
	s_cbranch_execnz .LBB274_144
.LBB274_134:
	s_or_b32 exec_lo, exec_lo, s15
	s_and_b32 s16, s2, s8
	s_delay_alu instid0(SALU_CYCLE_1)
	s_and_saveexec_b32 s15, s16
	s_cbranch_execnz .LBB274_148
.LBB274_135:
	s_or_b32 exec_lo, exec_lo, s15
	s_and_b32 s16, s3, s8
	s_delay_alu instid0(SALU_CYCLE_1)
	s_and_saveexec_b32 s15, s16
	s_cbranch_execnz .LBB274_152
.LBB274_136:
	s_or_b32 exec_lo, exec_lo, s15
	s_and_b32 s16, s4, s8
	s_delay_alu instid0(SALU_CYCLE_1)
	s_and_saveexec_b32 s15, s16
	s_cbranch_execnz .LBB274_156
.LBB274_137:
	s_or_b32 exec_lo, exec_lo, s15
	s_and_b32 s16, s5, s8
	s_delay_alu instid0(SALU_CYCLE_1)
	s_and_saveexec_b32 s15, s16
	s_cbranch_execnz .LBB274_160
.LBB274_138:
	s_or_b32 exec_lo, exec_lo, s15
	s_and_b32 s16, s6, s8
	s_delay_alu instid0(SALU_CYCLE_1)
	s_and_saveexec_b32 s15, s16
	s_cbranch_execnz .LBB274_164
.LBB274_139:
	s_or_b32 exec_lo, exec_lo, s15
	s_and_b32 s15, s7, s8
	s_delay_alu instid0(SALU_CYCLE_1)
	s_and_saveexec_b32 s8, s15
	s_cbranch_execnz .LBB274_168
	s_branch .LBB274_172
.LBB274_140:
	v_cmp_ne_u32_e32 vcc_lo, 1, v76
	s_cbranch_vccnz .LBB274_142
; %bb.141:
	v_lshlrev_b64 v[98:99], 1, v[32:33]
	s_delay_alu instid0(VALU_DEP_1) | instskip(NEXT) | instid1(VALU_DEP_2)
	v_add_co_u32 v98, vcc_lo, v30, v98
	v_add_co_ci_u32_e32 v99, vcc_lo, v31, v99, vcc_lo
	flat_load_u16 v98, v[98:99]
	s_waitcnt vmcnt(0) lgkmcnt(0)
	v_mul_f16_e32 v98, s19, v98
	s_branch .LBB274_143
.LBB274_142:
	v_mov_b32_e32 v98, 0
.LBB274_143:
	v_pk_add_f16 v99, v16, v24
	v_pk_max_f16 v97, v97, v97
	v_pk_add_f16 v100, v17, v25
	s_delay_alu instid0(VALU_DEP_2) | instskip(NEXT) | instid1(VALU_DEP_1)
	v_pk_min_f16 v97, v97, v99
	v_pk_min_f16 v97, v97, v100
	v_lshlrev_b64 v[99:100], 1, v[32:33]
	s_delay_alu instid0(VALU_DEP_2) | instskip(NEXT) | instid1(VALU_DEP_1)
	v_lshrrev_b32_e32 v101, 16, v97
	v_min3_f16 v101, v98, v97, v101
	s_delay_alu instid0(VALU_DEP_3) | instskip(NEXT) | instid1(VALU_DEP_4)
	v_add_co_u32 v97, vcc_lo, v28, v99
	v_add_co_ci_u32_e32 v98, vcc_lo, v29, v100, vcc_lo
	global_store_b16 v[97:98], v101, off
	s_or_b32 exec_lo, exec_lo, s15
	s_and_b32 s16, s1, s8
	s_delay_alu instid0(SALU_CYCLE_1)
	s_and_saveexec_b32 s15, s16
	s_cbranch_execz .LBB274_134
.LBB274_144:
	v_cmp_ne_u32_e32 vcc_lo, 1, v76
	s_cbranch_vccnz .LBB274_146
; %bb.145:
	v_lshlrev_b64 v[97:98], 1, v[34:35]
	s_delay_alu instid0(VALU_DEP_1) | instskip(NEXT) | instid1(VALU_DEP_2)
	v_add_co_u32 v97, vcc_lo, v30, v97
	v_add_co_ci_u32_e32 v98, vcc_lo, v31, v98, vcc_lo
	flat_load_u16 v97, v[97:98]
	s_waitcnt vmcnt(0) lgkmcnt(0)
	v_mul_f16_e32 v97, s19, v97
	s_branch .LBB274_147
.LBB274_146:
	v_mov_b32_e32 v97, 0
.LBB274_147:
	v_pk_add_f16 v98, v18, v24
	v_pk_max_f16 v96, v96, v96
	v_pk_add_f16 v99, v19, v25
	s_delay_alu instid0(VALU_DEP_2) | instskip(NEXT) | instid1(VALU_DEP_1)
	v_pk_min_f16 v96, v96, v98
	v_pk_min_f16 v96, v96, v99
	v_lshlrev_b64 v[98:99], 1, v[34:35]
	s_delay_alu instid0(VALU_DEP_2) | instskip(NEXT) | instid1(VALU_DEP_1)
	v_lshrrev_b32_e32 v100, 16, v96
	v_min3_f16 v100, v97, v96, v100
	s_delay_alu instid0(VALU_DEP_3) | instskip(NEXT) | instid1(VALU_DEP_4)
	v_add_co_u32 v96, vcc_lo, v28, v98
	v_add_co_ci_u32_e32 v97, vcc_lo, v29, v99, vcc_lo
	global_store_b16 v[96:97], v100, off
	s_or_b32 exec_lo, exec_lo, s15
	s_and_b32 s16, s2, s8
	s_delay_alu instid0(SALU_CYCLE_1)
	s_and_saveexec_b32 s15, s16
	s_cbranch_execz .LBB274_135
.LBB274_148:
	v_cmp_ne_u32_e32 vcc_lo, 1, v76
	s_cbranch_vccnz .LBB274_150
; %bb.149:
	v_lshlrev_b64 v[96:97], 1, v[36:37]
	s_delay_alu instid0(VALU_DEP_1) | instskip(NEXT) | instid1(VALU_DEP_2)
	v_add_co_u32 v96, vcc_lo, v30, v96
	v_add_co_ci_u32_e32 v97, vcc_lo, v31, v97, vcc_lo
	flat_load_u16 v96, v[96:97]
	s_waitcnt vmcnt(0) lgkmcnt(0)
	v_mul_f16_e32 v96, s19, v96
	s_branch .LBB274_151
.LBB274_150:
	v_mov_b32_e32 v96, 0
.LBB274_151:
	v_pk_add_f16 v97, v12, v24
	v_pk_max_f16 v95, v95, v95
	v_pk_add_f16 v98, v13, v25
	s_delay_alu instid0(VALU_DEP_2) | instskip(NEXT) | instid1(VALU_DEP_1)
	v_pk_min_f16 v95, v95, v97
	v_pk_min_f16 v95, v95, v98
	v_lshlrev_b64 v[97:98], 1, v[36:37]
	s_delay_alu instid0(VALU_DEP_2) | instskip(NEXT) | instid1(VALU_DEP_1)
	v_lshrrev_b32_e32 v99, 16, v95
	v_min3_f16 v99, v96, v95, v99
	s_delay_alu instid0(VALU_DEP_3) | instskip(NEXT) | instid1(VALU_DEP_4)
	v_add_co_u32 v95, vcc_lo, v28, v97
	v_add_co_ci_u32_e32 v96, vcc_lo, v29, v98, vcc_lo
	global_store_b16 v[95:96], v99, off
	s_or_b32 exec_lo, exec_lo, s15
	s_and_b32 s16, s3, s8
	s_delay_alu instid0(SALU_CYCLE_1)
	s_and_saveexec_b32 s15, s16
	s_cbranch_execz .LBB274_136
.LBB274_152:
	v_cmp_ne_u32_e32 vcc_lo, 1, v76
	s_cbranch_vccnz .LBB274_154
; %bb.153:
	v_lshlrev_b64 v[95:96], 1, v[38:39]
	s_delay_alu instid0(VALU_DEP_1) | instskip(NEXT) | instid1(VALU_DEP_2)
	v_add_co_u32 v95, vcc_lo, v30, v95
	v_add_co_ci_u32_e32 v96, vcc_lo, v31, v96, vcc_lo
	flat_load_u16 v95, v[95:96]
	s_waitcnt vmcnt(0) lgkmcnt(0)
	v_mul_f16_e32 v95, s19, v95
	s_branch .LBB274_155
.LBB274_154:
	v_mov_b32_e32 v95, 0
.LBB274_155:
	v_pk_add_f16 v96, v14, v24
	v_pk_max_f16 v94, v94, v94
	v_pk_add_f16 v97, v15, v25
	s_delay_alu instid0(VALU_DEP_2) | instskip(NEXT) | instid1(VALU_DEP_1)
	v_pk_min_f16 v94, v94, v96
	v_pk_min_f16 v94, v94, v97
	v_lshlrev_b64 v[96:97], 1, v[38:39]
	s_delay_alu instid0(VALU_DEP_2) | instskip(NEXT) | instid1(VALU_DEP_1)
	v_lshrrev_b32_e32 v98, 16, v94
	v_min3_f16 v98, v95, v94, v98
	s_delay_alu instid0(VALU_DEP_3) | instskip(NEXT) | instid1(VALU_DEP_4)
	v_add_co_u32 v94, vcc_lo, v28, v96
	v_add_co_ci_u32_e32 v95, vcc_lo, v29, v97, vcc_lo
	global_store_b16 v[94:95], v98, off
	s_or_b32 exec_lo, exec_lo, s15
	s_and_b32 s16, s4, s8
	s_delay_alu instid0(SALU_CYCLE_1)
	s_and_saveexec_b32 s15, s16
	s_cbranch_execz .LBB274_137
.LBB274_156:
	v_cmp_ne_u32_e32 vcc_lo, 1, v76
	s_cbranch_vccnz .LBB274_158
; %bb.157:
	v_lshlrev_b64 v[94:95], 1, v[40:41]
	s_delay_alu instid0(VALU_DEP_1) | instskip(NEXT) | instid1(VALU_DEP_2)
	v_add_co_u32 v94, vcc_lo, v30, v94
	v_add_co_ci_u32_e32 v95, vcc_lo, v31, v95, vcc_lo
	flat_load_u16 v94, v[94:95]
	s_waitcnt vmcnt(0) lgkmcnt(0)
	v_mul_f16_e32 v94, s19, v94
	s_branch .LBB274_159
.LBB274_158:
	v_mov_b32_e32 v94, 0
.LBB274_159:
	v_pk_add_f16 v95, v8, v24
	v_pk_max_f16 v93, v93, v93
	v_pk_add_f16 v96, v9, v25
	s_delay_alu instid0(VALU_DEP_2) | instskip(NEXT) | instid1(VALU_DEP_1)
	v_pk_min_f16 v93, v93, v95
	v_pk_min_f16 v93, v93, v96
	v_lshlrev_b64 v[95:96], 1, v[40:41]
	s_delay_alu instid0(VALU_DEP_2) | instskip(NEXT) | instid1(VALU_DEP_1)
	v_lshrrev_b32_e32 v97, 16, v93
	v_min3_f16 v97, v94, v93, v97
	s_delay_alu instid0(VALU_DEP_3) | instskip(NEXT) | instid1(VALU_DEP_4)
	v_add_co_u32 v93, vcc_lo, v28, v95
	v_add_co_ci_u32_e32 v94, vcc_lo, v29, v96, vcc_lo
	global_store_b16 v[93:94], v97, off
	s_or_b32 exec_lo, exec_lo, s15
	s_and_b32 s16, s5, s8
	s_delay_alu instid0(SALU_CYCLE_1)
	s_and_saveexec_b32 s15, s16
	s_cbranch_execz .LBB274_138
.LBB274_160:
	v_cmp_ne_u32_e32 vcc_lo, 1, v76
	s_cbranch_vccnz .LBB274_162
; %bb.161:
	v_lshlrev_b64 v[93:94], 1, v[42:43]
	s_delay_alu instid0(VALU_DEP_1) | instskip(NEXT) | instid1(VALU_DEP_2)
	v_add_co_u32 v93, vcc_lo, v30, v93
	v_add_co_ci_u32_e32 v94, vcc_lo, v31, v94, vcc_lo
	flat_load_u16 v93, v[93:94]
	s_waitcnt vmcnt(0) lgkmcnt(0)
	v_mul_f16_e32 v93, s19, v93
	s_branch .LBB274_163
.LBB274_162:
	v_mov_b32_e32 v93, 0
.LBB274_163:
	v_pk_add_f16 v94, v10, v24
	v_pk_max_f16 v92, v92, v92
	v_pk_add_f16 v95, v11, v25
	s_delay_alu instid0(VALU_DEP_2) | instskip(NEXT) | instid1(VALU_DEP_1)
	v_pk_min_f16 v92, v92, v94
	v_pk_min_f16 v92, v92, v95
	v_lshlrev_b64 v[94:95], 1, v[42:43]
	s_delay_alu instid0(VALU_DEP_2) | instskip(NEXT) | instid1(VALU_DEP_1)
	v_lshrrev_b32_e32 v96, 16, v92
	v_min3_f16 v96, v93, v92, v96
	s_delay_alu instid0(VALU_DEP_3) | instskip(NEXT) | instid1(VALU_DEP_4)
	v_add_co_u32 v92, vcc_lo, v28, v94
	v_add_co_ci_u32_e32 v93, vcc_lo, v29, v95, vcc_lo
	global_store_b16 v[92:93], v96, off
	s_or_b32 exec_lo, exec_lo, s15
	s_and_b32 s16, s6, s8
	s_delay_alu instid0(SALU_CYCLE_1)
	s_and_saveexec_b32 s15, s16
	s_cbranch_execz .LBB274_139
.LBB274_164:
	v_cmp_ne_u32_e32 vcc_lo, 1, v76
	s_cbranch_vccnz .LBB274_166
; %bb.165:
	v_lshlrev_b64 v[92:93], 1, v[44:45]
	s_delay_alu instid0(VALU_DEP_1) | instskip(NEXT) | instid1(VALU_DEP_2)
	v_add_co_u32 v92, vcc_lo, v30, v92
	v_add_co_ci_u32_e32 v93, vcc_lo, v31, v93, vcc_lo
	flat_load_u16 v92, v[92:93]
	s_waitcnt vmcnt(0) lgkmcnt(0)
	v_mul_f16_e32 v92, s19, v92
	s_branch .LBB274_167
.LBB274_166:
	v_mov_b32_e32 v92, 0
.LBB274_167:
	v_pk_add_f16 v93, v0, v24
	v_pk_max_f16 v91, v91, v91
	v_pk_add_f16 v94, v1, v25
	s_delay_alu instid0(VALU_DEP_2) | instskip(NEXT) | instid1(VALU_DEP_1)
	v_pk_min_f16 v91, v91, v93
	v_pk_min_f16 v91, v91, v94
	v_lshlrev_b64 v[93:94], 1, v[44:45]
	s_delay_alu instid0(VALU_DEP_2) | instskip(NEXT) | instid1(VALU_DEP_1)
	v_lshrrev_b32_e32 v95, 16, v91
	v_min3_f16 v95, v92, v91, v95
	s_delay_alu instid0(VALU_DEP_3) | instskip(NEXT) | instid1(VALU_DEP_4)
	v_add_co_u32 v91, vcc_lo, v28, v93
	v_add_co_ci_u32_e32 v92, vcc_lo, v29, v94, vcc_lo
	global_store_b16 v[91:92], v95, off
	s_or_b32 exec_lo, exec_lo, s15
	s_and_b32 s15, s7, s8
	s_delay_alu instid0(SALU_CYCLE_1)
	s_and_saveexec_b32 s8, s15
	s_cbranch_execz .LBB274_172
.LBB274_168:
	v_cmp_ne_u32_e32 vcc_lo, 1, v76
	s_cbranch_vccnz .LBB274_170
; %bb.169:
	v_lshlrev_b64 v[91:92], 1, v[46:47]
	s_delay_alu instid0(VALU_DEP_1) | instskip(NEXT) | instid1(VALU_DEP_2)
	v_add_co_u32 v30, vcc_lo, v30, v91
	v_add_co_ci_u32_e32 v31, vcc_lo, v31, v92, vcc_lo
	flat_load_u16 v30, v[30:31]
	s_waitcnt vmcnt(0) lgkmcnt(0)
	v_mul_f16_e32 v30, s19, v30
	s_branch .LBB274_171
.LBB274_170:
	v_mov_b32_e32 v30, 0
.LBB274_171:
	v_pk_add_f16 v24, v2, v24
	v_pk_max_f16 v31, v90, v90
	v_pk_add_f16 v25, v3, v25
	s_delay_alu instid0(VALU_DEP_2) | instskip(NEXT) | instid1(VALU_DEP_1)
	v_pk_min_f16 v24, v31, v24
	v_pk_min_f16 v31, v24, v25
	v_lshlrev_b64 v[24:25], 1, v[46:47]
	s_delay_alu instid0(VALU_DEP_2) | instskip(NEXT) | instid1(VALU_DEP_2)
	v_lshrrev_b32_e32 v90, 16, v31
	v_add_co_u32 v24, vcc_lo, v28, v24
	s_delay_alu instid0(VALU_DEP_3) | instskip(NEXT) | instid1(VALU_DEP_3)
	v_add_co_ci_u32_e32 v25, vcc_lo, v29, v25, vcc_lo
	v_min3_f16 v30, v30, v31, v90
	global_store_b16 v[24:25], v30, off
.LBB274_172:
	s_or_b32 exec_lo, exec_lo, s8
	v_add_nc_u32_e32 v30, 0x60, v83
	s_delay_alu instid0(VALU_DEP_1) | instskip(SKIP_2) | instid1(VALU_DEP_3)
	v_mad_i64_i32 v[24:25], null, v30, s14, 0
	v_mad_i64_i32 v[28:29], null, v30, s9, 0
	v_cmp_gt_i32_e64 s8, s17, v30
	v_lshlrev_b64 v[24:25], 1, v[24:25]
	s_delay_alu instid0(VALU_DEP_2) | instskip(NEXT) | instid1(VALU_DEP_3)
	s_and_b32 s16, s0, s8
	v_lshlrev_b64 v[30:31], 1, v[28:29]
	s_delay_alu instid0(VALU_DEP_2) | instskip(NEXT) | instid1(VALU_DEP_3)
	v_add_co_u32 v28, vcc_lo, s12, v24
	v_add_co_ci_u32_e32 v29, vcc_lo, s13, v25, vcc_lo
	s_delay_alu instid0(VALU_DEP_3) | instskip(NEXT) | instid1(VALU_DEP_4)
	v_add_co_u32 v24, vcc_lo, s10, v30
	v_add_co_ci_u32_e32 v25, vcc_lo, s11, v31, vcc_lo
	s_and_saveexec_b32 s15, s16
	s_cbranch_execnz .LBB274_180
; %bb.173:
	s_or_b32 exec_lo, exec_lo, s15
	s_and_b32 s16, s1, s8
	s_delay_alu instid0(SALU_CYCLE_1)
	s_and_saveexec_b32 s15, s16
	s_cbranch_execnz .LBB274_184
.LBB274_174:
	s_or_b32 exec_lo, exec_lo, s15
	s_and_b32 s16, s2, s8
	s_delay_alu instid0(SALU_CYCLE_1)
	s_and_saveexec_b32 s15, s16
	s_cbranch_execnz .LBB274_188
.LBB274_175:
	s_or_b32 exec_lo, exec_lo, s15
	s_and_b32 s16, s3, s8
	s_delay_alu instid0(SALU_CYCLE_1)
	s_and_saveexec_b32 s15, s16
	s_cbranch_execnz .LBB274_192
.LBB274_176:
	s_or_b32 exec_lo, exec_lo, s15
	s_and_b32 s16, s4, s8
	s_delay_alu instid0(SALU_CYCLE_1)
	s_and_saveexec_b32 s15, s16
	s_cbranch_execnz .LBB274_196
.LBB274_177:
	s_or_b32 exec_lo, exec_lo, s15
	s_and_b32 s16, s5, s8
	s_delay_alu instid0(SALU_CYCLE_1)
	s_and_saveexec_b32 s15, s16
	s_cbranch_execnz .LBB274_200
.LBB274_178:
	s_or_b32 exec_lo, exec_lo, s15
	s_and_b32 s16, s6, s8
	s_delay_alu instid0(SALU_CYCLE_1)
	s_and_saveexec_b32 s15, s16
	s_cbranch_execnz .LBB274_204
.LBB274_179:
	s_or_b32 exec_lo, exec_lo, s15
	s_and_b32 s15, s7, s8
	s_delay_alu instid0(SALU_CYCLE_1)
	s_and_saveexec_b32 s8, s15
	s_cbranch_execnz .LBB274_208
	s_branch .LBB274_212
.LBB274_180:
	v_cmp_ne_u32_e32 vcc_lo, 1, v76
	s_cbranch_vccnz .LBB274_182
; %bb.181:
	v_lshlrev_b64 v[30:31], 1, v[32:33]
	s_delay_alu instid0(VALU_DEP_1) | instskip(NEXT) | instid1(VALU_DEP_2)
	v_add_co_u32 v30, vcc_lo, v28, v30
	v_add_co_ci_u32_e32 v31, vcc_lo, v29, v31, vcc_lo
	flat_load_u16 v30, v[30:31]
	s_waitcnt vmcnt(0) lgkmcnt(0)
	v_mul_f16_e32 v30, s19, v30
	s_branch .LBB274_183
.LBB274_182:
	v_mov_b32_e32 v30, 0
.LBB274_183:
	v_pk_add_f16 v31, v16, v26
	v_pk_max_f16 v89, v89, v89
	v_pk_add_f16 v90, v17, v27
	s_delay_alu instid0(VALU_DEP_2) | instskip(NEXT) | instid1(VALU_DEP_1)
	v_pk_min_f16 v31, v89, v31
	v_pk_min_f16 v31, v31, v90
	v_lshlrev_b64 v[89:90], 1, v[32:33]
	s_delay_alu instid0(VALU_DEP_2) | instskip(NEXT) | instid1(VALU_DEP_1)
	v_lshrrev_b32_e32 v91, 16, v31
	v_min3_f16 v91, v30, v31, v91
	s_delay_alu instid0(VALU_DEP_3) | instskip(NEXT) | instid1(VALU_DEP_4)
	v_add_co_u32 v30, vcc_lo, v24, v89
	v_add_co_ci_u32_e32 v31, vcc_lo, v25, v90, vcc_lo
	global_store_b16 v[30:31], v91, off
	s_or_b32 exec_lo, exec_lo, s15
	s_and_b32 s16, s1, s8
	s_delay_alu instid0(SALU_CYCLE_1)
	s_and_saveexec_b32 s15, s16
	s_cbranch_execz .LBB274_174
.LBB274_184:
	v_cmp_ne_u32_e32 vcc_lo, 1, v76
	s_cbranch_vccnz .LBB274_186
; %bb.185:
	v_lshlrev_b64 v[30:31], 1, v[34:35]
	s_delay_alu instid0(VALU_DEP_1) | instskip(NEXT) | instid1(VALU_DEP_2)
	v_add_co_u32 v30, vcc_lo, v28, v30
	v_add_co_ci_u32_e32 v31, vcc_lo, v29, v31, vcc_lo
	flat_load_u16 v30, v[30:31]
	s_waitcnt vmcnt(0) lgkmcnt(0)
	v_mul_f16_e32 v30, s19, v30
	s_branch .LBB274_187
.LBB274_186:
	v_mov_b32_e32 v30, 0
.LBB274_187:
	v_pk_add_f16 v31, v18, v26
	v_pk_max_f16 v88, v88, v88
	v_pk_add_f16 v89, v19, v27
	s_delay_alu instid0(VALU_DEP_2) | instskip(NEXT) | instid1(VALU_DEP_1)
	v_pk_min_f16 v31, v88, v31
	v_pk_min_f16 v31, v31, v89
	v_lshlrev_b64 v[88:89], 1, v[34:35]
	s_delay_alu instid0(VALU_DEP_2) | instskip(NEXT) | instid1(VALU_DEP_1)
	v_lshrrev_b32_e32 v90, 16, v31
	v_min3_f16 v90, v30, v31, v90
	s_delay_alu instid0(VALU_DEP_3) | instskip(NEXT) | instid1(VALU_DEP_4)
	v_add_co_u32 v30, vcc_lo, v24, v88
	v_add_co_ci_u32_e32 v31, vcc_lo, v25, v89, vcc_lo
	global_store_b16 v[30:31], v90, off
	s_or_b32 exec_lo, exec_lo, s15
	s_and_b32 s16, s2, s8
	s_delay_alu instid0(SALU_CYCLE_1)
	s_and_saveexec_b32 s15, s16
	s_cbranch_execz .LBB274_175
.LBB274_188:
	v_cmp_ne_u32_e32 vcc_lo, 1, v76
	s_cbranch_vccnz .LBB274_190
; %bb.189:
	v_lshlrev_b64 v[30:31], 1, v[36:37]
	s_delay_alu instid0(VALU_DEP_1) | instskip(NEXT) | instid1(VALU_DEP_2)
	v_add_co_u32 v30, vcc_lo, v28, v30
	v_add_co_ci_u32_e32 v31, vcc_lo, v29, v31, vcc_lo
	flat_load_u16 v30, v[30:31]
	s_waitcnt vmcnt(0) lgkmcnt(0)
	v_mul_f16_e32 v30, s19, v30
	s_branch .LBB274_191
.LBB274_190:
	v_mov_b32_e32 v30, 0
.LBB274_191:
	v_pk_add_f16 v31, v12, v26
	v_pk_max_f16 v87, v87, v87
	v_pk_add_f16 v88, v13, v27
	s_delay_alu instid0(VALU_DEP_2) | instskip(NEXT) | instid1(VALU_DEP_1)
	v_pk_min_f16 v31, v87, v31
	v_pk_min_f16 v31, v31, v88
	v_lshlrev_b64 v[87:88], 1, v[36:37]
	s_delay_alu instid0(VALU_DEP_2) | instskip(NEXT) | instid1(VALU_DEP_1)
	v_lshrrev_b32_e32 v89, 16, v31
	v_min3_f16 v89, v30, v31, v89
	s_delay_alu instid0(VALU_DEP_3) | instskip(NEXT) | instid1(VALU_DEP_4)
	v_add_co_u32 v30, vcc_lo, v24, v87
	v_add_co_ci_u32_e32 v31, vcc_lo, v25, v88, vcc_lo
	global_store_b16 v[30:31], v89, off
	s_or_b32 exec_lo, exec_lo, s15
	s_and_b32 s16, s3, s8
	s_delay_alu instid0(SALU_CYCLE_1)
	s_and_saveexec_b32 s15, s16
	s_cbranch_execz .LBB274_176
.LBB274_192:
	v_cmp_ne_u32_e32 vcc_lo, 1, v76
	s_cbranch_vccnz .LBB274_194
; %bb.193:
	v_lshlrev_b64 v[30:31], 1, v[38:39]
	s_delay_alu instid0(VALU_DEP_1) | instskip(NEXT) | instid1(VALU_DEP_2)
	v_add_co_u32 v30, vcc_lo, v28, v30
	v_add_co_ci_u32_e32 v31, vcc_lo, v29, v31, vcc_lo
	flat_load_u16 v30, v[30:31]
	s_waitcnt vmcnt(0) lgkmcnt(0)
	v_mul_f16_e32 v30, s19, v30
	s_branch .LBB274_195
.LBB274_194:
	v_mov_b32_e32 v30, 0
.LBB274_195:
	v_pk_add_f16 v31, v14, v26
	v_pk_max_f16 v86, v86, v86
	v_pk_add_f16 v87, v15, v27
	s_delay_alu instid0(VALU_DEP_2) | instskip(NEXT) | instid1(VALU_DEP_1)
	v_pk_min_f16 v31, v86, v31
	v_pk_min_f16 v31, v31, v87
	v_lshlrev_b64 v[86:87], 1, v[38:39]
	s_delay_alu instid0(VALU_DEP_2) | instskip(NEXT) | instid1(VALU_DEP_1)
	v_lshrrev_b32_e32 v88, 16, v31
	v_min3_f16 v88, v30, v31, v88
	s_delay_alu instid0(VALU_DEP_3) | instskip(NEXT) | instid1(VALU_DEP_4)
	v_add_co_u32 v30, vcc_lo, v24, v86
	v_add_co_ci_u32_e32 v31, vcc_lo, v25, v87, vcc_lo
	global_store_b16 v[30:31], v88, off
	s_or_b32 exec_lo, exec_lo, s15
	s_and_b32 s16, s4, s8
	s_delay_alu instid0(SALU_CYCLE_1)
	s_and_saveexec_b32 s15, s16
	s_cbranch_execz .LBB274_177
.LBB274_196:
	v_cmp_ne_u32_e32 vcc_lo, 1, v76
	s_cbranch_vccnz .LBB274_198
; %bb.197:
	v_lshlrev_b64 v[30:31], 1, v[40:41]
	s_delay_alu instid0(VALU_DEP_1) | instskip(NEXT) | instid1(VALU_DEP_2)
	v_add_co_u32 v30, vcc_lo, v28, v30
	v_add_co_ci_u32_e32 v31, vcc_lo, v29, v31, vcc_lo
	flat_load_u16 v30, v[30:31]
	s_waitcnt vmcnt(0) lgkmcnt(0)
	v_mul_f16_e32 v30, s19, v30
	s_branch .LBB274_199
.LBB274_198:
	v_mov_b32_e32 v30, 0
.LBB274_199:
	v_pk_add_f16 v31, v8, v26
	v_pk_max_f16 v85, v85, v85
	v_pk_add_f16 v86, v9, v27
	s_delay_alu instid0(VALU_DEP_2) | instskip(NEXT) | instid1(VALU_DEP_1)
	v_pk_min_f16 v31, v85, v31
	v_pk_min_f16 v31, v31, v86
	v_lshlrev_b64 v[85:86], 1, v[40:41]
	s_delay_alu instid0(VALU_DEP_2) | instskip(NEXT) | instid1(VALU_DEP_1)
	v_lshrrev_b32_e32 v87, 16, v31
	v_min3_f16 v87, v30, v31, v87
	s_delay_alu instid0(VALU_DEP_3) | instskip(NEXT) | instid1(VALU_DEP_4)
	v_add_co_u32 v30, vcc_lo, v24, v85
	v_add_co_ci_u32_e32 v31, vcc_lo, v25, v86, vcc_lo
	global_store_b16 v[30:31], v87, off
	s_or_b32 exec_lo, exec_lo, s15
	s_and_b32 s16, s5, s8
	s_delay_alu instid0(SALU_CYCLE_1)
	s_and_saveexec_b32 s15, s16
	s_cbranch_execz .LBB274_178
.LBB274_200:
	v_cmp_ne_u32_e32 vcc_lo, 1, v76
	s_cbranch_vccnz .LBB274_202
; %bb.201:
	v_lshlrev_b64 v[30:31], 1, v[42:43]
	s_delay_alu instid0(VALU_DEP_1) | instskip(NEXT) | instid1(VALU_DEP_2)
	v_add_co_u32 v30, vcc_lo, v28, v30
	v_add_co_ci_u32_e32 v31, vcc_lo, v29, v31, vcc_lo
	flat_load_u16 v30, v[30:31]
	s_waitcnt vmcnt(0) lgkmcnt(0)
	v_mul_f16_e32 v30, s19, v30
	s_branch .LBB274_203
.LBB274_202:
	v_mov_b32_e32 v30, 0
.LBB274_203:
	v_pk_add_f16 v31, v10, v26
	v_pk_max_f16 v84, v84, v84
	v_pk_add_f16 v85, v11, v27
	s_delay_alu instid0(VALU_DEP_2) | instskip(NEXT) | instid1(VALU_DEP_1)
	v_pk_min_f16 v31, v84, v31
	v_pk_min_f16 v31, v31, v85
	v_lshlrev_b64 v[84:85], 1, v[42:43]
	s_delay_alu instid0(VALU_DEP_2) | instskip(NEXT) | instid1(VALU_DEP_1)
	v_lshrrev_b32_e32 v86, 16, v31
	v_min3_f16 v86, v30, v31, v86
	s_delay_alu instid0(VALU_DEP_3) | instskip(NEXT) | instid1(VALU_DEP_4)
	v_add_co_u32 v30, vcc_lo, v24, v84
	v_add_co_ci_u32_e32 v31, vcc_lo, v25, v85, vcc_lo
	global_store_b16 v[30:31], v86, off
	s_or_b32 exec_lo, exec_lo, s15
	s_and_b32 s16, s6, s8
	s_delay_alu instid0(SALU_CYCLE_1)
	s_and_saveexec_b32 s15, s16
	s_cbranch_execz .LBB274_179
.LBB274_204:
	v_cmp_ne_u32_e32 vcc_lo, 1, v76
	s_cbranch_vccnz .LBB274_206
; %bb.205:
	v_lshlrev_b64 v[30:31], 1, v[44:45]
	s_delay_alu instid0(VALU_DEP_1) | instskip(NEXT) | instid1(VALU_DEP_2)
	v_add_co_u32 v30, vcc_lo, v28, v30
	v_add_co_ci_u32_e32 v31, vcc_lo, v29, v31, vcc_lo
	flat_load_u16 v30, v[30:31]
	s_waitcnt vmcnt(0) lgkmcnt(0)
	v_mul_f16_e32 v30, s19, v30
	s_branch .LBB274_207
.LBB274_206:
	v_mov_b32_e32 v30, 0
.LBB274_207:
	v_pk_add_f16 v31, v0, v26
	v_pk_max_f16 v82, v82, v82
	v_pk_add_f16 v84, v1, v27
	s_delay_alu instid0(VALU_DEP_2) | instskip(NEXT) | instid1(VALU_DEP_1)
	v_pk_min_f16 v31, v82, v31
	v_pk_min_f16 v31, v31, v84
	v_lshlrev_b64 v[84:85], 1, v[44:45]
	s_delay_alu instid0(VALU_DEP_2) | instskip(NEXT) | instid1(VALU_DEP_1)
	v_lshrrev_b32_e32 v82, 16, v31
	v_min3_f16 v82, v30, v31, v82
	s_delay_alu instid0(VALU_DEP_3) | instskip(NEXT) | instid1(VALU_DEP_4)
	v_add_co_u32 v30, vcc_lo, v24, v84
	v_add_co_ci_u32_e32 v31, vcc_lo, v25, v85, vcc_lo
	global_store_b16 v[30:31], v82, off
	s_or_b32 exec_lo, exec_lo, s15
	s_and_b32 s15, s7, s8
	s_delay_alu instid0(SALU_CYCLE_1)
	s_and_saveexec_b32 s8, s15
	s_cbranch_execz .LBB274_212
.LBB274_208:
	v_cmp_ne_u32_e32 vcc_lo, 1, v76
	s_cbranch_vccnz .LBB274_210
; %bb.209:
	v_lshlrev_b64 v[30:31], 1, v[46:47]
	s_delay_alu instid0(VALU_DEP_1) | instskip(NEXT) | instid1(VALU_DEP_2)
	v_add_co_u32 v28, vcc_lo, v28, v30
	v_add_co_ci_u32_e32 v29, vcc_lo, v29, v31, vcc_lo
	flat_load_u16 v28, v[28:29]
	s_waitcnt vmcnt(0) lgkmcnt(0)
	v_mul_f16_e32 v28, s19, v28
	s_branch .LBB274_211
.LBB274_210:
	v_mov_b32_e32 v28, 0
.LBB274_211:
	v_pk_add_f16 v26, v2, v26
	v_pk_max_f16 v29, v81, v81
	v_pk_add_f16 v27, v3, v27
	s_delay_alu instid0(VALU_DEP_2) | instskip(NEXT) | instid1(VALU_DEP_1)
	v_pk_min_f16 v26, v29, v26
	v_pk_min_f16 v29, v26, v27
	v_lshlrev_b64 v[26:27], 1, v[46:47]
	s_delay_alu instid0(VALU_DEP_2) | instskip(NEXT) | instid1(VALU_DEP_2)
	v_lshrrev_b32_e32 v30, 16, v29
	v_add_co_u32 v24, vcc_lo, v24, v26
	s_delay_alu instid0(VALU_DEP_3) | instskip(NEXT) | instid1(VALU_DEP_3)
	v_add_co_ci_u32_e32 v25, vcc_lo, v25, v27, vcc_lo
	v_min3_f16 v28, v28, v29, v30
	global_store_b16 v[24:25], v28, off
.LBB274_212:
	s_or_b32 exec_lo, exec_lo, s8
	v_add_nc_u32_e32 v28, 0x80, v83
	s_delay_alu instid0(VALU_DEP_1) | instskip(SKIP_2) | instid1(VALU_DEP_3)
	v_mad_i64_i32 v[24:25], null, v28, s14, 0
	v_mad_i64_i32 v[26:27], null, v28, s9, 0
	v_cmp_gt_i32_e64 s8, s17, v28
	v_lshlrev_b64 v[24:25], 1, v[24:25]
	s_delay_alu instid0(VALU_DEP_2) | instskip(NEXT) | instid1(VALU_DEP_3)
	s_and_b32 s16, s0, s8
	v_lshlrev_b64 v[28:29], 1, v[26:27]
	s_delay_alu instid0(VALU_DEP_2) | instskip(NEXT) | instid1(VALU_DEP_3)
	v_add_co_u32 v26, vcc_lo, s12, v24
	v_add_co_ci_u32_e32 v27, vcc_lo, s13, v25, vcc_lo
	s_delay_alu instid0(VALU_DEP_3) | instskip(NEXT) | instid1(VALU_DEP_4)
	v_add_co_u32 v24, vcc_lo, s10, v28
	v_add_co_ci_u32_e32 v25, vcc_lo, s11, v29, vcc_lo
	s_and_saveexec_b32 s15, s16
	s_cbranch_execnz .LBB274_220
; %bb.213:
	s_or_b32 exec_lo, exec_lo, s15
	s_and_b32 s16, s1, s8
	s_delay_alu instid0(SALU_CYCLE_1)
	s_and_saveexec_b32 s15, s16
	s_cbranch_execnz .LBB274_224
.LBB274_214:
	s_or_b32 exec_lo, exec_lo, s15
	s_and_b32 s16, s2, s8
	s_delay_alu instid0(SALU_CYCLE_1)
	s_and_saveexec_b32 s15, s16
	s_cbranch_execnz .LBB274_228
.LBB274_215:
	s_or_b32 exec_lo, exec_lo, s15
	s_and_b32 s16, s3, s8
	s_delay_alu instid0(SALU_CYCLE_1)
	s_and_saveexec_b32 s15, s16
	s_cbranch_execnz .LBB274_232
.LBB274_216:
	s_or_b32 exec_lo, exec_lo, s15
	s_and_b32 s16, s4, s8
	s_delay_alu instid0(SALU_CYCLE_1)
	s_and_saveexec_b32 s15, s16
	s_cbranch_execnz .LBB274_236
.LBB274_217:
	s_or_b32 exec_lo, exec_lo, s15
	s_and_b32 s16, s5, s8
	s_delay_alu instid0(SALU_CYCLE_1)
	s_and_saveexec_b32 s15, s16
	s_cbranch_execnz .LBB274_240
.LBB274_218:
	s_or_b32 exec_lo, exec_lo, s15
	s_and_b32 s16, s6, s8
	s_delay_alu instid0(SALU_CYCLE_1)
	s_and_saveexec_b32 s15, s16
	s_cbranch_execnz .LBB274_244
.LBB274_219:
	s_or_b32 exec_lo, exec_lo, s15
	s_and_b32 s15, s7, s8
	s_delay_alu instid0(SALU_CYCLE_1)
	s_and_saveexec_b32 s8, s15
	s_cbranch_execnz .LBB274_248
	s_branch .LBB274_252
.LBB274_220:
	v_cmp_ne_u32_e32 vcc_lo, 1, v76
	s_cbranch_vccnz .LBB274_222
; %bb.221:
	v_lshlrev_b64 v[28:29], 1, v[32:33]
	s_delay_alu instid0(VALU_DEP_1) | instskip(NEXT) | instid1(VALU_DEP_2)
	v_add_co_u32 v28, vcc_lo, v26, v28
	v_add_co_ci_u32_e32 v29, vcc_lo, v27, v29, vcc_lo
	flat_load_u16 v28, v[28:29]
	s_waitcnt vmcnt(0) lgkmcnt(0)
	v_mul_f16_e32 v28, s19, v28
	s_branch .LBB274_223
.LBB274_222:
	v_mov_b32_e32 v28, 0
.LBB274_223:
	v_pk_add_f16 v29, v16, v20
	v_pk_max_f16 v30, v80, v80
	v_pk_add_f16 v31, v17, v21
	s_delay_alu instid0(VALU_DEP_2) | instskip(NEXT) | instid1(VALU_DEP_1)
	v_pk_min_f16 v29, v30, v29
	v_pk_min_f16 v31, v29, v31
	v_lshlrev_b64 v[29:30], 1, v[32:33]
	s_delay_alu instid0(VALU_DEP_2) | instskip(NEXT) | instid1(VALU_DEP_1)
	v_lshrrev_b32_e32 v80, 16, v31
	v_min3_f16 v31, v28, v31, v80
	s_delay_alu instid0(VALU_DEP_3) | instskip(NEXT) | instid1(VALU_DEP_4)
	v_add_co_u32 v28, vcc_lo, v24, v29
	v_add_co_ci_u32_e32 v29, vcc_lo, v25, v30, vcc_lo
	global_store_b16 v[28:29], v31, off
	s_or_b32 exec_lo, exec_lo, s15
	s_and_b32 s16, s1, s8
	s_delay_alu instid0(SALU_CYCLE_1)
	s_and_saveexec_b32 s15, s16
	s_cbranch_execz .LBB274_214
.LBB274_224:
	v_cmp_ne_u32_e32 vcc_lo, 1, v76
	s_cbranch_vccnz .LBB274_226
; %bb.225:
	v_lshlrev_b64 v[28:29], 1, v[34:35]
	s_delay_alu instid0(VALU_DEP_1) | instskip(NEXT) | instid1(VALU_DEP_2)
	v_add_co_u32 v28, vcc_lo, v26, v28
	v_add_co_ci_u32_e32 v29, vcc_lo, v27, v29, vcc_lo
	flat_load_u16 v28, v[28:29]
	s_waitcnt vmcnt(0) lgkmcnt(0)
	v_mul_f16_e32 v28, s19, v28
	s_branch .LBB274_227
.LBB274_226:
	v_mov_b32_e32 v28, 0
.LBB274_227:
	v_pk_add_f16 v29, v18, v20
	v_pk_max_f16 v30, v79, v79
	v_pk_add_f16 v31, v19, v21
	s_delay_alu instid0(VALU_DEP_2) | instskip(NEXT) | instid1(VALU_DEP_1)
	v_pk_min_f16 v29, v30, v29
	v_pk_min_f16 v31, v29, v31
	v_lshlrev_b64 v[29:30], 1, v[34:35]
	s_delay_alu instid0(VALU_DEP_2) | instskip(NEXT) | instid1(VALU_DEP_1)
	v_lshrrev_b32_e32 v79, 16, v31
	v_min3_f16 v31, v28, v31, v79
	s_delay_alu instid0(VALU_DEP_3) | instskip(NEXT) | instid1(VALU_DEP_4)
	v_add_co_u32 v28, vcc_lo, v24, v29
	v_add_co_ci_u32_e32 v29, vcc_lo, v25, v30, vcc_lo
	global_store_b16 v[28:29], v31, off
	s_or_b32 exec_lo, exec_lo, s15
	s_and_b32 s16, s2, s8
	s_delay_alu instid0(SALU_CYCLE_1)
	s_and_saveexec_b32 s15, s16
	s_cbranch_execz .LBB274_215
.LBB274_228:
	v_cmp_ne_u32_e32 vcc_lo, 1, v76
	s_cbranch_vccnz .LBB274_230
; %bb.229:
	v_lshlrev_b64 v[28:29], 1, v[36:37]
	s_delay_alu instid0(VALU_DEP_1) | instskip(NEXT) | instid1(VALU_DEP_2)
	v_add_co_u32 v28, vcc_lo, v26, v28
	v_add_co_ci_u32_e32 v29, vcc_lo, v27, v29, vcc_lo
	flat_load_u16 v28, v[28:29]
	s_waitcnt vmcnt(0) lgkmcnt(0)
	v_mul_f16_e32 v28, s19, v28
	s_branch .LBB274_231
.LBB274_230:
	v_mov_b32_e32 v28, 0
.LBB274_231:
	v_pk_add_f16 v29, v12, v20
	v_pk_max_f16 v30, v78, v78
	v_pk_add_f16 v31, v13, v21
	s_delay_alu instid0(VALU_DEP_2) | instskip(NEXT) | instid1(VALU_DEP_1)
	v_pk_min_f16 v29, v30, v29
	v_pk_min_f16 v31, v29, v31
	v_lshlrev_b64 v[29:30], 1, v[36:37]
	s_delay_alu instid0(VALU_DEP_2) | instskip(NEXT) | instid1(VALU_DEP_1)
	v_lshrrev_b32_e32 v78, 16, v31
	v_min3_f16 v31, v28, v31, v78
	s_delay_alu instid0(VALU_DEP_3) | instskip(NEXT) | instid1(VALU_DEP_4)
	v_add_co_u32 v28, vcc_lo, v24, v29
	v_add_co_ci_u32_e32 v29, vcc_lo, v25, v30, vcc_lo
	global_store_b16 v[28:29], v31, off
	s_or_b32 exec_lo, exec_lo, s15
	s_and_b32 s16, s3, s8
	s_delay_alu instid0(SALU_CYCLE_1)
	s_and_saveexec_b32 s15, s16
	s_cbranch_execz .LBB274_216
.LBB274_232:
	v_cmp_ne_u32_e32 vcc_lo, 1, v76
	s_cbranch_vccnz .LBB274_234
; %bb.233:
	v_lshlrev_b64 v[28:29], 1, v[38:39]
	s_delay_alu instid0(VALU_DEP_1) | instskip(NEXT) | instid1(VALU_DEP_2)
	v_add_co_u32 v28, vcc_lo, v26, v28
	v_add_co_ci_u32_e32 v29, vcc_lo, v27, v29, vcc_lo
	flat_load_u16 v28, v[28:29]
	s_waitcnt vmcnt(0) lgkmcnt(0)
	v_mul_f16_e32 v28, s19, v28
	s_branch .LBB274_235
.LBB274_234:
	v_mov_b32_e32 v28, 0
.LBB274_235:
	v_pk_add_f16 v29, v14, v20
	v_pk_max_f16 v30, v77, v77
	v_pk_add_f16 v31, v15, v21
	s_delay_alu instid0(VALU_DEP_2) | instskip(NEXT) | instid1(VALU_DEP_1)
	v_pk_min_f16 v29, v30, v29
	v_pk_min_f16 v31, v29, v31
	v_lshlrev_b64 v[29:30], 1, v[38:39]
	s_delay_alu instid0(VALU_DEP_2) | instskip(NEXT) | instid1(VALU_DEP_1)
	v_lshrrev_b32_e32 v77, 16, v31
	v_min3_f16 v31, v28, v31, v77
	s_delay_alu instid0(VALU_DEP_3) | instskip(NEXT) | instid1(VALU_DEP_4)
	v_add_co_u32 v28, vcc_lo, v24, v29
	v_add_co_ci_u32_e32 v29, vcc_lo, v25, v30, vcc_lo
	global_store_b16 v[28:29], v31, off
	s_or_b32 exec_lo, exec_lo, s15
	s_and_b32 s16, s4, s8
	s_delay_alu instid0(SALU_CYCLE_1)
	s_and_saveexec_b32 s15, s16
	s_cbranch_execz .LBB274_217
.LBB274_236:
	v_cmp_ne_u32_e32 vcc_lo, 1, v76
	s_cbranch_vccnz .LBB274_238
; %bb.237:
	v_lshlrev_b64 v[28:29], 1, v[40:41]
	s_delay_alu instid0(VALU_DEP_1) | instskip(NEXT) | instid1(VALU_DEP_2)
	v_add_co_u32 v28, vcc_lo, v26, v28
	v_add_co_ci_u32_e32 v29, vcc_lo, v27, v29, vcc_lo
	flat_load_u16 v28, v[28:29]
	s_waitcnt vmcnt(0) lgkmcnt(0)
	v_mul_f16_e32 v28, s19, v28
	s_branch .LBB274_239
.LBB274_238:
	v_mov_b32_e32 v28, 0
.LBB274_239:
	v_pk_add_f16 v29, v8, v20
	v_pk_max_f16 v30, v75, v75
	v_pk_add_f16 v31, v9, v21
	s_delay_alu instid0(VALU_DEP_2) | instskip(NEXT) | instid1(VALU_DEP_1)
	v_pk_min_f16 v29, v30, v29
	v_pk_min_f16 v31, v29, v31
	v_lshlrev_b64 v[29:30], 1, v[40:41]
	s_delay_alu instid0(VALU_DEP_2) | instskip(NEXT) | instid1(VALU_DEP_1)
	v_lshrrev_b32_e32 v75, 16, v31
	v_min3_f16 v31, v28, v31, v75
	s_delay_alu instid0(VALU_DEP_3) | instskip(NEXT) | instid1(VALU_DEP_4)
	v_add_co_u32 v28, vcc_lo, v24, v29
	v_add_co_ci_u32_e32 v29, vcc_lo, v25, v30, vcc_lo
	global_store_b16 v[28:29], v31, off
	s_or_b32 exec_lo, exec_lo, s15
	s_and_b32 s16, s5, s8
	s_delay_alu instid0(SALU_CYCLE_1)
	s_and_saveexec_b32 s15, s16
	s_cbranch_execz .LBB274_218
.LBB274_240:
	v_cmp_ne_u32_e32 vcc_lo, 1, v76
	s_cbranch_vccnz .LBB274_242
; %bb.241:
	v_lshlrev_b64 v[28:29], 1, v[42:43]
	s_delay_alu instid0(VALU_DEP_1) | instskip(NEXT) | instid1(VALU_DEP_2)
	v_add_co_u32 v28, vcc_lo, v26, v28
	v_add_co_ci_u32_e32 v29, vcc_lo, v27, v29, vcc_lo
	flat_load_u16 v28, v[28:29]
	s_waitcnt vmcnt(0) lgkmcnt(0)
	v_mul_f16_e32 v28, s19, v28
	s_branch .LBB274_243
.LBB274_242:
	v_mov_b32_e32 v28, 0
.LBB274_243:
	v_pk_add_f16 v29, v10, v20
	v_pk_max_f16 v30, v74, v74
	v_pk_add_f16 v31, v11, v21
	s_delay_alu instid0(VALU_DEP_2) | instskip(NEXT) | instid1(VALU_DEP_1)
	v_pk_min_f16 v29, v30, v29
	v_pk_min_f16 v31, v29, v31
	v_lshlrev_b64 v[29:30], 1, v[42:43]
	s_delay_alu instid0(VALU_DEP_2) | instskip(NEXT) | instid1(VALU_DEP_1)
	v_lshrrev_b32_e32 v74, 16, v31
	v_min3_f16 v31, v28, v31, v74
	s_delay_alu instid0(VALU_DEP_3) | instskip(NEXT) | instid1(VALU_DEP_4)
	v_add_co_u32 v28, vcc_lo, v24, v29
	v_add_co_ci_u32_e32 v29, vcc_lo, v25, v30, vcc_lo
	global_store_b16 v[28:29], v31, off
	s_or_b32 exec_lo, exec_lo, s15
	s_and_b32 s16, s6, s8
	s_delay_alu instid0(SALU_CYCLE_1)
	s_and_saveexec_b32 s15, s16
	s_cbranch_execz .LBB274_219
.LBB274_244:
	v_cmp_ne_u32_e32 vcc_lo, 1, v76
	s_cbranch_vccnz .LBB274_246
; %bb.245:
	v_lshlrev_b64 v[28:29], 1, v[44:45]
	s_delay_alu instid0(VALU_DEP_1) | instskip(NEXT) | instid1(VALU_DEP_2)
	v_add_co_u32 v28, vcc_lo, v26, v28
	v_add_co_ci_u32_e32 v29, vcc_lo, v27, v29, vcc_lo
	flat_load_u16 v28, v[28:29]
	s_waitcnt vmcnt(0) lgkmcnt(0)
	v_mul_f16_e32 v28, s19, v28
	s_branch .LBB274_247
.LBB274_246:
	v_mov_b32_e32 v28, 0
.LBB274_247:
	v_pk_add_f16 v29, v0, v20
	v_pk_max_f16 v30, v73, v73
	v_pk_add_f16 v31, v1, v21
	s_delay_alu instid0(VALU_DEP_2) | instskip(NEXT) | instid1(VALU_DEP_1)
	v_pk_min_f16 v29, v30, v29
	v_pk_min_f16 v31, v29, v31
	v_lshlrev_b64 v[29:30], 1, v[44:45]
	s_delay_alu instid0(VALU_DEP_2) | instskip(NEXT) | instid1(VALU_DEP_1)
	v_lshrrev_b32_e32 v73, 16, v31
	v_min3_f16 v31, v28, v31, v73
	s_delay_alu instid0(VALU_DEP_3) | instskip(NEXT) | instid1(VALU_DEP_4)
	v_add_co_u32 v28, vcc_lo, v24, v29
	v_add_co_ci_u32_e32 v29, vcc_lo, v25, v30, vcc_lo
	global_store_b16 v[28:29], v31, off
	s_or_b32 exec_lo, exec_lo, s15
	s_and_b32 s15, s7, s8
	s_delay_alu instid0(SALU_CYCLE_1)
	s_and_saveexec_b32 s8, s15
	s_cbranch_execz .LBB274_252
.LBB274_248:
	v_cmp_ne_u32_e32 vcc_lo, 1, v76
	s_cbranch_vccnz .LBB274_250
; %bb.249:
	v_lshlrev_b64 v[28:29], 1, v[46:47]
	s_delay_alu instid0(VALU_DEP_1) | instskip(NEXT) | instid1(VALU_DEP_2)
	v_add_co_u32 v26, vcc_lo, v26, v28
	v_add_co_ci_u32_e32 v27, vcc_lo, v27, v29, vcc_lo
	flat_load_u16 v26, v[26:27]
	s_waitcnt vmcnt(0) lgkmcnt(0)
	v_mul_f16_e32 v26, s19, v26
	s_branch .LBB274_251
.LBB274_250:
	v_mov_b32_e32 v26, 0
.LBB274_251:
	v_pk_add_f16 v20, v2, v20
	v_pk_max_f16 v27, v72, v72
	v_pk_add_f16 v21, v3, v21
	s_delay_alu instid0(VALU_DEP_2) | instskip(NEXT) | instid1(VALU_DEP_1)
	v_pk_min_f16 v20, v27, v20
	v_pk_min_f16 v27, v20, v21
	v_lshlrev_b64 v[20:21], 1, v[46:47]
	s_delay_alu instid0(VALU_DEP_2) | instskip(NEXT) | instid1(VALU_DEP_2)
	v_lshrrev_b32_e32 v28, 16, v27
	v_add_co_u32 v20, vcc_lo, v24, v20
	s_delay_alu instid0(VALU_DEP_3) | instskip(NEXT) | instid1(VALU_DEP_3)
	v_add_co_ci_u32_e32 v21, vcc_lo, v25, v21, vcc_lo
	v_min3_f16 v26, v26, v27, v28
	global_store_b16 v[20:21], v26, off
.LBB274_252:
	s_or_b32 exec_lo, exec_lo, s8
	v_add_nc_u32_e32 v26, 0xa0, v83
	s_delay_alu instid0(VALU_DEP_1) | instskip(SKIP_2) | instid1(VALU_DEP_3)
	v_mad_i64_i32 v[20:21], null, v26, s14, 0
	v_mad_i64_i32 v[24:25], null, v26, s9, 0
	v_cmp_gt_i32_e64 s8, s17, v26
	v_lshlrev_b64 v[20:21], 1, v[20:21]
	s_delay_alu instid0(VALU_DEP_2) | instskip(NEXT) | instid1(VALU_DEP_3)
	s_and_b32 s16, s0, s8
	v_lshlrev_b64 v[26:27], 1, v[24:25]
	s_delay_alu instid0(VALU_DEP_2) | instskip(NEXT) | instid1(VALU_DEP_3)
	v_add_co_u32 v24, vcc_lo, s12, v20
	v_add_co_ci_u32_e32 v25, vcc_lo, s13, v21, vcc_lo
	s_delay_alu instid0(VALU_DEP_3) | instskip(NEXT) | instid1(VALU_DEP_4)
	v_add_co_u32 v20, vcc_lo, s10, v26
	v_add_co_ci_u32_e32 v21, vcc_lo, s11, v27, vcc_lo
	s_and_saveexec_b32 s15, s16
	s_cbranch_execnz .LBB274_260
; %bb.253:
	s_or_b32 exec_lo, exec_lo, s15
	s_and_b32 s16, s1, s8
	s_delay_alu instid0(SALU_CYCLE_1)
	s_and_saveexec_b32 s15, s16
	s_cbranch_execnz .LBB274_264
.LBB274_254:
	s_or_b32 exec_lo, exec_lo, s15
	s_and_b32 s16, s2, s8
	s_delay_alu instid0(SALU_CYCLE_1)
	s_and_saveexec_b32 s15, s16
	s_cbranch_execnz .LBB274_268
.LBB274_255:
	s_or_b32 exec_lo, exec_lo, s15
	s_and_b32 s16, s3, s8
	s_delay_alu instid0(SALU_CYCLE_1)
	s_and_saveexec_b32 s15, s16
	s_cbranch_execnz .LBB274_272
.LBB274_256:
	s_or_b32 exec_lo, exec_lo, s15
	s_and_b32 s16, s4, s8
	s_delay_alu instid0(SALU_CYCLE_1)
	s_and_saveexec_b32 s15, s16
	s_cbranch_execnz .LBB274_276
.LBB274_257:
	s_or_b32 exec_lo, exec_lo, s15
	s_and_b32 s16, s5, s8
	s_delay_alu instid0(SALU_CYCLE_1)
	s_and_saveexec_b32 s15, s16
	s_cbranch_execnz .LBB274_280
.LBB274_258:
	s_or_b32 exec_lo, exec_lo, s15
	s_and_b32 s16, s6, s8
	s_delay_alu instid0(SALU_CYCLE_1)
	s_and_saveexec_b32 s15, s16
	s_cbranch_execnz .LBB274_284
.LBB274_259:
	s_or_b32 exec_lo, exec_lo, s15
	s_and_b32 s15, s7, s8
	s_delay_alu instid0(SALU_CYCLE_1)
	s_and_saveexec_b32 s8, s15
	s_cbranch_execnz .LBB274_288
	s_branch .LBB274_292
.LBB274_260:
	v_cmp_ne_u32_e32 vcc_lo, 1, v76
	s_cbranch_vccnz .LBB274_262
; %bb.261:
	v_lshlrev_b64 v[26:27], 1, v[32:33]
	s_delay_alu instid0(VALU_DEP_1) | instskip(NEXT) | instid1(VALU_DEP_2)
	v_add_co_u32 v26, vcc_lo, v24, v26
	v_add_co_ci_u32_e32 v27, vcc_lo, v25, v27, vcc_lo
	flat_load_u16 v26, v[26:27]
	s_waitcnt vmcnt(0) lgkmcnt(0)
	v_mul_f16_e32 v26, s19, v26
	s_branch .LBB274_263
.LBB274_262:
	v_mov_b32_e32 v26, 0
.LBB274_263:
	v_pk_add_f16 v27, v16, v22
	v_pk_max_f16 v28, v71, v71
	v_pk_add_f16 v29, v17, v23
	s_delay_alu instid0(VALU_DEP_2) | instskip(NEXT) | instid1(VALU_DEP_1)
	v_pk_min_f16 v27, v28, v27
	v_pk_min_f16 v29, v27, v29
	v_lshlrev_b64 v[27:28], 1, v[32:33]
	s_delay_alu instid0(VALU_DEP_2) | instskip(NEXT) | instid1(VALU_DEP_1)
	v_lshrrev_b32_e32 v30, 16, v29
	v_min3_f16 v29, v26, v29, v30
	s_delay_alu instid0(VALU_DEP_3) | instskip(NEXT) | instid1(VALU_DEP_4)
	v_add_co_u32 v26, vcc_lo, v20, v27
	v_add_co_ci_u32_e32 v27, vcc_lo, v21, v28, vcc_lo
	global_store_b16 v[26:27], v29, off
	s_or_b32 exec_lo, exec_lo, s15
	s_and_b32 s16, s1, s8
	s_delay_alu instid0(SALU_CYCLE_1)
	s_and_saveexec_b32 s15, s16
	s_cbranch_execz .LBB274_254
.LBB274_264:
	v_cmp_ne_u32_e32 vcc_lo, 1, v76
	s_cbranch_vccnz .LBB274_266
; %bb.265:
	v_lshlrev_b64 v[26:27], 1, v[34:35]
	s_delay_alu instid0(VALU_DEP_1) | instskip(NEXT) | instid1(VALU_DEP_2)
	v_add_co_u32 v26, vcc_lo, v24, v26
	v_add_co_ci_u32_e32 v27, vcc_lo, v25, v27, vcc_lo
	flat_load_u16 v26, v[26:27]
	s_waitcnt vmcnt(0) lgkmcnt(0)
	v_mul_f16_e32 v26, s19, v26
	s_branch .LBB274_267
.LBB274_266:
	v_mov_b32_e32 v26, 0
.LBB274_267:
	v_pk_add_f16 v27, v18, v22
	v_pk_max_f16 v28, v70, v70
	v_pk_add_f16 v29, v19, v23
	s_delay_alu instid0(VALU_DEP_2) | instskip(NEXT) | instid1(VALU_DEP_1)
	v_pk_min_f16 v27, v28, v27
	v_pk_min_f16 v29, v27, v29
	v_lshlrev_b64 v[27:28], 1, v[34:35]
	s_delay_alu instid0(VALU_DEP_2) | instskip(NEXT) | instid1(VALU_DEP_1)
	v_lshrrev_b32_e32 v30, 16, v29
	v_min3_f16 v29, v26, v29, v30
	s_delay_alu instid0(VALU_DEP_3) | instskip(NEXT) | instid1(VALU_DEP_4)
	v_add_co_u32 v26, vcc_lo, v20, v27
	v_add_co_ci_u32_e32 v27, vcc_lo, v21, v28, vcc_lo
	global_store_b16 v[26:27], v29, off
	s_or_b32 exec_lo, exec_lo, s15
	s_and_b32 s16, s2, s8
	s_delay_alu instid0(SALU_CYCLE_1)
	s_and_saveexec_b32 s15, s16
	s_cbranch_execz .LBB274_255
.LBB274_268:
	v_cmp_ne_u32_e32 vcc_lo, 1, v76
	s_cbranch_vccnz .LBB274_270
; %bb.269:
	v_lshlrev_b64 v[26:27], 1, v[36:37]
	s_delay_alu instid0(VALU_DEP_1) | instskip(NEXT) | instid1(VALU_DEP_2)
	v_add_co_u32 v26, vcc_lo, v24, v26
	v_add_co_ci_u32_e32 v27, vcc_lo, v25, v27, vcc_lo
	flat_load_u16 v26, v[26:27]
	s_waitcnt vmcnt(0) lgkmcnt(0)
	v_mul_f16_e32 v26, s19, v26
	s_branch .LBB274_271
.LBB274_270:
	v_mov_b32_e32 v26, 0
.LBB274_271:
	v_pk_add_f16 v27, v12, v22
	v_pk_max_f16 v28, v69, v69
	v_pk_add_f16 v29, v13, v23
	s_delay_alu instid0(VALU_DEP_2) | instskip(NEXT) | instid1(VALU_DEP_1)
	v_pk_min_f16 v27, v28, v27
	v_pk_min_f16 v29, v27, v29
	v_lshlrev_b64 v[27:28], 1, v[36:37]
	s_delay_alu instid0(VALU_DEP_2) | instskip(NEXT) | instid1(VALU_DEP_1)
	v_lshrrev_b32_e32 v30, 16, v29
	v_min3_f16 v29, v26, v29, v30
	s_delay_alu instid0(VALU_DEP_3) | instskip(NEXT) | instid1(VALU_DEP_4)
	v_add_co_u32 v26, vcc_lo, v20, v27
	v_add_co_ci_u32_e32 v27, vcc_lo, v21, v28, vcc_lo
	global_store_b16 v[26:27], v29, off
	s_or_b32 exec_lo, exec_lo, s15
	s_and_b32 s16, s3, s8
	s_delay_alu instid0(SALU_CYCLE_1)
	s_and_saveexec_b32 s15, s16
	s_cbranch_execz .LBB274_256
.LBB274_272:
	v_cmp_ne_u32_e32 vcc_lo, 1, v76
	s_cbranch_vccnz .LBB274_274
; %bb.273:
	v_lshlrev_b64 v[26:27], 1, v[38:39]
	s_delay_alu instid0(VALU_DEP_1) | instskip(NEXT) | instid1(VALU_DEP_2)
	v_add_co_u32 v26, vcc_lo, v24, v26
	v_add_co_ci_u32_e32 v27, vcc_lo, v25, v27, vcc_lo
	flat_load_u16 v26, v[26:27]
	s_waitcnt vmcnt(0) lgkmcnt(0)
	v_mul_f16_e32 v26, s19, v26
	s_branch .LBB274_275
.LBB274_274:
	v_mov_b32_e32 v26, 0
.LBB274_275:
	v_pk_add_f16 v27, v14, v22
	v_pk_max_f16 v28, v68, v68
	v_pk_add_f16 v29, v15, v23
	s_delay_alu instid0(VALU_DEP_2) | instskip(NEXT) | instid1(VALU_DEP_1)
	v_pk_min_f16 v27, v28, v27
	v_pk_min_f16 v29, v27, v29
	v_lshlrev_b64 v[27:28], 1, v[38:39]
	s_delay_alu instid0(VALU_DEP_2) | instskip(NEXT) | instid1(VALU_DEP_1)
	v_lshrrev_b32_e32 v30, 16, v29
	v_min3_f16 v29, v26, v29, v30
	s_delay_alu instid0(VALU_DEP_3) | instskip(NEXT) | instid1(VALU_DEP_4)
	v_add_co_u32 v26, vcc_lo, v20, v27
	v_add_co_ci_u32_e32 v27, vcc_lo, v21, v28, vcc_lo
	global_store_b16 v[26:27], v29, off
	s_or_b32 exec_lo, exec_lo, s15
	s_and_b32 s16, s4, s8
	s_delay_alu instid0(SALU_CYCLE_1)
	s_and_saveexec_b32 s15, s16
	s_cbranch_execz .LBB274_257
.LBB274_276:
	v_cmp_ne_u32_e32 vcc_lo, 1, v76
	s_cbranch_vccnz .LBB274_278
; %bb.277:
	v_lshlrev_b64 v[26:27], 1, v[40:41]
	s_delay_alu instid0(VALU_DEP_1) | instskip(NEXT) | instid1(VALU_DEP_2)
	v_add_co_u32 v26, vcc_lo, v24, v26
	v_add_co_ci_u32_e32 v27, vcc_lo, v25, v27, vcc_lo
	flat_load_u16 v26, v[26:27]
	s_waitcnt vmcnt(0) lgkmcnt(0)
	v_mul_f16_e32 v26, s19, v26
	s_branch .LBB274_279
.LBB274_278:
	v_mov_b32_e32 v26, 0
.LBB274_279:
	v_pk_add_f16 v27, v8, v22
	v_pk_max_f16 v28, v67, v67
	v_pk_add_f16 v29, v9, v23
	s_delay_alu instid0(VALU_DEP_2) | instskip(NEXT) | instid1(VALU_DEP_1)
	v_pk_min_f16 v27, v28, v27
	v_pk_min_f16 v29, v27, v29
	v_lshlrev_b64 v[27:28], 1, v[40:41]
	s_delay_alu instid0(VALU_DEP_2) | instskip(NEXT) | instid1(VALU_DEP_1)
	v_lshrrev_b32_e32 v30, 16, v29
	v_min3_f16 v29, v26, v29, v30
	s_delay_alu instid0(VALU_DEP_3) | instskip(NEXT) | instid1(VALU_DEP_4)
	v_add_co_u32 v26, vcc_lo, v20, v27
	v_add_co_ci_u32_e32 v27, vcc_lo, v21, v28, vcc_lo
	global_store_b16 v[26:27], v29, off
	s_or_b32 exec_lo, exec_lo, s15
	s_and_b32 s16, s5, s8
	s_delay_alu instid0(SALU_CYCLE_1)
	s_and_saveexec_b32 s15, s16
	s_cbranch_execz .LBB274_258
.LBB274_280:
	v_cmp_ne_u32_e32 vcc_lo, 1, v76
	s_cbranch_vccnz .LBB274_282
; %bb.281:
	v_lshlrev_b64 v[26:27], 1, v[42:43]
	s_delay_alu instid0(VALU_DEP_1) | instskip(NEXT) | instid1(VALU_DEP_2)
	v_add_co_u32 v26, vcc_lo, v24, v26
	v_add_co_ci_u32_e32 v27, vcc_lo, v25, v27, vcc_lo
	flat_load_u16 v26, v[26:27]
	s_waitcnt vmcnt(0) lgkmcnt(0)
	v_mul_f16_e32 v26, s19, v26
	s_branch .LBB274_283
.LBB274_282:
	v_mov_b32_e32 v26, 0
.LBB274_283:
	v_pk_add_f16 v27, v10, v22
	v_pk_max_f16 v28, v66, v66
	v_pk_add_f16 v29, v11, v23
	s_delay_alu instid0(VALU_DEP_2) | instskip(NEXT) | instid1(VALU_DEP_1)
	v_pk_min_f16 v27, v28, v27
	v_pk_min_f16 v29, v27, v29
	v_lshlrev_b64 v[27:28], 1, v[42:43]
	s_delay_alu instid0(VALU_DEP_2) | instskip(NEXT) | instid1(VALU_DEP_1)
	v_lshrrev_b32_e32 v30, 16, v29
	v_min3_f16 v29, v26, v29, v30
	s_delay_alu instid0(VALU_DEP_3) | instskip(NEXT) | instid1(VALU_DEP_4)
	v_add_co_u32 v26, vcc_lo, v20, v27
	v_add_co_ci_u32_e32 v27, vcc_lo, v21, v28, vcc_lo
	global_store_b16 v[26:27], v29, off
	s_or_b32 exec_lo, exec_lo, s15
	s_and_b32 s16, s6, s8
	s_delay_alu instid0(SALU_CYCLE_1)
	s_and_saveexec_b32 s15, s16
	s_cbranch_execz .LBB274_259
.LBB274_284:
	v_cmp_ne_u32_e32 vcc_lo, 1, v76
	s_cbranch_vccnz .LBB274_286
; %bb.285:
	v_lshlrev_b64 v[26:27], 1, v[44:45]
	s_delay_alu instid0(VALU_DEP_1) | instskip(NEXT) | instid1(VALU_DEP_2)
	v_add_co_u32 v26, vcc_lo, v24, v26
	v_add_co_ci_u32_e32 v27, vcc_lo, v25, v27, vcc_lo
	flat_load_u16 v26, v[26:27]
	s_waitcnt vmcnt(0) lgkmcnt(0)
	v_mul_f16_e32 v26, s19, v26
	s_branch .LBB274_287
.LBB274_286:
	v_mov_b32_e32 v26, 0
.LBB274_287:
	v_pk_add_f16 v27, v0, v22
	v_pk_max_f16 v28, v65, v65
	v_pk_add_f16 v29, v1, v23
	s_delay_alu instid0(VALU_DEP_2) | instskip(NEXT) | instid1(VALU_DEP_1)
	v_pk_min_f16 v27, v28, v27
	v_pk_min_f16 v29, v27, v29
	v_lshlrev_b64 v[27:28], 1, v[44:45]
	s_delay_alu instid0(VALU_DEP_2) | instskip(NEXT) | instid1(VALU_DEP_1)
	v_lshrrev_b32_e32 v30, 16, v29
	v_min3_f16 v29, v26, v29, v30
	s_delay_alu instid0(VALU_DEP_3) | instskip(NEXT) | instid1(VALU_DEP_4)
	v_add_co_u32 v26, vcc_lo, v20, v27
	v_add_co_ci_u32_e32 v27, vcc_lo, v21, v28, vcc_lo
	global_store_b16 v[26:27], v29, off
	s_or_b32 exec_lo, exec_lo, s15
	s_and_b32 s15, s7, s8
	s_delay_alu instid0(SALU_CYCLE_1)
	s_and_saveexec_b32 s8, s15
	s_cbranch_execz .LBB274_292
.LBB274_288:
	v_cmp_ne_u32_e32 vcc_lo, 1, v76
	s_cbranch_vccnz .LBB274_290
; %bb.289:
	v_lshlrev_b64 v[26:27], 1, v[46:47]
	s_delay_alu instid0(VALU_DEP_1) | instskip(NEXT) | instid1(VALU_DEP_2)
	v_add_co_u32 v24, vcc_lo, v24, v26
	v_add_co_ci_u32_e32 v25, vcc_lo, v25, v27, vcc_lo
	flat_load_u16 v24, v[24:25]
	s_waitcnt vmcnt(0) lgkmcnt(0)
	v_mul_f16_e32 v24, s19, v24
	s_branch .LBB274_291
.LBB274_290:
	v_mov_b32_e32 v24, 0
.LBB274_291:
	v_pk_add_f16 v22, v2, v22
	v_pk_max_f16 v25, v64, v64
	v_pk_add_f16 v23, v3, v23
	s_delay_alu instid0(VALU_DEP_2) | instskip(NEXT) | instid1(VALU_DEP_1)
	v_pk_min_f16 v22, v25, v22
	v_pk_min_f16 v25, v22, v23
	v_lshlrev_b64 v[22:23], 1, v[46:47]
	s_delay_alu instid0(VALU_DEP_2) | instskip(NEXT) | instid1(VALU_DEP_2)
	v_lshrrev_b32_e32 v26, 16, v25
	v_add_co_u32 v20, vcc_lo, v20, v22
	s_delay_alu instid0(VALU_DEP_3) | instskip(NEXT) | instid1(VALU_DEP_3)
	v_add_co_ci_u32_e32 v21, vcc_lo, v21, v23, vcc_lo
	v_min3_f16 v24, v24, v25, v26
	global_store_b16 v[20:21], v24, off
.LBB274_292:
	s_or_b32 exec_lo, exec_lo, s8
	v_add_nc_u32_e32 v24, 0xc0, v83
	s_delay_alu instid0(VALU_DEP_1) | instskip(SKIP_2) | instid1(VALU_DEP_3)
	v_mad_i64_i32 v[20:21], null, v24, s14, 0
	v_mad_i64_i32 v[22:23], null, v24, s9, 0
	v_cmp_gt_i32_e64 s8, s17, v24
	v_lshlrev_b64 v[20:21], 1, v[20:21]
	s_delay_alu instid0(VALU_DEP_2) | instskip(NEXT) | instid1(VALU_DEP_3)
	s_and_b32 s16, s0, s8
	v_lshlrev_b64 v[24:25], 1, v[22:23]
	s_delay_alu instid0(VALU_DEP_2) | instskip(NEXT) | instid1(VALU_DEP_3)
	v_add_co_u32 v22, vcc_lo, s12, v20
	v_add_co_ci_u32_e32 v23, vcc_lo, s13, v21, vcc_lo
	s_delay_alu instid0(VALU_DEP_3) | instskip(NEXT) | instid1(VALU_DEP_4)
	v_add_co_u32 v20, vcc_lo, s10, v24
	v_add_co_ci_u32_e32 v21, vcc_lo, s11, v25, vcc_lo
	s_and_saveexec_b32 s15, s16
	s_cbranch_execnz .LBB274_300
; %bb.293:
	s_or_b32 exec_lo, exec_lo, s15
	s_and_b32 s16, s1, s8
	s_delay_alu instid0(SALU_CYCLE_1)
	s_and_saveexec_b32 s15, s16
	s_cbranch_execnz .LBB274_304
.LBB274_294:
	s_or_b32 exec_lo, exec_lo, s15
	s_and_b32 s16, s2, s8
	s_delay_alu instid0(SALU_CYCLE_1)
	s_and_saveexec_b32 s15, s16
	s_cbranch_execnz .LBB274_308
.LBB274_295:
	s_or_b32 exec_lo, exec_lo, s15
	s_and_b32 s16, s3, s8
	s_delay_alu instid0(SALU_CYCLE_1)
	s_and_saveexec_b32 s15, s16
	s_cbranch_execnz .LBB274_312
.LBB274_296:
	s_or_b32 exec_lo, exec_lo, s15
	s_and_b32 s16, s4, s8
	s_delay_alu instid0(SALU_CYCLE_1)
	s_and_saveexec_b32 s15, s16
	s_cbranch_execnz .LBB274_316
.LBB274_297:
	s_or_b32 exec_lo, exec_lo, s15
	s_and_b32 s16, s5, s8
	s_delay_alu instid0(SALU_CYCLE_1)
	s_and_saveexec_b32 s15, s16
	s_cbranch_execnz .LBB274_320
.LBB274_298:
	s_or_b32 exec_lo, exec_lo, s15
	s_and_b32 s16, s6, s8
	s_delay_alu instid0(SALU_CYCLE_1)
	s_and_saveexec_b32 s15, s16
	s_cbranch_execnz .LBB274_324
.LBB274_299:
	s_or_b32 exec_lo, exec_lo, s15
	s_and_b32 s15, s7, s8
	s_delay_alu instid0(SALU_CYCLE_1)
	s_and_saveexec_b32 s8, s15
	s_cbranch_execnz .LBB274_328
	s_branch .LBB274_332
.LBB274_300:
	v_cmp_ne_u32_e32 vcc_lo, 1, v76
	s_cbranch_vccnz .LBB274_302
; %bb.301:
	v_lshlrev_b64 v[24:25], 1, v[32:33]
	s_delay_alu instid0(VALU_DEP_1) | instskip(NEXT) | instid1(VALU_DEP_2)
	v_add_co_u32 v24, vcc_lo, v22, v24
	v_add_co_ci_u32_e32 v25, vcc_lo, v23, v25, vcc_lo
	flat_load_u16 v24, v[24:25]
	s_waitcnt vmcnt(0) lgkmcnt(0)
	v_mul_f16_e32 v24, s19, v24
	s_branch .LBB274_303
.LBB274_302:
	v_mov_b32_e32 v24, 0
.LBB274_303:
	v_pk_add_f16 v25, v16, v4
	v_pk_max_f16 v26, v63, v63
	v_pk_add_f16 v27, v17, v5
	s_delay_alu instid0(VALU_DEP_2) | instskip(NEXT) | instid1(VALU_DEP_1)
	v_pk_min_f16 v25, v26, v25
	v_pk_min_f16 v27, v25, v27
	v_lshlrev_b64 v[25:26], 1, v[32:33]
	s_delay_alu instid0(VALU_DEP_2) | instskip(NEXT) | instid1(VALU_DEP_1)
	v_lshrrev_b32_e32 v28, 16, v27
	v_min3_f16 v27, v24, v27, v28
	s_delay_alu instid0(VALU_DEP_3) | instskip(NEXT) | instid1(VALU_DEP_4)
	v_add_co_u32 v24, vcc_lo, v20, v25
	v_add_co_ci_u32_e32 v25, vcc_lo, v21, v26, vcc_lo
	global_store_b16 v[24:25], v27, off
	s_or_b32 exec_lo, exec_lo, s15
	s_and_b32 s16, s1, s8
	s_delay_alu instid0(SALU_CYCLE_1)
	s_and_saveexec_b32 s15, s16
	s_cbranch_execz .LBB274_294
.LBB274_304:
	v_cmp_ne_u32_e32 vcc_lo, 1, v76
	s_cbranch_vccnz .LBB274_306
; %bb.305:
	v_lshlrev_b64 v[24:25], 1, v[34:35]
	s_delay_alu instid0(VALU_DEP_1) | instskip(NEXT) | instid1(VALU_DEP_2)
	v_add_co_u32 v24, vcc_lo, v22, v24
	v_add_co_ci_u32_e32 v25, vcc_lo, v23, v25, vcc_lo
	flat_load_u16 v24, v[24:25]
	s_waitcnt vmcnt(0) lgkmcnt(0)
	v_mul_f16_e32 v24, s19, v24
	s_branch .LBB274_307
.LBB274_306:
	v_mov_b32_e32 v24, 0
.LBB274_307:
	v_pk_add_f16 v25, v18, v4
	v_pk_max_f16 v26, v62, v62
	v_pk_add_f16 v27, v19, v5
	s_delay_alu instid0(VALU_DEP_2) | instskip(NEXT) | instid1(VALU_DEP_1)
	v_pk_min_f16 v25, v26, v25
	v_pk_min_f16 v27, v25, v27
	v_lshlrev_b64 v[25:26], 1, v[34:35]
	s_delay_alu instid0(VALU_DEP_2) | instskip(NEXT) | instid1(VALU_DEP_1)
	v_lshrrev_b32_e32 v28, 16, v27
	v_min3_f16 v27, v24, v27, v28
	s_delay_alu instid0(VALU_DEP_3) | instskip(NEXT) | instid1(VALU_DEP_4)
	v_add_co_u32 v24, vcc_lo, v20, v25
	v_add_co_ci_u32_e32 v25, vcc_lo, v21, v26, vcc_lo
	global_store_b16 v[24:25], v27, off
	s_or_b32 exec_lo, exec_lo, s15
	s_and_b32 s16, s2, s8
	s_delay_alu instid0(SALU_CYCLE_1)
	s_and_saveexec_b32 s15, s16
	s_cbranch_execz .LBB274_295
.LBB274_308:
	v_cmp_ne_u32_e32 vcc_lo, 1, v76
	s_cbranch_vccnz .LBB274_310
; %bb.309:
	v_lshlrev_b64 v[24:25], 1, v[36:37]
	s_delay_alu instid0(VALU_DEP_1) | instskip(NEXT) | instid1(VALU_DEP_2)
	v_add_co_u32 v24, vcc_lo, v22, v24
	v_add_co_ci_u32_e32 v25, vcc_lo, v23, v25, vcc_lo
	flat_load_u16 v24, v[24:25]
	s_waitcnt vmcnt(0) lgkmcnt(0)
	v_mul_f16_e32 v24, s19, v24
	s_branch .LBB274_311
.LBB274_310:
	v_mov_b32_e32 v24, 0
.LBB274_311:
	v_pk_add_f16 v25, v12, v4
	v_pk_max_f16 v26, v61, v61
	v_pk_add_f16 v27, v13, v5
	s_delay_alu instid0(VALU_DEP_2) | instskip(NEXT) | instid1(VALU_DEP_1)
	v_pk_min_f16 v25, v26, v25
	v_pk_min_f16 v27, v25, v27
	v_lshlrev_b64 v[25:26], 1, v[36:37]
	s_delay_alu instid0(VALU_DEP_2) | instskip(NEXT) | instid1(VALU_DEP_1)
	v_lshrrev_b32_e32 v28, 16, v27
	v_min3_f16 v27, v24, v27, v28
	s_delay_alu instid0(VALU_DEP_3) | instskip(NEXT) | instid1(VALU_DEP_4)
	v_add_co_u32 v24, vcc_lo, v20, v25
	v_add_co_ci_u32_e32 v25, vcc_lo, v21, v26, vcc_lo
	global_store_b16 v[24:25], v27, off
	s_or_b32 exec_lo, exec_lo, s15
	s_and_b32 s16, s3, s8
	s_delay_alu instid0(SALU_CYCLE_1)
	s_and_saveexec_b32 s15, s16
	s_cbranch_execz .LBB274_296
.LBB274_312:
	v_cmp_ne_u32_e32 vcc_lo, 1, v76
	s_cbranch_vccnz .LBB274_314
; %bb.313:
	v_lshlrev_b64 v[24:25], 1, v[38:39]
	s_delay_alu instid0(VALU_DEP_1) | instskip(NEXT) | instid1(VALU_DEP_2)
	v_add_co_u32 v24, vcc_lo, v22, v24
	v_add_co_ci_u32_e32 v25, vcc_lo, v23, v25, vcc_lo
	flat_load_u16 v24, v[24:25]
	s_waitcnt vmcnt(0) lgkmcnt(0)
	v_mul_f16_e32 v24, s19, v24
	s_branch .LBB274_315
.LBB274_314:
	v_mov_b32_e32 v24, 0
.LBB274_315:
	v_pk_add_f16 v25, v14, v4
	v_pk_max_f16 v26, v59, v59
	v_pk_add_f16 v27, v15, v5
	s_delay_alu instid0(VALU_DEP_2) | instskip(NEXT) | instid1(VALU_DEP_1)
	v_pk_min_f16 v25, v26, v25
	v_pk_min_f16 v27, v25, v27
	v_lshlrev_b64 v[25:26], 1, v[38:39]
	s_delay_alu instid0(VALU_DEP_2) | instskip(NEXT) | instid1(VALU_DEP_1)
	v_lshrrev_b32_e32 v28, 16, v27
	v_min3_f16 v27, v24, v27, v28
	s_delay_alu instid0(VALU_DEP_3) | instskip(NEXT) | instid1(VALU_DEP_4)
	v_add_co_u32 v24, vcc_lo, v20, v25
	v_add_co_ci_u32_e32 v25, vcc_lo, v21, v26, vcc_lo
	global_store_b16 v[24:25], v27, off
	s_or_b32 exec_lo, exec_lo, s15
	s_and_b32 s16, s4, s8
	s_delay_alu instid0(SALU_CYCLE_1)
	s_and_saveexec_b32 s15, s16
	s_cbranch_execz .LBB274_297
.LBB274_316:
	v_cmp_ne_u32_e32 vcc_lo, 1, v76
	s_cbranch_vccnz .LBB274_318
; %bb.317:
	v_lshlrev_b64 v[24:25], 1, v[40:41]
	s_delay_alu instid0(VALU_DEP_1) | instskip(NEXT) | instid1(VALU_DEP_2)
	v_add_co_u32 v24, vcc_lo, v22, v24
	v_add_co_ci_u32_e32 v25, vcc_lo, v23, v25, vcc_lo
	flat_load_u16 v24, v[24:25]
	s_waitcnt vmcnt(0) lgkmcnt(0)
	v_mul_f16_e32 v24, s19, v24
	s_branch .LBB274_319
.LBB274_318:
	v_mov_b32_e32 v24, 0
.LBB274_319:
	v_pk_add_f16 v25, v8, v4
	v_pk_max_f16 v26, v57, v57
	v_pk_add_f16 v27, v9, v5
	s_delay_alu instid0(VALU_DEP_2) | instskip(NEXT) | instid1(VALU_DEP_1)
	v_pk_min_f16 v25, v26, v25
	v_pk_min_f16 v27, v25, v27
	v_lshlrev_b64 v[25:26], 1, v[40:41]
	s_delay_alu instid0(VALU_DEP_2) | instskip(NEXT) | instid1(VALU_DEP_1)
	v_lshrrev_b32_e32 v28, 16, v27
	v_min3_f16 v27, v24, v27, v28
	s_delay_alu instid0(VALU_DEP_3) | instskip(NEXT) | instid1(VALU_DEP_4)
	v_add_co_u32 v24, vcc_lo, v20, v25
	v_add_co_ci_u32_e32 v25, vcc_lo, v21, v26, vcc_lo
	global_store_b16 v[24:25], v27, off
	s_or_b32 exec_lo, exec_lo, s15
	s_and_b32 s16, s5, s8
	s_delay_alu instid0(SALU_CYCLE_1)
	s_and_saveexec_b32 s15, s16
	s_cbranch_execz .LBB274_298
.LBB274_320:
	v_cmp_ne_u32_e32 vcc_lo, 1, v76
	s_cbranch_vccnz .LBB274_322
; %bb.321:
	v_lshlrev_b64 v[24:25], 1, v[42:43]
	s_delay_alu instid0(VALU_DEP_1) | instskip(NEXT) | instid1(VALU_DEP_2)
	v_add_co_u32 v24, vcc_lo, v22, v24
	v_add_co_ci_u32_e32 v25, vcc_lo, v23, v25, vcc_lo
	flat_load_u16 v24, v[24:25]
	s_waitcnt vmcnt(0) lgkmcnt(0)
	v_mul_f16_e32 v24, s19, v24
	s_branch .LBB274_323
.LBB274_322:
	v_mov_b32_e32 v24, 0
.LBB274_323:
	v_pk_add_f16 v25, v10, v4
	v_pk_max_f16 v26, v55, v55
	v_pk_add_f16 v27, v11, v5
	s_delay_alu instid0(VALU_DEP_2) | instskip(NEXT) | instid1(VALU_DEP_1)
	v_pk_min_f16 v25, v26, v25
	v_pk_min_f16 v27, v25, v27
	v_lshlrev_b64 v[25:26], 1, v[42:43]
	s_delay_alu instid0(VALU_DEP_2) | instskip(NEXT) | instid1(VALU_DEP_1)
	v_lshrrev_b32_e32 v28, 16, v27
	v_min3_f16 v27, v24, v27, v28
	s_delay_alu instid0(VALU_DEP_3) | instskip(NEXT) | instid1(VALU_DEP_4)
	v_add_co_u32 v24, vcc_lo, v20, v25
	v_add_co_ci_u32_e32 v25, vcc_lo, v21, v26, vcc_lo
	global_store_b16 v[24:25], v27, off
	s_or_b32 exec_lo, exec_lo, s15
	s_and_b32 s16, s6, s8
	s_delay_alu instid0(SALU_CYCLE_1)
	s_and_saveexec_b32 s15, s16
	s_cbranch_execz .LBB274_299
.LBB274_324:
	v_cmp_ne_u32_e32 vcc_lo, 1, v76
	s_cbranch_vccnz .LBB274_326
; %bb.325:
	v_lshlrev_b64 v[24:25], 1, v[44:45]
	s_delay_alu instid0(VALU_DEP_1) | instskip(NEXT) | instid1(VALU_DEP_2)
	v_add_co_u32 v24, vcc_lo, v22, v24
	v_add_co_ci_u32_e32 v25, vcc_lo, v23, v25, vcc_lo
	flat_load_u16 v24, v[24:25]
	s_waitcnt vmcnt(0) lgkmcnt(0)
	v_mul_f16_e32 v24, s19, v24
	s_branch .LBB274_327
.LBB274_326:
	v_mov_b32_e32 v24, 0
.LBB274_327:
	v_pk_add_f16 v25, v0, v4
	v_pk_max_f16 v26, v60, v60
	v_pk_add_f16 v27, v1, v5
	s_delay_alu instid0(VALU_DEP_2) | instskip(NEXT) | instid1(VALU_DEP_1)
	v_pk_min_f16 v25, v26, v25
	v_pk_min_f16 v27, v25, v27
	v_lshlrev_b64 v[25:26], 1, v[44:45]
	s_delay_alu instid0(VALU_DEP_2) | instskip(NEXT) | instid1(VALU_DEP_1)
	v_lshrrev_b32_e32 v28, 16, v27
	v_min3_f16 v27, v24, v27, v28
	s_delay_alu instid0(VALU_DEP_3) | instskip(NEXT) | instid1(VALU_DEP_4)
	v_add_co_u32 v24, vcc_lo, v20, v25
	v_add_co_ci_u32_e32 v25, vcc_lo, v21, v26, vcc_lo
	global_store_b16 v[24:25], v27, off
	s_or_b32 exec_lo, exec_lo, s15
	s_and_b32 s15, s7, s8
	s_delay_alu instid0(SALU_CYCLE_1)
	s_and_saveexec_b32 s8, s15
	s_cbranch_execz .LBB274_332
.LBB274_328:
	v_cmp_ne_u32_e32 vcc_lo, 1, v76
	s_cbranch_vccnz .LBB274_330
; %bb.329:
	v_lshlrev_b64 v[24:25], 1, v[46:47]
	s_delay_alu instid0(VALU_DEP_1) | instskip(NEXT) | instid1(VALU_DEP_2)
	v_add_co_u32 v22, vcc_lo, v22, v24
	v_add_co_ci_u32_e32 v23, vcc_lo, v23, v25, vcc_lo
	flat_load_u16 v22, v[22:23]
	s_waitcnt vmcnt(0) lgkmcnt(0)
	v_mul_f16_e32 v22, s19, v22
	s_branch .LBB274_331
.LBB274_330:
	v_mov_b32_e32 v22, 0
.LBB274_331:
	v_pk_add_f16 v4, v2, v4
	v_pk_max_f16 v23, v58, v58
	v_pk_add_f16 v5, v3, v5
	s_delay_alu instid0(VALU_DEP_2) | instskip(NEXT) | instid1(VALU_DEP_1)
	v_pk_min_f16 v4, v23, v4
	v_pk_min_f16 v23, v4, v5
	v_lshlrev_b64 v[4:5], 1, v[46:47]
	s_delay_alu instid0(VALU_DEP_2) | instskip(NEXT) | instid1(VALU_DEP_2)
	v_lshrrev_b32_e32 v24, 16, v23
	v_add_co_u32 v4, vcc_lo, v20, v4
	s_delay_alu instid0(VALU_DEP_3) | instskip(NEXT) | instid1(VALU_DEP_3)
	v_add_co_ci_u32_e32 v5, vcc_lo, v21, v5, vcc_lo
	v_min3_f16 v22, v22, v23, v24
	global_store_b16 v[4:5], v22, off
.LBB274_332:
	s_or_b32 exec_lo, exec_lo, s8
	v_add_nc_u32_e32 v22, 0xe0, v83
	s_delay_alu instid0(VALU_DEP_1) | instskip(SKIP_2) | instid1(VALU_DEP_3)
	v_mad_i64_i32 v[4:5], null, v22, s14, 0
	v_mad_i64_i32 v[20:21], null, v22, s9, 0
	v_cmp_gt_i32_e64 s8, s17, v22
	v_lshlrev_b64 v[4:5], 1, v[4:5]
	s_delay_alu instid0(VALU_DEP_2) | instskip(NEXT) | instid1(VALU_DEP_3)
	s_and_b32 s9, s0, s8
	v_lshlrev_b64 v[20:21], 1, v[20:21]
	s_delay_alu instid0(VALU_DEP_2) | instskip(NEXT) | instid1(VALU_DEP_3)
	v_add_co_u32 v22, vcc_lo, s12, v4
	v_add_co_ci_u32_e32 v23, vcc_lo, s13, v5, vcc_lo
	s_delay_alu instid0(VALU_DEP_3) | instskip(NEXT) | instid1(VALU_DEP_4)
	v_add_co_u32 v20, vcc_lo, s10, v20
	v_add_co_ci_u32_e32 v21, vcc_lo, s11, v21, vcc_lo
	s_and_saveexec_b32 s0, s9
	s_cbranch_execnz .LBB274_341
; %bb.333:
	s_or_b32 exec_lo, exec_lo, s0
	s_and_b32 s1, s1, s8
	s_delay_alu instid0(SALU_CYCLE_1)
	s_and_saveexec_b32 s0, s1
	s_cbranch_execnz .LBB274_345
.LBB274_334:
	s_or_b32 exec_lo, exec_lo, s0
	s_and_b32 s1, s2, s8
	s_delay_alu instid0(SALU_CYCLE_1)
	s_and_saveexec_b32 s0, s1
	s_cbranch_execnz .LBB274_349
.LBB274_335:
	s_or_b32 exec_lo, exec_lo, s0
	s_and_b32 s1, s3, s8
	s_delay_alu instid0(SALU_CYCLE_1)
	s_and_saveexec_b32 s0, s1
	s_cbranch_execnz .LBB274_353
.LBB274_336:
	s_or_b32 exec_lo, exec_lo, s0
	s_and_b32 s1, s4, s8
	s_delay_alu instid0(SALU_CYCLE_1)
	s_and_saveexec_b32 s0, s1
	s_cbranch_execnz .LBB274_357
.LBB274_337:
	s_or_b32 exec_lo, exec_lo, s0
	s_and_b32 s1, s5, s8
	s_delay_alu instid0(SALU_CYCLE_1)
	s_and_saveexec_b32 s0, s1
	s_cbranch_execnz .LBB274_361
.LBB274_338:
	s_or_b32 exec_lo, exec_lo, s0
	s_and_b32 s1, s6, s8
	s_delay_alu instid0(SALU_CYCLE_1)
	s_and_saveexec_b32 s0, s1
	s_cbranch_execnz .LBB274_365
.LBB274_339:
	s_or_b32 exec_lo, exec_lo, s0
	s_and_b32 s0, s7, s8
	s_delay_alu instid0(SALU_CYCLE_1)
	s_and_saveexec_b32 s1, s0
	s_cbranch_execnz .LBB274_369
.LBB274_340:
	s_nop 0
	s_sendmsg sendmsg(MSG_DEALLOC_VGPRS)
	s_endpgm
.LBB274_341:
	v_cmp_ne_u32_e32 vcc_lo, 1, v76
	v_lshlrev_b64 v[4:5], 1, v[32:33]
	s_cbranch_vccnz .LBB274_343
; %bb.342:
	s_delay_alu instid0(VALU_DEP_1) | instskip(NEXT) | instid1(VALU_DEP_2)
	v_add_co_u32 v24, vcc_lo, v22, v4
	v_add_co_ci_u32_e32 v25, vcc_lo, v23, v5, vcc_lo
	flat_load_u16 v24, v[24:25]
	s_waitcnt vmcnt(0) lgkmcnt(0)
	v_mul_f16_e32 v24, s19, v24
	s_branch .LBB274_344
.LBB274_343:
	v_mov_b32_e32 v24, 0
.LBB274_344:
	v_pk_add_f16 v16, v16, v6
	v_pk_max_f16 v25, v56, v56
	v_pk_add_f16 v17, v17, v7
	v_add_co_u32 v4, vcc_lo, v20, v4
	v_add_co_ci_u32_e32 v5, vcc_lo, v21, v5, vcc_lo
	s_delay_alu instid0(VALU_DEP_4) | instskip(NEXT) | instid1(VALU_DEP_1)
	v_pk_min_f16 v16, v25, v16
	v_pk_min_f16 v16, v16, v17
	s_delay_alu instid0(VALU_DEP_1) | instskip(NEXT) | instid1(VALU_DEP_1)
	v_lshrrev_b32_e32 v17, 16, v16
	v_min3_f16 v16, v24, v16, v17
	global_store_b16 v[4:5], v16, off
	s_or_b32 exec_lo, exec_lo, s0
	s_and_b32 s1, s1, s8
	s_delay_alu instid0(SALU_CYCLE_1)
	s_and_saveexec_b32 s0, s1
	s_cbranch_execz .LBB274_334
.LBB274_345:
	v_cmp_ne_u32_e32 vcc_lo, 1, v76
	v_lshlrev_b64 v[4:5], 1, v[34:35]
	s_cbranch_vccnz .LBB274_347
; %bb.346:
	s_delay_alu instid0(VALU_DEP_1) | instskip(NEXT) | instid1(VALU_DEP_2)
	v_add_co_u32 v16, vcc_lo, v22, v4
	v_add_co_ci_u32_e32 v17, vcc_lo, v23, v5, vcc_lo
	flat_load_u16 v16, v[16:17]
	s_waitcnt vmcnt(0) lgkmcnt(0)
	v_mul_f16_e32 v16, s19, v16
	s_branch .LBB274_348
.LBB274_347:
	v_mov_b32_e32 v16, 0
.LBB274_348:
	v_pk_add_f16 v17, v18, v6
	v_pk_max_f16 v18, v54, v54
	v_pk_add_f16 v19, v19, v7
	v_add_co_u32 v4, vcc_lo, v20, v4
	v_add_co_ci_u32_e32 v5, vcc_lo, v21, v5, vcc_lo
	s_delay_alu instid0(VALU_DEP_4) | instskip(NEXT) | instid1(VALU_DEP_1)
	v_pk_min_f16 v17, v18, v17
	v_pk_min_f16 v17, v17, v19
	s_delay_alu instid0(VALU_DEP_1) | instskip(NEXT) | instid1(VALU_DEP_1)
	v_lshrrev_b32_e32 v18, 16, v17
	v_min3_f16 v16, v16, v17, v18
	global_store_b16 v[4:5], v16, off
	s_or_b32 exec_lo, exec_lo, s0
	s_and_b32 s1, s2, s8
	s_delay_alu instid0(SALU_CYCLE_1)
	s_and_saveexec_b32 s0, s1
	s_cbranch_execz .LBB274_335
.LBB274_349:
	v_cmp_ne_u32_e32 vcc_lo, 1, v76
	v_lshlrev_b64 v[4:5], 1, v[36:37]
	s_cbranch_vccnz .LBB274_351
; %bb.350:
	s_delay_alu instid0(VALU_DEP_1) | instskip(NEXT) | instid1(VALU_DEP_2)
	v_add_co_u32 v16, vcc_lo, v22, v4
	v_add_co_ci_u32_e32 v17, vcc_lo, v23, v5, vcc_lo
	flat_load_u16 v16, v[16:17]
	s_waitcnt vmcnt(0) lgkmcnt(0)
	v_mul_f16_e32 v16, s19, v16
	s_branch .LBB274_352
.LBB274_351:
	v_mov_b32_e32 v16, 0
.LBB274_352:
	v_pk_add_f16 v12, v12, v6
	v_pk_max_f16 v17, v53, v53
	v_pk_add_f16 v13, v13, v7
	v_add_co_u32 v4, vcc_lo, v20, v4
	v_add_co_ci_u32_e32 v5, vcc_lo, v21, v5, vcc_lo
	s_delay_alu instid0(VALU_DEP_4) | instskip(NEXT) | instid1(VALU_DEP_1)
	v_pk_min_f16 v12, v17, v12
	v_pk_min_f16 v12, v12, v13
	s_delay_alu instid0(VALU_DEP_1) | instskip(NEXT) | instid1(VALU_DEP_1)
	v_lshrrev_b32_e32 v13, 16, v12
	v_min3_f16 v12, v16, v12, v13
	global_store_b16 v[4:5], v12, off
	s_or_b32 exec_lo, exec_lo, s0
	s_and_b32 s1, s3, s8
	s_delay_alu instid0(SALU_CYCLE_1)
	s_and_saveexec_b32 s0, s1
	s_cbranch_execz .LBB274_336
.LBB274_353:
	v_cmp_ne_u32_e32 vcc_lo, 1, v76
	v_lshlrev_b64 v[4:5], 1, v[38:39]
	s_cbranch_vccnz .LBB274_355
; %bb.354:
	s_delay_alu instid0(VALU_DEP_1) | instskip(NEXT) | instid1(VALU_DEP_2)
	v_add_co_u32 v12, vcc_lo, v22, v4
	v_add_co_ci_u32_e32 v13, vcc_lo, v23, v5, vcc_lo
	flat_load_u16 v12, v[12:13]
	s_waitcnt vmcnt(0) lgkmcnt(0)
	v_mul_f16_e32 v12, s19, v12
	s_branch .LBB274_356
.LBB274_355:
	v_mov_b32_e32 v12, 0
.LBB274_356:
	v_pk_add_f16 v13, v14, v6
	v_pk_max_f16 v14, v52, v52
	v_pk_add_f16 v15, v15, v7
	v_add_co_u32 v4, vcc_lo, v20, v4
	v_add_co_ci_u32_e32 v5, vcc_lo, v21, v5, vcc_lo
	s_delay_alu instid0(VALU_DEP_4) | instskip(NEXT) | instid1(VALU_DEP_1)
	v_pk_min_f16 v13, v14, v13
	v_pk_min_f16 v13, v13, v15
	s_delay_alu instid0(VALU_DEP_1) | instskip(NEXT) | instid1(VALU_DEP_1)
	v_lshrrev_b32_e32 v14, 16, v13
	v_min3_f16 v12, v12, v13, v14
	global_store_b16 v[4:5], v12, off
	s_or_b32 exec_lo, exec_lo, s0
	s_and_b32 s1, s4, s8
	s_delay_alu instid0(SALU_CYCLE_1)
	s_and_saveexec_b32 s0, s1
	s_cbranch_execz .LBB274_337
.LBB274_357:
	v_cmp_ne_u32_e32 vcc_lo, 1, v76
	v_lshlrev_b64 v[4:5], 1, v[40:41]
	s_cbranch_vccnz .LBB274_359
; %bb.358:
	s_delay_alu instid0(VALU_DEP_1) | instskip(NEXT) | instid1(VALU_DEP_2)
	v_add_co_u32 v12, vcc_lo, v22, v4
	v_add_co_ci_u32_e32 v13, vcc_lo, v23, v5, vcc_lo
	flat_load_u16 v12, v[12:13]
	s_waitcnt vmcnt(0) lgkmcnt(0)
	v_mul_f16_e32 v12, s19, v12
	s_branch .LBB274_360
.LBB274_359:
	v_mov_b32_e32 v12, 0
.LBB274_360:
	v_pk_add_f16 v8, v8, v6
	v_pk_max_f16 v13, v51, v51
	v_pk_add_f16 v9, v9, v7
	v_add_co_u32 v4, vcc_lo, v20, v4
	v_add_co_ci_u32_e32 v5, vcc_lo, v21, v5, vcc_lo
	s_delay_alu instid0(VALU_DEP_4) | instskip(NEXT) | instid1(VALU_DEP_1)
	v_pk_min_f16 v8, v13, v8
	v_pk_min_f16 v8, v8, v9
	s_delay_alu instid0(VALU_DEP_1) | instskip(NEXT) | instid1(VALU_DEP_1)
	v_lshrrev_b32_e32 v9, 16, v8
	v_min3_f16 v8, v12, v8, v9
	global_store_b16 v[4:5], v8, off
	s_or_b32 exec_lo, exec_lo, s0
	s_and_b32 s1, s5, s8
	s_delay_alu instid0(SALU_CYCLE_1)
	s_and_saveexec_b32 s0, s1
	s_cbranch_execz .LBB274_338
.LBB274_361:
	v_cmp_ne_u32_e32 vcc_lo, 1, v76
	v_lshlrev_b64 v[4:5], 1, v[42:43]
	s_cbranch_vccnz .LBB274_363
; %bb.362:
	s_delay_alu instid0(VALU_DEP_1) | instskip(NEXT) | instid1(VALU_DEP_2)
	v_add_co_u32 v8, vcc_lo, v22, v4
	v_add_co_ci_u32_e32 v9, vcc_lo, v23, v5, vcc_lo
	flat_load_u16 v8, v[8:9]
	s_waitcnt vmcnt(0) lgkmcnt(0)
	v_mul_f16_e32 v8, s19, v8
	s_branch .LBB274_364
.LBB274_363:
	v_mov_b32_e32 v8, 0
.LBB274_364:
	v_pk_add_f16 v9, v10, v6
	v_pk_max_f16 v10, v50, v50
	v_pk_add_f16 v11, v11, v7
	v_add_co_u32 v4, vcc_lo, v20, v4
	v_add_co_ci_u32_e32 v5, vcc_lo, v21, v5, vcc_lo
	s_delay_alu instid0(VALU_DEP_4) | instskip(NEXT) | instid1(VALU_DEP_1)
	v_pk_min_f16 v9, v10, v9
	v_pk_min_f16 v9, v9, v11
	s_delay_alu instid0(VALU_DEP_1) | instskip(NEXT) | instid1(VALU_DEP_1)
	v_lshrrev_b32_e32 v10, 16, v9
	v_min3_f16 v8, v8, v9, v10
	global_store_b16 v[4:5], v8, off
	s_or_b32 exec_lo, exec_lo, s0
	s_and_b32 s1, s6, s8
	s_delay_alu instid0(SALU_CYCLE_1)
	s_and_saveexec_b32 s0, s1
	s_cbranch_execz .LBB274_339
.LBB274_365:
	v_cmp_ne_u32_e32 vcc_lo, 1, v76
	v_lshlrev_b64 v[4:5], 1, v[44:45]
	s_cbranch_vccnz .LBB274_367
; %bb.366:
	s_delay_alu instid0(VALU_DEP_1) | instskip(NEXT) | instid1(VALU_DEP_2)
	v_add_co_u32 v8, vcc_lo, v22, v4
	v_add_co_ci_u32_e32 v9, vcc_lo, v23, v5, vcc_lo
	flat_load_u16 v8, v[8:9]
	s_waitcnt vmcnt(0) lgkmcnt(0)
	v_mul_f16_e32 v8, s19, v8
	s_branch .LBB274_368
.LBB274_367:
	v_mov_b32_e32 v8, 0
.LBB274_368:
	v_pk_add_f16 v0, v0, v6
	v_pk_max_f16 v9, v49, v49
	v_pk_add_f16 v1, v1, v7
	s_delay_alu instid0(VALU_DEP_2) | instskip(NEXT) | instid1(VALU_DEP_1)
	v_pk_min_f16 v0, v9, v0
	v_pk_min_f16 v0, v0, v1
	s_delay_alu instid0(VALU_DEP_1) | instskip(NEXT) | instid1(VALU_DEP_1)
	v_lshrrev_b32_e32 v1, 16, v0
	v_min3_f16 v8, v8, v0, v1
	v_add_co_u32 v0, vcc_lo, v20, v4
	v_add_co_ci_u32_e32 v1, vcc_lo, v21, v5, vcc_lo
	global_store_b16 v[0:1], v8, off
	s_or_b32 exec_lo, exec_lo, s0
	s_and_b32 s0, s7, s8
	s_delay_alu instid0(SALU_CYCLE_1)
	s_and_saveexec_b32 s1, s0
	s_cbranch_execz .LBB274_340
.LBB274_369:
	v_cmp_ne_u32_e32 vcc_lo, 1, v76
	v_lshlrev_b64 v[0:1], 1, v[46:47]
	s_cbranch_vccnz .LBB274_371
; %bb.370:
	s_delay_alu instid0(VALU_DEP_1) | instskip(NEXT) | instid1(VALU_DEP_2)
	v_add_co_u32 v4, vcc_lo, v22, v0
	v_add_co_ci_u32_e32 v5, vcc_lo, v23, v1, vcc_lo
	flat_load_u16 v4, v[4:5]
	s_waitcnt vmcnt(0) lgkmcnt(0)
	v_mul_f16_e32 v4, s19, v4
	s_branch .LBB274_372
.LBB274_371:
	v_mov_b32_e32 v4, 0
.LBB274_372:
	v_pk_add_f16 v2, v2, v6
	v_pk_max_f16 v5, v48, v48
	v_pk_add_f16 v3, v3, v7
	v_add_co_u32 v0, vcc_lo, v20, v0
	v_add_co_ci_u32_e32 v1, vcc_lo, v21, v1, vcc_lo
	s_delay_alu instid0(VALU_DEP_4) | instskip(NEXT) | instid1(VALU_DEP_1)
	v_pk_min_f16 v2, v5, v2
	v_pk_min_f16 v2, v2, v3
	s_delay_alu instid0(VALU_DEP_1) | instskip(NEXT) | instid1(VALU_DEP_1)
	v_lshrrev_b32_e32 v3, 16, v2
	v_min3_f16 v2, v4, v2, v3
	global_store_b16 v[0:1], v2, off
	s_nop 0
	s_sendmsg sendmsg(MSG_DEALLOC_VGPRS)
	s_endpgm
	.section	.rodata,"a",@progbits
	.p2align	6, 0x0
	.amdhsa_kernel _ZN12_GLOBAL__N_120geam_min_plus_kernelIDF16_Dv2_DF16_S1_Li8ELi32ELi64ELi256ELi4ELi64ELi4ELi64ELi4ELc78ELc84ELb1ELb1ELb1EDF16_KDF16_DF16_EEviiiT16_PT17_ilS5_ilS3_S5_ilPT18_ili26rocblas_geam_ex_operation_
		.amdhsa_group_segment_fixed_size 5120
		.amdhsa_private_segment_fixed_size 0
		.amdhsa_kernarg_size 128
		.amdhsa_user_sgpr_count 14
		.amdhsa_user_sgpr_dispatch_ptr 0
		.amdhsa_user_sgpr_queue_ptr 0
		.amdhsa_user_sgpr_kernarg_segment_ptr 1
		.amdhsa_user_sgpr_dispatch_id 0
		.amdhsa_user_sgpr_private_segment_size 0
		.amdhsa_wavefront_size32 1
		.amdhsa_uses_dynamic_stack 0
		.amdhsa_enable_private_segment 0
		.amdhsa_system_sgpr_workgroup_id_x 1
		.amdhsa_system_sgpr_workgroup_id_y 0
		.amdhsa_system_sgpr_workgroup_id_z 1
		.amdhsa_system_sgpr_workgroup_info 0
		.amdhsa_system_vgpr_workitem_id 1
		.amdhsa_next_free_vgpr 153
		.amdhsa_next_free_sgpr 30
		.amdhsa_reserve_vcc 1
		.amdhsa_float_round_mode_32 0
		.amdhsa_float_round_mode_16_64 0
		.amdhsa_float_denorm_mode_32 3
		.amdhsa_float_denorm_mode_16_64 3
		.amdhsa_dx10_clamp 1
		.amdhsa_ieee_mode 1
		.amdhsa_fp16_overflow 0
		.amdhsa_workgroup_processor_mode 1
		.amdhsa_memory_ordered 1
		.amdhsa_forward_progress 0
		.amdhsa_shared_vgpr_count 0
		.amdhsa_exception_fp_ieee_invalid_op 0
		.amdhsa_exception_fp_denorm_src 0
		.amdhsa_exception_fp_ieee_div_zero 0
		.amdhsa_exception_fp_ieee_overflow 0
		.amdhsa_exception_fp_ieee_underflow 0
		.amdhsa_exception_fp_ieee_inexact 0
		.amdhsa_exception_int_div_zero 0
	.end_amdhsa_kernel
	.section	.text._ZN12_GLOBAL__N_120geam_min_plus_kernelIDF16_Dv2_DF16_S1_Li8ELi32ELi64ELi256ELi4ELi64ELi4ELi64ELi4ELc78ELc84ELb1ELb1ELb1EDF16_KDF16_DF16_EEviiiT16_PT17_ilS5_ilS3_S5_ilPT18_ili26rocblas_geam_ex_operation_,"axG",@progbits,_ZN12_GLOBAL__N_120geam_min_plus_kernelIDF16_Dv2_DF16_S1_Li8ELi32ELi64ELi256ELi4ELi64ELi4ELi64ELi4ELc78ELc84ELb1ELb1ELb1EDF16_KDF16_DF16_EEviiiT16_PT17_ilS5_ilS3_S5_ilPT18_ili26rocblas_geam_ex_operation_,comdat
.Lfunc_end274:
	.size	_ZN12_GLOBAL__N_120geam_min_plus_kernelIDF16_Dv2_DF16_S1_Li8ELi32ELi64ELi256ELi4ELi64ELi4ELi64ELi4ELc78ELc84ELb1ELb1ELb1EDF16_KDF16_DF16_EEviiiT16_PT17_ilS5_ilS3_S5_ilPT18_ili26rocblas_geam_ex_operation_, .Lfunc_end274-_ZN12_GLOBAL__N_120geam_min_plus_kernelIDF16_Dv2_DF16_S1_Li8ELi32ELi64ELi256ELi4ELi64ELi4ELi64ELi4ELc78ELc84ELb1ELb1ELb1EDF16_KDF16_DF16_EEviiiT16_PT17_ilS5_ilS3_S5_ilPT18_ili26rocblas_geam_ex_operation_
                                        ; -- End function
	.section	.AMDGPU.csdata,"",@progbits
; Kernel info:
; codeLenInByte = 22924
; NumSgprs: 32
; NumVgprs: 153
; ScratchSize: 0
; MemoryBound: 0
; FloatMode: 240
; IeeeMode: 1
; LDSByteSize: 5120 bytes/workgroup (compile time only)
; SGPRBlocks: 3
; VGPRBlocks: 19
; NumSGPRsForWavesPerEU: 32
; NumVGPRsForWavesPerEU: 153
; Occupancy: 9
; WaveLimiterHint : 0
; COMPUTE_PGM_RSRC2:SCRATCH_EN: 0
; COMPUTE_PGM_RSRC2:USER_SGPR: 14
; COMPUTE_PGM_RSRC2:TRAP_HANDLER: 0
; COMPUTE_PGM_RSRC2:TGID_X_EN: 1
; COMPUTE_PGM_RSRC2:TGID_Y_EN: 0
; COMPUTE_PGM_RSRC2:TGID_Z_EN: 1
; COMPUTE_PGM_RSRC2:TIDIG_COMP_CNT: 1
	.section	.text._ZN12_GLOBAL__N_120geam_min_plus_kernelIDF16_Dv2_DF16_S1_Li8ELi32ELi64ELi256ELi4ELi64ELi4ELi64ELi4ELc78ELc84ELb0ELb1ELb1EDF16_KDF16_DF16_EEviiiT16_PT17_ilS5_ilS3_S5_ilPT18_ili26rocblas_geam_ex_operation_,"axG",@progbits,_ZN12_GLOBAL__N_120geam_min_plus_kernelIDF16_Dv2_DF16_S1_Li8ELi32ELi64ELi256ELi4ELi64ELi4ELi64ELi4ELc78ELc84ELb0ELb1ELb1EDF16_KDF16_DF16_EEviiiT16_PT17_ilS5_ilS3_S5_ilPT18_ili26rocblas_geam_ex_operation_,comdat
	.globl	_ZN12_GLOBAL__N_120geam_min_plus_kernelIDF16_Dv2_DF16_S1_Li8ELi32ELi64ELi256ELi4ELi64ELi4ELi64ELi4ELc78ELc84ELb0ELb1ELb1EDF16_KDF16_DF16_EEviiiT16_PT17_ilS5_ilS3_S5_ilPT18_ili26rocblas_geam_ex_operation_ ; -- Begin function _ZN12_GLOBAL__N_120geam_min_plus_kernelIDF16_Dv2_DF16_S1_Li8ELi32ELi64ELi256ELi4ELi64ELi4ELi64ELi4ELc78ELc84ELb0ELb1ELb1EDF16_KDF16_DF16_EEviiiT16_PT17_ilS5_ilS3_S5_ilPT18_ili26rocblas_geam_ex_operation_
	.p2align	8
	.type	_ZN12_GLOBAL__N_120geam_min_plus_kernelIDF16_Dv2_DF16_S1_Li8ELi32ELi64ELi256ELi4ELi64ELi4ELi64ELi4ELc78ELc84ELb0ELb1ELb1EDF16_KDF16_DF16_EEviiiT16_PT17_ilS5_ilS3_S5_ilPT18_ili26rocblas_geam_ex_operation_,@function
_ZN12_GLOBAL__N_120geam_min_plus_kernelIDF16_Dv2_DF16_S1_Li8ELi32ELi64ELi256ELi4ELi64ELi4ELi64ELi4ELc78ELc84ELb0ELb1ELb1EDF16_KDF16_DF16_EEviiiT16_PT17_ilS5_ilS3_S5_ilPT18_ili26rocblas_geam_ex_operation_: ; @_ZN12_GLOBAL__N_120geam_min_plus_kernelIDF16_Dv2_DF16_S1_Li8ELi32ELi64ELi256ELi4ELi64ELi4ELi64ELi4ELc78ELc84ELb0ELb1ELb1EDF16_KDF16_DF16_EEviiiT16_PT17_ilS5_ilS3_S5_ilPT18_ili26rocblas_geam_ex_operation_
; %bb.0:
	s_clause 0x1
	s_load_b128 s[16:19], s[0:1], 0x0
	s_load_b128 s[4:7], s[0:1], 0x20
	s_mov_b64 s[22:23], 0
	s_waitcnt lgkmcnt(0)
	v_cmp_eq_f16_e64 s27, s19, 0
	v_cmp_neq_f16_e64 s2, s19, 0
	s_delay_alu instid0(VALU_DEP_2)
	s_and_b32 vcc_lo, exec_lo, s27
	s_cbranch_vccnz .LBB275_2
; %bb.1:
	s_load_b64 s[8:9], s[0:1], 0x10
	s_mul_i32 s3, s15, s5
	s_mul_hi_u32 s5, s15, s4
	s_mul_i32 s4, s15, s4
	s_add_i32 s5, s5, s3
	s_delay_alu instid0(SALU_CYCLE_1)
	s_lshl_b64 s[4:5], s[4:5], 1
	s_waitcnt lgkmcnt(0)
	s_add_u32 s22, s8, s4
	s_addc_u32 s23, s9, s5
.LBB275_2:
	s_delay_alu instid0(VALU_DEP_1)
	s_and_b32 vcc_lo, exec_lo, s2
	s_cbranch_vccz .LBB275_4
; %bb.3:
	s_load_b64 s[2:3], s[0:1], 0x38
	s_mov_b32 s26, 0
	s_waitcnt lgkmcnt(0)
	s_mul_i32 s3, s15, s3
	s_mul_hi_u32 s4, s15, s2
	s_mul_i32 s2, s15, s2
	s_add_i32 s3, s4, s3
	s_delay_alu instid0(SALU_CYCLE_1) | instskip(NEXT) | instid1(SALU_CYCLE_1)
	s_lshl_b64 s[2:3], s[2:3], 1
	s_add_u32 s20, s6, s2
	s_addc_u32 s21, s7, s3
	s_cbranch_execz .LBB275_5
	s_branch .LBB275_6
.LBB275_4:
	s_mov_b32 s26, -1
                                        ; implicit-def: $sgpr20_sgpr21
.LBB275_5:
	s_mov_b32 s26, 0
	s_mov_b64 s[20:21], 0
.LBB275_6:
	s_clause 0x1
	s_load_b32 s24, s[0:1], 0x40
	s_load_b128 s[8:11], s[0:1], 0x58
	s_waitcnt lgkmcnt(0)
	v_cmp_eq_f16_e64 s2, s24, 0
	v_cmp_neq_f16_e64 s25, s24, 0
	s_delay_alu instid0(VALU_DEP_2)
	s_and_b32 vcc_lo, exec_lo, s2
	s_cbranch_vccnz .LBB275_8
; %bb.7:
	s_load_b64 s[2:3], s[0:1], 0x48
	s_mul_i32 s4, s15, s9
	s_mul_hi_u32 s5, s15, s8
	s_delay_alu instid0(SALU_CYCLE_1) | instskip(SKIP_1) | instid1(SALU_CYCLE_1)
	s_add_i32 s4, s5, s4
	s_mul_i32 s5, s26, s8
	s_add_i32 s5, s4, s5
	s_mul_i32 s4, s15, s8
	s_delay_alu instid0(SALU_CYCLE_1)
	s_lshl_b64 s[4:5], s[4:5], 1
	s_waitcnt lgkmcnt(0)
	s_add_u32 s12, s2, s4
	s_addc_u32 s13, s3, s5
	s_branch .LBB275_9
.LBB275_8:
	s_mov_b64 s[12:13], 0
.LBB275_9:
	s_add_i32 s2, s16, -1
	s_load_b32 s8, s[0:1], 0x18
	s_ashr_i32 s3, s2, 31
	v_and_b32_e32 v44, 0x3ff, v0
	s_lshr_b32 s3, s3, 26
	v_bfe_u32 v45, v0, 10, 10
	s_add_i32 s3, s2, s3
	s_delay_alu instid0(SALU_CYCLE_1) | instskip(NEXT) | instid1(SALU_CYCLE_1)
	s_ashr_i32 s3, s3, 6
	s_add_i32 s4, s3, 1
	s_not_b32 s3, s3
	v_cvt_f32_u32_e32 v1, s4
	s_delay_alu instid0(VALU_DEP_1) | instskip(SKIP_4) | instid1(VALU_DEP_1)
	v_rcp_iflag_f32_e32 v1, v1
	s_waitcnt lgkmcnt(0)
	s_ashr_i32 s9, s8, 31
	s_waitcnt_depctr 0xfff
	v_mul_f32_e32 v1, 0x4f7ffffe, v1
	v_cvt_u32_f32_e32 v1, v1
	s_delay_alu instid0(VALU_DEP_1) | instskip(SKIP_1) | instid1(VALU_DEP_2)
	v_readfirstlane_b32 s5, v1
	v_lshl_add_u32 v1, v45, 3, v44
	s_mul_i32 s3, s3, s5
	s_delay_alu instid0(VALU_DEP_1) | instskip(SKIP_3) | instid1(SALU_CYCLE_1)
	v_and_b32_e32 v0, 63, v1
	s_mul_hi_u32 s3, s5, s3
	v_lshrrev_b32_e32 v46, 6, v1
	s_add_i32 s5, s5, s3
	s_mul_hi_u32 s3, s14, s5
	s_delay_alu instid0(SALU_CYCLE_1) | instskip(SKIP_2) | instid1(SALU_CYCLE_1)
	s_mul_i32 s5, s3, s4
	s_add_i32 s6, s3, 1
	s_sub_i32 s5, s14, s5
	s_sub_i32 s7, s5, s4
	s_cmp_ge_u32 s5, s4
	s_cselect_b32 s3, s6, s3
	s_cselect_b32 s5, s7, s5
	s_add_i32 s6, s3, 1
	s_cmp_ge_u32 s5, s4
	s_cselect_b32 s3, s6, s3
	s_add_i32 s29, s18, -1
	s_mul_i32 s4, s3, s4
	v_cmp_le_i32_e64 s6, s18, v46
	s_sub_i32 s4, s14, s4
	v_min_i32_e32 v2, s29, v46
	s_lshl_b32 s14, s4, 6
	s_delay_alu instid0(SALU_CYCLE_1) | instskip(NEXT) | instid1(VALU_DEP_2)
	v_or_b32_e32 v1, s14, v0
	v_ashrrev_i32_e32 v3, 31, v2
	s_delay_alu instid0(VALU_DEP_2) | instskip(SKIP_2) | instid1(VALU_DEP_1)
	v_cmp_le_i32_e32 vcc_lo, s16, v1
	v_min_i32_e32 v20, s2, v1
                                        ; implicit-def: $vgpr1
	s_or_b32 s4, vcc_lo, s6
	v_ashrrev_i32_e32 v21, 31, v20
	s_or_b32 s2, s27, s4
	s_delay_alu instid0(SALU_CYCLE_1) | instskip(NEXT) | instid1(SALU_CYCLE_1)
	s_xor_b32 s2, s2, -1
	s_and_saveexec_b32 s5, s2
	s_delay_alu instid0(SALU_CYCLE_1)
	s_xor_b32 s5, exec_lo, s5
	s_cbranch_execz .LBB275_11
; %bb.10:
	v_mad_i64_i32 v[4:5], null, s8, v2, 0
	v_lshlrev_b64 v[6:7], 1, v[20:21]
	s_delay_alu instid0(VALU_DEP_2) | instskip(NEXT) | instid1(VALU_DEP_1)
	v_lshlrev_b64 v[4:5], 1, v[4:5]
	v_add_co_u32 v1, s2, s22, v4
	s_delay_alu instid0(VALU_DEP_1) | instskip(NEXT) | instid1(VALU_DEP_2)
	v_add_co_ci_u32_e64 v5, s2, s23, v5, s2
	v_add_co_u32 v4, s2, v1, v6
	s_delay_alu instid0(VALU_DEP_1)
	v_add_co_ci_u32_e64 v5, s2, v5, v7, s2
	flat_load_u16 v1, v[4:5]
	s_waitcnt vmcnt(0) lgkmcnt(0)
	v_mul_f16_e32 v1, s19, v1
.LBB275_11:
	s_and_not1_saveexec_b32 s2, s5
; %bb.12:
	v_cndmask_b32_e64 v1, 0, 0x7c00, s4
; %bb.13:
	s_or_b32 exec_lo, exec_lo, s2
	s_load_b32 s30, s[0:1], 0x30
	s_lshl_b32 s28, s3, 8
	s_delay_alu instid0(SALU_CYCLE_1) | instskip(NEXT) | instid1(VALU_DEP_1)
	v_or_b32_e32 v22, s28, v0
	v_cmp_le_i32_e64 s2, s17, v22
	v_ashrrev_i32_e32 v23, 31, v22
	s_delay_alu instid0(VALU_DEP_2)
	s_or_b32 s4, s2, s6
	s_waitcnt lgkmcnt(0)
	s_ashr_i32 s31, s30, 31
	v_mul_lo_u32 v5, v3, s30
	v_mad_u64_u32 v[3:4], null, v2, s30, 0
	v_mul_lo_u32 v2, v2, s31
	s_delay_alu instid0(VALU_DEP_1) | instskip(SKIP_1) | instid1(VALU_DEP_2)
	v_add3_u32 v4, v4, v2, v5
	v_cndmask_b32_e64 v2, 0, 0x7c00, s4
	v_lshlrev_b64 v[3:4], 1, v[3:4]
	s_delay_alu instid0(VALU_DEP_1) | instskip(NEXT) | instid1(VALU_DEP_1)
	v_add_co_u32 v6, s3, s20, v3
	v_add_co_ci_u32_e64 v7, s3, s21, v4, s3
	s_or_b32 s3, s27, s4
	s_delay_alu instid0(SALU_CYCLE_1) | instskip(NEXT) | instid1(SALU_CYCLE_1)
	s_xor_b32 s3, s3, -1
	s_and_saveexec_b32 s4, s3
	s_cbranch_execz .LBB275_15
; %bb.14:
	v_lshlrev_b64 v[2:3], 1, v[22:23]
	s_delay_alu instid0(VALU_DEP_1) | instskip(NEXT) | instid1(VALU_DEP_1)
	v_add_co_u32 v2, s3, v6, v2
	v_add_co_ci_u32_e64 v3, s3, v7, v3, s3
	flat_load_u16 v2, v[2:3]
	s_waitcnt vmcnt(0) lgkmcnt(0)
	v_mul_f16_e32 v2, s19, v2
.LBB275_15:
	s_or_b32 exec_lo, exec_lo, s4
	v_or_b32_e32 v3, 64, v22
	s_add_i32 s7, s17, -1
	s_delay_alu instid0(VALU_DEP_1) | instskip(SKIP_1) | instid1(VALU_DEP_2)
	v_cmp_le_i32_e64 s3, s17, v3
	v_min_i32_e32 v24, s7, v3
	s_or_b32 s4, s3, s6
	s_delay_alu instid0(VALU_DEP_1) | instskip(SKIP_2) | instid1(SALU_CYCLE_1)
	v_ashrrev_i32_e32 v25, 31, v24
	v_cndmask_b32_e64 v3, 0, 0x7c00, s4
	s_or_b32 s4, s27, s4
	s_xor_b32 s4, s4, -1
	s_delay_alu instid0(SALU_CYCLE_1)
	s_and_saveexec_b32 s5, s4
	s_cbranch_execz .LBB275_17
; %bb.16:
	v_lshlrev_b64 v[3:4], 1, v[24:25]
	s_delay_alu instid0(VALU_DEP_1) | instskip(NEXT) | instid1(VALU_DEP_1)
	v_add_co_u32 v3, s4, v6, v3
	v_add_co_ci_u32_e64 v4, s4, v7, v4, s4
	flat_load_u16 v3, v[3:4]
	s_waitcnt vmcnt(0) lgkmcnt(0)
	v_mul_f16_e32 v3, s19, v3
.LBB275_17:
	s_or_b32 exec_lo, exec_lo, s5
	v_or_b32_e32 v4, 0x80, v22
	s_delay_alu instid0(VALU_DEP_1) | instskip(SKIP_1) | instid1(VALU_DEP_2)
	v_cmp_le_i32_e64 s4, s17, v4
	v_min_i32_e32 v26, s7, v4
	s_or_b32 s5, s4, s6
	s_delay_alu instid0(VALU_DEP_1) | instskip(SKIP_2) | instid1(SALU_CYCLE_1)
	v_ashrrev_i32_e32 v27, 31, v26
	v_cndmask_b32_e64 v4, 0, 0x7c00, s5
	s_or_b32 s5, s27, s5
	s_xor_b32 s5, s5, -1
	s_delay_alu instid0(SALU_CYCLE_1)
	s_and_saveexec_b32 s33, s5
	s_cbranch_execz .LBB275_19
; %bb.18:
	v_lshlrev_b64 v[4:5], 1, v[26:27]
	s_delay_alu instid0(VALU_DEP_1) | instskip(NEXT) | instid1(VALU_DEP_1)
	v_add_co_u32 v4, s5, v6, v4
	v_add_co_ci_u32_e64 v5, s5, v7, v5, s5
	flat_load_u16 v4, v[4:5]
	s_waitcnt vmcnt(0) lgkmcnt(0)
	v_mul_f16_e32 v4, s19, v4
.LBB275_19:
	s_or_b32 exec_lo, exec_lo, s33
	v_or_b32_e32 v5, 0xc0, v22
	s_delay_alu instid0(VALU_DEP_1) | instskip(SKIP_1) | instid1(VALU_DEP_2)
	v_cmp_le_i32_e64 s5, s17, v5
	v_min_i32_e32 v28, s7, v5
	s_or_b32 s6, s5, s6
	s_delay_alu instid0(VALU_DEP_1) | instskip(SKIP_2) | instid1(SALU_CYCLE_1)
	v_ashrrev_i32_e32 v29, 31, v28
	v_cndmask_b32_e64 v5, 0, 0x7c00, s6
	s_or_b32 s6, s27, s6
	s_xor_b32 s6, s6, -1
	s_delay_alu instid0(SALU_CYCLE_1)
	s_and_saveexec_b32 s7, s6
	s_cbranch_execz .LBB275_21
; %bb.20:
	v_lshlrev_b64 v[8:9], 1, v[28:29]
	s_delay_alu instid0(VALU_DEP_1) | instskip(NEXT) | instid1(VALU_DEP_1)
	v_add_co_u32 v5, s6, v6, v8
	v_add_co_ci_u32_e64 v6, s6, v7, v9, s6
	flat_load_u16 v5, v[5:6]
	s_waitcnt vmcnt(0) lgkmcnt(0)
	v_mul_f16_e32 v5, s19, v5
.LBB275_21:
	s_or_b32 exec_lo, exec_lo, s7
	v_add_nc_u32_e32 v6, 4, v46
                                        ; implicit-def: $vgpr30
	s_delay_alu instid0(VALU_DEP_1) | instskip(SKIP_1) | instid1(VALU_DEP_2)
	v_cmp_le_i32_e64 s6, s18, v6
	v_min_i32_e32 v6, s29, v6
	s_or_b32 s33, vcc_lo, s6
	s_delay_alu instid0(VALU_DEP_1) | instskip(SKIP_1) | instid1(SALU_CYCLE_1)
	v_ashrrev_i32_e32 v7, 31, v6
	s_or_b32 s7, s27, s33
	s_xor_b32 s7, s7, -1
	s_delay_alu instid0(SALU_CYCLE_1) | instskip(NEXT) | instid1(SALU_CYCLE_1)
	s_and_saveexec_b32 s34, s7
	s_xor_b32 s34, exec_lo, s34
	s_cbranch_execz .LBB275_23
; %bb.22:
	v_mad_i64_i32 v[8:9], null, s8, v6, 0
	v_lshlrev_b64 v[10:11], 1, v[20:21]
	s_delay_alu instid0(VALU_DEP_2) | instskip(NEXT) | instid1(VALU_DEP_1)
	v_lshlrev_b64 v[8:9], 1, v[8:9]
	v_add_co_u32 v8, s7, s22, v8
	s_delay_alu instid0(VALU_DEP_1) | instskip(NEXT) | instid1(VALU_DEP_2)
	v_add_co_ci_u32_e64 v9, s7, s23, v9, s7
	v_add_co_u32 v8, s7, v8, v10
	s_delay_alu instid0(VALU_DEP_1)
	v_add_co_ci_u32_e64 v9, s7, v9, v11, s7
	flat_load_u16 v8, v[8:9]
	s_waitcnt vmcnt(0) lgkmcnt(0)
	v_mul_f16_e32 v30, s19, v8
.LBB275_23:
	s_and_not1_saveexec_b32 s7, s34
; %bb.24:
	v_cndmask_b32_e64 v30, 0, 0x7c00, s33
; %bb.25:
	s_or_b32 exec_lo, exec_lo, s7
	v_mul_lo_u32 v9, v7, s30
	v_mul_lo_u32 v10, v6, s31
	v_mad_u64_u32 v[7:8], null, v6, s30, 0
	s_delay_alu instid0(VALU_DEP_1) | instskip(NEXT) | instid1(VALU_DEP_1)
	v_add3_u32 v8, v8, v10, v9
	v_lshlrev_b64 v[6:7], 1, v[7:8]
	s_delay_alu instid0(VALU_DEP_1) | instskip(NEXT) | instid1(VALU_DEP_1)
	v_add_co_u32 v6, s7, s20, v6
	v_add_co_ci_u32_e64 v7, s7, s21, v7, s7
	s_or_b32 s7, s2, s6
	s_delay_alu instid0(SALU_CYCLE_1) | instskip(SKIP_1) | instid1(SALU_CYCLE_1)
	v_cndmask_b32_e64 v31, 0, 0x7c00, s7
	s_or_b32 s7, s27, s7
	s_xor_b32 s7, s7, -1
	s_delay_alu instid0(SALU_CYCLE_1)
	s_and_saveexec_b32 s31, s7
	s_cbranch_execz .LBB275_27
; %bb.26:
	v_lshlrev_b64 v[8:9], 1, v[22:23]
	s_delay_alu instid0(VALU_DEP_1) | instskip(NEXT) | instid1(VALU_DEP_1)
	v_add_co_u32 v8, s7, v6, v8
	v_add_co_ci_u32_e64 v9, s7, v7, v9, s7
	flat_load_u16 v8, v[8:9]
	s_waitcnt vmcnt(0) lgkmcnt(0)
	v_mul_f16_e32 v31, s19, v8
.LBB275_27:
	s_or_b32 exec_lo, exec_lo, s31
	s_or_b32 s7, s3, s6
	s_delay_alu instid0(SALU_CYCLE_1) | instskip(SKIP_1) | instid1(SALU_CYCLE_1)
	v_cndmask_b32_e64 v32, 0, 0x7c00, s7
	s_or_b32 s7, s27, s7
	s_xor_b32 s7, s7, -1
	s_delay_alu instid0(SALU_CYCLE_1)
	s_and_saveexec_b32 s31, s7
	s_cbranch_execz .LBB275_29
; %bb.28:
	v_lshlrev_b64 v[8:9], 1, v[24:25]
	s_delay_alu instid0(VALU_DEP_1) | instskip(NEXT) | instid1(VALU_DEP_1)
	v_add_co_u32 v8, s7, v6, v8
	v_add_co_ci_u32_e64 v9, s7, v7, v9, s7
	flat_load_u16 v8, v[8:9]
	s_waitcnt vmcnt(0) lgkmcnt(0)
	v_mul_f16_e32 v32, s19, v8
.LBB275_29:
	s_or_b32 exec_lo, exec_lo, s31
	;; [unrolled: 18-line block ×4, first 2 shown]
	v_lshlrev_b32_e32 v6, 1, v46
	v_lshlrev_b32_e32 v47, 3, v44
	;; [unrolled: 1-line block ×3, first 2 shown]
	s_cmp_lt_i32 s18, 9
	s_delay_alu instid0(VALU_DEP_3) | instskip(NEXT) | instid1(VALU_DEP_3)
	v_lshl_add_u32 v85, v0, 3, v6
	v_add_nc_u32_e32 v0, 0x1000, v47
	ds_store_b16 v85, v2
	ds_store_b16 v85, v3 offset:512
	ds_store_b16 v85, v4 offset:1024
	;; [unrolled: 1-line block ×4, first 2 shown]
	s_waitcnt lgkmcnt(0)
	s_barrier
	buffer_gl0_inv
	ds_load_2addr_b64 v[16:19], v0 offset1:8
	ds_load_2addr_b64 v[35:38], v76 offset1:32
	ds_load_2addr_b64 v[12:15], v0 offset0:16 offset1:24
	ds_load_2addr_b64 v[4:7], v0 offset0:32 offset1:40
	;; [unrolled: 1-line block ×6, first 2 shown]
	ds_store_b16 v85, v31 offset:2048
	ds_store_b16 v85, v32 offset:2560
	ds_store_b16 v85, v33 offset:3072
	ds_store_b16 v85, v30 offset:4608
	ds_store_b16 v85, v34 offset:3584
	s_waitcnt lgkmcnt(0)
	s_barrier
	buffer_gl0_inv
	v_pk_add_f16 v43, v16, v35
	v_pk_add_f16 v52, v18, v35
	;; [unrolled: 1-line block ×10, first 2 shown]
	v_pk_min_f16 v114, 0x7c00, v81 op_sel_hi:[0,1]
	v_pk_min_f16 v115, 0x7c00, v82 op_sel_hi:[0,1]
	v_pk_add_f16 v81, v0, v48
	v_pk_add_f16 v82, v16, v50
	v_pk_min_f16 v116, 0x7c00, v83 op_sel_hi:[0,1]
	v_pk_min_f16 v117, 0x7c00, v84 op_sel_hi:[0,1]
	v_pk_add_f16 v83, v18, v50
	v_pk_add_f16 v84, v12, v50
	;; [unrolled: 4-line block ×5, first 2 shown]
	v_pk_add_f16 v56, v6, v35
	v_pk_add_f16 v57, v0, v35
	;; [unrolled: 1-line block ×3, first 2 shown]
	v_pk_min_f16 v43, 0x7c00, v43 op_sel_hi:[0,1]
	v_pk_add_f16 v58, v16, v37
	v_pk_add_f16 v59, v18, v37
	;; [unrolled: 1-line block ×25, first 2 shown]
	v_pk_min_f16 v118, 0x7c00, v86 op_sel_hi:[0,1]
	v_pk_add_f16 v48, v2, v48
	v_pk_add_f16 v50, v2, v50
	v_pk_min_f16 v125, 0x7c00, v83 op_sel_hi:[0,1]
	v_pk_min_f16 v126, 0x7c00, v84 op_sel_hi:[0,1]
	v_pk_add_f16 v83, v12, v8
	v_pk_add_f16 v84, v14, v8
	;; [unrolled: 1-line block ×3, first 2 shown]
	v_pk_min_f16 v127, 0x7c00, v81 op_sel_hi:[0,1]
	v_pk_min_f16 v128, 0x7c00, v82 op_sel_hi:[0,1]
	v_pk_add_f16 v81, v6, v8
	v_pk_add_f16 v82, v0, v8
	;; [unrolled: 1-line block ×12, first 2 shown]
	v_pk_min_f16 v52, 0x7c00, v52 op_sel_hi:[0,1]
	v_pk_min_f16 v55, 0x7c00, v55 op_sel_hi:[0,1]
	;; [unrolled: 1-line block ×3, first 2 shown]
	v_pk_add_f16 v81, v19, v36
	v_pk_min_f16 v113, v43, v10
	v_pk_add_f16 v10, v5, v36
	v_pk_min_f16 v35, 0x7c00, v35 op_sel_hi:[0,1]
	v_pk_min_f16 v59, 0x7c00, v59 op_sel_hi:[0,1]
	;; [unrolled: 1-line block ×4, first 2 shown]
	v_pk_add_f16 v82, v13, v36
	v_pk_add_f16 v83, v15, v36
	v_pk_min_f16 v112, v52, v81
	v_pk_add_f16 v43, v7, v36
	v_pk_add_f16 v52, v1, v36
	;; [unrolled: 1-line block ×3, first 2 shown]
	v_pk_min_f16 v109, v55, v10
	v_pk_add_f16 v10, v19, v38
	v_pk_min_f16 v53, 0x7c00, v53 op_sel_hi:[0,1]
	v_pk_min_f16 v56, 0x7c00, v56 op_sel_hi:[0,1]
	v_pk_min_f16 v57, 0x7c00, v57 op_sel_hi:[0,1]
	v_pk_min_f16 v60, 0x7c00, v60 op_sel_hi:[0,1]
	v_pk_min_f16 v61, 0x7c00, v61 op_sel_hi:[0,1]
	v_pk_min_f16 v64, 0x7c00, v64 op_sel_hi:[0,1]
	v_pk_min_f16 v106, v35, v36
	v_pk_add_f16 v35, v13, v38
	v_pk_add_f16 v36, v15, v38
	v_pk_min_f16 v104, v59, v10
	v_pk_add_f16 v10, v1, v38
	v_pk_min_f16 v37, 0x7c00, v37 op_sel_hi:[0,1]
	v_pk_min_f16 v65, 0x7c00, v65 op_sel_hi:[0,1]
	;; [unrolled: 1-line block ×4, first 2 shown]
	v_pk_min_f16 v111, v53, v82
	v_pk_add_f16 v53, v17, v38
	v_pk_min_f16 v108, v56, v43
	v_pk_min_f16 v107, v57, v52
	v_pk_add_f16 v43, v5, v38
	v_pk_add_f16 v52, v7, v38
	v_pk_min_f16 v103, v60, v35
	v_pk_min_f16 v102, v61, v36
	v_pk_add_f16 v35, v3, v38
	v_pk_add_f16 v36, v17, v40
	v_pk_add_f16 v38, v19, v40
	v_pk_min_f16 v99, v64, v10
	v_pk_add_f16 v10, v15, v40
	v_pk_min_f16 v69, 0x7c00, v69 op_sel_hi:[0,1]
	v_pk_min_f16 v70, 0x7c00, v70 op_sel_hi:[0,1]
	;; [unrolled: 1-line block ×5, first 2 shown]
	v_pk_min_f16 v98, v37, v35
	v_pk_min_f16 v97, v65, v36
	;; [unrolled: 1-line block ×3, first 2 shown]
	v_pk_add_f16 v35, v5, v40
	v_pk_add_f16 v36, v7, v40
	;; [unrolled: 1-line block ×4, first 2 shown]
	v_pk_min_f16 v94, v68, v10
	v_pk_add_f16 v10, v17, v42
	v_pk_min_f16 v54, 0x7c00, v54 op_sel_hi:[0,1]
	v_pk_min_f16 v73, 0x7c00, v73 op_sel_hi:[0,1]
	;; [unrolled: 1-line block ×6, first 2 shown]
	v_pk_min_f16 v93, v69, v35
	v_pk_min_f16 v92, v70, v36
	;; [unrolled: 1-line block ×4, first 2 shown]
	v_pk_add_f16 v35, v19, v42
	v_pk_add_f16 v36, v13, v42
	;; [unrolled: 1-line block ×4, first 2 shown]
	v_pk_min_f16 v89, v72, v10
	v_pk_add_f16 v10, v7, v42
	v_pk_min_f16 v79, 0x7c00, v79 op_sel_hi:[0,1]
	v_pk_min_f16 v41, 0x7c00, v41 op_sel_hi:[0,1]
	v_pk_min_f16 v80, 0x7c00, v80 op_sel_hi:[0,1]
	v_pk_min_f16 v130, 0x7c00, v84 op_sel_hi:[0,1]
	v_pk_min_f16 v131, 0x7c00, v86 op_sel_hi:[0,1]
	v_pk_min_f16 v110, v54, v83
	v_pk_min_f16 v88, v73, v35
	;; [unrolled: 1-line block ×5, first 2 shown]
	v_pk_add_f16 v35, v1, v42
	v_pk_add_f16 v36, v3, v42
	;; [unrolled: 1-line block ×4, first 2 shown]
	v_pk_min_f16 v83, v78, v10
	v_pk_add_f16 v10, v13, v49
	v_pk_min_f16 v62, 0x7c00, v62 op_sel_hi:[0,1]
	v_pk_min_f16 v48, 0x7c00, v48 op_sel_hi:[0,1]
	v_pk_min_f16 v82, v79, v35
	v_pk_min_f16 v81, v41, v36
	;; [unrolled: 1-line block ×4, first 2 shown]
	v_pk_add_f16 v35, v15, v49
	v_pk_add_f16 v36, v5, v49
	;; [unrolled: 1-line block ×4, first 2 shown]
	v_pk_min_f16 v78, v115, v10
	v_pk_add_f16 v10, v3, v49
	v_pk_min_f16 v67, 0x7c00, v67 op_sel_hi:[0,1]
	v_pk_min_f16 v101, v62, v43
	v_pk_add_f16 v43, v13, v40
	v_pk_min_f16 v77, v116, v35
	v_pk_min_f16 v75, v117, v36
	;; [unrolled: 1-line block ×4, first 2 shown]
	v_pk_add_f16 v35, v17, v51
	v_pk_add_f16 v36, v19, v51
	;; [unrolled: 1-line block ×4, first 2 shown]
	v_pk_min_f16 v72, v48, v10
	v_pk_add_f16 v10, v5, v51
	v_pk_min_f16 v63, 0x7c00, v63 op_sel_hi:[0,1]
	v_pk_min_f16 v50, 0x7c00, v50 op_sel_hi:[0,1]
	v_pk_min_f16 v95, v67, v43
	v_pk_min_f16 v71, v120, v35
	;; [unrolled: 1-line block ×5, first 2 shown]
	v_pk_add_f16 v35, v7, v51
	v_pk_add_f16 v36, v1, v51
	;; [unrolled: 1-line block ×4, first 2 shown]
	v_pk_min_f16 v67, v124, v10
	v_pk_add_f16 v10, v19, v9
	v_pk_min_f16 v58, 0x7c00, v58 op_sel_hi:[0,1]
	v_pk_min_f16 v8, 0x7c00, v8 op_sel_hi:[0,1]
	v_pk_min_f16 v100, v63, v52
	v_pk_min_f16 v66, v125, v35
	;; [unrolled: 1-line block ×5, first 2 shown]
	v_pk_add_f16 v35, v13, v9
	v_pk_add_f16 v36, v15, v9
	;; [unrolled: 1-line block ×4, first 2 shown]
	v_pk_min_f16 v62, v128, v10
	v_pk_add_f16 v10, v1, v9
	v_pk_add_f16 v9, v3, v9
	v_pk_min_f16 v16, 0x7c00, v16 op_sel_hi:[0,1]
	v_pk_min_f16 v18, 0x7c00, v18 op_sel_hi:[0,1]
	;; [unrolled: 1-line block ×8, first 2 shown]
	v_pk_min_f16 v105, v58, v53
	v_pk_add_f16 v17, v17, v11
	v_pk_add_f16 v19, v19, v11
	;; [unrolled: 1-line block ×3, first 2 shown]
	v_pk_min_f16 v58, v8, v9
	v_pk_add_f16 v8, v15, v11
	v_pk_add_f16 v5, v5, v11
	;; [unrolled: 1-line block ×5, first 2 shown]
	v_pk_min_f16 v61, v129, v35
	v_pk_min_f16 v59, v130, v36
	;; [unrolled: 1-line block ×13, first 2 shown]
	s_cbranch_scc1 .LBB275_56
; %bb.34:
	v_add_nc_u32_e32 v0, v76, v44
	v_lshlrev_b64 v[32:33], 1, v[22:23]
	v_lshlrev_b64 v[34:35], 1, v[24:25]
	;; [unrolled: 1-line block ×4, first 2 shown]
	v_lshrrev_b32_e32 v2, 6, v0
	v_lshlrev_b64 v[0:1], 1, v[20:21]
	v_or_b32_e32 v114, 0x1000, v85
	v_add_nc_u32_e32 v115, 0x1000, v47
	v_add_nc_u32_e32 v116, 0x1200, v85
	;; [unrolled: 1-line block ×4, first 2 shown]
	v_add_co_u32 v119, s6, s22, v0
	v_or_b32_e32 v117, 0x800, v85
	s_delay_alu instid0(VALU_DEP_4) | instskip(NEXT) | instid1(VALU_DEP_4)
	v_mad_i64_i32 v[2:3], null, v4, s8, 0
	v_mad_i64_i32 v[4:5], null, v6, s8, 0
	v_lshl_add_u32 v118, v44, 3, 0x1200
	v_add_co_ci_u32_e64 v120, s6, s23, v1, s6
	v_add_nc_u32_e32 v121, 0x800, v76
	v_lshlrev_b64 v[38:39], 1, v[2:3]
	s_add_i32 s22, s18, -8
	v_lshlrev_b64 v[40:41], 1, v[4:5]
	s_lshl_b64 s[8:9], s[8:9], 4
	s_mov_b32 s23, 0
	s_branch .LBB275_36
.LBB275_35:                             ;   in Loop: Header=BB275_36 Depth=1
	s_or_b32 exec_lo, exec_lo, s7
	ds_load_2addr_b64 v[126:129], v115 offset1:8
	ds_load_2addr_b64 v[87:90], v76 offset1:32
	ds_load_2addr_b64 v[130:133], v115 offset0:16 offset1:24
	ds_load_2addr_b64 v[134:137], v115 offset0:32 offset1:40
	;; [unrolled: 1-line block ×6, first 2 shown]
	v_pk_max_f16 v11, v84, v84
	v_pk_max_f16 v15, v82, v82
	v_pk_max_f16 v17, v80, v80
	v_pk_max_f16 v19, v79, v79
	v_pk_max_f16 v79, v86, v86
	v_pk_max_f16 v80, v83, v83
	v_pk_max_f16 v77, v77, v77
	v_pk_max_f16 v70, v70, v70
	v_pk_max_f16 v78, v78, v78
	v_pk_max_f16 v75, v75, v75
	v_pk_max_f16 v74, v74, v74
	v_pk_max_f16 v72, v72, v72
	v_pk_max_f16 v65, v65, v65
	s_waitcnt lgkmcnt(6)
	v_pk_add_f16 v82, v126, v87
	v_pk_add_f16 v83, v128, v87
	s_waitcnt lgkmcnt(5)
	v_pk_add_f16 v84, v130, v87
	v_pk_add_f16 v86, v132, v87
	;; [unrolled: 3-line block ×4, first 2 shown]
	v_pk_min_f16 v11, v11, v82
	v_pk_min_f16 v15, v15, v83
	;; [unrolled: 1-line block ×5, first 2 shown]
	v_pk_add_f16 v82, v126, v89
	v_pk_add_f16 v83, v128, v89
	;; [unrolled: 1-line block ×5, first 2 shown]
	v_pk_min_f16 v70, v70, v82
	v_pk_min_f16 v78, v78, v83
	;; [unrolled: 1-line block ×5, first 2 shown]
	v_pk_add_f16 v82, v136, v89
	v_pk_add_f16 v83, v138, v89
	v_pk_max_f16 v73, v73, v73
	v_pk_add_f16 v84, v140, v89
	v_pk_max_f16 v71, v71, v71
	s_waitcnt lgkmcnt(2)
	v_pk_add_f16 v86, v126, v142
	v_pk_max_f16 v69, v69, v69
	v_pk_add_f16 v87, v128, v142
	v_pk_max_f16 v67, v67, v67
	v_pk_min_f16 v65, v65, v82
	v_pk_min_f16 v73, v73, v83
	v_pk_min_f16 v71, v71, v84
	v_pk_min_f16 v69, v69, v86
	v_pk_min_f16 v67, v67, v87
	v_pk_add_f16 v82, v130, v142
	v_pk_max_f16 v60, v60, v60
	v_pk_add_f16 v83, v132, v142
	v_pk_max_f16 v68, v68, v68
	v_pk_add_f16 v84, v134, v142
	v_pk_max_f16 v66, v66, v66
	v_pk_add_f16 v86, v136, v142
	v_pk_max_f16 v64, v64, v64
	v_pk_add_f16 v87, v138, v142
	v_pk_max_f16 v62, v62, v62
	v_pk_min_f16 v60, v60, v82
	v_pk_min_f16 v68, v68, v83
	v_pk_min_f16 v66, v66, v84
	v_pk_min_f16 v64, v64, v86
	v_pk_min_f16 v62, v62, v87
	v_pk_add_f16 v82, v140, v142
	v_pk_max_f16 v55, v55, v55
	v_pk_add_f16 v83, v126, v144
	v_pk_max_f16 v63, v63, v63
	v_pk_add_f16 v84, v128, v144
	v_pk_max_f16 v61, v61, v61
	;; [unrolled: 15-line block ×3, first 2 shown]
	v_pk_add_f16 v86, v140, v144
	v_pk_max_f16 v54, v54, v54
	s_waitcnt lgkmcnt(1)
	v_pk_add_f16 v87, v126, v146
	v_pk_max_f16 v52, v52, v52
	v_pk_min_f16 v50, v50, v82
	v_pk_min_f16 v58, v58, v83
	v_pk_min_f16 v56, v56, v84
	v_pk_min_f16 v54, v54, v86
	v_pk_min_f16 v52, v52, v87
	v_pk_add_f16 v82, v128, v146
	v_pk_max_f16 v29, v29, v29
	v_pk_add_f16 v83, v130, v146
	v_pk_max_f16 v53, v53, v53
	v_pk_add_f16 v84, v132, v146
	v_pk_max_f16 v51, v51, v51
	v_pk_add_f16 v86, v134, v146
	v_pk_max_f16 v49, v49, v49
	v_pk_add_f16 v87, v136, v146
	v_pk_max_f16 v31, v31, v31
	v_pk_min_f16 v29, v29, v82
	v_pk_min_f16 v53, v53, v83
	v_pk_min_f16 v51, v51, v84
	v_pk_min_f16 v49, v49, v86
	v_pk_min_f16 v31, v31, v87
	v_pk_add_f16 v82, v138, v146
	v_pk_max_f16 v24, v24, v24
	v_pk_add_f16 v83, v140, v146
	v_pk_max_f16 v48, v48, v48
	v_pk_add_f16 v84, v126, v148
	v_pk_max_f16 v30, v30, v30
	v_pk_add_f16 v86, v128, v148
	v_pk_max_f16 v28, v28, v28
	;; [unrolled: 15-line block ×3, first 2 shown]
	v_pk_add_f16 v87, v140, v148
	v_pk_max_f16 v21, v21, v21
	v_pk_min_f16 v18, v18, v82
	v_pk_min_f16 v27, v27, v83
	;; [unrolled: 1-line block ×5, first 2 shown]
	s_waitcnt lgkmcnt(0)
	v_pk_add_f16 v82, v126, v150
	v_pk_max_f16 v10, v10, v10
	v_pk_add_f16 v83, v128, v150
	v_pk_max_f16 v22, v22, v22
	v_pk_add_f16 v84, v130, v150
	v_pk_max_f16 v20, v20, v20
	v_pk_add_f16 v86, v132, v150
	v_pk_max_f16 v16, v16, v16
	v_pk_add_f16 v87, v134, v150
	v_pk_max_f16 v14, v14, v14
	v_pk_min_f16 v10, v10, v82
	v_pk_min_f16 v22, v22, v83
	;; [unrolled: 1-line block ×5, first 2 shown]
	v_pk_add_f16 v82, v136, v150
	v_pk_max_f16 v6, v6, v6
	v_pk_add_f16 v83, v138, v150
	v_pk_max_f16 v13, v13, v13
	;; [unrolled: 2-line block ×5, first 2 shown]
	v_pk_min_f16 v6, v6, v82
	v_pk_min_f16 v13, v13, v83
	;; [unrolled: 1-line block ×5, first 2 shown]
	v_pk_add_f16 v82, v130, v152
	v_pk_max_f16 v2, v2, v2
	v_pk_add_f16 v83, v132, v152
	v_pk_max_f16 v7, v7, v7
	;; [unrolled: 2-line block ×5, first 2 shown]
	v_pk_max_f16 v81, v81, v81
	v_pk_min_f16 v2, v2, v82
	v_pk_min_f16 v7, v7, v83
	;; [unrolled: 1-line block ×5, first 2 shown]
	v_pk_add_f16 v82, v140, v152
	v_pk_max_f16 v1, v1, v1
	v_pk_add_f16 v83, v127, v88
	v_pk_add_f16 v84, v129, v88
	;; [unrolled: 1-line block ×4, first 2 shown]
	v_pk_min_f16 v79, v79, v91
	v_pk_min_f16 v80, v80, v92
	v_pk_min_f16 v81, v81, v93
	v_pk_min_f16 v1, v1, v82
	v_pk_min_f16 v113, v11, v83
	v_pk_min_f16 v112, v15, v84
	v_pk_min_f16 v111, v17, v86
	v_pk_min_f16 v110, v19, v87
	v_pk_add_f16 v11, v135, v88
	v_pk_add_f16 v15, v137, v88
	v_pk_add_f16 v17, v139, v88
	v_pk_add_f16 v19, v141, v88
	v_pk_add_f16 v82, v127, v90
	v_pk_min_f16 v109, v79, v11
	v_pk_min_f16 v108, v80, v15
	v_pk_min_f16 v107, v81, v17
	v_pk_min_f16 v106, v77, v19
	v_pk_min_f16 v105, v70, v82
	v_pk_add_f16 v11, v129, v90
	v_pk_add_f16 v15, v131, v90
	v_pk_add_f16 v17, v133, v90
	v_pk_add_f16 v19, v135, v90
	v_pk_add_f16 v70, v137, v90
	v_pk_min_f16 v104, v78, v11
	v_pk_min_f16 v103, v75, v15
	v_pk_min_f16 v102, v74, v17
	v_pk_min_f16 v101, v72, v19
	v_pk_min_f16 v100, v65, v70
	;; [unrolled: 10-line block ×11, first 2 shown]
	v_pk_add_f16 v2, v133, v153
	v_pk_add_f16 v6, v135, v153
	;; [unrolled: 1-line block ×5, first 2 shown]
	v_add_co_u32 v119, s6, v119, s8
	v_pk_min_f16 v52, v7, v2
	v_pk_min_f16 v51, v5, v6
	v_pk_min_f16 v50, v4, v8
	v_pk_min_f16 v49, v3, v9
	v_pk_min_f16 v48, v1, v10
	v_add_co_ci_u32_e64 v120, s6, s9, v120, s6
	s_add_i32 s23, s23, 8
	ds_store_b16 v116, v122
	ds_store_b16 v117, v123
	ds_store_b16 v117, v124 offset:512
	ds_store_b16 v117, v125 offset:1024
	;; [unrolled: 1-line block ×3, first 2 shown]
	s_cmp_ge_i32 s23, s22
	s_waitcnt lgkmcnt(0)
	s_barrier
	buffer_gl0_inv
	s_cbranch_scc1 .LBB275_56
.LBB275_36:                             ; =>This Inner Loop Header: Depth=1
	v_add_nc_u32_e32 v122, s23, v46
	s_delay_alu instid0(VALU_DEP_1) | instskip(NEXT) | instid1(VALU_DEP_1)
	v_add_nc_u32_e32 v0, 8, v122
	v_cmp_le_i32_e64 s6, s18, v0
	s_delay_alu instid0(VALU_DEP_1) | instskip(NEXT) | instid1(SALU_CYCLE_1)
	s_or_b32 s7, vcc_lo, s6
	v_cndmask_b32_e64 v123, 0, 0x7c00, s7
	s_or_b32 s7, s27, s7
	s_delay_alu instid0(SALU_CYCLE_1) | instskip(NEXT) | instid1(SALU_CYCLE_1)
	s_xor_b32 s7, s7, -1
	s_and_saveexec_b32 s31, s7
	s_cbranch_execz .LBB275_38
; %bb.37:                               ;   in Loop: Header=BB275_36 Depth=1
	v_add_co_u32 v1, s7, v119, v40
	s_delay_alu instid0(VALU_DEP_1)
	v_add_co_ci_u32_e64 v2, s7, v120, v41, s7
	flat_load_u16 v1, v[1:2]
	s_waitcnt vmcnt(0) lgkmcnt(0)
	v_mul_f16_e32 v123, s19, v1
.LBB275_38:                             ;   in Loop: Header=BB275_36 Depth=1
	s_or_b32 exec_lo, exec_lo, s31
	v_min_i32_e32 v2, s29, v0
	s_delay_alu instid0(VALU_DEP_1) | instskip(NEXT) | instid1(VALU_DEP_1)
	v_mad_i64_i32 v[0:1], null, v2, s30, 0
	v_lshlrev_b64 v[0:1], 1, v[0:1]
	s_delay_alu instid0(VALU_DEP_1) | instskip(NEXT) | instid1(VALU_DEP_1)
	v_add_co_u32 v0, s7, s20, v0
	v_add_co_ci_u32_e64 v1, s7, s21, v1, s7
	s_or_b32 s7, s2, s6
	s_delay_alu instid0(SALU_CYCLE_1) | instskip(SKIP_1) | instid1(SALU_CYCLE_1)
	v_cndmask_b32_e64 v124, 0, 0x7c00, s7
	s_or_b32 s7, s27, s7
	s_xor_b32 s7, s7, -1
	s_delay_alu instid0(SALU_CYCLE_1)
	s_and_saveexec_b32 s31, s7
	s_cbranch_execz .LBB275_40
; %bb.39:                               ;   in Loop: Header=BB275_36 Depth=1
	v_add_co_u32 v2, s7, v0, v32
	s_delay_alu instid0(VALU_DEP_1)
	v_add_co_ci_u32_e64 v3, s7, v1, v33, s7
	flat_load_u16 v2, v[2:3]
	s_waitcnt vmcnt(0) lgkmcnt(0)
	v_mul_f16_e32 v124, s19, v2
.LBB275_40:                             ;   in Loop: Header=BB275_36 Depth=1
	s_or_b32 exec_lo, exec_lo, s31
	s_or_b32 s7, s3, s6
	s_delay_alu instid0(SALU_CYCLE_1) | instskip(SKIP_1) | instid1(SALU_CYCLE_1)
	v_cndmask_b32_e64 v125, 0, 0x7c00, s7
	s_or_b32 s7, s27, s7
	s_xor_b32 s7, s7, -1
	s_delay_alu instid0(SALU_CYCLE_1)
	s_and_saveexec_b32 s31, s7
	s_cbranch_execz .LBB275_42
; %bb.41:                               ;   in Loop: Header=BB275_36 Depth=1
	v_add_co_u32 v2, s7, v0, v34
	s_delay_alu instid0(VALU_DEP_1)
	v_add_co_ci_u32_e64 v3, s7, v1, v35, s7
	flat_load_u16 v2, v[2:3]
	s_waitcnt vmcnt(0) lgkmcnt(0)
	v_mul_f16_e32 v125, s19, v2
.LBB275_42:                             ;   in Loop: Header=BB275_36 Depth=1
	s_or_b32 exec_lo, exec_lo, s31
	;; [unrolled: 17-line block ×4, first 2 shown]
	ds_load_2addr_b64 v[12:15], v118 offset1:8
	ds_load_2addr_b64 v[8:11], v118 offset0:16 offset1:24
	ds_load_2addr_b64 v[4:7], v118 offset0:32 offset1:40
	;; [unrolled: 1-line block ×3, first 2 shown]
	ds_load_2addr_b64 v[28:31], v121 offset1:32
	ds_load_2addr_b64 v[24:27], v121 offset0:64 offset1:96
	ds_load_2addr_b64 v[20:23], v121 offset0:128 offset1:160
	;; [unrolled: 1-line block ×3, first 2 shown]
	v_add_nc_u32_e32 v128, 12, v122
	ds_store_b16 v114, v123
	ds_store_b16 v85, v124
	ds_store_b16 v85, v125 offset:512
	ds_store_b16 v85, v126 offset:1024
	;; [unrolled: 1-line block ×3, first 2 shown]
	s_waitcnt lgkmcnt(0)
	s_barrier
	buffer_gl0_inv
	v_cmp_le_i32_e64 s6, s18, v128
	s_delay_alu instid0(VALU_DEP_1) | instskip(NEXT) | instid1(SALU_CYCLE_1)
	s_or_b32 s7, vcc_lo, s6
	v_cndmask_b32_e64 v122, 0, 0x7c00, s7
	s_or_b32 s7, s27, s7
	s_delay_alu instid0(SALU_CYCLE_1) | instskip(NEXT) | instid1(SALU_CYCLE_1)
	s_xor_b32 s7, s7, -1
	s_and_saveexec_b32 s31, s7
	s_delay_alu instid0(SALU_CYCLE_1)
	s_xor_b32 s31, exec_lo, s31
	s_cbranch_execz .LBB275_48
; %bb.47:                               ;   in Loop: Header=BB275_36 Depth=1
	v_add_co_u32 v122, s7, v119, v38
	s_delay_alu instid0(VALU_DEP_1)
	v_add_co_ci_u32_e64 v123, s7, v120, v39, s7
	flat_load_u16 v122, v[122:123]
	s_waitcnt vmcnt(0) lgkmcnt(0)
	v_mul_f16_e32 v122, s19, v122
.LBB275_48:                             ;   in Loop: Header=BB275_36 Depth=1
	s_or_b32 exec_lo, exec_lo, s31
	v_min_i32_e32 v125, s29, v128
	s_delay_alu instid0(VALU_DEP_1) | instskip(NEXT) | instid1(VALU_DEP_1)
	v_mad_i64_i32 v[123:124], null, v125, s30, 0
	v_lshlrev_b64 v[123:124], 1, v[123:124]
	s_delay_alu instid0(VALU_DEP_1) | instskip(NEXT) | instid1(VALU_DEP_1)
	v_add_co_u32 v126, s7, s20, v123
	v_add_co_ci_u32_e64 v127, s7, s21, v124, s7
	s_or_b32 s7, s2, s6
	s_delay_alu instid0(SALU_CYCLE_1) | instskip(SKIP_1) | instid1(SALU_CYCLE_1)
	v_cndmask_b32_e64 v123, 0, 0x7c00, s7
	s_or_b32 s7, s27, s7
	s_xor_b32 s7, s7, -1
	s_delay_alu instid0(SALU_CYCLE_1)
	s_and_saveexec_b32 s31, s7
	s_cbranch_execz .LBB275_50
; %bb.49:                               ;   in Loop: Header=BB275_36 Depth=1
	v_add_co_u32 v123, s7, v126, v32
	s_delay_alu instid0(VALU_DEP_1)
	v_add_co_ci_u32_e64 v124, s7, v127, v33, s7
	flat_load_u16 v123, v[123:124]
	s_waitcnt vmcnt(0) lgkmcnt(0)
	v_mul_f16_e32 v123, s19, v123
.LBB275_50:                             ;   in Loop: Header=BB275_36 Depth=1
	s_or_b32 exec_lo, exec_lo, s31
	s_or_b32 s7, s3, s6
	s_delay_alu instid0(SALU_CYCLE_1) | instskip(SKIP_1) | instid1(SALU_CYCLE_1)
	v_cndmask_b32_e64 v124, 0, 0x7c00, s7
	s_or_b32 s7, s27, s7
	s_xor_b32 s7, s7, -1
	s_delay_alu instid0(SALU_CYCLE_1)
	s_and_saveexec_b32 s31, s7
	s_cbranch_execz .LBB275_52
; %bb.51:                               ;   in Loop: Header=BB275_36 Depth=1
	v_add_co_u32 v124, s7, v126, v34
	s_delay_alu instid0(VALU_DEP_1)
	v_add_co_ci_u32_e64 v125, s7, v127, v35, s7
	flat_load_u16 v124, v[124:125]
	s_waitcnt vmcnt(0) lgkmcnt(0)
	v_mul_f16_e32 v124, s19, v124
.LBB275_52:                             ;   in Loop: Header=BB275_36 Depth=1
	s_or_b32 exec_lo, exec_lo, s31
	;; [unrolled: 17-line block ×3, first 2 shown]
	v_pk_add_f16 v128, v12, v28
	v_pk_max_f16 v113, v113, v113
	v_pk_add_f16 v129, v14, v28
	v_pk_max_f16 v112, v112, v112
	;; [unrolled: 2-line block ×3, first 2 shown]
	v_pk_min_f16 v113, v113, v128
	v_pk_add_f16 v128, v10, v28
	v_pk_min_f16 v112, v112, v129
	v_pk_max_f16 v110, v110, v110
	v_pk_min_f16 v111, v111, v130
	v_pk_add_f16 v129, v4, v28
	v_pk_max_f16 v109, v109, v109
	v_pk_add_f16 v130, v6, v28
	v_pk_add_f16 v131, v0, v28
	;; [unrolled: 1-line block ×3, first 2 shown]
	v_pk_max_f16 v106, v106, v106
	v_pk_max_f16 v108, v108, v108
	;; [unrolled: 1-line block ×3, first 2 shown]
	v_pk_min_f16 v110, v110, v128
	v_pk_min_f16 v109, v109, v129
	;; [unrolled: 1-line block ×3, first 2 shown]
	v_pk_add_f16 v106, v12, v30
	v_pk_max_f16 v105, v105, v105
	v_pk_add_f16 v128, v14, v30
	v_pk_max_f16 v104, v104, v104
	;; [unrolled: 2-line block ×3, first 2 shown]
	v_pk_min_f16 v108, v108, v130
	v_pk_min_f16 v107, v107, v131
	v_pk_add_f16 v130, v10, v30
	v_pk_max_f16 v102, v102, v102
	v_pk_add_f16 v131, v4, v30
	v_pk_min_f16 v105, v105, v106
	v_pk_min_f16 v104, v104, v128
	;; [unrolled: 1-line block ×3, first 2 shown]
	v_pk_add_f16 v106, v6, v30
	v_pk_max_f16 v100, v100, v100
	v_pk_add_f16 v128, v0, v30
	v_pk_add_f16 v30, v2, v30
	v_pk_max_f16 v98, v98, v98
	v_pk_add_f16 v129, v12, v24
	v_pk_max_f16 v97, v97, v97
	v_pk_min_f16 v102, v102, v130
	v_pk_max_f16 v99, v99, v99
	v_pk_add_f16 v130, v14, v24
	v_pk_max_f16 v96, v96, v96
	v_pk_min_f16 v100, v100, v106
	v_pk_min_f16 v30, v98, v30
	;; [unrolled: 1-line block ×3, first 2 shown]
	v_pk_add_f16 v98, v8, v24
	v_pk_max_f16 v95, v95, v95
	v_pk_add_f16 v106, v10, v24
	v_pk_max_f16 v94, v94, v94
	;; [unrolled: 2-line block ×3, first 2 shown]
	v_pk_min_f16 v99, v99, v128
	v_pk_min_f16 v96, v96, v130
	v_pk_add_f16 v128, v4, v24
	v_pk_max_f16 v93, v93, v93
	v_pk_add_f16 v130, v0, v24
	v_pk_min_f16 v95, v95, v98
	v_pk_min_f16 v94, v94, v106
	;; [unrolled: 1-line block ×3, first 2 shown]
	v_pk_add_f16 v24, v2, v24
	v_pk_max_f16 v90, v90, v90
	v_pk_add_f16 v98, v12, v26
	v_pk_max_f16 v89, v89, v89
	;; [unrolled: 2-line block ×4, first 2 shown]
	v_pk_min_f16 v93, v93, v128
	v_pk_add_f16 v128, v8, v26
	v_pk_max_f16 v87, v87, v87
	v_pk_min_f16 v24, v90, v24
	v_pk_min_f16 v89, v89, v98
	;; [unrolled: 1-line block ×4, first 2 shown]
	v_pk_add_f16 v86, v4, v26
	v_pk_max_f16 v84, v84, v84
	v_pk_add_f16 v98, v6, v26
	v_pk_max_f16 v83, v83, v83
	;; [unrolled: 2-line block ×4, first 2 shown]
	v_pk_max_f16 v101, v101, v101
	v_pk_min_f16 v87, v87, v128
	v_pk_add_f16 v128, v12, v20
	v_pk_max_f16 v80, v80, v80
	v_pk_min_f16 v129, v84, v86
	v_pk_min_f16 v98, v83, v98
	;; [unrolled: 1-line block ×4, first 2 shown]
	v_pk_add_f16 v81, v8, v20
	v_pk_max_f16 v78, v78, v78
	v_pk_add_f16 v82, v10, v20
	v_pk_max_f16 v77, v77, v77
	;; [unrolled: 2-line block ×4, first 2 shown]
	v_pk_min_f16 v101, v101, v131
	v_pk_min_f16 v128, v80, v128
	v_pk_add_f16 v80, v14, v20
	v_pk_min_f16 v131, v78, v81
	v_pk_min_f16 v132, v77, v82
	v_pk_min_f16 v133, v75, v83
	v_pk_min_f16 v134, v74, v84
	v_pk_add_f16 v74, v0, v20
	v_pk_add_f16 v20, v2, v20
	v_pk_max_f16 v72, v72, v72
	v_pk_add_f16 v75, v12, v22
	v_pk_max_f16 v71, v71, v71
	;; [unrolled: 2-line block ×4, first 2 shown]
	v_pk_min_f16 v20, v72, v20
	v_pk_min_f16 v136, v71, v75
	v_pk_min_f16 v137, v70, v77
	v_pk_max_f16 v68, v68, v68
	v_pk_min_f16 v138, v69, v78
	v_pk_add_f16 v69, v10, v22
	v_pk_add_f16 v70, v4, v22
	;; [unrolled: 1-line block ×5, first 2 shown]
	v_pk_max_f16 v64, v64, v64
	v_pk_max_f16 v67, v67, v67
	;; [unrolled: 1-line block ×4, first 2 shown]
	v_pk_min_f16 v139, v68, v69
	v_pk_min_f16 v22, v64, v22
	v_pk_add_f16 v64, v12, v16
	v_pk_add_f16 v68, v4, v16
	v_pk_max_f16 v57, v57, v57
	v_pk_add_f16 v12, v12, v18
	v_pk_max_f16 v56, v56, v56
	v_pk_min_f16 v140, v67, v70
	v_pk_min_f16 v141, v66, v71
	;; [unrolled: 1-line block ×3, first 2 shown]
	v_pk_add_f16 v65, v14, v16
	v_pk_add_f16 v66, v8, v16
	;; [unrolled: 1-line block ×3, first 2 shown]
	v_pk_max_f16 v59, v59, v59
	v_pk_min_f16 v147, v57, v68
	v_pk_add_f16 v57, v6, v16
	v_pk_add_f16 v14, v14, v18
	v_pk_max_f16 v54, v54, v54
	v_pk_min_f16 v151, v56, v12
	v_pk_add_f16 v8, v8, v18
	v_pk_max_f16 v12, v53, v53
	v_pk_add_f16 v6, v6, v18
	v_pk_max_f16 v50, v50, v50
	v_pk_min_f16 v146, v59, v67
	v_pk_add_f16 v59, v0, v16
	v_pk_add_f16 v16, v2, v16
	v_pk_min_f16 v152, v54, v14
	v_pk_add_f16 v10, v10, v18
	v_pk_max_f16 v14, v52, v52
	v_pk_min_f16 v153, v12, v8
	v_pk_min_f16 v155, v50, v6
	v_pk_add_f16 v2, v2, v18
	v_pk_max_f16 v6, v48, v48
	v_pk_add_f16 v8, v13, v29
	v_pk_max_f16 v91, v91, v91
	v_pk_max_f16 v79, v79, v79
	v_pk_min_f16 v154, v14, v10
	v_pk_add_f16 v10, v15, v29
	v_pk_add_f16 v12, v9, v29
	v_pk_min_f16 v156, v6, v2
	v_pk_min_f16 v84, v113, v8
	v_pk_add_f16 v2, v5, v29
	v_pk_add_f16 v8, v1, v29
	v_pk_min_f16 v91, v91, v130
	v_pk_min_f16 v130, v79, v80
	v_pk_max_f16 v73, v73, v73
	v_pk_min_f16 v82, v112, v10
	v_pk_min_f16 v80, v111, v12
	v_pk_add_f16 v6, v7, v29
	v_pk_add_f16 v10, v3, v29
	;; [unrolled: 1-line block ×3, first 2 shown]
	v_pk_min_f16 v86, v109, v2
	v_pk_min_f16 v81, v107, v8
	v_pk_add_f16 v2, v15, v31
	v_pk_add_f16 v8, v11, v31
	v_pk_min_f16 v135, v73, v74
	v_pk_max_f16 v62, v62, v62
	v_pk_min_f16 v83, v108, v6
	v_pk_min_f16 v77, v28, v10
	;; [unrolled: 1-line block ×3, first 2 shown]
	v_pk_add_f16 v6, v9, v31
	v_pk_add_f16 v10, v5, v31
	;; [unrolled: 1-line block ×3, first 2 shown]
	v_pk_min_f16 v78, v104, v2
	v_pk_min_f16 v74, v102, v8
	v_pk_add_f16 v2, v1, v31
	v_pk_add_f16 v8, v13, v25
	v_pk_max_f16 v63, v63, v63
	v_pk_min_f16 v144, v62, v65
	v_pk_max_f16 v60, v60, v60
	v_pk_min_f16 v75, v103, v6
	v_pk_min_f16 v72, v101, v10
	;; [unrolled: 1-line block ×3, first 2 shown]
	v_pk_add_f16 v6, v3, v31
	v_pk_add_f16 v10, v15, v25
	;; [unrolled: 1-line block ×3, first 2 shown]
	v_pk_min_f16 v73, v99, v2
	v_pk_min_f16 v69, v97, v8
	v_pk_add_f16 v2, v11, v25
	v_pk_add_f16 v8, v7, v25
	v_pk_max_f16 v61, v61, v61
	v_pk_min_f16 v143, v63, v64
	v_pk_max_f16 v55, v55, v55
	v_pk_min_f16 v149, v60, v59
	v_pk_min_f16 v71, v30, v6
	;; [unrolled: 1-line block ×4, first 2 shown]
	v_pk_add_f16 v6, v5, v25
	v_pk_add_f16 v10, v1, v25
	;; [unrolled: 1-line block ×3, first 2 shown]
	v_pk_min_f16 v68, v94, v2
	v_pk_min_f16 v64, v92, v8
	v_pk_add_f16 v2, v13, v27
	v_pk_add_f16 v8, v9, v27
	v_pk_min_f16 v145, v61, v66
	v_pk_max_f16 v58, v58, v58
	v_pk_min_f16 v148, v55, v57
	v_pk_min_f16 v66, v93, v6
	;; [unrolled: 1-line block ×4, first 2 shown]
	v_pk_add_f16 v6, v15, v27
	v_pk_add_f16 v10, v11, v27
	;; [unrolled: 1-line block ×3, first 2 shown]
	v_pk_min_f16 v63, v89, v2
	v_pk_min_f16 v59, v87, v8
	v_pk_add_f16 v2, v7, v27
	v_pk_add_f16 v8, v3, v27
	v_pk_min_f16 v150, v58, v16
	v_pk_add_f16 v0, v0, v18
	v_pk_max_f16 v49, v49, v49
	v_pk_min_f16 v61, v88, v6
	v_pk_min_f16 v57, v90, v10
	;; [unrolled: 1-line block ×3, first 2 shown]
	v_pk_add_f16 v6, v1, v27
	v_pk_add_f16 v10, v13, v21
	;; [unrolled: 1-line block ×3, first 2 shown]
	v_pk_min_f16 v58, v98, v2
	v_pk_min_f16 v54, v26, v8
	v_pk_add_f16 v2, v9, v21
	v_pk_add_f16 v8, v5, v21
	v_pk_min_f16 v0, v49, v0
	v_pk_add_f16 v14, v11, v29
	v_pk_min_f16 v56, v106, v6
	v_pk_min_f16 v52, v128, v10
	v_pk_min_f16 v29, v130, v12
	v_pk_add_f16 v6, v11, v21
	v_pk_add_f16 v10, v7, v21
	;; [unrolled: 1-line block ×3, first 2 shown]
	v_pk_min_f16 v53, v131, v2
	v_pk_min_f16 v49, v133, v8
	v_pk_add_f16 v2, v3, v21
	v_pk_add_f16 v8, v15, v23
	v_pk_max_f16 v16, v51, v51
	v_pk_min_f16 v51, v132, v6
	v_pk_min_f16 v31, v134, v10
	;; [unrolled: 1-line block ×3, first 2 shown]
	v_pk_add_f16 v6, v13, v23
	v_pk_add_f16 v10, v9, v23
	;; [unrolled: 1-line block ×3, first 2 shown]
	v_pk_min_f16 v48, v20, v2
	v_pk_min_f16 v28, v137, v8
	v_pk_add_f16 v2, v5, v23
	v_pk_add_f16 v8, v1, v23
	;; [unrolled: 1-line block ×3, first 2 shown]
	v_pk_min_f16 v30, v136, v6
	v_pk_min_f16 v26, v138, v10
	v_pk_min_f16 v18, v139, v12
	v_pk_add_f16 v6, v7, v23
	v_pk_add_f16 v10, v3, v23
	;; [unrolled: 1-line block ×3, first 2 shown]
	v_pk_min_f16 v27, v140, v2
	v_pk_min_f16 v23, v142, v8
	v_pk_add_f16 v2, v15, v17
	v_pk_add_f16 v8, v11, v17
	v_pk_min_f16 v4, v16, v4
	v_pk_min_f16 v25, v141, v6
	;; [unrolled: 1-line block ×4, first 2 shown]
	v_pk_add_f16 v6, v9, v17
	v_pk_add_f16 v12, v5, v17
	;; [unrolled: 1-line block ×3, first 2 shown]
	v_pk_min_f16 v22, v144, v2
	v_pk_min_f16 v16, v146, v8
	v_pk_add_f16 v2, v1, v17
	v_pk_add_f16 v8, v3, v17
	;; [unrolled: 1-line block ×4, first 2 shown]
	v_pk_min_f16 v79, v110, v14
	v_pk_min_f16 v20, v145, v6
	;; [unrolled: 1-line block ×4, first 2 shown]
	v_pk_add_f16 v87, v9, v19
	v_pk_min_f16 v12, v150, v8
	v_pk_min_f16 v9, v151, v17
	;; [unrolled: 1-line block ×3, first 2 shown]
	v_pk_add_f16 v11, v11, v19
	v_pk_add_f16 v5, v5, v19
	;; [unrolled: 1-line block ×5, first 2 shown]
	s_or_b32 s6, s5, s6
	v_pk_min_f16 v13, v149, v2
	v_pk_min_f16 v2, v153, v87
	;; [unrolled: 1-line block ×7, first 2 shown]
	v_cndmask_b32_e64 v0, 0, 0x7c00, s6
	s_or_b32 s6, s27, s6
	s_delay_alu instid0(SALU_CYCLE_1) | instskip(NEXT) | instid1(SALU_CYCLE_1)
	s_xor_b32 s6, s6, -1
	s_and_saveexec_b32 s7, s6
	s_cbranch_execz .LBB275_35
; %bb.55:                               ;   in Loop: Header=BB275_36 Depth=1
	v_add_co_u32 v87, s6, v126, v42
	s_delay_alu instid0(VALU_DEP_1)
	v_add_co_ci_u32_e64 v88, s6, v127, v43, s6
	flat_load_u16 v0, v[87:88]
	s_waitcnt vmcnt(0) lgkmcnt(0)
	v_mul_f16_e32 v0, s19, v0
	s_branch .LBB275_35
.LBB275_56:
	s_clause 0x2
	s_load_b64 s[2:3], s[0:1], 0x70
	s_load_b32 s18, s[0:1], 0x50
	s_load_b32 s9, s[0:1], 0x68
	v_add_nc_u32_e32 v0, 0x1000, v47
	v_add_nc_u32_e32 v85, s28, v45
	;; [unrolled: 1-line block ×4, first 2 shown]
	ds_load_2addr_b64 v[16:19], v0 offset0:64 offset1:72
	ds_load_2addr_b64 v[12:15], v0 offset0:80 offset1:88
	;; [unrolled: 1-line block ×4, first 2 shown]
	ds_load_2addr_b64 v[28:31], v4 offset1:32
	ds_load_2addr_b64 v[24:27], v4 offset0:64 offset1:96
	ds_load_2addr_b64 v[20:23], v4 offset0:128 offset1:160
	;; [unrolled: 1-line block ×3, first 2 shown]
	v_cmp_gt_i32_e64 s8, s17, v85
	v_cndmask_b32_e64 v76, 0, 1, s25
	v_cmp_gt_i32_e64 s0, s16, v32
	v_ashrrev_i32_e32 v33, 31, v32
	s_waitcnt lgkmcnt(0)
	s_mul_i32 s1, s15, s3
	v_mad_i64_i32 v[34:35], null, v85, s18, 0
	v_mad_i64_i32 v[36:37], null, v85, s9, 0
	s_mul_hi_u32 s3, s15, s2
	s_mul_i32 s4, s26, s2
	s_add_i32 s1, s3, s1
	s_mul_i32 s2, s15, s2
	s_delay_alu instid0(VALU_DEP_2) | instskip(SKIP_1) | instid1(VALU_DEP_2)
	v_lshlrev_b64 v[34:35], 1, v[34:35]
	s_add_i32 s3, s1, s4
	v_lshlrev_b64 v[36:37], 1, v[36:37]
	s_lshl_b64 s[2:3], s[2:3], 1
	s_delay_alu instid0(SALU_CYCLE_1) | instskip(NEXT) | instid1(VALU_DEP_2)
	s_add_u32 s10, s10, s2
	v_add_co_u32 v116, vcc_lo, s12, v34
	v_add_co_ci_u32_e32 v117, vcc_lo, s13, v35, vcc_lo
	s_addc_u32 s11, s11, s3
	v_add_co_u32 v114, vcc_lo, s10, v36
	v_add_co_ci_u32_e32 v115, vcc_lo, s11, v37, vcc_lo
	s_and_b32 s1, s0, s8
	s_delay_alu instid0(SALU_CYCLE_1) | instskip(NEXT) | instid1(SALU_CYCLE_1)
	s_and_saveexec_b32 s2, s1
	s_xor_b32 s1, exec_lo, s2
	s_cbranch_execz .LBB275_61
; %bb.57:
	s_and_not1_b32 vcc_lo, exec_lo, s25
	s_cbranch_vccnz .LBB275_59
; %bb.58:
	v_lshlrev_b64 v[34:35], 1, v[32:33]
	s_delay_alu instid0(VALU_DEP_1) | instskip(NEXT) | instid1(VALU_DEP_2)
	v_add_co_u32 v34, vcc_lo, v116, v34
	v_add_co_ci_u32_e32 v35, vcc_lo, v117, v35, vcc_lo
	flat_load_u16 v34, v[34:35]
	s_waitcnt vmcnt(0) lgkmcnt(0)
	v_mul_f16_e32 v34, s24, v34
	s_branch .LBB275_60
.LBB275_59:
	v_mov_b32_e32 v34, 0
.LBB275_60:
	v_pk_add_f16 v35, v16, v28
	v_pk_max_f16 v36, v113, v113
	v_pk_add_f16 v37, v17, v29
	s_delay_alu instid0(VALU_DEP_2) | instskip(NEXT) | instid1(VALU_DEP_1)
	v_pk_min_f16 v35, v36, v35
	v_pk_min_f16 v37, v35, v37
	v_lshlrev_b64 v[35:36], 1, v[32:33]
	s_delay_alu instid0(VALU_DEP_2) | instskip(NEXT) | instid1(VALU_DEP_1)
	v_lshrrev_b32_e32 v38, 16, v37
	v_min3_f16 v37, v34, v37, v38
	s_delay_alu instid0(VALU_DEP_3) | instskip(NEXT) | instid1(VALU_DEP_4)
	v_add_co_u32 v34, vcc_lo, v114, v35
	v_add_co_ci_u32_e32 v35, vcc_lo, v115, v36, vcc_lo
	global_store_b16 v[34:35], v37, off
.LBB275_61:
	s_or_b32 exec_lo, exec_lo, s1
	v_add_nc_u32_e32 v34, 8, v32
	s_delay_alu instid0(VALU_DEP_1) | instskip(SKIP_1) | instid1(VALU_DEP_2)
	v_cmp_gt_i32_e64 s1, s16, v34
	v_ashrrev_i32_e32 v35, 31, v34
	s_and_b32 s3, s1, s8
	s_delay_alu instid0(SALU_CYCLE_1)
	s_and_saveexec_b32 s2, s3
	s_cbranch_execz .LBB275_66
; %bb.62:
	v_cmp_ne_u32_e32 vcc_lo, 1, v76
	s_cbranch_vccnz .LBB275_64
; %bb.63:
	v_lshlrev_b64 v[36:37], 1, v[34:35]
	s_delay_alu instid0(VALU_DEP_1) | instskip(NEXT) | instid1(VALU_DEP_2)
	v_add_co_u32 v36, vcc_lo, v116, v36
	v_add_co_ci_u32_e32 v37, vcc_lo, v117, v37, vcc_lo
	flat_load_u16 v36, v[36:37]
	s_waitcnt vmcnt(0) lgkmcnt(0)
	v_mul_f16_e32 v36, s24, v36
	s_branch .LBB275_65
.LBB275_64:
	v_mov_b32_e32 v36, 0
.LBB275_65:
	v_pk_add_f16 v37, v18, v28
	v_pk_max_f16 v38, v112, v112
	v_pk_add_f16 v39, v19, v29
	s_delay_alu instid0(VALU_DEP_2) | instskip(NEXT) | instid1(VALU_DEP_1)
	v_pk_min_f16 v37, v38, v37
	v_pk_min_f16 v39, v37, v39
	v_lshlrev_b64 v[37:38], 1, v[34:35]
	s_delay_alu instid0(VALU_DEP_2) | instskip(NEXT) | instid1(VALU_DEP_1)
	v_lshrrev_b32_e32 v40, 16, v39
	v_min3_f16 v39, v36, v39, v40
	s_delay_alu instid0(VALU_DEP_3) | instskip(NEXT) | instid1(VALU_DEP_4)
	v_add_co_u32 v36, vcc_lo, v114, v37
	v_add_co_ci_u32_e32 v37, vcc_lo, v115, v38, vcc_lo
	global_store_b16 v[36:37], v39, off
.LBB275_66:
	s_or_b32 exec_lo, exec_lo, s2
	v_add_nc_u32_e32 v36, 16, v32
	s_delay_alu instid0(VALU_DEP_1) | instskip(SKIP_1) | instid1(VALU_DEP_2)
	v_cmp_gt_i32_e64 s2, s16, v36
	v_ashrrev_i32_e32 v37, 31, v36
	s_and_b32 s4, s2, s8
	s_delay_alu instid0(SALU_CYCLE_1)
	s_and_saveexec_b32 s3, s4
	s_cbranch_execz .LBB275_71
; %bb.67:
	v_cmp_ne_u32_e32 vcc_lo, 1, v76
	s_cbranch_vccnz .LBB275_69
; %bb.68:
	v_lshlrev_b64 v[38:39], 1, v[36:37]
	s_delay_alu instid0(VALU_DEP_1) | instskip(NEXT) | instid1(VALU_DEP_2)
	v_add_co_u32 v38, vcc_lo, v116, v38
	v_add_co_ci_u32_e32 v39, vcc_lo, v117, v39, vcc_lo
	flat_load_u16 v38, v[38:39]
	s_waitcnt vmcnt(0) lgkmcnt(0)
	v_mul_f16_e32 v38, s24, v38
	s_branch .LBB275_70
.LBB275_69:
	v_mov_b32_e32 v38, 0
.LBB275_70:
	v_pk_add_f16 v39, v12, v28
	v_pk_max_f16 v40, v111, v111
	v_pk_add_f16 v41, v13, v29
	s_delay_alu instid0(VALU_DEP_2) | instskip(NEXT) | instid1(VALU_DEP_1)
	v_pk_min_f16 v39, v40, v39
	v_pk_min_f16 v41, v39, v41
	v_lshlrev_b64 v[39:40], 1, v[36:37]
	s_delay_alu instid0(VALU_DEP_2) | instskip(NEXT) | instid1(VALU_DEP_1)
	v_lshrrev_b32_e32 v42, 16, v41
	v_min3_f16 v41, v38, v41, v42
	s_delay_alu instid0(VALU_DEP_3) | instskip(NEXT) | instid1(VALU_DEP_4)
	v_add_co_u32 v38, vcc_lo, v114, v39
	v_add_co_ci_u32_e32 v39, vcc_lo, v115, v40, vcc_lo
	global_store_b16 v[38:39], v41, off
.LBB275_71:
	;; [unrolled: 39-line block ×6, first 2 shown]
	s_or_b32 exec_lo, exec_lo, s7
	v_add_nc_u32_e32 v46, 56, v32
	s_delay_alu instid0(VALU_DEP_1) | instskip(SKIP_1) | instid1(VALU_DEP_2)
	v_cmp_gt_i32_e64 s7, s16, v46
	v_ashrrev_i32_e32 v47, 31, v46
	s_and_b32 s14, s7, s8
	s_delay_alu instid0(SALU_CYCLE_1)
	s_and_saveexec_b32 s8, s14
	s_cbranch_execz .LBB275_96
; %bb.92:
	v_cmp_ne_u32_e32 vcc_lo, 1, v76
	s_cbranch_vccnz .LBB275_94
; %bb.93:
	v_lshlrev_b64 v[107:108], 1, v[46:47]
	s_delay_alu instid0(VALU_DEP_1) | instskip(NEXT) | instid1(VALU_DEP_2)
	v_add_co_u32 v107, vcc_lo, v116, v107
	v_add_co_ci_u32_e32 v108, vcc_lo, v117, v108, vcc_lo
	flat_load_u16 v107, v[107:108]
	s_waitcnt vmcnt(0) lgkmcnt(0)
	v_mul_f16_e32 v107, s24, v107
	s_branch .LBB275_95
.LBB275_94:
	v_mov_b32_e32 v107, 0
.LBB275_95:
	v_pk_add_f16 v28, v2, v28
	v_pk_max_f16 v106, v106, v106
	v_pk_add_f16 v29, v3, v29
	s_delay_alu instid0(VALU_DEP_2) | instskip(NEXT) | instid1(VALU_DEP_1)
	v_pk_min_f16 v28, v106, v28
	v_pk_min_f16 v106, v28, v29
	v_lshlrev_b64 v[28:29], 1, v[46:47]
	s_delay_alu instid0(VALU_DEP_2) | instskip(NEXT) | instid1(VALU_DEP_2)
	v_lshrrev_b32_e32 v108, 16, v106
	v_add_co_u32 v28, vcc_lo, v114, v28
	s_delay_alu instid0(VALU_DEP_3) | instskip(NEXT) | instid1(VALU_DEP_3)
	v_add_co_ci_u32_e32 v29, vcc_lo, v115, v29, vcc_lo
	v_min3_f16 v106, v107, v106, v108
	global_store_b16 v[28:29], v106, off
.LBB275_96:
	s_or_b32 exec_lo, exec_lo, s8
	v_add_nc_u32_e32 v108, 32, v85
	s_delay_alu instid0(VALU_DEP_1) | instskip(SKIP_2) | instid1(VALU_DEP_3)
	v_mad_i64_i32 v[28:29], null, v108, s18, 0
	v_mad_i64_i32 v[106:107], null, v108, s9, 0
	v_cmp_gt_i32_e64 s8, s17, v108
	v_lshlrev_b64 v[28:29], 1, v[28:29]
	s_delay_alu instid0(VALU_DEP_2) | instskip(NEXT) | instid1(VALU_DEP_3)
	s_and_b32 s15, s0, s8
	v_lshlrev_b64 v[108:109], 1, v[106:107]
	s_delay_alu instid0(VALU_DEP_2) | instskip(NEXT) | instid1(VALU_DEP_3)
	v_add_co_u32 v106, vcc_lo, s12, v28
	v_add_co_ci_u32_e32 v107, vcc_lo, s13, v29, vcc_lo
	s_delay_alu instid0(VALU_DEP_3) | instskip(NEXT) | instid1(VALU_DEP_4)
	v_add_co_u32 v28, vcc_lo, s10, v108
	v_add_co_ci_u32_e32 v29, vcc_lo, s11, v109, vcc_lo
	s_and_saveexec_b32 s14, s15
	s_cbranch_execnz .LBB275_104
; %bb.97:
	s_or_b32 exec_lo, exec_lo, s14
	s_and_b32 s15, s1, s8
	s_delay_alu instid0(SALU_CYCLE_1)
	s_and_saveexec_b32 s14, s15
	s_cbranch_execnz .LBB275_108
.LBB275_98:
	s_or_b32 exec_lo, exec_lo, s14
	s_and_b32 s15, s2, s8
	s_delay_alu instid0(SALU_CYCLE_1)
	s_and_saveexec_b32 s14, s15
	s_cbranch_execnz .LBB275_112
.LBB275_99:
	s_or_b32 exec_lo, exec_lo, s14
	s_and_b32 s15, s3, s8
	s_delay_alu instid0(SALU_CYCLE_1)
	s_and_saveexec_b32 s14, s15
	s_cbranch_execnz .LBB275_116
.LBB275_100:
	s_or_b32 exec_lo, exec_lo, s14
	s_and_b32 s15, s4, s8
	s_delay_alu instid0(SALU_CYCLE_1)
	s_and_saveexec_b32 s14, s15
	s_cbranch_execnz .LBB275_120
.LBB275_101:
	s_or_b32 exec_lo, exec_lo, s14
	s_and_b32 s15, s5, s8
	s_delay_alu instid0(SALU_CYCLE_1)
	s_and_saveexec_b32 s14, s15
	s_cbranch_execnz .LBB275_124
.LBB275_102:
	s_or_b32 exec_lo, exec_lo, s14
	s_and_b32 s15, s6, s8
	s_delay_alu instid0(SALU_CYCLE_1)
	s_and_saveexec_b32 s14, s15
	s_cbranch_execnz .LBB275_128
.LBB275_103:
	s_or_b32 exec_lo, exec_lo, s14
	s_and_b32 s14, s7, s8
	s_delay_alu instid0(SALU_CYCLE_1)
	s_and_saveexec_b32 s8, s14
	s_cbranch_execnz .LBB275_132
	s_branch .LBB275_136
.LBB275_104:
	v_cmp_ne_u32_e32 vcc_lo, 1, v76
	s_cbranch_vccnz .LBB275_106
; %bb.105:
	v_lshlrev_b64 v[108:109], 1, v[32:33]
	s_delay_alu instid0(VALU_DEP_1) | instskip(NEXT) | instid1(VALU_DEP_2)
	v_add_co_u32 v108, vcc_lo, v106, v108
	v_add_co_ci_u32_e32 v109, vcc_lo, v107, v109, vcc_lo
	flat_load_u16 v108, v[108:109]
	s_waitcnt vmcnt(0) lgkmcnt(0)
	v_mul_f16_e32 v108, s24, v108
	s_branch .LBB275_107
.LBB275_106:
	v_mov_b32_e32 v108, 0
.LBB275_107:
	v_pk_add_f16 v109, v16, v30
	v_pk_max_f16 v105, v105, v105
	v_pk_add_f16 v110, v17, v31
	s_delay_alu instid0(VALU_DEP_2) | instskip(NEXT) | instid1(VALU_DEP_1)
	v_pk_min_f16 v105, v105, v109
	v_pk_min_f16 v105, v105, v110
	v_lshlrev_b64 v[109:110], 1, v[32:33]
	s_delay_alu instid0(VALU_DEP_2) | instskip(NEXT) | instid1(VALU_DEP_1)
	v_lshrrev_b32_e32 v111, 16, v105
	v_min3_f16 v105, v108, v105, v111
	s_delay_alu instid0(VALU_DEP_3) | instskip(NEXT) | instid1(VALU_DEP_4)
	v_add_co_u32 v108, vcc_lo, v28, v109
	v_add_co_ci_u32_e32 v109, vcc_lo, v29, v110, vcc_lo
	global_store_b16 v[108:109], v105, off
	s_or_b32 exec_lo, exec_lo, s14
	s_and_b32 s15, s1, s8
	s_delay_alu instid0(SALU_CYCLE_1)
	s_and_saveexec_b32 s14, s15
	s_cbranch_execz .LBB275_98
.LBB275_108:
	v_cmp_ne_u32_e32 vcc_lo, 1, v76
	s_cbranch_vccnz .LBB275_110
; %bb.109:
	v_lshlrev_b64 v[108:109], 1, v[34:35]
	s_delay_alu instid0(VALU_DEP_1) | instskip(NEXT) | instid1(VALU_DEP_2)
	v_add_co_u32 v108, vcc_lo, v106, v108
	v_add_co_ci_u32_e32 v109, vcc_lo, v107, v109, vcc_lo
	flat_load_u16 v105, v[108:109]
	s_waitcnt vmcnt(0) lgkmcnt(0)
	v_mul_f16_e32 v105, s24, v105
	s_branch .LBB275_111
.LBB275_110:
	v_mov_b32_e32 v105, 0
.LBB275_111:
	v_pk_add_f16 v108, v18, v30
	v_pk_max_f16 v104, v104, v104
	v_pk_add_f16 v109, v19, v31
	s_delay_alu instid0(VALU_DEP_2) | instskip(NEXT) | instid1(VALU_DEP_1)
	v_pk_min_f16 v104, v104, v108
	v_pk_min_f16 v104, v104, v109
	v_lshlrev_b64 v[108:109], 1, v[34:35]
	s_delay_alu instid0(VALU_DEP_2) | instskip(NEXT) | instid1(VALU_DEP_1)
	v_lshrrev_b32_e32 v110, 16, v104
	v_min3_f16 v110, v105, v104, v110
	s_delay_alu instid0(VALU_DEP_3) | instskip(NEXT) | instid1(VALU_DEP_4)
	v_add_co_u32 v104, vcc_lo, v28, v108
	v_add_co_ci_u32_e32 v105, vcc_lo, v29, v109, vcc_lo
	global_store_b16 v[104:105], v110, off
	s_or_b32 exec_lo, exec_lo, s14
	s_and_b32 s15, s2, s8
	s_delay_alu instid0(SALU_CYCLE_1)
	s_and_saveexec_b32 s14, s15
	s_cbranch_execz .LBB275_99
.LBB275_112:
	v_cmp_ne_u32_e32 vcc_lo, 1, v76
	s_cbranch_vccnz .LBB275_114
; %bb.113:
	v_lshlrev_b64 v[104:105], 1, v[36:37]
	s_delay_alu instid0(VALU_DEP_1) | instskip(NEXT) | instid1(VALU_DEP_2)
	v_add_co_u32 v104, vcc_lo, v106, v104
	v_add_co_ci_u32_e32 v105, vcc_lo, v107, v105, vcc_lo
	flat_load_u16 v104, v[104:105]
	s_waitcnt vmcnt(0) lgkmcnt(0)
	v_mul_f16_e32 v104, s24, v104
	s_branch .LBB275_115
.LBB275_114:
	v_mov_b32_e32 v104, 0
.LBB275_115:
	v_pk_add_f16 v105, v12, v30
	v_pk_max_f16 v103, v103, v103
	v_pk_add_f16 v108, v13, v31
	s_delay_alu instid0(VALU_DEP_2) | instskip(NEXT) | instid1(VALU_DEP_1)
	v_pk_min_f16 v103, v103, v105
	v_pk_min_f16 v103, v103, v108
	v_lshlrev_b64 v[108:109], 1, v[36:37]
	s_delay_alu instid0(VALU_DEP_2) | instskip(NEXT) | instid1(VALU_DEP_1)
	v_lshrrev_b32_e32 v105, 16, v103
	v_min3_f16 v105, v104, v103, v105
	s_delay_alu instid0(VALU_DEP_3) | instskip(NEXT) | instid1(VALU_DEP_4)
	v_add_co_u32 v103, vcc_lo, v28, v108
	v_add_co_ci_u32_e32 v104, vcc_lo, v29, v109, vcc_lo
	global_store_b16 v[103:104], v105, off
	s_or_b32 exec_lo, exec_lo, s14
	s_and_b32 s15, s3, s8
	s_delay_alu instid0(SALU_CYCLE_1)
	s_and_saveexec_b32 s14, s15
	s_cbranch_execz .LBB275_100
.LBB275_116:
	v_cmp_ne_u32_e32 vcc_lo, 1, v76
	s_cbranch_vccnz .LBB275_118
; %bb.117:
	v_lshlrev_b64 v[103:104], 1, v[38:39]
	s_delay_alu instid0(VALU_DEP_1) | instskip(NEXT) | instid1(VALU_DEP_2)
	v_add_co_u32 v103, vcc_lo, v106, v103
	v_add_co_ci_u32_e32 v104, vcc_lo, v107, v104, vcc_lo
	flat_load_u16 v103, v[103:104]
	s_waitcnt vmcnt(0) lgkmcnt(0)
	v_mul_f16_e32 v103, s24, v103
	s_branch .LBB275_119
.LBB275_118:
	v_mov_b32_e32 v103, 0
.LBB275_119:
	v_pk_add_f16 v104, v14, v30
	v_pk_max_f16 v102, v102, v102
	v_pk_add_f16 v105, v15, v31
	s_delay_alu instid0(VALU_DEP_2) | instskip(NEXT) | instid1(VALU_DEP_1)
	v_pk_min_f16 v102, v102, v104
	v_pk_min_f16 v102, v102, v105
	v_lshlrev_b64 v[104:105], 1, v[38:39]
	s_delay_alu instid0(VALU_DEP_2) | instskip(NEXT) | instid1(VALU_DEP_1)
	v_lshrrev_b32_e32 v108, 16, v102
	v_min3_f16 v108, v103, v102, v108
	s_delay_alu instid0(VALU_DEP_3) | instskip(NEXT) | instid1(VALU_DEP_4)
	v_add_co_u32 v102, vcc_lo, v28, v104
	v_add_co_ci_u32_e32 v103, vcc_lo, v29, v105, vcc_lo
	global_store_b16 v[102:103], v108, off
	s_or_b32 exec_lo, exec_lo, s14
	s_and_b32 s15, s4, s8
	s_delay_alu instid0(SALU_CYCLE_1)
	s_and_saveexec_b32 s14, s15
	s_cbranch_execz .LBB275_101
.LBB275_120:
	v_cmp_ne_u32_e32 vcc_lo, 1, v76
	s_cbranch_vccnz .LBB275_122
; %bb.121:
	v_lshlrev_b64 v[102:103], 1, v[40:41]
	s_delay_alu instid0(VALU_DEP_1) | instskip(NEXT) | instid1(VALU_DEP_2)
	v_add_co_u32 v102, vcc_lo, v106, v102
	v_add_co_ci_u32_e32 v103, vcc_lo, v107, v103, vcc_lo
	flat_load_u16 v102, v[102:103]
	s_waitcnt vmcnt(0) lgkmcnt(0)
	v_mul_f16_e32 v102, s24, v102
	s_branch .LBB275_123
.LBB275_122:
	v_mov_b32_e32 v102, 0
.LBB275_123:
	v_pk_add_f16 v103, v8, v30
	v_pk_max_f16 v101, v101, v101
	v_pk_add_f16 v104, v9, v31
	s_delay_alu instid0(VALU_DEP_2) | instskip(NEXT) | instid1(VALU_DEP_1)
	v_pk_min_f16 v101, v101, v103
	v_pk_min_f16 v101, v101, v104
	v_lshlrev_b64 v[103:104], 1, v[40:41]
	s_delay_alu instid0(VALU_DEP_2) | instskip(NEXT) | instid1(VALU_DEP_1)
	v_lshrrev_b32_e32 v105, 16, v101
	v_min3_f16 v105, v102, v101, v105
	s_delay_alu instid0(VALU_DEP_3) | instskip(NEXT) | instid1(VALU_DEP_4)
	v_add_co_u32 v101, vcc_lo, v28, v103
	v_add_co_ci_u32_e32 v102, vcc_lo, v29, v104, vcc_lo
	global_store_b16 v[101:102], v105, off
	s_or_b32 exec_lo, exec_lo, s14
	s_and_b32 s15, s5, s8
	s_delay_alu instid0(SALU_CYCLE_1)
	s_and_saveexec_b32 s14, s15
	s_cbranch_execz .LBB275_102
.LBB275_124:
	v_cmp_ne_u32_e32 vcc_lo, 1, v76
	s_cbranch_vccnz .LBB275_126
; %bb.125:
	v_lshlrev_b64 v[101:102], 1, v[42:43]
	s_delay_alu instid0(VALU_DEP_1) | instskip(NEXT) | instid1(VALU_DEP_2)
	v_add_co_u32 v101, vcc_lo, v106, v101
	v_add_co_ci_u32_e32 v102, vcc_lo, v107, v102, vcc_lo
	flat_load_u16 v101, v[101:102]
	s_waitcnt vmcnt(0) lgkmcnt(0)
	v_mul_f16_e32 v101, s24, v101
	s_branch .LBB275_127
.LBB275_126:
	v_mov_b32_e32 v101, 0
.LBB275_127:
	v_pk_add_f16 v102, v10, v30
	v_pk_max_f16 v100, v100, v100
	v_pk_add_f16 v103, v11, v31
	s_delay_alu instid0(VALU_DEP_2) | instskip(NEXT) | instid1(VALU_DEP_1)
	v_pk_min_f16 v100, v100, v102
	v_pk_min_f16 v100, v100, v103
	v_lshlrev_b64 v[102:103], 1, v[42:43]
	s_delay_alu instid0(VALU_DEP_2) | instskip(NEXT) | instid1(VALU_DEP_1)
	v_lshrrev_b32_e32 v104, 16, v100
	v_min3_f16 v104, v101, v100, v104
	s_delay_alu instid0(VALU_DEP_3) | instskip(NEXT) | instid1(VALU_DEP_4)
	v_add_co_u32 v100, vcc_lo, v28, v102
	v_add_co_ci_u32_e32 v101, vcc_lo, v29, v103, vcc_lo
	global_store_b16 v[100:101], v104, off
	s_or_b32 exec_lo, exec_lo, s14
	s_and_b32 s15, s6, s8
	s_delay_alu instid0(SALU_CYCLE_1)
	s_and_saveexec_b32 s14, s15
	s_cbranch_execz .LBB275_103
.LBB275_128:
	v_cmp_ne_u32_e32 vcc_lo, 1, v76
	s_cbranch_vccnz .LBB275_130
; %bb.129:
	v_lshlrev_b64 v[100:101], 1, v[44:45]
	s_delay_alu instid0(VALU_DEP_1) | instskip(NEXT) | instid1(VALU_DEP_2)
	v_add_co_u32 v100, vcc_lo, v106, v100
	v_add_co_ci_u32_e32 v101, vcc_lo, v107, v101, vcc_lo
	flat_load_u16 v100, v[100:101]
	s_waitcnt vmcnt(0) lgkmcnt(0)
	v_mul_f16_e32 v100, s24, v100
	s_branch .LBB275_131
.LBB275_130:
	v_mov_b32_e32 v100, 0
.LBB275_131:
	v_pk_add_f16 v101, v0, v30
	v_pk_max_f16 v99, v99, v99
	v_pk_add_f16 v102, v1, v31
	s_delay_alu instid0(VALU_DEP_2) | instskip(NEXT) | instid1(VALU_DEP_1)
	v_pk_min_f16 v99, v99, v101
	v_pk_min_f16 v99, v99, v102
	v_lshlrev_b64 v[101:102], 1, v[44:45]
	s_delay_alu instid0(VALU_DEP_2) | instskip(NEXT) | instid1(VALU_DEP_1)
	v_lshrrev_b32_e32 v103, 16, v99
	v_min3_f16 v103, v100, v99, v103
	s_delay_alu instid0(VALU_DEP_3) | instskip(NEXT) | instid1(VALU_DEP_4)
	v_add_co_u32 v99, vcc_lo, v28, v101
	v_add_co_ci_u32_e32 v100, vcc_lo, v29, v102, vcc_lo
	global_store_b16 v[99:100], v103, off
	s_or_b32 exec_lo, exec_lo, s14
	s_and_b32 s14, s7, s8
	s_delay_alu instid0(SALU_CYCLE_1)
	s_and_saveexec_b32 s8, s14
	s_cbranch_execz .LBB275_136
.LBB275_132:
	v_cmp_ne_u32_e32 vcc_lo, 1, v76
	s_cbranch_vccnz .LBB275_134
; %bb.133:
	v_lshlrev_b64 v[99:100], 1, v[46:47]
	s_delay_alu instid0(VALU_DEP_1) | instskip(NEXT) | instid1(VALU_DEP_2)
	v_add_co_u32 v99, vcc_lo, v106, v99
	v_add_co_ci_u32_e32 v100, vcc_lo, v107, v100, vcc_lo
	flat_load_u16 v99, v[99:100]
	s_waitcnt vmcnt(0) lgkmcnt(0)
	v_mul_f16_e32 v99, s24, v99
	s_branch .LBB275_135
.LBB275_134:
	v_mov_b32_e32 v99, 0
.LBB275_135:
	v_pk_add_f16 v30, v2, v30
	v_pk_max_f16 v98, v98, v98
	v_pk_add_f16 v31, v3, v31
	s_delay_alu instid0(VALU_DEP_2) | instskip(NEXT) | instid1(VALU_DEP_1)
	v_pk_min_f16 v30, v98, v30
	v_pk_min_f16 v98, v30, v31
	v_lshlrev_b64 v[30:31], 1, v[46:47]
	s_delay_alu instid0(VALU_DEP_2) | instskip(NEXT) | instid1(VALU_DEP_2)
	v_lshrrev_b32_e32 v100, 16, v98
	v_add_co_u32 v28, vcc_lo, v28, v30
	s_delay_alu instid0(VALU_DEP_3) | instskip(NEXT) | instid1(VALU_DEP_3)
	v_add_co_ci_u32_e32 v29, vcc_lo, v29, v31, vcc_lo
	v_min3_f16 v98, v99, v98, v100
	global_store_b16 v[28:29], v98, off
.LBB275_136:
	s_or_b32 exec_lo, exec_lo, s8
	v_add_nc_u32_e32 v98, 64, v85
	s_delay_alu instid0(VALU_DEP_1) | instskip(SKIP_2) | instid1(VALU_DEP_3)
	v_mad_i64_i32 v[28:29], null, v98, s18, 0
	v_mad_i64_i32 v[30:31], null, v98, s9, 0
	v_cmp_gt_i32_e64 s8, s17, v98
	v_lshlrev_b64 v[28:29], 1, v[28:29]
	s_delay_alu instid0(VALU_DEP_2) | instskip(NEXT) | instid1(VALU_DEP_3)
	s_and_b32 s15, s0, s8
	v_lshlrev_b64 v[98:99], 1, v[30:31]
	s_delay_alu instid0(VALU_DEP_2) | instskip(NEXT) | instid1(VALU_DEP_3)
	v_add_co_u32 v30, vcc_lo, s12, v28
	v_add_co_ci_u32_e32 v31, vcc_lo, s13, v29, vcc_lo
	s_delay_alu instid0(VALU_DEP_3) | instskip(NEXT) | instid1(VALU_DEP_4)
	v_add_co_u32 v28, vcc_lo, s10, v98
	v_add_co_ci_u32_e32 v29, vcc_lo, s11, v99, vcc_lo
	s_and_saveexec_b32 s14, s15
	s_cbranch_execnz .LBB275_144
; %bb.137:
	s_or_b32 exec_lo, exec_lo, s14
	s_and_b32 s15, s1, s8
	s_delay_alu instid0(SALU_CYCLE_1)
	s_and_saveexec_b32 s14, s15
	s_cbranch_execnz .LBB275_148
.LBB275_138:
	s_or_b32 exec_lo, exec_lo, s14
	s_and_b32 s15, s2, s8
	s_delay_alu instid0(SALU_CYCLE_1)
	s_and_saveexec_b32 s14, s15
	s_cbranch_execnz .LBB275_152
.LBB275_139:
	s_or_b32 exec_lo, exec_lo, s14
	s_and_b32 s15, s3, s8
	s_delay_alu instid0(SALU_CYCLE_1)
	s_and_saveexec_b32 s14, s15
	s_cbranch_execnz .LBB275_156
.LBB275_140:
	s_or_b32 exec_lo, exec_lo, s14
	s_and_b32 s15, s4, s8
	s_delay_alu instid0(SALU_CYCLE_1)
	s_and_saveexec_b32 s14, s15
	s_cbranch_execnz .LBB275_160
.LBB275_141:
	s_or_b32 exec_lo, exec_lo, s14
	s_and_b32 s15, s5, s8
	s_delay_alu instid0(SALU_CYCLE_1)
	s_and_saveexec_b32 s14, s15
	s_cbranch_execnz .LBB275_164
.LBB275_142:
	s_or_b32 exec_lo, exec_lo, s14
	s_and_b32 s15, s6, s8
	s_delay_alu instid0(SALU_CYCLE_1)
	s_and_saveexec_b32 s14, s15
	s_cbranch_execnz .LBB275_168
.LBB275_143:
	s_or_b32 exec_lo, exec_lo, s14
	s_and_b32 s14, s7, s8
	s_delay_alu instid0(SALU_CYCLE_1)
	s_and_saveexec_b32 s8, s14
	s_cbranch_execnz .LBB275_172
	s_branch .LBB275_176
.LBB275_144:
	v_cmp_ne_u32_e32 vcc_lo, 1, v76
	s_cbranch_vccnz .LBB275_146
; %bb.145:
	v_lshlrev_b64 v[98:99], 1, v[32:33]
	s_delay_alu instid0(VALU_DEP_1) | instskip(NEXT) | instid1(VALU_DEP_2)
	v_add_co_u32 v98, vcc_lo, v30, v98
	v_add_co_ci_u32_e32 v99, vcc_lo, v31, v99, vcc_lo
	flat_load_u16 v98, v[98:99]
	s_waitcnt vmcnt(0) lgkmcnt(0)
	v_mul_f16_e32 v98, s24, v98
	s_branch .LBB275_147
.LBB275_146:
	v_mov_b32_e32 v98, 0
.LBB275_147:
	v_pk_add_f16 v99, v16, v24
	v_pk_max_f16 v97, v97, v97
	v_pk_add_f16 v100, v17, v25
	s_delay_alu instid0(VALU_DEP_2) | instskip(NEXT) | instid1(VALU_DEP_1)
	v_pk_min_f16 v97, v97, v99
	v_pk_min_f16 v97, v97, v100
	v_lshlrev_b64 v[99:100], 1, v[32:33]
	s_delay_alu instid0(VALU_DEP_2) | instskip(NEXT) | instid1(VALU_DEP_1)
	v_lshrrev_b32_e32 v101, 16, v97
	v_min3_f16 v101, v98, v97, v101
	s_delay_alu instid0(VALU_DEP_3) | instskip(NEXT) | instid1(VALU_DEP_4)
	v_add_co_u32 v97, vcc_lo, v28, v99
	v_add_co_ci_u32_e32 v98, vcc_lo, v29, v100, vcc_lo
	global_store_b16 v[97:98], v101, off
	s_or_b32 exec_lo, exec_lo, s14
	s_and_b32 s15, s1, s8
	s_delay_alu instid0(SALU_CYCLE_1)
	s_and_saveexec_b32 s14, s15
	s_cbranch_execz .LBB275_138
.LBB275_148:
	v_cmp_ne_u32_e32 vcc_lo, 1, v76
	s_cbranch_vccnz .LBB275_150
; %bb.149:
	v_lshlrev_b64 v[97:98], 1, v[34:35]
	s_delay_alu instid0(VALU_DEP_1) | instskip(NEXT) | instid1(VALU_DEP_2)
	v_add_co_u32 v97, vcc_lo, v30, v97
	v_add_co_ci_u32_e32 v98, vcc_lo, v31, v98, vcc_lo
	flat_load_u16 v97, v[97:98]
	s_waitcnt vmcnt(0) lgkmcnt(0)
	v_mul_f16_e32 v97, s24, v97
	s_branch .LBB275_151
.LBB275_150:
	v_mov_b32_e32 v97, 0
.LBB275_151:
	v_pk_add_f16 v98, v18, v24
	v_pk_max_f16 v96, v96, v96
	v_pk_add_f16 v99, v19, v25
	s_delay_alu instid0(VALU_DEP_2) | instskip(NEXT) | instid1(VALU_DEP_1)
	v_pk_min_f16 v96, v96, v98
	v_pk_min_f16 v96, v96, v99
	v_lshlrev_b64 v[98:99], 1, v[34:35]
	s_delay_alu instid0(VALU_DEP_2) | instskip(NEXT) | instid1(VALU_DEP_1)
	v_lshrrev_b32_e32 v100, 16, v96
	v_min3_f16 v100, v97, v96, v100
	s_delay_alu instid0(VALU_DEP_3) | instskip(NEXT) | instid1(VALU_DEP_4)
	v_add_co_u32 v96, vcc_lo, v28, v98
	v_add_co_ci_u32_e32 v97, vcc_lo, v29, v99, vcc_lo
	global_store_b16 v[96:97], v100, off
	s_or_b32 exec_lo, exec_lo, s14
	s_and_b32 s15, s2, s8
	s_delay_alu instid0(SALU_CYCLE_1)
	s_and_saveexec_b32 s14, s15
	s_cbranch_execz .LBB275_139
.LBB275_152:
	v_cmp_ne_u32_e32 vcc_lo, 1, v76
	s_cbranch_vccnz .LBB275_154
; %bb.153:
	v_lshlrev_b64 v[96:97], 1, v[36:37]
	s_delay_alu instid0(VALU_DEP_1) | instskip(NEXT) | instid1(VALU_DEP_2)
	v_add_co_u32 v96, vcc_lo, v30, v96
	v_add_co_ci_u32_e32 v97, vcc_lo, v31, v97, vcc_lo
	flat_load_u16 v96, v[96:97]
	s_waitcnt vmcnt(0) lgkmcnt(0)
	v_mul_f16_e32 v96, s24, v96
	s_branch .LBB275_155
.LBB275_154:
	v_mov_b32_e32 v96, 0
.LBB275_155:
	v_pk_add_f16 v97, v12, v24
	v_pk_max_f16 v95, v95, v95
	v_pk_add_f16 v98, v13, v25
	s_delay_alu instid0(VALU_DEP_2) | instskip(NEXT) | instid1(VALU_DEP_1)
	v_pk_min_f16 v95, v95, v97
	v_pk_min_f16 v95, v95, v98
	v_lshlrev_b64 v[97:98], 1, v[36:37]
	s_delay_alu instid0(VALU_DEP_2) | instskip(NEXT) | instid1(VALU_DEP_1)
	v_lshrrev_b32_e32 v99, 16, v95
	v_min3_f16 v99, v96, v95, v99
	s_delay_alu instid0(VALU_DEP_3) | instskip(NEXT) | instid1(VALU_DEP_4)
	v_add_co_u32 v95, vcc_lo, v28, v97
	v_add_co_ci_u32_e32 v96, vcc_lo, v29, v98, vcc_lo
	global_store_b16 v[95:96], v99, off
	s_or_b32 exec_lo, exec_lo, s14
	s_and_b32 s15, s3, s8
	s_delay_alu instid0(SALU_CYCLE_1)
	s_and_saveexec_b32 s14, s15
	s_cbranch_execz .LBB275_140
.LBB275_156:
	v_cmp_ne_u32_e32 vcc_lo, 1, v76
	s_cbranch_vccnz .LBB275_158
; %bb.157:
	v_lshlrev_b64 v[95:96], 1, v[38:39]
	s_delay_alu instid0(VALU_DEP_1) | instskip(NEXT) | instid1(VALU_DEP_2)
	v_add_co_u32 v95, vcc_lo, v30, v95
	v_add_co_ci_u32_e32 v96, vcc_lo, v31, v96, vcc_lo
	flat_load_u16 v95, v[95:96]
	s_waitcnt vmcnt(0) lgkmcnt(0)
	v_mul_f16_e32 v95, s24, v95
	s_branch .LBB275_159
.LBB275_158:
	v_mov_b32_e32 v95, 0
.LBB275_159:
	v_pk_add_f16 v96, v14, v24
	v_pk_max_f16 v94, v94, v94
	v_pk_add_f16 v97, v15, v25
	s_delay_alu instid0(VALU_DEP_2) | instskip(NEXT) | instid1(VALU_DEP_1)
	v_pk_min_f16 v94, v94, v96
	v_pk_min_f16 v94, v94, v97
	v_lshlrev_b64 v[96:97], 1, v[38:39]
	s_delay_alu instid0(VALU_DEP_2) | instskip(NEXT) | instid1(VALU_DEP_1)
	v_lshrrev_b32_e32 v98, 16, v94
	v_min3_f16 v98, v95, v94, v98
	s_delay_alu instid0(VALU_DEP_3) | instskip(NEXT) | instid1(VALU_DEP_4)
	v_add_co_u32 v94, vcc_lo, v28, v96
	v_add_co_ci_u32_e32 v95, vcc_lo, v29, v97, vcc_lo
	global_store_b16 v[94:95], v98, off
	s_or_b32 exec_lo, exec_lo, s14
	s_and_b32 s15, s4, s8
	s_delay_alu instid0(SALU_CYCLE_1)
	s_and_saveexec_b32 s14, s15
	s_cbranch_execz .LBB275_141
.LBB275_160:
	v_cmp_ne_u32_e32 vcc_lo, 1, v76
	s_cbranch_vccnz .LBB275_162
; %bb.161:
	v_lshlrev_b64 v[94:95], 1, v[40:41]
	s_delay_alu instid0(VALU_DEP_1) | instskip(NEXT) | instid1(VALU_DEP_2)
	v_add_co_u32 v94, vcc_lo, v30, v94
	v_add_co_ci_u32_e32 v95, vcc_lo, v31, v95, vcc_lo
	flat_load_u16 v94, v[94:95]
	s_waitcnt vmcnt(0) lgkmcnt(0)
	v_mul_f16_e32 v94, s24, v94
	s_branch .LBB275_163
.LBB275_162:
	v_mov_b32_e32 v94, 0
.LBB275_163:
	v_pk_add_f16 v95, v8, v24
	v_pk_max_f16 v93, v93, v93
	v_pk_add_f16 v96, v9, v25
	s_delay_alu instid0(VALU_DEP_2) | instskip(NEXT) | instid1(VALU_DEP_1)
	v_pk_min_f16 v93, v93, v95
	v_pk_min_f16 v93, v93, v96
	v_lshlrev_b64 v[95:96], 1, v[40:41]
	s_delay_alu instid0(VALU_DEP_2) | instskip(NEXT) | instid1(VALU_DEP_1)
	v_lshrrev_b32_e32 v97, 16, v93
	v_min3_f16 v97, v94, v93, v97
	s_delay_alu instid0(VALU_DEP_3) | instskip(NEXT) | instid1(VALU_DEP_4)
	v_add_co_u32 v93, vcc_lo, v28, v95
	v_add_co_ci_u32_e32 v94, vcc_lo, v29, v96, vcc_lo
	global_store_b16 v[93:94], v97, off
	s_or_b32 exec_lo, exec_lo, s14
	s_and_b32 s15, s5, s8
	s_delay_alu instid0(SALU_CYCLE_1)
	s_and_saveexec_b32 s14, s15
	s_cbranch_execz .LBB275_142
.LBB275_164:
	v_cmp_ne_u32_e32 vcc_lo, 1, v76
	s_cbranch_vccnz .LBB275_166
; %bb.165:
	v_lshlrev_b64 v[93:94], 1, v[42:43]
	s_delay_alu instid0(VALU_DEP_1) | instskip(NEXT) | instid1(VALU_DEP_2)
	v_add_co_u32 v93, vcc_lo, v30, v93
	v_add_co_ci_u32_e32 v94, vcc_lo, v31, v94, vcc_lo
	flat_load_u16 v93, v[93:94]
	s_waitcnt vmcnt(0) lgkmcnt(0)
	v_mul_f16_e32 v93, s24, v93
	s_branch .LBB275_167
.LBB275_166:
	v_mov_b32_e32 v93, 0
.LBB275_167:
	v_pk_add_f16 v94, v10, v24
	v_pk_max_f16 v92, v92, v92
	v_pk_add_f16 v95, v11, v25
	s_delay_alu instid0(VALU_DEP_2) | instskip(NEXT) | instid1(VALU_DEP_1)
	v_pk_min_f16 v92, v92, v94
	v_pk_min_f16 v92, v92, v95
	v_lshlrev_b64 v[94:95], 1, v[42:43]
	s_delay_alu instid0(VALU_DEP_2) | instskip(NEXT) | instid1(VALU_DEP_1)
	v_lshrrev_b32_e32 v96, 16, v92
	v_min3_f16 v96, v93, v92, v96
	s_delay_alu instid0(VALU_DEP_3) | instskip(NEXT) | instid1(VALU_DEP_4)
	v_add_co_u32 v92, vcc_lo, v28, v94
	v_add_co_ci_u32_e32 v93, vcc_lo, v29, v95, vcc_lo
	global_store_b16 v[92:93], v96, off
	s_or_b32 exec_lo, exec_lo, s14
	s_and_b32 s15, s6, s8
	s_delay_alu instid0(SALU_CYCLE_1)
	s_and_saveexec_b32 s14, s15
	s_cbranch_execz .LBB275_143
.LBB275_168:
	v_cmp_ne_u32_e32 vcc_lo, 1, v76
	s_cbranch_vccnz .LBB275_170
; %bb.169:
	v_lshlrev_b64 v[92:93], 1, v[44:45]
	s_delay_alu instid0(VALU_DEP_1) | instskip(NEXT) | instid1(VALU_DEP_2)
	v_add_co_u32 v92, vcc_lo, v30, v92
	v_add_co_ci_u32_e32 v93, vcc_lo, v31, v93, vcc_lo
	flat_load_u16 v92, v[92:93]
	s_waitcnt vmcnt(0) lgkmcnt(0)
	v_mul_f16_e32 v92, s24, v92
	s_branch .LBB275_171
.LBB275_170:
	v_mov_b32_e32 v92, 0
.LBB275_171:
	v_pk_add_f16 v93, v0, v24
	v_pk_max_f16 v91, v91, v91
	v_pk_add_f16 v94, v1, v25
	s_delay_alu instid0(VALU_DEP_2) | instskip(NEXT) | instid1(VALU_DEP_1)
	v_pk_min_f16 v91, v91, v93
	v_pk_min_f16 v91, v91, v94
	v_lshlrev_b64 v[93:94], 1, v[44:45]
	s_delay_alu instid0(VALU_DEP_2) | instskip(NEXT) | instid1(VALU_DEP_1)
	v_lshrrev_b32_e32 v95, 16, v91
	v_min3_f16 v95, v92, v91, v95
	s_delay_alu instid0(VALU_DEP_3) | instskip(NEXT) | instid1(VALU_DEP_4)
	v_add_co_u32 v91, vcc_lo, v28, v93
	v_add_co_ci_u32_e32 v92, vcc_lo, v29, v94, vcc_lo
	global_store_b16 v[91:92], v95, off
	s_or_b32 exec_lo, exec_lo, s14
	s_and_b32 s14, s7, s8
	s_delay_alu instid0(SALU_CYCLE_1)
	s_and_saveexec_b32 s8, s14
	s_cbranch_execz .LBB275_176
.LBB275_172:
	v_cmp_ne_u32_e32 vcc_lo, 1, v76
	s_cbranch_vccnz .LBB275_174
; %bb.173:
	v_lshlrev_b64 v[91:92], 1, v[46:47]
	s_delay_alu instid0(VALU_DEP_1) | instskip(NEXT) | instid1(VALU_DEP_2)
	v_add_co_u32 v30, vcc_lo, v30, v91
	v_add_co_ci_u32_e32 v31, vcc_lo, v31, v92, vcc_lo
	flat_load_u16 v30, v[30:31]
	s_waitcnt vmcnt(0) lgkmcnt(0)
	v_mul_f16_e32 v30, s24, v30
	s_branch .LBB275_175
.LBB275_174:
	v_mov_b32_e32 v30, 0
.LBB275_175:
	v_pk_add_f16 v24, v2, v24
	v_pk_max_f16 v31, v90, v90
	v_pk_add_f16 v25, v3, v25
	s_delay_alu instid0(VALU_DEP_2) | instskip(NEXT) | instid1(VALU_DEP_1)
	v_pk_min_f16 v24, v31, v24
	v_pk_min_f16 v31, v24, v25
	v_lshlrev_b64 v[24:25], 1, v[46:47]
	s_delay_alu instid0(VALU_DEP_2) | instskip(NEXT) | instid1(VALU_DEP_2)
	v_lshrrev_b32_e32 v90, 16, v31
	v_add_co_u32 v24, vcc_lo, v28, v24
	s_delay_alu instid0(VALU_DEP_3) | instskip(NEXT) | instid1(VALU_DEP_3)
	v_add_co_ci_u32_e32 v25, vcc_lo, v29, v25, vcc_lo
	v_min3_f16 v30, v30, v31, v90
	global_store_b16 v[24:25], v30, off
.LBB275_176:
	s_or_b32 exec_lo, exec_lo, s8
	v_add_nc_u32_e32 v30, 0x60, v85
	s_delay_alu instid0(VALU_DEP_1) | instskip(SKIP_2) | instid1(VALU_DEP_3)
	v_mad_i64_i32 v[24:25], null, v30, s18, 0
	v_mad_i64_i32 v[28:29], null, v30, s9, 0
	v_cmp_gt_i32_e64 s8, s17, v30
	v_lshlrev_b64 v[24:25], 1, v[24:25]
	s_delay_alu instid0(VALU_DEP_2) | instskip(NEXT) | instid1(VALU_DEP_3)
	s_and_b32 s15, s0, s8
	v_lshlrev_b64 v[30:31], 1, v[28:29]
	s_delay_alu instid0(VALU_DEP_2) | instskip(NEXT) | instid1(VALU_DEP_3)
	v_add_co_u32 v28, vcc_lo, s12, v24
	v_add_co_ci_u32_e32 v29, vcc_lo, s13, v25, vcc_lo
	s_delay_alu instid0(VALU_DEP_3) | instskip(NEXT) | instid1(VALU_DEP_4)
	v_add_co_u32 v24, vcc_lo, s10, v30
	v_add_co_ci_u32_e32 v25, vcc_lo, s11, v31, vcc_lo
	s_and_saveexec_b32 s14, s15
	s_cbranch_execnz .LBB275_184
; %bb.177:
	s_or_b32 exec_lo, exec_lo, s14
	s_and_b32 s15, s1, s8
	s_delay_alu instid0(SALU_CYCLE_1)
	s_and_saveexec_b32 s14, s15
	s_cbranch_execnz .LBB275_188
.LBB275_178:
	s_or_b32 exec_lo, exec_lo, s14
	s_and_b32 s15, s2, s8
	s_delay_alu instid0(SALU_CYCLE_1)
	s_and_saveexec_b32 s14, s15
	s_cbranch_execnz .LBB275_192
.LBB275_179:
	s_or_b32 exec_lo, exec_lo, s14
	s_and_b32 s15, s3, s8
	s_delay_alu instid0(SALU_CYCLE_1)
	s_and_saveexec_b32 s14, s15
	s_cbranch_execnz .LBB275_196
.LBB275_180:
	s_or_b32 exec_lo, exec_lo, s14
	s_and_b32 s15, s4, s8
	s_delay_alu instid0(SALU_CYCLE_1)
	s_and_saveexec_b32 s14, s15
	s_cbranch_execnz .LBB275_200
.LBB275_181:
	s_or_b32 exec_lo, exec_lo, s14
	s_and_b32 s15, s5, s8
	s_delay_alu instid0(SALU_CYCLE_1)
	s_and_saveexec_b32 s14, s15
	s_cbranch_execnz .LBB275_204
.LBB275_182:
	s_or_b32 exec_lo, exec_lo, s14
	s_and_b32 s15, s6, s8
	s_delay_alu instid0(SALU_CYCLE_1)
	s_and_saveexec_b32 s14, s15
	s_cbranch_execnz .LBB275_208
.LBB275_183:
	s_or_b32 exec_lo, exec_lo, s14
	s_and_b32 s14, s7, s8
	s_delay_alu instid0(SALU_CYCLE_1)
	s_and_saveexec_b32 s8, s14
	s_cbranch_execnz .LBB275_212
	s_branch .LBB275_216
.LBB275_184:
	v_cmp_ne_u32_e32 vcc_lo, 1, v76
	s_cbranch_vccnz .LBB275_186
; %bb.185:
	v_lshlrev_b64 v[30:31], 1, v[32:33]
	s_delay_alu instid0(VALU_DEP_1) | instskip(NEXT) | instid1(VALU_DEP_2)
	v_add_co_u32 v30, vcc_lo, v28, v30
	v_add_co_ci_u32_e32 v31, vcc_lo, v29, v31, vcc_lo
	flat_load_u16 v30, v[30:31]
	s_waitcnt vmcnt(0) lgkmcnt(0)
	v_mul_f16_e32 v30, s24, v30
	s_branch .LBB275_187
.LBB275_186:
	v_mov_b32_e32 v30, 0
.LBB275_187:
	v_pk_add_f16 v31, v16, v26
	v_pk_max_f16 v89, v89, v89
	v_pk_add_f16 v90, v17, v27
	s_delay_alu instid0(VALU_DEP_2) | instskip(NEXT) | instid1(VALU_DEP_1)
	v_pk_min_f16 v31, v89, v31
	v_pk_min_f16 v31, v31, v90
	v_lshlrev_b64 v[89:90], 1, v[32:33]
	s_delay_alu instid0(VALU_DEP_2) | instskip(NEXT) | instid1(VALU_DEP_1)
	v_lshrrev_b32_e32 v91, 16, v31
	v_min3_f16 v91, v30, v31, v91
	s_delay_alu instid0(VALU_DEP_3) | instskip(NEXT) | instid1(VALU_DEP_4)
	v_add_co_u32 v30, vcc_lo, v24, v89
	v_add_co_ci_u32_e32 v31, vcc_lo, v25, v90, vcc_lo
	global_store_b16 v[30:31], v91, off
	s_or_b32 exec_lo, exec_lo, s14
	s_and_b32 s15, s1, s8
	s_delay_alu instid0(SALU_CYCLE_1)
	s_and_saveexec_b32 s14, s15
	s_cbranch_execz .LBB275_178
.LBB275_188:
	v_cmp_ne_u32_e32 vcc_lo, 1, v76
	s_cbranch_vccnz .LBB275_190
; %bb.189:
	v_lshlrev_b64 v[30:31], 1, v[34:35]
	s_delay_alu instid0(VALU_DEP_1) | instskip(NEXT) | instid1(VALU_DEP_2)
	v_add_co_u32 v30, vcc_lo, v28, v30
	v_add_co_ci_u32_e32 v31, vcc_lo, v29, v31, vcc_lo
	flat_load_u16 v30, v[30:31]
	s_waitcnt vmcnt(0) lgkmcnt(0)
	v_mul_f16_e32 v30, s24, v30
	s_branch .LBB275_191
.LBB275_190:
	v_mov_b32_e32 v30, 0
.LBB275_191:
	v_pk_add_f16 v31, v18, v26
	v_pk_max_f16 v88, v88, v88
	v_pk_add_f16 v89, v19, v27
	s_delay_alu instid0(VALU_DEP_2) | instskip(NEXT) | instid1(VALU_DEP_1)
	v_pk_min_f16 v31, v88, v31
	v_pk_min_f16 v31, v31, v89
	v_lshlrev_b64 v[88:89], 1, v[34:35]
	s_delay_alu instid0(VALU_DEP_2) | instskip(NEXT) | instid1(VALU_DEP_1)
	v_lshrrev_b32_e32 v90, 16, v31
	v_min3_f16 v90, v30, v31, v90
	s_delay_alu instid0(VALU_DEP_3) | instskip(NEXT) | instid1(VALU_DEP_4)
	v_add_co_u32 v30, vcc_lo, v24, v88
	v_add_co_ci_u32_e32 v31, vcc_lo, v25, v89, vcc_lo
	global_store_b16 v[30:31], v90, off
	s_or_b32 exec_lo, exec_lo, s14
	s_and_b32 s15, s2, s8
	s_delay_alu instid0(SALU_CYCLE_1)
	s_and_saveexec_b32 s14, s15
	s_cbranch_execz .LBB275_179
.LBB275_192:
	v_cmp_ne_u32_e32 vcc_lo, 1, v76
	s_cbranch_vccnz .LBB275_194
; %bb.193:
	v_lshlrev_b64 v[30:31], 1, v[36:37]
	s_delay_alu instid0(VALU_DEP_1) | instskip(NEXT) | instid1(VALU_DEP_2)
	v_add_co_u32 v30, vcc_lo, v28, v30
	v_add_co_ci_u32_e32 v31, vcc_lo, v29, v31, vcc_lo
	flat_load_u16 v30, v[30:31]
	s_waitcnt vmcnt(0) lgkmcnt(0)
	v_mul_f16_e32 v30, s24, v30
	s_branch .LBB275_195
.LBB275_194:
	v_mov_b32_e32 v30, 0
.LBB275_195:
	v_pk_add_f16 v31, v12, v26
	v_pk_max_f16 v87, v87, v87
	v_pk_add_f16 v88, v13, v27
	s_delay_alu instid0(VALU_DEP_2) | instskip(NEXT) | instid1(VALU_DEP_1)
	v_pk_min_f16 v31, v87, v31
	v_pk_min_f16 v31, v31, v88
	v_lshlrev_b64 v[87:88], 1, v[36:37]
	s_delay_alu instid0(VALU_DEP_2) | instskip(NEXT) | instid1(VALU_DEP_1)
	v_lshrrev_b32_e32 v89, 16, v31
	v_min3_f16 v89, v30, v31, v89
	s_delay_alu instid0(VALU_DEP_3) | instskip(NEXT) | instid1(VALU_DEP_4)
	v_add_co_u32 v30, vcc_lo, v24, v87
	v_add_co_ci_u32_e32 v31, vcc_lo, v25, v88, vcc_lo
	global_store_b16 v[30:31], v89, off
	s_or_b32 exec_lo, exec_lo, s14
	s_and_b32 s15, s3, s8
	s_delay_alu instid0(SALU_CYCLE_1)
	s_and_saveexec_b32 s14, s15
	s_cbranch_execz .LBB275_180
.LBB275_196:
	v_cmp_ne_u32_e32 vcc_lo, 1, v76
	s_cbranch_vccnz .LBB275_198
; %bb.197:
	v_lshlrev_b64 v[30:31], 1, v[38:39]
	s_delay_alu instid0(VALU_DEP_1) | instskip(NEXT) | instid1(VALU_DEP_2)
	v_add_co_u32 v30, vcc_lo, v28, v30
	v_add_co_ci_u32_e32 v31, vcc_lo, v29, v31, vcc_lo
	flat_load_u16 v30, v[30:31]
	s_waitcnt vmcnt(0) lgkmcnt(0)
	v_mul_f16_e32 v30, s24, v30
	s_branch .LBB275_199
.LBB275_198:
	v_mov_b32_e32 v30, 0
.LBB275_199:
	v_pk_add_f16 v31, v14, v26
	v_pk_max_f16 v86, v86, v86
	v_pk_add_f16 v87, v15, v27
	s_delay_alu instid0(VALU_DEP_2) | instskip(NEXT) | instid1(VALU_DEP_1)
	v_pk_min_f16 v31, v86, v31
	v_pk_min_f16 v31, v31, v87
	v_lshlrev_b64 v[86:87], 1, v[38:39]
	s_delay_alu instid0(VALU_DEP_2) | instskip(NEXT) | instid1(VALU_DEP_1)
	v_lshrrev_b32_e32 v88, 16, v31
	v_min3_f16 v88, v30, v31, v88
	s_delay_alu instid0(VALU_DEP_3) | instskip(NEXT) | instid1(VALU_DEP_4)
	v_add_co_u32 v30, vcc_lo, v24, v86
	v_add_co_ci_u32_e32 v31, vcc_lo, v25, v87, vcc_lo
	global_store_b16 v[30:31], v88, off
	s_or_b32 exec_lo, exec_lo, s14
	s_and_b32 s15, s4, s8
	s_delay_alu instid0(SALU_CYCLE_1)
	s_and_saveexec_b32 s14, s15
	s_cbranch_execz .LBB275_181
.LBB275_200:
	v_cmp_ne_u32_e32 vcc_lo, 1, v76
	s_cbranch_vccnz .LBB275_202
; %bb.201:
	v_lshlrev_b64 v[30:31], 1, v[40:41]
	s_delay_alu instid0(VALU_DEP_1) | instskip(NEXT) | instid1(VALU_DEP_2)
	v_add_co_u32 v30, vcc_lo, v28, v30
	v_add_co_ci_u32_e32 v31, vcc_lo, v29, v31, vcc_lo
	flat_load_u16 v30, v[30:31]
	s_waitcnt vmcnt(0) lgkmcnt(0)
	v_mul_f16_e32 v30, s24, v30
	s_branch .LBB275_203
.LBB275_202:
	v_mov_b32_e32 v30, 0
.LBB275_203:
	v_pk_add_f16 v31, v8, v26
	v_pk_max_f16 v84, v84, v84
	v_pk_add_f16 v86, v9, v27
	s_delay_alu instid0(VALU_DEP_2) | instskip(NEXT) | instid1(VALU_DEP_1)
	v_pk_min_f16 v31, v84, v31
	v_pk_min_f16 v31, v31, v86
	v_lshlrev_b64 v[86:87], 1, v[40:41]
	s_delay_alu instid0(VALU_DEP_2) | instskip(NEXT) | instid1(VALU_DEP_1)
	v_lshrrev_b32_e32 v84, 16, v31
	v_min3_f16 v84, v30, v31, v84
	s_delay_alu instid0(VALU_DEP_3) | instskip(NEXT) | instid1(VALU_DEP_4)
	v_add_co_u32 v30, vcc_lo, v24, v86
	v_add_co_ci_u32_e32 v31, vcc_lo, v25, v87, vcc_lo
	global_store_b16 v[30:31], v84, off
	s_or_b32 exec_lo, exec_lo, s14
	s_and_b32 s15, s5, s8
	s_delay_alu instid0(SALU_CYCLE_1)
	s_and_saveexec_b32 s14, s15
	s_cbranch_execz .LBB275_182
.LBB275_204:
	v_cmp_ne_u32_e32 vcc_lo, 1, v76
	s_cbranch_vccnz .LBB275_206
; %bb.205:
	v_lshlrev_b64 v[30:31], 1, v[42:43]
	s_delay_alu instid0(VALU_DEP_1) | instskip(NEXT) | instid1(VALU_DEP_2)
	v_add_co_u32 v30, vcc_lo, v28, v30
	v_add_co_ci_u32_e32 v31, vcc_lo, v29, v31, vcc_lo
	flat_load_u16 v30, v[30:31]
	s_waitcnt vmcnt(0) lgkmcnt(0)
	v_mul_f16_e32 v30, s24, v30
	s_branch .LBB275_207
.LBB275_206:
	v_mov_b32_e32 v30, 0
.LBB275_207:
	v_pk_add_f16 v31, v10, v26
	v_pk_max_f16 v83, v83, v83
	v_pk_add_f16 v84, v11, v27
	s_delay_alu instid0(VALU_DEP_2) | instskip(NEXT) | instid1(VALU_DEP_1)
	v_pk_min_f16 v31, v83, v31
	v_pk_min_f16 v31, v31, v84
	v_lshlrev_b64 v[83:84], 1, v[42:43]
	s_delay_alu instid0(VALU_DEP_2) | instskip(NEXT) | instid1(VALU_DEP_1)
	v_lshrrev_b32_e32 v86, 16, v31
	v_min3_f16 v86, v30, v31, v86
	s_delay_alu instid0(VALU_DEP_3) | instskip(NEXT) | instid1(VALU_DEP_4)
	v_add_co_u32 v30, vcc_lo, v24, v83
	v_add_co_ci_u32_e32 v31, vcc_lo, v25, v84, vcc_lo
	global_store_b16 v[30:31], v86, off
	s_or_b32 exec_lo, exec_lo, s14
	s_and_b32 s15, s6, s8
	s_delay_alu instid0(SALU_CYCLE_1)
	s_and_saveexec_b32 s14, s15
	s_cbranch_execz .LBB275_183
.LBB275_208:
	v_cmp_ne_u32_e32 vcc_lo, 1, v76
	s_cbranch_vccnz .LBB275_210
; %bb.209:
	v_lshlrev_b64 v[30:31], 1, v[44:45]
	s_delay_alu instid0(VALU_DEP_1) | instskip(NEXT) | instid1(VALU_DEP_2)
	v_add_co_u32 v30, vcc_lo, v28, v30
	v_add_co_ci_u32_e32 v31, vcc_lo, v29, v31, vcc_lo
	flat_load_u16 v30, v[30:31]
	s_waitcnt vmcnt(0) lgkmcnt(0)
	v_mul_f16_e32 v30, s24, v30
	s_branch .LBB275_211
.LBB275_210:
	v_mov_b32_e32 v30, 0
.LBB275_211:
	v_pk_add_f16 v31, v0, v26
	v_pk_max_f16 v82, v82, v82
	v_pk_add_f16 v83, v1, v27
	s_delay_alu instid0(VALU_DEP_2) | instskip(NEXT) | instid1(VALU_DEP_1)
	v_pk_min_f16 v31, v82, v31
	v_pk_min_f16 v31, v31, v83
	v_lshlrev_b64 v[82:83], 1, v[44:45]
	s_delay_alu instid0(VALU_DEP_2) | instskip(NEXT) | instid1(VALU_DEP_1)
	v_lshrrev_b32_e32 v84, 16, v31
	v_min3_f16 v84, v30, v31, v84
	s_delay_alu instid0(VALU_DEP_3) | instskip(NEXT) | instid1(VALU_DEP_4)
	v_add_co_u32 v30, vcc_lo, v24, v82
	v_add_co_ci_u32_e32 v31, vcc_lo, v25, v83, vcc_lo
	global_store_b16 v[30:31], v84, off
	s_or_b32 exec_lo, exec_lo, s14
	s_and_b32 s14, s7, s8
	s_delay_alu instid0(SALU_CYCLE_1)
	s_and_saveexec_b32 s8, s14
	s_cbranch_execz .LBB275_216
.LBB275_212:
	v_cmp_ne_u32_e32 vcc_lo, 1, v76
	s_cbranch_vccnz .LBB275_214
; %bb.213:
	v_lshlrev_b64 v[30:31], 1, v[46:47]
	s_delay_alu instid0(VALU_DEP_1) | instskip(NEXT) | instid1(VALU_DEP_2)
	v_add_co_u32 v28, vcc_lo, v28, v30
	v_add_co_ci_u32_e32 v29, vcc_lo, v29, v31, vcc_lo
	flat_load_u16 v28, v[28:29]
	s_waitcnt vmcnt(0) lgkmcnt(0)
	v_mul_f16_e32 v28, s24, v28
	s_branch .LBB275_215
.LBB275_214:
	v_mov_b32_e32 v28, 0
.LBB275_215:
	v_pk_add_f16 v26, v2, v26
	v_pk_max_f16 v29, v81, v81
	v_pk_add_f16 v27, v3, v27
	s_delay_alu instid0(VALU_DEP_2) | instskip(NEXT) | instid1(VALU_DEP_1)
	v_pk_min_f16 v26, v29, v26
	v_pk_min_f16 v29, v26, v27
	v_lshlrev_b64 v[26:27], 1, v[46:47]
	s_delay_alu instid0(VALU_DEP_2) | instskip(NEXT) | instid1(VALU_DEP_2)
	v_lshrrev_b32_e32 v30, 16, v29
	v_add_co_u32 v24, vcc_lo, v24, v26
	s_delay_alu instid0(VALU_DEP_3) | instskip(NEXT) | instid1(VALU_DEP_3)
	v_add_co_ci_u32_e32 v25, vcc_lo, v25, v27, vcc_lo
	v_min3_f16 v28, v28, v29, v30
	global_store_b16 v[24:25], v28, off
.LBB275_216:
	s_or_b32 exec_lo, exec_lo, s8
	v_add_nc_u32_e32 v28, 0x80, v85
	s_delay_alu instid0(VALU_DEP_1) | instskip(SKIP_2) | instid1(VALU_DEP_3)
	v_mad_i64_i32 v[24:25], null, v28, s18, 0
	v_mad_i64_i32 v[26:27], null, v28, s9, 0
	v_cmp_gt_i32_e64 s8, s17, v28
	v_lshlrev_b64 v[24:25], 1, v[24:25]
	s_delay_alu instid0(VALU_DEP_2) | instskip(NEXT) | instid1(VALU_DEP_3)
	s_and_b32 s15, s0, s8
	v_lshlrev_b64 v[28:29], 1, v[26:27]
	s_delay_alu instid0(VALU_DEP_2) | instskip(NEXT) | instid1(VALU_DEP_3)
	v_add_co_u32 v26, vcc_lo, s12, v24
	v_add_co_ci_u32_e32 v27, vcc_lo, s13, v25, vcc_lo
	s_delay_alu instid0(VALU_DEP_3) | instskip(NEXT) | instid1(VALU_DEP_4)
	v_add_co_u32 v24, vcc_lo, s10, v28
	v_add_co_ci_u32_e32 v25, vcc_lo, s11, v29, vcc_lo
	s_and_saveexec_b32 s14, s15
	s_cbranch_execnz .LBB275_224
; %bb.217:
	s_or_b32 exec_lo, exec_lo, s14
	s_and_b32 s15, s1, s8
	s_delay_alu instid0(SALU_CYCLE_1)
	s_and_saveexec_b32 s14, s15
	s_cbranch_execnz .LBB275_228
.LBB275_218:
	s_or_b32 exec_lo, exec_lo, s14
	s_and_b32 s15, s2, s8
	s_delay_alu instid0(SALU_CYCLE_1)
	s_and_saveexec_b32 s14, s15
	s_cbranch_execnz .LBB275_232
.LBB275_219:
	s_or_b32 exec_lo, exec_lo, s14
	s_and_b32 s15, s3, s8
	s_delay_alu instid0(SALU_CYCLE_1)
	s_and_saveexec_b32 s14, s15
	s_cbranch_execnz .LBB275_236
.LBB275_220:
	s_or_b32 exec_lo, exec_lo, s14
	s_and_b32 s15, s4, s8
	s_delay_alu instid0(SALU_CYCLE_1)
	s_and_saveexec_b32 s14, s15
	s_cbranch_execnz .LBB275_240
.LBB275_221:
	s_or_b32 exec_lo, exec_lo, s14
	s_and_b32 s15, s5, s8
	s_delay_alu instid0(SALU_CYCLE_1)
	s_and_saveexec_b32 s14, s15
	s_cbranch_execnz .LBB275_244
.LBB275_222:
	s_or_b32 exec_lo, exec_lo, s14
	s_and_b32 s15, s6, s8
	s_delay_alu instid0(SALU_CYCLE_1)
	s_and_saveexec_b32 s14, s15
	s_cbranch_execnz .LBB275_248
.LBB275_223:
	s_or_b32 exec_lo, exec_lo, s14
	s_and_b32 s14, s7, s8
	s_delay_alu instid0(SALU_CYCLE_1)
	s_and_saveexec_b32 s8, s14
	s_cbranch_execnz .LBB275_252
	s_branch .LBB275_256
.LBB275_224:
	v_cmp_ne_u32_e32 vcc_lo, 1, v76
	s_cbranch_vccnz .LBB275_226
; %bb.225:
	v_lshlrev_b64 v[28:29], 1, v[32:33]
	s_delay_alu instid0(VALU_DEP_1) | instskip(NEXT) | instid1(VALU_DEP_2)
	v_add_co_u32 v28, vcc_lo, v26, v28
	v_add_co_ci_u32_e32 v29, vcc_lo, v27, v29, vcc_lo
	flat_load_u16 v28, v[28:29]
	s_waitcnt vmcnt(0) lgkmcnt(0)
	v_mul_f16_e32 v28, s24, v28
	s_branch .LBB275_227
.LBB275_226:
	v_mov_b32_e32 v28, 0
.LBB275_227:
	v_pk_add_f16 v29, v16, v20
	v_pk_max_f16 v30, v80, v80
	v_pk_add_f16 v31, v17, v21
	s_delay_alu instid0(VALU_DEP_2) | instskip(NEXT) | instid1(VALU_DEP_1)
	v_pk_min_f16 v29, v30, v29
	v_pk_min_f16 v31, v29, v31
	v_lshlrev_b64 v[29:30], 1, v[32:33]
	s_delay_alu instid0(VALU_DEP_2) | instskip(NEXT) | instid1(VALU_DEP_1)
	v_lshrrev_b32_e32 v80, 16, v31
	v_min3_f16 v31, v28, v31, v80
	s_delay_alu instid0(VALU_DEP_3) | instskip(NEXT) | instid1(VALU_DEP_4)
	v_add_co_u32 v28, vcc_lo, v24, v29
	v_add_co_ci_u32_e32 v29, vcc_lo, v25, v30, vcc_lo
	global_store_b16 v[28:29], v31, off
	s_or_b32 exec_lo, exec_lo, s14
	s_and_b32 s15, s1, s8
	s_delay_alu instid0(SALU_CYCLE_1)
	s_and_saveexec_b32 s14, s15
	s_cbranch_execz .LBB275_218
.LBB275_228:
	v_cmp_ne_u32_e32 vcc_lo, 1, v76
	s_cbranch_vccnz .LBB275_230
; %bb.229:
	v_lshlrev_b64 v[28:29], 1, v[34:35]
	s_delay_alu instid0(VALU_DEP_1) | instskip(NEXT) | instid1(VALU_DEP_2)
	v_add_co_u32 v28, vcc_lo, v26, v28
	v_add_co_ci_u32_e32 v29, vcc_lo, v27, v29, vcc_lo
	flat_load_u16 v28, v[28:29]
	s_waitcnt vmcnt(0) lgkmcnt(0)
	v_mul_f16_e32 v28, s24, v28
	s_branch .LBB275_231
.LBB275_230:
	v_mov_b32_e32 v28, 0
.LBB275_231:
	v_pk_add_f16 v29, v18, v20
	v_pk_max_f16 v30, v79, v79
	v_pk_add_f16 v31, v19, v21
	s_delay_alu instid0(VALU_DEP_2) | instskip(NEXT) | instid1(VALU_DEP_1)
	v_pk_min_f16 v29, v30, v29
	v_pk_min_f16 v31, v29, v31
	v_lshlrev_b64 v[29:30], 1, v[34:35]
	s_delay_alu instid0(VALU_DEP_2) | instskip(NEXT) | instid1(VALU_DEP_1)
	v_lshrrev_b32_e32 v79, 16, v31
	v_min3_f16 v31, v28, v31, v79
	s_delay_alu instid0(VALU_DEP_3) | instskip(NEXT) | instid1(VALU_DEP_4)
	v_add_co_u32 v28, vcc_lo, v24, v29
	v_add_co_ci_u32_e32 v29, vcc_lo, v25, v30, vcc_lo
	global_store_b16 v[28:29], v31, off
	s_or_b32 exec_lo, exec_lo, s14
	s_and_b32 s15, s2, s8
	s_delay_alu instid0(SALU_CYCLE_1)
	s_and_saveexec_b32 s14, s15
	s_cbranch_execz .LBB275_219
.LBB275_232:
	v_cmp_ne_u32_e32 vcc_lo, 1, v76
	s_cbranch_vccnz .LBB275_234
; %bb.233:
	v_lshlrev_b64 v[28:29], 1, v[36:37]
	s_delay_alu instid0(VALU_DEP_1) | instskip(NEXT) | instid1(VALU_DEP_2)
	v_add_co_u32 v28, vcc_lo, v26, v28
	v_add_co_ci_u32_e32 v29, vcc_lo, v27, v29, vcc_lo
	flat_load_u16 v28, v[28:29]
	s_waitcnt vmcnt(0) lgkmcnt(0)
	v_mul_f16_e32 v28, s24, v28
	s_branch .LBB275_235
.LBB275_234:
	v_mov_b32_e32 v28, 0
.LBB275_235:
	v_pk_add_f16 v29, v12, v20
	v_pk_max_f16 v30, v78, v78
	v_pk_add_f16 v31, v13, v21
	s_delay_alu instid0(VALU_DEP_2) | instskip(NEXT) | instid1(VALU_DEP_1)
	v_pk_min_f16 v29, v30, v29
	v_pk_min_f16 v31, v29, v31
	v_lshlrev_b64 v[29:30], 1, v[36:37]
	s_delay_alu instid0(VALU_DEP_2) | instskip(NEXT) | instid1(VALU_DEP_1)
	v_lshrrev_b32_e32 v78, 16, v31
	v_min3_f16 v31, v28, v31, v78
	s_delay_alu instid0(VALU_DEP_3) | instskip(NEXT) | instid1(VALU_DEP_4)
	v_add_co_u32 v28, vcc_lo, v24, v29
	v_add_co_ci_u32_e32 v29, vcc_lo, v25, v30, vcc_lo
	global_store_b16 v[28:29], v31, off
	s_or_b32 exec_lo, exec_lo, s14
	s_and_b32 s15, s3, s8
	s_delay_alu instid0(SALU_CYCLE_1)
	s_and_saveexec_b32 s14, s15
	s_cbranch_execz .LBB275_220
.LBB275_236:
	v_cmp_ne_u32_e32 vcc_lo, 1, v76
	s_cbranch_vccnz .LBB275_238
; %bb.237:
	v_lshlrev_b64 v[28:29], 1, v[38:39]
	s_delay_alu instid0(VALU_DEP_1) | instskip(NEXT) | instid1(VALU_DEP_2)
	v_add_co_u32 v28, vcc_lo, v26, v28
	v_add_co_ci_u32_e32 v29, vcc_lo, v27, v29, vcc_lo
	flat_load_u16 v28, v[28:29]
	s_waitcnt vmcnt(0) lgkmcnt(0)
	v_mul_f16_e32 v28, s24, v28
	s_branch .LBB275_239
.LBB275_238:
	v_mov_b32_e32 v28, 0
.LBB275_239:
	v_pk_add_f16 v29, v14, v20
	v_pk_max_f16 v30, v77, v77
	v_pk_add_f16 v31, v15, v21
	s_delay_alu instid0(VALU_DEP_2) | instskip(NEXT) | instid1(VALU_DEP_1)
	v_pk_min_f16 v29, v30, v29
	v_pk_min_f16 v31, v29, v31
	v_lshlrev_b64 v[29:30], 1, v[38:39]
	s_delay_alu instid0(VALU_DEP_2) | instskip(NEXT) | instid1(VALU_DEP_1)
	v_lshrrev_b32_e32 v77, 16, v31
	v_min3_f16 v31, v28, v31, v77
	s_delay_alu instid0(VALU_DEP_3) | instskip(NEXT) | instid1(VALU_DEP_4)
	v_add_co_u32 v28, vcc_lo, v24, v29
	v_add_co_ci_u32_e32 v29, vcc_lo, v25, v30, vcc_lo
	global_store_b16 v[28:29], v31, off
	s_or_b32 exec_lo, exec_lo, s14
	s_and_b32 s15, s4, s8
	s_delay_alu instid0(SALU_CYCLE_1)
	s_and_saveexec_b32 s14, s15
	s_cbranch_execz .LBB275_221
.LBB275_240:
	v_cmp_ne_u32_e32 vcc_lo, 1, v76
	s_cbranch_vccnz .LBB275_242
; %bb.241:
	v_lshlrev_b64 v[28:29], 1, v[40:41]
	s_delay_alu instid0(VALU_DEP_1) | instskip(NEXT) | instid1(VALU_DEP_2)
	v_add_co_u32 v28, vcc_lo, v26, v28
	v_add_co_ci_u32_e32 v29, vcc_lo, v27, v29, vcc_lo
	flat_load_u16 v28, v[28:29]
	s_waitcnt vmcnt(0) lgkmcnt(0)
	v_mul_f16_e32 v28, s24, v28
	s_branch .LBB275_243
.LBB275_242:
	v_mov_b32_e32 v28, 0
.LBB275_243:
	v_pk_add_f16 v29, v8, v20
	v_pk_max_f16 v30, v75, v75
	v_pk_add_f16 v31, v9, v21
	s_delay_alu instid0(VALU_DEP_2) | instskip(NEXT) | instid1(VALU_DEP_1)
	v_pk_min_f16 v29, v30, v29
	v_pk_min_f16 v31, v29, v31
	v_lshlrev_b64 v[29:30], 1, v[40:41]
	s_delay_alu instid0(VALU_DEP_2) | instskip(NEXT) | instid1(VALU_DEP_1)
	v_lshrrev_b32_e32 v75, 16, v31
	v_min3_f16 v31, v28, v31, v75
	s_delay_alu instid0(VALU_DEP_3) | instskip(NEXT) | instid1(VALU_DEP_4)
	v_add_co_u32 v28, vcc_lo, v24, v29
	v_add_co_ci_u32_e32 v29, vcc_lo, v25, v30, vcc_lo
	global_store_b16 v[28:29], v31, off
	s_or_b32 exec_lo, exec_lo, s14
	s_and_b32 s15, s5, s8
	s_delay_alu instid0(SALU_CYCLE_1)
	s_and_saveexec_b32 s14, s15
	s_cbranch_execz .LBB275_222
.LBB275_244:
	v_cmp_ne_u32_e32 vcc_lo, 1, v76
	s_cbranch_vccnz .LBB275_246
; %bb.245:
	v_lshlrev_b64 v[28:29], 1, v[42:43]
	s_delay_alu instid0(VALU_DEP_1) | instskip(NEXT) | instid1(VALU_DEP_2)
	v_add_co_u32 v28, vcc_lo, v26, v28
	v_add_co_ci_u32_e32 v29, vcc_lo, v27, v29, vcc_lo
	flat_load_u16 v28, v[28:29]
	s_waitcnt vmcnt(0) lgkmcnt(0)
	v_mul_f16_e32 v28, s24, v28
	s_branch .LBB275_247
.LBB275_246:
	v_mov_b32_e32 v28, 0
.LBB275_247:
	v_pk_add_f16 v29, v10, v20
	v_pk_max_f16 v30, v74, v74
	v_pk_add_f16 v31, v11, v21
	s_delay_alu instid0(VALU_DEP_2) | instskip(NEXT) | instid1(VALU_DEP_1)
	v_pk_min_f16 v29, v30, v29
	v_pk_min_f16 v31, v29, v31
	v_lshlrev_b64 v[29:30], 1, v[42:43]
	s_delay_alu instid0(VALU_DEP_2) | instskip(NEXT) | instid1(VALU_DEP_1)
	v_lshrrev_b32_e32 v74, 16, v31
	v_min3_f16 v31, v28, v31, v74
	s_delay_alu instid0(VALU_DEP_3) | instskip(NEXT) | instid1(VALU_DEP_4)
	v_add_co_u32 v28, vcc_lo, v24, v29
	v_add_co_ci_u32_e32 v29, vcc_lo, v25, v30, vcc_lo
	global_store_b16 v[28:29], v31, off
	s_or_b32 exec_lo, exec_lo, s14
	s_and_b32 s15, s6, s8
	s_delay_alu instid0(SALU_CYCLE_1)
	s_and_saveexec_b32 s14, s15
	s_cbranch_execz .LBB275_223
.LBB275_248:
	v_cmp_ne_u32_e32 vcc_lo, 1, v76
	s_cbranch_vccnz .LBB275_250
; %bb.249:
	v_lshlrev_b64 v[28:29], 1, v[44:45]
	s_delay_alu instid0(VALU_DEP_1) | instskip(NEXT) | instid1(VALU_DEP_2)
	v_add_co_u32 v28, vcc_lo, v26, v28
	v_add_co_ci_u32_e32 v29, vcc_lo, v27, v29, vcc_lo
	flat_load_u16 v28, v[28:29]
	s_waitcnt vmcnt(0) lgkmcnt(0)
	v_mul_f16_e32 v28, s24, v28
	s_branch .LBB275_251
.LBB275_250:
	v_mov_b32_e32 v28, 0
.LBB275_251:
	v_pk_add_f16 v29, v0, v20
	v_pk_max_f16 v30, v73, v73
	v_pk_add_f16 v31, v1, v21
	s_delay_alu instid0(VALU_DEP_2) | instskip(NEXT) | instid1(VALU_DEP_1)
	v_pk_min_f16 v29, v30, v29
	v_pk_min_f16 v31, v29, v31
	v_lshlrev_b64 v[29:30], 1, v[44:45]
	s_delay_alu instid0(VALU_DEP_2) | instskip(NEXT) | instid1(VALU_DEP_1)
	v_lshrrev_b32_e32 v73, 16, v31
	v_min3_f16 v31, v28, v31, v73
	s_delay_alu instid0(VALU_DEP_3) | instskip(NEXT) | instid1(VALU_DEP_4)
	v_add_co_u32 v28, vcc_lo, v24, v29
	v_add_co_ci_u32_e32 v29, vcc_lo, v25, v30, vcc_lo
	global_store_b16 v[28:29], v31, off
	s_or_b32 exec_lo, exec_lo, s14
	s_and_b32 s14, s7, s8
	s_delay_alu instid0(SALU_CYCLE_1)
	s_and_saveexec_b32 s8, s14
	s_cbranch_execz .LBB275_256
.LBB275_252:
	v_cmp_ne_u32_e32 vcc_lo, 1, v76
	s_cbranch_vccnz .LBB275_254
; %bb.253:
	v_lshlrev_b64 v[28:29], 1, v[46:47]
	s_delay_alu instid0(VALU_DEP_1) | instskip(NEXT) | instid1(VALU_DEP_2)
	v_add_co_u32 v26, vcc_lo, v26, v28
	v_add_co_ci_u32_e32 v27, vcc_lo, v27, v29, vcc_lo
	flat_load_u16 v26, v[26:27]
	s_waitcnt vmcnt(0) lgkmcnt(0)
	v_mul_f16_e32 v26, s24, v26
	s_branch .LBB275_255
.LBB275_254:
	v_mov_b32_e32 v26, 0
.LBB275_255:
	v_pk_add_f16 v20, v2, v20
	v_pk_max_f16 v27, v72, v72
	v_pk_add_f16 v21, v3, v21
	s_delay_alu instid0(VALU_DEP_2) | instskip(NEXT) | instid1(VALU_DEP_1)
	v_pk_min_f16 v20, v27, v20
	v_pk_min_f16 v27, v20, v21
	v_lshlrev_b64 v[20:21], 1, v[46:47]
	s_delay_alu instid0(VALU_DEP_2) | instskip(NEXT) | instid1(VALU_DEP_2)
	v_lshrrev_b32_e32 v28, 16, v27
	v_add_co_u32 v20, vcc_lo, v24, v20
	s_delay_alu instid0(VALU_DEP_3) | instskip(NEXT) | instid1(VALU_DEP_3)
	v_add_co_ci_u32_e32 v21, vcc_lo, v25, v21, vcc_lo
	v_min3_f16 v26, v26, v27, v28
	global_store_b16 v[20:21], v26, off
.LBB275_256:
	s_or_b32 exec_lo, exec_lo, s8
	v_add_nc_u32_e32 v26, 0xa0, v85
	s_delay_alu instid0(VALU_DEP_1) | instskip(SKIP_2) | instid1(VALU_DEP_3)
	v_mad_i64_i32 v[20:21], null, v26, s18, 0
	v_mad_i64_i32 v[24:25], null, v26, s9, 0
	v_cmp_gt_i32_e64 s8, s17, v26
	v_lshlrev_b64 v[20:21], 1, v[20:21]
	s_delay_alu instid0(VALU_DEP_2) | instskip(NEXT) | instid1(VALU_DEP_3)
	s_and_b32 s15, s0, s8
	v_lshlrev_b64 v[26:27], 1, v[24:25]
	s_delay_alu instid0(VALU_DEP_2) | instskip(NEXT) | instid1(VALU_DEP_3)
	v_add_co_u32 v24, vcc_lo, s12, v20
	v_add_co_ci_u32_e32 v25, vcc_lo, s13, v21, vcc_lo
	s_delay_alu instid0(VALU_DEP_3) | instskip(NEXT) | instid1(VALU_DEP_4)
	v_add_co_u32 v20, vcc_lo, s10, v26
	v_add_co_ci_u32_e32 v21, vcc_lo, s11, v27, vcc_lo
	s_and_saveexec_b32 s14, s15
	s_cbranch_execnz .LBB275_264
; %bb.257:
	s_or_b32 exec_lo, exec_lo, s14
	s_and_b32 s15, s1, s8
	s_delay_alu instid0(SALU_CYCLE_1)
	s_and_saveexec_b32 s14, s15
	s_cbranch_execnz .LBB275_268
.LBB275_258:
	s_or_b32 exec_lo, exec_lo, s14
	s_and_b32 s15, s2, s8
	s_delay_alu instid0(SALU_CYCLE_1)
	s_and_saveexec_b32 s14, s15
	s_cbranch_execnz .LBB275_272
.LBB275_259:
	s_or_b32 exec_lo, exec_lo, s14
	s_and_b32 s15, s3, s8
	s_delay_alu instid0(SALU_CYCLE_1)
	s_and_saveexec_b32 s14, s15
	s_cbranch_execnz .LBB275_276
.LBB275_260:
	s_or_b32 exec_lo, exec_lo, s14
	s_and_b32 s15, s4, s8
	s_delay_alu instid0(SALU_CYCLE_1)
	s_and_saveexec_b32 s14, s15
	s_cbranch_execnz .LBB275_280
.LBB275_261:
	s_or_b32 exec_lo, exec_lo, s14
	s_and_b32 s15, s5, s8
	s_delay_alu instid0(SALU_CYCLE_1)
	s_and_saveexec_b32 s14, s15
	s_cbranch_execnz .LBB275_284
.LBB275_262:
	s_or_b32 exec_lo, exec_lo, s14
	s_and_b32 s15, s6, s8
	s_delay_alu instid0(SALU_CYCLE_1)
	s_and_saveexec_b32 s14, s15
	s_cbranch_execnz .LBB275_288
.LBB275_263:
	s_or_b32 exec_lo, exec_lo, s14
	s_and_b32 s14, s7, s8
	s_delay_alu instid0(SALU_CYCLE_1)
	s_and_saveexec_b32 s8, s14
	s_cbranch_execnz .LBB275_292
	s_branch .LBB275_296
.LBB275_264:
	v_cmp_ne_u32_e32 vcc_lo, 1, v76
	s_cbranch_vccnz .LBB275_266
; %bb.265:
	v_lshlrev_b64 v[26:27], 1, v[32:33]
	s_delay_alu instid0(VALU_DEP_1) | instskip(NEXT) | instid1(VALU_DEP_2)
	v_add_co_u32 v26, vcc_lo, v24, v26
	v_add_co_ci_u32_e32 v27, vcc_lo, v25, v27, vcc_lo
	flat_load_u16 v26, v[26:27]
	s_waitcnt vmcnt(0) lgkmcnt(0)
	v_mul_f16_e32 v26, s24, v26
	s_branch .LBB275_267
.LBB275_266:
	v_mov_b32_e32 v26, 0
.LBB275_267:
	v_pk_add_f16 v27, v16, v22
	v_pk_max_f16 v28, v71, v71
	v_pk_add_f16 v29, v17, v23
	s_delay_alu instid0(VALU_DEP_2) | instskip(NEXT) | instid1(VALU_DEP_1)
	v_pk_min_f16 v27, v28, v27
	v_pk_min_f16 v29, v27, v29
	v_lshlrev_b64 v[27:28], 1, v[32:33]
	s_delay_alu instid0(VALU_DEP_2) | instskip(NEXT) | instid1(VALU_DEP_1)
	v_lshrrev_b32_e32 v30, 16, v29
	v_min3_f16 v29, v26, v29, v30
	s_delay_alu instid0(VALU_DEP_3) | instskip(NEXT) | instid1(VALU_DEP_4)
	v_add_co_u32 v26, vcc_lo, v20, v27
	v_add_co_ci_u32_e32 v27, vcc_lo, v21, v28, vcc_lo
	global_store_b16 v[26:27], v29, off
	s_or_b32 exec_lo, exec_lo, s14
	s_and_b32 s15, s1, s8
	s_delay_alu instid0(SALU_CYCLE_1)
	s_and_saveexec_b32 s14, s15
	s_cbranch_execz .LBB275_258
.LBB275_268:
	v_cmp_ne_u32_e32 vcc_lo, 1, v76
	s_cbranch_vccnz .LBB275_270
; %bb.269:
	v_lshlrev_b64 v[26:27], 1, v[34:35]
	s_delay_alu instid0(VALU_DEP_1) | instskip(NEXT) | instid1(VALU_DEP_2)
	v_add_co_u32 v26, vcc_lo, v24, v26
	v_add_co_ci_u32_e32 v27, vcc_lo, v25, v27, vcc_lo
	flat_load_u16 v26, v[26:27]
	s_waitcnt vmcnt(0) lgkmcnt(0)
	v_mul_f16_e32 v26, s24, v26
	s_branch .LBB275_271
.LBB275_270:
	v_mov_b32_e32 v26, 0
.LBB275_271:
	v_pk_add_f16 v27, v18, v22
	v_pk_max_f16 v28, v70, v70
	v_pk_add_f16 v29, v19, v23
	s_delay_alu instid0(VALU_DEP_2) | instskip(NEXT) | instid1(VALU_DEP_1)
	v_pk_min_f16 v27, v28, v27
	v_pk_min_f16 v29, v27, v29
	v_lshlrev_b64 v[27:28], 1, v[34:35]
	s_delay_alu instid0(VALU_DEP_2) | instskip(NEXT) | instid1(VALU_DEP_1)
	v_lshrrev_b32_e32 v30, 16, v29
	v_min3_f16 v29, v26, v29, v30
	s_delay_alu instid0(VALU_DEP_3) | instskip(NEXT) | instid1(VALU_DEP_4)
	v_add_co_u32 v26, vcc_lo, v20, v27
	v_add_co_ci_u32_e32 v27, vcc_lo, v21, v28, vcc_lo
	global_store_b16 v[26:27], v29, off
	s_or_b32 exec_lo, exec_lo, s14
	s_and_b32 s15, s2, s8
	s_delay_alu instid0(SALU_CYCLE_1)
	s_and_saveexec_b32 s14, s15
	s_cbranch_execz .LBB275_259
.LBB275_272:
	v_cmp_ne_u32_e32 vcc_lo, 1, v76
	s_cbranch_vccnz .LBB275_274
; %bb.273:
	v_lshlrev_b64 v[26:27], 1, v[36:37]
	s_delay_alu instid0(VALU_DEP_1) | instskip(NEXT) | instid1(VALU_DEP_2)
	v_add_co_u32 v26, vcc_lo, v24, v26
	v_add_co_ci_u32_e32 v27, vcc_lo, v25, v27, vcc_lo
	flat_load_u16 v26, v[26:27]
	s_waitcnt vmcnt(0) lgkmcnt(0)
	v_mul_f16_e32 v26, s24, v26
	s_branch .LBB275_275
.LBB275_274:
	v_mov_b32_e32 v26, 0
.LBB275_275:
	v_pk_add_f16 v27, v12, v22
	v_pk_max_f16 v28, v69, v69
	v_pk_add_f16 v29, v13, v23
	s_delay_alu instid0(VALU_DEP_2) | instskip(NEXT) | instid1(VALU_DEP_1)
	v_pk_min_f16 v27, v28, v27
	v_pk_min_f16 v29, v27, v29
	v_lshlrev_b64 v[27:28], 1, v[36:37]
	s_delay_alu instid0(VALU_DEP_2) | instskip(NEXT) | instid1(VALU_DEP_1)
	v_lshrrev_b32_e32 v30, 16, v29
	v_min3_f16 v29, v26, v29, v30
	s_delay_alu instid0(VALU_DEP_3) | instskip(NEXT) | instid1(VALU_DEP_4)
	v_add_co_u32 v26, vcc_lo, v20, v27
	v_add_co_ci_u32_e32 v27, vcc_lo, v21, v28, vcc_lo
	global_store_b16 v[26:27], v29, off
	s_or_b32 exec_lo, exec_lo, s14
	s_and_b32 s15, s3, s8
	s_delay_alu instid0(SALU_CYCLE_1)
	s_and_saveexec_b32 s14, s15
	s_cbranch_execz .LBB275_260
.LBB275_276:
	v_cmp_ne_u32_e32 vcc_lo, 1, v76
	s_cbranch_vccnz .LBB275_278
; %bb.277:
	v_lshlrev_b64 v[26:27], 1, v[38:39]
	s_delay_alu instid0(VALU_DEP_1) | instskip(NEXT) | instid1(VALU_DEP_2)
	v_add_co_u32 v26, vcc_lo, v24, v26
	v_add_co_ci_u32_e32 v27, vcc_lo, v25, v27, vcc_lo
	flat_load_u16 v26, v[26:27]
	s_waitcnt vmcnt(0) lgkmcnt(0)
	v_mul_f16_e32 v26, s24, v26
	s_branch .LBB275_279
.LBB275_278:
	v_mov_b32_e32 v26, 0
.LBB275_279:
	v_pk_add_f16 v27, v14, v22
	v_pk_max_f16 v28, v68, v68
	v_pk_add_f16 v29, v15, v23
	s_delay_alu instid0(VALU_DEP_2) | instskip(NEXT) | instid1(VALU_DEP_1)
	v_pk_min_f16 v27, v28, v27
	v_pk_min_f16 v29, v27, v29
	v_lshlrev_b64 v[27:28], 1, v[38:39]
	s_delay_alu instid0(VALU_DEP_2) | instskip(NEXT) | instid1(VALU_DEP_1)
	v_lshrrev_b32_e32 v30, 16, v29
	v_min3_f16 v29, v26, v29, v30
	s_delay_alu instid0(VALU_DEP_3) | instskip(NEXT) | instid1(VALU_DEP_4)
	v_add_co_u32 v26, vcc_lo, v20, v27
	v_add_co_ci_u32_e32 v27, vcc_lo, v21, v28, vcc_lo
	global_store_b16 v[26:27], v29, off
	s_or_b32 exec_lo, exec_lo, s14
	s_and_b32 s15, s4, s8
	s_delay_alu instid0(SALU_CYCLE_1)
	s_and_saveexec_b32 s14, s15
	s_cbranch_execz .LBB275_261
.LBB275_280:
	v_cmp_ne_u32_e32 vcc_lo, 1, v76
	s_cbranch_vccnz .LBB275_282
; %bb.281:
	v_lshlrev_b64 v[26:27], 1, v[40:41]
	s_delay_alu instid0(VALU_DEP_1) | instskip(NEXT) | instid1(VALU_DEP_2)
	v_add_co_u32 v26, vcc_lo, v24, v26
	v_add_co_ci_u32_e32 v27, vcc_lo, v25, v27, vcc_lo
	flat_load_u16 v26, v[26:27]
	s_waitcnt vmcnt(0) lgkmcnt(0)
	v_mul_f16_e32 v26, s24, v26
	s_branch .LBB275_283
.LBB275_282:
	v_mov_b32_e32 v26, 0
.LBB275_283:
	v_pk_add_f16 v27, v8, v22
	v_pk_max_f16 v28, v67, v67
	v_pk_add_f16 v29, v9, v23
	s_delay_alu instid0(VALU_DEP_2) | instskip(NEXT) | instid1(VALU_DEP_1)
	v_pk_min_f16 v27, v28, v27
	v_pk_min_f16 v29, v27, v29
	v_lshlrev_b64 v[27:28], 1, v[40:41]
	s_delay_alu instid0(VALU_DEP_2) | instskip(NEXT) | instid1(VALU_DEP_1)
	v_lshrrev_b32_e32 v30, 16, v29
	v_min3_f16 v29, v26, v29, v30
	s_delay_alu instid0(VALU_DEP_3) | instskip(NEXT) | instid1(VALU_DEP_4)
	v_add_co_u32 v26, vcc_lo, v20, v27
	v_add_co_ci_u32_e32 v27, vcc_lo, v21, v28, vcc_lo
	global_store_b16 v[26:27], v29, off
	s_or_b32 exec_lo, exec_lo, s14
	s_and_b32 s15, s5, s8
	s_delay_alu instid0(SALU_CYCLE_1)
	s_and_saveexec_b32 s14, s15
	s_cbranch_execz .LBB275_262
.LBB275_284:
	v_cmp_ne_u32_e32 vcc_lo, 1, v76
	s_cbranch_vccnz .LBB275_286
; %bb.285:
	v_lshlrev_b64 v[26:27], 1, v[42:43]
	s_delay_alu instid0(VALU_DEP_1) | instskip(NEXT) | instid1(VALU_DEP_2)
	v_add_co_u32 v26, vcc_lo, v24, v26
	v_add_co_ci_u32_e32 v27, vcc_lo, v25, v27, vcc_lo
	flat_load_u16 v26, v[26:27]
	s_waitcnt vmcnt(0) lgkmcnt(0)
	v_mul_f16_e32 v26, s24, v26
	s_branch .LBB275_287
.LBB275_286:
	v_mov_b32_e32 v26, 0
.LBB275_287:
	v_pk_add_f16 v27, v10, v22
	v_pk_max_f16 v28, v66, v66
	v_pk_add_f16 v29, v11, v23
	s_delay_alu instid0(VALU_DEP_2) | instskip(NEXT) | instid1(VALU_DEP_1)
	v_pk_min_f16 v27, v28, v27
	v_pk_min_f16 v29, v27, v29
	v_lshlrev_b64 v[27:28], 1, v[42:43]
	s_delay_alu instid0(VALU_DEP_2) | instskip(NEXT) | instid1(VALU_DEP_1)
	v_lshrrev_b32_e32 v30, 16, v29
	v_min3_f16 v29, v26, v29, v30
	s_delay_alu instid0(VALU_DEP_3) | instskip(NEXT) | instid1(VALU_DEP_4)
	v_add_co_u32 v26, vcc_lo, v20, v27
	v_add_co_ci_u32_e32 v27, vcc_lo, v21, v28, vcc_lo
	global_store_b16 v[26:27], v29, off
	s_or_b32 exec_lo, exec_lo, s14
	s_and_b32 s15, s6, s8
	s_delay_alu instid0(SALU_CYCLE_1)
	s_and_saveexec_b32 s14, s15
	s_cbranch_execz .LBB275_263
.LBB275_288:
	v_cmp_ne_u32_e32 vcc_lo, 1, v76
	s_cbranch_vccnz .LBB275_290
; %bb.289:
	v_lshlrev_b64 v[26:27], 1, v[44:45]
	s_delay_alu instid0(VALU_DEP_1) | instskip(NEXT) | instid1(VALU_DEP_2)
	v_add_co_u32 v26, vcc_lo, v24, v26
	v_add_co_ci_u32_e32 v27, vcc_lo, v25, v27, vcc_lo
	flat_load_u16 v26, v[26:27]
	s_waitcnt vmcnt(0) lgkmcnt(0)
	v_mul_f16_e32 v26, s24, v26
	s_branch .LBB275_291
.LBB275_290:
	v_mov_b32_e32 v26, 0
.LBB275_291:
	v_pk_add_f16 v27, v0, v22
	v_pk_max_f16 v28, v65, v65
	v_pk_add_f16 v29, v1, v23
	s_delay_alu instid0(VALU_DEP_2) | instskip(NEXT) | instid1(VALU_DEP_1)
	v_pk_min_f16 v27, v28, v27
	v_pk_min_f16 v29, v27, v29
	v_lshlrev_b64 v[27:28], 1, v[44:45]
	s_delay_alu instid0(VALU_DEP_2) | instskip(NEXT) | instid1(VALU_DEP_1)
	v_lshrrev_b32_e32 v30, 16, v29
	v_min3_f16 v29, v26, v29, v30
	s_delay_alu instid0(VALU_DEP_3) | instskip(NEXT) | instid1(VALU_DEP_4)
	v_add_co_u32 v26, vcc_lo, v20, v27
	v_add_co_ci_u32_e32 v27, vcc_lo, v21, v28, vcc_lo
	global_store_b16 v[26:27], v29, off
	s_or_b32 exec_lo, exec_lo, s14
	s_and_b32 s14, s7, s8
	s_delay_alu instid0(SALU_CYCLE_1)
	s_and_saveexec_b32 s8, s14
	s_cbranch_execz .LBB275_296
.LBB275_292:
	v_cmp_ne_u32_e32 vcc_lo, 1, v76
	s_cbranch_vccnz .LBB275_294
; %bb.293:
	v_lshlrev_b64 v[26:27], 1, v[46:47]
	s_delay_alu instid0(VALU_DEP_1) | instskip(NEXT) | instid1(VALU_DEP_2)
	v_add_co_u32 v24, vcc_lo, v24, v26
	v_add_co_ci_u32_e32 v25, vcc_lo, v25, v27, vcc_lo
	flat_load_u16 v24, v[24:25]
	s_waitcnt vmcnt(0) lgkmcnt(0)
	v_mul_f16_e32 v24, s24, v24
	s_branch .LBB275_295
.LBB275_294:
	v_mov_b32_e32 v24, 0
.LBB275_295:
	v_pk_add_f16 v22, v2, v22
	v_pk_max_f16 v25, v64, v64
	v_pk_add_f16 v23, v3, v23
	s_delay_alu instid0(VALU_DEP_2) | instskip(NEXT) | instid1(VALU_DEP_1)
	v_pk_min_f16 v22, v25, v22
	v_pk_min_f16 v25, v22, v23
	v_lshlrev_b64 v[22:23], 1, v[46:47]
	s_delay_alu instid0(VALU_DEP_2) | instskip(NEXT) | instid1(VALU_DEP_2)
	v_lshrrev_b32_e32 v26, 16, v25
	v_add_co_u32 v20, vcc_lo, v20, v22
	s_delay_alu instid0(VALU_DEP_3) | instskip(NEXT) | instid1(VALU_DEP_3)
	v_add_co_ci_u32_e32 v21, vcc_lo, v21, v23, vcc_lo
	v_min3_f16 v24, v24, v25, v26
	global_store_b16 v[20:21], v24, off
.LBB275_296:
	s_or_b32 exec_lo, exec_lo, s8
	v_add_nc_u32_e32 v24, 0xc0, v85
	s_delay_alu instid0(VALU_DEP_1) | instskip(SKIP_2) | instid1(VALU_DEP_3)
	v_mad_i64_i32 v[20:21], null, v24, s18, 0
	v_mad_i64_i32 v[22:23], null, v24, s9, 0
	v_cmp_gt_i32_e64 s8, s17, v24
	v_lshlrev_b64 v[20:21], 1, v[20:21]
	s_delay_alu instid0(VALU_DEP_2) | instskip(NEXT) | instid1(VALU_DEP_3)
	s_and_b32 s15, s0, s8
	v_lshlrev_b64 v[24:25], 1, v[22:23]
	s_delay_alu instid0(VALU_DEP_2) | instskip(NEXT) | instid1(VALU_DEP_3)
	v_add_co_u32 v22, vcc_lo, s12, v20
	v_add_co_ci_u32_e32 v23, vcc_lo, s13, v21, vcc_lo
	s_delay_alu instid0(VALU_DEP_3) | instskip(NEXT) | instid1(VALU_DEP_4)
	v_add_co_u32 v20, vcc_lo, s10, v24
	v_add_co_ci_u32_e32 v21, vcc_lo, s11, v25, vcc_lo
	s_and_saveexec_b32 s14, s15
	s_cbranch_execnz .LBB275_304
; %bb.297:
	s_or_b32 exec_lo, exec_lo, s14
	s_and_b32 s15, s1, s8
	s_delay_alu instid0(SALU_CYCLE_1)
	s_and_saveexec_b32 s14, s15
	s_cbranch_execnz .LBB275_308
.LBB275_298:
	s_or_b32 exec_lo, exec_lo, s14
	s_and_b32 s15, s2, s8
	s_delay_alu instid0(SALU_CYCLE_1)
	s_and_saveexec_b32 s14, s15
	s_cbranch_execnz .LBB275_312
.LBB275_299:
	s_or_b32 exec_lo, exec_lo, s14
	s_and_b32 s15, s3, s8
	s_delay_alu instid0(SALU_CYCLE_1)
	s_and_saveexec_b32 s14, s15
	s_cbranch_execnz .LBB275_316
.LBB275_300:
	s_or_b32 exec_lo, exec_lo, s14
	s_and_b32 s15, s4, s8
	s_delay_alu instid0(SALU_CYCLE_1)
	s_and_saveexec_b32 s14, s15
	s_cbranch_execnz .LBB275_320
.LBB275_301:
	s_or_b32 exec_lo, exec_lo, s14
	s_and_b32 s15, s5, s8
	s_delay_alu instid0(SALU_CYCLE_1)
	s_and_saveexec_b32 s14, s15
	s_cbranch_execnz .LBB275_324
.LBB275_302:
	s_or_b32 exec_lo, exec_lo, s14
	s_and_b32 s15, s6, s8
	s_delay_alu instid0(SALU_CYCLE_1)
	s_and_saveexec_b32 s14, s15
	s_cbranch_execnz .LBB275_328
.LBB275_303:
	s_or_b32 exec_lo, exec_lo, s14
	s_and_b32 s14, s7, s8
	s_delay_alu instid0(SALU_CYCLE_1)
	s_and_saveexec_b32 s8, s14
	s_cbranch_execnz .LBB275_332
	s_branch .LBB275_336
.LBB275_304:
	v_cmp_ne_u32_e32 vcc_lo, 1, v76
	s_cbranch_vccnz .LBB275_306
; %bb.305:
	v_lshlrev_b64 v[24:25], 1, v[32:33]
	s_delay_alu instid0(VALU_DEP_1) | instskip(NEXT) | instid1(VALU_DEP_2)
	v_add_co_u32 v24, vcc_lo, v22, v24
	v_add_co_ci_u32_e32 v25, vcc_lo, v23, v25, vcc_lo
	flat_load_u16 v24, v[24:25]
	s_waitcnt vmcnt(0) lgkmcnt(0)
	v_mul_f16_e32 v24, s24, v24
	s_branch .LBB275_307
.LBB275_306:
	v_mov_b32_e32 v24, 0
.LBB275_307:
	v_pk_add_f16 v25, v16, v4
	v_pk_max_f16 v26, v63, v63
	v_pk_add_f16 v27, v17, v5
	s_delay_alu instid0(VALU_DEP_2) | instskip(NEXT) | instid1(VALU_DEP_1)
	v_pk_min_f16 v25, v26, v25
	v_pk_min_f16 v27, v25, v27
	v_lshlrev_b64 v[25:26], 1, v[32:33]
	s_delay_alu instid0(VALU_DEP_2) | instskip(NEXT) | instid1(VALU_DEP_1)
	v_lshrrev_b32_e32 v28, 16, v27
	v_min3_f16 v27, v24, v27, v28
	s_delay_alu instid0(VALU_DEP_3) | instskip(NEXT) | instid1(VALU_DEP_4)
	v_add_co_u32 v24, vcc_lo, v20, v25
	v_add_co_ci_u32_e32 v25, vcc_lo, v21, v26, vcc_lo
	global_store_b16 v[24:25], v27, off
	s_or_b32 exec_lo, exec_lo, s14
	s_and_b32 s15, s1, s8
	s_delay_alu instid0(SALU_CYCLE_1)
	s_and_saveexec_b32 s14, s15
	s_cbranch_execz .LBB275_298
.LBB275_308:
	v_cmp_ne_u32_e32 vcc_lo, 1, v76
	s_cbranch_vccnz .LBB275_310
; %bb.309:
	v_lshlrev_b64 v[24:25], 1, v[34:35]
	s_delay_alu instid0(VALU_DEP_1) | instskip(NEXT) | instid1(VALU_DEP_2)
	v_add_co_u32 v24, vcc_lo, v22, v24
	v_add_co_ci_u32_e32 v25, vcc_lo, v23, v25, vcc_lo
	flat_load_u16 v24, v[24:25]
	s_waitcnt vmcnt(0) lgkmcnt(0)
	v_mul_f16_e32 v24, s24, v24
	s_branch .LBB275_311
.LBB275_310:
	v_mov_b32_e32 v24, 0
.LBB275_311:
	v_pk_add_f16 v25, v18, v4
	v_pk_max_f16 v26, v62, v62
	v_pk_add_f16 v27, v19, v5
	s_delay_alu instid0(VALU_DEP_2) | instskip(NEXT) | instid1(VALU_DEP_1)
	v_pk_min_f16 v25, v26, v25
	v_pk_min_f16 v27, v25, v27
	v_lshlrev_b64 v[25:26], 1, v[34:35]
	s_delay_alu instid0(VALU_DEP_2) | instskip(NEXT) | instid1(VALU_DEP_1)
	v_lshrrev_b32_e32 v28, 16, v27
	v_min3_f16 v27, v24, v27, v28
	s_delay_alu instid0(VALU_DEP_3) | instskip(NEXT) | instid1(VALU_DEP_4)
	v_add_co_u32 v24, vcc_lo, v20, v25
	v_add_co_ci_u32_e32 v25, vcc_lo, v21, v26, vcc_lo
	global_store_b16 v[24:25], v27, off
	s_or_b32 exec_lo, exec_lo, s14
	s_and_b32 s15, s2, s8
	s_delay_alu instid0(SALU_CYCLE_1)
	s_and_saveexec_b32 s14, s15
	s_cbranch_execz .LBB275_299
.LBB275_312:
	v_cmp_ne_u32_e32 vcc_lo, 1, v76
	s_cbranch_vccnz .LBB275_314
; %bb.313:
	v_lshlrev_b64 v[24:25], 1, v[36:37]
	s_delay_alu instid0(VALU_DEP_1) | instskip(NEXT) | instid1(VALU_DEP_2)
	v_add_co_u32 v24, vcc_lo, v22, v24
	v_add_co_ci_u32_e32 v25, vcc_lo, v23, v25, vcc_lo
	flat_load_u16 v24, v[24:25]
	s_waitcnt vmcnt(0) lgkmcnt(0)
	v_mul_f16_e32 v24, s24, v24
	s_branch .LBB275_315
.LBB275_314:
	v_mov_b32_e32 v24, 0
.LBB275_315:
	v_pk_add_f16 v25, v12, v4
	v_pk_max_f16 v26, v61, v61
	v_pk_add_f16 v27, v13, v5
	s_delay_alu instid0(VALU_DEP_2) | instskip(NEXT) | instid1(VALU_DEP_1)
	v_pk_min_f16 v25, v26, v25
	v_pk_min_f16 v27, v25, v27
	v_lshlrev_b64 v[25:26], 1, v[36:37]
	s_delay_alu instid0(VALU_DEP_2) | instskip(NEXT) | instid1(VALU_DEP_1)
	v_lshrrev_b32_e32 v28, 16, v27
	v_min3_f16 v27, v24, v27, v28
	s_delay_alu instid0(VALU_DEP_3) | instskip(NEXT) | instid1(VALU_DEP_4)
	v_add_co_u32 v24, vcc_lo, v20, v25
	v_add_co_ci_u32_e32 v25, vcc_lo, v21, v26, vcc_lo
	global_store_b16 v[24:25], v27, off
	s_or_b32 exec_lo, exec_lo, s14
	s_and_b32 s15, s3, s8
	s_delay_alu instid0(SALU_CYCLE_1)
	s_and_saveexec_b32 s14, s15
	s_cbranch_execz .LBB275_300
.LBB275_316:
	v_cmp_ne_u32_e32 vcc_lo, 1, v76
	s_cbranch_vccnz .LBB275_318
; %bb.317:
	v_lshlrev_b64 v[24:25], 1, v[38:39]
	s_delay_alu instid0(VALU_DEP_1) | instskip(NEXT) | instid1(VALU_DEP_2)
	v_add_co_u32 v24, vcc_lo, v22, v24
	v_add_co_ci_u32_e32 v25, vcc_lo, v23, v25, vcc_lo
	flat_load_u16 v24, v[24:25]
	s_waitcnt vmcnt(0) lgkmcnt(0)
	v_mul_f16_e32 v24, s24, v24
	s_branch .LBB275_319
.LBB275_318:
	v_mov_b32_e32 v24, 0
.LBB275_319:
	v_pk_add_f16 v25, v14, v4
	v_pk_max_f16 v26, v59, v59
	v_pk_add_f16 v27, v15, v5
	s_delay_alu instid0(VALU_DEP_2) | instskip(NEXT) | instid1(VALU_DEP_1)
	v_pk_min_f16 v25, v26, v25
	v_pk_min_f16 v27, v25, v27
	v_lshlrev_b64 v[25:26], 1, v[38:39]
	s_delay_alu instid0(VALU_DEP_2) | instskip(NEXT) | instid1(VALU_DEP_1)
	v_lshrrev_b32_e32 v28, 16, v27
	v_min3_f16 v27, v24, v27, v28
	s_delay_alu instid0(VALU_DEP_3) | instskip(NEXT) | instid1(VALU_DEP_4)
	v_add_co_u32 v24, vcc_lo, v20, v25
	v_add_co_ci_u32_e32 v25, vcc_lo, v21, v26, vcc_lo
	global_store_b16 v[24:25], v27, off
	s_or_b32 exec_lo, exec_lo, s14
	s_and_b32 s15, s4, s8
	s_delay_alu instid0(SALU_CYCLE_1)
	s_and_saveexec_b32 s14, s15
	s_cbranch_execz .LBB275_301
.LBB275_320:
	v_cmp_ne_u32_e32 vcc_lo, 1, v76
	s_cbranch_vccnz .LBB275_322
; %bb.321:
	v_lshlrev_b64 v[24:25], 1, v[40:41]
	s_delay_alu instid0(VALU_DEP_1) | instskip(NEXT) | instid1(VALU_DEP_2)
	v_add_co_u32 v24, vcc_lo, v22, v24
	v_add_co_ci_u32_e32 v25, vcc_lo, v23, v25, vcc_lo
	flat_load_u16 v24, v[24:25]
	s_waitcnt vmcnt(0) lgkmcnt(0)
	v_mul_f16_e32 v24, s24, v24
	s_branch .LBB275_323
.LBB275_322:
	v_mov_b32_e32 v24, 0
.LBB275_323:
	v_pk_add_f16 v25, v8, v4
	v_pk_max_f16 v26, v57, v57
	v_pk_add_f16 v27, v9, v5
	s_delay_alu instid0(VALU_DEP_2) | instskip(NEXT) | instid1(VALU_DEP_1)
	v_pk_min_f16 v25, v26, v25
	v_pk_min_f16 v27, v25, v27
	v_lshlrev_b64 v[25:26], 1, v[40:41]
	s_delay_alu instid0(VALU_DEP_2) | instskip(NEXT) | instid1(VALU_DEP_1)
	v_lshrrev_b32_e32 v28, 16, v27
	v_min3_f16 v27, v24, v27, v28
	s_delay_alu instid0(VALU_DEP_3) | instskip(NEXT) | instid1(VALU_DEP_4)
	v_add_co_u32 v24, vcc_lo, v20, v25
	v_add_co_ci_u32_e32 v25, vcc_lo, v21, v26, vcc_lo
	global_store_b16 v[24:25], v27, off
	s_or_b32 exec_lo, exec_lo, s14
	s_and_b32 s15, s5, s8
	s_delay_alu instid0(SALU_CYCLE_1)
	s_and_saveexec_b32 s14, s15
	s_cbranch_execz .LBB275_302
.LBB275_324:
	v_cmp_ne_u32_e32 vcc_lo, 1, v76
	s_cbranch_vccnz .LBB275_326
; %bb.325:
	v_lshlrev_b64 v[24:25], 1, v[42:43]
	s_delay_alu instid0(VALU_DEP_1) | instskip(NEXT) | instid1(VALU_DEP_2)
	v_add_co_u32 v24, vcc_lo, v22, v24
	v_add_co_ci_u32_e32 v25, vcc_lo, v23, v25, vcc_lo
	flat_load_u16 v24, v[24:25]
	s_waitcnt vmcnt(0) lgkmcnt(0)
	v_mul_f16_e32 v24, s24, v24
	s_branch .LBB275_327
.LBB275_326:
	v_mov_b32_e32 v24, 0
.LBB275_327:
	v_pk_add_f16 v25, v10, v4
	v_pk_max_f16 v26, v55, v55
	v_pk_add_f16 v27, v11, v5
	s_delay_alu instid0(VALU_DEP_2) | instskip(NEXT) | instid1(VALU_DEP_1)
	v_pk_min_f16 v25, v26, v25
	v_pk_min_f16 v27, v25, v27
	v_lshlrev_b64 v[25:26], 1, v[42:43]
	s_delay_alu instid0(VALU_DEP_2) | instskip(NEXT) | instid1(VALU_DEP_1)
	v_lshrrev_b32_e32 v28, 16, v27
	v_min3_f16 v27, v24, v27, v28
	s_delay_alu instid0(VALU_DEP_3) | instskip(NEXT) | instid1(VALU_DEP_4)
	v_add_co_u32 v24, vcc_lo, v20, v25
	v_add_co_ci_u32_e32 v25, vcc_lo, v21, v26, vcc_lo
	global_store_b16 v[24:25], v27, off
	s_or_b32 exec_lo, exec_lo, s14
	s_and_b32 s15, s6, s8
	s_delay_alu instid0(SALU_CYCLE_1)
	s_and_saveexec_b32 s14, s15
	s_cbranch_execz .LBB275_303
.LBB275_328:
	v_cmp_ne_u32_e32 vcc_lo, 1, v76
	s_cbranch_vccnz .LBB275_330
; %bb.329:
	v_lshlrev_b64 v[24:25], 1, v[44:45]
	s_delay_alu instid0(VALU_DEP_1) | instskip(NEXT) | instid1(VALU_DEP_2)
	v_add_co_u32 v24, vcc_lo, v22, v24
	v_add_co_ci_u32_e32 v25, vcc_lo, v23, v25, vcc_lo
	flat_load_u16 v24, v[24:25]
	s_waitcnt vmcnt(0) lgkmcnt(0)
	v_mul_f16_e32 v24, s24, v24
	s_branch .LBB275_331
.LBB275_330:
	v_mov_b32_e32 v24, 0
.LBB275_331:
	v_pk_add_f16 v25, v0, v4
	v_pk_max_f16 v26, v60, v60
	v_pk_add_f16 v27, v1, v5
	s_delay_alu instid0(VALU_DEP_2) | instskip(NEXT) | instid1(VALU_DEP_1)
	v_pk_min_f16 v25, v26, v25
	v_pk_min_f16 v27, v25, v27
	v_lshlrev_b64 v[25:26], 1, v[44:45]
	s_delay_alu instid0(VALU_DEP_2) | instskip(NEXT) | instid1(VALU_DEP_1)
	v_lshrrev_b32_e32 v28, 16, v27
	v_min3_f16 v27, v24, v27, v28
	s_delay_alu instid0(VALU_DEP_3) | instskip(NEXT) | instid1(VALU_DEP_4)
	v_add_co_u32 v24, vcc_lo, v20, v25
	v_add_co_ci_u32_e32 v25, vcc_lo, v21, v26, vcc_lo
	global_store_b16 v[24:25], v27, off
	s_or_b32 exec_lo, exec_lo, s14
	s_and_b32 s14, s7, s8
	s_delay_alu instid0(SALU_CYCLE_1)
	s_and_saveexec_b32 s8, s14
	s_cbranch_execz .LBB275_336
.LBB275_332:
	v_cmp_ne_u32_e32 vcc_lo, 1, v76
	s_cbranch_vccnz .LBB275_334
; %bb.333:
	v_lshlrev_b64 v[24:25], 1, v[46:47]
	s_delay_alu instid0(VALU_DEP_1) | instskip(NEXT) | instid1(VALU_DEP_2)
	v_add_co_u32 v22, vcc_lo, v22, v24
	v_add_co_ci_u32_e32 v23, vcc_lo, v23, v25, vcc_lo
	flat_load_u16 v22, v[22:23]
	s_waitcnt vmcnt(0) lgkmcnt(0)
	v_mul_f16_e32 v22, s24, v22
	s_branch .LBB275_335
.LBB275_334:
	v_mov_b32_e32 v22, 0
.LBB275_335:
	v_pk_add_f16 v4, v2, v4
	v_pk_max_f16 v23, v58, v58
	v_pk_add_f16 v5, v3, v5
	s_delay_alu instid0(VALU_DEP_2) | instskip(NEXT) | instid1(VALU_DEP_1)
	v_pk_min_f16 v4, v23, v4
	v_pk_min_f16 v23, v4, v5
	v_lshlrev_b64 v[4:5], 1, v[46:47]
	s_delay_alu instid0(VALU_DEP_2) | instskip(NEXT) | instid1(VALU_DEP_2)
	v_lshrrev_b32_e32 v24, 16, v23
	v_add_co_u32 v4, vcc_lo, v20, v4
	s_delay_alu instid0(VALU_DEP_3) | instskip(NEXT) | instid1(VALU_DEP_3)
	v_add_co_ci_u32_e32 v5, vcc_lo, v21, v5, vcc_lo
	v_min3_f16 v22, v22, v23, v24
	global_store_b16 v[4:5], v22, off
.LBB275_336:
	s_or_b32 exec_lo, exec_lo, s8
	v_add_nc_u32_e32 v22, 0xe0, v85
	s_delay_alu instid0(VALU_DEP_1) | instskip(SKIP_2) | instid1(VALU_DEP_3)
	v_mad_i64_i32 v[4:5], null, v22, s18, 0
	v_mad_i64_i32 v[20:21], null, v22, s9, 0
	v_cmp_gt_i32_e64 s8, s17, v22
	v_lshlrev_b64 v[4:5], 1, v[4:5]
	s_delay_alu instid0(VALU_DEP_2) | instskip(NEXT) | instid1(VALU_DEP_3)
	s_and_b32 s9, s0, s8
	v_lshlrev_b64 v[20:21], 1, v[20:21]
	s_delay_alu instid0(VALU_DEP_2) | instskip(NEXT) | instid1(VALU_DEP_3)
	v_add_co_u32 v22, vcc_lo, s12, v4
	v_add_co_ci_u32_e32 v23, vcc_lo, s13, v5, vcc_lo
	s_delay_alu instid0(VALU_DEP_3) | instskip(NEXT) | instid1(VALU_DEP_4)
	v_add_co_u32 v20, vcc_lo, s10, v20
	v_add_co_ci_u32_e32 v21, vcc_lo, s11, v21, vcc_lo
	s_and_saveexec_b32 s0, s9
	s_cbranch_execnz .LBB275_345
; %bb.337:
	s_or_b32 exec_lo, exec_lo, s0
	s_and_b32 s1, s1, s8
	s_delay_alu instid0(SALU_CYCLE_1)
	s_and_saveexec_b32 s0, s1
	s_cbranch_execnz .LBB275_349
.LBB275_338:
	s_or_b32 exec_lo, exec_lo, s0
	s_and_b32 s1, s2, s8
	s_delay_alu instid0(SALU_CYCLE_1)
	s_and_saveexec_b32 s0, s1
	s_cbranch_execnz .LBB275_353
.LBB275_339:
	s_or_b32 exec_lo, exec_lo, s0
	s_and_b32 s1, s3, s8
	s_delay_alu instid0(SALU_CYCLE_1)
	s_and_saveexec_b32 s0, s1
	s_cbranch_execnz .LBB275_357
.LBB275_340:
	s_or_b32 exec_lo, exec_lo, s0
	s_and_b32 s1, s4, s8
	s_delay_alu instid0(SALU_CYCLE_1)
	s_and_saveexec_b32 s0, s1
	s_cbranch_execnz .LBB275_361
.LBB275_341:
	s_or_b32 exec_lo, exec_lo, s0
	s_and_b32 s1, s5, s8
	s_delay_alu instid0(SALU_CYCLE_1)
	s_and_saveexec_b32 s0, s1
	s_cbranch_execnz .LBB275_365
.LBB275_342:
	s_or_b32 exec_lo, exec_lo, s0
	s_and_b32 s1, s6, s8
	s_delay_alu instid0(SALU_CYCLE_1)
	s_and_saveexec_b32 s0, s1
	s_cbranch_execnz .LBB275_369
.LBB275_343:
	s_or_b32 exec_lo, exec_lo, s0
	s_and_b32 s0, s7, s8
	s_delay_alu instid0(SALU_CYCLE_1)
	s_and_saveexec_b32 s1, s0
	s_cbranch_execnz .LBB275_373
.LBB275_344:
	s_nop 0
	s_sendmsg sendmsg(MSG_DEALLOC_VGPRS)
	s_endpgm
.LBB275_345:
	v_cmp_ne_u32_e32 vcc_lo, 1, v76
	v_lshlrev_b64 v[4:5], 1, v[32:33]
	s_cbranch_vccnz .LBB275_347
; %bb.346:
	s_delay_alu instid0(VALU_DEP_1) | instskip(NEXT) | instid1(VALU_DEP_2)
	v_add_co_u32 v24, vcc_lo, v22, v4
	v_add_co_ci_u32_e32 v25, vcc_lo, v23, v5, vcc_lo
	flat_load_u16 v24, v[24:25]
	s_waitcnt vmcnt(0) lgkmcnt(0)
	v_mul_f16_e32 v24, s24, v24
	s_branch .LBB275_348
.LBB275_347:
	v_mov_b32_e32 v24, 0
.LBB275_348:
	v_pk_add_f16 v16, v16, v6
	v_pk_max_f16 v25, v56, v56
	v_pk_add_f16 v17, v17, v7
	v_add_co_u32 v4, vcc_lo, v20, v4
	v_add_co_ci_u32_e32 v5, vcc_lo, v21, v5, vcc_lo
	s_delay_alu instid0(VALU_DEP_4) | instskip(NEXT) | instid1(VALU_DEP_1)
	v_pk_min_f16 v16, v25, v16
	v_pk_min_f16 v16, v16, v17
	s_delay_alu instid0(VALU_DEP_1) | instskip(NEXT) | instid1(VALU_DEP_1)
	v_lshrrev_b32_e32 v17, 16, v16
	v_min3_f16 v16, v24, v16, v17
	global_store_b16 v[4:5], v16, off
	s_or_b32 exec_lo, exec_lo, s0
	s_and_b32 s1, s1, s8
	s_delay_alu instid0(SALU_CYCLE_1)
	s_and_saveexec_b32 s0, s1
	s_cbranch_execz .LBB275_338
.LBB275_349:
	v_cmp_ne_u32_e32 vcc_lo, 1, v76
	v_lshlrev_b64 v[4:5], 1, v[34:35]
	s_cbranch_vccnz .LBB275_351
; %bb.350:
	s_delay_alu instid0(VALU_DEP_1) | instskip(NEXT) | instid1(VALU_DEP_2)
	v_add_co_u32 v16, vcc_lo, v22, v4
	v_add_co_ci_u32_e32 v17, vcc_lo, v23, v5, vcc_lo
	flat_load_u16 v16, v[16:17]
	s_waitcnt vmcnt(0) lgkmcnt(0)
	v_mul_f16_e32 v16, s24, v16
	s_branch .LBB275_352
.LBB275_351:
	v_mov_b32_e32 v16, 0
.LBB275_352:
	v_pk_add_f16 v17, v18, v6
	v_pk_max_f16 v18, v54, v54
	v_pk_add_f16 v19, v19, v7
	v_add_co_u32 v4, vcc_lo, v20, v4
	v_add_co_ci_u32_e32 v5, vcc_lo, v21, v5, vcc_lo
	s_delay_alu instid0(VALU_DEP_4) | instskip(NEXT) | instid1(VALU_DEP_1)
	v_pk_min_f16 v17, v18, v17
	v_pk_min_f16 v17, v17, v19
	s_delay_alu instid0(VALU_DEP_1) | instskip(NEXT) | instid1(VALU_DEP_1)
	v_lshrrev_b32_e32 v18, 16, v17
	v_min3_f16 v16, v16, v17, v18
	global_store_b16 v[4:5], v16, off
	s_or_b32 exec_lo, exec_lo, s0
	s_and_b32 s1, s2, s8
	s_delay_alu instid0(SALU_CYCLE_1)
	s_and_saveexec_b32 s0, s1
	s_cbranch_execz .LBB275_339
.LBB275_353:
	v_cmp_ne_u32_e32 vcc_lo, 1, v76
	v_lshlrev_b64 v[4:5], 1, v[36:37]
	s_cbranch_vccnz .LBB275_355
; %bb.354:
	s_delay_alu instid0(VALU_DEP_1) | instskip(NEXT) | instid1(VALU_DEP_2)
	v_add_co_u32 v16, vcc_lo, v22, v4
	v_add_co_ci_u32_e32 v17, vcc_lo, v23, v5, vcc_lo
	flat_load_u16 v16, v[16:17]
	s_waitcnt vmcnt(0) lgkmcnt(0)
	v_mul_f16_e32 v16, s24, v16
	s_branch .LBB275_356
.LBB275_355:
	v_mov_b32_e32 v16, 0
.LBB275_356:
	v_pk_add_f16 v12, v12, v6
	v_pk_max_f16 v17, v53, v53
	v_pk_add_f16 v13, v13, v7
	v_add_co_u32 v4, vcc_lo, v20, v4
	v_add_co_ci_u32_e32 v5, vcc_lo, v21, v5, vcc_lo
	s_delay_alu instid0(VALU_DEP_4) | instskip(NEXT) | instid1(VALU_DEP_1)
	v_pk_min_f16 v12, v17, v12
	v_pk_min_f16 v12, v12, v13
	s_delay_alu instid0(VALU_DEP_1) | instskip(NEXT) | instid1(VALU_DEP_1)
	v_lshrrev_b32_e32 v13, 16, v12
	v_min3_f16 v12, v16, v12, v13
	global_store_b16 v[4:5], v12, off
	s_or_b32 exec_lo, exec_lo, s0
	s_and_b32 s1, s3, s8
	s_delay_alu instid0(SALU_CYCLE_1)
	s_and_saveexec_b32 s0, s1
	s_cbranch_execz .LBB275_340
.LBB275_357:
	v_cmp_ne_u32_e32 vcc_lo, 1, v76
	v_lshlrev_b64 v[4:5], 1, v[38:39]
	s_cbranch_vccnz .LBB275_359
; %bb.358:
	s_delay_alu instid0(VALU_DEP_1) | instskip(NEXT) | instid1(VALU_DEP_2)
	v_add_co_u32 v12, vcc_lo, v22, v4
	v_add_co_ci_u32_e32 v13, vcc_lo, v23, v5, vcc_lo
	flat_load_u16 v12, v[12:13]
	s_waitcnt vmcnt(0) lgkmcnt(0)
	v_mul_f16_e32 v12, s24, v12
	s_branch .LBB275_360
.LBB275_359:
	v_mov_b32_e32 v12, 0
.LBB275_360:
	v_pk_add_f16 v13, v14, v6
	v_pk_max_f16 v14, v52, v52
	v_pk_add_f16 v15, v15, v7
	v_add_co_u32 v4, vcc_lo, v20, v4
	v_add_co_ci_u32_e32 v5, vcc_lo, v21, v5, vcc_lo
	s_delay_alu instid0(VALU_DEP_4) | instskip(NEXT) | instid1(VALU_DEP_1)
	v_pk_min_f16 v13, v14, v13
	v_pk_min_f16 v13, v13, v15
	s_delay_alu instid0(VALU_DEP_1) | instskip(NEXT) | instid1(VALU_DEP_1)
	v_lshrrev_b32_e32 v14, 16, v13
	v_min3_f16 v12, v12, v13, v14
	global_store_b16 v[4:5], v12, off
	s_or_b32 exec_lo, exec_lo, s0
	s_and_b32 s1, s4, s8
	s_delay_alu instid0(SALU_CYCLE_1)
	s_and_saveexec_b32 s0, s1
	s_cbranch_execz .LBB275_341
.LBB275_361:
	v_cmp_ne_u32_e32 vcc_lo, 1, v76
	v_lshlrev_b64 v[4:5], 1, v[40:41]
	s_cbranch_vccnz .LBB275_363
; %bb.362:
	s_delay_alu instid0(VALU_DEP_1) | instskip(NEXT) | instid1(VALU_DEP_2)
	v_add_co_u32 v12, vcc_lo, v22, v4
	v_add_co_ci_u32_e32 v13, vcc_lo, v23, v5, vcc_lo
	flat_load_u16 v12, v[12:13]
	s_waitcnt vmcnt(0) lgkmcnt(0)
	v_mul_f16_e32 v12, s24, v12
	s_branch .LBB275_364
.LBB275_363:
	v_mov_b32_e32 v12, 0
.LBB275_364:
	v_pk_add_f16 v8, v8, v6
	v_pk_max_f16 v13, v51, v51
	v_pk_add_f16 v9, v9, v7
	v_add_co_u32 v4, vcc_lo, v20, v4
	v_add_co_ci_u32_e32 v5, vcc_lo, v21, v5, vcc_lo
	s_delay_alu instid0(VALU_DEP_4) | instskip(NEXT) | instid1(VALU_DEP_1)
	v_pk_min_f16 v8, v13, v8
	v_pk_min_f16 v8, v8, v9
	s_delay_alu instid0(VALU_DEP_1) | instskip(NEXT) | instid1(VALU_DEP_1)
	v_lshrrev_b32_e32 v9, 16, v8
	v_min3_f16 v8, v12, v8, v9
	global_store_b16 v[4:5], v8, off
	s_or_b32 exec_lo, exec_lo, s0
	s_and_b32 s1, s5, s8
	s_delay_alu instid0(SALU_CYCLE_1)
	s_and_saveexec_b32 s0, s1
	s_cbranch_execz .LBB275_342
.LBB275_365:
	v_cmp_ne_u32_e32 vcc_lo, 1, v76
	v_lshlrev_b64 v[4:5], 1, v[42:43]
	s_cbranch_vccnz .LBB275_367
; %bb.366:
	s_delay_alu instid0(VALU_DEP_1) | instskip(NEXT) | instid1(VALU_DEP_2)
	v_add_co_u32 v8, vcc_lo, v22, v4
	v_add_co_ci_u32_e32 v9, vcc_lo, v23, v5, vcc_lo
	flat_load_u16 v8, v[8:9]
	s_waitcnt vmcnt(0) lgkmcnt(0)
	v_mul_f16_e32 v8, s24, v8
	s_branch .LBB275_368
.LBB275_367:
	v_mov_b32_e32 v8, 0
.LBB275_368:
	v_pk_add_f16 v9, v10, v6
	v_pk_max_f16 v10, v50, v50
	v_pk_add_f16 v11, v11, v7
	v_add_co_u32 v4, vcc_lo, v20, v4
	v_add_co_ci_u32_e32 v5, vcc_lo, v21, v5, vcc_lo
	s_delay_alu instid0(VALU_DEP_4) | instskip(NEXT) | instid1(VALU_DEP_1)
	v_pk_min_f16 v9, v10, v9
	v_pk_min_f16 v9, v9, v11
	s_delay_alu instid0(VALU_DEP_1) | instskip(NEXT) | instid1(VALU_DEP_1)
	v_lshrrev_b32_e32 v10, 16, v9
	v_min3_f16 v8, v8, v9, v10
	global_store_b16 v[4:5], v8, off
	s_or_b32 exec_lo, exec_lo, s0
	s_and_b32 s1, s6, s8
	s_delay_alu instid0(SALU_CYCLE_1)
	s_and_saveexec_b32 s0, s1
	s_cbranch_execz .LBB275_343
.LBB275_369:
	v_cmp_ne_u32_e32 vcc_lo, 1, v76
	v_lshlrev_b64 v[4:5], 1, v[44:45]
	s_cbranch_vccnz .LBB275_371
; %bb.370:
	s_delay_alu instid0(VALU_DEP_1) | instskip(NEXT) | instid1(VALU_DEP_2)
	v_add_co_u32 v8, vcc_lo, v22, v4
	v_add_co_ci_u32_e32 v9, vcc_lo, v23, v5, vcc_lo
	flat_load_u16 v8, v[8:9]
	s_waitcnt vmcnt(0) lgkmcnt(0)
	v_mul_f16_e32 v8, s24, v8
	s_branch .LBB275_372
.LBB275_371:
	v_mov_b32_e32 v8, 0
.LBB275_372:
	v_pk_add_f16 v0, v0, v6
	v_pk_max_f16 v9, v49, v49
	v_pk_add_f16 v1, v1, v7
	s_delay_alu instid0(VALU_DEP_2) | instskip(NEXT) | instid1(VALU_DEP_1)
	v_pk_min_f16 v0, v9, v0
	v_pk_min_f16 v0, v0, v1
	s_delay_alu instid0(VALU_DEP_1) | instskip(NEXT) | instid1(VALU_DEP_1)
	v_lshrrev_b32_e32 v1, 16, v0
	v_min3_f16 v8, v8, v0, v1
	v_add_co_u32 v0, vcc_lo, v20, v4
	v_add_co_ci_u32_e32 v1, vcc_lo, v21, v5, vcc_lo
	global_store_b16 v[0:1], v8, off
	s_or_b32 exec_lo, exec_lo, s0
	s_and_b32 s0, s7, s8
	s_delay_alu instid0(SALU_CYCLE_1)
	s_and_saveexec_b32 s1, s0
	s_cbranch_execz .LBB275_344
.LBB275_373:
	v_cmp_ne_u32_e32 vcc_lo, 1, v76
	v_lshlrev_b64 v[0:1], 1, v[46:47]
	s_cbranch_vccnz .LBB275_375
; %bb.374:
	s_delay_alu instid0(VALU_DEP_1) | instskip(NEXT) | instid1(VALU_DEP_2)
	v_add_co_u32 v4, vcc_lo, v22, v0
	v_add_co_ci_u32_e32 v5, vcc_lo, v23, v1, vcc_lo
	flat_load_u16 v4, v[4:5]
	s_waitcnt vmcnt(0) lgkmcnt(0)
	v_mul_f16_e32 v4, s24, v4
	s_branch .LBB275_376
.LBB275_375:
	v_mov_b32_e32 v4, 0
.LBB275_376:
	v_pk_add_f16 v2, v2, v6
	v_pk_max_f16 v5, v48, v48
	v_pk_add_f16 v3, v3, v7
	v_add_co_u32 v0, vcc_lo, v20, v0
	v_add_co_ci_u32_e32 v1, vcc_lo, v21, v1, vcc_lo
	s_delay_alu instid0(VALU_DEP_4) | instskip(NEXT) | instid1(VALU_DEP_1)
	v_pk_min_f16 v2, v5, v2
	v_pk_min_f16 v2, v2, v3
	s_delay_alu instid0(VALU_DEP_1) | instskip(NEXT) | instid1(VALU_DEP_1)
	v_lshrrev_b32_e32 v3, 16, v2
	v_min3_f16 v2, v4, v2, v3
	global_store_b16 v[0:1], v2, off
	s_nop 0
	s_sendmsg sendmsg(MSG_DEALLOC_VGPRS)
	s_endpgm
	.section	.rodata,"a",@progbits
	.p2align	6, 0x0
	.amdhsa_kernel _ZN12_GLOBAL__N_120geam_min_plus_kernelIDF16_Dv2_DF16_S1_Li8ELi32ELi64ELi256ELi4ELi64ELi4ELi64ELi4ELc78ELc84ELb0ELb1ELb1EDF16_KDF16_DF16_EEviiiT16_PT17_ilS5_ilS3_S5_ilPT18_ili26rocblas_geam_ex_operation_
		.amdhsa_group_segment_fixed_size 5120
		.amdhsa_private_segment_fixed_size 0
		.amdhsa_kernarg_size 128
		.amdhsa_user_sgpr_count 14
		.amdhsa_user_sgpr_dispatch_ptr 0
		.amdhsa_user_sgpr_queue_ptr 0
		.amdhsa_user_sgpr_kernarg_segment_ptr 1
		.amdhsa_user_sgpr_dispatch_id 0
		.amdhsa_user_sgpr_private_segment_size 0
		.amdhsa_wavefront_size32 1
		.amdhsa_uses_dynamic_stack 0
		.amdhsa_enable_private_segment 0
		.amdhsa_system_sgpr_workgroup_id_x 1
		.amdhsa_system_sgpr_workgroup_id_y 0
		.amdhsa_system_sgpr_workgroup_id_z 1
		.amdhsa_system_sgpr_workgroup_info 0
		.amdhsa_system_vgpr_workitem_id 1
		.amdhsa_next_free_vgpr 157
		.amdhsa_next_free_sgpr 35
		.amdhsa_reserve_vcc 1
		.amdhsa_float_round_mode_32 0
		.amdhsa_float_round_mode_16_64 0
		.amdhsa_float_denorm_mode_32 3
		.amdhsa_float_denorm_mode_16_64 3
		.amdhsa_dx10_clamp 1
		.amdhsa_ieee_mode 1
		.amdhsa_fp16_overflow 0
		.amdhsa_workgroup_processor_mode 1
		.amdhsa_memory_ordered 1
		.amdhsa_forward_progress 0
		.amdhsa_shared_vgpr_count 0
		.amdhsa_exception_fp_ieee_invalid_op 0
		.amdhsa_exception_fp_denorm_src 0
		.amdhsa_exception_fp_ieee_div_zero 0
		.amdhsa_exception_fp_ieee_overflow 0
		.amdhsa_exception_fp_ieee_underflow 0
		.amdhsa_exception_fp_ieee_inexact 0
		.amdhsa_exception_int_div_zero 0
	.end_amdhsa_kernel
	.section	.text._ZN12_GLOBAL__N_120geam_min_plus_kernelIDF16_Dv2_DF16_S1_Li8ELi32ELi64ELi256ELi4ELi64ELi4ELi64ELi4ELc78ELc84ELb0ELb1ELb1EDF16_KDF16_DF16_EEviiiT16_PT17_ilS5_ilS3_S5_ilPT18_ili26rocblas_geam_ex_operation_,"axG",@progbits,_ZN12_GLOBAL__N_120geam_min_plus_kernelIDF16_Dv2_DF16_S1_Li8ELi32ELi64ELi256ELi4ELi64ELi4ELi64ELi4ELc78ELc84ELb0ELb1ELb1EDF16_KDF16_DF16_EEviiiT16_PT17_ilS5_ilS3_S5_ilPT18_ili26rocblas_geam_ex_operation_,comdat
.Lfunc_end275:
	.size	_ZN12_GLOBAL__N_120geam_min_plus_kernelIDF16_Dv2_DF16_S1_Li8ELi32ELi64ELi256ELi4ELi64ELi4ELi64ELi4ELc78ELc84ELb0ELb1ELb1EDF16_KDF16_DF16_EEviiiT16_PT17_ilS5_ilS3_S5_ilPT18_ili26rocblas_geam_ex_operation_, .Lfunc_end275-_ZN12_GLOBAL__N_120geam_min_plus_kernelIDF16_Dv2_DF16_S1_Li8ELi32ELi64ELi256ELi4ELi64ELi4ELi64ELi4ELc78ELc84ELb0ELb1ELb1EDF16_KDF16_DF16_EEviiiT16_PT17_ilS5_ilS3_S5_ilPT18_ili26rocblas_geam_ex_operation_
                                        ; -- End function
	.section	.AMDGPU.csdata,"",@progbits
; Kernel info:
; codeLenInByte = 23476
; NumSgprs: 37
; NumVgprs: 157
; ScratchSize: 0
; MemoryBound: 0
; FloatMode: 240
; IeeeMode: 1
; LDSByteSize: 5120 bytes/workgroup (compile time only)
; SGPRBlocks: 4
; VGPRBlocks: 19
; NumSGPRsForWavesPerEU: 37
; NumVGPRsForWavesPerEU: 157
; Occupancy: 9
; WaveLimiterHint : 0
; COMPUTE_PGM_RSRC2:SCRATCH_EN: 0
; COMPUTE_PGM_RSRC2:USER_SGPR: 14
; COMPUTE_PGM_RSRC2:TRAP_HANDLER: 0
; COMPUTE_PGM_RSRC2:TGID_X_EN: 1
; COMPUTE_PGM_RSRC2:TGID_Y_EN: 0
; COMPUTE_PGM_RSRC2:TGID_Z_EN: 1
; COMPUTE_PGM_RSRC2:TIDIG_COMP_CNT: 1
	.section	.text._ZN12_GLOBAL__N_120geam_min_plus_kernelIDF16_Dv2_DF16_S1_Li8ELi32ELi64ELi256ELi4ELi4ELi64ELi64ELi4ELc84ELc84ELb0ELb0ELb1EPKDF16_S2_DF16_EEviiiT16_PT17_ilS6_ilS4_S6_ilPT18_ili26rocblas_geam_ex_operation_,"axG",@progbits,_ZN12_GLOBAL__N_120geam_min_plus_kernelIDF16_Dv2_DF16_S1_Li8ELi32ELi64ELi256ELi4ELi4ELi64ELi64ELi4ELc84ELc84ELb0ELb0ELb1EPKDF16_S2_DF16_EEviiiT16_PT17_ilS6_ilS4_S6_ilPT18_ili26rocblas_geam_ex_operation_,comdat
	.globl	_ZN12_GLOBAL__N_120geam_min_plus_kernelIDF16_Dv2_DF16_S1_Li8ELi32ELi64ELi256ELi4ELi4ELi64ELi64ELi4ELc84ELc84ELb0ELb0ELb1EPKDF16_S2_DF16_EEviiiT16_PT17_ilS6_ilS4_S6_ilPT18_ili26rocblas_geam_ex_operation_ ; -- Begin function _ZN12_GLOBAL__N_120geam_min_plus_kernelIDF16_Dv2_DF16_S1_Li8ELi32ELi64ELi256ELi4ELi4ELi64ELi64ELi4ELc84ELc84ELb0ELb0ELb1EPKDF16_S2_DF16_EEviiiT16_PT17_ilS6_ilS4_S6_ilPT18_ili26rocblas_geam_ex_operation_
	.p2align	8
	.type	_ZN12_GLOBAL__N_120geam_min_plus_kernelIDF16_Dv2_DF16_S1_Li8ELi32ELi64ELi256ELi4ELi4ELi64ELi64ELi4ELc84ELc84ELb0ELb0ELb1EPKDF16_S2_DF16_EEviiiT16_PT17_ilS6_ilS4_S6_ilPT18_ili26rocblas_geam_ex_operation_,@function
_ZN12_GLOBAL__N_120geam_min_plus_kernelIDF16_Dv2_DF16_S1_Li8ELi32ELi64ELi256ELi4ELi4ELi64ELi64ELi4ELc84ELc84ELb0ELb0ELb1EPKDF16_S2_DF16_EEviiiT16_PT17_ilS6_ilS4_S6_ilPT18_ili26rocblas_geam_ex_operation_: ; @_ZN12_GLOBAL__N_120geam_min_plus_kernelIDF16_Dv2_DF16_S1_Li8ELi32ELi64ELi256ELi4ELi4ELi64ELi64ELi4ELc84ELc84ELb0ELb0ELb1EPKDF16_S2_DF16_EEviiiT16_PT17_ilS6_ilS4_S6_ilPT18_ili26rocblas_geam_ex_operation_
; %bb.0:
	s_clause 0x1
	s_load_b128 s[4:7], s[0:1], 0x10
	s_load_b128 s[8:11], s[0:1], 0x28
	s_mov_b32 s12, s15
	s_mov_b32 s13, 0
	v_mov_b32_e32 v1, 0
	s_lshl_b64 s[2:3], s[12:13], 1
	s_mov_b64 s[20:21], 0
	s_waitcnt lgkmcnt(0)
	s_add_u32 s4, s4, s2
	s_addc_u32 s5, s5, s3
	global_load_u16 v40, v1, s[4:5]
	s_clause 0x1
	s_load_b128 s[16:19], s[0:1], 0x40
	s_load_b64 s[22:23], s[0:1], 0x50
	s_waitcnt lgkmcnt(0)
	s_add_u32 s2, s18, s2
	s_addc_u32 s3, s19, s3
	s_mov_b64 s[18:19], 0
	s_waitcnt vmcnt(0)
	v_cmp_eq_f16_e32 vcc_lo, 0, v40
	v_cmp_neq_f16_e64 s4, 0, v40
	s_cbranch_vccnz .LBB276_2
; %bb.1:
	s_mul_i32 s5, s12, s9
	s_mul_hi_u32 s9, s12, s8
	s_mul_i32 s8, s12, s8
	s_add_i32 s9, s9, s5
	s_delay_alu instid0(SALU_CYCLE_1) | instskip(NEXT) | instid1(SALU_CYCLE_1)
	s_lshl_b64 s[8:9], s[8:9], 1
	s_add_u32 s20, s6, s8
	s_addc_u32 s21, s7, s9
.LBB276_2:
	global_load_u16 v48, v1, s[2:3]
	v_cndmask_b32_e64 v1, 0, 1, s4
	s_and_not1_b32 vcc_lo, exec_lo, s4
	s_delay_alu instid0(VALU_DEP_1)
	v_cmp_ne_u32_e64 s3, 1, v1
	s_cbranch_vccnz .LBB276_4
; %bb.3:
	s_mul_i32 s2, s12, s17
	s_mul_hi_u32 s5, s12, s16
	s_mul_i32 s6, s12, s16
	s_add_i32 s7, s5, s2
	s_delay_alu instid0(SALU_CYCLE_1) | instskip(NEXT) | instid1(SALU_CYCLE_1)
	s_lshl_b64 s[6:7], s[6:7], 1
	s_add_u32 s18, s10, s6
	s_addc_u32 s19, s11, s7
.LBB276_4:
	s_load_b128 s[8:11], s[0:1], 0x60
	s_waitcnt vmcnt(0)
	v_cmp_eq_f16_e32 vcc_lo, 0, v48
	s_and_b32 s2, exec_lo, vcc_lo
	s_delay_alu instid0(SALU_CYCLE_1)
	s_mov_b32 vcc_lo, s2
	s_cbranch_vccnz .LBB276_6
; %bb.5:
	s_waitcnt lgkmcnt(0)
	s_mul_i32 s5, s12, s9
	s_mul_hi_u32 s6, s12, s8
	s_delay_alu instid0(SALU_CYCLE_1) | instskip(SKIP_1) | instid1(SALU_CYCLE_1)
	s_add_i32 s7, s6, s5
	s_mul_i32 s6, s12, s8
	s_lshl_b64 s[6:7], s[6:7], 1
	s_delay_alu instid0(SALU_CYCLE_1)
	s_add_u32 s6, s22, s6
	s_addc_u32 s7, s23, s7
	s_branch .LBB276_7
.LBB276_6:
	s_mov_b64 s[6:7], 0
.LBB276_7:
	s_clause 0x1
	s_load_b32 s5, s[0:1], 0x0
	s_load_b32 s15, s[0:1], 0x20
	v_and_b32_e32 v38, 0x3ff, v0
	v_bfe_u32 v39, v0, 10, 10
	s_delay_alu instid0(VALU_DEP_1) | instskip(NEXT) | instid1(VALU_DEP_1)
	v_lshl_add_u32 v0, v39, 3, v38
	v_lshrrev_b32_e32 v6, 2, v0
	s_waitcnt lgkmcnt(0)
	s_add_i32 s5, s5, -1
	s_delay_alu instid0(SALU_CYCLE_1) | instskip(NEXT) | instid1(SALU_CYCLE_1)
	s_ashr_i32 s8, s5, 31
	s_lshr_b32 s8, s8, 26
	s_delay_alu instid0(SALU_CYCLE_1) | instskip(NEXT) | instid1(SALU_CYCLE_1)
	s_add_i32 s5, s5, s8
	s_ashr_i32 s5, s5, 6
	s_delay_alu instid0(SALU_CYCLE_1) | instskip(SKIP_2) | instid1(VALU_DEP_1)
	s_add_i32 s8, s5, 1
	s_not_b32 s5, s5
	v_cvt_f32_u32_e32 v1, s8
	v_rcp_iflag_f32_e32 v1, v1
	s_waitcnt_depctr 0xfff
	v_mul_f32_e32 v1, 0x4f7ffffe, v1
	s_delay_alu instid0(VALU_DEP_1) | instskip(NEXT) | instid1(VALU_DEP_1)
	v_cvt_u32_f32_e32 v1, v1
	v_readfirstlane_b32 s9, v1
	v_and_b32_e32 v1, 3, v38
	s_delay_alu instid0(VALU_DEP_2) | instskip(NEXT) | instid1(VALU_DEP_1)
	s_mul_i32 s5, s5, s9
	v_lshlrev_b32_e32 v4, 1, v1
	s_mul_hi_u32 s5, s9, s5
	s_delay_alu instid0(SALU_CYCLE_1) | instskip(NEXT) | instid1(SALU_CYCLE_1)
	s_add_i32 s9, s9, s5
	s_mul_hi_u32 s5, s14, s9
	s_delay_alu instid0(SALU_CYCLE_1) | instskip(SKIP_2) | instid1(SALU_CYCLE_1)
	s_mul_i32 s9, s5, s8
	s_add_i32 s13, s5, 1
	s_sub_i32 s9, s14, s9
	s_sub_i32 s16, s9, s8
	s_cmp_ge_u32 s9, s8
	s_cselect_b32 s5, s13, s5
	s_cselect_b32 s9, s16, s9
	s_add_i32 s13, s5, 1
	s_cmp_ge_u32 s9, s8
	s_cselect_b32 s9, s13, s5
	s_and_b32 vcc_lo, exec_lo, s3
	s_mul_i32 s16, s9, s8
	s_delay_alu instid0(SALU_CYCLE_1) | instskip(NEXT) | instid1(SALU_CYCLE_1)
	s_sub_i32 s5, s14, s16
	s_lshl_b32 s5, s5, 6
	s_delay_alu instid0(SALU_CYCLE_1)
	v_add_nc_u32_e32 v8, s5, v6
	s_cbranch_vccnz .LBB276_9
; %bb.8:
	s_delay_alu instid0(VALU_DEP_1) | instskip(NEXT) | instid1(VALU_DEP_1)
	v_mad_i64_i32 v[1:2], null, v8, s15, 0
	v_lshlrev_b64 v[1:2], 1, v[1:2]
	s_delay_alu instid0(VALU_DEP_1) | instskip(NEXT) | instid1(VALU_DEP_2)
	v_add_co_u32 v1, vcc_lo, s20, v1
	v_add_co_ci_u32_e32 v2, vcc_lo, s21, v2, vcc_lo
	s_delay_alu instid0(VALU_DEP_2) | instskip(NEXT) | instid1(VALU_DEP_2)
	v_add_co_u32 v1, vcc_lo, v1, v4
	v_add_co_ci_u32_e32 v2, vcc_lo, 0, v2, vcc_lo
	flat_load_u16 v1, v[1:2]
	s_waitcnt vmcnt(0) lgkmcnt(0)
	v_mul_f16_e32 v2, v40, v1
	s_branch .LBB276_10
.LBB276_9:
	v_mov_b32_e32 v2, 0
.LBB276_10:
	s_load_b32 s8, s[0:1], 0x38
	v_lshrrev_b32_e32 v5, 6, v0
	v_and_b32_e32 v7, 63, v0
	s_lshl_b32 s13, s9, 8
	s_delay_alu instid0(VALU_DEP_1) | instid1(SALU_CYCLE_1)
	v_or_b32_e32 v0, s13, v7
	s_delay_alu instid0(VALU_DEP_1) | instskip(SKIP_3) | instid1(VALU_DEP_1)
	v_ashrrev_i32_e32 v1, 31, v0
	s_waitcnt lgkmcnt(0)
	v_mad_i64_i32 v[9:10], null, s8, v5, 0
	s_ashr_i32 s9, s8, 31
	v_lshlrev_b64 v[9:10], 1, v[9:10]
	s_delay_alu instid0(VALU_DEP_1) | instskip(NEXT) | instid1(VALU_DEP_2)
	v_add_co_u32 v9, vcc_lo, s18, v9
	v_add_co_ci_u32_e32 v10, vcc_lo, s19, v10, vcc_lo
	s_and_b32 vcc_lo, exec_lo, s3
	s_cbranch_vccnz .LBB276_14
; %bb.11:
	v_lshlrev_b64 v[11:12], 1, v[0:1]
	s_delay_alu instid0(VALU_DEP_1) | instskip(NEXT) | instid1(VALU_DEP_2)
	v_add_co_u32 v11, vcc_lo, v9, v11
	v_add_co_ci_u32_e32 v12, vcc_lo, v10, v12, vcc_lo
	s_clause 0x1
	flat_load_u16 v3, v[11:12]
	flat_load_u16 v11, v[11:12] offset:128
	s_waitcnt vmcnt(1) lgkmcnt(1)
	v_mul_f16_e32 v3, v40, v3
	s_waitcnt vmcnt(0) lgkmcnt(0)
	v_mul_f16_e32 v14, v40, v11
	s_and_b32 vcc_lo, exec_lo, s3
	s_cbranch_vccnz .LBB276_15
.LBB276_12:
	v_lshlrev_b64 v[11:12], 1, v[0:1]
	s_delay_alu instid0(VALU_DEP_1) | instskip(NEXT) | instid1(VALU_DEP_2)
	v_add_co_u32 v9, vcc_lo, v9, v11
	v_add_co_ci_u32_e32 v10, vcc_lo, v10, v12, vcc_lo
	s_clause 0x1
	flat_load_u16 v11, v[9:10] offset:256
	flat_load_u16 v9, v[9:10] offset:384
	s_waitcnt vmcnt(1) lgkmcnt(1)
	v_mul_f16_e32 v15, v40, v11
	s_waitcnt vmcnt(0) lgkmcnt(0)
	v_mul_f16_e32 v16, v40, v9
	s_and_b32 vcc_lo, exec_lo, s3
	s_cbranch_vccnz .LBB276_16
.LBB276_13:
	v_mad_i64_i32 v[9:10], null, v8, s15, 0
	s_delay_alu instid0(VALU_DEP_1) | instskip(NEXT) | instid1(VALU_DEP_1)
	v_lshlrev_b64 v[8:9], 1, v[9:10]
	v_add_co_u32 v8, vcc_lo, s20, v8
	s_delay_alu instid0(VALU_DEP_2) | instskip(NEXT) | instid1(VALU_DEP_2)
	v_add_co_ci_u32_e32 v9, vcc_lo, s21, v9, vcc_lo
	v_add_co_u32 v8, vcc_lo, v8, v4
	s_delay_alu instid0(VALU_DEP_2)
	v_add_co_ci_u32_e32 v9, vcc_lo, 0, v9, vcc_lo
	flat_load_u16 v8, v[8:9] offset:8
	s_waitcnt vmcnt(0) lgkmcnt(0)
	v_mul_f16_e32 v8, v40, v8
	s_branch .LBB276_17
.LBB276_14:
	v_dual_mov_b32 v3, 0 :: v_dual_mov_b32 v14, 0
	s_and_b32 vcc_lo, exec_lo, s3
	s_cbranch_vccz .LBB276_12
.LBB276_15:
	v_dual_mov_b32 v15, 0 :: v_dual_mov_b32 v16, 0
	s_and_b32 vcc_lo, exec_lo, s3
	s_cbranch_vccz .LBB276_13
.LBB276_16:
	v_mov_b32_e32 v8, 0
.LBB276_17:
	v_add_nc_u32_e32 v11, 4, v5
	s_delay_alu instid0(VALU_DEP_1) | instskip(NEXT) | instid1(VALU_DEP_1)
	v_mad_i64_i32 v[9:10], null, s8, v11, 0
	v_lshlrev_b64 v[9:10], 1, v[9:10]
	s_delay_alu instid0(VALU_DEP_1) | instskip(NEXT) | instid1(VALU_DEP_2)
	v_add_co_u32 v11, vcc_lo, s18, v9
	v_add_co_ci_u32_e32 v12, vcc_lo, s19, v10, vcc_lo
	s_and_b32 vcc_lo, exec_lo, s3
	s_cbranch_vccnz .LBB276_20
; %bb.18:
	v_lshlrev_b64 v[9:10], 1, v[0:1]
	s_delay_alu instid0(VALU_DEP_1) | instskip(NEXT) | instid1(VALU_DEP_2)
	v_add_co_u32 v9, vcc_lo, v11, v9
	v_add_co_ci_u32_e32 v10, vcc_lo, v12, v10, vcc_lo
	s_clause 0x1
	flat_load_u16 v13, v[9:10]
	flat_load_u16 v10, v[9:10] offset:128
	s_waitcnt vmcnt(1) lgkmcnt(1)
	v_mul_f16_e32 v9, v40, v13
	s_waitcnt vmcnt(0) lgkmcnt(0)
	v_mul_f16_e32 v10, v40, v10
	s_and_b32 vcc_lo, exec_lo, s3
	s_cbranch_vccnz .LBB276_21
.LBB276_19:
	v_lshlrev_b64 v[0:1], 1, v[0:1]
	s_delay_alu instid0(VALU_DEP_1) | instskip(NEXT) | instid1(VALU_DEP_2)
	v_add_co_u32 v0, vcc_lo, v11, v0
	v_add_co_ci_u32_e32 v1, vcc_lo, v12, v1, vcc_lo
	s_clause 0x1
	flat_load_u16 v11, v[0:1] offset:256
	flat_load_u16 v0, v[0:1] offset:384
	s_waitcnt vmcnt(1) lgkmcnt(1)
	v_mul_f16_e32 v11, v40, v11
	s_waitcnt vmcnt(0) lgkmcnt(0)
	v_mul_f16_e32 v12, v40, v0
	s_branch .LBB276_22
.LBB276_20:
	v_dual_mov_b32 v9, 0 :: v_dual_mov_b32 v10, 0
	s_and_b32 vcc_lo, exec_lo, s3
	s_cbranch_vccz .LBB276_19
.LBB276_21:
	v_dual_mov_b32 v11, 0 :: v_dual_mov_b32 v12, 0
.LBB276_22:
	v_lshlrev_b32_e32 v0, 1, v5
	v_lshlrev_b32_e32 v41, 3, v38
	;; [unrolled: 1-line block ×3, first 2 shown]
	v_lshl_or_b32 v13, v6, 3, v4
	s_load_b32 s17, s[0:1], 0x8
	v_lshl_add_u32 v43, v7, 3, v0
	v_add_nc_u32_e32 v0, 0x1000, v41
	ds_store_b16 v43, v3
	ds_store_b16 v43, v14 offset:512
	ds_store_b16 v43, v15 offset:1024
	;; [unrolled: 1-line block ×4, first 2 shown]
	s_waitcnt lgkmcnt(0)
	s_barrier
	buffer_gl0_inv
	ds_load_2addr_b64 v[14:17], v0 offset1:8
	ds_load_2addr_b64 v[18:21], v42 offset1:32
	ds_load_2addr_b64 v[22:25], v0 offset0:16 offset1:24
	ds_load_2addr_b64 v[26:29], v0 offset0:32 offset1:40
	;; [unrolled: 1-line block ×5, first 2 shown]
	s_cmp_lt_i32 s17, 9
	s_waitcnt lgkmcnt(5)
	v_pk_add_f16 v45, v16, v18
	v_pk_add_f16 v76, v17, v19
	s_waitcnt lgkmcnt(3)
	v_pk_add_f16 v50, v28, v18
	v_pk_add_f16 v44, v14, v18
	s_waitcnt lgkmcnt(2)
	v_pk_add_f16 v52, v2, v18
	v_pk_min_f16 v45, 0x7c00, v45 op_sel_hi:[0,1]
	v_pk_add_f16 v80, v29, v19
	v_pk_add_f16 v46, v22, v18
	;; [unrolled: 1-line block ×4, first 2 shown]
	v_pk_min_f16 v115, v45, v76
	v_pk_min_f16 v45, 0x7c00, v50 op_sel_hi:[0,1]
	v_pk_add_f16 v82, v3, v19
	v_pk_min_f16 v44, 0x7c00, v44 op_sel_hi:[0,1]
	v_pk_add_f16 v51, v0, v18
	v_pk_add_f16 v60, v2, v20
	v_pk_min_f16 v109, v45, v80
	v_pk_min_f16 v45, 0x7c00, v52 op_sel_hi:[0,1]
	s_waitcnt lgkmcnt(1)
	v_pk_add_f16 v61, v14, v30
	v_pk_add_f16 v62, v16, v30
	v_pk_add_f16 v63, v22, v30
	v_pk_add_f16 v64, v24, v30
	v_pk_add_f16 v65, v26, v30
	v_pk_add_f16 v66, v28, v30
	v_pk_add_f16 v67, v0, v30
	v_pk_add_f16 v30, v2, v30
	v_pk_add_f16 v77, v23, v19
	v_pk_add_f16 v86, v25, v21
	v_pk_min_f16 v116, v44, v75
	v_pk_min_f16 v44, 0x7c00, v46 op_sel_hi:[0,1]
	v_pk_min_f16 v106, v45, v82
	v_pk_min_f16 v45, 0x7c00, v56 op_sel_hi:[0,1]
	v_pk_add_f16 v55, v22, v20
	v_pk_add_f16 v71, v24, v32
	;; [unrolled: 1-line block ×12, first 2 shown]
	v_pk_min_f16 v114, v44, v77
	v_pk_min_f16 v44, 0x7c00, v51 op_sel_hi:[0,1]
	v_pk_min_f16 v102, v45, v86
	v_pk_min_f16 v45, 0x7c00, v60 op_sel_hi:[0,1]
	v_pk_min_f16 v30, 0x7c00, v30 op_sel_hi:[0,1]
	v_pk_add_f16 v47, v24, v18
	v_pk_add_f16 v68, v14, v32
	;; [unrolled: 1-line block ×10, first 2 shown]
	v_pk_min_f16 v107, v44, v81
	v_pk_min_f16 v44, 0x7c00, v55 op_sel_hi:[0,1]
	v_pk_min_f16 v98, v45, v90
	v_pk_min_f16 v90, v30, v31
	v_pk_min_f16 v31, 0x7c00, v71 op_sel_hi:[0,1]
	v_pk_add_f16 v53, v14, v20
	v_pk_add_f16 v57, v26, v20
	v_pk_add_f16 v78, v25, v19
	v_pk_add_f16 v117, v15, v33
	v_pk_add_f16 v118, v17, v33
	v_pk_add_f16 v119, v23, v33
	v_pk_add_f16 v121, v27, v33
	v_pk_add_f16 v122, v29, v33
	v_pk_add_f16 v123, v1, v33
	v_pk_add_f16 v33, v3, v33
	s_waitcnt lgkmcnt(0)
	v_pk_add_f16 v127, v24, v34
	v_pk_min_f16 v46, 0x7c00, v47 op_sel_hi:[0,1]
	v_pk_min_f16 v103, v44, v85
	v_pk_min_f16 v30, 0x7c00, v70 op_sel_hi:[0,1]
	v_pk_min_f16 v85, v31, v120
	v_pk_min_f16 v31, 0x7c00, v32 op_sel_hi:[0,1]
	v_pk_add_f16 v58, v28, v20
	v_pk_add_f16 v83, v15, v21
	;; [unrolled: 1-line block ×6, first 2 shown]
	v_pk_min_f16 v113, v46, v78
	v_pk_min_f16 v46, 0x7c00, v53 op_sel_hi:[0,1]
	v_pk_min_f16 v44, 0x7c00, v57 op_sel_hi:[0,1]
	v_pk_min_f16 v86, v30, v119
	v_pk_min_f16 v30, 0x7c00, v74 op_sel_hi:[0,1]
	v_pk_min_f16 v81, v31, v33
	v_pk_min_f16 v31, 0x7c00, v127 op_sel_hi:[0,1]
	v_pk_add_f16 v49, v26, v18
	v_pk_add_f16 v54, v16, v20
	;; [unrolled: 1-line block ×9, first 2 shown]
	ds_load_2addr_b64 v[18:21], v42 offset0:192 offset1:224
	v_pk_add_f16 v138, v15, v35
	v_pk_add_f16 v143, v29, v35
	v_pk_min_f16 v105, v46, v83
	v_pk_min_f16 v46, 0x7c00, v58 op_sel_hi:[0,1]
	v_pk_min_f16 v101, v44, v87
	v_pk_min_f16 v44, 0x7c00, v61 op_sel_hi:[0,1]
	;; [unrolled: 2-line block ×4, first 2 shown]
	v_pk_add_f16 v125, v16, v34
	v_pk_add_f16 v131, v14, v36
	;; [unrolled: 1-line block ×5, first 2 shown]
	v_pk_min_f16 v100, v46, v88
	v_pk_min_f16 v45, 0x7c00, v62 op_sel_hi:[0,1]
	v_pk_min_f16 v46, 0x7c00, v63 op_sel_hi:[0,1]
	v_pk_min_f16 v97, v44, v91
	v_pk_min_f16 v44, 0x7c00, v65 op_sel_hi:[0,1]
	v_pk_min_f16 v80, v30, v138
	;; [unrolled: 2-line block ×3, first 2 shown]
	v_pk_min_f16 v31, 0x7c00, v132 op_sel_hi:[0,1]
	v_pk_add_f16 v126, v22, v34
	v_pk_add_f16 v130, v0, v34
	v_pk_add_f16 v34, v2, v34
	v_pk_add_f16 v133, v22, v36
	v_pk_add_f16 v134, v24, v36
	v_pk_add_f16 v135, v26, v36
	v_pk_add_f16 v137, v0, v36
	v_pk_add_f16 v36, v2, v36
	v_pk_add_f16 v139, v17, v35
	v_pk_add_f16 v145, v15, v37
	v_pk_add_f16 v150, v29, v37
	v_pk_min_f16 v47, 0x7c00, v49 op_sel_hi:[0,1]
	v_pk_min_f16 v96, v45, v92
	v_pk_min_f16 v95, v46, v93
	v_pk_min_f16 v45, 0x7c00, v66 op_sel_hi:[0,1]
	v_pk_min_f16 v93, v44, v108
	v_pk_min_f16 v44, 0x7c00, v67 op_sel_hi:[0,1]
	v_pk_min_f16 v32, 0x7c00, v125 op_sel_hi:[0,1]
	v_pk_min_f16 v76, v30, v142
	v_pk_min_f16 v30, 0x7c00, v131 op_sel_hi:[0,1]
	v_pk_min_f16 v71, v31, v146
	v_pk_min_f16 v31, 0x7c00, v136 op_sel_hi:[0,1]
	v_pk_add_f16 v140, v23, v35
	v_pk_add_f16 v144, v1, v35
	;; [unrolled: 1-line block ×8, first 2 shown]
	v_pk_min_f16 v112, v47, v79
	v_pk_min_f16 v92, v45, v110
	v_pk_min_f16 v45, 0x7c00, v69 op_sel_hi:[0,1]
	v_pk_min_f16 v91, v44, v111
	v_pk_min_f16 v44, 0x7c00, v72 op_sel_hi:[0,1]
	;; [unrolled: 2-line block ×3, first 2 shown]
	v_pk_min_f16 v33, 0x7c00, v34 op_sel_hi:[0,1]
	v_pk_min_f16 v72, v30, v145
	v_pk_min_f16 v30, 0x7c00, v133 op_sel_hi:[0,1]
	v_pk_min_f16 v67, v31, v150
	v_pk_min_f16 v31, 0x7c00, v36 op_sel_hi:[0,1]
	s_waitcnt lgkmcnt(0)
	v_pk_add_f16 v152, v14, v18
	v_pk_add_f16 v153, v16, v18
	;; [unrolled: 1-line block ×7, first 2 shown]
	v_pk_min_f16 v47, 0x7c00, v54 op_sel_hi:[0,1]
	v_pk_min_f16 v88, v45, v118
	v_pk_min_f16 v45, 0x7c00, v73 op_sel_hi:[0,1]
	v_pk_min_f16 v74, v32, v144
	v_pk_min_f16 v73, v33, v35
	v_pk_min_f16 v32, 0x7c00, v134 op_sel_hi:[0,1]
	v_pk_min_f16 v33, 0x7c00, v135 op_sel_hi:[0,1]
	v_pk_min_f16 v70, v30, v147
	v_pk_min_f16 v30, 0x7c00, v137 op_sel_hi:[0,1]
	v_pk_min_f16 v65, v31, v37
	v_pk_add_f16 v31, v0, v18
	v_pk_add_f16 v18, v2, v18
	;; [unrolled: 1-line block ×14, first 2 shown]
	v_pk_min_f16 v104, v47, v84
	v_pk_min_f16 v47, 0x7c00, v59 op_sel_hi:[0,1]
	v_pk_min_f16 v46, 0x7c00, v68 op_sel_hi:[0,1]
	v_pk_min_f16 v69, v32, v148
	v_pk_min_f16 v68, v33, v149
	v_pk_min_f16 v32, 0x7c00, v152 op_sel_hi:[0,1]
	v_pk_min_f16 v33, 0x7c00, v153 op_sel_hi:[0,1]
	v_pk_min_f16 v66, v30, v151
	v_pk_min_f16 v30, 0x7c00, v156 op_sel_hi:[0,1]
	v_pk_add_f16 v34, v1, v19
	v_pk_min_f16 v18, 0x7c00, v18 op_sel_hi:[0,1]
	v_pk_add_f16 v19, v3, v19
	;; [unrolled: 2-line block ×3, first 2 shown]
	v_pk_add_f16 v2, v2, v20
	v_pk_add_f16 v17, v17, v21
	;; [unrolled: 1-line block ×6, first 2 shown]
	v_pk_min_f16 v99, v47, v89
	v_pk_min_f16 v47, 0x7c00, v64 op_sel_hi:[0,1]
	v_pk_min_f16 v84, v44, v121
	v_pk_min_f16 v44, 0x7c00, v126 op_sel_hi:[0,1]
	v_pk_min_f16 v64, v32, v154
	v_pk_min_f16 v63, v33, v155
	;; [unrolled: 1-line block ×3, first 2 shown]
	v_pk_min_f16 v30, 0x7c00, v157 op_sel_hi:[0,1]
	v_pk_min_f16 v32, 0x7c00, v160 op_sel_hi:[0,1]
	;; [unrolled: 1-line block ×6, first 2 shown]
	v_pk_min_f16 v57, v18, v19
	v_pk_min_f16 v56, v14, v15
	v_pk_min_f16 v14, 0x7c00, v24 op_sel_hi:[0,1]
	v_pk_min_f16 v15, 0x7c00, v26 op_sel_hi:[0,1]
	;; [unrolled: 1-line block ×5, first 2 shown]
	v_pk_add_f16 v1, v1, v21
	v_pk_add_f16 v3, v3, v21
	v_pk_min_f16 v94, v47, v94
	v_pk_min_f16 v89, v46, v117
	;; [unrolled: 1-line block ×15, first 2 shown]
	ds_store_b16 v43, v9 offset:2048
	ds_store_b16 v43, v10 offset:2560
	;; [unrolled: 1-line block ×5, first 2 shown]
	s_waitcnt lgkmcnt(0)
	s_barrier
	buffer_gl0_inv
	s_cbranch_scc1 .LBB276_40
; %bb.23:
	v_lshl_add_u32 v0, s14, 6, v6
	s_lshl_b32 s14, s16, 6
	v_add_nc_u32_e32 v3, 12, v5
	v_add_nc_u32_e32 v9, 8, v5
	v_add_nc_u32_e32 v44, 0x1000, v13
	v_subrev_nc_u32_e32 v2, s14, v0
	v_add_nc_u32_e32 v45, 0x1000, v41
	v_mad_i64_i32 v[5:6], null, v3, s8, 0
	v_add_nc_u32_e32 v46, 0x1200, v13
	s_delay_alu instid0(VALU_DEP_4) | instskip(SKIP_4) | instid1(VALU_DEP_4)
	v_mad_i64_i32 v[0:1], null, s15, v2, 0
	v_add_nc_u32_e32 v2, s13, v7
	v_mad_i64_i32 v[7:8], null, v9, s8, 0
	v_lshlrev_b64 v[32:33], 1, v[5:6]
	v_or_b32_e32 v47, 0x800, v43
	v_ashrrev_i32_e32 v3, 31, v2
	v_lshlrev_b64 v[0:1], 1, v[0:1]
	v_lshl_add_u32 v87, v38, 3, 0x1200
	v_lshl_add_u32 v108, v39, 3, 0x800
	v_lshlrev_b64 v[36:37], 1, v[7:8]
	s_add_i32 s14, s17, -8
	s_lshl_b64 s[8:9], s[8:9], 4
	v_add_co_u32 v4, vcc_lo, v0, v4
	v_add_co_ci_u32_e32 v9, vcc_lo, 0, v1, vcc_lo
	v_lshlrev_b64 v[0:1], 1, v[2:3]
	s_delay_alu instid0(VALU_DEP_3) | instskip(NEXT) | instid1(VALU_DEP_3)
	v_add_co_u32 v2, vcc_lo, v4, s20
	v_add_co_ci_u32_e32 v3, vcc_lo, s21, v9, vcc_lo
	s_mov_b32 s15, 0
	s_delay_alu instid0(VALU_DEP_2) | instskip(NEXT) | instid1(VALU_DEP_2)
	v_add_co_u32 v34, vcc_lo, v2, 16
	v_add_co_ci_u32_e32 v35, vcc_lo, 0, v3, vcc_lo
	v_add_co_u32 v110, vcc_lo, s18, v0
	v_add_co_ci_u32_e32 v111, vcc_lo, s19, v1, vcc_lo
	s_and_b32 s4, exec_lo, s4
	s_branch .LBB276_26
.LBB276_24:                             ;   in Loop: Header=BB276_26 Depth=1
	v_add_co_u32 v0, vcc_lo, v110, v32
	v_add_co_ci_u32_e32 v1, vcc_lo, v111, v33, vcc_lo
	s_clause 0x1
	flat_load_u16 v11, v[0:1] offset:256
	flat_load_u16 v1, v[0:1] offset:384
	s_waitcnt vmcnt(1) lgkmcnt(1)
	v_mul_f16_e32 v0, v40, v11
	s_waitcnt vmcnt(0) lgkmcnt(0)
	v_mul_f16_e32 v1, v40, v1
.LBB276_25:                             ;   in Loop: Header=BB276_26 Depth=1
	ds_load_2addr_b64 v[120:123], v45 offset1:8
	ds_load_2addr_b64 v[88:91], v42 offset1:32
	ds_load_2addr_b64 v[124:127], v45 offset0:16 offset1:24
	ds_load_2addr_b64 v[128:131], v45 offset0:32 offset1:40
	;; [unrolled: 1-line block ×6, first 2 shown]
	v_pk_max_f16 v11, v84, v84
	v_pk_max_f16 v17, v82, v82
	v_pk_max_f16 v19, v80, v80
	v_pk_max_f16 v79, v79, v79
	v_pk_max_f16 v80, v85, v85
	v_pk_max_f16 v82, v83, v83
	v_pk_max_f16 v77, v77, v77
	v_pk_max_f16 v71, v71, v71
	v_pk_max_f16 v78, v78, v78
	v_pk_max_f16 v76, v76, v76
	v_pk_max_f16 v75, v75, v75
	v_pk_max_f16 v73, v73, v73
	v_pk_max_f16 v66, v66, v66
	s_waitcnt lgkmcnt(6)
	v_pk_add_f16 v83, v120, v88
	v_pk_add_f16 v84, v122, v88
	s_waitcnt lgkmcnt(5)
	v_pk_add_f16 v85, v124, v88
	v_pk_add_f16 v86, v126, v88
	;; [unrolled: 3-line block ×4, first 2 shown]
	v_pk_min_f16 v11, v11, v83
	v_pk_min_f16 v17, v17, v84
	;; [unrolled: 1-line block ×5, first 2 shown]
	v_pk_add_f16 v83, v120, v90
	v_pk_add_f16 v84, v122, v90
	;; [unrolled: 1-line block ×5, first 2 shown]
	v_pk_min_f16 v71, v71, v83
	v_pk_min_f16 v78, v78, v84
	;; [unrolled: 1-line block ×5, first 2 shown]
	v_pk_add_f16 v83, v130, v90
	v_pk_add_f16 v84, v132, v90
	v_pk_max_f16 v74, v74, v74
	v_pk_add_f16 v85, v134, v90
	v_pk_max_f16 v72, v72, v72
	s_waitcnt lgkmcnt(2)
	v_pk_add_f16 v86, v120, v136
	v_pk_max_f16 v70, v70, v70
	v_pk_add_f16 v88, v122, v136
	v_pk_max_f16 v68, v68, v68
	v_pk_min_f16 v66, v66, v83
	v_pk_min_f16 v74, v74, v84
	v_pk_min_f16 v72, v72, v85
	v_pk_min_f16 v70, v70, v86
	v_pk_min_f16 v68, v68, v88
	v_pk_add_f16 v83, v124, v136
	v_pk_max_f16 v61, v61, v61
	v_pk_add_f16 v84, v126, v136
	v_pk_max_f16 v69, v69, v69
	v_pk_add_f16 v85, v128, v136
	v_pk_max_f16 v67, v67, v67
	v_pk_add_f16 v86, v130, v136
	v_pk_max_f16 v65, v65, v65
	v_pk_add_f16 v88, v132, v136
	v_pk_max_f16 v63, v63, v63
	v_pk_min_f16 v61, v61, v83
	v_pk_min_f16 v69, v69, v84
	v_pk_min_f16 v67, v67, v85
	v_pk_min_f16 v65, v65, v86
	v_pk_min_f16 v63, v63, v88
	v_pk_add_f16 v83, v134, v136
	v_pk_max_f16 v56, v56, v56
	v_pk_add_f16 v84, v120, v138
	v_pk_max_f16 v64, v64, v64
	v_pk_add_f16 v85, v122, v138
	v_pk_max_f16 v62, v62, v62
	v_pk_add_f16 v86, v124, v138
	v_pk_max_f16 v60, v60, v60
	v_pk_add_f16 v88, v126, v138
	v_pk_max_f16 v58, v58, v58
	v_pk_min_f16 v56, v56, v83
	v_pk_min_f16 v64, v64, v84
	v_pk_min_f16 v62, v62, v85
	v_pk_min_f16 v60, v60, v86
	v_pk_min_f16 v58, v58, v88
	v_pk_add_f16 v83, v128, v138
	v_pk_max_f16 v51, v51, v51
	v_pk_add_f16 v84, v130, v138
	v_pk_max_f16 v59, v59, v59
	v_pk_add_f16 v85, v132, v138
	v_pk_max_f16 v57, v57, v57
	v_pk_add_f16 v86, v134, v138
	v_pk_max_f16 v55, v55, v55
	s_waitcnt lgkmcnt(1)
	v_pk_add_f16 v88, v120, v140
	v_pk_max_f16 v53, v53, v53
	v_pk_min_f16 v51, v51, v83
	v_pk_min_f16 v59, v59, v84
	v_pk_min_f16 v57, v57, v85
	v_pk_min_f16 v55, v55, v86
	v_pk_min_f16 v53, v53, v88
	v_pk_add_f16 v83, v122, v140
	v_pk_max_f16 v29, v29, v29
	v_pk_add_f16 v84, v124, v140
	v_pk_max_f16 v54, v54, v54
	v_pk_add_f16 v85, v126, v140
	v_pk_max_f16 v52, v52, v52
	v_pk_add_f16 v86, v128, v140
	v_pk_max_f16 v50, v50, v50
	v_pk_add_f16 v88, v130, v140
	v_pk_max_f16 v31, v31, v31
	v_pk_min_f16 v29, v29, v83
	v_pk_min_f16 v54, v54, v84
	v_pk_min_f16 v52, v52, v85
	v_pk_min_f16 v50, v50, v86
	v_pk_min_f16 v31, v31, v88
	v_pk_add_f16 v83, v132, v140
	v_pk_max_f16 v24, v24, v24
	v_pk_add_f16 v84, v134, v140
	v_pk_max_f16 v49, v49, v49
	v_pk_add_f16 v85, v120, v142
	v_pk_max_f16 v30, v30, v30
	v_pk_add_f16 v86, v122, v142
	v_pk_max_f16 v28, v28, v28
	;; [unrolled: 15-line block ×3, first 2 shown]
	v_pk_add_f16 v88, v134, v142
	v_pk_max_f16 v21, v21, v21
	v_pk_min_f16 v18, v18, v83
	v_pk_min_f16 v27, v27, v84
	;; [unrolled: 1-line block ×5, first 2 shown]
	s_waitcnt lgkmcnt(0)
	v_pk_add_f16 v83, v120, v144
	v_pk_max_f16 v12, v12, v12
	v_pk_add_f16 v84, v122, v144
	v_pk_max_f16 v22, v22, v22
	;; [unrolled: 2-line block ×5, first 2 shown]
	v_pk_min_f16 v12, v12, v83
	v_pk_min_f16 v22, v22, v84
	;; [unrolled: 1-line block ×5, first 2 shown]
	v_pk_add_f16 v83, v130, v144
	v_pk_max_f16 v6, v6, v6
	v_pk_add_f16 v84, v132, v144
	v_pk_max_f16 v15, v15, v15
	;; [unrolled: 2-line block ×5, first 2 shown]
	v_pk_min_f16 v6, v6, v83
	v_pk_min_f16 v15, v15, v84
	v_pk_min_f16 v13, v13, v85
	v_pk_min_f16 v10, v10, v86
	v_pk_min_f16 v8, v8, v88
	v_pk_add_f16 v83, v124, v146
	v_pk_max_f16 v4, v4, v4
	v_pk_add_f16 v84, v126, v146
	v_pk_max_f16 v9, v9, v9
	;; [unrolled: 2-line block ×5, first 2 shown]
	v_pk_max_f16 v81, v81, v81
	v_pk_min_f16 v4, v4, v83
	v_pk_min_f16 v9, v9, v84
	;; [unrolled: 1-line block ×5, first 2 shown]
	v_pk_add_f16 v83, v134, v146
	v_pk_max_f16 v2, v2, v2
	v_pk_add_f16 v84, v121, v89
	v_pk_add_f16 v85, v123, v89
	v_pk_add_f16 v86, v125, v89
	v_pk_add_f16 v88, v127, v89
	v_pk_min_f16 v80, v80, v92
	v_pk_min_f16 v82, v82, v93
	;; [unrolled: 1-line block ×8, first 2 shown]
	v_pk_add_f16 v11, v129, v89
	v_pk_add_f16 v17, v131, v89
	v_pk_add_f16 v19, v133, v89
	v_pk_add_f16 v79, v135, v89
	v_pk_add_f16 v83, v121, v91
	v_pk_min_f16 v112, v80, v11
	v_pk_min_f16 v109, v82, v17
	v_pk_min_f16 v107, v81, v19
	v_pk_min_f16 v106, v77, v79
	v_pk_min_f16 v105, v71, v83
	v_pk_add_f16 v11, v123, v91
	v_pk_add_f16 v17, v125, v91
	v_pk_add_f16 v19, v127, v91
	v_pk_add_f16 v71, v129, v91
	v_pk_add_f16 v77, v131, v91
	v_pk_min_f16 v104, v78, v11
	v_pk_min_f16 v103, v76, v17
	v_pk_min_f16 v102, v75, v19
	v_pk_min_f16 v101, v73, v71
	v_pk_min_f16 v100, v66, v77
	;; [unrolled: 10-line block ×11, first 2 shown]
	v_pk_add_f16 v4, v127, v147
	v_pk_add_f16 v6, v129, v147
	;; [unrolled: 1-line block ×5, first 2 shown]
	v_add_co_u32 v34, vcc_lo, v34, 16
	v_add_co_ci_u32_e32 v35, vcc_lo, 0, v35, vcc_lo
	v_add_co_u32 v110, vcc_lo, v110, s8
	v_pk_min_f16 v53, v9, v4
	v_pk_min_f16 v52, v7, v6
	;; [unrolled: 1-line block ×5, first 2 shown]
	v_add_co_ci_u32_e32 v111, vcc_lo, s9, v111, vcc_lo
	s_add_i32 s15, s15, 8
	ds_store_b16 v46, v117
	ds_store_b16 v47, v118
	ds_store_b16 v47, v119 offset:512
	ds_store_b16 v47, v0 offset:1024
	;; [unrolled: 1-line block ×3, first 2 shown]
	s_cmp_ge_i32 s15, s14
	s_waitcnt lgkmcnt(0)
	s_barrier
	buffer_gl0_inv
	s_cbranch_scc1 .LBB276_40
.LBB276_26:                             ; =>This Inner Loop Header: Depth=1
	v_mov_b32_e32 v117, 0
	s_and_b32 vcc_lo, exec_lo, s3
	s_cbranch_vccnz .LBB276_28
; %bb.27:                               ;   in Loop: Header=BB276_26 Depth=1
	flat_load_u16 v0, v[34:35]
	s_waitcnt vmcnt(0) lgkmcnt(0)
	v_mul_f16_e32 v117, v40, v0
.LBB276_28:                             ;   in Loop: Header=BB276_26 Depth=1
	s_and_b32 vcc_lo, exec_lo, s3
	s_cbranch_vccnz .LBB276_31
; %bb.29:                               ;   in Loop: Header=BB276_26 Depth=1
	v_add_co_u32 v0, vcc_lo, v110, v36
	v_add_co_ci_u32_e32 v1, vcc_lo, v111, v37, vcc_lo
	s_clause 0x1
	flat_load_u16 v2, v[0:1]
	flat_load_u16 v0, v[0:1] offset:128
	s_waitcnt vmcnt(1) lgkmcnt(1)
	v_mul_f16_e32 v118, v40, v2
	s_waitcnt vmcnt(0) lgkmcnt(0)
	v_mul_f16_e32 v119, v40, v0
	s_and_b32 vcc_lo, exec_lo, s3
	s_cbranch_vccnz .LBB276_32
.LBB276_30:                             ;   in Loop: Header=BB276_26 Depth=1
	v_add_co_u32 v0, vcc_lo, v110, v36
	v_add_co_ci_u32_e32 v1, vcc_lo, v111, v37, vcc_lo
	s_clause 0x1
	flat_load_u16 v2, v[0:1] offset:256
	flat_load_u16 v0, v[0:1] offset:384
	s_waitcnt vmcnt(1) lgkmcnt(1)
	v_mul_f16_e32 v120, v40, v2
	s_waitcnt vmcnt(0) lgkmcnt(0)
	v_mul_f16_e32 v121, v40, v0
	s_branch .LBB276_33
.LBB276_31:                             ;   in Loop: Header=BB276_26 Depth=1
	v_dual_mov_b32 v118, 0 :: v_dual_mov_b32 v119, 0
	s_and_b32 vcc_lo, exec_lo, s3
	s_cbranch_vccz .LBB276_30
.LBB276_32:                             ;   in Loop: Header=BB276_26 Depth=1
	v_dual_mov_b32 v120, 0 :: v_dual_mov_b32 v121, 0
.LBB276_33:                             ;   in Loop: Header=BB276_26 Depth=1
	ds_load_2addr_b64 v[12:15], v87 offset1:8
	ds_load_2addr_b64 v[8:11], v87 offset0:16 offset1:24
	ds_load_2addr_b64 v[4:7], v87 offset0:32 offset1:40
	;; [unrolled: 1-line block ×3, first 2 shown]
	ds_load_2addr_b64 v[28:31], v108 offset1:32
	ds_load_2addr_b64 v[24:27], v108 offset0:64 offset1:96
	ds_load_2addr_b64 v[20:23], v108 offset0:128 offset1:160
	ds_load_2addr_b64 v[16:19], v108 offset0:192 offset1:224
	s_mov_b32 vcc_lo, s4
	ds_store_b16 v44, v117
	ds_store_b16 v43, v118
	ds_store_b16 v43, v119 offset:512
	ds_store_b16 v43, v120 offset:1024
	ds_store_b16 v43, v121 offset:1536
	s_waitcnt lgkmcnt(0)
	s_barrier
	buffer_gl0_inv
	s_cbranch_vccz .LBB276_36
; %bb.34:                               ;   in Loop: Header=BB276_26 Depth=1
	flat_load_u16 v117, v[34:35] offset:8
	s_waitcnt vmcnt(0) lgkmcnt(0)
	v_mul_f16_e32 v117, v40, v117
	s_and_b32 vcc_lo, exec_lo, s3
	s_cbranch_vccnz .LBB276_37
.LBB276_35:                             ;   in Loop: Header=BB276_26 Depth=1
	v_add_co_u32 v118, vcc_lo, v110, v32
	v_add_co_ci_u32_e32 v119, vcc_lo, v111, v33, vcc_lo
	s_clause 0x1
	flat_load_u16 v120, v[118:119]
	flat_load_u16 v119, v[118:119] offset:128
	s_waitcnt vmcnt(1) lgkmcnt(1)
	v_mul_f16_e32 v118, v40, v120
	s_waitcnt vmcnt(0) lgkmcnt(0)
	v_mul_f16_e32 v119, v40, v119
	s_branch .LBB276_38
.LBB276_36:                             ;   in Loop: Header=BB276_26 Depth=1
	v_mov_b32_e32 v117, 0
	s_and_b32 vcc_lo, exec_lo, s3
	s_cbranch_vccz .LBB276_35
.LBB276_37:                             ;   in Loop: Header=BB276_26 Depth=1
	v_dual_mov_b32 v118, 0 :: v_dual_mov_b32 v119, 0
.LBB276_38:                             ;   in Loop: Header=BB276_26 Depth=1
	v_pk_add_f16 v120, v12, v28
	v_pk_max_f16 v116, v116, v116
	v_pk_add_f16 v121, v14, v28
	v_pk_max_f16 v115, v115, v115
	;; [unrolled: 2-line block ×3, first 2 shown]
	v_pk_min_f16 v116, v116, v120
	v_pk_add_f16 v120, v10, v28
	v_pk_min_f16 v115, v115, v121
	v_pk_max_f16 v113, v113, v113
	v_pk_min_f16 v114, v114, v122
	v_pk_add_f16 v121, v4, v28
	v_pk_max_f16 v112, v112, v112
	v_pk_add_f16 v122, v6, v28
	v_pk_add_f16 v123, v0, v28
	v_pk_add_f16 v28, v2, v28
	v_pk_max_f16 v106, v106, v106
	v_pk_max_f16 v109, v109, v109
	;; [unrolled: 1-line block ×3, first 2 shown]
	v_pk_min_f16 v113, v113, v120
	v_pk_min_f16 v112, v112, v121
	;; [unrolled: 1-line block ×3, first 2 shown]
	v_pk_add_f16 v106, v12, v30
	v_pk_max_f16 v105, v105, v105
	v_pk_add_f16 v120, v14, v30
	v_pk_max_f16 v104, v104, v104
	;; [unrolled: 2-line block ×3, first 2 shown]
	v_pk_min_f16 v109, v109, v122
	v_pk_min_f16 v107, v107, v123
	v_pk_add_f16 v122, v10, v30
	v_pk_max_f16 v102, v102, v102
	v_pk_add_f16 v123, v4, v30
	v_pk_min_f16 v105, v105, v106
	v_pk_min_f16 v104, v104, v120
	;; [unrolled: 1-line block ×3, first 2 shown]
	v_pk_add_f16 v106, v6, v30
	v_pk_max_f16 v100, v100, v100
	v_pk_add_f16 v120, v0, v30
	v_pk_add_f16 v30, v2, v30
	v_pk_max_f16 v98, v98, v98
	v_pk_add_f16 v121, v12, v24
	v_pk_max_f16 v97, v97, v97
	v_pk_min_f16 v102, v102, v122
	v_pk_max_f16 v99, v99, v99
	v_pk_add_f16 v122, v14, v24
	v_pk_max_f16 v96, v96, v96
	v_pk_min_f16 v100, v100, v106
	v_pk_min_f16 v30, v98, v30
	;; [unrolled: 1-line block ×3, first 2 shown]
	v_pk_add_f16 v98, v8, v24
	v_pk_max_f16 v95, v95, v95
	v_pk_add_f16 v106, v10, v24
	v_pk_max_f16 v94, v94, v94
	;; [unrolled: 2-line block ×3, first 2 shown]
	v_pk_min_f16 v99, v99, v120
	v_pk_min_f16 v96, v96, v122
	v_pk_add_f16 v120, v4, v24
	v_pk_max_f16 v93, v93, v93
	v_pk_add_f16 v122, v0, v24
	v_pk_min_f16 v95, v95, v98
	v_pk_min_f16 v94, v94, v106
	v_pk_min_f16 v92, v92, v121
	v_pk_add_f16 v24, v2, v24
	v_pk_max_f16 v90, v90, v90
	v_pk_add_f16 v98, v12, v26
	v_pk_max_f16 v89, v89, v89
	;; [unrolled: 2-line block ×4, first 2 shown]
	v_pk_min_f16 v93, v93, v120
	v_pk_add_f16 v120, v8, v26
	v_pk_min_f16 v24, v90, v24
	v_pk_min_f16 v89, v89, v98
	;; [unrolled: 1-line block ×4, first 2 shown]
	v_pk_add_f16 v85, v4, v26
	v_pk_add_f16 v98, v6, v26
	;; [unrolled: 1-line block ×3, first 2 shown]
	v_pk_max_f16 v82, v82, v82
	v_pk_add_f16 v26, v2, v26
	v_pk_max_f16 v81, v81, v81
	v_pk_max_f16 v101, v101, v101
	;; [unrolled: 1-line block ×5, first 2 shown]
	v_pk_min_f16 v106, v82, v106
	v_pk_min_f16 v26, v81, v26
	v_pk_add_f16 v81, v8, v20
	v_pk_max_f16 v78, v78, v78
	v_pk_add_f16 v82, v10, v20
	v_pk_max_f16 v77, v77, v77
	v_pk_min_f16 v101, v101, v123
	v_pk_min_f16 v86, v86, v120
	v_pk_add_f16 v120, v12, v20
	v_pk_max_f16 v80, v80, v80
	v_pk_min_f16 v121, v84, v85
	v_pk_min_f16 v98, v83, v98
	v_pk_add_f16 v83, v4, v20
	v_pk_max_f16 v76, v76, v76
	v_pk_add_f16 v84, v6, v20
	v_pk_max_f16 v75, v75, v75
	v_pk_min_f16 v123, v78, v81
	v_pk_min_f16 v124, v77, v82
	v_pk_add_f16 v77, v14, v22
	v_pk_max_f16 v71, v71, v71
	v_pk_add_f16 v78, v8, v22
	v_pk_max_f16 v70, v70, v70
	v_pk_min_f16 v120, v80, v120
	v_pk_add_f16 v80, v14, v20
	v_pk_min_f16 v125, v76, v83
	v_pk_min_f16 v126, v75, v84
	v_pk_add_f16 v75, v0, v20
	v_pk_add_f16 v20, v2, v20
	v_pk_max_f16 v73, v73, v73
	v_pk_add_f16 v76, v12, v22
	v_pk_max_f16 v72, v72, v72
	v_pk_min_f16 v129, v71, v77
	v_pk_min_f16 v130, v70, v78
	v_pk_add_f16 v70, v10, v22
	v_pk_max_f16 v69, v69, v69
	v_pk_add_f16 v71, v4, v22
	v_pk_max_f16 v68, v68, v68
	v_pk_min_f16 v20, v73, v20
	v_pk_min_f16 v128, v72, v76
	v_pk_add_f16 v72, v6, v22
	v_pk_max_f16 v67, v67, v67
	v_pk_add_f16 v73, v0, v22
	v_pk_max_f16 v66, v66, v66
	;; [unrolled: 2-line block ×3, first 2 shown]
	v_pk_min_f16 v131, v69, v70
	v_pk_min_f16 v132, v68, v71
	v_pk_add_f16 v68, v10, v16
	v_pk_max_f16 v61, v61, v61
	v_pk_add_f16 v69, v4, v16
	v_pk_max_f16 v60, v60, v60
	v_pk_min_f16 v133, v67, v72
	v_pk_min_f16 v134, v66, v73
	;; [unrolled: 1-line block ×3, first 2 shown]
	v_pk_add_f16 v65, v12, v16
	v_pk_add_f16 v66, v14, v16
	;; [unrolled: 1-line block ×3, first 2 shown]
	v_pk_min_f16 v138, v61, v68
	v_pk_min_f16 v139, v60, v69
	v_pk_add_f16 v60, v6, v16
	v_pk_add_f16 v61, v0, v16
	;; [unrolled: 1-line block ×3, first 2 shown]
	v_pk_max_f16 v57, v57, v57
	v_pk_add_f16 v12, v12, v18
	v_pk_max_f16 v56, v56, v56
	v_pk_add_f16 v14, v14, v18
	v_pk_max_f16 v55, v55, v55
	v_pk_min_f16 v142, v57, v16
	v_pk_add_f16 v8, v8, v18
	v_pk_min_f16 v143, v56, v12
	v_pk_max_f16 v12, v54, v54
	v_pk_add_f16 v4, v4, v18
	v_pk_max_f16 v16, v52, v52
	v_pk_min_f16 v144, v55, v14
	v_pk_add_f16 v10, v10, v18
	v_pk_max_f16 v14, v53, v53
	v_pk_add_f16 v6, v6, v18
	v_pk_max_f16 v51, v51, v51
	v_pk_min_f16 v145, v12, v8
	v_pk_min_f16 v147, v16, v4
	v_pk_add_f16 v2, v2, v18
	v_pk_max_f16 v4, v49, v49
	v_pk_add_f16 v8, v15, v29
	v_pk_max_f16 v91, v91, v91
	v_pk_max_f16 v79, v79, v79
	v_pk_min_f16 v146, v14, v10
	v_pk_min_f16 v148, v51, v6
	v_pk_add_f16 v6, v13, v29
	v_pk_add_f16 v10, v9, v29
	v_pk_min_f16 v2, v4, v2
	v_pk_min_f16 v82, v115, v8
	v_pk_add_f16 v4, v5, v29
	v_pk_add_f16 v8, v1, v29
	v_pk_min_f16 v91, v91, v122
	v_pk_min_f16 v122, v79, v80
	v_pk_max_f16 v74, v74, v74
	v_pk_add_f16 v12, v11, v29
	v_pk_min_f16 v84, v116, v6
	v_pk_min_f16 v80, v114, v10
	v_pk_add_f16 v6, v7, v29
	v_pk_add_f16 v10, v3, v29
	v_pk_min_f16 v85, v112, v4
	v_pk_min_f16 v81, v107, v8
	v_pk_add_f16 v4, v15, v31
	;; [unrolled: 4-line block ×3, first 2 shown]
	v_pk_min_f16 v83, v109, v6
	v_pk_min_f16 v77, v28, v10
	v_pk_add_f16 v6, v9, v31
	v_pk_add_f16 v10, v5, v31
	v_pk_min_f16 v78, v104, v4
	v_pk_min_f16 v75, v102, v8
	v_pk_add_f16 v4, v1, v31
	v_pk_add_f16 v8, v13, v25
	v_pk_max_f16 v64, v64, v64
	v_pk_max_f16 v63, v63, v63
	v_pk_min_f16 v71, v105, v12
	v_pk_add_f16 v12, v7, v31
	v_pk_min_f16 v76, v103, v6
	v_pk_min_f16 v73, v101, v10
	v_pk_add_f16 v6, v3, v31
	v_pk_add_f16 v10, v15, v25
	v_pk_min_f16 v74, v99, v4
	v_pk_min_f16 v70, v97, v8
	v_pk_add_f16 v4, v11, v25
	v_pk_add_f16 v8, v7, v25
	v_pk_max_f16 v62, v62, v62
	v_pk_min_f16 v135, v64, v65
	v_pk_min_f16 v136, v63, v66
	v_pk_max_f16 v59, v59, v59
	v_pk_max_f16 v58, v58, v58
	v_pk_min_f16 v66, v100, v12
	v_pk_add_f16 v12, v9, v25
	v_pk_min_f16 v72, v30, v6
	v_pk_min_f16 v68, v96, v10
	v_pk_add_f16 v6, v5, v25
	v_pk_add_f16 v10, v1, v25
	v_pk_min_f16 v69, v94, v4
	v_pk_min_f16 v65, v92, v8
	v_pk_add_f16 v4, v13, v27
	v_pk_add_f16 v8, v9, v27
	v_pk_min_f16 v137, v62, v67
	v_pk_min_f16 v140, v59, v60
	;; [unrolled: 1-line block ×4, first 2 shown]
	v_pk_add_f16 v12, v3, v25
	v_pk_min_f16 v67, v93, v6
	v_pk_min_f16 v63, v91, v10
	v_pk_add_f16 v6, v15, v27
	v_pk_add_f16 v10, v11, v27
	v_pk_min_f16 v64, v89, v4
	v_pk_min_f16 v60, v86, v8
	v_pk_add_f16 v4, v7, v27
	v_pk_add_f16 v8, v3, v27
	;; [unrolled: 1-line block ×3, first 2 shown]
	v_pk_max_f16 v50, v50, v50
	v_pk_min_f16 v56, v24, v12
	v_pk_add_f16 v12, v5, v27
	v_pk_min_f16 v62, v88, v6
	v_pk_min_f16 v58, v90, v10
	v_pk_add_f16 v6, v1, v27
	v_pk_add_f16 v10, v13, v21
	v_pk_min_f16 v59, v98, v4
	v_pk_min_f16 v55, v26, v8
	v_pk_add_f16 v4, v9, v21
	;; [unrolled: 4-line block ×3, first 2 shown]
	v_pk_min_f16 v57, v106, v6
	v_pk_min_f16 v53, v120, v10
	v_pk_add_f16 v6, v11, v21
	v_pk_add_f16 v10, v7, v21
	v_pk_min_f16 v54, v123, v4
	v_pk_min_f16 v50, v125, v8
	v_pk_add_f16 v4, v3, v21
	v_pk_add_f16 v8, v15, v23
	v_pk_min_f16 v29, v122, v12
	v_pk_add_f16 v12, v1, v21
	v_pk_min_f16 v52, v124, v6
	v_pk_min_f16 v31, v126, v10
	v_pk_add_f16 v6, v13, v23
	v_pk_add_f16 v10, v9, v23
	v_pk_min_f16 v49, v20, v4
	v_pk_min_f16 v28, v129, v8
	v_pk_add_f16 v4, v5, v23
	v_pk_add_f16 v8, v1, v23
	v_pk_min_f16 v24, v127, v12
	v_pk_add_f16 v12, v11, v23
	v_pk_min_f16 v30, v128, v6
	v_pk_min_f16 v26, v130, v10
	v_pk_add_f16 v6, v7, v23
	v_pk_add_f16 v10, v3, v23
	v_pk_min_f16 v27, v132, v4
	v_pk_min_f16 v23, v134, v8
	v_pk_add_f16 v4, v15, v17
	v_pk_add_f16 v8, v11, v17
	v_pk_min_f16 v18, v131, v12
	v_pk_add_f16 v12, v13, v17
	v_pk_min_f16 v25, v133, v6
	v_pk_min_f16 v21, v22, v10
	v_pk_add_f16 v6, v9, v17
	v_pk_add_f16 v10, v5, v17
	;; [unrolled: 1-line block ×3, first 2 shown]
	v_pk_min_f16 v22, v136, v4
	v_pk_min_f16 v16, v138, v8
	v_pk_add_f16 v4, v1, v17
	v_pk_add_f16 v8, v3, v17
	;; [unrolled: 1-line block ×4, first 2 shown]
	v_pk_min_f16 v14, v139, v10
	v_pk_add_f16 v10, v13, v19
	v_pk_min_f16 v15, v141, v4
	v_pk_min_f16 v13, v142, v8
	;; [unrolled: 1-line block ×4, first 2 shown]
	v_pk_add_f16 v9, v11, v19
	v_pk_add_f16 v5, v5, v19
	;; [unrolled: 1-line block ×5, first 2 shown]
	v_pk_min_f16 v12, v135, v12
	v_pk_min_f16 v20, v137, v6
	;; [unrolled: 1-line block ×9, first 2 shown]
	s_and_b32 vcc_lo, exec_lo, s3
	s_cbranch_vccz .LBB276_24
; %bb.39:                               ;   in Loop: Header=BB276_26 Depth=1
	v_dual_mov_b32 v0, 0 :: v_dual_mov_b32 v1, 0
	s_branch .LBB276_25
.LBB276_40:
	s_load_b32 s8, s[0:1], 0x58
	v_dual_mov_b32 v34, 0 :: v_dual_add_nc_u32 v87, s13, v39
	ds_load_b64 v[28:29], v41 offset:4608
	ds_load_b64 v[46:47], v42 offset:2048
	v_add_nc_u32_e32 v44, s5, v38
	v_cmp_neq_f16_e64 s3, 0, v48
	v_mov_b32_e32 v32, 0
	s_delay_alu instid0(VALU_DEP_3) | instskip(NEXT) | instid1(VALU_DEP_3)
	v_ashrrev_i32_e32 v45, 31, v44
	s_and_b32 vcc_lo, exec_lo, s3
	s_delay_alu instid0(VALU_DEP_1) | instskip(SKIP_2) | instid1(VALU_DEP_1)
	v_lshlrev_b64 v[30:31], 1, v[44:45]
	s_waitcnt lgkmcnt(0)
	v_mad_i64_i32 v[0:1], null, v87, s8, 0
	v_lshlrev_b64 v[0:1], 1, v[0:1]
	s_delay_alu instid0(VALU_DEP_1) | instskip(NEXT) | instid1(VALU_DEP_1)
	v_add_co_u32 v108, s4, s6, v0
	v_add_co_ci_u32_e64 v110, s4, s7, v1, s4
	s_cbranch_vccz .LBB276_42
; %bb.41:
	s_delay_alu instid0(VALU_DEP_2) | instskip(NEXT) | instid1(VALU_DEP_2)
	v_add_co_u32 v0, vcc_lo, v108, v30
	v_add_co_ci_u32_e32 v1, vcc_lo, v110, v31, vcc_lo
	flat_load_u16 v0, v[0:1]
	s_waitcnt vmcnt(0) lgkmcnt(0)
	v_mul_f16_e32 v32, v48, v0
.LBB276_42:
	s_clause 0x1
	s_load_b32 s4, s[0:1], 0x70
	s_load_b64 s[14:15], s[0:1], 0x78
	v_add_nc_u32_e32 v0, 0x1000, v41
	v_add_nc_u32_e32 v12, 0x800, v42
	v_pk_add_f16 v33, v28, v46
	v_pk_max_f16 v36, v116, v116
	ds_load_b64 v[24:25], v41 offset:5056
	ds_load_b64 v[26:27], v42 offset:3840
	ds_load_2addr_b64 v[8:11], v0 offset0:72 offset1:80
	ds_load_2addr_b64 v[4:7], v0 offset0:88 offset1:96
	;; [unrolled: 1-line block ×6, first 2 shown]
	v_pk_add_f16 v39, v29, v47
	v_pk_min_f16 v33, v36, v33
	v_add_nc_u32_e32 v35, 8, v44
	v_cndmask_b32_e64 v40, 0, 1, s3
	s_delay_alu instid0(VALU_DEP_3) | instskip(NEXT) | instid1(VALU_DEP_3)
	v_pk_min_f16 v33, v33, v39
	v_ashrrev_i32_e32 v36, 31, v35
	s_delay_alu instid0(VALU_DEP_3) | instskip(NEXT) | instid1(VALU_DEP_3)
	v_cmp_ne_u32_e64 s0, 1, v40
	v_lshrrev_b32_e32 v39, 16, v33
	s_waitcnt lgkmcnt(0)
	v_mad_i64_i32 v[37:38], null, v87, s4, 0
	s_mul_i32 s1, s12, s15
	s_mul_hi_u32 s5, s12, s14
	s_mul_i32 s12, s12, s14
	s_add_i32 s13, s5, s1
	v_min3_f16 v39, v32, v33, v39
	s_lshl_b64 s[12:13], s[12:13], 1
	s_delay_alu instid0(VALU_DEP_2) | instskip(SKIP_3) | instid1(VALU_DEP_2)
	v_lshlrev_b64 v[37:38], 1, v[37:38]
	s_add_u32 s1, s10, s12
	s_addc_u32 s5, s11, s13
	v_lshlrev_b64 v[32:33], 1, v[35:36]
	v_add_co_u32 v111, vcc_lo, s1, v37
	s_delay_alu instid0(VALU_DEP_3) | instskip(NEXT) | instid1(VALU_DEP_2)
	v_add_co_ci_u32_e32 v116, vcc_lo, s5, v38, vcc_lo
	v_add_co_u32 v37, vcc_lo, v111, v30
	s_delay_alu instid0(VALU_DEP_2)
	v_add_co_ci_u32_e32 v38, vcc_lo, v116, v31, vcc_lo
	s_and_not1_b32 vcc_lo, exec_lo, s3
	global_store_b16 v[37:38], v39, off
	s_cbranch_vccnz .LBB276_44
; %bb.43:
	v_add_co_u32 v34, vcc_lo, v108, v32
	v_add_co_ci_u32_e32 v35, vcc_lo, v110, v33, vcc_lo
	flat_load_u16 v34, v[34:35]
	s_waitcnt vmcnt(0) lgkmcnt(0)
	v_mul_f16_e32 v34, v48, v34
.LBB276_44:
	v_pk_add_f16 v35, v8, v46
	v_pk_max_f16 v36, v115, v115
	v_pk_add_f16 v37, v9, v47
	v_add_co_u32 v38, vcc_lo, v111, v32
	v_add_co_ci_u32_e32 v39, vcc_lo, v116, v33, vcc_lo
	s_delay_alu instid0(VALU_DEP_4) | instskip(SKIP_2) | instid1(VALU_DEP_2)
	v_pk_min_f16 v36, v36, v35
	v_add_nc_u32_e32 v35, 16, v44
	s_and_b32 vcc_lo, exec_lo, s0
	v_pk_min_f16 v40, v36, v37
	s_delay_alu instid0(VALU_DEP_2) | instskip(SKIP_1) | instid1(VALU_DEP_3)
	v_ashrrev_i32_e32 v36, 31, v35
	v_mov_b32_e32 v37, 0
	v_lshrrev_b32_e32 v41, 16, v40
	s_delay_alu instid0(VALU_DEP_1) | instskip(NEXT) | instid1(VALU_DEP_4)
	v_min3_f16 v40, v34, v40, v41
	v_lshlrev_b64 v[34:35], 1, v[35:36]
	v_mov_b32_e32 v36, 0
	global_store_b16 v[38:39], v40, off
	s_cbranch_vccnz .LBB276_46
; %bb.45:
	v_add_co_u32 v38, vcc_lo, v108, v34
	v_add_co_ci_u32_e32 v39, vcc_lo, v110, v35, vcc_lo
	flat_load_u16 v36, v[38:39]
	s_waitcnt vmcnt(0) lgkmcnt(0)
	v_mul_f16_e32 v36, v48, v36
.LBB276_46:
	v_pk_add_f16 v38, v10, v46
	v_pk_max_f16 v39, v114, v114
	v_pk_add_f16 v40, v11, v47
	v_add_co_u32 v42, vcc_lo, v111, v34
	v_add_co_ci_u32_e32 v43, vcc_lo, v116, v35, vcc_lo
	s_delay_alu instid0(VALU_DEP_4) | instskip(SKIP_2) | instid1(VALU_DEP_2)
	v_pk_min_f16 v39, v39, v38
	v_add_nc_u32_e32 v38, 24, v44
	s_and_b32 vcc_lo, exec_lo, s0
	v_pk_min_f16 v40, v39, v40
	s_delay_alu instid0(VALU_DEP_2) | instskip(NEXT) | instid1(VALU_DEP_2)
	v_ashrrev_i32_e32 v39, 31, v38
	v_lshrrev_b32_e32 v41, 16, v40
	s_delay_alu instid0(VALU_DEP_1) | instskip(NEXT) | instid1(VALU_DEP_3)
	v_min3_f16 v36, v36, v40, v41
	v_lshlrev_b64 v[40:41], 1, v[38:39]
	global_store_b16 v[42:43], v36, off
	s_cbranch_vccnz .LBB276_48
; %bb.47:
	v_add_co_u32 v36, vcc_lo, v108, v40
	v_add_co_ci_u32_e32 v37, vcc_lo, v110, v41, vcc_lo
	flat_load_u16 v36, v[36:37]
	s_waitcnt vmcnt(0) lgkmcnt(0)
	v_mul_f16_e32 v37, v48, v36
.LBB276_48:
	v_pk_add_f16 v36, v4, v46
	v_pk_max_f16 v38, v113, v113
	v_pk_add_f16 v39, v5, v47
	v_add_co_u32 v113, vcc_lo, v111, v40
	v_add_co_ci_u32_e32 v114, vcc_lo, v116, v41, vcc_lo
	s_delay_alu instid0(VALU_DEP_4) | instskip(SKIP_2) | instid1(VALU_DEP_2)
	v_pk_min_f16 v36, v38, v36
	v_add_nc_u32_e32 v38, 32, v44
	s_and_b32 vcc_lo, exec_lo, s0
	v_pk_min_f16 v42, v36, v39
	v_mov_b32_e32 v36, 0
	s_delay_alu instid0(VALU_DEP_2) | instskip(NEXT) | instid1(VALU_DEP_1)
	v_lshrrev_b32_e32 v43, 16, v42
	v_min3_f16 v45, v37, v42, v43
	v_mov_b32_e32 v37, 0
	v_ashrrev_i32_e32 v39, 31, v38
	global_store_b16 v[113:114], v45, off
	v_lshlrev_b64 v[42:43], 1, v[38:39]
	s_cbranch_vccnz .LBB276_50
; %bb.49:
	s_delay_alu instid0(VALU_DEP_1) | instskip(NEXT) | instid1(VALU_DEP_2)
	v_add_co_u32 v37, vcc_lo, v108, v42
	v_add_co_ci_u32_e32 v38, vcc_lo, v110, v43, vcc_lo
	flat_load_u16 v37, v[37:38]
	s_waitcnt vmcnt(0) lgkmcnt(0)
	v_mul_f16_e32 v37, v48, v37
.LBB276_50:
	v_pk_add_f16 v38, v6, v46
	v_pk_max_f16 v39, v112, v112
	v_pk_add_f16 v45, v7, v47
	s_delay_alu instid0(VALU_DEP_4) | instskip(SKIP_1) | instid1(VALU_DEP_4)
	v_add_co_u32 v112, vcc_lo, v111, v42
	v_add_co_ci_u32_e32 v113, vcc_lo, v116, v43, vcc_lo
	v_pk_min_f16 v39, v39, v38
	v_add_nc_u32_e32 v38, 40, v44
	s_and_b32 vcc_lo, exec_lo, s0
	s_delay_alu instid0(VALU_DEP_2) | instskip(NEXT) | instid1(VALU_DEP_2)
	v_pk_min_f16 v45, v39, v45
	v_ashrrev_i32_e32 v39, 31, v38
	s_delay_alu instid0(VALU_DEP_2) | instskip(NEXT) | instid1(VALU_DEP_2)
	v_lshrrev_b32_e32 v114, 16, v45
	v_lshlrev_b64 v[38:39], 1, v[38:39]
	s_delay_alu instid0(VALU_DEP_2)
	v_min3_f16 v37, v37, v45, v114
	global_store_b16 v[112:113], v37, off
	s_cbranch_vccnz .LBB276_52
; %bb.51:
	v_add_co_u32 v36, vcc_lo, v108, v38
	v_add_co_ci_u32_e32 v37, vcc_lo, v110, v39, vcc_lo
	flat_load_u16 v36, v[36:37]
	s_waitcnt vmcnt(0) lgkmcnt(0)
	v_mul_f16_e32 v36, v48, v36
.LBB276_52:
	v_pk_add_f16 v37, v0, v46
	v_pk_max_f16 v45, v109, v109
	v_pk_add_f16 v109, v1, v47
	v_add_nc_u32_e32 v112, 48, v44
	v_add_co_u32 v114, vcc_lo, v111, v38
	s_delay_alu instid0(VALU_DEP_4) | instskip(SKIP_2) | instid1(VALU_DEP_2)
	v_pk_min_f16 v37, v45, v37
	v_add_co_ci_u32_e32 v115, vcc_lo, v116, v39, vcc_lo
	s_and_b32 vcc_lo, exec_lo, s0
	v_pk_min_f16 v37, v37, v109
	v_mov_b32_e32 v109, 0
	v_ashrrev_i32_e32 v113, 31, v112
	s_delay_alu instid0(VALU_DEP_3) | instskip(NEXT) | instid1(VALU_DEP_1)
	v_lshrrev_b32_e32 v45, 16, v37
	v_min3_f16 v117, v36, v37, v45
	s_delay_alu instid0(VALU_DEP_3)
	v_lshlrev_b64 v[36:37], 1, v[112:113]
	v_mov_b32_e32 v45, 0
	global_store_b16 v[114:115], v117, off
	s_cbranch_vccnz .LBB276_54
; %bb.53:
	v_add_co_u32 v112, vcc_lo, v108, v36
	v_add_co_ci_u32_e32 v113, vcc_lo, v110, v37, vcc_lo
	flat_load_u16 v45, v[112:113]
	s_waitcnt vmcnt(0) lgkmcnt(0)
	v_mul_f16_e32 v45, v48, v45
.LBB276_54:
	v_pk_add_f16 v112, v2, v46
	v_pk_max_f16 v107, v107, v107
	v_pk_add_f16 v113, v3, v47
	v_add_co_u32 v114, vcc_lo, v111, v36
	v_add_co_ci_u32_e32 v115, vcc_lo, v116, v37, vcc_lo
	s_delay_alu instid0(VALU_DEP_4) | instskip(SKIP_2) | instid1(VALU_DEP_2)
	v_pk_min_f16 v107, v107, v112
	v_add_nc_u32_e32 v112, 56, v44
	s_and_b32 vcc_lo, exec_lo, s0
	v_pk_min_f16 v44, v107, v113
	s_delay_alu instid0(VALU_DEP_2) | instskip(NEXT) | instid1(VALU_DEP_2)
	v_ashrrev_i32_e32 v113, 31, v112
	v_lshrrev_b32_e32 v107, 16, v44
	s_delay_alu instid0(VALU_DEP_1) | instskip(NEXT) | instid1(VALU_DEP_3)
	v_min3_f16 v107, v45, v44, v107
	v_lshlrev_b64 v[44:45], 1, v[112:113]
	global_store_b16 v[114:115], v107, off
	s_cbranch_vccnz .LBB276_56
; %bb.55:
	v_add_co_u32 v107, vcc_lo, v108, v44
	v_add_co_ci_u32_e32 v108, vcc_lo, v110, v45, vcc_lo
	flat_load_u16 v107, v[107:108]
	s_waitcnt vmcnt(0) lgkmcnt(0)
	v_mul_f16_e32 v109, v48, v107
.LBB276_56:
	v_add_nc_u32_e32 v108, 32, v87
	v_pk_add_f16 v46, v24, v46
	v_pk_max_f16 v110, v106, v106
	v_pk_add_f16 v47, v25, v47
	s_delay_alu instid0(VALU_DEP_4) | instskip(NEXT) | instid1(VALU_DEP_3)
	v_mad_i64_i32 v[106:107], null, v108, s8, 0
	v_pk_min_f16 v46, v110, v46
	v_add_co_u32 v110, vcc_lo, v111, v44
	v_add_co_ci_u32_e32 v111, vcc_lo, v116, v45, vcc_lo
	s_delay_alu instid0(VALU_DEP_3) | instskip(SKIP_2) | instid1(VALU_DEP_3)
	v_pk_min_f16 v112, v46, v47
	v_lshlrev_b64 v[46:47], 1, v[106:107]
	v_mov_b32_e32 v107, 0
	v_lshrrev_b32_e32 v106, 16, v112
	s_delay_alu instid0(VALU_DEP_3) | instskip(NEXT) | instid1(VALU_DEP_4)
	v_add_co_u32 v46, vcc_lo, s6, v46
	v_add_co_ci_u32_e32 v47, vcc_lo, s7, v47, vcc_lo
	s_delay_alu instid0(VALU_DEP_3)
	v_min3_f16 v106, v109, v112, v106
	v_mov_b32_e32 v109, 0
	s_and_b32 vcc_lo, exec_lo, s0
	global_store_b16 v[110:111], v106, off
	s_cbranch_vccnz .LBB276_58
; %bb.57:
	v_add_co_u32 v109, vcc_lo, v46, v30
	v_add_co_ci_u32_e32 v110, vcc_lo, v47, v31, vcc_lo
	flat_load_u16 v106, v[109:110]
	s_waitcnt vmcnt(0) lgkmcnt(0)
	v_mul_f16_e32 v109, v48, v106
.LBB276_58:
	v_pk_add_f16 v110, v28, v20
	v_pk_max_f16 v111, v105, v105
	v_mad_i64_i32 v[105:106], null, v108, s4, 0
	v_pk_add_f16 v108, v29, v21
	s_delay_alu instid0(VALU_DEP_3) | instskip(NEXT) | instid1(VALU_DEP_3)
	v_pk_min_f16 v110, v111, v110
	v_lshlrev_b64 v[105:106], 1, v[105:106]
	s_delay_alu instid0(VALU_DEP_2) | instskip(NEXT) | instid1(VALU_DEP_2)
	v_pk_min_f16 v108, v110, v108
	v_add_co_u32 v105, vcc_lo, s1, v105
	s_delay_alu instid0(VALU_DEP_2) | instskip(NEXT) | instid1(VALU_DEP_4)
	v_lshrrev_b32_e32 v110, 16, v108
	v_add_co_ci_u32_e32 v106, vcc_lo, s5, v106, vcc_lo
	s_delay_alu instid0(VALU_DEP_2) | instskip(NEXT) | instid1(VALU_DEP_4)
	v_min3_f16 v110, v109, v108, v110
	v_add_co_u32 v108, vcc_lo, v105, v30
	s_delay_alu instid0(VALU_DEP_3)
	v_add_co_ci_u32_e32 v109, vcc_lo, v106, v31, vcc_lo
	s_and_b32 vcc_lo, exec_lo, s0
	global_store_b16 v[108:109], v110, off
	s_cbranch_vccnz .LBB276_60
; %bb.59:
	v_add_co_u32 v107, vcc_lo, v46, v32
	v_add_co_ci_u32_e32 v108, vcc_lo, v47, v33, vcc_lo
	flat_load_u16 v107, v[107:108]
	s_waitcnt vmcnt(0) lgkmcnt(0)
	v_mul_f16_e32 v107, v48, v107
.LBB276_60:
	v_pk_add_f16 v108, v8, v20
	v_pk_max_f16 v104, v104, v104
	v_pk_add_f16 v109, v9, v21
	s_delay_alu instid0(VALU_DEP_2) | instskip(SKIP_1) | instid1(VALU_DEP_2)
	v_pk_min_f16 v104, v104, v108
	v_add_co_u32 v108, vcc_lo, v105, v32
	v_pk_min_f16 v104, v104, v109
	v_add_co_ci_u32_e32 v109, vcc_lo, v106, v33, vcc_lo
	s_and_b32 vcc_lo, exec_lo, s0
	s_delay_alu instid0(VALU_DEP_2) | instskip(NEXT) | instid1(VALU_DEP_1)
	v_lshrrev_b32_e32 v110, 16, v104
	v_min3_f16 v110, v107, v104, v110
	v_dual_mov_b32 v104, 0 :: v_dual_mov_b32 v107, 0
	global_store_b16 v[108:109], v110, off
	s_cbranch_vccnz .LBB276_62
; %bb.61:
	v_add_co_u32 v107, vcc_lo, v46, v34
	v_add_co_ci_u32_e32 v108, vcc_lo, v47, v35, vcc_lo
	flat_load_u16 v107, v[107:108]
	s_waitcnt vmcnt(0) lgkmcnt(0)
	v_mul_f16_e32 v107, v48, v107
.LBB276_62:
	v_pk_add_f16 v108, v10, v20
	v_pk_max_f16 v103, v103, v103
	v_pk_add_f16 v109, v11, v21
	s_delay_alu instid0(VALU_DEP_2) | instskip(NEXT) | instid1(VALU_DEP_1)
	v_pk_min_f16 v103, v103, v108
	v_pk_min_f16 v103, v103, v109
	s_delay_alu instid0(VALU_DEP_1) | instskip(NEXT) | instid1(VALU_DEP_1)
	v_lshrrev_b32_e32 v108, 16, v103
	v_min3_f16 v103, v107, v103, v108
	v_add_co_u32 v107, vcc_lo, v105, v34
	v_add_co_ci_u32_e32 v108, vcc_lo, v106, v35, vcc_lo
	s_and_b32 vcc_lo, exec_lo, s0
	global_store_b16 v[107:108], v103, off
	s_cbranch_vccnz .LBB276_64
; %bb.63:
	v_add_co_u32 v103, vcc_lo, v46, v40
	v_add_co_ci_u32_e32 v104, vcc_lo, v47, v41, vcc_lo
	flat_load_u16 v103, v[103:104]
	s_waitcnt vmcnt(0) lgkmcnt(0)
	v_mul_f16_e32 v104, v48, v103
.LBB276_64:
	v_pk_add_f16 v103, v4, v20
	v_pk_max_f16 v102, v102, v102
	v_pk_add_f16 v107, v5, v21
	s_delay_alu instid0(VALU_DEP_2) | instskip(NEXT) | instid1(VALU_DEP_1)
	v_pk_min_f16 v102, v102, v103
	v_pk_min_f16 v102, v102, v107
	v_add_co_u32 v107, vcc_lo, v105, v40
	v_add_co_ci_u32_e32 v108, vcc_lo, v106, v41, vcc_lo
	s_delay_alu instid0(VALU_DEP_3) | instskip(SKIP_1) | instid1(VALU_DEP_1)
	v_lshrrev_b32_e32 v103, 16, v102
	s_and_b32 vcc_lo, exec_lo, s0
	v_min3_f16 v104, v104, v102, v103
	v_dual_mov_b32 v102, 0 :: v_dual_mov_b32 v103, 0
	global_store_b16 v[107:108], v104, off
	s_cbranch_vccnz .LBB276_66
; %bb.65:
	v_add_co_u32 v103, vcc_lo, v46, v42
	v_add_co_ci_u32_e32 v104, vcc_lo, v47, v43, vcc_lo
	flat_load_u16 v103, v[103:104]
	s_waitcnt vmcnt(0) lgkmcnt(0)
	v_mul_f16_e32 v103, v48, v103
.LBB276_66:
	v_pk_add_f16 v104, v6, v20
	v_pk_max_f16 v101, v101, v101
	v_pk_add_f16 v107, v7, v21
	s_delay_alu instid0(VALU_DEP_2) | instskip(NEXT) | instid1(VALU_DEP_1)
	v_pk_min_f16 v101, v101, v104
	v_pk_min_f16 v101, v101, v107
	s_delay_alu instid0(VALU_DEP_1) | instskip(NEXT) | instid1(VALU_DEP_1)
	v_lshrrev_b32_e32 v104, 16, v101
	v_min3_f16 v101, v103, v101, v104
	v_add_co_u32 v103, vcc_lo, v105, v42
	v_add_co_ci_u32_e32 v104, vcc_lo, v106, v43, vcc_lo
	s_and_b32 vcc_lo, exec_lo, s0
	global_store_b16 v[103:104], v101, off
	s_cbranch_vccnz .LBB276_68
; %bb.67:
	v_add_co_u32 v101, vcc_lo, v46, v38
	v_add_co_ci_u32_e32 v102, vcc_lo, v47, v39, vcc_lo
	flat_load_u16 v101, v[101:102]
	s_waitcnt vmcnt(0) lgkmcnt(0)
	v_mul_f16_e32 v102, v48, v101
.LBB276_68:
	v_pk_add_f16 v101, v0, v20
	v_pk_max_f16 v100, v100, v100
	v_pk_add_f16 v103, v1, v21
	s_delay_alu instid0(VALU_DEP_2) | instskip(NEXT) | instid1(VALU_DEP_1)
	v_pk_min_f16 v100, v100, v101
	v_pk_min_f16 v100, v100, v103
	v_add_co_u32 v103, vcc_lo, v105, v38
	v_add_co_ci_u32_e32 v104, vcc_lo, v106, v39, vcc_lo
	s_delay_alu instid0(VALU_DEP_3) | instskip(SKIP_1) | instid1(VALU_DEP_1)
	v_lshrrev_b32_e32 v101, 16, v100
	s_and_b32 vcc_lo, exec_lo, s0
	v_min3_f16 v102, v102, v100, v101
	v_dual_mov_b32 v100, 0 :: v_dual_mov_b32 v101, 0
	global_store_b16 v[103:104], v102, off
	s_cbranch_vccnz .LBB276_70
; %bb.69:
	v_add_co_u32 v101, vcc_lo, v46, v36
	v_add_co_ci_u32_e32 v102, vcc_lo, v47, v37, vcc_lo
	flat_load_u16 v101, v[101:102]
	s_waitcnt vmcnt(0) lgkmcnt(0)
	v_mul_f16_e32 v101, v48, v101
.LBB276_70:
	v_pk_add_f16 v102, v2, v20
	v_pk_max_f16 v99, v99, v99
	v_pk_add_f16 v103, v3, v21
	s_delay_alu instid0(VALU_DEP_2) | instskip(NEXT) | instid1(VALU_DEP_1)
	v_pk_min_f16 v99, v99, v102
	v_pk_min_f16 v99, v99, v103
	s_delay_alu instid0(VALU_DEP_1) | instskip(NEXT) | instid1(VALU_DEP_1)
	v_lshrrev_b32_e32 v102, 16, v99
	v_min3_f16 v99, v101, v99, v102
	v_add_co_u32 v101, vcc_lo, v105, v36
	v_add_co_ci_u32_e32 v102, vcc_lo, v106, v37, vcc_lo
	s_and_b32 vcc_lo, exec_lo, s0
	global_store_b16 v[101:102], v99, off
	s_cbranch_vccnz .LBB276_72
; %bb.71:
	v_add_co_u32 v46, vcc_lo, v46, v44
	v_add_co_ci_u32_e32 v47, vcc_lo, v47, v45, vcc_lo
	flat_load_u16 v46, v[46:47]
	s_waitcnt vmcnt(0) lgkmcnt(0)
	v_mul_f16_e32 v100, v48, v46
.LBB276_72:
	v_add_nc_u32_e32 v46, 64, v87
	v_pk_add_f16 v20, v24, v20
	v_pk_max_f16 v47, v98, v98
	v_pk_add_f16 v21, v25, v21
	v_add_co_u32 v101, vcc_lo, v105, v44
	v_mad_i64_i32 v[98:99], null, v46, s8, 0
	s_delay_alu instid0(VALU_DEP_4) | instskip(SKIP_1) | instid1(VALU_DEP_2)
	v_pk_min_f16 v20, v47, v20
	v_add_co_ci_u32_e32 v102, vcc_lo, v106, v45, vcc_lo
	v_pk_min_f16 v47, v20, v21
	s_delay_alu instid0(VALU_DEP_4) | instskip(SKIP_1) | instid1(VALU_DEP_3)
	v_lshlrev_b64 v[20:21], 1, v[98:99]
	v_mov_b32_e32 v99, 0
	v_lshrrev_b32_e32 v98, 16, v47
	s_delay_alu instid0(VALU_DEP_3) | instskip(NEXT) | instid1(VALU_DEP_4)
	v_add_co_u32 v20, vcc_lo, s6, v20
	v_add_co_ci_u32_e32 v21, vcc_lo, s7, v21, vcc_lo
	s_delay_alu instid0(VALU_DEP_3)
	v_min3_f16 v47, v100, v47, v98
	v_mov_b32_e32 v98, 0
	s_and_b32 vcc_lo, exec_lo, s0
	global_store_b16 v[101:102], v47, off
	s_cbranch_vccnz .LBB276_74
; %bb.73:
	v_add_co_u32 v99, vcc_lo, v20, v30
	v_add_co_ci_u32_e32 v100, vcc_lo, v21, v31, vcc_lo
	flat_load_u16 v47, v[99:100]
	s_waitcnt vmcnt(0) lgkmcnt(0)
	v_mul_f16_e32 v99, v48, v47
.LBB276_74:
	v_pk_add_f16 v47, v28, v22
	v_pk_max_f16 v97, v97, v97
	v_mad_i64_i32 v[100:101], null, v46, s4, 0
	v_pk_add_f16 v46, v29, v23
	s_delay_alu instid0(VALU_DEP_3) | instskip(NEXT) | instid1(VALU_DEP_1)
	v_pk_min_f16 v47, v97, v47
	v_pk_min_f16 v97, v47, v46
	s_delay_alu instid0(VALU_DEP_4) | instskip(NEXT) | instid1(VALU_DEP_2)
	v_lshlrev_b64 v[46:47], 1, v[100:101]
	v_lshrrev_b32_e32 v100, 16, v97
	s_delay_alu instid0(VALU_DEP_2) | instskip(NEXT) | instid1(VALU_DEP_3)
	v_add_co_u32 v46, vcc_lo, s1, v46
	v_add_co_ci_u32_e32 v47, vcc_lo, s5, v47, vcc_lo
	s_delay_alu instid0(VALU_DEP_3) | instskip(NEXT) | instid1(VALU_DEP_3)
	v_min3_f16 v97, v99, v97, v100
	v_add_co_u32 v99, vcc_lo, v46, v30
	s_delay_alu instid0(VALU_DEP_3)
	v_add_co_ci_u32_e32 v100, vcc_lo, v47, v31, vcc_lo
	s_and_b32 vcc_lo, exec_lo, s0
	global_store_b16 v[99:100], v97, off
	s_cbranch_vccnz .LBB276_76
; %bb.75:
	v_add_co_u32 v97, vcc_lo, v20, v32
	v_add_co_ci_u32_e32 v98, vcc_lo, v21, v33, vcc_lo
	flat_load_u16 v97, v[97:98]
	s_waitcnt vmcnt(0) lgkmcnt(0)
	v_mul_f16_e32 v98, v48, v97
.LBB276_76:
	v_pk_add_f16 v97, v8, v22
	v_pk_max_f16 v96, v96, v96
	v_pk_add_f16 v99, v9, v23
	s_delay_alu instid0(VALU_DEP_2) | instskip(NEXT) | instid1(VALU_DEP_1)
	v_pk_min_f16 v96, v96, v97
	v_pk_min_f16 v96, v96, v99
	v_add_co_u32 v99, vcc_lo, v46, v32
	v_add_co_ci_u32_e32 v100, vcc_lo, v47, v33, vcc_lo
	s_delay_alu instid0(VALU_DEP_3) | instskip(SKIP_1) | instid1(VALU_DEP_1)
	v_lshrrev_b32_e32 v97, 16, v96
	s_and_b32 vcc_lo, exec_lo, s0
	v_min3_f16 v98, v98, v96, v97
	v_dual_mov_b32 v96, 0 :: v_dual_mov_b32 v97, 0
	global_store_b16 v[99:100], v98, off
	s_cbranch_vccnz .LBB276_78
; %bb.77:
	v_add_co_u32 v97, vcc_lo, v20, v34
	v_add_co_ci_u32_e32 v98, vcc_lo, v21, v35, vcc_lo
	flat_load_u16 v97, v[97:98]
	s_waitcnt vmcnt(0) lgkmcnt(0)
	v_mul_f16_e32 v97, v48, v97
.LBB276_78:
	v_pk_add_f16 v98, v10, v22
	v_pk_max_f16 v95, v95, v95
	v_pk_add_f16 v99, v11, v23
	s_delay_alu instid0(VALU_DEP_2) | instskip(NEXT) | instid1(VALU_DEP_1)
	v_pk_min_f16 v95, v95, v98
	v_pk_min_f16 v95, v95, v99
	s_delay_alu instid0(VALU_DEP_1) | instskip(NEXT) | instid1(VALU_DEP_1)
	v_lshrrev_b32_e32 v98, 16, v95
	v_min3_f16 v95, v97, v95, v98
	v_add_co_u32 v97, vcc_lo, v46, v34
	v_add_co_ci_u32_e32 v98, vcc_lo, v47, v35, vcc_lo
	s_and_b32 vcc_lo, exec_lo, s0
	global_store_b16 v[97:98], v95, off
	s_cbranch_vccnz .LBB276_80
; %bb.79:
	v_add_co_u32 v95, vcc_lo, v20, v40
	v_add_co_ci_u32_e32 v96, vcc_lo, v21, v41, vcc_lo
	flat_load_u16 v95, v[95:96]
	s_waitcnt vmcnt(0) lgkmcnt(0)
	v_mul_f16_e32 v96, v48, v95
.LBB276_80:
	v_pk_add_f16 v95, v4, v22
	v_pk_max_f16 v94, v94, v94
	v_pk_add_f16 v97, v5, v23
	s_delay_alu instid0(VALU_DEP_2) | instskip(NEXT) | instid1(VALU_DEP_1)
	v_pk_min_f16 v94, v94, v95
	v_pk_min_f16 v94, v94, v97
	v_add_co_u32 v97, vcc_lo, v46, v40
	v_add_co_ci_u32_e32 v98, vcc_lo, v47, v41, vcc_lo
	s_delay_alu instid0(VALU_DEP_3) | instskip(SKIP_1) | instid1(VALU_DEP_1)
	v_lshrrev_b32_e32 v95, 16, v94
	s_and_b32 vcc_lo, exec_lo, s0
	v_min3_f16 v96, v96, v94, v95
	v_dual_mov_b32 v94, 0 :: v_dual_mov_b32 v95, 0
	global_store_b16 v[97:98], v96, off
	s_cbranch_vccnz .LBB276_82
; %bb.81:
	v_add_co_u32 v95, vcc_lo, v20, v42
	v_add_co_ci_u32_e32 v96, vcc_lo, v21, v43, vcc_lo
	flat_load_u16 v95, v[95:96]
	s_waitcnt vmcnt(0) lgkmcnt(0)
	v_mul_f16_e32 v95, v48, v95
.LBB276_82:
	v_pk_add_f16 v96, v6, v22
	v_pk_max_f16 v93, v93, v93
	v_pk_add_f16 v97, v7, v23
	s_delay_alu instid0(VALU_DEP_2) | instskip(NEXT) | instid1(VALU_DEP_1)
	v_pk_min_f16 v93, v93, v96
	v_pk_min_f16 v93, v93, v97
	s_delay_alu instid0(VALU_DEP_1) | instskip(NEXT) | instid1(VALU_DEP_1)
	v_lshrrev_b32_e32 v96, 16, v93
	v_min3_f16 v93, v95, v93, v96
	v_add_co_u32 v95, vcc_lo, v46, v42
	;; [unrolled: 43-line block ×3, first 2 shown]
	v_add_co_ci_u32_e32 v94, vcc_lo, v47, v37, vcc_lo
	s_and_b32 vcc_lo, exec_lo, s0
	global_store_b16 v[93:94], v91, off
	s_cbranch_vccnz .LBB276_88
; %bb.87:
	v_add_co_u32 v20, vcc_lo, v20, v44
	v_add_co_ci_u32_e32 v21, vcc_lo, v21, v45, vcc_lo
	flat_load_u16 v20, v[20:21]
	s_waitcnt vmcnt(0) lgkmcnt(0)
	v_mul_f16_e32 v92, v48, v20
.LBB276_88:
	v_pk_add_f16 v22, v24, v22
	v_pk_max_f16 v90, v90, v90
	v_pk_add_f16 v23, v25, v23
	v_add_nc_u32_e32 v91, 0x60, v87
	s_delay_alu instid0(VALU_DEP_3) | instskip(NEXT) | instid1(VALU_DEP_1)
	v_pk_min_f16 v22, v90, v22
	v_pk_min_f16 v90, v22, v23
	v_add_co_u32 v22, vcc_lo, v46, v44
	v_add_co_ci_u32_e32 v23, vcc_lo, v47, v45, vcc_lo
	s_delay_alu instid0(VALU_DEP_3) | instskip(SKIP_1) | instid1(VALU_DEP_2)
	v_lshrrev_b32_e32 v46, 16, v90
	v_mov_b32_e32 v47, 0
	v_min3_f16 v90, v92, v90, v46
	v_mov_b32_e32 v46, 0
	v_mad_i64_i32 v[20:21], null, v91, s8, 0
	global_store_b16 v[22:23], v90, off
	v_lshlrev_b64 v[20:21], 1, v[20:21]
	s_delay_alu instid0(VALU_DEP_1) | instskip(NEXT) | instid1(VALU_DEP_2)
	v_add_co_u32 v20, vcc_lo, s6, v20
	v_add_co_ci_u32_e32 v21, vcc_lo, s7, v21, vcc_lo
	s_and_b32 vcc_lo, exec_lo, s0
	s_cbranch_vccnz .LBB276_90
; %bb.89:
	s_delay_alu instid0(VALU_DEP_2) | instskip(NEXT) | instid1(VALU_DEP_2)
	v_add_co_u32 v22, vcc_lo, v20, v30
	v_add_co_ci_u32_e32 v23, vcc_lo, v21, v31, vcc_lo
	flat_load_u16 v22, v[22:23]
	s_waitcnt vmcnt(0) lgkmcnt(0)
	v_mul_f16_e32 v47, v48, v22
.LBB276_90:
	v_pk_add_f16 v90, v28, v16
	v_pk_max_f16 v89, v89, v89
	v_mad_i64_i32 v[22:23], null, v91, s4, 0
	v_pk_add_f16 v91, v29, v17
	s_delay_alu instid0(VALU_DEP_3) | instskip(NEXT) | instid1(VALU_DEP_3)
	v_pk_min_f16 v89, v89, v90
	v_lshlrev_b64 v[22:23], 1, v[22:23]
	s_delay_alu instid0(VALU_DEP_2) | instskip(NEXT) | instid1(VALU_DEP_2)
	v_pk_min_f16 v89, v89, v91
	v_add_co_u32 v22, vcc_lo, s1, v22
	s_delay_alu instid0(VALU_DEP_2) | instskip(NEXT) | instid1(VALU_DEP_4)
	v_lshrrev_b32_e32 v90, 16, v89
	v_add_co_ci_u32_e32 v23, vcc_lo, s5, v23, vcc_lo
	s_delay_alu instid0(VALU_DEP_2) | instskip(NEXT) | instid1(VALU_DEP_4)
	v_min3_f16 v47, v47, v89, v90
	v_add_co_u32 v89, vcc_lo, v22, v30
	s_delay_alu instid0(VALU_DEP_3)
	v_add_co_ci_u32_e32 v90, vcc_lo, v23, v31, vcc_lo
	s_and_b32 vcc_lo, exec_lo, s0
	global_store_b16 v[89:90], v47, off
	s_cbranch_vccnz .LBB276_92
; %bb.91:
	v_add_co_u32 v46, vcc_lo, v20, v32
	v_add_co_ci_u32_e32 v47, vcc_lo, v21, v33, vcc_lo
	flat_load_u16 v46, v[46:47]
	s_waitcnt vmcnt(0) lgkmcnt(0)
	v_mul_f16_e32 v46, v48, v46
.LBB276_92:
	v_pk_add_f16 v47, v8, v16
	v_pk_max_f16 v88, v88, v88
	v_pk_add_f16 v89, v9, v17
	s_delay_alu instid0(VALU_DEP_2) | instskip(SKIP_1) | instid1(VALU_DEP_2)
	v_pk_min_f16 v47, v88, v47
	v_add_co_u32 v88, vcc_lo, v22, v32
	v_pk_min_f16 v47, v47, v89
	v_add_co_ci_u32_e32 v89, vcc_lo, v23, v33, vcc_lo
	s_and_b32 vcc_lo, exec_lo, s0
	s_delay_alu instid0(VALU_DEP_2) | instskip(NEXT) | instid1(VALU_DEP_1)
	v_lshrrev_b32_e32 v90, 16, v47
	v_min3_f16 v90, v46, v47, v90
	v_dual_mov_b32 v46, 0 :: v_dual_mov_b32 v47, 0
	global_store_b16 v[88:89], v90, off
	s_cbranch_vccnz .LBB276_94
; %bb.93:
	v_add_co_u32 v88, vcc_lo, v20, v34
	v_add_co_ci_u32_e32 v89, vcc_lo, v21, v35, vcc_lo
	flat_load_u16 v47, v[88:89]
	s_waitcnt vmcnt(0) lgkmcnt(0)
	v_mul_f16_e32 v47, v48, v47
.LBB276_94:
	v_pk_add_f16 v88, v10, v16
	v_pk_max_f16 v86, v86, v86
	v_pk_add_f16 v89, v11, v17
	s_delay_alu instid0(VALU_DEP_2) | instskip(NEXT) | instid1(VALU_DEP_1)
	v_pk_min_f16 v86, v86, v88
	v_pk_min_f16 v86, v86, v89
	s_delay_alu instid0(VALU_DEP_1) | instskip(NEXT) | instid1(VALU_DEP_1)
	v_lshrrev_b32_e32 v88, 16, v86
	v_min3_f16 v47, v47, v86, v88
	v_add_co_u32 v88, vcc_lo, v22, v34
	v_add_co_ci_u32_e32 v89, vcc_lo, v23, v35, vcc_lo
	s_and_b32 vcc_lo, exec_lo, s0
	global_store_b16 v[88:89], v47, off
	s_cbranch_vccnz .LBB276_96
; %bb.95:
	v_add_co_u32 v46, vcc_lo, v20, v40
	v_add_co_ci_u32_e32 v47, vcc_lo, v21, v41, vcc_lo
	flat_load_u16 v46, v[46:47]
	s_waitcnt vmcnt(0) lgkmcnt(0)
	v_mul_f16_e32 v46, v48, v46
.LBB276_96:
	v_pk_add_f16 v47, v4, v16
	v_pk_max_f16 v85, v85, v85
	v_pk_add_f16 v86, v5, v17
	s_delay_alu instid0(VALU_DEP_2) | instskip(SKIP_1) | instid1(VALU_DEP_2)
	v_pk_min_f16 v47, v85, v47
	v_add_co_u32 v85, vcc_lo, v22, v40
	v_pk_min_f16 v47, v47, v86
	v_add_co_ci_u32_e32 v86, vcc_lo, v23, v41, vcc_lo
	s_and_b32 vcc_lo, exec_lo, s0
	s_delay_alu instid0(VALU_DEP_2) | instskip(NEXT) | instid1(VALU_DEP_1)
	v_lshrrev_b32_e32 v88, 16, v47
	v_min3_f16 v88, v46, v47, v88
	v_dual_mov_b32 v46, 0 :: v_dual_mov_b32 v47, 0
	global_store_b16 v[85:86], v88, off
	s_cbranch_vccnz .LBB276_98
; %bb.97:
	v_add_co_u32 v85, vcc_lo, v20, v42
	v_add_co_ci_u32_e32 v86, vcc_lo, v21, v43, vcc_lo
	flat_load_u16 v47, v[85:86]
	s_waitcnt vmcnt(0) lgkmcnt(0)
	v_mul_f16_e32 v47, v48, v47
.LBB276_98:
	v_pk_add_f16 v85, v6, v16
	v_pk_max_f16 v84, v84, v84
	v_pk_add_f16 v86, v7, v17
	s_delay_alu instid0(VALU_DEP_2) | instskip(NEXT) | instid1(VALU_DEP_1)
	v_pk_min_f16 v84, v84, v85
	v_pk_min_f16 v84, v84, v86
	s_delay_alu instid0(VALU_DEP_1) | instskip(NEXT) | instid1(VALU_DEP_1)
	v_lshrrev_b32_e32 v85, 16, v84
	v_min3_f16 v47, v47, v84, v85
	v_add_co_u32 v84, vcc_lo, v22, v42
	v_add_co_ci_u32_e32 v85, vcc_lo, v23, v43, vcc_lo
	s_and_b32 vcc_lo, exec_lo, s0
	global_store_b16 v[84:85], v47, off
	s_cbranch_vccnz .LBB276_100
; %bb.99:
	v_add_co_u32 v46, vcc_lo, v20, v38
	v_add_co_ci_u32_e32 v47, vcc_lo, v21, v39, vcc_lo
	flat_load_u16 v46, v[46:47]
	s_waitcnt vmcnt(0) lgkmcnt(0)
	v_mul_f16_e32 v46, v48, v46
.LBB276_100:
	v_pk_add_f16 v47, v0, v16
	v_pk_max_f16 v83, v83, v83
	v_pk_add_f16 v84, v1, v17
	s_delay_alu instid0(VALU_DEP_2) | instskip(SKIP_1) | instid1(VALU_DEP_2)
	v_pk_min_f16 v47, v83, v47
	v_add_co_u32 v83, vcc_lo, v22, v38
	v_pk_min_f16 v47, v47, v84
	v_add_co_ci_u32_e32 v84, vcc_lo, v23, v39, vcc_lo
	s_and_b32 vcc_lo, exec_lo, s0
	s_delay_alu instid0(VALU_DEP_2) | instskip(NEXT) | instid1(VALU_DEP_1)
	v_lshrrev_b32_e32 v85, 16, v47
	v_min3_f16 v85, v46, v47, v85
	v_dual_mov_b32 v46, 0 :: v_dual_mov_b32 v47, 0
	global_store_b16 v[83:84], v85, off
	s_cbranch_vccnz .LBB276_102
; %bb.101:
	v_add_co_u32 v83, vcc_lo, v20, v36
	v_add_co_ci_u32_e32 v84, vcc_lo, v21, v37, vcc_lo
	flat_load_u16 v47, v[83:84]
	s_waitcnt vmcnt(0) lgkmcnt(0)
	v_mul_f16_e32 v47, v48, v47
.LBB276_102:
	v_pk_add_f16 v83, v2, v16
	v_pk_max_f16 v82, v82, v82
	v_pk_add_f16 v84, v3, v17
	s_delay_alu instid0(VALU_DEP_2) | instskip(NEXT) | instid1(VALU_DEP_1)
	v_pk_min_f16 v82, v82, v83
	v_pk_min_f16 v82, v82, v84
	s_delay_alu instid0(VALU_DEP_1) | instskip(NEXT) | instid1(VALU_DEP_1)
	v_lshrrev_b32_e32 v83, 16, v82
	v_min3_f16 v47, v47, v82, v83
	v_add_co_u32 v82, vcc_lo, v22, v36
	v_add_co_ci_u32_e32 v83, vcc_lo, v23, v37, vcc_lo
	s_and_b32 vcc_lo, exec_lo, s0
	global_store_b16 v[82:83], v47, off
	s_cbranch_vccnz .LBB276_104
; %bb.103:
	v_add_co_u32 v20, vcc_lo, v20, v44
	v_add_co_ci_u32_e32 v21, vcc_lo, v21, v45, vcc_lo
	flat_load_u16 v20, v[20:21]
	s_waitcnt vmcnt(0) lgkmcnt(0)
	v_mul_f16_e32 v46, v48, v20
.LBB276_104:
	v_add_nc_u32_e32 v20, 0x80, v87
	v_pk_add_f16 v16, v24, v16
	v_pk_max_f16 v21, v81, v81
	v_pk_add_f16 v17, v25, v17
	s_delay_alu instid0(VALU_DEP_4) | instskip(NEXT) | instid1(VALU_DEP_3)
	v_mad_i64_i32 v[81:82], null, v20, s8, 0
	v_pk_min_f16 v16, v21, v16
	s_delay_alu instid0(VALU_DEP_1) | instskip(NEXT) | instid1(VALU_DEP_3)
	v_pk_min_f16 v21, v16, v17
	v_lshlrev_b64 v[16:17], 1, v[81:82]
	v_add_co_u32 v81, vcc_lo, v22, v44
	v_add_co_ci_u32_e32 v82, vcc_lo, v23, v45, vcc_lo
	v_mov_b32_e32 v23, 0
	v_lshrrev_b32_e32 v22, 16, v21
	v_add_co_u32 v16, vcc_lo, s6, v16
	v_add_co_ci_u32_e32 v17, vcc_lo, s7, v17, vcc_lo
	s_delay_alu instid0(VALU_DEP_3)
	v_min3_f16 v21, v46, v21, v22
	v_mov_b32_e32 v22, 0
	s_and_b32 vcc_lo, exec_lo, s0
	global_store_b16 v[81:82], v21, off
	s_cbranch_vccnz .LBB276_106
; %bb.105:
	v_add_co_u32 v46, vcc_lo, v16, v30
	v_add_co_ci_u32_e32 v47, vcc_lo, v17, v31, vcc_lo
	flat_load_u16 v21, v[46:47]
	s_waitcnt vmcnt(0) lgkmcnt(0)
	v_mul_f16_e32 v23, v48, v21
.LBB276_106:
	v_pk_add_f16 v21, v28, v18
	v_pk_max_f16 v80, v80, v80
	v_mad_i64_i32 v[46:47], null, v20, s4, 0
	v_pk_add_f16 v20, v29, v19
	s_delay_alu instid0(VALU_DEP_3) | instskip(NEXT) | instid1(VALU_DEP_1)
	v_pk_min_f16 v21, v80, v21
	v_pk_min_f16 v80, v21, v20
	s_delay_alu instid0(VALU_DEP_4) | instskip(NEXT) | instid1(VALU_DEP_2)
	v_lshlrev_b64 v[20:21], 1, v[46:47]
	v_lshrrev_b32_e32 v46, 16, v80
	s_delay_alu instid0(VALU_DEP_2) | instskip(NEXT) | instid1(VALU_DEP_3)
	v_add_co_u32 v20, vcc_lo, s1, v20
	v_add_co_ci_u32_e32 v21, vcc_lo, s5, v21, vcc_lo
	s_delay_alu instid0(VALU_DEP_3) | instskip(NEXT) | instid1(VALU_DEP_3)
	v_min3_f16 v23, v23, v80, v46
	v_add_co_u32 v46, vcc_lo, v20, v30
	s_delay_alu instid0(VALU_DEP_3)
	v_add_co_ci_u32_e32 v47, vcc_lo, v21, v31, vcc_lo
	s_and_b32 vcc_lo, exec_lo, s0
	global_store_b16 v[46:47], v23, off
	s_cbranch_vccnz .LBB276_108
; %bb.107:
	v_add_co_u32 v22, vcc_lo, v16, v32
	v_add_co_ci_u32_e32 v23, vcc_lo, v17, v33, vcc_lo
	flat_load_u16 v22, v[22:23]
	s_waitcnt vmcnt(0) lgkmcnt(0)
	v_mul_f16_e32 v22, v48, v22
.LBB276_108:
	v_pk_add_f16 v23, v8, v18
	v_pk_max_f16 v46, v79, v79
	v_pk_add_f16 v47, v9, v19
	s_delay_alu instid0(VALU_DEP_2) | instskip(SKIP_1) | instid1(VALU_DEP_2)
	v_pk_min_f16 v23, v46, v23
	v_add_co_u32 v46, vcc_lo, v20, v32
	v_pk_min_f16 v23, v23, v47
	v_add_co_ci_u32_e32 v47, vcc_lo, v21, v33, vcc_lo
	s_and_b32 vcc_lo, exec_lo, s0
	s_delay_alu instid0(VALU_DEP_2) | instskip(NEXT) | instid1(VALU_DEP_1)
	v_lshrrev_b32_e32 v79, 16, v23
	v_min3_f16 v79, v22, v23, v79
	v_dual_mov_b32 v22, 0 :: v_dual_mov_b32 v23, 0
	global_store_b16 v[46:47], v79, off
	s_cbranch_vccnz .LBB276_110
; %bb.109:
	v_add_co_u32 v46, vcc_lo, v16, v34
	v_add_co_ci_u32_e32 v47, vcc_lo, v17, v35, vcc_lo
	flat_load_u16 v23, v[46:47]
	s_waitcnt vmcnt(0) lgkmcnt(0)
	v_mul_f16_e32 v23, v48, v23
.LBB276_110:
	v_pk_add_f16 v46, v10, v18
	v_pk_max_f16 v47, v78, v78
	v_pk_add_f16 v78, v11, v19
	s_delay_alu instid0(VALU_DEP_2) | instskip(NEXT) | instid1(VALU_DEP_1)
	v_pk_min_f16 v46, v47, v46
	v_pk_min_f16 v46, v46, v78
	s_delay_alu instid0(VALU_DEP_1) | instskip(NEXT) | instid1(VALU_DEP_1)
	v_lshrrev_b32_e32 v47, 16, v46
	v_min3_f16 v23, v23, v46, v47
	v_add_co_u32 v46, vcc_lo, v20, v34
	v_add_co_ci_u32_e32 v47, vcc_lo, v21, v35, vcc_lo
	s_and_b32 vcc_lo, exec_lo, s0
	global_store_b16 v[46:47], v23, off
	s_cbranch_vccnz .LBB276_112
; %bb.111:
	v_add_co_u32 v22, vcc_lo, v16, v40
	v_add_co_ci_u32_e32 v23, vcc_lo, v17, v41, vcc_lo
	flat_load_u16 v22, v[22:23]
	s_waitcnt vmcnt(0) lgkmcnt(0)
	v_mul_f16_e32 v22, v48, v22
.LBB276_112:
	v_pk_add_f16 v23, v4, v18
	v_pk_max_f16 v46, v77, v77
	v_pk_add_f16 v47, v5, v19
	s_delay_alu instid0(VALU_DEP_2) | instskip(SKIP_1) | instid1(VALU_DEP_2)
	v_pk_min_f16 v23, v46, v23
	v_add_co_u32 v46, vcc_lo, v20, v40
	v_pk_min_f16 v23, v23, v47
	v_add_co_ci_u32_e32 v47, vcc_lo, v21, v41, vcc_lo
	s_and_b32 vcc_lo, exec_lo, s0
	s_delay_alu instid0(VALU_DEP_2) | instskip(NEXT) | instid1(VALU_DEP_1)
	v_lshrrev_b32_e32 v77, 16, v23
	v_min3_f16 v77, v22, v23, v77
	v_dual_mov_b32 v22, 0 :: v_dual_mov_b32 v23, 0
	global_store_b16 v[46:47], v77, off
	s_cbranch_vccnz .LBB276_114
; %bb.113:
	v_add_co_u32 v46, vcc_lo, v16, v42
	v_add_co_ci_u32_e32 v47, vcc_lo, v17, v43, vcc_lo
	flat_load_u16 v23, v[46:47]
	s_waitcnt vmcnt(0) lgkmcnt(0)
	v_mul_f16_e32 v23, v48, v23
.LBB276_114:
	v_pk_add_f16 v46, v6, v18
	v_pk_max_f16 v47, v76, v76
	v_pk_add_f16 v76, v7, v19
	s_delay_alu instid0(VALU_DEP_2) | instskip(NEXT) | instid1(VALU_DEP_1)
	v_pk_min_f16 v46, v47, v46
	v_pk_min_f16 v46, v46, v76
	s_delay_alu instid0(VALU_DEP_1) | instskip(NEXT) | instid1(VALU_DEP_1)
	v_lshrrev_b32_e32 v47, 16, v46
	v_min3_f16 v23, v23, v46, v47
	v_add_co_u32 v46, vcc_lo, v20, v42
	;; [unrolled: 43-line block ×3, first 2 shown]
	v_add_co_ci_u32_e32 v47, vcc_lo, v21, v37, vcc_lo
	s_and_b32 vcc_lo, exec_lo, s0
	global_store_b16 v[46:47], v23, off
	s_cbranch_vccnz .LBB276_120
; %bb.119:
	v_add_co_u32 v16, vcc_lo, v16, v44
	v_add_co_ci_u32_e32 v17, vcc_lo, v17, v45, vcc_lo
	flat_load_u16 v16, v[16:17]
	s_waitcnt vmcnt(0) lgkmcnt(0)
	v_mul_f16_e32 v22, v48, v16
.LBB276_120:
	v_pk_add_f16 v18, v24, v18
	v_pk_max_f16 v46, v73, v73
	v_pk_add_f16 v19, v25, v19
	v_add_nc_u32_e32 v23, 0xa0, v87
	s_delay_alu instid0(VALU_DEP_3) | instskip(NEXT) | instid1(VALU_DEP_1)
	v_pk_min_f16 v18, v46, v18
	v_pk_min_f16 v46, v18, v19
	v_add_co_u32 v18, vcc_lo, v20, v44
	v_add_co_ci_u32_e32 v19, vcc_lo, v21, v45, vcc_lo
	s_delay_alu instid0(VALU_DEP_3) | instskip(SKIP_1) | instid1(VALU_DEP_2)
	v_lshrrev_b32_e32 v20, 16, v46
	v_mov_b32_e32 v21, 0
	v_min3_f16 v22, v22, v46, v20
	v_mov_b32_e32 v20, 0
	v_mad_i64_i32 v[16:17], null, v23, s8, 0
	global_store_b16 v[18:19], v22, off
	v_lshlrev_b64 v[16:17], 1, v[16:17]
	s_delay_alu instid0(VALU_DEP_1) | instskip(NEXT) | instid1(VALU_DEP_2)
	v_add_co_u32 v16, vcc_lo, s6, v16
	v_add_co_ci_u32_e32 v17, vcc_lo, s7, v17, vcc_lo
	s_and_b32 vcc_lo, exec_lo, s0
	s_cbranch_vccnz .LBB276_122
; %bb.121:
	s_delay_alu instid0(VALU_DEP_2) | instskip(NEXT) | instid1(VALU_DEP_2)
	v_add_co_u32 v18, vcc_lo, v16, v30
	v_add_co_ci_u32_e32 v19, vcc_lo, v17, v31, vcc_lo
	flat_load_u16 v18, v[18:19]
	s_waitcnt vmcnt(0) lgkmcnt(0)
	v_mul_f16_e32 v21, v48, v18
.LBB276_122:
	v_pk_add_f16 v22, v28, v12
	v_pk_max_f16 v46, v72, v72
	v_mad_i64_i32 v[18:19], null, v23, s4, 0
	v_pk_add_f16 v23, v29, v13
	s_delay_alu instid0(VALU_DEP_3) | instskip(NEXT) | instid1(VALU_DEP_3)
	v_pk_min_f16 v22, v46, v22
	v_lshlrev_b64 v[18:19], 1, v[18:19]
	s_delay_alu instid0(VALU_DEP_2) | instskip(NEXT) | instid1(VALU_DEP_2)
	v_pk_min_f16 v22, v22, v23
	v_add_co_u32 v18, vcc_lo, s1, v18
	s_delay_alu instid0(VALU_DEP_2) | instskip(NEXT) | instid1(VALU_DEP_4)
	v_lshrrev_b32_e32 v23, 16, v22
	v_add_co_ci_u32_e32 v19, vcc_lo, s5, v19, vcc_lo
	s_delay_alu instid0(VALU_DEP_2) | instskip(NEXT) | instid1(VALU_DEP_4)
	v_min3_f16 v23, v21, v22, v23
	v_add_co_u32 v21, vcc_lo, v18, v30
	s_delay_alu instid0(VALU_DEP_3)
	v_add_co_ci_u32_e32 v22, vcc_lo, v19, v31, vcc_lo
	s_and_b32 vcc_lo, exec_lo, s0
	global_store_b16 v[21:22], v23, off
	s_cbranch_vccnz .LBB276_124
; %bb.123:
	v_add_co_u32 v20, vcc_lo, v16, v32
	v_add_co_ci_u32_e32 v21, vcc_lo, v17, v33, vcc_lo
	flat_load_u16 v20, v[20:21]
	s_waitcnt vmcnt(0) lgkmcnt(0)
	v_mul_f16_e32 v20, v48, v20
.LBB276_124:
	v_pk_add_f16 v21, v8, v12
	v_pk_max_f16 v22, v71, v71
	v_pk_add_f16 v23, v9, v13
	s_delay_alu instid0(VALU_DEP_2) | instskip(SKIP_1) | instid1(VALU_DEP_2)
	v_pk_min_f16 v21, v22, v21
	v_add_co_u32 v22, vcc_lo, v18, v32
	v_pk_min_f16 v21, v21, v23
	v_add_co_ci_u32_e32 v23, vcc_lo, v19, v33, vcc_lo
	s_and_b32 vcc_lo, exec_lo, s0
	s_delay_alu instid0(VALU_DEP_2) | instskip(NEXT) | instid1(VALU_DEP_1)
	v_lshrrev_b32_e32 v46, 16, v21
	v_min3_f16 v46, v20, v21, v46
	v_dual_mov_b32 v20, 0 :: v_dual_mov_b32 v21, 0
	global_store_b16 v[22:23], v46, off
	s_cbranch_vccnz .LBB276_126
; %bb.125:
	v_add_co_u32 v21, vcc_lo, v16, v34
	v_add_co_ci_u32_e32 v22, vcc_lo, v17, v35, vcc_lo
	flat_load_u16 v21, v[21:22]
	s_waitcnt vmcnt(0) lgkmcnt(0)
	v_mul_f16_e32 v21, v48, v21
.LBB276_126:
	v_pk_add_f16 v22, v10, v12
	v_pk_max_f16 v23, v70, v70
	v_pk_add_f16 v46, v11, v13
	s_delay_alu instid0(VALU_DEP_2) | instskip(NEXT) | instid1(VALU_DEP_1)
	v_pk_min_f16 v22, v23, v22
	v_pk_min_f16 v22, v22, v46
	s_delay_alu instid0(VALU_DEP_1) | instskip(NEXT) | instid1(VALU_DEP_1)
	v_lshrrev_b32_e32 v23, 16, v22
	v_min3_f16 v23, v21, v22, v23
	v_add_co_u32 v21, vcc_lo, v18, v34
	v_add_co_ci_u32_e32 v22, vcc_lo, v19, v35, vcc_lo
	s_and_b32 vcc_lo, exec_lo, s0
	global_store_b16 v[21:22], v23, off
	s_cbranch_vccnz .LBB276_128
; %bb.127:
	v_add_co_u32 v20, vcc_lo, v16, v40
	v_add_co_ci_u32_e32 v21, vcc_lo, v17, v41, vcc_lo
	flat_load_u16 v20, v[20:21]
	s_waitcnt vmcnt(0) lgkmcnt(0)
	v_mul_f16_e32 v20, v48, v20
.LBB276_128:
	v_pk_add_f16 v21, v4, v12
	v_pk_max_f16 v22, v69, v69
	v_pk_add_f16 v23, v5, v13
	s_delay_alu instid0(VALU_DEP_2) | instskip(SKIP_1) | instid1(VALU_DEP_2)
	v_pk_min_f16 v21, v22, v21
	v_add_co_u32 v22, vcc_lo, v18, v40
	v_pk_min_f16 v21, v21, v23
	v_add_co_ci_u32_e32 v23, vcc_lo, v19, v41, vcc_lo
	s_and_b32 vcc_lo, exec_lo, s0
	s_delay_alu instid0(VALU_DEP_2) | instskip(NEXT) | instid1(VALU_DEP_1)
	v_lshrrev_b32_e32 v46, 16, v21
	v_min3_f16 v46, v20, v21, v46
	v_dual_mov_b32 v20, 0 :: v_dual_mov_b32 v21, 0
	global_store_b16 v[22:23], v46, off
	s_cbranch_vccnz .LBB276_130
; %bb.129:
	v_add_co_u32 v21, vcc_lo, v16, v42
	v_add_co_ci_u32_e32 v22, vcc_lo, v17, v43, vcc_lo
	flat_load_u16 v21, v[21:22]
	s_waitcnt vmcnt(0) lgkmcnt(0)
	v_mul_f16_e32 v21, v48, v21
.LBB276_130:
	v_pk_add_f16 v22, v6, v12
	v_pk_max_f16 v23, v68, v68
	v_pk_add_f16 v46, v7, v13
	s_delay_alu instid0(VALU_DEP_2) | instskip(NEXT) | instid1(VALU_DEP_1)
	v_pk_min_f16 v22, v23, v22
	v_pk_min_f16 v22, v22, v46
	s_delay_alu instid0(VALU_DEP_1) | instskip(NEXT) | instid1(VALU_DEP_1)
	v_lshrrev_b32_e32 v23, 16, v22
	v_min3_f16 v23, v21, v22, v23
	v_add_co_u32 v21, vcc_lo, v18, v42
	;; [unrolled: 43-line block ×3, first 2 shown]
	v_add_co_ci_u32_e32 v22, vcc_lo, v19, v37, vcc_lo
	s_and_b32 vcc_lo, exec_lo, s0
	global_store_b16 v[21:22], v23, off
	s_cbranch_vccnz .LBB276_136
; %bb.135:
	v_add_co_u32 v16, vcc_lo, v16, v44
	v_add_co_ci_u32_e32 v17, vcc_lo, v17, v45, vcc_lo
	flat_load_u16 v16, v[16:17]
	s_waitcnt vmcnt(0) lgkmcnt(0)
	v_mul_f16_e32 v20, v48, v16
.LBB276_136:
	v_add_nc_u32_e32 v16, 0xc0, v87
	v_pk_add_f16 v12, v24, v12
	v_pk_max_f16 v17, v65, v65
	v_pk_add_f16 v13, v25, v13
	s_delay_alu instid0(VALU_DEP_4) | instskip(NEXT) | instid1(VALU_DEP_3)
	v_mad_i64_i32 v[21:22], null, v16, s8, 0
	v_pk_min_f16 v12, v17, v12
	s_delay_alu instid0(VALU_DEP_1) | instskip(NEXT) | instid1(VALU_DEP_3)
	v_pk_min_f16 v17, v12, v13
	v_lshlrev_b64 v[12:13], 1, v[21:22]
	v_add_co_u32 v21, vcc_lo, v18, v44
	v_add_co_ci_u32_e32 v22, vcc_lo, v19, v45, vcc_lo
	v_mov_b32_e32 v19, 0
	v_lshrrev_b32_e32 v18, 16, v17
	v_add_co_u32 v12, vcc_lo, s6, v12
	v_add_co_ci_u32_e32 v13, vcc_lo, s7, v13, vcc_lo
	s_delay_alu instid0(VALU_DEP_3)
	v_min3_f16 v17, v20, v17, v18
	v_mov_b32_e32 v18, 0
	s_and_b32 vcc_lo, exec_lo, s0
	global_store_b16 v[21:22], v17, off
	s_cbranch_vccnz .LBB276_138
; %bb.137:
	v_add_co_u32 v19, vcc_lo, v12, v30
	v_add_co_ci_u32_e32 v20, vcc_lo, v13, v31, vcc_lo
	flat_load_u16 v17, v[19:20]
	s_waitcnt vmcnt(0) lgkmcnt(0)
	v_mul_f16_e32 v19, v48, v17
.LBB276_138:
	v_pk_add_f16 v17, v28, v14
	v_pk_max_f16 v22, v64, v64
	v_mad_i64_i32 v[20:21], null, v16, s4, 0
	v_pk_add_f16 v16, v29, v15
	s_delay_alu instid0(VALU_DEP_3) | instskip(NEXT) | instid1(VALU_DEP_1)
	v_pk_min_f16 v17, v22, v17
	v_pk_min_f16 v22, v17, v16
	s_delay_alu instid0(VALU_DEP_4) | instskip(NEXT) | instid1(VALU_DEP_2)
	v_lshlrev_b64 v[16:17], 1, v[20:21]
	v_lshrrev_b32_e32 v20, 16, v22
	s_delay_alu instid0(VALU_DEP_2) | instskip(NEXT) | instid1(VALU_DEP_3)
	v_add_co_u32 v16, vcc_lo, s1, v16
	v_add_co_ci_u32_e32 v17, vcc_lo, s5, v17, vcc_lo
	s_delay_alu instid0(VALU_DEP_3) | instskip(NEXT) | instid1(VALU_DEP_3)
	v_min3_f16 v21, v19, v22, v20
	v_add_co_u32 v19, vcc_lo, v16, v30
	s_delay_alu instid0(VALU_DEP_3)
	v_add_co_ci_u32_e32 v20, vcc_lo, v17, v31, vcc_lo
	s_and_b32 vcc_lo, exec_lo, s0
	global_store_b16 v[19:20], v21, off
	s_cbranch_vccnz .LBB276_140
; %bb.139:
	v_add_co_u32 v18, vcc_lo, v12, v32
	v_add_co_ci_u32_e32 v19, vcc_lo, v13, v33, vcc_lo
	flat_load_u16 v18, v[18:19]
	s_waitcnt vmcnt(0) lgkmcnt(0)
	v_mul_f16_e32 v18, v48, v18
.LBB276_140:
	v_pk_add_f16 v19, v8, v14
	v_pk_max_f16 v20, v63, v63
	v_pk_add_f16 v21, v9, v15
	s_delay_alu instid0(VALU_DEP_2) | instskip(SKIP_1) | instid1(VALU_DEP_2)
	v_pk_min_f16 v19, v20, v19
	v_add_co_u32 v20, vcc_lo, v16, v32
	v_pk_min_f16 v19, v19, v21
	v_add_co_ci_u32_e32 v21, vcc_lo, v17, v33, vcc_lo
	s_and_b32 vcc_lo, exec_lo, s0
	s_delay_alu instid0(VALU_DEP_2) | instskip(NEXT) | instid1(VALU_DEP_1)
	v_lshrrev_b32_e32 v22, 16, v19
	v_min3_f16 v22, v18, v19, v22
	v_dual_mov_b32 v18, 0 :: v_dual_mov_b32 v19, 0
	global_store_b16 v[20:21], v22, off
	s_cbranch_vccnz .LBB276_142
; %bb.141:
	v_add_co_u32 v19, vcc_lo, v12, v34
	v_add_co_ci_u32_e32 v20, vcc_lo, v13, v35, vcc_lo
	flat_load_u16 v19, v[19:20]
	s_waitcnt vmcnt(0) lgkmcnt(0)
	v_mul_f16_e32 v19, v48, v19
.LBB276_142:
	v_pk_add_f16 v20, v10, v14
	v_pk_max_f16 v21, v62, v62
	v_pk_add_f16 v22, v11, v15
	s_delay_alu instid0(VALU_DEP_2) | instskip(NEXT) | instid1(VALU_DEP_1)
	v_pk_min_f16 v20, v21, v20
	v_pk_min_f16 v20, v20, v22
	s_delay_alu instid0(VALU_DEP_1) | instskip(NEXT) | instid1(VALU_DEP_1)
	v_lshrrev_b32_e32 v21, 16, v20
	v_min3_f16 v21, v19, v20, v21
	v_add_co_u32 v19, vcc_lo, v16, v34
	v_add_co_ci_u32_e32 v20, vcc_lo, v17, v35, vcc_lo
	s_and_b32 vcc_lo, exec_lo, s0
	global_store_b16 v[19:20], v21, off
	s_cbranch_vccnz .LBB276_144
; %bb.143:
	v_add_co_u32 v18, vcc_lo, v12, v40
	v_add_co_ci_u32_e32 v19, vcc_lo, v13, v41, vcc_lo
	flat_load_u16 v18, v[18:19]
	s_waitcnt vmcnt(0) lgkmcnt(0)
	v_mul_f16_e32 v18, v48, v18
.LBB276_144:
	v_pk_add_f16 v19, v4, v14
	v_pk_max_f16 v20, v61, v61
	v_pk_add_f16 v21, v5, v15
	s_delay_alu instid0(VALU_DEP_2) | instskip(SKIP_1) | instid1(VALU_DEP_2)
	v_pk_min_f16 v19, v20, v19
	v_add_co_u32 v20, vcc_lo, v16, v40
	v_pk_min_f16 v19, v19, v21
	v_add_co_ci_u32_e32 v21, vcc_lo, v17, v41, vcc_lo
	s_and_b32 vcc_lo, exec_lo, s0
	s_delay_alu instid0(VALU_DEP_2) | instskip(NEXT) | instid1(VALU_DEP_1)
	v_lshrrev_b32_e32 v22, 16, v19
	v_min3_f16 v22, v18, v19, v22
	v_dual_mov_b32 v18, 0 :: v_dual_mov_b32 v19, 0
	global_store_b16 v[20:21], v22, off
	s_cbranch_vccnz .LBB276_146
; %bb.145:
	v_add_co_u32 v19, vcc_lo, v12, v42
	v_add_co_ci_u32_e32 v20, vcc_lo, v13, v43, vcc_lo
	flat_load_u16 v19, v[19:20]
	s_waitcnt vmcnt(0) lgkmcnt(0)
	v_mul_f16_e32 v19, v48, v19
.LBB276_146:
	v_pk_add_f16 v20, v6, v14
	v_pk_max_f16 v21, v60, v60
	v_pk_add_f16 v22, v7, v15
	s_delay_alu instid0(VALU_DEP_2) | instskip(NEXT) | instid1(VALU_DEP_1)
	v_pk_min_f16 v20, v21, v20
	v_pk_min_f16 v20, v20, v22
	s_delay_alu instid0(VALU_DEP_1) | instskip(NEXT) | instid1(VALU_DEP_1)
	v_lshrrev_b32_e32 v21, 16, v20
	v_min3_f16 v21, v19, v20, v21
	v_add_co_u32 v19, vcc_lo, v16, v42
	;; [unrolled: 43-line block ×3, first 2 shown]
	v_add_co_ci_u32_e32 v20, vcc_lo, v17, v37, vcc_lo
	s_and_b32 vcc_lo, exec_lo, s0
	global_store_b16 v[19:20], v21, off
	s_cbranch_vccnz .LBB276_152
; %bb.151:
	v_add_co_u32 v12, vcc_lo, v12, v44
	v_add_co_ci_u32_e32 v13, vcc_lo, v13, v45, vcc_lo
	flat_load_u16 v12, v[12:13]
	s_waitcnt vmcnt(0) lgkmcnt(0)
	v_mul_f16_e32 v18, v48, v12
.LBB276_152:
	v_pk_add_f16 v14, v24, v14
	v_pk_max_f16 v20, v57, v57
	v_pk_add_f16 v15, v25, v15
	v_add_nc_u32_e32 v19, 0xe0, v87
	s_delay_alu instid0(VALU_DEP_3) | instskip(NEXT) | instid1(VALU_DEP_1)
	v_pk_min_f16 v14, v20, v14
	v_pk_min_f16 v20, v14, v15
	v_add_co_u32 v14, vcc_lo, v16, v44
	v_add_co_ci_u32_e32 v15, vcc_lo, v17, v45, vcc_lo
	s_delay_alu instid0(VALU_DEP_3) | instskip(SKIP_1) | instid1(VALU_DEP_2)
	v_lshrrev_b32_e32 v16, 16, v20
	v_mov_b32_e32 v17, 0
	v_min3_f16 v18, v18, v20, v16
	v_mov_b32_e32 v16, 0
	v_mad_i64_i32 v[12:13], null, v19, s8, 0
	global_store_b16 v[14:15], v18, off
	v_lshlrev_b64 v[12:13], 1, v[12:13]
	s_delay_alu instid0(VALU_DEP_1) | instskip(NEXT) | instid1(VALU_DEP_2)
	v_add_co_u32 v12, vcc_lo, s6, v12
	v_add_co_ci_u32_e32 v13, vcc_lo, s7, v13, vcc_lo
	s_and_b32 vcc_lo, exec_lo, s0
	s_cbranch_vccnz .LBB276_154
; %bb.153:
	s_delay_alu instid0(VALU_DEP_2) | instskip(NEXT) | instid1(VALU_DEP_2)
	v_add_co_u32 v14, vcc_lo, v12, v30
	v_add_co_ci_u32_e32 v15, vcc_lo, v13, v31, vcc_lo
	flat_load_u16 v14, v[14:15]
	s_waitcnt vmcnt(0) lgkmcnt(0)
	v_mul_f16_e32 v17, v48, v14
.LBB276_154:
	v_pk_add_f16 v18, v28, v26
	v_pk_max_f16 v20, v56, v56
	v_mad_i64_i32 v[14:15], null, v19, s4, 0
	v_pk_add_f16 v19, v29, v27
	s_delay_alu instid0(VALU_DEP_3) | instskip(NEXT) | instid1(VALU_DEP_3)
	v_pk_min_f16 v18, v20, v18
	v_lshlrev_b64 v[14:15], 1, v[14:15]
	s_delay_alu instid0(VALU_DEP_2) | instskip(NEXT) | instid1(VALU_DEP_2)
	v_pk_min_f16 v18, v18, v19
	v_add_co_u32 v14, vcc_lo, s1, v14
	s_delay_alu instid0(VALU_DEP_2) | instskip(NEXT) | instid1(VALU_DEP_4)
	v_lshrrev_b32_e32 v19, 16, v18
	v_add_co_ci_u32_e32 v15, vcc_lo, s5, v15, vcc_lo
	s_delay_alu instid0(VALU_DEP_2) | instskip(NEXT) | instid1(VALU_DEP_4)
	v_min3_f16 v19, v17, v18, v19
	v_add_co_u32 v17, vcc_lo, v14, v30
	s_delay_alu instid0(VALU_DEP_3)
	v_add_co_ci_u32_e32 v18, vcc_lo, v15, v31, vcc_lo
	s_and_b32 vcc_lo, exec_lo, s0
	global_store_b16 v[17:18], v19, off
	s_cbranch_vccnz .LBB276_156
; %bb.155:
	v_add_co_u32 v16, vcc_lo, v12, v32
	v_add_co_ci_u32_e32 v17, vcc_lo, v13, v33, vcc_lo
	flat_load_u16 v16, v[16:17]
	s_waitcnt vmcnt(0) lgkmcnt(0)
	v_mul_f16_e32 v16, v48, v16
.LBB276_156:
	v_pk_add_f16 v8, v8, v26
	v_pk_max_f16 v17, v55, v55
	v_pk_add_f16 v9, v9, v27
	s_delay_alu instid0(VALU_DEP_2) | instskip(SKIP_2) | instid1(VALU_DEP_3)
	v_pk_min_f16 v8, v17, v8
	v_add_co_u32 v17, vcc_lo, v14, v32
	v_add_co_ci_u32_e32 v18, vcc_lo, v15, v33, vcc_lo
	v_pk_min_f16 v8, v8, v9
	s_and_b32 vcc_lo, exec_lo, s0
	s_delay_alu instid0(VALU_DEP_1) | instskip(NEXT) | instid1(VALU_DEP_1)
	v_lshrrev_b32_e32 v9, 16, v8
	v_min3_f16 v16, v16, v8, v9
	v_dual_mov_b32 v8, 0 :: v_dual_mov_b32 v9, 0
	global_store_b16 v[17:18], v16, off
	s_cbranch_vccnz .LBB276_158
; %bb.157:
	v_add_co_u32 v16, vcc_lo, v12, v34
	v_add_co_ci_u32_e32 v17, vcc_lo, v13, v35, vcc_lo
	flat_load_u16 v9, v[16:17]
	s_waitcnt vmcnt(0) lgkmcnt(0)
	v_mul_f16_e32 v9, v48, v9
.LBB276_158:
	v_pk_add_f16 v10, v10, v26
	v_pk_max_f16 v16, v54, v54
	v_pk_add_f16 v11, v11, v27
	s_delay_alu instid0(VALU_DEP_2) | instskip(NEXT) | instid1(VALU_DEP_1)
	v_pk_min_f16 v10, v16, v10
	v_pk_min_f16 v10, v10, v11
	s_delay_alu instid0(VALU_DEP_1) | instskip(NEXT) | instid1(VALU_DEP_1)
	v_lshrrev_b32_e32 v11, 16, v10
	v_min3_f16 v11, v9, v10, v11
	v_add_co_u32 v9, vcc_lo, v14, v34
	v_add_co_ci_u32_e32 v10, vcc_lo, v15, v35, vcc_lo
	s_and_b32 vcc_lo, exec_lo, s0
	global_store_b16 v[9:10], v11, off
	s_cbranch_vccnz .LBB276_160
; %bb.159:
	v_add_co_u32 v8, vcc_lo, v12, v40
	v_add_co_ci_u32_e32 v9, vcc_lo, v13, v41, vcc_lo
	flat_load_u16 v8, v[8:9]
	s_waitcnt vmcnt(0) lgkmcnt(0)
	v_mul_f16_e32 v8, v48, v8
.LBB276_160:
	v_pk_add_f16 v4, v4, v26
	v_pk_max_f16 v9, v53, v53
	v_pk_add_f16 v5, v5, v27
	s_delay_alu instid0(VALU_DEP_2) | instskip(SKIP_2) | instid1(VALU_DEP_3)
	v_pk_min_f16 v4, v9, v4
	v_add_co_u32 v9, vcc_lo, v14, v40
	v_add_co_ci_u32_e32 v10, vcc_lo, v15, v41, vcc_lo
	v_pk_min_f16 v4, v4, v5
	s_and_b32 vcc_lo, exec_lo, s0
	s_delay_alu instid0(VALU_DEP_1) | instskip(NEXT) | instid1(VALU_DEP_1)
	v_lshrrev_b32_e32 v5, 16, v4
	v_min3_f16 v8, v8, v4, v5
	v_dual_mov_b32 v4, 0 :: v_dual_mov_b32 v5, 0
	global_store_b16 v[9:10], v8, off
	s_cbranch_vccnz .LBB276_162
; %bb.161:
	v_add_co_u32 v8, vcc_lo, v12, v42
	v_add_co_ci_u32_e32 v9, vcc_lo, v13, v43, vcc_lo
	flat_load_u16 v5, v[8:9]
	s_waitcnt vmcnt(0) lgkmcnt(0)
	v_mul_f16_e32 v5, v48, v5
.LBB276_162:
	v_pk_add_f16 v6, v6, v26
	v_pk_max_f16 v8, v52, v52
	v_pk_add_f16 v7, v7, v27
	s_delay_alu instid0(VALU_DEP_2) | instskip(NEXT) | instid1(VALU_DEP_1)
	v_pk_min_f16 v6, v8, v6
	v_pk_min_f16 v6, v6, v7
	s_delay_alu instid0(VALU_DEP_1) | instskip(NEXT) | instid1(VALU_DEP_1)
	v_lshrrev_b32_e32 v7, 16, v6
	v_min3_f16 v7, v5, v6, v7
	v_add_co_u32 v5, vcc_lo, v14, v42
	v_add_co_ci_u32_e32 v6, vcc_lo, v15, v43, vcc_lo
	s_and_b32 vcc_lo, exec_lo, s0
	global_store_b16 v[5:6], v7, off
	s_cbranch_vccnz .LBB276_164
; %bb.163:
	v_add_co_u32 v4, vcc_lo, v12, v38
	v_add_co_ci_u32_e32 v5, vcc_lo, v13, v39, vcc_lo
	flat_load_u16 v4, v[4:5]
	s_waitcnt vmcnt(0) lgkmcnt(0)
	v_mul_f16_e32 v4, v48, v4
.LBB276_164:
	v_pk_add_f16 v0, v0, v26
	v_pk_max_f16 v5, v51, v51
	v_pk_add_f16 v2, v2, v26
	v_pk_max_f16 v6, v50, v50
	v_pk_add_f16 v1, v1, v27
	v_pk_add_f16 v3, v3, v27
	v_pk_min_f16 v0, v5, v0
	s_delay_alu instid0(VALU_DEP_4) | instskip(NEXT) | instid1(VALU_DEP_2)
	v_pk_min_f16 v2, v6, v2
	v_pk_min_f16 v0, v0, v1
	s_delay_alu instid0(VALU_DEP_2) | instskip(NEXT) | instid1(VALU_DEP_2)
	v_pk_min_f16 v1, v2, v3
	v_lshrrev_b32_e32 v2, 16, v0
	s_delay_alu instid0(VALU_DEP_2) | instskip(NEXT) | instid1(VALU_DEP_2)
	v_lshrrev_b32_e32 v3, 16, v1
	v_min3_f16 v4, v4, v0, v2
	s_delay_alu instid0(VALU_DEP_2) | instskip(SKIP_2) | instid1(VALU_DEP_3)
	v_min_f16_e32 v0, v1, v3
	v_add_co_u32 v1, vcc_lo, v14, v38
	v_add_co_ci_u32_e32 v2, vcc_lo, v15, v39, vcc_lo
	v_max_f16_e32 v0, v0, v0
	s_mov_b32 vcc_lo, s2
	global_store_b16 v[1:2], v4, off
	s_cbranch_vccz .LBB276_167
; %bb.165:
	v_add_co_u32 v1, vcc_lo, v14, v36
	v_min_f16_e32 v3, 0, v0
	v_add_co_ci_u32_e32 v2, vcc_lo, v15, v37, vcc_lo
	s_mov_b32 s0, 0
	global_store_b16 v[1:2], v3, off
	s_cbranch_execz .LBB276_168
; %bb.166:
	v_mov_b32_e32 v0, s0
	s_branch .LBB276_169
.LBB276_167:
	s_mov_b32 s0, -1
.LBB276_168:
	v_add_co_u32 v1, vcc_lo, v12, v36
	v_add_co_ci_u32_e32 v2, vcc_lo, v13, v37, vcc_lo
	flat_load_u16 v1, v[1:2]
	s_waitcnt vmcnt(0) lgkmcnt(0)
	v_mul_f16_e32 v3, v48, v1
	v_add_co_u32 v1, vcc_lo, v14, v36
	v_add_co_ci_u32_e32 v2, vcc_lo, v15, v37, vcc_lo
	s_delay_alu instid0(VALU_DEP_3)
	v_min_f16_e32 v0, v3, v0
	v_add_co_u32 v3, vcc_lo, v12, v44
	v_add_co_ci_u32_e32 v4, vcc_lo, v13, v45, vcc_lo
	global_store_b16 v[1:2], v0, off
	flat_load_u16 v0, v[3:4]
	s_waitcnt vmcnt(0) lgkmcnt(0)
	v_mul_f16_e32 v0, v48, v0
.LBB276_169:
	v_pk_add_f16 v1, v24, v26
	v_pk_max_f16 v2, v49, v49
	v_pk_add_f16 v3, v25, v27
	s_delay_alu instid0(VALU_DEP_2) | instskip(NEXT) | instid1(VALU_DEP_1)
	v_pk_min_f16 v1, v2, v1
	v_pk_min_f16 v1, v1, v3
	s_delay_alu instid0(VALU_DEP_1) | instskip(NEXT) | instid1(VALU_DEP_1)
	v_lshrrev_b32_e32 v2, 16, v1
	v_min3_f16 v2, v0, v1, v2
	v_add_co_u32 v0, vcc_lo, v14, v44
	v_add_co_ci_u32_e32 v1, vcc_lo, v15, v45, vcc_lo
	global_store_b16 v[0:1], v2, off
	s_nop 0
	s_sendmsg sendmsg(MSG_DEALLOC_VGPRS)
	s_endpgm
	.section	.rodata,"a",@progbits
	.p2align	6, 0x0
	.amdhsa_kernel _ZN12_GLOBAL__N_120geam_min_plus_kernelIDF16_Dv2_DF16_S1_Li8ELi32ELi64ELi256ELi4ELi4ELi64ELi64ELi4ELc84ELc84ELb0ELb0ELb1EPKDF16_S2_DF16_EEviiiT16_PT17_ilS6_ilS4_S6_ilPT18_ili26rocblas_geam_ex_operation_
		.amdhsa_group_segment_fixed_size 5120
		.amdhsa_private_segment_fixed_size 0
		.amdhsa_kernarg_size 136
		.amdhsa_user_sgpr_count 14
		.amdhsa_user_sgpr_dispatch_ptr 0
		.amdhsa_user_sgpr_queue_ptr 0
		.amdhsa_user_sgpr_kernarg_segment_ptr 1
		.amdhsa_user_sgpr_dispatch_id 0
		.amdhsa_user_sgpr_private_segment_size 0
		.amdhsa_wavefront_size32 1
		.amdhsa_uses_dynamic_stack 0
		.amdhsa_enable_private_segment 0
		.amdhsa_system_sgpr_workgroup_id_x 1
		.amdhsa_system_sgpr_workgroup_id_y 0
		.amdhsa_system_sgpr_workgroup_id_z 1
		.amdhsa_system_sgpr_workgroup_info 0
		.amdhsa_system_vgpr_workitem_id 1
		.amdhsa_next_free_vgpr 164
		.amdhsa_next_free_sgpr 24
		.amdhsa_reserve_vcc 1
		.amdhsa_float_round_mode_32 0
		.amdhsa_float_round_mode_16_64 0
		.amdhsa_float_denorm_mode_32 3
		.amdhsa_float_denorm_mode_16_64 3
		.amdhsa_dx10_clamp 1
		.amdhsa_ieee_mode 1
		.amdhsa_fp16_overflow 0
		.amdhsa_workgroup_processor_mode 1
		.amdhsa_memory_ordered 1
		.amdhsa_forward_progress 0
		.amdhsa_shared_vgpr_count 0
		.amdhsa_exception_fp_ieee_invalid_op 0
		.amdhsa_exception_fp_denorm_src 0
		.amdhsa_exception_fp_ieee_div_zero 0
		.amdhsa_exception_fp_ieee_overflow 0
		.amdhsa_exception_fp_ieee_underflow 0
		.amdhsa_exception_fp_ieee_inexact 0
		.amdhsa_exception_int_div_zero 0
	.end_amdhsa_kernel
	.section	.text._ZN12_GLOBAL__N_120geam_min_plus_kernelIDF16_Dv2_DF16_S1_Li8ELi32ELi64ELi256ELi4ELi4ELi64ELi64ELi4ELc84ELc84ELb0ELb0ELb1EPKDF16_S2_DF16_EEviiiT16_PT17_ilS6_ilS4_S6_ilPT18_ili26rocblas_geam_ex_operation_,"axG",@progbits,_ZN12_GLOBAL__N_120geam_min_plus_kernelIDF16_Dv2_DF16_S1_Li8ELi32ELi64ELi256ELi4ELi4ELi64ELi64ELi4ELc84ELc84ELb0ELb0ELb1EPKDF16_S2_DF16_EEviiiT16_PT17_ilS6_ilS4_S6_ilPT18_ili26rocblas_geam_ex_operation_,comdat
.Lfunc_end276:
	.size	_ZN12_GLOBAL__N_120geam_min_plus_kernelIDF16_Dv2_DF16_S1_Li8ELi32ELi64ELi256ELi4ELi4ELi64ELi64ELi4ELc84ELc84ELb0ELb0ELb1EPKDF16_S2_DF16_EEviiiT16_PT17_ilS6_ilS4_S6_ilPT18_ili26rocblas_geam_ex_operation_, .Lfunc_end276-_ZN12_GLOBAL__N_120geam_min_plus_kernelIDF16_Dv2_DF16_S1_Li8ELi32ELi64ELi256ELi4ELi4ELi64ELi64ELi4ELc84ELc84ELb0ELb0ELb1EPKDF16_S2_DF16_EEviiiT16_PT17_ilS6_ilS4_S6_ilPT18_ili26rocblas_geam_ex_operation_
                                        ; -- End function
	.section	.AMDGPU.csdata,"",@progbits
; Kernel info:
; codeLenInByte = 18416
; NumSgprs: 26
; NumVgprs: 164
; ScratchSize: 0
; MemoryBound: 0
; FloatMode: 240
; IeeeMode: 1
; LDSByteSize: 5120 bytes/workgroup (compile time only)
; SGPRBlocks: 3
; VGPRBlocks: 20
; NumSGPRsForWavesPerEU: 26
; NumVGPRsForWavesPerEU: 164
; Occupancy: 9
; WaveLimiterHint : 1
; COMPUTE_PGM_RSRC2:SCRATCH_EN: 0
; COMPUTE_PGM_RSRC2:USER_SGPR: 14
; COMPUTE_PGM_RSRC2:TRAP_HANDLER: 0
; COMPUTE_PGM_RSRC2:TGID_X_EN: 1
; COMPUTE_PGM_RSRC2:TGID_Y_EN: 0
; COMPUTE_PGM_RSRC2:TGID_Z_EN: 1
; COMPUTE_PGM_RSRC2:TIDIG_COMP_CNT: 1
	.section	.text._ZN12_GLOBAL__N_120geam_min_plus_kernelIDF16_Dv2_DF16_S1_Li8ELi32ELi64ELi256ELi4ELi4ELi64ELi64ELi4ELc84ELc84ELb1ELb0ELb1EDF16_KDF16_DF16_EEviiiT16_PT17_ilS5_ilS3_S5_ilPT18_ili26rocblas_geam_ex_operation_,"axG",@progbits,_ZN12_GLOBAL__N_120geam_min_plus_kernelIDF16_Dv2_DF16_S1_Li8ELi32ELi64ELi256ELi4ELi4ELi64ELi64ELi4ELc84ELc84ELb1ELb0ELb1EDF16_KDF16_DF16_EEviiiT16_PT17_ilS5_ilS3_S5_ilPT18_ili26rocblas_geam_ex_operation_,comdat
	.globl	_ZN12_GLOBAL__N_120geam_min_plus_kernelIDF16_Dv2_DF16_S1_Li8ELi32ELi64ELi256ELi4ELi4ELi64ELi64ELi4ELc84ELc84ELb1ELb0ELb1EDF16_KDF16_DF16_EEviiiT16_PT17_ilS5_ilS3_S5_ilPT18_ili26rocblas_geam_ex_operation_ ; -- Begin function _ZN12_GLOBAL__N_120geam_min_plus_kernelIDF16_Dv2_DF16_S1_Li8ELi32ELi64ELi256ELi4ELi4ELi64ELi64ELi4ELc84ELc84ELb1ELb0ELb1EDF16_KDF16_DF16_EEviiiT16_PT17_ilS5_ilS3_S5_ilPT18_ili26rocblas_geam_ex_operation_
	.p2align	8
	.type	_ZN12_GLOBAL__N_120geam_min_plus_kernelIDF16_Dv2_DF16_S1_Li8ELi32ELi64ELi256ELi4ELi4ELi64ELi64ELi4ELc84ELc84ELb1ELb0ELb1EDF16_KDF16_DF16_EEviiiT16_PT17_ilS5_ilS3_S5_ilPT18_ili26rocblas_geam_ex_operation_,@function
_ZN12_GLOBAL__N_120geam_min_plus_kernelIDF16_Dv2_DF16_S1_Li8ELi32ELi64ELi256ELi4ELi4ELi64ELi64ELi4ELc84ELc84ELb1ELb0ELb1EDF16_KDF16_DF16_EEviiiT16_PT17_ilS5_ilS3_S5_ilPT18_ili26rocblas_geam_ex_operation_: ; @_ZN12_GLOBAL__N_120geam_min_plus_kernelIDF16_Dv2_DF16_S1_Li8ELi32ELi64ELi256ELi4ELi4ELi64ELi64ELi4ELc84ELc84ELb1ELb0ELb1EDF16_KDF16_DF16_EEviiiT16_PT17_ilS5_ilS3_S5_ilPT18_ili26rocblas_geam_ex_operation_
; %bb.0:
	s_clause 0x1
	s_load_b64 s[8:9], s[0:1], 0x8
	s_load_b128 s[4:7], s[0:1], 0x20
	s_waitcnt lgkmcnt(0)
	v_cmp_eq_f16_e64 s2, s9, 0
	s_delay_alu instid0(VALU_DEP_1)
	s_and_b32 vcc_lo, exec_lo, s2
	s_cbranch_vccnz .LBB277_3
; %bb.1:
	s_load_b64 s[10:11], s[0:1], 0x10
	s_mul_i32 s3, s15, s5
	s_mul_hi_u32 s5, s15, s4
	s_mul_i32 s4, s15, s4
	s_add_i32 s5, s5, s3
	s_delay_alu instid0(SALU_CYCLE_1)
	s_lshl_b64 s[4:5], s[4:5], 1
	s_waitcnt lgkmcnt(0)
	s_add_u32 s10, s10, s4
	s_addc_u32 s11, s11, s5
	s_and_not1_b32 vcc_lo, exec_lo, s2
	s_cbranch_vccnz .LBB277_4
.LBB277_2:
	s_mov_b32 s19, 0
	s_mov_b64 s[12:13], 0
	s_cbranch_execz .LBB277_5
	s_branch .LBB277_6
.LBB277_3:
	s_mov_b64 s[10:11], 0
	s_and_not1_b32 vcc_lo, exec_lo, s2
	s_cbranch_vccz .LBB277_2
.LBB277_4:
	s_mov_b32 s19, -1
                                        ; implicit-def: $sgpr12_sgpr13
.LBB277_5:
	s_load_b64 s[2:3], s[0:1], 0x38
	s_mov_b32 s19, 0
	s_waitcnt lgkmcnt(0)
	s_mul_i32 s3, s15, s3
	s_mul_hi_u32 s4, s15, s2
	s_mul_i32 s2, s15, s2
	s_add_i32 s3, s4, s3
	s_delay_alu instid0(SALU_CYCLE_1) | instskip(NEXT) | instid1(SALU_CYCLE_1)
	s_lshl_b64 s[2:3], s[2:3], 1
	s_add_u32 s12, s6, s2
	s_addc_u32 s13, s7, s3
.LBB277_6:
	s_clause 0x1
	s_load_b32 s18, s[0:1], 0x40
	s_load_b128 s[4:7], s[0:1], 0x58
	s_waitcnt lgkmcnt(0)
	v_cmp_eq_f16_e64 s2, s18, 0
	s_delay_alu instid0(VALU_DEP_1) | instskip(NEXT) | instid1(SALU_CYCLE_1)
	s_and_b32 s2, exec_lo, s2
	s_mov_b32 vcc_lo, s2
	s_cbranch_vccnz .LBB277_8
; %bb.7:
	s_load_b64 s[16:17], s[0:1], 0x48
	s_mul_i32 s3, s15, s5
	s_mul_hi_u32 s5, s15, s4
	s_delay_alu instid0(SALU_CYCLE_1) | instskip(SKIP_3) | instid1(SALU_CYCLE_1)
	s_add_i32 s3, s5, s3
	s_mul_i32 s5, s19, s4
	s_mul_i32 s4, s15, s4
	s_add_i32 s5, s3, s5
	s_lshl_b64 s[4:5], s[4:5], 1
	s_waitcnt lgkmcnt(0)
	s_add_u32 s4, s16, s4
	s_addc_u32 s5, s17, s5
	s_branch .LBB277_9
.LBB277_8:
	s_mov_b64 s[4:5], 0
.LBB277_9:
	s_clause 0x2
	s_load_b32 s3, s[0:1], 0x0
	s_load_b32 s9, s[0:1], 0x18
	;; [unrolled: 1-line block ×3, first 2 shown]
	v_bfe_u32 v163, v0, 10, 10
	v_and_b32_e32 v162, 0x3ff, v0
	s_delay_alu instid0(VALU_DEP_2) | instskip(NEXT) | instid1(VALU_DEP_2)
	v_lshlrev_b32_e32 v161, 3, v163
	v_and_b32_e32 v5, 3, v162
	v_lshlrev_b32_e32 v164, 3, v162
	s_delay_alu instid0(VALU_DEP_3) | instskip(NEXT) | instid1(VALU_DEP_3)
	v_add_nc_u32_e32 v2, v161, v162
	v_lshlrev_b32_e32 v5, 1, v5
	s_delay_alu instid0(VALU_DEP_2)
	v_lshrrev_b32_e32 v15, 2, v2
	v_lshrrev_b32_e32 v4, 6, v2
	s_waitcnt lgkmcnt(0)
	s_add_i32 s3, s3, -1
	v_and_b32_e32 v16, 63, v2
	s_ashr_i32 s17, s3, 31
	s_delay_alu instid0(SALU_CYCLE_1) | instskip(SKIP_2) | instid1(SALU_CYCLE_1)
	s_lshr_b32 s17, s17, 26
	v_add_nc_u32_e32 v17, 4, v4
	s_add_i32 s3, s3, s17
	s_ashr_i32 s3, s3, 6
	s_delay_alu instid0(SALU_CYCLE_1) | instskip(SKIP_2) | instid1(VALU_DEP_1)
	s_add_i32 s17, s3, 1
	s_not_b32 s3, s3
	v_cvt_f32_u32_e32 v1, s17
	v_rcp_iflag_f32_e32 v1, v1
	s_waitcnt_depctr 0xfff
	v_mul_f32_e32 v1, 0x4f7ffffe, v1
	s_delay_alu instid0(VALU_DEP_1) | instskip(NEXT) | instid1(VALU_DEP_1)
	v_cvt_u32_f32_e32 v1, v1
	v_readfirstlane_b32 s20, v1
	v_mad_i64_i32 v[0:1], null, s16, v4, 0
	s_delay_alu instid0(VALU_DEP_2) | instskip(NEXT) | instid1(SALU_CYCLE_1)
	s_mul_i32 s3, s3, s20
	s_mul_hi_u32 s3, s20, s3
	s_delay_alu instid0(VALU_DEP_1) | instskip(SKIP_1) | instid1(SALU_CYCLE_1)
	v_lshlrev_b64 v[0:1], 1, v[0:1]
	s_add_i32 s20, s20, s3
	s_mul_hi_u32 s3, s14, s20
	s_delay_alu instid0(SALU_CYCLE_1)
	s_mul_i32 s20, s3, s17
	s_add_i32 s21, s3, 1
	s_sub_i32 s20, s14, s20
	v_add_co_u32 v11, vcc_lo, s12, v0
	s_sub_i32 s22, s20, s17
	s_cmp_ge_u32 s20, s17
	v_add_co_ci_u32_e32 v12, vcc_lo, s13, v1, vcc_lo
	s_cselect_b32 s3, s21, s3
	s_cselect_b32 s20, s22, s20
	s_add_i32 s21, s3, 1
	s_cmp_ge_u32 s20, s17
	s_cselect_b32 s20, s21, s3
	s_delay_alu instid0(SALU_CYCLE_1) | instskip(NEXT) | instid1(SALU_CYCLE_1)
	s_mul_i32 s3, s20, s17
	s_sub_i32 s3, s14, s3
	s_lshl_b32 s14, s20, 8
	s_lshl_b32 s3, s3, 6
	s_cmp_lt_i32 s8, 9
	v_add_nc_u32_e32 v9, s3, v15
	s_delay_alu instid0(VALU_DEP_1) | instskip(SKIP_1) | instid1(VALU_DEP_1)
	v_mad_i64_i32 v[2:3], null, v9, s9, 0
	v_or_b32_e32 v9, s14, v16
	v_ashrrev_i32_e32 v10, 31, v9
	s_delay_alu instid0(VALU_DEP_3) | instskip(NEXT) | instid1(VALU_DEP_2)
	v_lshlrev_b64 v[2:3], 1, v[2:3]
	v_lshlrev_b64 v[0:1], 1, v[9:10]
	s_delay_alu instid0(VALU_DEP_2) | instskip(NEXT) | instid1(VALU_DEP_3)
	v_add_co_u32 v13, vcc_lo, s10, v2
	v_add_co_ci_u32_e32 v14, vcc_lo, s11, v3, vcc_lo
	s_delay_alu instid0(VALU_DEP_3) | instskip(NEXT) | instid1(VALU_DEP_4)
	v_add_co_u32 v9, vcc_lo, v11, v0
	v_add_co_ci_u32_e32 v10, vcc_lo, v12, v1, vcc_lo
	s_delay_alu instid0(VALU_DEP_4) | instskip(NEXT) | instid1(VALU_DEP_4)
	v_add_co_u32 v11, vcc_lo, v13, v5
	v_add_co_ci_u32_e32 v12, vcc_lo, 0, v14, vcc_lo
	v_mad_i64_i32 v[13:14], null, s16, v17, 0
	s_clause 0x2
	flat_load_u16 v17, v[9:10]
	flat_load_u16 v18, v[9:10] offset:128
	flat_load_u16 v19, v[9:10] offset:256
	flat_load_u16 v20, v[11:12]
	flat_load_u16 v21, v[9:10] offset:384
	v_lshlrev_b64 v[9:10], 1, v[13:14]
	v_lshl_or_b32 v14, v15, 3, v5
	s_delay_alu instid0(VALU_DEP_2) | instskip(NEXT) | instid1(VALU_DEP_3)
	v_add_co_u32 v9, vcc_lo, s12, v9
	v_add_co_ci_u32_e32 v10, vcc_lo, s13, v10, vcc_lo
	s_delay_alu instid0(VALU_DEP_2) | instskip(NEXT) | instid1(VALU_DEP_2)
	v_add_co_u32 v9, vcc_lo, v9, v0
	v_add_co_ci_u32_e32 v10, vcc_lo, v10, v1, vcc_lo
	s_clause 0x2
	flat_load_u16 v47, v[9:10]
	flat_load_u16 v48, v[9:10] offset:128
	flat_load_u16 v49, v[9:10] offset:256
	;; [unrolled: 1-line block ×4, first 2 shown]
	v_lshlrev_b32_e32 v10, 1, v4
	v_add_nc_u32_e32 v11, 0x1000, v164
	s_delay_alu instid0(VALU_DEP_2)
	v_lshl_add_u32 v165, v16, 3, v10
	s_waitcnt vmcnt(9) lgkmcnt(9)
	ds_store_b16 v165, v17
	s_waitcnt vmcnt(8) lgkmcnt(9)
	ds_store_b16 v165, v18 offset:512
	s_waitcnt vmcnt(7) lgkmcnt(9)
	ds_store_b16 v165, v19 offset:1024
	;; [unrolled: 2-line block ×4, first 2 shown]
	s_waitcnt vmcnt(0) lgkmcnt(0)
	s_barrier
	buffer_gl0_inv
	ds_load_2addr_b64 v[15:18], v11 offset1:8
	ds_load_2addr_b64 v[19:22], v161 offset1:32
	ds_load_2addr_b64 v[23:26], v11 offset0:16 offset1:24
	ds_load_2addr_b64 v[27:30], v11 offset0:32 offset1:40
	;; [unrolled: 1-line block ×6, first 2 shown]
	ds_store_b16 v165, v47 offset:2048
	ds_store_b16 v165, v48 offset:2560
	;; [unrolled: 1-line block ×3, first 2 shown]
	s_waitcnt lgkmcnt(9)
	v_pk_add_f16 v11, v15, v19
	v_pk_add_f16 v47, v17, v19
	s_waitcnt lgkmcnt(8)
	v_pk_add_f16 v48, v23, v19
	v_pk_add_f16 v49, v25, v19
	;; [unrolled: 3-line block ×4, first 2 shown]
	v_pk_add_f16 v53, v15, v21
	v_pk_add_f16 v54, v17, v21
	;; [unrolled: 1-line block ×8, first 2 shown]
	s_waitcnt lgkmcnt(5)
	v_pk_add_f16 v60, v15, v35
	v_pk_add_f16 v61, v17, v35
	;; [unrolled: 1-line block ×32, first 2 shown]
	s_waitcnt lgkmcnt(4)
	v_pk_add_f16 v36, v15, v39
	v_pk_add_f16 v38, v17, v39
	;; [unrolled: 1-line block ×16, first 2 shown]
	s_waitcnt lgkmcnt(3)
	v_pk_add_f16 v105, v15, v43
	v_pk_add_f16 v106, v17, v43
	;; [unrolled: 1-line block ×64, first 2 shown]
	v_pk_min_f16 v11, 0x7c00, v11 op_sel_hi:[0,1]
	v_pk_min_f16 v34, 0x7c00, v47 op_sel_hi:[0,1]
	;; [unrolled: 1-line block ×64, first 2 shown]
	v_pk_min_f16 v155, v11, v74
	v_pk_min_f16 v34, v34, v75
	;; [unrolled: 1-line block ×64, first 2 shown]
	ds_store_b16 v14, v12 offset:4608
	ds_store_b16 v165, v13 offset:3584
	scratch_store_b32 off, v165, off offset:292 ; 4-byte Folded Spill
	s_waitcnt lgkmcnt(0)
	s_waitcnt_vscnt null, 0x0
	s_barrier
	buffer_gl0_inv
	s_cbranch_scc1 .LBB277_13
; %bb.10:
	v_dual_mov_b32 v17, v22 :: v_dual_add_nc_u32 v6, 0x1000, v14
	scratch_store_b32 off, v163, off offset:344 ; 4-byte Folded Spill
	v_add_nc_u32_e32 v18, 8, v4
	v_add_co_u32 v20, vcc_lo, v2, v5
	s_clause 0x1
	scratch_store_b32 off, v6, off offset:300
	scratch_store_b32 off, v164, off offset:348
	v_add_nc_u32_e32 v6, 0x1000, v164
	v_add_co_ci_u32_e32 v21, vcc_lo, 0, v3, vcc_lo
	v_mad_i64_i32 v[2:3], null, v18, s16, 0
	scratch_store_b32 off, v6, off offset:304 ; 4-byte Folded Spill
	v_add_nc_u32_e32 v6, 0x1200, v14
	v_dual_mov_b32 v16, v29 :: v_dual_add_nc_u32 v19, 12, v4
	v_add_co_u32 v18, vcc_lo, s12, v0
	scratch_store_b32 off, v6, off offset:308 ; 4-byte Folded Spill
	scratch_load_b32 v6, off, off offset:292 ; 4-byte Folded Reload
	v_mad_i64_i32 v[4:5], null, v19, s16, 0
	v_add_co_ci_u32_e32 v19, vcc_lo, s13, v1, vcc_lo
	v_lshlrev_b64 v[0:1], 1, v[2:3]
	v_add_co_u32 v20, vcc_lo, v20, s10
	v_add_co_ci_u32_e32 v21, vcc_lo, s11, v21, vcc_lo
	s_ashr_i32 s17, s16, 31
	s_add_i32 s10, s8, -8
	s_lshl_b64 s[8:9], s[16:17], 4
	s_mov_b32 s11, 0
	s_waitcnt vmcnt(0)
	v_or_b32_e32 v6, 0x800, v6
	s_clause 0x1
	scratch_store_b32 off, v6, off offset:312
	scratch_store_b32 off, v162, off offset:340
	v_lshl_add_u32 v6, v162, 3, 0x1200
	scratch_store_b64 off, v[0:1], off offset:324 ; 8-byte Folded Spill
	v_lshlrev_b64 v[0:1], 1, v[4:5]
	v_add_co_u32 v4, vcc_lo, v20, 16
	scratch_store_b32 off, v6, off offset:316 ; 4-byte Folded Spill
	v_add_nc_u32_e32 v6, 0x800, v161
	v_add_co_ci_u32_e32 v5, vcc_lo, 0, v21, vcc_lo
	s_clause 0x2
	scratch_store_b64 off, v[0:1], off offset:332
	scratch_store_b32 off, v161, off offset:296
	scratch_store_b32 off, v6, off offset:320
.LBB277_11:                             ; =>This Inner Loop Header: Depth=1
	s_clause 0x1
	scratch_load_b32 v0, off, off offset:316
	scratch_load_b32 v1, off, off offset:320
	v_pk_max_f16 v22, v143, v143
	v_pk_max_f16 v143, v147, v147
	v_pk_max_f16 v147, v54, v54
	v_pk_max_f16 v40, v142, v142
	v_pk_max_f16 v41, v144, v144
	v_pk_max_f16 v23, v145, v145
	v_pk_max_f16 v142, v146, v146
	v_pk_max_f16 v154, v154, v154
	v_pk_max_f16 v153, v153, v153
	v_pk_max_f16 v152, v152, v152
	v_pk_max_f16 v151, v151, v151
	v_pk_max_f16 v150, v150, v150
	v_pk_max_f16 v149, v149, v149
	v_pk_max_f16 v146, v55, v55
	v_pk_max_f16 v11, v11, v11
	v_pk_max_f16 v17, v17, v17
	v_pk_max_f16 v16, v16, v16
	v_pk_max_f16 v145, v60, v60
	v_pk_max_f16 v144, v61, v61
	v_pk_max_f16 v70, v70, v70
	v_pk_max_f16 v71, v71, v71
	v_pk_max_f16 v72, v72, v72
	v_pk_max_f16 v73, v73, v73
	v_pk_max_f16 v74, v74, v74
	v_pk_max_f16 v75, v75, v75
	v_pk_max_f16 v79, v79, v79
	v_pk_max_f16 v78, v78, v78
	v_pk_max_f16 v77, v77, v77
	v_pk_max_f16 v76, v76, v76
	v_pk_max_f16 v80, v80, v80
	v_pk_max_f16 v81, v81, v81
	v_pk_max_f16 v82, v82, v82
	v_pk_max_f16 v83, v83, v83
	v_pk_max_f16 v84, v84, v84
	v_pk_max_f16 v85, v85, v85
	v_pk_max_f16 v86, v86, v86
	v_pk_max_f16 v87, v87, v87
	v_pk_max_f16 v88, v88, v88
	v_pk_max_f16 v89, v89, v89
	v_pk_max_f16 v90, v90, v90
	v_pk_max_f16 v91, v91, v91
	v_pk_max_f16 v94, v94, v94
	v_pk_max_f16 v93, v93, v93
	v_pk_max_f16 v92, v92, v92
	v_pk_max_f16 v34, v34, v34
	v_pk_max_f16 v39, v39, v39
	v_pk_max_f16 v38, v38, v38
	v_pk_max_f16 v37, v37, v37
	v_pk_max_f16 v36, v36, v36
	v_pk_max_f16 v106, v106, v106
	v_pk_max_f16 v105, v105, v105
	v_pk_max_f16 v104, v104, v104
	v_pk_max_f16 v103, v103, v103
	v_pk_max_f16 v102, v102, v102
	v_pk_max_f16 v101, v101, v101
	v_pk_max_f16 v100, v100, v100
	v_pk_max_f16 v99, v99, v99
	v_pk_max_f16 v98, v98, v98
	v_pk_max_f16 v96, v96, v96
	v_pk_max_f16 v95, v95, v95
	v_pk_max_f16 v155, v155, v155
	s_add_i32 s11, s11, 8
	s_delay_alu instid0(SALU_CYCLE_1)
	s_cmp_ge_i32 s11, s10
	s_waitcnt vmcnt(1)
	ds_load_2addr_b64 v[187:190], v0 offset0:48 offset1:56
	s_waitcnt vmcnt(0)
	ds_load_2addr_b64 v[128:131], v1 offset0:192 offset1:224
	ds_load_2addr_b64 v[204:207], v0 offset1:8
	ds_load_2addr_b64 v[193:196], v0 offset0:32 offset1:40
	ds_load_2addr_b64 v[200:203], v0 offset0:16 offset1:24
	;; [unrolled: 1-line block ×4, first 2 shown]
	ds_load_2addr_b64 v[208:211], v1 offset1:32
	s_waitcnt lgkmcnt(6)
	v_pk_add_f16 v2, v189, v130
	s_waitcnt lgkmcnt(5)
	v_pk_add_f16 v0, v206, v130
	;; [unrolled: 2-line block ×3, first 2 shown]
	s_clause 0x1
	scratch_store_b32 off, v2, off offset:60
	scratch_store_b32 off, v0, off offset:108
	v_pk_add_f16 v2, v190, v131
	v_pk_add_f16 v0, v207, v131
	s_waitcnt lgkmcnt(1)
	v_pk_add_f16 v170, v200, v182
	s_waitcnt lgkmcnt(0)
	v_pk_add_f16 v225, v200, v210
	v_pk_add_f16 v227, v200, v208
	s_clause 0x1
	scratch_store_b32 off, v2, off
	scratch_store_b32 off, v0, off offset:24
	v_pk_add_f16 v2, v187, v130
	v_pk_add_f16 v0, v204, v130
	;; [unrolled: 1-line block ×5, first 2 shown]
	scratch_store_b32 off, v2, off offset:68 ; 4-byte Folded Spill
	v_pk_add_f16 v2, v188, v131
	scratch_store_b32 off, v0, off offset:116 ; 4-byte Folded Spill
	v_pk_add_f16 v0, v205, v131
	v_pk_add_f16 v165, v190, v211
	v_pk_add_f16 v197, v189, v208
	scratch_store_b32 off, v2, off offset:4 ; 4-byte Folded Spill
	v_pk_add_f16 v2, v195, v130
	scratch_store_b32 off, v0, off offset:28 ; 4-byte Folded Spill
	v_pk_add_f16 v0, v189, v128
	v_pk_add_f16 v175, v190, v209
	v_pk_add_f16 v21, v204, v160
	;; [unrolled: 6-line block ×10, first 2 shown]
	v_pk_add_f16 v168, v193, v182
	v_pk_add_f16 v171, v206, v182
	scratch_store_b32 off, v0, off offset:156 ; 4-byte Folded Spill
	v_pk_add_f16 v0, v203, v129
	v_pk_add_f16 v176, v195, v180
	v_pk_add_f16 v178, v193, v180
	v_pk_add_f16 v185, v206, v180
	v_pk_add_f16 v130, v207, v181
	scratch_store_b32 off, v0, off offset:48 ; 4-byte Folded Spill
	v_pk_add_f16 v0, v200, v128
	v_pk_add_f16 v221, v195, v210
	v_pk_add_f16 v222, v193, v210
	;; [unrolled: 6-line block ×3, first 2 shown]
	v_pk_add_f16 v230, v206, v208
	v_pk_min_f16 v20, v76, v20
	scratch_store_b32 off, v0, off offset:52 ; 4-byte Folded Spill
	v_pk_add_f16 v0, v206, v128
	v_pk_min_f16 v36, v36, v199
	v_pk_min_f16 v37, v37, v223
	;; [unrolled: 1-line block ×4, first 2 shown]
	scratch_store_b32 off, v0, off offset:172 ; 4-byte Folded Spill
	v_pk_add_f16 v0, v207, v129
	v_pk_min_f16 v34, v34, v230
	v_pk_min_f16 v37, v37, v184
	scratch_store_b32 off, v0, off offset:56 ; 4-byte Folded Spill
	v_pk_add_f16 v0, v204, v128
	scratch_store_b32 off, v0, off offset:180 ; 4-byte Folded Spill
	v_pk_add_f16 v0, v205, v129
	;; [unrolled: 2-line block ×17, first 2 shown]
	v_pk_add_f16 v162, v205, v181
	scratch_store_b32 off, v0, off offset:244 ; 4-byte Folded Spill
	v_pk_add_f16 v0, v205, v163
	v_pk_add_f16 v163, v189, v182
	;; [unrolled: 1-line block ×3, first 2 shown]
	scratch_store_b32 off, v0, off offset:128 ; 4-byte Folded Spill
	v_pk_add_f16 v0, v189, v160
	v_pk_add_f16 v189, v201, v211
	scratch_store_b32 off, v0, off offset:252 ; 4-byte Folded Spill
	v_pk_add_f16 v0, v190, v161
	scratch_store_b32 off, v0, off offset:136 ; 4-byte Folded Spill
	v_pk_add_f16 v0, v187, v160
	v_pk_add_f16 v187, v203, v209
	scratch_store_b32 off, v0, off offset:260 ; 4-byte Folded Spill
	v_pk_add_f16 v0, v188, v161
	v_pk_min_f16 v38, v38, v187
	scratch_store_b32 off, v0, off offset:144 ; 4-byte Folded Spill
	v_pk_add_f16 v0, v195, v160
	v_pk_add_f16 v195, v205, v211
	scratch_store_b32 off, v0, off offset:268 ; 4-byte Folded Spill
	v_pk_add_f16 v0, v196, v161
	scratch_store_b32 off, v0, off offset:152 ; 4-byte Folded Spill
	v_pk_add_f16 v0, v193, v160
	v_pk_add_f16 v193, v207, v209
	scratch_store_b32 off, v0, off offset:276 ; 4-byte Folded Spill
	v_pk_add_f16 v0, v194, v161
	v_pk_min_f16 v34, v34, v193
	scratch_store_b32 off, v0, off offset:160 ; 4-byte Folded Spill
	v_pk_add_f16 v0, v203, v161
	scratch_store_b32 off, v0, off offset:168 ; 4-byte Folded Spill
	v_pk_add_f16 v0, v200, v160
	;; [unrolled: 2-line block ×13, first 2 shown]
	v_pk_add_f16 v183, v200, v180
	v_pk_add_f16 v180, v196, v209
	scratch_store_b32 off, v0, off offset:256 ; 4-byte Folded Spill
	v_pk_add_f16 v0, v190, v181
	v_pk_add_f16 v190, v201, v209
	v_pk_min_f16 v36, v36, v180
	scratch_store_b32 off, v0, off offset:264 ; 4-byte Folded Spill
	v_pk_add_f16 v0, v188, v181
	v_pk_add_f16 v188, v203, v211
	v_pk_min_f16 v39, v39, v190
	scratch_store_b32 off, v0, off offset:272 ; 4-byte Folded Spill
	v_pk_add_f16 v0, v196, v181
	scratch_store_b32 off, v0, off offset:280 ; 4-byte Folded Spill
	v_pk_add_f16 v0, v194, v181
	v_pk_add_f16 v181, v196, v211
	;; [unrolled: 1-line block ×4, first 2 shown]
	scratch_store_b32 off, v0, off offset:284 ; 4-byte Folded Spill
	scratch_load_b64 v[0:1], off, off offset:324 ; 8-byte Folded Reload
	s_waitcnt vmcnt(0)
	v_add_co_u32 v200, vcc_lo, v18, v0
	v_add_co_ci_u32_e32 v201, vcc_lo, v19, v1, vcc_lo
	s_clause 0x3
	flat_load_u16 v202, v[200:201] offset:384
	flat_load_u16 v203, v[200:201] offset:256
	;; [unrolled: 1-line block ×3, first 2 shown]
	flat_load_u16 v200, v[200:201]
	flat_load_u16 v201, v[4:5]
	scratch_load_b32 v0, off, off offset:300 ; 4-byte Folded Reload
	v_mov_b32_e32 v1, v53
	s_waitcnt vmcnt(0) lgkmcnt(0)
	ds_store_b16 v0, v201
	scratch_load_b32 v0, off, off offset:292 ; 4-byte Folded Reload
	s_waitcnt vmcnt(0)
	ds_store_b16 v0, v200
	ds_store_b16 v0, v204 offset:512
	ds_store_b16 v0, v203 offset:1024
	;; [unrolled: 1-line block ×3, first 2 shown]
	s_waitcnt lgkmcnt(0)
	s_waitcnt_vscnt null, 0x0
	s_barrier
	buffer_gl0_inv
	s_clause 0x2
	scratch_load_b32 v15, off, off offset:296
	scratch_load_b32 v54, off, off offset:60
	;; [unrolled: 1-line block ×3, first 2 shown]
	s_waitcnt vmcnt(2)
	ds_load_2addr_b64 v[205:208], v15 offset1:32
	s_waitcnt vmcnt(1)
	v_pk_min_f16 v40, v40, v54
	scratch_load_b32 v54, off, off offset:68 ; 4-byte Folded Reload
	s_waitcnt vmcnt(1)
	ds_load_2addr_b64 v[201:204], v0 offset1:8
	ds_load_2addr_b64 v[209:212], v0 offset0:16 offset1:24
	ds_load_2addr_b64 v[213:216], v0 offset0:32 offset1:40
	;; [unrolled: 1-line block ×3, first 2 shown]
	v_mov_b32_e32 v0, v57
	s_delay_alu instid0(VALU_DEP_1)
	v_pk_max_f16 v0, v0, v0
	s_waitcnt lgkmcnt(3)
	v_pk_add_f16 v200, v201, v205
	v_pk_add_f16 v232, v203, v205
	s_waitcnt lgkmcnt(2)
	v_pk_add_f16 v233, v209, v205
	v_pk_add_f16 v234, v211, v205
	s_waitcnt lgkmcnt(1)
	v_pk_add_f16 v235, v213, v205
	v_pk_add_f16 v236, v215, v205
	s_waitcnt lgkmcnt(0)
	v_pk_add_f16 v237, v217, v205
	v_pk_add_f16 v238, v219, v205
	v_pk_add_f16 v239, v201, v207
	v_pk_add_f16 v240, v203, v207
	;; [unrolled: 1-line block ×24, first 2 shown]
	ds_load_2addr_b64 v[205:208], v15 offset0:64 offset1:96
	v_pk_min_f16 v34, v34, v232
	v_pk_min_f16 v39, v39, v233
	;; [unrolled: 1-line block ×10, first 2 shown]
	s_waitcnt lgkmcnt(0)
	v_pk_add_f16 v2, v201, v205
	v_pk_add_f16 v3, v203, v205
	;; [unrolled: 1-line block ×32, first 2 shown]
	ds_load_2addr_b64 v[205:208], v15 offset0:128 offset1:160
	s_waitcnt lgkmcnt(0)
	v_pk_add_f16 v116, v201, v205
	v_pk_add_f16 v117, v203, v205
	;; [unrolled: 1-line block ×32, first 2 shown]
	ds_load_2addr_b64 v[205:208], v15 offset0:192 offset1:224
	v_pk_max_f16 v15, v148, v148
	v_pk_max_f16 v148, v1, v1
	s_waitcnt lgkmcnt(0)
	v_pk_add_f16 v1, v217, v205
	v_pk_add_f16 v112, v201, v205
	;; [unrolled: 1-line block ×32, first 2 shown]
	s_waitcnt vmcnt(0)
	v_pk_min_f16 v41, v41, v54
	scratch_load_b32 v54, off, off offset:76 ; 4-byte Folded Reload
	s_waitcnt vmcnt(0)
	v_pk_min_f16 v22, v22, v54
	scratch_load_b32 v54, off, off offset:84 ; 4-byte Folded Reload
	;; [unrolled: 3-line block ×27, first 2 shown]
	s_waitcnt vmcnt(0)
	v_pk_min_f16 v76, v77, v54
	v_pk_min_f16 v77, v78, v131
	;; [unrolled: 1-line block ×3, first 2 shown]
	scratch_load_b32 v21, off, off          ; 4-byte Folded Reload
	v_pk_min_f16 v79, v80, v163
	v_pk_min_f16 v80, v81, v164
	;; [unrolled: 1-line block ×56, first 2 shown]
	s_delay_alu instid0(VALU_DEP_3) | instskip(NEXT) | instid1(VALU_DEP_3)
	v_pk_min_f16 v94, v3, v12
	v_pk_min_f16 v93, v6, v9
	s_delay_alu instid0(VALU_DEP_3)
	v_pk_min_f16 v92, v10, v31
	s_waitcnt vmcnt(0)
	v_pk_min_f16 v40, v40, v21
	scratch_load_b32 v21, off, off offset:4 ; 4-byte Folded Reload
	v_pk_min_f16 v40, v40, v207
	s_waitcnt vmcnt(0)
	v_pk_min_f16 v41, v41, v21
	scratch_load_b32 v21, off, off offset:8 ; 4-byte Folded Reload
	v_pk_min_f16 v41, v41, v217
	s_waitcnt vmcnt(0)
	v_pk_min_f16 v22, v22, v21
	scratch_load_b32 v21, off, off offset:12 ; 4-byte Folded Reload
	v_pk_min_f16 v22, v22, v215
	s_waitcnt vmcnt(0)
	v_pk_min_f16 v23, v23, v21
	scratch_load_b32 v21, off, off offset:16 ; 4-byte Folded Reload
	v_pk_min_f16 v23, v23, v213
	s_waitcnt vmcnt(0)
	v_pk_min_f16 v131, v142, v21
	scratch_load_b32 v21, off, off offset:20 ; 4-byte Folded Reload
	s_waitcnt vmcnt(0)
	v_pk_min_f16 v142, v143, v21
	scratch_load_b32 v21, off, off offset:24 ; 4-byte Folded Reload
	s_waitcnt vmcnt(0)
	v_pk_min_f16 v15, v15, v21
	scratch_load_b32 v21, off, off offset:28 ; 4-byte Folded Reload
	v_pk_min_f16 v15, v15, v203
	s_waitcnt vmcnt(0)
	v_pk_min_f16 v143, v154, v21
	scratch_load_b32 v21, off, off offset:32 ; 4-byte Folded Reload
	s_waitcnt vmcnt(0)
	v_pk_min_f16 v153, v153, v21
	scratch_load_b32 v21, off, off offset:36 ; 4-byte Folded Reload
	;; [unrolled: 3-line block ×3, first 2 shown]
	v_pk_min_f16 v1, v152, v1
	s_delay_alu instid0(VALU_DEP_1) | instskip(SKIP_4) | instid1(VALU_DEP_1)
	v_pk_min_f16 v152, v1, v219
	s_waitcnt vmcnt(0)
	v_pk_min_f16 v151, v151, v21
	scratch_load_b32 v21, off, off offset:44 ; 4-byte Folded Reload
	v_pk_min_f16 v46, v151, v46
	v_pk_min_f16 v151, v46, v43
	s_waitcnt vmcnt(0)
	v_pk_min_f16 v150, v150, v21
	scratch_load_b32 v21, off, off offset:48 ; 4-byte Folded Reload
	v_pk_min_f16 v45, v150, v45
	s_delay_alu instid0(VALU_DEP_1) | instskip(SKIP_4) | instid1(VALU_DEP_1)
	v_pk_min_f16 v150, v45, v42
	s_waitcnt vmcnt(0)
	v_pk_min_f16 v149, v149, v21
	scratch_load_b32 v21, off, off offset:52 ; 4-byte Folded Reload
	v_pk_min_f16 v109, v149, v109
	v_pk_min_f16 v149, v109, v107
	s_waitcnt vmcnt(0)
	v_pk_min_f16 v148, v148, v21
	scratch_load_b32 v21, off, off offset:56 ; 4-byte Folded Reload
	v_pk_min_f16 v108, v148, v108
	v_pk_min_f16 v148, v15, v204
	s_waitcnt vmcnt(0)
	v_pk_min_f16 v147, v147, v21
	scratch_load_b32 v21, off, off offset:64 ; 4-byte Folded Reload
	s_waitcnt vmcnt(0)
	v_pk_min_f16 v146, v146, v21
	scratch_load_b32 v21, off, off offset:72 ; 4-byte Folded Reload
	;; [unrolled: 3-line block ×3, first 2 shown]
	v_pk_min_f16 v11, v11, v66
	v_pk_min_f16 v66, v147, v113
	;; [unrolled: 1-line block ×4, first 2 shown]
	s_delay_alu instid0(VALU_DEP_4) | instskip(NEXT) | instid1(VALU_DEP_4)
	v_pk_min_f16 v11, v11, v115
	v_pk_min_f16 v54, v66, v111
	s_waitcnt vmcnt(0)
	v_pk_min_f16 v0, v0, v21
	scratch_load_b32 v21, off, off offset:88 ; 4-byte Folded Reload
	v_pk_min_f16 v0, v0, v32
	v_pk_min_f16 v32, v146, v112
	;; [unrolled: 1-line block ×3, first 2 shown]
	s_delay_alu instid0(VALU_DEP_2) | instskip(NEXT) | instid1(VALU_DEP_2)
	v_pk_min_f16 v55, v32, v110
	v_pk_min_f16 v153, v112, v206
	s_waitcnt vmcnt(0)
	v_pk_min_f16 v17, v17, v21
	scratch_load_b32 v21, off, off offset:96 ; 4-byte Folded Reload
	v_pk_min_f16 v17, v17, v127
	s_delay_alu instid0(VALU_DEP_1) | instskip(SKIP_4) | instid1(VALU_DEP_1)
	v_pk_min_f16 v17, v17, v13
	s_waitcnt vmcnt(0)
	v_pk_min_f16 v16, v16, v21
	scratch_load_b32 v21, off, off offset:104 ; 4-byte Folded Reload
	v_pk_min_f16 v16, v16, v126
	v_pk_min_f16 v16, v16, v141
	s_waitcnt vmcnt(0)
	v_pk_min_f16 v145, v145, v21
	scratch_load_b32 v21, off, off offset:112 ; 4-byte Folded Reload
	s_waitcnt vmcnt(0)
	v_pk_min_f16 v144, v144, v21
	scratch_load_b32 v21, off, off offset:120 ; 4-byte Folded Reload
	s_waitcnt vmcnt(0)
	v_pk_min_f16 v70, v70, v21
	scratch_load_b32 v21, off, off offset:128 ; 4-byte Folded Reload
	v_pk_min_f16 v65, v70, v65
	s_delay_alu instid0(VALU_DEP_1) | instskip(SKIP_4) | instid1(VALU_DEP_1)
	v_pk_min_f16 v70, v65, v139
	s_waitcnt vmcnt(0)
	v_pk_min_f16 v71, v71, v21
	scratch_load_b32 v21, off, off offset:136 ; 4-byte Folded Reload
	v_pk_min_f16 v71, v71, v123
	v_pk_min_f16 v71, v71, v138
	s_waitcnt vmcnt(0)
	v_pk_min_f16 v72, v72, v21
	scratch_load_b32 v21, off, off offset:144 ; 4-byte Folded Reload
	v_pk_min_f16 v72, v72, v122
	s_delay_alu instid0(VALU_DEP_1) | instskip(SKIP_4) | instid1(VALU_DEP_1)
	v_pk_min_f16 v72, v72, v137
	s_waitcnt vmcnt(0)
	v_pk_min_f16 v73, v73, v21
	scratch_load_b32 v21, off, off offset:152 ; 4-byte Folded Reload
	v_pk_min_f16 v73, v73, v121
	v_pk_min_f16 v73, v73, v136
	s_waitcnt vmcnt(0)
	v_pk_min_f16 v74, v74, v21
	scratch_load_b32 v21, off, off offset:160 ; 4-byte Folded Reload
	v_pk_min_f16 v74, v74, v120
	v_pk_min_f16 v120, v131, v211
	s_delay_alu instid0(VALU_DEP_2) | instskip(NEXT) | instid1(VALU_DEP_2)
	v_pk_min_f16 v74, v74, v68
	v_pk_min_f16 v146, v120, v212
	s_waitcnt vmcnt(0)
	v_pk_min_f16 v75, v75, v21
	scratch_load_b32 v21, off, off offset:168 ; 4-byte Folded Reload
	v_pk_min_f16 v64, v75, v64
	s_delay_alu instid0(VALU_DEP_1)
	v_pk_min_f16 v75, v64, v135
	s_waitcnt vmcnt(0)
	v_pk_min_f16 v154, v20, v21
	scratch_load_b32 v20, off, off offset:176 ; 4-byte Folded Reload
	s_waitcnt vmcnt(0)
	v_pk_min_f16 v76, v76, v20
	scratch_load_b32 v20, off, off offset:184 ; 4-byte Folded Reload
	v_pk_min_f16 v76, v76, v118
	v_pk_min_f16 v118, v145, v125
	;; [unrolled: 1-line block ×3, first 2 shown]
	s_delay_alu instid0(VALU_DEP_2)
	v_pk_min_f16 v60, v118, v140
	s_waitcnt vmcnt(0)
	v_pk_min_f16 v77, v77, v20
	scratch_load_b32 v20, off, off offset:188 ; 4-byte Folded Reload
	v_pk_min_f16 v77, v77, v117
	v_pk_min_f16 v117, v144, v124
	;; [unrolled: 1-line block ×3, first 2 shown]
	s_delay_alu instid0(VALU_DEP_2)
	v_pk_min_f16 v61, v117, v69
	s_waitcnt vmcnt(0)
	v_pk_min_f16 v78, v78, v20
	scratch_load_b32 v20, off, off offset:200 ; 4-byte Folded Reload
	v_pk_min_f16 v78, v78, v116
	v_pk_min_f16 v116, v154, v119
	;; [unrolled: 1-line block ×5, first 2 shown]
	s_delay_alu instid0(VALU_DEP_3)
	v_pk_min_f16 v147, v119, v210
	s_waitcnt vmcnt(0)
	v_pk_min_f16 v79, v79, v20
	scratch_load_b32 v20, off, off offset:208 ; 4-byte Folded Reload
	v_pk_min_f16 v29, v79, v29
	v_pk_min_f16 v79, v78, v67
	;; [unrolled: 1-line block ×5, first 2 shown]
	s_waitcnt vmcnt(0)
	v_pk_min_f16 v80, v80, v20
	scratch_load_b32 v20, off, off offset:216 ; 4-byte Folded Reload
	v_pk_min_f16 v53, v80, v53
	v_pk_min_f16 v80, v29, v63
	s_waitcnt vmcnt(0)
	v_pk_min_f16 v81, v81, v20
	scratch_load_b32 v20, off, off offset:224 ; 4-byte Folded Reload
	v_pk_min_f16 v28, v81, v28
	v_pk_min_f16 v81, v53, v62
	;; [unrolled: 1-line block ×3, first 2 shown]
	s_waitcnt vmcnt(0)
	v_pk_min_f16 v82, v82, v20
	scratch_load_b32 v20, off, off offset:232 ; 4-byte Folded Reload
	v_pk_min_f16 v52, v82, v52
	v_pk_min_f16 v82, v28, v7
	s_waitcnt vmcnt(0)
	v_pk_min_f16 v83, v83, v20
	scratch_load_b32 v20, off, off offset:240 ; 4-byte Folded Reload
	v_pk_min_f16 v27, v83, v27
	v_pk_min_f16 v83, v52, v97
	;; [unrolled: 5-line block ×8, first 2 shown]
	s_waitcnt vmcnt(0)
	v_pk_min_f16 v90, v90, v20
	scratch_load_b64 v[20:21], off, off offset:332 ; 8-byte Folded Reload
	v_pk_min_f16 v48, v90, v48
	v_pk_min_f16 v90, v49, v57
	;; [unrolled: 1-line block ×3, first 2 shown]
	s_delay_alu instid0(VALU_DEP_3)
	v_pk_min_f16 v91, v48, v56
	s_waitcnt vmcnt(0)
	v_add_co_u32 v20, vcc_lo, v18, v20
	v_add_co_ci_u32_e32 v21, vcc_lo, v19, v21, vcc_lo
	s_clause 0x3
	flat_load_u16 v130, v[20:21] offset:384
	flat_load_u16 v156, v[20:21] offset:256
	;; [unrolled: 1-line block ×3, first 2 shown]
	flat_load_u16 v20, v[20:21]
	flat_load_u16 v0, v[4:5] offset:8
	scratch_load_b32 v1, off, off offset:308 ; 4-byte Folded Reload
	v_pk_min_f16 v21, v106, v200
	v_add_co_u32 v18, vcc_lo, v18, s8
	v_add_co_ci_u32_e32 v19, vcc_lo, s9, v19, vcc_lo
	v_add_co_u32 v4, vcc_lo, v4, 16
	s_delay_alu instid0(VALU_DEP_4)
	v_pk_min_f16 v155, v21, v247
	v_pk_min_f16 v106, v105, v253
	;; [unrolled: 1-line block ×12, first 2 shown]
	v_add_co_ci_u32_e32 v5, vcc_lo, 0, v5, vcc_lo
	s_waitcnt vmcnt(0) lgkmcnt(0)
	ds_store_b16 v1, v0
	scratch_load_b32 v0, off, off offset:312 ; 4-byte Folded Reload
	s_waitcnt vmcnt(0)
	ds_store_b16 v0, v20
	ds_store_b16 v0, v157 offset:512
	ds_store_b16 v0, v156 offset:1024
	ds_store_b16 v0, v130 offset:1536
	s_waitcnt lgkmcnt(0)
	s_barrier
	buffer_gl0_inv
	s_cbranch_scc0 .LBB277_11
; %bb.12:
	s_clause 0x3
	scratch_load_b32 v161, off, off offset:296
	scratch_load_b32 v162, off, off offset:340
	;; [unrolled: 1-line block ×4, first 2 shown]
	s_branch .LBB277_14
.LBB277_13:
	v_dual_mov_b32 v17, v22 :: v_dual_mov_b32 v16, v29
.LBB277_14:
	s_load_b32 s8, s[0:1], 0x50
	s_waitcnt vmcnt(1)
	v_add_nc_u32_e32 v44, s14, v163
	s_waitcnt vmcnt(0)
	ds_load_b64 v[26:27], v164 offset:4608
	ds_load_b64 v[46:47], v161 offset:2048
	v_add_nc_u32_e32 v50, s3, v162
	v_cmp_neq_f16_e64 s9, s18, 0
	v_dual_mov_b32 v59, v16 :: v_dual_mov_b32 v58, v17
	v_dual_mov_b32 v56, v11 :: v_dual_mov_b32 v33, 0
	s_delay_alu instid0(VALU_DEP_4) | instskip(SKIP_2) | instid1(VALU_DEP_2)
	v_ashrrev_i32_e32 v51, 31, v50
	v_mov_b32_e32 v30, 0
	s_and_b32 vcc_lo, exec_lo, s9
	v_lshlrev_b64 v[28:29], 1, v[50:51]
	s_waitcnt lgkmcnt(0)
	v_mad_i64_i32 v[0:1], null, v44, s8, 0
	s_delay_alu instid0(VALU_DEP_1) | instskip(NEXT) | instid1(VALU_DEP_1)
	v_lshlrev_b64 v[0:1], 1, v[0:1]
	v_add_co_u32 v107, s3, s4, v0
	s_delay_alu instid0(VALU_DEP_1)
	v_add_co_ci_u32_e64 v108, s3, s5, v1, s3
	s_cbranch_vccz .LBB277_16
; %bb.15:
	s_delay_alu instid0(VALU_DEP_2) | instskip(NEXT) | instid1(VALU_DEP_2)
	v_add_co_u32 v0, vcc_lo, v107, v28
	v_add_co_ci_u32_e32 v1, vcc_lo, v108, v29, vcc_lo
	flat_load_u16 v0, v[0:1]
	s_waitcnt vmcnt(0) lgkmcnt(0)
	v_mul_f16_e32 v30, s18, v0
.LBB277_16:
	s_clause 0x1
	s_load_b32 s3, s[0:1], 0x68
	s_load_b64 s[0:1], s[0:1], 0x70
	v_add_nc_u32_e32 v0, 0x1000, v164
	v_pk_add_f16 v13, v26, v46
	v_pk_max_f16 v14, v155, v155
	v_add_nc_u32_e32 v12, 0x800, v161
	ds_load_b64 v[48:49], v164 offset:5056
	ds_load_b64 v[24:25], v161 offset:3840
	ds_load_2addr_b64 v[8:11], v0 offset0:72 offset1:80
	ds_load_2addr_b64 v[4:7], v0 offset0:88 offset1:96
	;; [unrolled: 1-line block ×5, first 2 shown]
	v_pk_add_f16 v31, v27, v47
	v_pk_min_f16 v35, v14, v13
	ds_load_2addr_b64 v[12:15], v12 offset0:160 offset1:192
	v_add_nc_u32_e32 v40, 8, v50
	v_cndmask_b32_e64 v32, 0, 1, s9
	v_pk_min_f16 v31, v35, v31
	s_delay_alu instid0(VALU_DEP_3) | instskip(NEXT) | instid1(VALU_DEP_2)
	v_ashrrev_i32_e32 v41, 31, v40
	v_lshrrev_b32_e32 v35, 16, v31
	s_waitcnt lgkmcnt(0)
	v_mad_i64_i32 v[42:43], null, v44, s3, 0
	s_mul_i32 s1, s15, s1
	s_mul_hi_u32 s10, s15, s0
	s_mul_i32 s11, s19, s0
	s_add_i32 s1, s10, s1
	s_mul_i32 s0, s15, s0
	s_add_i32 s1, s1, s11
	s_delay_alu instid0(VALU_DEP_1)
	v_lshlrev_b64 v[42:43], 1, v[42:43]
	s_lshl_b64 s[10:11], s[0:1], 1
	v_min3_f16 v35, v30, v31, v35
	s_add_u32 s1, s6, s10
	s_addc_u32 s6, s7, s11
	v_lshlrev_b64 v[30:31], 1, v[40:41]
	v_add_co_u32 v109, vcc_lo, s1, v42
	v_add_co_ci_u32_e32 v110, vcc_lo, s6, v43, vcc_lo
	v_cmp_ne_u32_e64 s0, 1, v32
	s_delay_alu instid0(VALU_DEP_3) | instskip(NEXT) | instid1(VALU_DEP_3)
	v_add_co_u32 v42, vcc_lo, v109, v28
	v_add_co_ci_u32_e32 v43, vcc_lo, v110, v29, vcc_lo
	s_and_not1_b32 vcc_lo, exec_lo, s9
	global_store_b16 v[42:43], v35, off
	s_cbranch_vccnz .LBB277_18
; %bb.17:
	v_add_co_u32 v40, vcc_lo, v107, v30
	v_add_co_ci_u32_e32 v41, vcc_lo, v108, v31, vcc_lo
	flat_load_u16 v32, v[40:41]
	s_waitcnt vmcnt(0) lgkmcnt(0)
	v_mul_f16_e32 v33, s18, v32
.LBB277_18:
	v_pk_add_f16 v32, v8, v46
	v_pk_max_f16 v34, v34, v34
	v_pk_add_f16 v35, v9, v47
	v_add_nc_u32_e32 v40, 16, v50
	v_add_co_u32 v111, vcc_lo, v109, v30
	s_delay_alu instid0(VALU_DEP_4) | instskip(SKIP_1) | instid1(VALU_DEP_4)
	v_pk_min_f16 v32, v34, v32
	v_add_co_ci_u32_e32 v112, vcc_lo, v110, v31, vcc_lo
	v_ashrrev_i32_e32 v41, 31, v40
	v_mov_b32_e32 v42, 0
	s_delay_alu instid0(VALU_DEP_4) | instskip(SKIP_1) | instid1(VALU_DEP_3)
	v_pk_min_f16 v32, v32, v35
	s_and_b32 vcc_lo, exec_lo, s0
	v_lshlrev_b64 v[51:52], 1, v[40:41]
	v_mov_b32_e32 v40, 0
	s_delay_alu instid0(VALU_DEP_3) | instskip(NEXT) | instid1(VALU_DEP_1)
	v_lshrrev_b32_e32 v34, 16, v32
	v_min3_f16 v32, v33, v32, v34
	global_store_b16 v[111:112], v32, off
	s_cbranch_vccnz .LBB277_20
; %bb.19:
	v_add_co_u32 v40, vcc_lo, v107, v51
	v_add_co_ci_u32_e32 v41, vcc_lo, v108, v52, vcc_lo
	flat_load_u16 v32, v[40:41]
	s_waitcnt vmcnt(0) lgkmcnt(0)
	v_mul_f16_e32 v40, s18, v32
.LBB277_20:
	v_pk_add_f16 v32, v10, v46
	v_pk_max_f16 v33, v39, v39
	v_pk_add_f16 v34, v11, v47
	v_add_nc_u32_e32 v111, 24, v50
	v_add_co_u32 v113, vcc_lo, v109, v51
	s_delay_alu instid0(VALU_DEP_4) | instskip(SKIP_1) | instid1(VALU_DEP_4)
	v_pk_min_f16 v32, v33, v32
	v_add_co_ci_u32_e32 v114, vcc_lo, v110, v52, vcc_lo
	v_ashrrev_i32_e32 v112, 31, v111
	s_and_b32 vcc_lo, exec_lo, s0
	s_delay_alu instid0(VALU_DEP_3) | instskip(NEXT) | instid1(VALU_DEP_1)
	v_pk_min_f16 v32, v32, v34
	v_lshrrev_b32_e32 v33, 16, v32
	s_delay_alu instid0(VALU_DEP_1)
	v_min3_f16 v32, v40, v32, v33
	v_lshlrev_b64 v[40:41], 1, v[111:112]
	global_store_b16 v[113:114], v32, off
	s_cbranch_vccnz .LBB277_22
; %bb.21:
	v_add_co_u32 v42, vcc_lo, v107, v40
	v_add_co_ci_u32_e32 v43, vcc_lo, v108, v41, vcc_lo
	flat_load_u16 v32, v[42:43]
	s_waitcnt vmcnt(0) lgkmcnt(0)
	v_mul_f16_e32 v42, s18, v32
.LBB277_22:
	v_pk_add_f16 v32, v4, v46
	v_pk_max_f16 v33, v38, v38
	v_pk_add_f16 v34, v5, v47
	v_dual_mov_b32 v45, 0 :: v_dual_add_nc_u32 v38, 32, v50
	v_add_co_u32 v111, vcc_lo, v109, v40
	s_delay_alu instid0(VALU_DEP_4) | instskip(NEXT) | instid1(VALU_DEP_3)
	v_pk_min_f16 v32, v33, v32
	v_ashrrev_i32_e32 v39, 31, v38
	v_add_co_ci_u32_e32 v112, vcc_lo, v110, v41, vcc_lo
	s_and_b32 vcc_lo, exec_lo, s0
	s_delay_alu instid0(VALU_DEP_3) | instskip(NEXT) | instid1(VALU_DEP_1)
	v_pk_min_f16 v32, v32, v34
	v_lshrrev_b32_e32 v33, 16, v32
	s_delay_alu instid0(VALU_DEP_1)
	v_min3_f16 v32, v42, v32, v33
	v_lshlrev_b64 v[42:43], 1, v[38:39]
	v_mov_b32_e32 v38, 0
	global_store_b16 v[111:112], v32, off
	s_cbranch_vccnz .LBB277_24
; %bb.23:
	v_add_co_u32 v38, vcc_lo, v107, v42
	v_add_co_ci_u32_e32 v39, vcc_lo, v108, v43, vcc_lo
	flat_load_u16 v32, v[38:39]
	s_waitcnt vmcnt(0) lgkmcnt(0)
	v_mul_f16_e32 v38, s18, v32
.LBB277_24:
	v_pk_add_f16 v32, v6, v46
	v_pk_max_f16 v33, v37, v37
	v_pk_add_f16 v34, v7, v47
	v_add_nc_u32_e32 v111, 40, v50
	v_add_co_u32 v113, vcc_lo, v109, v42
	s_delay_alu instid0(VALU_DEP_4) | instskip(SKIP_1) | instid1(VALU_DEP_4)
	v_pk_min_f16 v32, v33, v32
	v_add_co_ci_u32_e32 v114, vcc_lo, v110, v43, vcc_lo
	v_ashrrev_i32_e32 v112, 31, v111
	s_and_b32 vcc_lo, exec_lo, s0
	s_delay_alu instid0(VALU_DEP_3) | instskip(NEXT) | instid1(VALU_DEP_1)
	v_pk_min_f16 v32, v32, v34
	v_lshrrev_b32_e32 v33, 16, v32
	s_delay_alu instid0(VALU_DEP_1)
	v_min3_f16 v32, v38, v32, v33
	v_lshlrev_b64 v[38:39], 1, v[111:112]
	global_store_b16 v[113:114], v32, off
	s_cbranch_vccnz .LBB277_26
; %bb.25:
	v_add_co_u32 v111, vcc_lo, v107, v38
	v_add_co_ci_u32_e32 v112, vcc_lo, v108, v39, vcc_lo
	flat_load_u16 v32, v[111:112]
	s_waitcnt vmcnt(0) lgkmcnt(0)
	v_mul_f16_e32 v45, s18, v32
.LBB277_26:
	v_pk_add_f16 v32, v0, v46
	v_pk_max_f16 v33, v36, v36
	v_pk_add_f16 v34, v1, v47
	v_dual_mov_b32 v111, 0 :: v_dual_add_nc_u32 v36, 48, v50
	v_add_co_u32 v112, vcc_lo, v109, v38
	s_delay_alu instid0(VALU_DEP_4) | instskip(NEXT) | instid1(VALU_DEP_3)
	v_pk_min_f16 v32, v33, v32
	v_ashrrev_i32_e32 v37, 31, v36
	v_add_co_ci_u32_e32 v113, vcc_lo, v110, v39, vcc_lo
	s_and_b32 vcc_lo, exec_lo, s0
	s_delay_alu instid0(VALU_DEP_3) | instskip(NEXT) | instid1(VALU_DEP_3)
	v_pk_min_f16 v32, v32, v34
	v_lshlrev_b64 v[36:37], 1, v[36:37]
	s_delay_alu instid0(VALU_DEP_2) | instskip(NEXT) | instid1(VALU_DEP_1)
	v_lshrrev_b32_e32 v33, 16, v32
	v_min3_f16 v32, v45, v32, v33
	v_mov_b32_e32 v45, 0
	global_store_b16 v[112:113], v32, off
	s_cbranch_vccnz .LBB277_28
; %bb.27:
	v_add_co_u32 v112, vcc_lo, v107, v36
	v_add_co_ci_u32_e32 v113, vcc_lo, v108, v37, vcc_lo
	flat_load_u16 v32, v[112:113]
	s_waitcnt vmcnt(0) lgkmcnt(0)
	v_mul_f16_e32 v45, s18, v32
.LBB277_28:
	v_pk_add_f16 v32, v2, v46
	v_pk_max_f16 v33, v106, v106
	v_pk_add_f16 v34, v3, v47
	v_add_nc_u32_e32 v112, 56, v50
	v_add_co_u32 v114, vcc_lo, v109, v36
	s_delay_alu instid0(VALU_DEP_4) | instskip(SKIP_1) | instid1(VALU_DEP_4)
	v_pk_min_f16 v32, v33, v32
	v_add_co_ci_u32_e32 v115, vcc_lo, v110, v37, vcc_lo
	v_ashrrev_i32_e32 v113, 31, v112
	s_and_b32 vcc_lo, exec_lo, s0
	s_delay_alu instid0(VALU_DEP_3) | instskip(NEXT) | instid1(VALU_DEP_2)
	v_pk_min_f16 v32, v32, v34
	v_lshlrev_b64 v[34:35], 1, v[112:113]
	s_delay_alu instid0(VALU_DEP_2) | instskip(NEXT) | instid1(VALU_DEP_1)
	v_lshrrev_b32_e32 v33, 16, v32
	v_min3_f16 v32, v45, v32, v33
	global_store_b16 v[114:115], v32, off
	s_cbranch_vccnz .LBB277_30
; %bb.29:
	v_add_co_u32 v106, vcc_lo, v107, v34
	v_add_co_ci_u32_e32 v107, vcc_lo, v108, v35, vcc_lo
	flat_load_u16 v32, v[106:107]
	s_waitcnt vmcnt(0) lgkmcnt(0)
	v_mul_f16_e32 v111, s18, v32
.LBB277_30:
	v_add_nc_u32_e32 v107, 32, v44
	v_pk_add_f16 v32, v48, v46
	v_pk_max_f16 v33, v105, v105
	v_pk_add_f16 v45, v49, v47
	v_add_co_u32 v109, vcc_lo, v109, v34
	v_mad_i64_i32 v[105:106], null, v107, s8, 0
	s_delay_alu instid0(VALU_DEP_4) | instskip(SKIP_2) | instid1(VALU_DEP_3)
	v_pk_min_f16 v32, v33, v32
	v_add_co_ci_u32_e32 v110, vcc_lo, v110, v35, vcc_lo
	v_mov_b32_e32 v108, 0
	v_pk_min_f16 v32, v32, v45
	v_lshlrev_b64 v[46:47], 1, v[105:106]
	v_mov_b32_e32 v106, 0
	s_delay_alu instid0(VALU_DEP_3) | instskip(NEXT) | instid1(VALU_DEP_3)
	v_lshrrev_b32_e32 v33, 16, v32
	v_add_co_u32 v46, vcc_lo, s4, v46
	s_delay_alu instid0(VALU_DEP_4) | instskip(NEXT) | instid1(VALU_DEP_3)
	v_add_co_ci_u32_e32 v47, vcc_lo, s5, v47, vcc_lo
	v_min3_f16 v32, v111, v32, v33
	s_and_b32 vcc_lo, exec_lo, s0
	global_store_b16 v[109:110], v32, off
	s_cbranch_vccnz .LBB277_32
; %bb.31:
	v_add_co_u32 v108, vcc_lo, v46, v28
	v_add_co_ci_u32_e32 v109, vcc_lo, v47, v29, vcc_lo
	flat_load_u16 v32, v[108:109]
	s_waitcnt vmcnt(0) lgkmcnt(0)
	v_mul_f16_e32 v108, s18, v32
.LBB277_32:
	v_pk_max_f16 v33, v104, v104
	v_mad_i64_i32 v[104:105], null, v107, s3, 0
	v_pk_add_f16 v32, v26, v20
	v_pk_add_f16 v45, v27, v21
	s_delay_alu instid0(VALU_DEP_2) | instskip(NEXT) | instid1(VALU_DEP_4)
	v_pk_min_f16 v32, v33, v32
	v_lshlrev_b64 v[104:105], 1, v[104:105]
	s_delay_alu instid0(VALU_DEP_2) | instskip(NEXT) | instid1(VALU_DEP_2)
	v_pk_min_f16 v32, v32, v45
	v_add_co_u32 v104, vcc_lo, s1, v104
	s_delay_alu instid0(VALU_DEP_3) | instskip(NEXT) | instid1(VALU_DEP_3)
	v_add_co_ci_u32_e32 v105, vcc_lo, s6, v105, vcc_lo
	v_lshrrev_b32_e32 v33, 16, v32
	s_delay_alu instid0(VALU_DEP_3) | instskip(NEXT) | instid1(VALU_DEP_2)
	v_add_co_u32 v107, vcc_lo, v104, v28
	v_min3_f16 v32, v108, v32, v33
	s_delay_alu instid0(VALU_DEP_4)
	v_add_co_ci_u32_e32 v108, vcc_lo, v105, v29, vcc_lo
	s_and_b32 vcc_lo, exec_lo, s0
	global_store_b16 v[107:108], v32, off
	s_cbranch_vccnz .LBB277_34
; %bb.33:
	v_add_co_u32 v106, vcc_lo, v46, v30
	v_add_co_ci_u32_e32 v107, vcc_lo, v47, v31, vcc_lo
	flat_load_u16 v32, v[106:107]
	s_waitcnt vmcnt(0) lgkmcnt(0)
	v_mul_f16_e32 v106, s18, v32
.LBB277_34:
	v_pk_add_f16 v32, v8, v20
	v_pk_max_f16 v33, v103, v103
	v_pk_add_f16 v45, v9, v21
	v_add_co_u32 v107, vcc_lo, v104, v30
	v_add_co_ci_u32_e32 v108, vcc_lo, v105, v31, vcc_lo
	s_delay_alu instid0(VALU_DEP_4) | instskip(SKIP_2) | instid1(VALU_DEP_2)
	v_pk_min_f16 v32, v33, v32
	v_mov_b32_e32 v103, 0
	s_and_b32 vcc_lo, exec_lo, s0
	v_pk_min_f16 v32, v32, v45
	s_delay_alu instid0(VALU_DEP_1) | instskip(NEXT) | instid1(VALU_DEP_1)
	v_lshrrev_b32_e32 v33, 16, v32
	v_min3_f16 v32, v106, v32, v33
	v_mov_b32_e32 v106, 0
	global_store_b16 v[107:108], v32, off
	s_cbranch_vccnz .LBB277_36
; %bb.35:
	v_add_co_u32 v106, vcc_lo, v46, v51
	v_add_co_ci_u32_e32 v107, vcc_lo, v47, v52, vcc_lo
	flat_load_u16 v32, v[106:107]
	s_waitcnt vmcnt(0) lgkmcnt(0)
	v_mul_f16_e32 v106, s18, v32
.LBB277_36:
	v_pk_add_f16 v32, v10, v20
	v_pk_max_f16 v33, v102, v102
	v_pk_add_f16 v45, v11, v21
	s_delay_alu instid0(VALU_DEP_2) | instskip(NEXT) | instid1(VALU_DEP_1)
	v_pk_min_f16 v32, v33, v32
	v_pk_min_f16 v32, v32, v45
	s_delay_alu instid0(VALU_DEP_1) | instskip(NEXT) | instid1(VALU_DEP_1)
	v_lshrrev_b32_e32 v33, 16, v32
	v_min3_f16 v32, v106, v32, v33
	v_add_co_u32 v106, vcc_lo, v104, v51
	v_add_co_ci_u32_e32 v107, vcc_lo, v105, v52, vcc_lo
	s_and_b32 vcc_lo, exec_lo, s0
	global_store_b16 v[106:107], v32, off
	s_cbranch_vccnz .LBB277_38
; %bb.37:
	v_add_co_u32 v102, vcc_lo, v46, v40
	v_add_co_ci_u32_e32 v103, vcc_lo, v47, v41, vcc_lo
	flat_load_u16 v32, v[102:103]
	s_waitcnt vmcnt(0) lgkmcnt(0)
	v_mul_f16_e32 v103, s18, v32
.LBB277_38:
	v_pk_add_f16 v32, v4, v20
	v_pk_max_f16 v33, v101, v101
	v_pk_add_f16 v45, v5, v21
	v_add_co_u32 v106, vcc_lo, v104, v40
	v_add_co_ci_u32_e32 v107, vcc_lo, v105, v41, vcc_lo
	s_delay_alu instid0(VALU_DEP_4) | instskip(SKIP_2) | instid1(VALU_DEP_2)
	v_pk_min_f16 v32, v33, v32
	v_dual_mov_b32 v101, 0 :: v_dual_mov_b32 v102, 0
	s_and_b32 vcc_lo, exec_lo, s0
	v_pk_min_f16 v32, v32, v45
	s_delay_alu instid0(VALU_DEP_1) | instskip(NEXT) | instid1(VALU_DEP_1)
	v_lshrrev_b32_e32 v33, 16, v32
	v_min3_f16 v32, v103, v32, v33
	global_store_b16 v[106:107], v32, off
	s_cbranch_vccnz .LBB277_40
; %bb.39:
	v_add_co_u32 v102, vcc_lo, v46, v42
	v_add_co_ci_u32_e32 v103, vcc_lo, v47, v43, vcc_lo
	flat_load_u16 v32, v[102:103]
	s_waitcnt vmcnt(0) lgkmcnt(0)
	v_mul_f16_e32 v102, s18, v32
.LBB277_40:
	v_pk_add_f16 v32, v6, v20
	v_pk_max_f16 v33, v100, v100
	v_pk_add_f16 v45, v7, v21
	s_delay_alu instid0(VALU_DEP_2) | instskip(NEXT) | instid1(VALU_DEP_1)
	v_pk_min_f16 v32, v33, v32
	v_pk_min_f16 v32, v32, v45
	s_delay_alu instid0(VALU_DEP_1) | instskip(NEXT) | instid1(VALU_DEP_1)
	v_lshrrev_b32_e32 v33, 16, v32
	v_min3_f16 v32, v102, v32, v33
	v_add_co_u32 v102, vcc_lo, v104, v42
	v_add_co_ci_u32_e32 v103, vcc_lo, v105, v43, vcc_lo
	s_and_b32 vcc_lo, exec_lo, s0
	global_store_b16 v[102:103], v32, off
	s_cbranch_vccnz .LBB277_42
; %bb.41:
	v_add_co_u32 v100, vcc_lo, v46, v38
	v_add_co_ci_u32_e32 v101, vcc_lo, v47, v39, vcc_lo
	flat_load_u16 v32, v[100:101]
	s_waitcnt vmcnt(0) lgkmcnt(0)
	v_mul_f16_e32 v101, s18, v32
.LBB277_42:
	v_pk_add_f16 v32, v0, v20
	v_pk_max_f16 v33, v99, v99
	v_pk_add_f16 v45, v1, v21
	v_add_co_u32 v102, vcc_lo, v104, v38
	v_add_co_ci_u32_e32 v103, vcc_lo, v105, v39, vcc_lo
	s_delay_alu instid0(VALU_DEP_4) | instskip(SKIP_2) | instid1(VALU_DEP_2)
	v_pk_min_f16 v32, v33, v32
	v_dual_mov_b32 v99, 0 :: v_dual_mov_b32 v100, 0
	s_and_b32 vcc_lo, exec_lo, s0
	v_pk_min_f16 v32, v32, v45
	s_delay_alu instid0(VALU_DEP_1) | instskip(NEXT) | instid1(VALU_DEP_1)
	v_lshrrev_b32_e32 v33, 16, v32
	v_min3_f16 v32, v101, v32, v33
	global_store_b16 v[102:103], v32, off
	s_cbranch_vccnz .LBB277_44
; %bb.43:
	v_add_co_u32 v100, vcc_lo, v46, v36
	v_add_co_ci_u32_e32 v101, vcc_lo, v47, v37, vcc_lo
	flat_load_u16 v32, v[100:101]
	s_waitcnt vmcnt(0) lgkmcnt(0)
	v_mul_f16_e32 v100, s18, v32
.LBB277_44:
	v_pk_add_f16 v32, v2, v20
	v_pk_max_f16 v33, v98, v98
	v_pk_add_f16 v45, v3, v21
	s_delay_alu instid0(VALU_DEP_2) | instskip(NEXT) | instid1(VALU_DEP_1)
	v_pk_min_f16 v32, v33, v32
	v_pk_min_f16 v32, v32, v45
	s_delay_alu instid0(VALU_DEP_1) | instskip(NEXT) | instid1(VALU_DEP_1)
	v_lshrrev_b32_e32 v33, 16, v32
	v_min3_f16 v32, v100, v32, v33
	v_add_co_u32 v100, vcc_lo, v104, v36
	v_add_co_ci_u32_e32 v101, vcc_lo, v105, v37, vcc_lo
	s_and_b32 vcc_lo, exec_lo, s0
	global_store_b16 v[100:101], v32, off
	s_cbranch_vccnz .LBB277_46
; %bb.45:
	v_add_co_u32 v46, vcc_lo, v46, v34
	v_add_co_ci_u32_e32 v47, vcc_lo, v47, v35, vcc_lo
	flat_load_u16 v32, v[46:47]
	s_waitcnt vmcnt(0) lgkmcnt(0)
	v_mul_f16_e32 v99, s18, v32
.LBB277_46:
	v_add_nc_u32_e32 v46, 64, v44
	v_pk_add_f16 v20, v48, v20
	v_pk_max_f16 v32, v96, v96
	v_pk_add_f16 v21, v49, v21
	v_mov_b32_e32 v96, 0
	v_mad_i64_i32 v[100:101], null, v46, s8, 0
	s_delay_alu instid0(VALU_DEP_4) | instskip(SKIP_1) | instid1(VALU_DEP_2)
	v_pk_min_f16 v20, v32, v20
	v_mov_b32_e32 v98, 0
	v_pk_min_f16 v32, v20, v21
	s_delay_alu instid0(VALU_DEP_4) | instskip(SKIP_2) | instid1(VALU_DEP_4)
	v_lshlrev_b64 v[20:21], 1, v[100:101]
	v_add_co_u32 v100, vcc_lo, v104, v34
	v_add_co_ci_u32_e32 v101, vcc_lo, v105, v35, vcc_lo
	v_lshrrev_b32_e32 v33, 16, v32
	s_delay_alu instid0(VALU_DEP_4) | instskip(SKIP_1) | instid1(VALU_DEP_3)
	v_add_co_u32 v20, vcc_lo, s4, v20
	v_add_co_ci_u32_e32 v21, vcc_lo, s5, v21, vcc_lo
	v_min3_f16 v32, v99, v32, v33
	s_and_b32 vcc_lo, exec_lo, s0
	global_store_b16 v[100:101], v32, off
	s_cbranch_vccnz .LBB277_48
; %bb.47:
	v_add_co_u32 v98, vcc_lo, v20, v28
	v_add_co_ci_u32_e32 v99, vcc_lo, v21, v29, vcc_lo
	flat_load_u16 v32, v[98:99]
	s_waitcnt vmcnt(0) lgkmcnt(0)
	v_mul_f16_e32 v98, s18, v32
.LBB277_48:
	v_pk_add_f16 v32, v26, v22
	v_pk_max_f16 v33, v95, v95
	v_mad_i64_i32 v[99:100], null, v46, s3, 0
	v_pk_add_f16 v45, v27, v23
	s_delay_alu instid0(VALU_DEP_3) | instskip(NEXT) | instid1(VALU_DEP_3)
	v_pk_min_f16 v32, v33, v32
	v_lshlrev_b64 v[46:47], 1, v[99:100]
	s_delay_alu instid0(VALU_DEP_2) | instskip(NEXT) | instid1(VALU_DEP_2)
	v_pk_min_f16 v32, v32, v45
	v_add_co_u32 v46, vcc_lo, s1, v46
	s_delay_alu instid0(VALU_DEP_2) | instskip(NEXT) | instid1(VALU_DEP_4)
	v_lshrrev_b32_e32 v33, 16, v32
	v_add_co_ci_u32_e32 v47, vcc_lo, s6, v47, vcc_lo
	s_delay_alu instid0(VALU_DEP_2) | instskip(NEXT) | instid1(VALU_DEP_4)
	v_min3_f16 v32, v98, v32, v33
	v_add_co_u32 v98, vcc_lo, v46, v28
	s_delay_alu instid0(VALU_DEP_3)
	v_add_co_ci_u32_e32 v99, vcc_lo, v47, v29, vcc_lo
	s_and_b32 vcc_lo, exec_lo, s0
	global_store_b16 v[98:99], v32, off
	s_cbranch_vccnz .LBB277_50
; %bb.49:
	v_add_co_u32 v95, vcc_lo, v20, v30
	v_add_co_ci_u32_e32 v96, vcc_lo, v21, v31, vcc_lo
	flat_load_u16 v32, v[95:96]
	s_waitcnt vmcnt(0) lgkmcnt(0)
	v_mul_f16_e32 v96, s18, v32
.LBB277_50:
	v_pk_add_f16 v32, v8, v22
	v_pk_max_f16 v33, v94, v94
	v_pk_add_f16 v45, v9, v23
	v_add_co_u32 v98, vcc_lo, v46, v30
	v_add_co_ci_u32_e32 v99, vcc_lo, v47, v31, vcc_lo
	s_delay_alu instid0(VALU_DEP_4) | instskip(SKIP_2) | instid1(VALU_DEP_2)
	v_pk_min_f16 v32, v33, v32
	v_dual_mov_b32 v94, 0 :: v_dual_mov_b32 v95, 0
	s_and_b32 vcc_lo, exec_lo, s0
	v_pk_min_f16 v32, v32, v45
	s_delay_alu instid0(VALU_DEP_1) | instskip(NEXT) | instid1(VALU_DEP_1)
	v_lshrrev_b32_e32 v33, 16, v32
	v_min3_f16 v32, v96, v32, v33
	global_store_b16 v[98:99], v32, off
	s_cbranch_vccnz .LBB277_52
; %bb.51:
	v_add_co_u32 v95, vcc_lo, v20, v51
	v_add_co_ci_u32_e32 v96, vcc_lo, v21, v52, vcc_lo
	flat_load_u16 v32, v[95:96]
	s_waitcnt vmcnt(0) lgkmcnt(0)
	v_mul_f16_e32 v95, s18, v32
.LBB277_52:
	v_pk_add_f16 v32, v10, v22
	v_pk_max_f16 v33, v93, v93
	v_pk_add_f16 v45, v11, v23
	s_delay_alu instid0(VALU_DEP_2) | instskip(NEXT) | instid1(VALU_DEP_1)
	v_pk_min_f16 v32, v33, v32
	v_pk_min_f16 v32, v32, v45
	s_delay_alu instid0(VALU_DEP_1) | instskip(NEXT) | instid1(VALU_DEP_1)
	v_lshrrev_b32_e32 v33, 16, v32
	v_min3_f16 v32, v95, v32, v33
	v_add_co_u32 v95, vcc_lo, v46, v51
	v_add_co_ci_u32_e32 v96, vcc_lo, v47, v52, vcc_lo
	s_and_b32 vcc_lo, exec_lo, s0
	global_store_b16 v[95:96], v32, off
	s_cbranch_vccnz .LBB277_54
; %bb.53:
	v_add_co_u32 v93, vcc_lo, v20, v40
	v_add_co_ci_u32_e32 v94, vcc_lo, v21, v41, vcc_lo
	flat_load_u16 v32, v[93:94]
	s_waitcnt vmcnt(0) lgkmcnt(0)
	v_mul_f16_e32 v94, s18, v32
.LBB277_54:
	v_pk_add_f16 v32, v4, v22
	v_pk_max_f16 v33, v92, v92
	v_pk_add_f16 v45, v5, v23
	v_add_co_u32 v95, vcc_lo, v46, v40
	v_add_co_ci_u32_e32 v96, vcc_lo, v47, v41, vcc_lo
	s_delay_alu instid0(VALU_DEP_4) | instskip(SKIP_2) | instid1(VALU_DEP_2)
	v_pk_min_f16 v32, v33, v32
	v_dual_mov_b32 v92, 0 :: v_dual_mov_b32 v93, 0
	s_and_b32 vcc_lo, exec_lo, s0
	v_pk_min_f16 v32, v32, v45
	s_delay_alu instid0(VALU_DEP_1) | instskip(NEXT) | instid1(VALU_DEP_1)
	v_lshrrev_b32_e32 v33, 16, v32
	v_min3_f16 v32, v94, v32, v33
	global_store_b16 v[95:96], v32, off
	s_cbranch_vccnz .LBB277_56
; %bb.55:
	v_add_co_u32 v93, vcc_lo, v20, v42
	v_add_co_ci_u32_e32 v94, vcc_lo, v21, v43, vcc_lo
	flat_load_u16 v32, v[93:94]
	s_waitcnt vmcnt(0) lgkmcnt(0)
	v_mul_f16_e32 v93, s18, v32
.LBB277_56:
	v_pk_add_f16 v32, v6, v22
	v_pk_max_f16 v33, v91, v91
	v_pk_add_f16 v45, v7, v23
	s_delay_alu instid0(VALU_DEP_2) | instskip(NEXT) | instid1(VALU_DEP_1)
	v_pk_min_f16 v32, v33, v32
	v_pk_min_f16 v32, v32, v45
	s_delay_alu instid0(VALU_DEP_1) | instskip(NEXT) | instid1(VALU_DEP_1)
	v_lshrrev_b32_e32 v33, 16, v32
	v_min3_f16 v32, v93, v32, v33
	v_add_co_u32 v93, vcc_lo, v46, v42
	v_add_co_ci_u32_e32 v94, vcc_lo, v47, v43, vcc_lo
	s_and_b32 vcc_lo, exec_lo, s0
	global_store_b16 v[93:94], v32, off
	s_cbranch_vccnz .LBB277_58
; %bb.57:
	v_add_co_u32 v91, vcc_lo, v20, v38
	v_add_co_ci_u32_e32 v92, vcc_lo, v21, v39, vcc_lo
	flat_load_u16 v32, v[91:92]
	s_waitcnt vmcnt(0) lgkmcnt(0)
	v_mul_f16_e32 v92, s18, v32
.LBB277_58:
	v_pk_add_f16 v32, v0, v22
	v_pk_max_f16 v33, v90, v90
	v_pk_add_f16 v45, v1, v23
	v_add_co_u32 v93, vcc_lo, v46, v38
	v_add_co_ci_u32_e32 v94, vcc_lo, v47, v39, vcc_lo
	s_delay_alu instid0(VALU_DEP_4) | instskip(SKIP_2) | instid1(VALU_DEP_2)
	v_pk_min_f16 v32, v33, v32
	v_dual_mov_b32 v90, 0 :: v_dual_mov_b32 v91, 0
	s_and_b32 vcc_lo, exec_lo, s0
	v_pk_min_f16 v32, v32, v45
	s_delay_alu instid0(VALU_DEP_1) | instskip(NEXT) | instid1(VALU_DEP_1)
	v_lshrrev_b32_e32 v33, 16, v32
	v_min3_f16 v32, v92, v32, v33
	global_store_b16 v[93:94], v32, off
	s_cbranch_vccnz .LBB277_60
; %bb.59:
	v_add_co_u32 v91, vcc_lo, v20, v36
	v_add_co_ci_u32_e32 v92, vcc_lo, v21, v37, vcc_lo
	flat_load_u16 v32, v[91:92]
	s_waitcnt vmcnt(0) lgkmcnt(0)
	v_mul_f16_e32 v91, s18, v32
.LBB277_60:
	v_pk_add_f16 v32, v2, v22
	v_pk_max_f16 v33, v89, v89
	v_pk_add_f16 v45, v3, v23
	s_delay_alu instid0(VALU_DEP_2) | instskip(NEXT) | instid1(VALU_DEP_1)
	v_pk_min_f16 v32, v33, v32
	v_pk_min_f16 v32, v32, v45
	s_delay_alu instid0(VALU_DEP_1) | instskip(NEXT) | instid1(VALU_DEP_1)
	v_lshrrev_b32_e32 v33, 16, v32
	v_min3_f16 v32, v91, v32, v33
	v_add_co_u32 v91, vcc_lo, v46, v36
	v_add_co_ci_u32_e32 v92, vcc_lo, v47, v37, vcc_lo
	s_and_b32 vcc_lo, exec_lo, s0
	global_store_b16 v[91:92], v32, off
	s_cbranch_vccnz .LBB277_62
; %bb.61:
	v_add_co_u32 v20, vcc_lo, v20, v34
	v_add_co_ci_u32_e32 v21, vcc_lo, v21, v35, vcc_lo
	flat_load_u16 v20, v[20:21]
	s_waitcnt vmcnt(0) lgkmcnt(0)
	v_mul_f16_e32 v90, s18, v20
.LBB277_62:
	v_pk_add_f16 v22, v48, v22
	v_pk_max_f16 v32, v88, v88
	v_add_nc_u32_e32 v89, 0x60, v44
	v_pk_add_f16 v23, v49, v23
	s_delay_alu instid0(VALU_DEP_3) | instskip(NEXT) | instid1(VALU_DEP_1)
	v_pk_min_f16 v22, v32, v22
	v_pk_min_f16 v32, v22, v23
	v_add_co_u32 v22, vcc_lo, v46, v34
	v_mov_b32_e32 v46, 0
	v_mad_i64_i32 v[20:21], null, v89, s8, 0
	s_delay_alu instid0(VALU_DEP_4) | instskip(SKIP_2) | instid1(VALU_DEP_3)
	v_lshrrev_b32_e32 v33, 16, v32
	v_add_co_ci_u32_e32 v23, vcc_lo, v47, v35, vcc_lo
	v_mov_b32_e32 v47, 0
	v_min3_f16 v32, v90, v32, v33
	v_lshlrev_b64 v[20:21], 1, v[20:21]
	global_store_b16 v[22:23], v32, off
	v_add_co_u32 v20, vcc_lo, s4, v20
	v_add_co_ci_u32_e32 v21, vcc_lo, s5, v21, vcc_lo
	s_and_b32 vcc_lo, exec_lo, s0
	s_cbranch_vccnz .LBB277_64
; %bb.63:
	s_delay_alu instid0(VALU_DEP_2) | instskip(NEXT) | instid1(VALU_DEP_2)
	v_add_co_u32 v22, vcc_lo, v20, v28
	v_add_co_ci_u32_e32 v23, vcc_lo, v21, v29, vcc_lo
	flat_load_u16 v22, v[22:23]
	s_waitcnt vmcnt(0) lgkmcnt(0)
	v_mul_f16_e32 v47, s18, v22
.LBB277_64:
	v_mad_i64_i32 v[22:23], null, v89, s3, 0
	v_pk_add_f16 v32, v26, v16
	v_pk_max_f16 v33, v87, v87
	v_pk_add_f16 v45, v27, v17
	s_delay_alu instid0(VALU_DEP_2) | instskip(SKIP_1) | instid1(VALU_DEP_2)
	v_pk_min_f16 v32, v33, v32
	v_lshlrev_b64 v[22:23], 1, v[22:23]
	v_pk_min_f16 v32, v32, v45
	s_delay_alu instid0(VALU_DEP_2) | instskip(NEXT) | instid1(VALU_DEP_3)
	v_add_co_u32 v22, vcc_lo, s1, v22
	v_add_co_ci_u32_e32 v23, vcc_lo, s6, v23, vcc_lo
	s_delay_alu instid0(VALU_DEP_3) | instskip(NEXT) | instid1(VALU_DEP_3)
	v_lshrrev_b32_e32 v33, 16, v32
	v_add_co_u32 v87, vcc_lo, v22, v28
	s_delay_alu instid0(VALU_DEP_3) | instskip(NEXT) | instid1(VALU_DEP_3)
	v_add_co_ci_u32_e32 v88, vcc_lo, v23, v29, vcc_lo
	v_min3_f16 v32, v47, v32, v33
	s_and_b32 vcc_lo, exec_lo, s0
	global_store_b16 v[87:88], v32, off
	s_cbranch_vccnz .LBB277_66
; %bb.65:
	v_add_co_u32 v46, vcc_lo, v20, v30
	v_add_co_ci_u32_e32 v47, vcc_lo, v21, v31, vcc_lo
	flat_load_u16 v32, v[46:47]
	s_waitcnt vmcnt(0) lgkmcnt(0)
	v_mul_f16_e32 v46, s18, v32
.LBB277_66:
	v_pk_add_f16 v32, v8, v16
	v_pk_max_f16 v33, v86, v86
	v_pk_add_f16 v45, v9, v17
	v_add_co_u32 v86, vcc_lo, v22, v30
	v_add_co_ci_u32_e32 v87, vcc_lo, v23, v31, vcc_lo
	s_delay_alu instid0(VALU_DEP_4) | instskip(SKIP_2) | instid1(VALU_DEP_2)
	v_pk_min_f16 v32, v33, v32
	s_and_b32 vcc_lo, exec_lo, s0
	v_mov_b32_e32 v47, 0
	v_pk_min_f16 v32, v32, v45
	s_delay_alu instid0(VALU_DEP_1) | instskip(NEXT) | instid1(VALU_DEP_1)
	v_lshrrev_b32_e32 v33, 16, v32
	v_min3_f16 v32, v46, v32, v33
	v_mov_b32_e32 v46, 0
	global_store_b16 v[86:87], v32, off
	s_cbranch_vccnz .LBB277_68
; %bb.67:
	v_add_co_u32 v86, vcc_lo, v20, v51
	v_add_co_ci_u32_e32 v87, vcc_lo, v21, v52, vcc_lo
	flat_load_u16 v32, v[86:87]
	s_waitcnt vmcnt(0) lgkmcnt(0)
	v_mul_f16_e32 v47, s18, v32
.LBB277_68:
	v_pk_add_f16 v32, v10, v16
	v_pk_max_f16 v33, v85, v85
	v_pk_add_f16 v45, v11, v17
	v_add_co_u32 v85, vcc_lo, v22, v51
	v_add_co_ci_u32_e32 v86, vcc_lo, v23, v52, vcc_lo
	s_delay_alu instid0(VALU_DEP_4) | instskip(SKIP_1) | instid1(VALU_DEP_1)
	v_pk_min_f16 v32, v33, v32
	s_and_b32 vcc_lo, exec_lo, s0
	v_pk_min_f16 v32, v32, v45
	s_delay_alu instid0(VALU_DEP_1) | instskip(NEXT) | instid1(VALU_DEP_1)
	v_lshrrev_b32_e32 v33, 16, v32
	v_min3_f16 v32, v47, v32, v33
	global_store_b16 v[85:86], v32, off
	s_cbranch_vccnz .LBB277_70
; %bb.69:
	v_add_co_u32 v46, vcc_lo, v20, v40
	v_add_co_ci_u32_e32 v47, vcc_lo, v21, v41, vcc_lo
	flat_load_u16 v32, v[46:47]
	s_waitcnt vmcnt(0) lgkmcnt(0)
	v_mul_f16_e32 v46, s18, v32
.LBB277_70:
	v_pk_add_f16 v32, v4, v16
	v_pk_max_f16 v33, v84, v84
	v_pk_add_f16 v45, v5, v17
	v_add_co_u32 v84, vcc_lo, v22, v40
	v_add_co_ci_u32_e32 v85, vcc_lo, v23, v41, vcc_lo
	s_delay_alu instid0(VALU_DEP_4) | instskip(SKIP_2) | instid1(VALU_DEP_2)
	v_pk_min_f16 v32, v33, v32
	s_and_b32 vcc_lo, exec_lo, s0
	v_mov_b32_e32 v47, 0
	v_pk_min_f16 v32, v32, v45
	s_delay_alu instid0(VALU_DEP_1) | instskip(NEXT) | instid1(VALU_DEP_1)
	v_lshrrev_b32_e32 v33, 16, v32
	v_min3_f16 v32, v46, v32, v33
	v_mov_b32_e32 v46, 0
	global_store_b16 v[84:85], v32, off
	s_cbranch_vccnz .LBB277_72
; %bb.71:
	v_add_co_u32 v84, vcc_lo, v20, v42
	v_add_co_ci_u32_e32 v85, vcc_lo, v21, v43, vcc_lo
	flat_load_u16 v32, v[84:85]
	s_waitcnt vmcnt(0) lgkmcnt(0)
	v_mul_f16_e32 v47, s18, v32
.LBB277_72:
	v_pk_add_f16 v32, v6, v16
	v_pk_max_f16 v33, v83, v83
	v_pk_add_f16 v45, v7, v17
	v_add_co_u32 v83, vcc_lo, v22, v42
	v_add_co_ci_u32_e32 v84, vcc_lo, v23, v43, vcc_lo
	s_delay_alu instid0(VALU_DEP_4) | instskip(SKIP_1) | instid1(VALU_DEP_1)
	v_pk_min_f16 v32, v33, v32
	s_and_b32 vcc_lo, exec_lo, s0
	v_pk_min_f16 v32, v32, v45
	s_delay_alu instid0(VALU_DEP_1) | instskip(NEXT) | instid1(VALU_DEP_1)
	v_lshrrev_b32_e32 v33, 16, v32
	v_min3_f16 v32, v47, v32, v33
	;; [unrolled: 44-line block ×3, first 2 shown]
	global_store_b16 v[81:82], v32, off
	s_cbranch_vccnz .LBB277_78
; %bb.77:
	v_add_co_u32 v20, vcc_lo, v20, v34
	v_add_co_ci_u32_e32 v21, vcc_lo, v21, v35, vcc_lo
	flat_load_u16 v20, v[20:21]
	s_waitcnt vmcnt(0) lgkmcnt(0)
	v_mul_f16_e32 v46, s18, v20
.LBB277_78:
	v_add_nc_u32_e32 v20, 0x80, v44
	v_pk_add_f16 v16, v48, v16
	v_pk_max_f16 v21, v80, v80
	v_pk_add_f16 v17, v49, v17
	s_delay_alu instid0(VALU_DEP_4) | instskip(NEXT) | instid1(VALU_DEP_3)
	v_mad_i64_i32 v[80:81], null, v20, s8, 0
	v_pk_min_f16 v16, v21, v16
	s_delay_alu instid0(VALU_DEP_1) | instskip(NEXT) | instid1(VALU_DEP_3)
	v_pk_min_f16 v21, v16, v17
	v_lshlrev_b64 v[16:17], 1, v[80:81]
	v_add_co_u32 v80, vcc_lo, v22, v34
	v_add_co_ci_u32_e32 v81, vcc_lo, v23, v35, vcc_lo
	v_mov_b32_e32 v23, 0
	v_lshrrev_b32_e32 v22, 16, v21
	v_add_co_u32 v16, vcc_lo, s4, v16
	v_add_co_ci_u32_e32 v17, vcc_lo, s5, v17, vcc_lo
	s_delay_alu instid0(VALU_DEP_3)
	v_min3_f16 v21, v46, v21, v22
	v_mov_b32_e32 v22, 0
	s_and_b32 vcc_lo, exec_lo, s0
	global_store_b16 v[80:81], v21, off
	s_cbranch_vccnz .LBB277_80
; %bb.79:
	v_add_co_u32 v46, vcc_lo, v16, v28
	v_add_co_ci_u32_e32 v47, vcc_lo, v17, v29, vcc_lo
	flat_load_u16 v21, v[46:47]
	s_waitcnt vmcnt(0) lgkmcnt(0)
	v_mul_f16_e32 v23, s18, v21
.LBB277_80:
	v_pk_add_f16 v21, v26, v18
	v_pk_max_f16 v32, v79, v79
	v_mad_i64_i32 v[46:47], null, v20, s3, 0
	v_pk_add_f16 v20, v27, v19
	s_delay_alu instid0(VALU_DEP_3) | instskip(NEXT) | instid1(VALU_DEP_1)
	v_pk_min_f16 v21, v32, v21
	v_pk_min_f16 v32, v21, v20
	s_delay_alu instid0(VALU_DEP_4) | instskip(NEXT) | instid1(VALU_DEP_2)
	v_lshlrev_b64 v[20:21], 1, v[46:47]
	v_lshrrev_b32_e32 v33, 16, v32
	s_delay_alu instid0(VALU_DEP_2) | instskip(NEXT) | instid1(VALU_DEP_3)
	v_add_co_u32 v20, vcc_lo, s1, v20
	v_add_co_ci_u32_e32 v21, vcc_lo, s6, v21, vcc_lo
	s_delay_alu instid0(VALU_DEP_3) | instskip(NEXT) | instid1(VALU_DEP_3)
	v_min3_f16 v23, v23, v32, v33
	v_add_co_u32 v46, vcc_lo, v20, v28
	s_delay_alu instid0(VALU_DEP_3)
	v_add_co_ci_u32_e32 v47, vcc_lo, v21, v29, vcc_lo
	s_and_b32 vcc_lo, exec_lo, s0
	global_store_b16 v[46:47], v23, off
	s_cbranch_vccnz .LBB277_82
; %bb.81:
	v_add_co_u32 v22, vcc_lo, v16, v30
	v_add_co_ci_u32_e32 v23, vcc_lo, v17, v31, vcc_lo
	flat_load_u16 v22, v[22:23]
	s_waitcnt vmcnt(0) lgkmcnt(0)
	v_mul_f16_e32 v22, s18, v22
.LBB277_82:
	v_pk_add_f16 v23, v8, v18
	v_pk_max_f16 v32, v78, v78
	v_pk_add_f16 v33, v9, v19
	v_add_co_u32 v46, vcc_lo, v20, v30
	v_add_co_ci_u32_e32 v47, vcc_lo, v21, v31, vcc_lo
	s_delay_alu instid0(VALU_DEP_4) | instskip(SKIP_1) | instid1(VALU_DEP_1)
	v_pk_min_f16 v23, v32, v23
	s_and_b32 vcc_lo, exec_lo, s0
	v_pk_min_f16 v23, v23, v33
	s_delay_alu instid0(VALU_DEP_1) | instskip(NEXT) | instid1(VALU_DEP_1)
	v_lshrrev_b32_e32 v32, 16, v23
	v_min3_f16 v32, v22, v23, v32
	v_dual_mov_b32 v22, 0 :: v_dual_mov_b32 v23, 0
	global_store_b16 v[46:47], v32, off
	s_cbranch_vccnz .LBB277_84
; %bb.83:
	v_add_co_u32 v46, vcc_lo, v16, v51
	v_add_co_ci_u32_e32 v47, vcc_lo, v17, v52, vcc_lo
	flat_load_u16 v23, v[46:47]
	s_waitcnt vmcnt(0) lgkmcnt(0)
	v_mul_f16_e32 v23, s18, v23
.LBB277_84:
	v_pk_add_f16 v32, v10, v18
	v_pk_max_f16 v33, v77, v77
	v_pk_add_f16 v45, v11, v19
	v_add_co_u32 v46, vcc_lo, v20, v51
	v_add_co_ci_u32_e32 v47, vcc_lo, v21, v52, vcc_lo
	s_delay_alu instid0(VALU_DEP_4) | instskip(SKIP_1) | instid1(VALU_DEP_1)
	v_pk_min_f16 v32, v33, v32
	s_and_b32 vcc_lo, exec_lo, s0
	v_pk_min_f16 v32, v32, v45
	s_delay_alu instid0(VALU_DEP_1) | instskip(NEXT) | instid1(VALU_DEP_1)
	v_lshrrev_b32_e32 v33, 16, v32
	v_min3_f16 v23, v23, v32, v33
	global_store_b16 v[46:47], v23, off
	s_cbranch_vccnz .LBB277_86
; %bb.85:
	v_add_co_u32 v22, vcc_lo, v16, v40
	v_add_co_ci_u32_e32 v23, vcc_lo, v17, v41, vcc_lo
	flat_load_u16 v22, v[22:23]
	s_waitcnt vmcnt(0) lgkmcnt(0)
	v_mul_f16_e32 v22, s18, v22
.LBB277_86:
	v_pk_add_f16 v23, v4, v18
	v_pk_max_f16 v32, v76, v76
	v_pk_add_f16 v33, v5, v19
	v_add_co_u32 v46, vcc_lo, v20, v40
	v_add_co_ci_u32_e32 v47, vcc_lo, v21, v41, vcc_lo
	s_delay_alu instid0(VALU_DEP_4) | instskip(SKIP_1) | instid1(VALU_DEP_1)
	v_pk_min_f16 v23, v32, v23
	s_and_b32 vcc_lo, exec_lo, s0
	v_pk_min_f16 v23, v23, v33
	s_delay_alu instid0(VALU_DEP_1) | instskip(NEXT) | instid1(VALU_DEP_1)
	v_lshrrev_b32_e32 v32, 16, v23
	v_min3_f16 v32, v22, v23, v32
	v_dual_mov_b32 v22, 0 :: v_dual_mov_b32 v23, 0
	global_store_b16 v[46:47], v32, off
	s_cbranch_vccnz .LBB277_88
; %bb.87:
	v_add_co_u32 v46, vcc_lo, v16, v42
	v_add_co_ci_u32_e32 v47, vcc_lo, v17, v43, vcc_lo
	flat_load_u16 v23, v[46:47]
	s_waitcnt vmcnt(0) lgkmcnt(0)
	v_mul_f16_e32 v23, s18, v23
.LBB277_88:
	v_pk_add_f16 v32, v6, v18
	v_pk_max_f16 v33, v75, v75
	v_pk_add_f16 v45, v7, v19
	v_add_co_u32 v46, vcc_lo, v20, v42
	v_add_co_ci_u32_e32 v47, vcc_lo, v21, v43, vcc_lo
	s_delay_alu instid0(VALU_DEP_4) | instskip(SKIP_1) | instid1(VALU_DEP_1)
	v_pk_min_f16 v32, v33, v32
	s_and_b32 vcc_lo, exec_lo, s0
	v_pk_min_f16 v32, v32, v45
	s_delay_alu instid0(VALU_DEP_1) | instskip(NEXT) | instid1(VALU_DEP_1)
	v_lshrrev_b32_e32 v33, 16, v32
	v_min3_f16 v23, v23, v32, v33
	;; [unrolled: 43-line block ×3, first 2 shown]
	global_store_b16 v[46:47], v23, off
	s_cbranch_vccnz .LBB277_94
; %bb.93:
	v_add_co_u32 v16, vcc_lo, v16, v34
	v_add_co_ci_u32_e32 v17, vcc_lo, v17, v35, vcc_lo
	flat_load_u16 v16, v[16:17]
	s_waitcnt vmcnt(0) lgkmcnt(0)
	v_mul_f16_e32 v22, s18, v16
.LBB277_94:
	v_pk_add_f16 v18, v48, v18
	v_pk_max_f16 v32, v72, v72
	v_pk_add_f16 v19, v49, v19
	v_add_nc_u32_e32 v23, 0xa0, v44
	s_delay_alu instid0(VALU_DEP_3) | instskip(NEXT) | instid1(VALU_DEP_1)
	v_pk_min_f16 v18, v32, v18
	v_pk_min_f16 v32, v18, v19
	v_add_co_u32 v18, vcc_lo, v20, v34
	v_add_co_ci_u32_e32 v19, vcc_lo, v21, v35, vcc_lo
	s_delay_alu instid0(VALU_DEP_3) | instskip(SKIP_1) | instid1(VALU_DEP_2)
	v_lshrrev_b32_e32 v20, 16, v32
	v_mov_b32_e32 v21, 0
	v_min3_f16 v22, v22, v32, v20
	v_mov_b32_e32 v20, 0
	v_mad_i64_i32 v[16:17], null, v23, s8, 0
	global_store_b16 v[18:19], v22, off
	v_lshlrev_b64 v[16:17], 1, v[16:17]
	s_delay_alu instid0(VALU_DEP_1) | instskip(NEXT) | instid1(VALU_DEP_2)
	v_add_co_u32 v16, vcc_lo, s4, v16
	v_add_co_ci_u32_e32 v17, vcc_lo, s5, v17, vcc_lo
	s_and_b32 vcc_lo, exec_lo, s0
	s_cbranch_vccnz .LBB277_96
; %bb.95:
	s_delay_alu instid0(VALU_DEP_2) | instskip(NEXT) | instid1(VALU_DEP_2)
	v_add_co_u32 v18, vcc_lo, v16, v28
	v_add_co_ci_u32_e32 v19, vcc_lo, v17, v29, vcc_lo
	flat_load_u16 v18, v[18:19]
	s_waitcnt vmcnt(0) lgkmcnt(0)
	v_mul_f16_e32 v21, s18, v18
.LBB277_96:
	v_pk_add_f16 v22, v26, v12
	v_pk_max_f16 v32, v71, v71
	v_mad_i64_i32 v[18:19], null, v23, s3, 0
	v_pk_add_f16 v23, v27, v13
	s_delay_alu instid0(VALU_DEP_3) | instskip(NEXT) | instid1(VALU_DEP_3)
	v_pk_min_f16 v22, v32, v22
	v_lshlrev_b64 v[18:19], 1, v[18:19]
	s_delay_alu instid0(VALU_DEP_2) | instskip(NEXT) | instid1(VALU_DEP_2)
	v_pk_min_f16 v22, v22, v23
	v_add_co_u32 v18, vcc_lo, s1, v18
	s_delay_alu instid0(VALU_DEP_2) | instskip(NEXT) | instid1(VALU_DEP_4)
	v_lshrrev_b32_e32 v23, 16, v22
	v_add_co_ci_u32_e32 v19, vcc_lo, s6, v19, vcc_lo
	s_delay_alu instid0(VALU_DEP_2) | instskip(NEXT) | instid1(VALU_DEP_4)
	v_min3_f16 v23, v21, v22, v23
	v_add_co_u32 v21, vcc_lo, v18, v28
	s_delay_alu instid0(VALU_DEP_3)
	v_add_co_ci_u32_e32 v22, vcc_lo, v19, v29, vcc_lo
	s_and_b32 vcc_lo, exec_lo, s0
	global_store_b16 v[21:22], v23, off
	s_cbranch_vccnz .LBB277_98
; %bb.97:
	v_add_co_u32 v20, vcc_lo, v16, v30
	v_add_co_ci_u32_e32 v21, vcc_lo, v17, v31, vcc_lo
	flat_load_u16 v20, v[20:21]
	s_waitcnt vmcnt(0) lgkmcnt(0)
	v_mul_f16_e32 v20, s18, v20
.LBB277_98:
	v_pk_add_f16 v21, v8, v12
	v_pk_max_f16 v22, v70, v70
	v_pk_add_f16 v23, v9, v13
	s_delay_alu instid0(VALU_DEP_2) | instskip(SKIP_1) | instid1(VALU_DEP_2)
	v_pk_min_f16 v21, v22, v21
	v_add_co_u32 v22, vcc_lo, v18, v30
	v_pk_min_f16 v21, v21, v23
	v_add_co_ci_u32_e32 v23, vcc_lo, v19, v31, vcc_lo
	s_and_b32 vcc_lo, exec_lo, s0
	s_delay_alu instid0(VALU_DEP_2) | instskip(NEXT) | instid1(VALU_DEP_1)
	v_lshrrev_b32_e32 v32, 16, v21
	v_min3_f16 v32, v20, v21, v32
	v_dual_mov_b32 v20, 0 :: v_dual_mov_b32 v21, 0
	global_store_b16 v[22:23], v32, off
	s_cbranch_vccnz .LBB277_100
; %bb.99:
	v_add_co_u32 v21, vcc_lo, v16, v51
	v_add_co_ci_u32_e32 v22, vcc_lo, v17, v52, vcc_lo
	flat_load_u16 v21, v[21:22]
	s_waitcnt vmcnt(0) lgkmcnt(0)
	v_mul_f16_e32 v21, s18, v21
.LBB277_100:
	v_pk_add_f16 v22, v10, v12
	v_pk_max_f16 v23, v61, v61
	v_pk_add_f16 v32, v11, v13
	s_delay_alu instid0(VALU_DEP_2) | instskip(NEXT) | instid1(VALU_DEP_1)
	v_pk_min_f16 v22, v23, v22
	v_pk_min_f16 v22, v22, v32
	s_delay_alu instid0(VALU_DEP_1) | instskip(NEXT) | instid1(VALU_DEP_1)
	v_lshrrev_b32_e32 v23, 16, v22
	v_min3_f16 v23, v21, v22, v23
	v_add_co_u32 v21, vcc_lo, v18, v51
	v_add_co_ci_u32_e32 v22, vcc_lo, v19, v52, vcc_lo
	s_and_b32 vcc_lo, exec_lo, s0
	global_store_b16 v[21:22], v23, off
	s_cbranch_vccnz .LBB277_102
; %bb.101:
	v_add_co_u32 v20, vcc_lo, v16, v40
	v_add_co_ci_u32_e32 v21, vcc_lo, v17, v41, vcc_lo
	flat_load_u16 v20, v[20:21]
	s_waitcnt vmcnt(0) lgkmcnt(0)
	v_mul_f16_e32 v20, s18, v20
.LBB277_102:
	v_pk_add_f16 v21, v4, v12
	v_pk_max_f16 v22, v60, v60
	v_pk_add_f16 v23, v5, v13
	s_delay_alu instid0(VALU_DEP_2) | instskip(SKIP_1) | instid1(VALU_DEP_2)
	v_pk_min_f16 v21, v22, v21
	v_add_co_u32 v22, vcc_lo, v18, v40
	v_pk_min_f16 v21, v21, v23
	v_add_co_ci_u32_e32 v23, vcc_lo, v19, v41, vcc_lo
	s_and_b32 vcc_lo, exec_lo, s0
	s_delay_alu instid0(VALU_DEP_2) | instskip(NEXT) | instid1(VALU_DEP_1)
	v_lshrrev_b32_e32 v32, 16, v21
	v_min3_f16 v32, v20, v21, v32
	v_dual_mov_b32 v20, 0 :: v_dual_mov_b32 v21, 0
	global_store_b16 v[22:23], v32, off
	s_cbranch_vccnz .LBB277_104
; %bb.103:
	v_add_co_u32 v21, vcc_lo, v16, v42
	v_add_co_ci_u32_e32 v22, vcc_lo, v17, v43, vcc_lo
	flat_load_u16 v21, v[21:22]
	s_waitcnt vmcnt(0) lgkmcnt(0)
	v_mul_f16_e32 v21, s18, v21
.LBB277_104:
	v_pk_add_f16 v22, v6, v12
	v_pk_max_f16 v23, v59, v59
	v_pk_add_f16 v32, v7, v13
	s_delay_alu instid0(VALU_DEP_2) | instskip(NEXT) | instid1(VALU_DEP_1)
	v_pk_min_f16 v22, v23, v22
	v_pk_min_f16 v22, v22, v32
	s_delay_alu instid0(VALU_DEP_1) | instskip(NEXT) | instid1(VALU_DEP_1)
	v_lshrrev_b32_e32 v23, 16, v22
	v_min3_f16 v23, v21, v22, v23
	v_add_co_u32 v21, vcc_lo, v18, v42
	;; [unrolled: 43-line block ×3, first 2 shown]
	v_add_co_ci_u32_e32 v22, vcc_lo, v19, v37, vcc_lo
	s_and_b32 vcc_lo, exec_lo, s0
	global_store_b16 v[21:22], v23, off
	s_cbranch_vccnz .LBB277_110
; %bb.109:
	v_add_co_u32 v16, vcc_lo, v16, v34
	v_add_co_ci_u32_e32 v17, vcc_lo, v17, v35, vcc_lo
	flat_load_u16 v16, v[16:17]
	s_waitcnt vmcnt(0) lgkmcnt(0)
	v_mul_f16_e32 v20, s18, v16
.LBB277_110:
	v_add_nc_u32_e32 v16, 0xc0, v44
	v_pk_add_f16 v12, v48, v12
	v_pk_max_f16 v17, v56, v56
	v_pk_add_f16 v13, v49, v13
	s_delay_alu instid0(VALU_DEP_4) | instskip(NEXT) | instid1(VALU_DEP_3)
	v_mad_i64_i32 v[21:22], null, v16, s8, 0
	v_pk_min_f16 v12, v17, v12
	s_delay_alu instid0(VALU_DEP_1) | instskip(NEXT) | instid1(VALU_DEP_3)
	v_pk_min_f16 v17, v12, v13
	v_lshlrev_b64 v[12:13], 1, v[21:22]
	v_add_co_u32 v21, vcc_lo, v18, v34
	v_add_co_ci_u32_e32 v22, vcc_lo, v19, v35, vcc_lo
	v_mov_b32_e32 v19, 0
	v_lshrrev_b32_e32 v18, 16, v17
	v_add_co_u32 v12, vcc_lo, s4, v12
	v_add_co_ci_u32_e32 v13, vcc_lo, s5, v13, vcc_lo
	s_delay_alu instid0(VALU_DEP_3)
	v_min3_f16 v17, v20, v17, v18
	v_mov_b32_e32 v18, 0
	s_and_b32 vcc_lo, exec_lo, s0
	global_store_b16 v[21:22], v17, off
	s_cbranch_vccnz .LBB277_112
; %bb.111:
	v_add_co_u32 v19, vcc_lo, v12, v28
	v_add_co_ci_u32_e32 v20, vcc_lo, v13, v29, vcc_lo
	flat_load_u16 v17, v[19:20]
	s_waitcnt vmcnt(0) lgkmcnt(0)
	v_mul_f16_e32 v19, s18, v17
.LBB277_112:
	v_pk_add_f16 v17, v26, v14
	v_pk_max_f16 v22, v55, v55
	v_mad_i64_i32 v[20:21], null, v16, s3, 0
	v_pk_add_f16 v16, v27, v15
	s_delay_alu instid0(VALU_DEP_3) | instskip(NEXT) | instid1(VALU_DEP_1)
	v_pk_min_f16 v17, v22, v17
	v_pk_min_f16 v22, v17, v16
	s_delay_alu instid0(VALU_DEP_4) | instskip(NEXT) | instid1(VALU_DEP_2)
	v_lshlrev_b64 v[16:17], 1, v[20:21]
	v_lshrrev_b32_e32 v20, 16, v22
	s_delay_alu instid0(VALU_DEP_2) | instskip(NEXT) | instid1(VALU_DEP_3)
	v_add_co_u32 v16, vcc_lo, s1, v16
	v_add_co_ci_u32_e32 v17, vcc_lo, s6, v17, vcc_lo
	s_delay_alu instid0(VALU_DEP_3) | instskip(NEXT) | instid1(VALU_DEP_3)
	v_min3_f16 v21, v19, v22, v20
	v_add_co_u32 v19, vcc_lo, v16, v28
	s_delay_alu instid0(VALU_DEP_3)
	v_add_co_ci_u32_e32 v20, vcc_lo, v17, v29, vcc_lo
	s_and_b32 vcc_lo, exec_lo, s0
	global_store_b16 v[19:20], v21, off
	s_cbranch_vccnz .LBB277_114
; %bb.113:
	v_add_co_u32 v18, vcc_lo, v12, v30
	v_add_co_ci_u32_e32 v19, vcc_lo, v13, v31, vcc_lo
	flat_load_u16 v18, v[18:19]
	s_waitcnt vmcnt(0) lgkmcnt(0)
	v_mul_f16_e32 v18, s18, v18
.LBB277_114:
	v_pk_add_f16 v19, v8, v14
	v_pk_max_f16 v20, v54, v54
	v_pk_add_f16 v21, v9, v15
	s_delay_alu instid0(VALU_DEP_2) | instskip(SKIP_1) | instid1(VALU_DEP_2)
	v_pk_min_f16 v19, v20, v19
	v_add_co_u32 v20, vcc_lo, v16, v30
	v_pk_min_f16 v19, v19, v21
	v_add_co_ci_u32_e32 v21, vcc_lo, v17, v31, vcc_lo
	s_and_b32 vcc_lo, exec_lo, s0
	s_delay_alu instid0(VALU_DEP_2) | instskip(NEXT) | instid1(VALU_DEP_1)
	v_lshrrev_b32_e32 v22, 16, v19
	v_min3_f16 v22, v18, v19, v22
	v_dual_mov_b32 v18, 0 :: v_dual_mov_b32 v19, 0
	global_store_b16 v[20:21], v22, off
	s_cbranch_vccnz .LBB277_116
; %bb.115:
	v_add_co_u32 v19, vcc_lo, v12, v51
	v_add_co_ci_u32_e32 v20, vcc_lo, v13, v52, vcc_lo
	flat_load_u16 v19, v[19:20]
	s_waitcnt vmcnt(0) lgkmcnt(0)
	v_mul_f16_e32 v19, s18, v19
.LBB277_116:
	v_pk_add_f16 v20, v10, v14
	v_pk_max_f16 v21, v53, v53
	v_pk_add_f16 v22, v11, v15
	s_delay_alu instid0(VALU_DEP_2) | instskip(NEXT) | instid1(VALU_DEP_1)
	v_pk_min_f16 v20, v21, v20
	v_pk_min_f16 v20, v20, v22
	s_delay_alu instid0(VALU_DEP_1) | instskip(NEXT) | instid1(VALU_DEP_1)
	v_lshrrev_b32_e32 v21, 16, v20
	v_min3_f16 v21, v19, v20, v21
	v_add_co_u32 v19, vcc_lo, v16, v51
	v_add_co_ci_u32_e32 v20, vcc_lo, v17, v52, vcc_lo
	s_and_b32 vcc_lo, exec_lo, s0
	global_store_b16 v[19:20], v21, off
	s_cbranch_vccnz .LBB277_118
; %bb.117:
	v_add_co_u32 v18, vcc_lo, v12, v40
	v_add_co_ci_u32_e32 v19, vcc_lo, v13, v41, vcc_lo
	flat_load_u16 v18, v[18:19]
	s_waitcnt vmcnt(0) lgkmcnt(0)
	v_mul_f16_e32 v18, s18, v18
.LBB277_118:
	v_pk_add_f16 v19, v4, v14
	v_pk_max_f16 v20, v149, v149
	v_pk_add_f16 v21, v5, v15
	s_delay_alu instid0(VALU_DEP_2) | instskip(SKIP_1) | instid1(VALU_DEP_2)
	v_pk_min_f16 v19, v20, v19
	v_add_co_u32 v20, vcc_lo, v16, v40
	v_pk_min_f16 v19, v19, v21
	v_add_co_ci_u32_e32 v21, vcc_lo, v17, v41, vcc_lo
	s_and_b32 vcc_lo, exec_lo, s0
	s_delay_alu instid0(VALU_DEP_2) | instskip(NEXT) | instid1(VALU_DEP_1)
	v_lshrrev_b32_e32 v22, 16, v19
	v_min3_f16 v22, v18, v19, v22
	v_dual_mov_b32 v18, 0 :: v_dual_mov_b32 v19, 0
	global_store_b16 v[20:21], v22, off
	s_cbranch_vccnz .LBB277_120
; %bb.119:
	v_add_co_u32 v19, vcc_lo, v12, v42
	v_add_co_ci_u32_e32 v20, vcc_lo, v13, v43, vcc_lo
	flat_load_u16 v19, v[19:20]
	s_waitcnt vmcnt(0) lgkmcnt(0)
	v_mul_f16_e32 v19, s18, v19
.LBB277_120:
	v_pk_add_f16 v20, v6, v14
	v_pk_max_f16 v21, v150, v150
	v_pk_add_f16 v22, v7, v15
	s_delay_alu instid0(VALU_DEP_2) | instskip(NEXT) | instid1(VALU_DEP_1)
	v_pk_min_f16 v20, v21, v20
	v_pk_min_f16 v20, v20, v22
	s_delay_alu instid0(VALU_DEP_1) | instskip(NEXT) | instid1(VALU_DEP_1)
	v_lshrrev_b32_e32 v21, 16, v20
	v_min3_f16 v21, v19, v20, v21
	v_add_co_u32 v19, vcc_lo, v16, v42
	v_add_co_ci_u32_e32 v20, vcc_lo, v17, v43, vcc_lo
	s_and_b32 vcc_lo, exec_lo, s0
	global_store_b16 v[19:20], v21, off
	s_cbranch_vccnz .LBB277_122
; %bb.121:
	v_add_co_u32 v18, vcc_lo, v12, v38
	v_add_co_ci_u32_e32 v19, vcc_lo, v13, v39, vcc_lo
	flat_load_u16 v18, v[18:19]
	s_waitcnt vmcnt(0) lgkmcnt(0)
	v_mul_f16_e32 v18, s18, v18
.LBB277_122:
	v_pk_add_f16 v19, v0, v14
	v_pk_max_f16 v20, v151, v151
	v_pk_add_f16 v21, v1, v15
	s_delay_alu instid0(VALU_DEP_2) | instskip(SKIP_1) | instid1(VALU_DEP_2)
	v_pk_min_f16 v19, v20, v19
	v_add_co_u32 v20, vcc_lo, v16, v38
	v_pk_min_f16 v19, v19, v21
	v_add_co_ci_u32_e32 v21, vcc_lo, v17, v39, vcc_lo
	s_and_b32 vcc_lo, exec_lo, s0
	s_delay_alu instid0(VALU_DEP_2) | instskip(NEXT) | instid1(VALU_DEP_1)
	v_lshrrev_b32_e32 v22, 16, v19
	v_min3_f16 v22, v18, v19, v22
	v_dual_mov_b32 v18, 0 :: v_dual_mov_b32 v19, 0
	global_store_b16 v[20:21], v22, off
	s_cbranch_vccnz .LBB277_124
; %bb.123:
	v_add_co_u32 v19, vcc_lo, v12, v36
	v_add_co_ci_u32_e32 v20, vcc_lo, v13, v37, vcc_lo
	flat_load_u16 v19, v[19:20]
	s_waitcnt vmcnt(0) lgkmcnt(0)
	v_mul_f16_e32 v19, s18, v19
.LBB277_124:
	v_pk_add_f16 v20, v2, v14
	v_pk_max_f16 v21, v152, v152
	v_pk_add_f16 v22, v3, v15
	s_delay_alu instid0(VALU_DEP_2) | instskip(NEXT) | instid1(VALU_DEP_1)
	v_pk_min_f16 v20, v21, v20
	v_pk_min_f16 v20, v20, v22
	s_delay_alu instid0(VALU_DEP_1) | instskip(NEXT) | instid1(VALU_DEP_1)
	v_lshrrev_b32_e32 v21, 16, v20
	v_min3_f16 v21, v19, v20, v21
	v_add_co_u32 v19, vcc_lo, v16, v36
	v_add_co_ci_u32_e32 v20, vcc_lo, v17, v37, vcc_lo
	s_and_b32 vcc_lo, exec_lo, s0
	global_store_b16 v[19:20], v21, off
	s_cbranch_vccnz .LBB277_126
; %bb.125:
	v_add_co_u32 v12, vcc_lo, v12, v34
	v_add_co_ci_u32_e32 v13, vcc_lo, v13, v35, vcc_lo
	flat_load_u16 v12, v[12:13]
	s_waitcnt vmcnt(0) lgkmcnt(0)
	v_mul_f16_e32 v18, s18, v12
.LBB277_126:
	v_pk_add_f16 v14, v48, v14
	v_pk_max_f16 v20, v153, v153
	v_pk_add_f16 v15, v49, v15
	v_add_nc_u32_e32 v19, 0xe0, v44
	s_delay_alu instid0(VALU_DEP_3) | instskip(NEXT) | instid1(VALU_DEP_1)
	v_pk_min_f16 v14, v20, v14
	v_pk_min_f16 v20, v14, v15
	v_add_co_u32 v14, vcc_lo, v16, v34
	v_add_co_ci_u32_e32 v15, vcc_lo, v17, v35, vcc_lo
	s_delay_alu instid0(VALU_DEP_3) | instskip(SKIP_1) | instid1(VALU_DEP_2)
	v_lshrrev_b32_e32 v16, 16, v20
	v_mov_b32_e32 v17, 0
	v_min3_f16 v18, v18, v20, v16
	v_mov_b32_e32 v16, 0
	v_mad_i64_i32 v[12:13], null, v19, s8, 0
	global_store_b16 v[14:15], v18, off
	v_lshlrev_b64 v[12:13], 1, v[12:13]
	s_delay_alu instid0(VALU_DEP_1) | instskip(NEXT) | instid1(VALU_DEP_2)
	v_add_co_u32 v12, vcc_lo, s4, v12
	v_add_co_ci_u32_e32 v13, vcc_lo, s5, v13, vcc_lo
	s_and_b32 vcc_lo, exec_lo, s0
	s_cbranch_vccnz .LBB277_128
; %bb.127:
	s_delay_alu instid0(VALU_DEP_2) | instskip(NEXT) | instid1(VALU_DEP_2)
	v_add_co_u32 v14, vcc_lo, v12, v28
	v_add_co_ci_u32_e32 v15, vcc_lo, v13, v29, vcc_lo
	flat_load_u16 v14, v[14:15]
	s_waitcnt vmcnt(0) lgkmcnt(0)
	v_mul_f16_e32 v17, s18, v14
.LBB277_128:
	v_pk_add_f16 v18, v26, v24
	v_pk_max_f16 v20, v154, v154
	v_mad_i64_i32 v[14:15], null, v19, s3, 0
	v_pk_add_f16 v19, v27, v25
	s_delay_alu instid0(VALU_DEP_3) | instskip(NEXT) | instid1(VALU_DEP_3)
	v_pk_min_f16 v18, v20, v18
	v_lshlrev_b64 v[14:15], 1, v[14:15]
	s_delay_alu instid0(VALU_DEP_2) | instskip(NEXT) | instid1(VALU_DEP_2)
	v_pk_min_f16 v18, v18, v19
	v_add_co_u32 v14, vcc_lo, s1, v14
	s_delay_alu instid0(VALU_DEP_2) | instskip(NEXT) | instid1(VALU_DEP_4)
	v_lshrrev_b32_e32 v19, 16, v18
	v_add_co_ci_u32_e32 v15, vcc_lo, s6, v15, vcc_lo
	s_delay_alu instid0(VALU_DEP_2) | instskip(NEXT) | instid1(VALU_DEP_4)
	v_min3_f16 v19, v17, v18, v19
	v_add_co_u32 v17, vcc_lo, v14, v28
	s_delay_alu instid0(VALU_DEP_3)
	v_add_co_ci_u32_e32 v18, vcc_lo, v15, v29, vcc_lo
	s_and_b32 vcc_lo, exec_lo, s0
	global_store_b16 v[17:18], v19, off
	s_cbranch_vccnz .LBB277_130
; %bb.129:
	v_add_co_u32 v16, vcc_lo, v12, v30
	v_add_co_ci_u32_e32 v17, vcc_lo, v13, v31, vcc_lo
	flat_load_u16 v16, v[16:17]
	s_waitcnt vmcnt(0) lgkmcnt(0)
	v_mul_f16_e32 v16, s18, v16
.LBB277_130:
	v_pk_add_f16 v8, v8, v24
	v_pk_max_f16 v17, v148, v148
	v_pk_add_f16 v9, v9, v25
	s_delay_alu instid0(VALU_DEP_2) | instskip(SKIP_2) | instid1(VALU_DEP_3)
	v_pk_min_f16 v8, v17, v8
	v_add_co_u32 v17, vcc_lo, v14, v30
	v_add_co_ci_u32_e32 v18, vcc_lo, v15, v31, vcc_lo
	v_pk_min_f16 v8, v8, v9
	s_and_b32 vcc_lo, exec_lo, s0
	s_delay_alu instid0(VALU_DEP_1) | instskip(NEXT) | instid1(VALU_DEP_1)
	v_lshrrev_b32_e32 v9, 16, v8
	v_min3_f16 v16, v16, v8, v9
	v_dual_mov_b32 v8, 0 :: v_dual_mov_b32 v9, 0
	global_store_b16 v[17:18], v16, off
	s_cbranch_vccnz .LBB277_132
; %bb.131:
	v_add_co_u32 v16, vcc_lo, v12, v51
	v_add_co_ci_u32_e32 v17, vcc_lo, v13, v52, vcc_lo
	flat_load_u16 v9, v[16:17]
	s_waitcnt vmcnt(0) lgkmcnt(0)
	v_mul_f16_e32 v9, s18, v9
.LBB277_132:
	v_pk_add_f16 v10, v10, v24
	v_pk_max_f16 v16, v147, v147
	v_pk_add_f16 v11, v11, v25
	s_delay_alu instid0(VALU_DEP_2) | instskip(NEXT) | instid1(VALU_DEP_1)
	v_pk_min_f16 v10, v16, v10
	v_pk_min_f16 v10, v10, v11
	s_delay_alu instid0(VALU_DEP_1) | instskip(NEXT) | instid1(VALU_DEP_1)
	v_lshrrev_b32_e32 v11, 16, v10
	v_min3_f16 v11, v9, v10, v11
	v_add_co_u32 v9, vcc_lo, v14, v51
	v_add_co_ci_u32_e32 v10, vcc_lo, v15, v52, vcc_lo
	s_and_b32 vcc_lo, exec_lo, s0
	global_store_b16 v[9:10], v11, off
	s_cbranch_vccnz .LBB277_134
; %bb.133:
	v_add_co_u32 v8, vcc_lo, v12, v40
	v_add_co_ci_u32_e32 v9, vcc_lo, v13, v41, vcc_lo
	flat_load_u16 v8, v[8:9]
	s_waitcnt vmcnt(0) lgkmcnt(0)
	v_mul_f16_e32 v8, s18, v8
.LBB277_134:
	v_pk_add_f16 v4, v4, v24
	v_pk_max_f16 v9, v146, v146
	v_pk_add_f16 v5, v5, v25
	s_delay_alu instid0(VALU_DEP_2) | instskip(SKIP_2) | instid1(VALU_DEP_3)
	v_pk_min_f16 v4, v9, v4
	v_add_co_u32 v9, vcc_lo, v14, v40
	v_add_co_ci_u32_e32 v10, vcc_lo, v15, v41, vcc_lo
	v_pk_min_f16 v4, v4, v5
	s_and_b32 vcc_lo, exec_lo, s0
	s_delay_alu instid0(VALU_DEP_1) | instskip(NEXT) | instid1(VALU_DEP_1)
	v_lshrrev_b32_e32 v5, 16, v4
	v_min3_f16 v8, v8, v4, v5
	v_dual_mov_b32 v4, 0 :: v_dual_mov_b32 v5, 0
	global_store_b16 v[9:10], v8, off
	s_cbranch_vccnz .LBB277_136
; %bb.135:
	v_add_co_u32 v8, vcc_lo, v12, v42
	v_add_co_ci_u32_e32 v9, vcc_lo, v13, v43, vcc_lo
	flat_load_u16 v5, v[8:9]
	s_waitcnt vmcnt(0) lgkmcnt(0)
	v_mul_f16_e32 v5, s18, v5
.LBB277_136:
	v_pk_add_f16 v6, v6, v24
	v_pk_max_f16 v8, v145, v145
	v_pk_add_f16 v7, v7, v25
	s_delay_alu instid0(VALU_DEP_2) | instskip(NEXT) | instid1(VALU_DEP_1)
	v_pk_min_f16 v6, v8, v6
	v_pk_min_f16 v6, v6, v7
	s_delay_alu instid0(VALU_DEP_1) | instskip(NEXT) | instid1(VALU_DEP_1)
	v_lshrrev_b32_e32 v7, 16, v6
	v_min3_f16 v7, v5, v6, v7
	v_add_co_u32 v5, vcc_lo, v14, v42
	v_add_co_ci_u32_e32 v6, vcc_lo, v15, v43, vcc_lo
	s_and_b32 vcc_lo, exec_lo, s0
	global_store_b16 v[5:6], v7, off
	s_cbranch_vccnz .LBB277_138
; %bb.137:
	v_add_co_u32 v4, vcc_lo, v12, v38
	v_add_co_ci_u32_e32 v5, vcc_lo, v13, v39, vcc_lo
	flat_load_u16 v4, v[4:5]
	s_waitcnt vmcnt(0) lgkmcnt(0)
	v_mul_f16_e32 v4, s18, v4
.LBB277_138:
	v_pk_add_f16 v0, v0, v24
	v_pk_max_f16 v5, v143, v143
	v_pk_add_f16 v2, v2, v24
	v_pk_max_f16 v6, v144, v144
	v_pk_add_f16 v1, v1, v25
	v_pk_add_f16 v3, v3, v25
	v_pk_min_f16 v0, v5, v0
	s_delay_alu instid0(VALU_DEP_4) | instskip(NEXT) | instid1(VALU_DEP_2)
	v_pk_min_f16 v2, v6, v2
	v_pk_min_f16 v0, v0, v1
	s_delay_alu instid0(VALU_DEP_2) | instskip(NEXT) | instid1(VALU_DEP_2)
	v_pk_min_f16 v1, v2, v3
	v_lshrrev_b32_e32 v2, 16, v0
	s_delay_alu instid0(VALU_DEP_2) | instskip(NEXT) | instid1(VALU_DEP_2)
	v_lshrrev_b32_e32 v3, 16, v1
	v_min3_f16 v4, v4, v0, v2
	s_delay_alu instid0(VALU_DEP_2) | instskip(SKIP_2) | instid1(VALU_DEP_3)
	v_min_f16_e32 v0, v1, v3
	v_add_co_u32 v1, vcc_lo, v14, v38
	v_add_co_ci_u32_e32 v2, vcc_lo, v15, v39, vcc_lo
	v_max_f16_e32 v0, v0, v0
	s_mov_b32 vcc_lo, s2
	global_store_b16 v[1:2], v4, off
	s_cbranch_vccz .LBB277_141
; %bb.139:
	v_add_co_u32 v1, vcc_lo, v14, v36
	v_min_f16_e32 v3, 0, v0
	v_add_co_ci_u32_e32 v2, vcc_lo, v15, v37, vcc_lo
	s_mov_b32 s0, 0
	global_store_b16 v[1:2], v3, off
	s_cbranch_execz .LBB277_142
; %bb.140:
	v_mov_b32_e32 v0, s0
	s_branch .LBB277_143
.LBB277_141:
	s_mov_b32 s0, -1
.LBB277_142:
	v_add_co_u32 v1, vcc_lo, v12, v36
	v_add_co_ci_u32_e32 v2, vcc_lo, v13, v37, vcc_lo
	flat_load_u16 v1, v[1:2]
	s_waitcnt vmcnt(0) lgkmcnt(0)
	v_mul_f16_e32 v3, s18, v1
	v_add_co_u32 v1, vcc_lo, v14, v36
	v_add_co_ci_u32_e32 v2, vcc_lo, v15, v37, vcc_lo
	s_delay_alu instid0(VALU_DEP_3)
	v_min_f16_e32 v0, v3, v0
	v_add_co_u32 v3, vcc_lo, v12, v34
	v_add_co_ci_u32_e32 v4, vcc_lo, v13, v35, vcc_lo
	global_store_b16 v[1:2], v0, off
	flat_load_u16 v0, v[3:4]
	s_waitcnt vmcnt(0) lgkmcnt(0)
	v_mul_f16_e32 v0, s18, v0
.LBB277_143:
	v_pk_add_f16 v1, v48, v24
	v_pk_max_f16 v2, v142, v142
	v_pk_add_f16 v3, v49, v25
	s_delay_alu instid0(VALU_DEP_2) | instskip(NEXT) | instid1(VALU_DEP_1)
	v_pk_min_f16 v1, v2, v1
	v_pk_min_f16 v1, v1, v3
	s_delay_alu instid0(VALU_DEP_1) | instskip(NEXT) | instid1(VALU_DEP_1)
	v_lshrrev_b32_e32 v2, 16, v1
	v_min3_f16 v2, v0, v1, v2
	v_add_co_u32 v0, vcc_lo, v14, v34
	v_add_co_ci_u32_e32 v1, vcc_lo, v15, v35, vcc_lo
	global_store_b16 v[0:1], v2, off
	s_nop 0
	s_sendmsg sendmsg(MSG_DEALLOC_VGPRS)
	s_endpgm
	.section	.rodata,"a",@progbits
	.p2align	6, 0x0
	.amdhsa_kernel _ZN12_GLOBAL__N_120geam_min_plus_kernelIDF16_Dv2_DF16_S1_Li8ELi32ELi64ELi256ELi4ELi4ELi64ELi64ELi4ELc84ELc84ELb1ELb0ELb1EDF16_KDF16_DF16_EEviiiT16_PT17_ilS5_ilS3_S5_ilPT18_ili26rocblas_geam_ex_operation_
		.amdhsa_group_segment_fixed_size 5120
		.amdhsa_private_segment_fixed_size 356
		.amdhsa_kernarg_size 128
		.amdhsa_user_sgpr_count 14
		.amdhsa_user_sgpr_dispatch_ptr 0
		.amdhsa_user_sgpr_queue_ptr 0
		.amdhsa_user_sgpr_kernarg_segment_ptr 1
		.amdhsa_user_sgpr_dispatch_id 0
		.amdhsa_user_sgpr_private_segment_size 0
		.amdhsa_wavefront_size32 1
		.amdhsa_uses_dynamic_stack 0
		.amdhsa_enable_private_segment 1
		.amdhsa_system_sgpr_workgroup_id_x 1
		.amdhsa_system_sgpr_workgroup_id_y 0
		.amdhsa_system_sgpr_workgroup_id_z 1
		.amdhsa_system_sgpr_workgroup_info 0
		.amdhsa_system_vgpr_workitem_id 1
		.amdhsa_next_free_vgpr 256
		.amdhsa_next_free_sgpr 23
		.amdhsa_reserve_vcc 1
		.amdhsa_float_round_mode_32 0
		.amdhsa_float_round_mode_16_64 0
		.amdhsa_float_denorm_mode_32 3
		.amdhsa_float_denorm_mode_16_64 3
		.amdhsa_dx10_clamp 1
		.amdhsa_ieee_mode 1
		.amdhsa_fp16_overflow 0
		.amdhsa_workgroup_processor_mode 1
		.amdhsa_memory_ordered 1
		.amdhsa_forward_progress 0
		.amdhsa_shared_vgpr_count 0
		.amdhsa_exception_fp_ieee_invalid_op 0
		.amdhsa_exception_fp_denorm_src 0
		.amdhsa_exception_fp_ieee_div_zero 0
		.amdhsa_exception_fp_ieee_overflow 0
		.amdhsa_exception_fp_ieee_underflow 0
		.amdhsa_exception_fp_ieee_inexact 0
		.amdhsa_exception_int_div_zero 0
	.end_amdhsa_kernel
	.section	.text._ZN12_GLOBAL__N_120geam_min_plus_kernelIDF16_Dv2_DF16_S1_Li8ELi32ELi64ELi256ELi4ELi4ELi64ELi64ELi4ELc84ELc84ELb1ELb0ELb1EDF16_KDF16_DF16_EEviiiT16_PT17_ilS5_ilS3_S5_ilPT18_ili26rocblas_geam_ex_operation_,"axG",@progbits,_ZN12_GLOBAL__N_120geam_min_plus_kernelIDF16_Dv2_DF16_S1_Li8ELi32ELi64ELi256ELi4ELi4ELi64ELi64ELi4ELc84ELc84ELb1ELb0ELb1EDF16_KDF16_DF16_EEviiiT16_PT17_ilS5_ilS3_S5_ilPT18_ili26rocblas_geam_ex_operation_,comdat
.Lfunc_end277:
	.size	_ZN12_GLOBAL__N_120geam_min_plus_kernelIDF16_Dv2_DF16_S1_Li8ELi32ELi64ELi256ELi4ELi4ELi64ELi64ELi4ELc84ELc84ELb1ELb0ELb1EDF16_KDF16_DF16_EEviiiT16_PT17_ilS5_ilS3_S5_ilPT18_ili26rocblas_geam_ex_operation_, .Lfunc_end277-_ZN12_GLOBAL__N_120geam_min_plus_kernelIDF16_Dv2_DF16_S1_Li8ELi32ELi64ELi256ELi4ELi4ELi64ELi64ELi4ELc84ELc84ELb1ELb0ELb1EDF16_KDF16_DF16_EEviiiT16_PT17_ilS5_ilS3_S5_ilPT18_ili26rocblas_geam_ex_operation_
                                        ; -- End function
	.section	.AMDGPU.csdata,"",@progbits
; Kernel info:
; codeLenInByte = 19160
; NumSgprs: 25
; NumVgprs: 256
; ScratchSize: 356
; MemoryBound: 0
; FloatMode: 240
; IeeeMode: 1
; LDSByteSize: 5120 bytes/workgroup (compile time only)
; SGPRBlocks: 3
; VGPRBlocks: 31
; NumSGPRsForWavesPerEU: 25
; NumVGPRsForWavesPerEU: 256
; Occupancy: 5
; WaveLimiterHint : 1
; COMPUTE_PGM_RSRC2:SCRATCH_EN: 1
; COMPUTE_PGM_RSRC2:USER_SGPR: 14
; COMPUTE_PGM_RSRC2:TRAP_HANDLER: 0
; COMPUTE_PGM_RSRC2:TGID_X_EN: 1
; COMPUTE_PGM_RSRC2:TGID_Y_EN: 0
; COMPUTE_PGM_RSRC2:TGID_Z_EN: 1
; COMPUTE_PGM_RSRC2:TIDIG_COMP_CNT: 1
	.section	.text._ZN12_GLOBAL__N_120geam_min_plus_kernelIDF16_Dv2_DF16_S1_Li8ELi32ELi64ELi256ELi4ELi4ELi64ELi64ELi4ELc84ELc84ELb0ELb0ELb1EDF16_KDF16_DF16_EEviiiT16_PT17_ilS5_ilS3_S5_ilPT18_ili26rocblas_geam_ex_operation_,"axG",@progbits,_ZN12_GLOBAL__N_120geam_min_plus_kernelIDF16_Dv2_DF16_S1_Li8ELi32ELi64ELi256ELi4ELi4ELi64ELi64ELi4ELc84ELc84ELb0ELb0ELb1EDF16_KDF16_DF16_EEviiiT16_PT17_ilS5_ilS3_S5_ilPT18_ili26rocblas_geam_ex_operation_,comdat
	.globl	_ZN12_GLOBAL__N_120geam_min_plus_kernelIDF16_Dv2_DF16_S1_Li8ELi32ELi64ELi256ELi4ELi4ELi64ELi64ELi4ELc84ELc84ELb0ELb0ELb1EDF16_KDF16_DF16_EEviiiT16_PT17_ilS5_ilS3_S5_ilPT18_ili26rocblas_geam_ex_operation_ ; -- Begin function _ZN12_GLOBAL__N_120geam_min_plus_kernelIDF16_Dv2_DF16_S1_Li8ELi32ELi64ELi256ELi4ELi4ELi64ELi64ELi4ELc84ELc84ELb0ELb0ELb1EDF16_KDF16_DF16_EEviiiT16_PT17_ilS5_ilS3_S5_ilPT18_ili26rocblas_geam_ex_operation_
	.p2align	8
	.type	_ZN12_GLOBAL__N_120geam_min_plus_kernelIDF16_Dv2_DF16_S1_Li8ELi32ELi64ELi256ELi4ELi4ELi64ELi64ELi4ELc84ELc84ELb0ELb0ELb1EDF16_KDF16_DF16_EEviiiT16_PT17_ilS5_ilS3_S5_ilPT18_ili26rocblas_geam_ex_operation_,@function
_ZN12_GLOBAL__N_120geam_min_plus_kernelIDF16_Dv2_DF16_S1_Li8ELi32ELi64ELi256ELi4ELi4ELi64ELi64ELi4ELc84ELc84ELb0ELb0ELb1EDF16_KDF16_DF16_EEviiiT16_PT17_ilS5_ilS3_S5_ilPT18_ili26rocblas_geam_ex_operation_: ; @_ZN12_GLOBAL__N_120geam_min_plus_kernelIDF16_Dv2_DF16_S1_Li8ELi32ELi64ELi256ELi4ELi4ELi64ELi64ELi4ELc84ELc84ELb0ELb0ELb1EDF16_KDF16_DF16_EEviiiT16_PT17_ilS5_ilS3_S5_ilPT18_ili26rocblas_geam_ex_operation_
; %bb.0:
	s_clause 0x1
	s_load_b64 s[10:11], s[0:1], 0x8
	s_load_b128 s[4:7], s[0:1], 0x20
	s_waitcnt lgkmcnt(0)
	v_cmp_eq_f16_e64 s2, s11, 0
	s_delay_alu instid0(VALU_DEP_1)
	s_and_b32 vcc_lo, exec_lo, s2
	s_cbranch_vccnz .LBB278_3
; %bb.1:
	s_load_b64 s[8:9], s[0:1], 0x10
	s_mul_i32 s3, s15, s5
	s_mul_hi_u32 s5, s15, s4
	s_mul_i32 s4, s15, s4
	s_add_i32 s5, s5, s3
	s_delay_alu instid0(SALU_CYCLE_1)
	s_lshl_b64 s[4:5], s[4:5], 1
	s_waitcnt lgkmcnt(0)
	s_add_u32 s12, s8, s4
	s_addc_u32 s13, s9, s5
	s_and_not1_b32 vcc_lo, exec_lo, s2
	s_cbranch_vccnz .LBB278_4
.LBB278_2:
	s_mov_b32 s19, 0
	s_mov_b64 s[16:17], 0
	s_cbranch_execz .LBB278_5
	s_branch .LBB278_6
.LBB278_3:
	s_mov_b64 s[12:13], 0
	s_and_not1_b32 vcc_lo, exec_lo, s2
	s_cbranch_vccz .LBB278_2
.LBB278_4:
	s_mov_b32 s19, -1
                                        ; implicit-def: $sgpr16_sgpr17
.LBB278_5:
	s_load_b64 s[2:3], s[0:1], 0x38
	s_mov_b32 s19, 0
	s_waitcnt lgkmcnt(0)
	s_mul_i32 s3, s15, s3
	s_mul_hi_u32 s4, s15, s2
	s_mul_i32 s2, s15, s2
	s_add_i32 s3, s4, s3
	s_delay_alu instid0(SALU_CYCLE_1) | instskip(NEXT) | instid1(SALU_CYCLE_1)
	s_lshl_b64 s[2:3], s[2:3], 1
	s_add_u32 s16, s6, s2
	s_addc_u32 s17, s7, s3
.LBB278_6:
	s_clause 0x1
	s_load_b32 s18, s[0:1], 0x40
	s_load_b128 s[4:7], s[0:1], 0x58
	v_cmp_neq_f16_e64 s22, s11, 0
	s_waitcnt lgkmcnt(0)
	v_cmp_eq_f16_e64 s2, s18, 0
	s_delay_alu instid0(VALU_DEP_1) | instskip(NEXT) | instid1(SALU_CYCLE_1)
	s_and_b32 s2, exec_lo, s2
	s_mov_b32 vcc_lo, s2
	s_cbranch_vccnz .LBB278_8
; %bb.7:
	s_load_b64 s[8:9], s[0:1], 0x48
	s_mul_i32 s3, s15, s5
	s_mul_hi_u32 s5, s15, s4
	s_delay_alu instid0(SALU_CYCLE_1) | instskip(SKIP_3) | instid1(SALU_CYCLE_1)
	s_add_i32 s3, s5, s3
	s_mul_i32 s5, s19, s4
	s_mul_i32 s4, s15, s4
	s_add_i32 s5, s3, s5
	s_lshl_b64 s[4:5], s[4:5], 1
	s_waitcnt lgkmcnt(0)
	s_add_u32 s8, s8, s4
	s_addc_u32 s9, s9, s5
	s_branch .LBB278_9
.LBB278_8:
	s_mov_b64 s[8:9], 0
.LBB278_9:
	s_clause 0x1
	s_load_b32 s3, s[0:1], 0x0
	s_load_b32 s23, s[0:1], 0x18
	v_and_b32_e32 v38, 0x3ff, v0
	v_bfe_u32 v39, v0, 10, 10
	s_delay_alu instid0(VALU_DEP_2) | instskip(NEXT) | instid1(VALU_DEP_2)
	v_and_b32_e32 v2, 3, v38
	v_lshl_add_u32 v0, v39, 3, v38
	s_delay_alu instid0(VALU_DEP_2) | instskip(NEXT) | instid1(VALU_DEP_2)
	v_lshlrev_b32_e32 v4, 1, v2
	v_lshrrev_b32_e32 v6, 2, v0
	s_waitcnt lgkmcnt(0)
	s_add_i32 s3, s3, -1
	s_delay_alu instid0(SALU_CYCLE_1) | instskip(NEXT) | instid1(SALU_CYCLE_1)
	s_ashr_i32 s4, s3, 31
	s_lshr_b32 s4, s4, 26
	s_delay_alu instid0(SALU_CYCLE_1) | instskip(NEXT) | instid1(SALU_CYCLE_1)
	s_add_i32 s3, s3, s4
	s_ashr_i32 s3, s3, 6
	s_delay_alu instid0(SALU_CYCLE_1) | instskip(SKIP_2) | instid1(VALU_DEP_1)
	s_add_i32 s4, s3, 1
	s_not_b32 s3, s3
	v_cvt_f32_u32_e32 v1, s4
	v_rcp_iflag_f32_e32 v1, v1
	s_waitcnt_depctr 0xfff
	v_mul_f32_e32 v1, 0x4f7ffffe, v1
	s_delay_alu instid0(VALU_DEP_1) | instskip(NEXT) | instid1(VALU_DEP_1)
	v_cvt_u32_f32_e32 v1, v1
	v_readfirstlane_b32 s5, v1
	v_cndmask_b32_e64 v1, 0, 1, s22
	s_delay_alu instid0(VALU_DEP_2) | instskip(NEXT) | instid1(SALU_CYCLE_1)
	s_mul_i32 s3, s3, s5
	s_mul_hi_u32 s3, s5, s3
	s_delay_alu instid0(SALU_CYCLE_1) | instskip(NEXT) | instid1(SALU_CYCLE_1)
	s_add_i32 s5, s5, s3
	s_mul_hi_u32 s3, s14, s5
	s_delay_alu instid0(SALU_CYCLE_1) | instskip(SKIP_2) | instid1(SALU_CYCLE_1)
	s_mul_i32 s5, s3, s4
	s_add_i32 s20, s3, 1
	s_sub_i32 s5, s14, s5
	s_sub_i32 s21, s5, s4
	s_cmp_ge_u32 s5, s4
	s_cselect_b32 s3, s20, s3
	s_cselect_b32 s5, s21, s5
	s_add_i32 s20, s3, 1
	s_cmp_ge_u32 s5, s4
	s_cselect_b32 s5, s20, s3
	v_cmp_ne_u32_e64 s3, 1, v1
	s_mul_i32 s24, s5, s4
	s_and_not1_b32 vcc_lo, exec_lo, s22
	s_sub_i32 s4, s14, s24
	s_delay_alu instid0(SALU_CYCLE_1) | instskip(NEXT) | instid1(SALU_CYCLE_1)
	s_lshl_b32 s20, s4, 6
	v_add_nc_u32_e32 v8, s20, v6
	s_cbranch_vccnz .LBB278_11
; %bb.10:
	s_delay_alu instid0(VALU_DEP_1) | instskip(NEXT) | instid1(VALU_DEP_1)
	v_mad_i64_i32 v[1:2], null, v8, s23, 0
	v_lshlrev_b64 v[1:2], 1, v[1:2]
	s_delay_alu instid0(VALU_DEP_1) | instskip(NEXT) | instid1(VALU_DEP_2)
	v_add_co_u32 v1, vcc_lo, s12, v1
	v_add_co_ci_u32_e32 v2, vcc_lo, s13, v2, vcc_lo
	s_delay_alu instid0(VALU_DEP_2) | instskip(NEXT) | instid1(VALU_DEP_2)
	v_add_co_u32 v1, vcc_lo, v1, v4
	v_add_co_ci_u32_e32 v2, vcc_lo, 0, v2, vcc_lo
	flat_load_u16 v1, v[1:2]
	s_waitcnt vmcnt(0) lgkmcnt(0)
	v_mul_f16_e32 v2, s11, v1
	s_branch .LBB278_12
.LBB278_11:
	v_mov_b32_e32 v2, 0
.LBB278_12:
	s_load_b32 s4, s[0:1], 0x30
	v_lshrrev_b32_e32 v5, 6, v0
	v_and_b32_e32 v7, 63, v0
	s_lshl_b32 s21, s5, 8
	s_delay_alu instid0(VALU_DEP_1) | instid1(SALU_CYCLE_1)
	v_or_b32_e32 v0, s21, v7
	s_delay_alu instid0(VALU_DEP_1) | instskip(SKIP_3) | instid1(VALU_DEP_1)
	v_ashrrev_i32_e32 v1, 31, v0
	s_waitcnt lgkmcnt(0)
	v_mad_i64_i32 v[9:10], null, s4, v5, 0
	s_ashr_i32 s5, s4, 31
	v_lshlrev_b64 v[9:10], 1, v[9:10]
	s_delay_alu instid0(VALU_DEP_1) | instskip(NEXT) | instid1(VALU_DEP_2)
	v_add_co_u32 v9, vcc_lo, s16, v9
	v_add_co_ci_u32_e32 v10, vcc_lo, s17, v10, vcc_lo
	s_and_b32 vcc_lo, exec_lo, s3
	s_cbranch_vccnz .LBB278_16
; %bb.13:
	v_lshlrev_b64 v[11:12], 1, v[0:1]
	s_delay_alu instid0(VALU_DEP_1) | instskip(NEXT) | instid1(VALU_DEP_2)
	v_add_co_u32 v11, vcc_lo, v9, v11
	v_add_co_ci_u32_e32 v12, vcc_lo, v10, v12, vcc_lo
	s_clause 0x1
	flat_load_u16 v3, v[11:12]
	flat_load_u16 v11, v[11:12] offset:128
	s_waitcnt vmcnt(1) lgkmcnt(1)
	v_mul_f16_e32 v3, s11, v3
	s_waitcnt vmcnt(0) lgkmcnt(0)
	v_mul_f16_e32 v14, s11, v11
	s_and_b32 vcc_lo, exec_lo, s3
	s_cbranch_vccnz .LBB278_17
.LBB278_14:
	v_lshlrev_b64 v[11:12], 1, v[0:1]
	s_delay_alu instid0(VALU_DEP_1) | instskip(NEXT) | instid1(VALU_DEP_2)
	v_add_co_u32 v9, vcc_lo, v9, v11
	v_add_co_ci_u32_e32 v10, vcc_lo, v10, v12, vcc_lo
	s_clause 0x1
	flat_load_u16 v11, v[9:10] offset:256
	flat_load_u16 v9, v[9:10] offset:384
	s_waitcnt vmcnt(1) lgkmcnt(1)
	v_mul_f16_e32 v15, s11, v11
	s_waitcnt vmcnt(0) lgkmcnt(0)
	v_mul_f16_e32 v16, s11, v9
	s_and_b32 vcc_lo, exec_lo, s3
	s_cbranch_vccnz .LBB278_18
.LBB278_15:
	v_mad_i64_i32 v[9:10], null, v8, s23, 0
	s_delay_alu instid0(VALU_DEP_1) | instskip(NEXT) | instid1(VALU_DEP_1)
	v_lshlrev_b64 v[8:9], 1, v[9:10]
	v_add_co_u32 v8, vcc_lo, s12, v8
	s_delay_alu instid0(VALU_DEP_2) | instskip(NEXT) | instid1(VALU_DEP_2)
	v_add_co_ci_u32_e32 v9, vcc_lo, s13, v9, vcc_lo
	v_add_co_u32 v8, vcc_lo, v8, v4
	s_delay_alu instid0(VALU_DEP_2)
	v_add_co_ci_u32_e32 v9, vcc_lo, 0, v9, vcc_lo
	flat_load_u16 v8, v[8:9] offset:8
	s_waitcnt vmcnt(0) lgkmcnt(0)
	v_mul_f16_e32 v8, s11, v8
	s_branch .LBB278_19
.LBB278_16:
	v_dual_mov_b32 v3, 0 :: v_dual_mov_b32 v14, 0
	s_and_b32 vcc_lo, exec_lo, s3
	s_cbranch_vccz .LBB278_14
.LBB278_17:
	v_dual_mov_b32 v15, 0 :: v_dual_mov_b32 v16, 0
	s_and_b32 vcc_lo, exec_lo, s3
	s_cbranch_vccz .LBB278_15
.LBB278_18:
	v_mov_b32_e32 v8, 0
.LBB278_19:
	v_add_nc_u32_e32 v11, 4, v5
	s_delay_alu instid0(VALU_DEP_1) | instskip(NEXT) | instid1(VALU_DEP_1)
	v_mad_i64_i32 v[9:10], null, s4, v11, 0
	v_lshlrev_b64 v[9:10], 1, v[9:10]
	s_delay_alu instid0(VALU_DEP_1) | instskip(NEXT) | instid1(VALU_DEP_2)
	v_add_co_u32 v11, vcc_lo, s16, v9
	v_add_co_ci_u32_e32 v12, vcc_lo, s17, v10, vcc_lo
	s_and_b32 vcc_lo, exec_lo, s3
	s_cbranch_vccnz .LBB278_22
; %bb.20:
	v_lshlrev_b64 v[9:10], 1, v[0:1]
	s_delay_alu instid0(VALU_DEP_1) | instskip(NEXT) | instid1(VALU_DEP_2)
	v_add_co_u32 v9, vcc_lo, v11, v9
	v_add_co_ci_u32_e32 v10, vcc_lo, v12, v10, vcc_lo
	s_clause 0x1
	flat_load_u16 v13, v[9:10]
	flat_load_u16 v10, v[9:10] offset:128
	s_waitcnt vmcnt(1) lgkmcnt(1)
	v_mul_f16_e32 v9, s11, v13
	s_waitcnt vmcnt(0) lgkmcnt(0)
	v_mul_f16_e32 v10, s11, v10
	s_and_b32 vcc_lo, exec_lo, s3
	s_cbranch_vccnz .LBB278_23
.LBB278_21:
	v_lshlrev_b64 v[0:1], 1, v[0:1]
	s_delay_alu instid0(VALU_DEP_1) | instskip(NEXT) | instid1(VALU_DEP_2)
	v_add_co_u32 v0, vcc_lo, v11, v0
	v_add_co_ci_u32_e32 v1, vcc_lo, v12, v1, vcc_lo
	s_clause 0x1
	flat_load_u16 v11, v[0:1] offset:256
	flat_load_u16 v0, v[0:1] offset:384
	s_waitcnt vmcnt(1) lgkmcnt(1)
	v_mul_f16_e32 v11, s11, v11
	s_waitcnt vmcnt(0) lgkmcnt(0)
	v_mul_f16_e32 v12, s11, v0
	s_branch .LBB278_24
.LBB278_22:
	v_dual_mov_b32 v9, 0 :: v_dual_mov_b32 v10, 0
	s_and_b32 vcc_lo, exec_lo, s3
	s_cbranch_vccz .LBB278_21
.LBB278_23:
	v_dual_mov_b32 v11, 0 :: v_dual_mov_b32 v12, 0
.LBB278_24:
	v_lshlrev_b32_e32 v0, 1, v5
	v_lshlrev_b32_e32 v40, 3, v38
	;; [unrolled: 1-line block ×3, first 2 shown]
	v_lshl_or_b32 v13, v6, 3, v4
	s_cmp_lt_i32 s10, 9
	v_lshl_add_u32 v42, v7, 3, v0
	v_add_nc_u32_e32 v0, 0x1000, v40
	ds_store_b16 v42, v3
	ds_store_b16 v42, v14 offset:512
	ds_store_b16 v42, v15 offset:1024
	;; [unrolled: 1-line block ×4, first 2 shown]
	s_waitcnt lgkmcnt(0)
	s_barrier
	buffer_gl0_inv
	ds_load_2addr_b64 v[14:17], v0 offset1:8
	ds_load_2addr_b64 v[18:21], v41 offset1:32
	ds_load_2addr_b64 v[22:25], v0 offset0:16 offset1:24
	ds_load_2addr_b64 v[26:29], v0 offset0:32 offset1:40
	;; [unrolled: 1-line block ×5, first 2 shown]
	s_waitcnt lgkmcnt(5)
	v_pk_add_f16 v43, v14, v18
	v_pk_add_f16 v44, v16, v18
	s_waitcnt lgkmcnt(3)
	v_pk_add_f16 v47, v26, v18
	v_pk_add_f16 v73, v15, v19
	;; [unrolled: 1-line block ×3, first 2 shown]
	v_pk_min_f16 v43, 0x7c00, v43 op_sel_hi:[0,1]
	v_pk_add_f16 v77, v27, v19
	v_pk_add_f16 v45, v22, v18
	;; [unrolled: 1-line block ×4, first 2 shown]
	v_pk_min_f16 v114, v43, v73
	v_pk_min_f16 v43, 0x7c00, v44 op_sel_hi:[0,1]
	v_pk_min_f16 v44, 0x7c00, v47 op_sel_hi:[0,1]
	v_pk_add_f16 v81, v15, v21
	v_pk_add_f16 v46, v24, v18
	s_waitcnt lgkmcnt(2)
	v_pk_add_f16 v49, v0, v18
	s_waitcnt lgkmcnt(1)
	v_pk_add_f16 v59, v14, v30
	v_pk_min_f16 v110, v44, v77
	v_pk_min_f16 v44, 0x7c00, v51 op_sel_hi:[0,1]
	v_pk_add_f16 v60, v16, v30
	v_pk_add_f16 v61, v22, v30
	;; [unrolled: 1-line block ×9, first 2 shown]
	v_pk_min_f16 v113, v43, v74
	v_pk_min_f16 v43, 0x7c00, v45 op_sel_hi:[0,1]
	v_pk_min_f16 v104, v44, v81
	v_pk_min_f16 v44, 0x7c00, v55 op_sel_hi:[0,1]
	v_pk_add_f16 v50, v2, v18
	v_pk_add_f16 v53, v22, v20
	;; [unrolled: 1-line block ×13, first 2 shown]
	v_pk_min_f16 v112, v43, v75
	v_pk_min_f16 v43, 0x7c00, v46 op_sel_hi:[0,1]
	v_pk_min_f16 v46, 0x7c00, v49 op_sel_hi:[0,1]
	v_pk_min_f16 v100, v44, v85
	v_pk_min_f16 v44, 0x7c00, v59 op_sel_hi:[0,1]
	v_pk_min_f16 v30, 0x7c00, v30 op_sel_hi:[0,1]
	v_pk_add_f16 v54, v24, v20
	v_pk_add_f16 v69, v24, v32
	;; [unrolled: 1-line block ×5, first 2 shown]
	s_waitcnt lgkmcnt(0)
	v_pk_add_f16 v123, v14, v34
	v_pk_min_f16 v111, v43, v76
	v_pk_min_f16 v43, 0x7c00, v50 op_sel_hi:[0,1]
	v_pk_min_f16 v106, v46, v79
	v_pk_min_f16 v46, 0x7c00, v53 op_sel_hi:[0,1]
	v_pk_min_f16 v96, v44, v89
	v_pk_min_f16 v89, v30, v31
	v_pk_min_f16 v31, 0x7c00, v70 op_sel_hi:[0,1]
	v_pk_add_f16 v48, v28, v18
	v_pk_add_f16 v52, v16, v20
	;; [unrolled: 1-line block ×19, first 2 shown]
	ds_load_2addr_b64 v[18:21], v41 offset0:192 offset1:224
	v_pk_add_f16 v137, v15, v35
	v_pk_min_f16 v105, v43, v80
	v_pk_min_f16 v43, 0x7c00, v54 op_sel_hi:[0,1]
	v_pk_min_f16 v102, v46, v83
	v_pk_min_f16 v30, 0x7c00, v69 op_sel_hi:[0,1]
	;; [unrolled: 2-line block ×3, first 2 shown]
	v_pk_add_f16 v116, v15, v33
	v_pk_add_f16 v117, v17, v33
	v_pk_add_f16 v118, v23, v33
	v_pk_add_f16 v121, v29, v33
	v_pk_add_f16 v122, v1, v33
	v_pk_add_f16 v33, v3, v33
	v_pk_add_f16 v124, v16, v34
	v_pk_add_f16 v129, v0, v34
	v_pk_add_f16 v141, v27, v35
	v_pk_min_f16 v101, v43, v84
	v_pk_min_f16 v43, 0x7c00, v56 op_sel_hi:[0,1]
	v_pk_min_f16 v84, v30, v119
	v_pk_min_f16 v30, 0x7c00, v32 op_sel_hi:[0,1]
	;; [unrolled: 2-line block ×3, first 2 shown]
	v_pk_add_f16 v126, v24, v34
	v_pk_add_f16 v128, v28, v34
	;; [unrolled: 1-line block ×5, first 2 shown]
	v_pk_min_f16 v45, 0x7c00, v48 op_sel_hi:[0,1]
	v_pk_min_f16 v99, v43, v86
	v_pk_min_f16 v43, 0x7c00, v60 op_sel_hi:[0,1]
	v_pk_min_f16 v80, v30, v33
	;; [unrolled: 2-line block ×3, first 2 shown]
	v_pk_min_f16 v31, 0x7c00, v129 op_sel_hi:[0,1]
	v_pk_add_f16 v125, v22, v34
	v_pk_add_f16 v130, v14, v36
	;; [unrolled: 1-line block ×7, first 2 shown]
	v_pk_min_f16 v107, v45, v78
	v_pk_min_f16 v44, 0x7c00, v61 op_sel_hi:[0,1]
	v_pk_min_f16 v95, v43, v90
	v_pk_min_f16 v43, 0x7c00, v64 op_sel_hi:[0,1]
	v_pk_min_f16 v33, 0x7c00, v126 op_sel_hi:[0,1]
	v_pk_min_f16 v78, v30, v138
	v_pk_min_f16 v30, 0x7c00, v128 op_sel_hi:[0,1]
	v_pk_min_f16 v73, v31, v143
	v_pk_min_f16 v31, 0x7c00, v132 op_sel_hi:[0,1]
	v_pk_add_f16 v34, v2, v34
	v_pk_add_f16 v133, v24, v36
	v_pk_add_f16 v135, v28, v36
	v_pk_add_f16 v139, v23, v35
	v_pk_add_f16 v144, v15, v37
	v_pk_add_f16 v145, v17, v37
	v_pk_add_f16 v150, v1, v37
	s_waitcnt lgkmcnt(0)
	v_pk_add_f16 v151, v14, v18
	v_pk_min_f16 v45, 0x7c00, v52 op_sel_hi:[0,1]
	v_pk_min_f16 v46, 0x7c00, v58 op_sel_hi:[0,1]
	v_pk_min_f16 v94, v44, v91
	v_pk_min_f16 v44, 0x7c00, v65 op_sel_hi:[0,1]
	v_pk_min_f16 v91, v43, v109
	v_pk_min_f16 v43, 0x7c00, v66 op_sel_hi:[0,1]
	v_pk_min_f16 v32, 0x7c00, v125 op_sel_hi:[0,1]
	v_pk_min_f16 v76, v33, v140
	v_pk_min_f16 v33, 0x7c00, v130 op_sel_hi:[0,1]
	v_pk_min_f16 v74, v30, v142
	;; [unrolled: 2-line block ×3, first 2 shown]
	v_pk_min_f16 v31, 0x7c00, v136 op_sel_hi:[0,1]
	v_pk_add_f16 v134, v26, v36
	v_pk_add_f16 v36, v2, v36
	v_pk_add_f16 v35, v3, v35
	v_pk_add_f16 v147, v25, v37
	v_pk_add_f16 v149, v29, v37
	v_pk_add_f16 v153, v15, v19
	v_pk_add_f16 v155, v22, v18
	v_pk_min_f16 v103, v45, v82
	v_pk_min_f16 v45, 0x7c00, v57 op_sel_hi:[0,1]
	v_pk_min_f16 v97, v46, v88
	v_pk_min_f16 v90, v44, v115
	v_pk_min_f16 v44, 0x7c00, v68 op_sel_hi:[0,1]
	v_pk_min_f16 v88, v43, v116
	v_pk_min_f16 v43, 0x7c00, v71 op_sel_hi:[0,1]
	;; [unrolled: 2-line block ×3, first 2 shown]
	v_pk_min_f16 v71, v33, v144
	v_pk_min_f16 v70, v30, v145
	v_pk_min_f16 v30, 0x7c00, v133 op_sel_hi:[0,1]
	v_pk_min_f16 v33, 0x7c00, v135 op_sel_hi:[0,1]
	v_pk_min_f16 v65, v31, v150
	v_pk_min_f16 v31, 0x7c00, v151 op_sel_hi:[0,1]
	v_pk_add_f16 v148, v27, v37
	v_pk_add_f16 v37, v3, v37
	;; [unrolled: 1-line block ×8, first 2 shown]
	v_pk_min_f16 v98, v45, v87
	v_pk_min_f16 v45, 0x7c00, v62 op_sel_hi:[0,1]
	v_pk_min_f16 v46, 0x7c00, v63 op_sel_hi:[0,1]
	v_pk_min_f16 v85, v44, v118
	v_pk_min_f16 v44, 0x7c00, v72 op_sel_hi:[0,1]
	v_pk_min_f16 v72, v32, v35
	;; [unrolled: 2-line block ×3, first 2 shown]
	v_pk_min_f16 v66, v33, v149
	v_pk_min_f16 v30, 0x7c00, v36 op_sel_hi:[0,1]
	v_pk_min_f16 v33, 0x7c00, v155 op_sel_hi:[0,1]
	v_pk_min_f16 v63, v31, v153
	v_pk_add_f16 v31, v0, v18
	v_pk_add_f16 v18, v2, v18
	;; [unrolled: 1-line block ×12, first 2 shown]
	v_pk_min_f16 v93, v45, v92
	v_pk_min_f16 v45, 0x7c00, v67 op_sel_hi:[0,1]
	v_pk_min_f16 v67, v32, v148
	v_pk_min_f16 v32, 0x7c00, v152 op_sel_hi:[0,1]
	v_pk_min_f16 v64, v30, v37
	v_pk_min_f16 v30, 0x7c00, v156 op_sel_hi:[0,1]
	v_pk_min_f16 v61, v33, v157
	v_pk_add_f16 v33, v1, v19
	v_pk_min_f16 v18, 0x7c00, v18 op_sel_hi:[0,1]
	v_pk_add_f16 v19, v3, v19
	v_pk_min_f16 v14, 0x7c00, v14 op_sel_hi:[0,1]
	v_pk_add_f16 v0, v0, v20
	v_pk_add_f16 v2, v2, v20
	v_pk_add_f16 v17, v17, v21
	v_pk_add_f16 v23, v23, v21
	v_pk_add_f16 v25, v25, v21
	v_pk_add_f16 v27, v27, v21
	v_pk_add_f16 v29, v29, v21
	v_pk_min_f16 v62, v32, v154
	v_pk_min_f16 v60, v30, v158
	v_pk_min_f16 v30, 0x7c00, v159 op_sel_hi:[0,1]
	v_pk_min_f16 v32, 0x7c00, v160 op_sel_hi:[0,1]
	;; [unrolled: 1-line block ×5, first 2 shown]
	v_pk_min_f16 v56, v18, v19
	v_pk_min_f16 v55, v14, v15
	v_pk_min_f16 v14, 0x7c00, v24 op_sel_hi:[0,1]
	v_pk_min_f16 v15, 0x7c00, v26 op_sel_hi:[0,1]
	v_pk_min_f16 v18, 0x7c00, v28 op_sel_hi:[0,1]
	v_pk_min_f16 v0, 0x7c00, v0 op_sel_hi:[0,1]
	v_pk_min_f16 v2, 0x7c00, v2 op_sel_hi:[0,1]
	v_pk_add_f16 v1, v1, v21
	v_pk_add_f16 v3, v3, v21
	v_pk_min_f16 v92, v46, v108
	v_pk_min_f16 v87, v45, v117
	;; [unrolled: 1-line block ×14, first 2 shown]
	ds_store_b16 v42, v9 offset:2048
	ds_store_b16 v42, v10 offset:2560
	;; [unrolled: 1-line block ×5, first 2 shown]
	s_waitcnt lgkmcnt(0)
	s_barrier
	buffer_gl0_inv
	s_cbranch_scc1 .LBB278_42
; %bb.25:
	v_lshl_add_u32 v0, s14, 6, v6
	s_lshl_b32 s14, s24, 6
	v_add_nc_u32_e32 v3, 12, v5
	v_add_nc_u32_e32 v9, 8, v5
	v_add_nc_u32_e32 v43, 0x1000, v13
	v_subrev_nc_u32_e32 v2, s14, v0
	v_add_nc_u32_e32 v44, 0x1000, v40
	v_mad_i64_i32 v[5:6], null, v3, s4, 0
	v_add_nc_u32_e32 v45, 0x1200, v13
	s_delay_alu instid0(VALU_DEP_4) | instskip(SKIP_4) | instid1(VALU_DEP_4)
	v_mad_i64_i32 v[0:1], null, s23, v2, 0
	v_add_nc_u32_e32 v2, s21, v7
	v_mad_i64_i32 v[7:8], null, v9, s4, 0
	v_lshlrev_b64 v[32:33], 1, v[5:6]
	v_or_b32_e32 v46, 0x800, v42
	v_ashrrev_i32_e32 v3, 31, v2
	v_lshlrev_b64 v[0:1], 1, v[0:1]
	v_lshl_add_u32 v47, v38, 3, 0x1200
	v_lshl_add_u32 v86, v39, 3, 0x800
	v_lshlrev_b64 v[36:37], 1, v[7:8]
	s_add_i32 s10, s10, -8
	s_delay_alu instid0(VALU_DEP_4) | instskip(SKIP_2) | instid1(VALU_DEP_3)
	v_add_co_u32 v4, vcc_lo, v0, v4
	v_add_co_ci_u32_e32 v9, vcc_lo, 0, v1, vcc_lo
	v_lshlrev_b64 v[0:1], 1, v[2:3]
	v_add_co_u32 v2, vcc_lo, v4, s12
	s_delay_alu instid0(VALU_DEP_3) | instskip(SKIP_1) | instid1(VALU_DEP_2)
	v_add_co_ci_u32_e32 v3, vcc_lo, s13, v9, vcc_lo
	s_lshl_b64 s[12:13], s[4:5], 4
	v_add_co_u32 v34, vcc_lo, v2, 16
	s_delay_alu instid0(VALU_DEP_2)
	v_add_co_ci_u32_e32 v35, vcc_lo, 0, v3, vcc_lo
	v_add_co_u32 v108, vcc_lo, s16, v0
	v_add_co_ci_u32_e32 v109, vcc_lo, s17, v1, vcc_lo
	s_mov_b32 s5, 0
	s_and_b32 s4, exec_lo, s22
	s_branch .LBB278_28
.LBB278_26:                             ;   in Loop: Header=BB278_28 Depth=1
	v_add_co_u32 v0, vcc_lo, v108, v32
	v_add_co_ci_u32_e32 v1, vcc_lo, v109, v33, vcc_lo
	s_clause 0x1
	flat_load_u16 v11, v[0:1] offset:256
	flat_load_u16 v1, v[0:1] offset:384
	s_waitcnt vmcnt(1) lgkmcnt(1)
	v_mul_f16_e32 v0, s11, v11
	s_waitcnt vmcnt(0) lgkmcnt(0)
	v_mul_f16_e32 v1, s11, v1
.LBB278_27:                             ;   in Loop: Header=BB278_28 Depth=1
	ds_load_2addr_b64 v[118:121], v44 offset1:8
	ds_load_2addr_b64 v[87:90], v41 offset1:32
	ds_load_2addr_b64 v[122:125], v44 offset0:16 offset1:24
	ds_load_2addr_b64 v[126:129], v44 offset0:32 offset1:40
	;; [unrolled: 1-line block ×6, first 2 shown]
	v_pk_max_f16 v11, v83, v83
	v_pk_max_f16 v17, v81, v81
	;; [unrolled: 1-line block ×13, first 2 shown]
	s_waitcnt lgkmcnt(6)
	v_pk_add_f16 v82, v118, v87
	v_pk_add_f16 v83, v120, v87
	s_waitcnt lgkmcnt(5)
	v_pk_add_f16 v84, v122, v87
	v_pk_add_f16 v85, v124, v87
	;; [unrolled: 3-line block ×4, first 2 shown]
	v_pk_min_f16 v11, v11, v82
	v_pk_min_f16 v17, v17, v83
	;; [unrolled: 1-line block ×5, first 2 shown]
	v_pk_add_f16 v82, v118, v89
	v_pk_add_f16 v83, v120, v89
	;; [unrolled: 1-line block ×5, first 2 shown]
	v_pk_min_f16 v70, v70, v82
	v_pk_min_f16 v77, v77, v83
	;; [unrolled: 1-line block ×5, first 2 shown]
	v_pk_add_f16 v82, v128, v89
	v_pk_add_f16 v83, v130, v89
	v_pk_max_f16 v73, v73, v73
	v_pk_add_f16 v84, v132, v89
	v_pk_max_f16 v71, v71, v71
	s_waitcnt lgkmcnt(2)
	v_pk_add_f16 v85, v118, v134
	v_pk_max_f16 v69, v69, v69
	v_pk_add_f16 v87, v120, v134
	v_pk_max_f16 v67, v67, v67
	v_pk_min_f16 v65, v65, v82
	v_pk_min_f16 v73, v73, v83
	v_pk_min_f16 v71, v71, v84
	v_pk_min_f16 v69, v69, v85
	v_pk_min_f16 v67, v67, v87
	v_pk_add_f16 v82, v122, v134
	v_pk_max_f16 v60, v60, v60
	v_pk_add_f16 v83, v124, v134
	v_pk_max_f16 v68, v68, v68
	v_pk_add_f16 v84, v126, v134
	v_pk_max_f16 v66, v66, v66
	v_pk_add_f16 v85, v128, v134
	v_pk_max_f16 v64, v64, v64
	v_pk_add_f16 v87, v130, v134
	v_pk_max_f16 v62, v62, v62
	v_pk_min_f16 v60, v60, v82
	v_pk_min_f16 v68, v68, v83
	v_pk_min_f16 v66, v66, v84
	v_pk_min_f16 v64, v64, v85
	v_pk_min_f16 v62, v62, v87
	v_pk_add_f16 v82, v132, v134
	v_pk_max_f16 v55, v55, v55
	v_pk_add_f16 v83, v118, v136
	v_pk_max_f16 v63, v63, v63
	v_pk_add_f16 v84, v120, v136
	v_pk_max_f16 v61, v61, v61
	v_pk_add_f16 v85, v122, v136
	v_pk_max_f16 v59, v59, v59
	v_pk_add_f16 v87, v124, v136
	v_pk_max_f16 v57, v57, v57
	v_pk_min_f16 v55, v55, v82
	v_pk_min_f16 v63, v63, v83
	v_pk_min_f16 v61, v61, v84
	v_pk_min_f16 v59, v59, v85
	v_pk_min_f16 v57, v57, v87
	v_pk_add_f16 v82, v126, v136
	v_pk_max_f16 v50, v50, v50
	v_pk_add_f16 v83, v128, v136
	v_pk_max_f16 v58, v58, v58
	v_pk_add_f16 v84, v130, v136
	v_pk_max_f16 v56, v56, v56
	v_pk_add_f16 v85, v132, v136
	v_pk_max_f16 v54, v54, v54
	s_waitcnt lgkmcnt(1)
	v_pk_add_f16 v87, v118, v138
	v_pk_max_f16 v52, v52, v52
	v_pk_min_f16 v50, v50, v82
	v_pk_min_f16 v58, v58, v83
	v_pk_min_f16 v56, v56, v84
	v_pk_min_f16 v54, v54, v85
	v_pk_min_f16 v52, v52, v87
	v_pk_add_f16 v82, v120, v138
	v_pk_max_f16 v29, v29, v29
	v_pk_add_f16 v83, v122, v138
	v_pk_max_f16 v53, v53, v53
	v_pk_add_f16 v84, v124, v138
	v_pk_max_f16 v51, v51, v51
	v_pk_add_f16 v85, v126, v138
	v_pk_max_f16 v49, v49, v49
	v_pk_add_f16 v87, v128, v138
	v_pk_max_f16 v31, v31, v31
	v_pk_min_f16 v29, v29, v82
	v_pk_min_f16 v53, v53, v83
	v_pk_min_f16 v51, v51, v84
	v_pk_min_f16 v49, v49, v85
	v_pk_min_f16 v31, v31, v87
	v_pk_add_f16 v82, v130, v138
	v_pk_max_f16 v24, v24, v24
	v_pk_add_f16 v83, v132, v138
	v_pk_max_f16 v48, v48, v48
	v_pk_add_f16 v84, v118, v140
	v_pk_max_f16 v30, v30, v30
	v_pk_add_f16 v85, v120, v140
	v_pk_max_f16 v28, v28, v28
	;; [unrolled: 15-line block ×3, first 2 shown]
	v_pk_add_f16 v87, v132, v140
	v_pk_max_f16 v21, v21, v21
	v_pk_min_f16 v18, v18, v82
	v_pk_min_f16 v27, v27, v83
	v_pk_min_f16 v25, v25, v84
	v_pk_min_f16 v23, v23, v85
	v_pk_min_f16 v21, v21, v87
	s_waitcnt lgkmcnt(0)
	v_pk_add_f16 v82, v118, v142
	v_pk_max_f16 v12, v12, v12
	v_pk_add_f16 v83, v120, v142
	v_pk_max_f16 v22, v22, v22
	v_pk_add_f16 v84, v122, v142
	v_pk_max_f16 v20, v20, v20
	v_pk_add_f16 v85, v124, v142
	v_pk_max_f16 v16, v16, v16
	v_pk_add_f16 v87, v126, v142
	v_pk_max_f16 v14, v14, v14
	v_pk_min_f16 v12, v12, v82
	v_pk_min_f16 v22, v22, v83
	;; [unrolled: 1-line block ×5, first 2 shown]
	v_pk_add_f16 v82, v128, v142
	v_pk_max_f16 v6, v6, v6
	v_pk_add_f16 v83, v130, v142
	v_pk_max_f16 v15, v15, v15
	;; [unrolled: 2-line block ×5, first 2 shown]
	v_pk_min_f16 v6, v6, v82
	v_pk_min_f16 v15, v15, v83
	v_pk_min_f16 v13, v13, v84
	v_pk_min_f16 v10, v10, v85
	v_pk_min_f16 v8, v8, v87
	v_pk_add_f16 v82, v122, v144
	v_pk_max_f16 v4, v4, v4
	v_pk_add_f16 v83, v124, v144
	v_pk_max_f16 v9, v9, v9
	;; [unrolled: 2-line block ×5, first 2 shown]
	v_pk_max_f16 v80, v80, v80
	v_pk_min_f16 v4, v4, v82
	v_pk_min_f16 v9, v9, v83
	;; [unrolled: 1-line block ×5, first 2 shown]
	v_pk_add_f16 v82, v132, v144
	v_pk_max_f16 v2, v2, v2
	v_pk_add_f16 v83, v119, v88
	v_pk_add_f16 v84, v121, v88
	;; [unrolled: 1-line block ×4, first 2 shown]
	v_pk_min_f16 v79, v79, v91
	v_pk_min_f16 v81, v81, v92
	;; [unrolled: 1-line block ×8, first 2 shown]
	v_pk_add_f16 v11, v127, v88
	v_pk_add_f16 v17, v129, v88
	v_pk_add_f16 v19, v131, v88
	v_pk_add_f16 v78, v133, v88
	v_pk_add_f16 v82, v119, v90
	v_pk_min_f16 v110, v79, v11
	v_pk_min_f16 v107, v81, v17
	v_pk_min_f16 v106, v80, v19
	v_pk_min_f16 v105, v76, v78
	v_pk_min_f16 v104, v70, v82
	v_pk_add_f16 v11, v121, v90
	v_pk_add_f16 v17, v123, v90
	v_pk_add_f16 v19, v125, v90
	v_pk_add_f16 v70, v127, v90
	v_pk_add_f16 v76, v129, v90
	v_pk_min_f16 v103, v77, v11
	v_pk_min_f16 v102, v75, v17
	v_pk_min_f16 v101, v74, v19
	v_pk_min_f16 v100, v72, v70
	v_pk_min_f16 v99, v65, v76
	;; [unrolled: 10-line block ×11, first 2 shown]
	v_pk_add_f16 v4, v125, v145
	v_pk_add_f16 v6, v127, v145
	;; [unrolled: 1-line block ×5, first 2 shown]
	v_add_co_u32 v34, vcc_lo, v34, 16
	v_add_co_ci_u32_e32 v35, vcc_lo, 0, v35, vcc_lo
	v_add_co_u32 v108, vcc_lo, v108, s12
	v_pk_min_f16 v52, v9, v4
	v_pk_min_f16 v51, v7, v6
	;; [unrolled: 1-line block ×5, first 2 shown]
	v_add_co_ci_u32_e32 v109, vcc_lo, s13, v109, vcc_lo
	s_add_i32 s5, s5, 8
	ds_store_b16 v45, v115
	ds_store_b16 v46, v116
	ds_store_b16 v46, v117 offset:512
	ds_store_b16 v46, v0 offset:1024
	;; [unrolled: 1-line block ×3, first 2 shown]
	s_cmp_ge_i32 s5, s10
	s_waitcnt lgkmcnt(0)
	s_barrier
	buffer_gl0_inv
	s_cbranch_scc1 .LBB278_42
.LBB278_28:                             ; =>This Inner Loop Header: Depth=1
	v_mov_b32_e32 v115, 0
	s_and_b32 vcc_lo, exec_lo, s3
	s_cbranch_vccnz .LBB278_30
; %bb.29:                               ;   in Loop: Header=BB278_28 Depth=1
	flat_load_u16 v0, v[34:35]
	s_waitcnt vmcnt(0) lgkmcnt(0)
	v_mul_f16_e32 v115, s11, v0
.LBB278_30:                             ;   in Loop: Header=BB278_28 Depth=1
	s_and_b32 vcc_lo, exec_lo, s3
	s_cbranch_vccnz .LBB278_33
; %bb.31:                               ;   in Loop: Header=BB278_28 Depth=1
	v_add_co_u32 v0, vcc_lo, v108, v36
	v_add_co_ci_u32_e32 v1, vcc_lo, v109, v37, vcc_lo
	s_clause 0x1
	flat_load_u16 v2, v[0:1]
	flat_load_u16 v0, v[0:1] offset:128
	s_waitcnt vmcnt(1) lgkmcnt(1)
	v_mul_f16_e32 v116, s11, v2
	s_waitcnt vmcnt(0) lgkmcnt(0)
	v_mul_f16_e32 v117, s11, v0
	s_and_b32 vcc_lo, exec_lo, s3
	s_cbranch_vccnz .LBB278_34
.LBB278_32:                             ;   in Loop: Header=BB278_28 Depth=1
	v_add_co_u32 v0, vcc_lo, v108, v36
	v_add_co_ci_u32_e32 v1, vcc_lo, v109, v37, vcc_lo
	s_clause 0x1
	flat_load_u16 v2, v[0:1] offset:256
	flat_load_u16 v0, v[0:1] offset:384
	s_waitcnt vmcnt(1) lgkmcnt(1)
	v_mul_f16_e32 v118, s11, v2
	s_waitcnt vmcnt(0) lgkmcnt(0)
	v_mul_f16_e32 v119, s11, v0
	s_branch .LBB278_35
.LBB278_33:                             ;   in Loop: Header=BB278_28 Depth=1
	v_dual_mov_b32 v116, 0 :: v_dual_mov_b32 v117, 0
	s_and_b32 vcc_lo, exec_lo, s3
	s_cbranch_vccz .LBB278_32
.LBB278_34:                             ;   in Loop: Header=BB278_28 Depth=1
	v_dual_mov_b32 v118, 0 :: v_dual_mov_b32 v119, 0
.LBB278_35:                             ;   in Loop: Header=BB278_28 Depth=1
	ds_load_2addr_b64 v[12:15], v47 offset1:8
	ds_load_2addr_b64 v[8:11], v47 offset0:16 offset1:24
	ds_load_2addr_b64 v[4:7], v47 offset0:32 offset1:40
	;; [unrolled: 1-line block ×3, first 2 shown]
	ds_load_2addr_b64 v[28:31], v86 offset1:32
	ds_load_2addr_b64 v[24:27], v86 offset0:64 offset1:96
	ds_load_2addr_b64 v[20:23], v86 offset0:128 offset1:160
	;; [unrolled: 1-line block ×3, first 2 shown]
	s_mov_b32 vcc_lo, s4
	ds_store_b16 v43, v115
	ds_store_b16 v42, v116
	ds_store_b16 v42, v117 offset:512
	ds_store_b16 v42, v118 offset:1024
	;; [unrolled: 1-line block ×3, first 2 shown]
	s_waitcnt lgkmcnt(0)
	s_barrier
	buffer_gl0_inv
	s_cbranch_vccz .LBB278_38
; %bb.36:                               ;   in Loop: Header=BB278_28 Depth=1
	flat_load_u16 v115, v[34:35] offset:8
	s_waitcnt vmcnt(0) lgkmcnt(0)
	v_mul_f16_e32 v115, s11, v115
	s_and_b32 vcc_lo, exec_lo, s3
	s_cbranch_vccnz .LBB278_39
.LBB278_37:                             ;   in Loop: Header=BB278_28 Depth=1
	v_add_co_u32 v116, vcc_lo, v108, v32
	v_add_co_ci_u32_e32 v117, vcc_lo, v109, v33, vcc_lo
	s_clause 0x1
	flat_load_u16 v118, v[116:117]
	flat_load_u16 v117, v[116:117] offset:128
	s_waitcnt vmcnt(1) lgkmcnt(1)
	v_mul_f16_e32 v116, s11, v118
	s_waitcnt vmcnt(0) lgkmcnt(0)
	v_mul_f16_e32 v117, s11, v117
	s_branch .LBB278_40
.LBB278_38:                             ;   in Loop: Header=BB278_28 Depth=1
	v_mov_b32_e32 v115, 0
	s_and_b32 vcc_lo, exec_lo, s3
	s_cbranch_vccz .LBB278_37
.LBB278_39:                             ;   in Loop: Header=BB278_28 Depth=1
	v_dual_mov_b32 v116, 0 :: v_dual_mov_b32 v117, 0
.LBB278_40:                             ;   in Loop: Header=BB278_28 Depth=1
	v_pk_add_f16 v118, v12, v28
	v_pk_max_f16 v114, v114, v114
	v_pk_add_f16 v119, v14, v28
	v_pk_max_f16 v113, v113, v113
	;; [unrolled: 2-line block ×3, first 2 shown]
	v_pk_min_f16 v114, v114, v118
	v_pk_add_f16 v118, v10, v28
	v_pk_min_f16 v113, v113, v119
	v_pk_max_f16 v111, v111, v111
	v_pk_min_f16 v112, v112, v120
	v_pk_add_f16 v119, v4, v28
	v_pk_max_f16 v110, v110, v110
	v_pk_add_f16 v120, v6, v28
	v_pk_add_f16 v121, v0, v28
	;; [unrolled: 1-line block ×3, first 2 shown]
	v_pk_max_f16 v105, v105, v105
	v_pk_max_f16 v107, v107, v107
	;; [unrolled: 1-line block ×3, first 2 shown]
	v_pk_min_f16 v111, v111, v118
	v_pk_min_f16 v110, v110, v119
	;; [unrolled: 1-line block ×3, first 2 shown]
	v_pk_add_f16 v105, v12, v30
	v_pk_max_f16 v104, v104, v104
	v_pk_add_f16 v118, v14, v30
	v_pk_max_f16 v103, v103, v103
	;; [unrolled: 2-line block ×3, first 2 shown]
	v_pk_min_f16 v107, v107, v120
	v_pk_min_f16 v106, v106, v121
	v_pk_add_f16 v120, v10, v30
	v_pk_max_f16 v101, v101, v101
	v_pk_add_f16 v121, v4, v30
	v_pk_min_f16 v104, v104, v105
	v_pk_min_f16 v103, v103, v118
	;; [unrolled: 1-line block ×3, first 2 shown]
	v_pk_add_f16 v105, v6, v30
	v_pk_max_f16 v99, v99, v99
	v_pk_add_f16 v118, v0, v30
	v_pk_add_f16 v30, v2, v30
	v_pk_max_f16 v97, v97, v97
	v_pk_add_f16 v119, v12, v24
	v_pk_max_f16 v96, v96, v96
	v_pk_min_f16 v101, v101, v120
	v_pk_max_f16 v98, v98, v98
	v_pk_add_f16 v120, v14, v24
	v_pk_max_f16 v95, v95, v95
	v_pk_min_f16 v99, v99, v105
	v_pk_min_f16 v30, v97, v30
	;; [unrolled: 1-line block ×3, first 2 shown]
	v_pk_add_f16 v97, v8, v24
	v_pk_max_f16 v94, v94, v94
	v_pk_add_f16 v105, v10, v24
	v_pk_max_f16 v93, v93, v93
	v_pk_add_f16 v119, v6, v24
	v_pk_max_f16 v91, v91, v91
	v_pk_min_f16 v98, v98, v118
	v_pk_min_f16 v95, v95, v120
	v_pk_add_f16 v118, v4, v24
	v_pk_max_f16 v92, v92, v92
	v_pk_add_f16 v120, v0, v24
	v_pk_min_f16 v94, v94, v97
	v_pk_min_f16 v93, v93, v105
	;; [unrolled: 1-line block ×3, first 2 shown]
	v_pk_add_f16 v24, v2, v24
	v_pk_max_f16 v89, v89, v89
	v_pk_add_f16 v97, v12, v26
	v_pk_max_f16 v88, v88, v88
	;; [unrolled: 2-line block ×4, first 2 shown]
	v_pk_min_f16 v92, v92, v118
	v_pk_add_f16 v118, v8, v26
	v_pk_min_f16 v24, v89, v24
	v_pk_min_f16 v88, v88, v97
	;; [unrolled: 1-line block ×4, first 2 shown]
	v_pk_add_f16 v84, v4, v26
	v_pk_add_f16 v97, v6, v26
	;; [unrolled: 1-line block ×3, first 2 shown]
	v_pk_max_f16 v81, v81, v81
	v_pk_add_f16 v26, v2, v26
	v_pk_max_f16 v80, v80, v80
	v_pk_max_f16 v100, v100, v100
	;; [unrolled: 1-line block ×5, first 2 shown]
	v_pk_min_f16 v105, v81, v105
	v_pk_min_f16 v26, v80, v26
	v_pk_add_f16 v80, v8, v20
	v_pk_max_f16 v77, v77, v77
	v_pk_add_f16 v81, v10, v20
	v_pk_max_f16 v76, v76, v76
	v_pk_min_f16 v100, v100, v121
	v_pk_min_f16 v85, v85, v118
	v_pk_add_f16 v118, v12, v20
	v_pk_max_f16 v79, v79, v79
	v_pk_min_f16 v119, v83, v84
	v_pk_min_f16 v97, v82, v97
	v_pk_add_f16 v82, v4, v20
	v_pk_max_f16 v75, v75, v75
	v_pk_add_f16 v83, v6, v20
	v_pk_max_f16 v74, v74, v74
	v_pk_min_f16 v121, v77, v80
	v_pk_min_f16 v122, v76, v81
	v_pk_add_f16 v76, v14, v22
	v_pk_max_f16 v70, v70, v70
	v_pk_add_f16 v77, v8, v22
	v_pk_max_f16 v69, v69, v69
	v_pk_min_f16 v118, v79, v118
	v_pk_add_f16 v79, v14, v20
	v_pk_min_f16 v123, v75, v82
	v_pk_min_f16 v124, v74, v83
	v_pk_add_f16 v74, v0, v20
	v_pk_add_f16 v20, v2, v20
	v_pk_max_f16 v72, v72, v72
	v_pk_add_f16 v75, v12, v22
	v_pk_max_f16 v71, v71, v71
	v_pk_min_f16 v127, v70, v76
	v_pk_min_f16 v128, v69, v77
	v_pk_add_f16 v69, v10, v22
	v_pk_max_f16 v68, v68, v68
	v_pk_add_f16 v70, v4, v22
	v_pk_max_f16 v67, v67, v67
	v_pk_min_f16 v20, v72, v20
	v_pk_min_f16 v126, v71, v75
	v_pk_add_f16 v71, v6, v22
	v_pk_max_f16 v66, v66, v66
	v_pk_add_f16 v72, v0, v22
	v_pk_max_f16 v65, v65, v65
	;; [unrolled: 2-line block ×3, first 2 shown]
	v_pk_min_f16 v129, v68, v69
	v_pk_min_f16 v130, v67, v70
	v_pk_add_f16 v67, v10, v16
	v_pk_max_f16 v60, v60, v60
	v_pk_add_f16 v68, v4, v16
	v_pk_max_f16 v59, v59, v59
	v_pk_min_f16 v131, v66, v71
	v_pk_min_f16 v132, v65, v72
	;; [unrolled: 1-line block ×3, first 2 shown]
	v_pk_add_f16 v64, v12, v16
	v_pk_add_f16 v65, v14, v16
	;; [unrolled: 1-line block ×3, first 2 shown]
	v_pk_min_f16 v136, v60, v67
	v_pk_min_f16 v137, v59, v68
	v_pk_add_f16 v59, v6, v16
	v_pk_add_f16 v60, v0, v16
	v_pk_add_f16 v16, v2, v16
	v_pk_max_f16 v56, v56, v56
	v_pk_add_f16 v12, v12, v18
	v_pk_max_f16 v55, v55, v55
	v_pk_add_f16 v14, v14, v18
	v_pk_max_f16 v54, v54, v54
	v_pk_min_f16 v140, v56, v16
	v_pk_add_f16 v8, v8, v18
	v_pk_min_f16 v141, v55, v12
	v_pk_max_f16 v12, v53, v53
	v_pk_add_f16 v4, v4, v18
	v_pk_max_f16 v16, v51, v51
	v_pk_min_f16 v142, v54, v14
	v_pk_add_f16 v10, v10, v18
	v_pk_max_f16 v14, v52, v52
	v_pk_add_f16 v6, v6, v18
	v_pk_max_f16 v50, v50, v50
	v_pk_min_f16 v143, v12, v8
	v_pk_min_f16 v145, v16, v4
	v_pk_add_f16 v2, v2, v18
	v_pk_max_f16 v4, v48, v48
	v_pk_add_f16 v8, v15, v29
	v_pk_max_f16 v90, v90, v90
	v_pk_max_f16 v78, v78, v78
	v_pk_min_f16 v144, v14, v10
	v_pk_min_f16 v146, v50, v6
	v_pk_add_f16 v6, v13, v29
	v_pk_add_f16 v10, v9, v29
	v_pk_min_f16 v2, v4, v2
	v_pk_min_f16 v81, v113, v8
	v_pk_add_f16 v4, v5, v29
	v_pk_add_f16 v8, v1, v29
	v_pk_min_f16 v90, v90, v120
	v_pk_min_f16 v120, v78, v79
	v_pk_max_f16 v73, v73, v73
	v_pk_add_f16 v12, v11, v29
	v_pk_min_f16 v83, v114, v6
	v_pk_min_f16 v79, v112, v10
	v_pk_add_f16 v6, v7, v29
	v_pk_add_f16 v10, v3, v29
	v_pk_min_f16 v84, v110, v4
	v_pk_min_f16 v80, v106, v8
	v_pk_add_f16 v4, v15, v31
	;; [unrolled: 4-line block ×3, first 2 shown]
	v_pk_min_f16 v82, v107, v6
	v_pk_min_f16 v76, v28, v10
	v_pk_add_f16 v6, v9, v31
	v_pk_add_f16 v10, v5, v31
	v_pk_min_f16 v77, v103, v4
	v_pk_min_f16 v74, v101, v8
	v_pk_add_f16 v4, v1, v31
	v_pk_add_f16 v8, v13, v25
	v_pk_max_f16 v63, v63, v63
	v_pk_max_f16 v62, v62, v62
	v_pk_min_f16 v70, v104, v12
	v_pk_add_f16 v12, v7, v31
	v_pk_min_f16 v75, v102, v6
	v_pk_min_f16 v72, v100, v10
	v_pk_add_f16 v6, v3, v31
	v_pk_add_f16 v10, v15, v25
	v_pk_min_f16 v73, v98, v4
	v_pk_min_f16 v69, v96, v8
	v_pk_add_f16 v4, v11, v25
	v_pk_add_f16 v8, v7, v25
	v_pk_max_f16 v61, v61, v61
	v_pk_min_f16 v133, v63, v64
	v_pk_min_f16 v134, v62, v65
	v_pk_max_f16 v58, v58, v58
	v_pk_max_f16 v57, v57, v57
	v_pk_min_f16 v65, v99, v12
	v_pk_add_f16 v12, v9, v25
	v_pk_min_f16 v71, v30, v6
	v_pk_min_f16 v67, v95, v10
	v_pk_add_f16 v6, v5, v25
	v_pk_add_f16 v10, v1, v25
	v_pk_min_f16 v68, v93, v4
	v_pk_min_f16 v64, v91, v8
	v_pk_add_f16 v4, v13, v27
	v_pk_add_f16 v8, v9, v27
	v_pk_min_f16 v135, v61, v66
	v_pk_min_f16 v138, v58, v59
	;; [unrolled: 1-line block ×4, first 2 shown]
	v_pk_add_f16 v12, v3, v25
	v_pk_min_f16 v66, v92, v6
	v_pk_min_f16 v62, v90, v10
	v_pk_add_f16 v6, v15, v27
	v_pk_add_f16 v10, v11, v27
	v_pk_min_f16 v63, v88, v4
	v_pk_min_f16 v59, v85, v8
	v_pk_add_f16 v4, v7, v27
	v_pk_add_f16 v8, v3, v27
	;; [unrolled: 1-line block ×3, first 2 shown]
	v_pk_max_f16 v49, v49, v49
	v_pk_min_f16 v55, v24, v12
	v_pk_add_f16 v12, v5, v27
	v_pk_min_f16 v61, v87, v6
	v_pk_min_f16 v57, v89, v10
	v_pk_add_f16 v6, v1, v27
	v_pk_add_f16 v10, v13, v21
	v_pk_min_f16 v58, v97, v4
	v_pk_min_f16 v54, v26, v8
	v_pk_add_f16 v4, v9, v21
	;; [unrolled: 4-line block ×3, first 2 shown]
	v_pk_min_f16 v56, v105, v6
	v_pk_min_f16 v52, v118, v10
	v_pk_add_f16 v6, v11, v21
	v_pk_add_f16 v10, v7, v21
	v_pk_min_f16 v53, v121, v4
	v_pk_min_f16 v49, v123, v8
	v_pk_add_f16 v4, v3, v21
	v_pk_add_f16 v8, v15, v23
	v_pk_min_f16 v29, v120, v12
	v_pk_add_f16 v12, v1, v21
	v_pk_min_f16 v51, v122, v6
	v_pk_min_f16 v31, v124, v10
	v_pk_add_f16 v6, v13, v23
	v_pk_add_f16 v10, v9, v23
	v_pk_min_f16 v48, v20, v4
	v_pk_min_f16 v28, v127, v8
	v_pk_add_f16 v4, v5, v23
	v_pk_add_f16 v8, v1, v23
	v_pk_min_f16 v24, v125, v12
	v_pk_add_f16 v12, v11, v23
	v_pk_min_f16 v30, v126, v6
	v_pk_min_f16 v26, v128, v10
	v_pk_add_f16 v6, v7, v23
	v_pk_add_f16 v10, v3, v23
	v_pk_min_f16 v27, v130, v4
	v_pk_min_f16 v23, v132, v8
	v_pk_add_f16 v4, v15, v17
	v_pk_add_f16 v8, v11, v17
	v_pk_min_f16 v18, v129, v12
	v_pk_add_f16 v12, v13, v17
	v_pk_min_f16 v25, v131, v6
	v_pk_min_f16 v21, v22, v10
	v_pk_add_f16 v6, v9, v17
	v_pk_add_f16 v10, v5, v17
	;; [unrolled: 1-line block ×3, first 2 shown]
	v_pk_min_f16 v22, v134, v4
	v_pk_min_f16 v16, v136, v8
	v_pk_add_f16 v4, v1, v17
	v_pk_add_f16 v8, v3, v17
	;; [unrolled: 1-line block ×4, first 2 shown]
	v_pk_min_f16 v14, v137, v10
	v_pk_add_f16 v10, v13, v19
	v_pk_min_f16 v15, v139, v4
	v_pk_min_f16 v13, v140, v8
	;; [unrolled: 1-line block ×4, first 2 shown]
	v_pk_add_f16 v9, v11, v19
	v_pk_add_f16 v5, v5, v19
	;; [unrolled: 1-line block ×5, first 2 shown]
	v_pk_min_f16 v12, v133, v12
	v_pk_min_f16 v20, v135, v6
	;; [unrolled: 1-line block ×9, first 2 shown]
	s_and_b32 vcc_lo, exec_lo, s3
	s_cbranch_vccz .LBB278_26
; %bb.41:                               ;   in Loop: Header=BB278_28 Depth=1
	v_dual_mov_b32 v0, 0 :: v_dual_mov_b32 v1, 0
	s_branch .LBB278_27
.LBB278_42:
	s_load_b32 s4, s[0:1], 0x50
	v_add_nc_u32_e32 v86, s21, v39
	ds_load_b64 v[28:29], v40 offset:4608
	ds_load_b64 v[46:47], v41 offset:2048
	v_add_nc_u32_e32 v44, s20, v38
	v_cmp_neq_f16_e64 s10, s18, 0
	v_mov_b32_e32 v34, 0
	v_mov_b32_e32 v32, 0
	s_delay_alu instid0(VALU_DEP_4) | instskip(NEXT) | instid1(VALU_DEP_4)
	v_ashrrev_i32_e32 v45, 31, v44
	s_and_b32 vcc_lo, exec_lo, s10
	s_delay_alu instid0(VALU_DEP_1) | instskip(SKIP_2) | instid1(VALU_DEP_1)
	v_lshlrev_b64 v[30:31], 1, v[44:45]
	s_waitcnt lgkmcnt(0)
	v_mad_i64_i32 v[0:1], null, v86, s4, 0
	v_lshlrev_b64 v[0:1], 1, v[0:1]
	s_delay_alu instid0(VALU_DEP_1) | instskip(NEXT) | instid1(VALU_DEP_1)
	v_add_co_u32 v108, s3, s8, v0
	v_add_co_ci_u32_e64 v109, s3, s9, v1, s3
	s_cbranch_vccz .LBB278_44
; %bb.43:
	s_delay_alu instid0(VALU_DEP_2) | instskip(NEXT) | instid1(VALU_DEP_2)
	v_add_co_u32 v0, vcc_lo, v108, v30
	v_add_co_ci_u32_e32 v1, vcc_lo, v109, v31, vcc_lo
	flat_load_u16 v0, v[0:1]
	s_waitcnt vmcnt(0) lgkmcnt(0)
	v_mul_f16_e32 v32, s18, v0
.LBB278_44:
	s_clause 0x1
	s_load_b32 s3, s[0:1], 0x68
	s_load_b64 s[0:1], s[0:1], 0x70
	v_add_nc_u32_e32 v0, 0x1000, v40
	v_pk_add_f16 v13, v28, v46
	v_pk_max_f16 v14, v114, v114
	v_add_nc_u32_e32 v12, 0x800, v41
	ds_load_b64 v[24:25], v40 offset:5056
	ds_load_b64 v[26:27], v41 offset:3840
	ds_load_2addr_b64 v[8:11], v0 offset0:72 offset1:80
	ds_load_2addr_b64 v[4:7], v0 offset0:88 offset1:96
	ds_load_2addr_b64 v[0:3], v0 offset0:104 offset1:112
	ds_load_2addr_b64 v[20:23], v12 offset0:32 offset1:64
	ds_load_2addr_b64 v[16:19], v12 offset0:96 offset1:128
	v_pk_add_f16 v33, v29, v47
	v_pk_min_f16 v40, v14, v13
	ds_load_2addr_b64 v[12:15], v12 offset0:160 offset1:192
	v_add_nc_u32_e32 v35, 8, v44
	v_cndmask_b32_e64 v39, 0, 1, s10
	v_pk_min_f16 v33, v40, v33
	s_delay_alu instid0(VALU_DEP_3) | instskip(NEXT) | instid1(VALU_DEP_2)
	v_ashrrev_i32_e32 v36, 31, v35
	v_lshrrev_b32_e32 v40, 16, v33
	s_waitcnt lgkmcnt(0)
	v_mad_i64_i32 v[37:38], null, v86, s3, 0
	s_mul_i32 s1, s15, s1
	s_mul_hi_u32 s5, s15, s0
	s_mul_i32 s11, s19, s0
	s_add_i32 s1, s5, s1
	s_mul_i32 s0, s15, s0
	s_add_i32 s1, s1, s11
	s_delay_alu instid0(VALU_DEP_1)
	v_lshlrev_b64 v[37:38], 1, v[37:38]
	s_lshl_b64 s[12:13], s[0:1], 1
	v_min3_f16 v40, v32, v33, v40
	s_add_u32 s1, s6, s12
	s_addc_u32 s5, s7, s13
	v_lshlrev_b64 v[32:33], 1, v[35:36]
	v_add_co_u32 v114, vcc_lo, s1, v37
	v_add_co_ci_u32_e32 v115, vcc_lo, s5, v38, vcc_lo
	v_cmp_ne_u32_e64 s0, 1, v39
	s_delay_alu instid0(VALU_DEP_3) | instskip(NEXT) | instid1(VALU_DEP_3)
	v_add_co_u32 v37, vcc_lo, v114, v30
	v_add_co_ci_u32_e32 v38, vcc_lo, v115, v31, vcc_lo
	s_and_not1_b32 vcc_lo, exec_lo, s10
	global_store_b16 v[37:38], v40, off
	s_cbranch_vccnz .LBB278_46
; %bb.45:
	v_add_co_u32 v34, vcc_lo, v108, v32
	v_add_co_ci_u32_e32 v35, vcc_lo, v109, v33, vcc_lo
	flat_load_u16 v34, v[34:35]
	s_waitcnt vmcnt(0) lgkmcnt(0)
	v_mul_f16_e32 v34, s18, v34
.LBB278_46:
	v_pk_add_f16 v35, v8, v46
	v_pk_max_f16 v36, v113, v113
	v_pk_add_f16 v37, v9, v47
	v_add_co_u32 v38, vcc_lo, v114, v32
	v_add_co_ci_u32_e32 v39, vcc_lo, v115, v33, vcc_lo
	s_delay_alu instid0(VALU_DEP_4) | instskip(SKIP_2) | instid1(VALU_DEP_2)
	v_pk_min_f16 v36, v36, v35
	v_add_nc_u32_e32 v35, 16, v44
	s_and_b32 vcc_lo, exec_lo, s0
	v_pk_min_f16 v40, v36, v37
	s_delay_alu instid0(VALU_DEP_2) | instskip(SKIP_1) | instid1(VALU_DEP_3)
	v_ashrrev_i32_e32 v36, 31, v35
	v_mov_b32_e32 v37, 0
	v_lshrrev_b32_e32 v41, 16, v40
	s_delay_alu instid0(VALU_DEP_1) | instskip(NEXT) | instid1(VALU_DEP_4)
	v_min3_f16 v40, v34, v40, v41
	v_lshlrev_b64 v[34:35], 1, v[35:36]
	v_mov_b32_e32 v36, 0
	global_store_b16 v[38:39], v40, off
	s_cbranch_vccnz .LBB278_48
; %bb.47:
	v_add_co_u32 v38, vcc_lo, v108, v34
	v_add_co_ci_u32_e32 v39, vcc_lo, v109, v35, vcc_lo
	flat_load_u16 v36, v[38:39]
	s_waitcnt vmcnt(0) lgkmcnt(0)
	v_mul_f16_e32 v36, s18, v36
.LBB278_48:
	v_pk_add_f16 v38, v10, v46
	v_pk_max_f16 v39, v112, v112
	v_pk_add_f16 v40, v11, v47
	v_add_co_u32 v42, vcc_lo, v114, v34
	v_add_co_ci_u32_e32 v43, vcc_lo, v115, v35, vcc_lo
	s_delay_alu instid0(VALU_DEP_4) | instskip(SKIP_2) | instid1(VALU_DEP_2)
	v_pk_min_f16 v39, v39, v38
	v_add_nc_u32_e32 v38, 24, v44
	s_and_b32 vcc_lo, exec_lo, s0
	v_pk_min_f16 v40, v39, v40
	s_delay_alu instid0(VALU_DEP_2) | instskip(NEXT) | instid1(VALU_DEP_2)
	v_ashrrev_i32_e32 v39, 31, v38
	v_lshrrev_b32_e32 v41, 16, v40
	s_delay_alu instid0(VALU_DEP_1) | instskip(NEXT) | instid1(VALU_DEP_3)
	v_min3_f16 v36, v36, v40, v41
	v_lshlrev_b64 v[40:41], 1, v[38:39]
	global_store_b16 v[42:43], v36, off
	s_cbranch_vccnz .LBB278_50
; %bb.49:
	v_add_co_u32 v36, vcc_lo, v108, v40
	v_add_co_ci_u32_e32 v37, vcc_lo, v109, v41, vcc_lo
	flat_load_u16 v36, v[36:37]
	s_waitcnt vmcnt(0) lgkmcnt(0)
	v_mul_f16_e32 v37, s18, v36
.LBB278_50:
	v_pk_add_f16 v36, v4, v46
	v_pk_max_f16 v38, v111, v111
	v_pk_add_f16 v39, v5, v47
	v_add_co_u32 v111, vcc_lo, v114, v40
	v_add_co_ci_u32_e32 v112, vcc_lo, v115, v41, vcc_lo
	s_delay_alu instid0(VALU_DEP_4) | instskip(SKIP_2) | instid1(VALU_DEP_2)
	v_pk_min_f16 v36, v38, v36
	v_add_nc_u32_e32 v38, 32, v44
	s_and_b32 vcc_lo, exec_lo, s0
	v_pk_min_f16 v42, v36, v39
	v_mov_b32_e32 v36, 0
	s_delay_alu instid0(VALU_DEP_2) | instskip(NEXT) | instid1(VALU_DEP_1)
	v_lshrrev_b32_e32 v43, 16, v42
	v_min3_f16 v45, v37, v42, v43
	v_mov_b32_e32 v37, 0
	v_ashrrev_i32_e32 v39, 31, v38
	global_store_b16 v[111:112], v45, off
	v_lshlrev_b64 v[42:43], 1, v[38:39]
	s_cbranch_vccnz .LBB278_52
; %bb.51:
	s_delay_alu instid0(VALU_DEP_1) | instskip(NEXT) | instid1(VALU_DEP_2)
	v_add_co_u32 v37, vcc_lo, v108, v42
	v_add_co_ci_u32_e32 v38, vcc_lo, v109, v43, vcc_lo
	flat_load_u16 v37, v[37:38]
	s_waitcnt vmcnt(0) lgkmcnt(0)
	v_mul_f16_e32 v37, s18, v37
.LBB278_52:
	v_pk_add_f16 v38, v6, v46
	v_pk_max_f16 v39, v110, v110
	v_pk_add_f16 v45, v7, v47
	s_delay_alu instid0(VALU_DEP_4) | instskip(SKIP_1) | instid1(VALU_DEP_4)
	v_add_co_u32 v110, vcc_lo, v114, v42
	v_add_co_ci_u32_e32 v111, vcc_lo, v115, v43, vcc_lo
	v_pk_min_f16 v39, v39, v38
	v_add_nc_u32_e32 v38, 40, v44
	s_and_b32 vcc_lo, exec_lo, s0
	s_delay_alu instid0(VALU_DEP_2) | instskip(NEXT) | instid1(VALU_DEP_2)
	v_pk_min_f16 v45, v39, v45
	v_ashrrev_i32_e32 v39, 31, v38
	s_delay_alu instid0(VALU_DEP_2) | instskip(NEXT) | instid1(VALU_DEP_2)
	v_lshrrev_b32_e32 v112, 16, v45
	v_lshlrev_b64 v[38:39], 1, v[38:39]
	s_delay_alu instid0(VALU_DEP_2)
	v_min3_f16 v37, v37, v45, v112
	global_store_b16 v[110:111], v37, off
	s_cbranch_vccnz .LBB278_54
; %bb.53:
	v_add_co_u32 v36, vcc_lo, v108, v38
	v_add_co_ci_u32_e32 v37, vcc_lo, v109, v39, vcc_lo
	flat_load_u16 v36, v[36:37]
	s_waitcnt vmcnt(0) lgkmcnt(0)
	v_mul_f16_e32 v36, s18, v36
.LBB278_54:
	v_pk_add_f16 v37, v0, v46
	v_pk_max_f16 v45, v107, v107
	v_pk_add_f16 v107, v1, v47
	v_add_nc_u32_e32 v110, 48, v44
	v_add_co_u32 v112, vcc_lo, v114, v38
	s_delay_alu instid0(VALU_DEP_4) | instskip(SKIP_2) | instid1(VALU_DEP_2)
	v_pk_min_f16 v37, v45, v37
	v_add_co_ci_u32_e32 v113, vcc_lo, v115, v39, vcc_lo
	s_and_b32 vcc_lo, exec_lo, s0
	v_pk_min_f16 v37, v37, v107
	v_mov_b32_e32 v107, 0
	v_ashrrev_i32_e32 v111, 31, v110
	s_delay_alu instid0(VALU_DEP_3) | instskip(NEXT) | instid1(VALU_DEP_1)
	v_lshrrev_b32_e32 v45, 16, v37
	v_min3_f16 v116, v36, v37, v45
	s_delay_alu instid0(VALU_DEP_3)
	v_lshlrev_b64 v[36:37], 1, v[110:111]
	v_mov_b32_e32 v45, 0
	global_store_b16 v[112:113], v116, off
	s_cbranch_vccnz .LBB278_56
; %bb.55:
	v_add_co_u32 v110, vcc_lo, v108, v36
	v_add_co_ci_u32_e32 v111, vcc_lo, v109, v37, vcc_lo
	flat_load_u16 v45, v[110:111]
	s_waitcnt vmcnt(0) lgkmcnt(0)
	v_mul_f16_e32 v45, s18, v45
.LBB278_56:
	v_pk_add_f16 v110, v2, v46
	v_pk_max_f16 v106, v106, v106
	v_pk_add_f16 v111, v3, v47
	v_add_co_u32 v112, vcc_lo, v114, v36
	v_add_co_ci_u32_e32 v113, vcc_lo, v115, v37, vcc_lo
	s_delay_alu instid0(VALU_DEP_4) | instskip(SKIP_2) | instid1(VALU_DEP_2)
	v_pk_min_f16 v106, v106, v110
	v_add_nc_u32_e32 v110, 56, v44
	s_and_b32 vcc_lo, exec_lo, s0
	v_pk_min_f16 v44, v106, v111
	s_delay_alu instid0(VALU_DEP_2) | instskip(NEXT) | instid1(VALU_DEP_2)
	v_ashrrev_i32_e32 v111, 31, v110
	v_lshrrev_b32_e32 v106, 16, v44
	s_delay_alu instid0(VALU_DEP_1) | instskip(NEXT) | instid1(VALU_DEP_3)
	v_min3_f16 v106, v45, v44, v106
	v_lshlrev_b64 v[44:45], 1, v[110:111]
	global_store_b16 v[112:113], v106, off
	s_cbranch_vccnz .LBB278_58
; %bb.57:
	v_add_co_u32 v106, vcc_lo, v108, v44
	v_add_co_ci_u32_e32 v107, vcc_lo, v109, v45, vcc_lo
	flat_load_u16 v106, v[106:107]
	s_waitcnt vmcnt(0) lgkmcnt(0)
	v_mul_f16_e32 v107, s18, v106
.LBB278_58:
	v_add_nc_u32_e32 v108, 32, v86
	v_pk_add_f16 v46, v24, v46
	v_pk_max_f16 v109, v105, v105
	v_pk_add_f16 v47, v25, v47
	s_delay_alu instid0(VALU_DEP_4) | instskip(NEXT) | instid1(VALU_DEP_3)
	v_mad_i64_i32 v[105:106], null, v108, s4, 0
	v_pk_min_f16 v46, v109, v46
	v_add_co_u32 v109, vcc_lo, v114, v44
	v_add_co_ci_u32_e32 v110, vcc_lo, v115, v45, vcc_lo
	s_delay_alu instid0(VALU_DEP_3) | instskip(SKIP_2) | instid1(VALU_DEP_3)
	v_pk_min_f16 v111, v46, v47
	v_lshlrev_b64 v[46:47], 1, v[105:106]
	v_mov_b32_e32 v106, 0
	v_lshrrev_b32_e32 v105, 16, v111
	s_delay_alu instid0(VALU_DEP_3) | instskip(NEXT) | instid1(VALU_DEP_4)
	v_add_co_u32 v46, vcc_lo, s8, v46
	v_add_co_ci_u32_e32 v47, vcc_lo, s9, v47, vcc_lo
	s_delay_alu instid0(VALU_DEP_3)
	v_min3_f16 v105, v107, v111, v105
	v_mov_b32_e32 v107, 0
	s_and_b32 vcc_lo, exec_lo, s0
	global_store_b16 v[109:110], v105, off
	s_cbranch_vccnz .LBB278_60
; %bb.59:
	v_add_co_u32 v109, vcc_lo, v46, v30
	v_add_co_ci_u32_e32 v110, vcc_lo, v47, v31, vcc_lo
	flat_load_u16 v105, v[109:110]
	s_waitcnt vmcnt(0) lgkmcnt(0)
	v_mul_f16_e32 v107, s18, v105
.LBB278_60:
	v_pk_add_f16 v109, v28, v20
	v_pk_max_f16 v110, v104, v104
	v_mad_i64_i32 v[104:105], null, v108, s3, 0
	v_pk_add_f16 v108, v29, v21
	s_delay_alu instid0(VALU_DEP_3) | instskip(NEXT) | instid1(VALU_DEP_3)
	v_pk_min_f16 v109, v110, v109
	v_lshlrev_b64 v[104:105], 1, v[104:105]
	s_delay_alu instid0(VALU_DEP_2) | instskip(NEXT) | instid1(VALU_DEP_2)
	v_pk_min_f16 v108, v109, v108
	v_add_co_u32 v104, vcc_lo, s1, v104
	s_delay_alu instid0(VALU_DEP_2) | instskip(NEXT) | instid1(VALU_DEP_4)
	v_lshrrev_b32_e32 v109, 16, v108
	v_add_co_ci_u32_e32 v105, vcc_lo, s5, v105, vcc_lo
	s_delay_alu instid0(VALU_DEP_2) | instskip(NEXT) | instid1(VALU_DEP_4)
	v_min3_f16 v109, v107, v108, v109
	v_add_co_u32 v107, vcc_lo, v104, v30
	s_delay_alu instid0(VALU_DEP_3)
	v_add_co_ci_u32_e32 v108, vcc_lo, v105, v31, vcc_lo
	s_and_b32 vcc_lo, exec_lo, s0
	global_store_b16 v[107:108], v109, off
	s_cbranch_vccnz .LBB278_62
; %bb.61:
	v_add_co_u32 v106, vcc_lo, v46, v32
	v_add_co_ci_u32_e32 v107, vcc_lo, v47, v33, vcc_lo
	flat_load_u16 v106, v[106:107]
	s_waitcnt vmcnt(0) lgkmcnt(0)
	v_mul_f16_e32 v106, s18, v106
.LBB278_62:
	v_pk_add_f16 v107, v8, v20
	v_pk_max_f16 v103, v103, v103
	v_pk_add_f16 v108, v9, v21
	s_delay_alu instid0(VALU_DEP_2) | instskip(SKIP_1) | instid1(VALU_DEP_2)
	v_pk_min_f16 v103, v103, v107
	v_add_co_u32 v107, vcc_lo, v104, v32
	v_pk_min_f16 v103, v103, v108
	v_add_co_ci_u32_e32 v108, vcc_lo, v105, v33, vcc_lo
	s_and_b32 vcc_lo, exec_lo, s0
	s_delay_alu instid0(VALU_DEP_2) | instskip(NEXT) | instid1(VALU_DEP_1)
	v_lshrrev_b32_e32 v109, 16, v103
	v_min3_f16 v109, v106, v103, v109
	v_dual_mov_b32 v103, 0 :: v_dual_mov_b32 v106, 0
	global_store_b16 v[107:108], v109, off
	s_cbranch_vccnz .LBB278_64
; %bb.63:
	v_add_co_u32 v106, vcc_lo, v46, v34
	v_add_co_ci_u32_e32 v107, vcc_lo, v47, v35, vcc_lo
	flat_load_u16 v106, v[106:107]
	s_waitcnt vmcnt(0) lgkmcnt(0)
	v_mul_f16_e32 v106, s18, v106
.LBB278_64:
	v_pk_add_f16 v107, v10, v20
	v_pk_max_f16 v102, v102, v102
	v_pk_add_f16 v108, v11, v21
	s_delay_alu instid0(VALU_DEP_2) | instskip(NEXT) | instid1(VALU_DEP_1)
	v_pk_min_f16 v102, v102, v107
	v_pk_min_f16 v102, v102, v108
	s_delay_alu instid0(VALU_DEP_1) | instskip(NEXT) | instid1(VALU_DEP_1)
	v_lshrrev_b32_e32 v107, 16, v102
	v_min3_f16 v102, v106, v102, v107
	v_add_co_u32 v106, vcc_lo, v104, v34
	v_add_co_ci_u32_e32 v107, vcc_lo, v105, v35, vcc_lo
	s_and_b32 vcc_lo, exec_lo, s0
	global_store_b16 v[106:107], v102, off
	s_cbranch_vccnz .LBB278_66
; %bb.65:
	v_add_co_u32 v102, vcc_lo, v46, v40
	v_add_co_ci_u32_e32 v103, vcc_lo, v47, v41, vcc_lo
	flat_load_u16 v102, v[102:103]
	s_waitcnt vmcnt(0) lgkmcnt(0)
	v_mul_f16_e32 v103, s18, v102
.LBB278_66:
	v_pk_add_f16 v102, v4, v20
	v_pk_max_f16 v101, v101, v101
	v_pk_add_f16 v106, v5, v21
	s_delay_alu instid0(VALU_DEP_2) | instskip(NEXT) | instid1(VALU_DEP_1)
	v_pk_min_f16 v101, v101, v102
	v_pk_min_f16 v101, v101, v106
	v_add_co_u32 v106, vcc_lo, v104, v40
	v_add_co_ci_u32_e32 v107, vcc_lo, v105, v41, vcc_lo
	s_delay_alu instid0(VALU_DEP_3) | instskip(SKIP_1) | instid1(VALU_DEP_1)
	v_lshrrev_b32_e32 v102, 16, v101
	s_and_b32 vcc_lo, exec_lo, s0
	v_min3_f16 v103, v103, v101, v102
	v_dual_mov_b32 v101, 0 :: v_dual_mov_b32 v102, 0
	global_store_b16 v[106:107], v103, off
	s_cbranch_vccnz .LBB278_68
; %bb.67:
	v_add_co_u32 v102, vcc_lo, v46, v42
	v_add_co_ci_u32_e32 v103, vcc_lo, v47, v43, vcc_lo
	flat_load_u16 v102, v[102:103]
	s_waitcnt vmcnt(0) lgkmcnt(0)
	v_mul_f16_e32 v102, s18, v102
.LBB278_68:
	v_pk_add_f16 v103, v6, v20
	v_pk_max_f16 v100, v100, v100
	v_pk_add_f16 v106, v7, v21
	s_delay_alu instid0(VALU_DEP_2) | instskip(NEXT) | instid1(VALU_DEP_1)
	v_pk_min_f16 v100, v100, v103
	v_pk_min_f16 v100, v100, v106
	s_delay_alu instid0(VALU_DEP_1) | instskip(NEXT) | instid1(VALU_DEP_1)
	v_lshrrev_b32_e32 v103, 16, v100
	v_min3_f16 v100, v102, v100, v103
	v_add_co_u32 v102, vcc_lo, v104, v42
	v_add_co_ci_u32_e32 v103, vcc_lo, v105, v43, vcc_lo
	s_and_b32 vcc_lo, exec_lo, s0
	global_store_b16 v[102:103], v100, off
	s_cbranch_vccnz .LBB278_70
; %bb.69:
	v_add_co_u32 v100, vcc_lo, v46, v38
	v_add_co_ci_u32_e32 v101, vcc_lo, v47, v39, vcc_lo
	flat_load_u16 v100, v[100:101]
	s_waitcnt vmcnt(0) lgkmcnt(0)
	v_mul_f16_e32 v101, s18, v100
.LBB278_70:
	v_pk_add_f16 v100, v0, v20
	v_pk_max_f16 v99, v99, v99
	v_pk_add_f16 v102, v1, v21
	s_delay_alu instid0(VALU_DEP_2) | instskip(NEXT) | instid1(VALU_DEP_1)
	v_pk_min_f16 v99, v99, v100
	v_pk_min_f16 v99, v99, v102
	v_add_co_u32 v102, vcc_lo, v104, v38
	v_add_co_ci_u32_e32 v103, vcc_lo, v105, v39, vcc_lo
	s_delay_alu instid0(VALU_DEP_3) | instskip(SKIP_1) | instid1(VALU_DEP_1)
	v_lshrrev_b32_e32 v100, 16, v99
	s_and_b32 vcc_lo, exec_lo, s0
	v_min3_f16 v101, v101, v99, v100
	v_dual_mov_b32 v99, 0 :: v_dual_mov_b32 v100, 0
	global_store_b16 v[102:103], v101, off
	s_cbranch_vccnz .LBB278_72
; %bb.71:
	v_add_co_u32 v100, vcc_lo, v46, v36
	v_add_co_ci_u32_e32 v101, vcc_lo, v47, v37, vcc_lo
	flat_load_u16 v100, v[100:101]
	s_waitcnt vmcnt(0) lgkmcnt(0)
	v_mul_f16_e32 v100, s18, v100
.LBB278_72:
	v_pk_add_f16 v101, v2, v20
	v_pk_max_f16 v98, v98, v98
	v_pk_add_f16 v102, v3, v21
	s_delay_alu instid0(VALU_DEP_2) | instskip(NEXT) | instid1(VALU_DEP_1)
	v_pk_min_f16 v98, v98, v101
	v_pk_min_f16 v98, v98, v102
	s_delay_alu instid0(VALU_DEP_1) | instskip(NEXT) | instid1(VALU_DEP_1)
	v_lshrrev_b32_e32 v101, 16, v98
	v_min3_f16 v98, v100, v98, v101
	v_add_co_u32 v100, vcc_lo, v104, v36
	v_add_co_ci_u32_e32 v101, vcc_lo, v105, v37, vcc_lo
	s_and_b32 vcc_lo, exec_lo, s0
	global_store_b16 v[100:101], v98, off
	s_cbranch_vccnz .LBB278_74
; %bb.73:
	v_add_co_u32 v46, vcc_lo, v46, v44
	v_add_co_ci_u32_e32 v47, vcc_lo, v47, v45, vcc_lo
	flat_load_u16 v46, v[46:47]
	s_waitcnt vmcnt(0) lgkmcnt(0)
	v_mul_f16_e32 v99, s18, v46
.LBB278_74:
	v_add_nc_u32_e32 v46, 64, v86
	v_pk_add_f16 v20, v24, v20
	v_pk_max_f16 v47, v97, v97
	v_pk_add_f16 v21, v25, v21
	v_add_co_u32 v100, vcc_lo, v104, v44
	v_mad_i64_i32 v[97:98], null, v46, s4, 0
	s_delay_alu instid0(VALU_DEP_4) | instskip(SKIP_1) | instid1(VALU_DEP_2)
	v_pk_min_f16 v20, v47, v20
	v_add_co_ci_u32_e32 v101, vcc_lo, v105, v45, vcc_lo
	v_pk_min_f16 v47, v20, v21
	s_delay_alu instid0(VALU_DEP_4) | instskip(SKIP_1) | instid1(VALU_DEP_3)
	v_lshlrev_b64 v[20:21], 1, v[97:98]
	v_mov_b32_e32 v98, 0
	v_lshrrev_b32_e32 v97, 16, v47
	s_delay_alu instid0(VALU_DEP_3) | instskip(NEXT) | instid1(VALU_DEP_4)
	v_add_co_u32 v20, vcc_lo, s8, v20
	v_add_co_ci_u32_e32 v21, vcc_lo, s9, v21, vcc_lo
	s_delay_alu instid0(VALU_DEP_3)
	v_min3_f16 v47, v99, v47, v97
	v_mov_b32_e32 v97, 0
	s_and_b32 vcc_lo, exec_lo, s0
	global_store_b16 v[100:101], v47, off
	s_cbranch_vccnz .LBB278_76
; %bb.75:
	v_add_co_u32 v98, vcc_lo, v20, v30
	v_add_co_ci_u32_e32 v99, vcc_lo, v21, v31, vcc_lo
	flat_load_u16 v47, v[98:99]
	s_waitcnt vmcnt(0) lgkmcnt(0)
	v_mul_f16_e32 v98, s18, v47
.LBB278_76:
	v_pk_add_f16 v47, v28, v22
	v_pk_max_f16 v96, v96, v96
	v_mad_i64_i32 v[99:100], null, v46, s3, 0
	v_pk_add_f16 v46, v29, v23
	s_delay_alu instid0(VALU_DEP_3) | instskip(NEXT) | instid1(VALU_DEP_1)
	v_pk_min_f16 v47, v96, v47
	v_pk_min_f16 v96, v47, v46
	s_delay_alu instid0(VALU_DEP_4) | instskip(NEXT) | instid1(VALU_DEP_2)
	v_lshlrev_b64 v[46:47], 1, v[99:100]
	v_lshrrev_b32_e32 v99, 16, v96
	s_delay_alu instid0(VALU_DEP_2) | instskip(NEXT) | instid1(VALU_DEP_3)
	v_add_co_u32 v46, vcc_lo, s1, v46
	v_add_co_ci_u32_e32 v47, vcc_lo, s5, v47, vcc_lo
	s_delay_alu instid0(VALU_DEP_3) | instskip(NEXT) | instid1(VALU_DEP_3)
	v_min3_f16 v96, v98, v96, v99
	v_add_co_u32 v98, vcc_lo, v46, v30
	s_delay_alu instid0(VALU_DEP_3)
	v_add_co_ci_u32_e32 v99, vcc_lo, v47, v31, vcc_lo
	s_and_b32 vcc_lo, exec_lo, s0
	global_store_b16 v[98:99], v96, off
	s_cbranch_vccnz .LBB278_78
; %bb.77:
	v_add_co_u32 v96, vcc_lo, v20, v32
	v_add_co_ci_u32_e32 v97, vcc_lo, v21, v33, vcc_lo
	flat_load_u16 v96, v[96:97]
	s_waitcnt vmcnt(0) lgkmcnt(0)
	v_mul_f16_e32 v97, s18, v96
.LBB278_78:
	v_pk_add_f16 v96, v8, v22
	v_pk_max_f16 v95, v95, v95
	v_pk_add_f16 v98, v9, v23
	s_delay_alu instid0(VALU_DEP_2) | instskip(NEXT) | instid1(VALU_DEP_1)
	v_pk_min_f16 v95, v95, v96
	v_pk_min_f16 v95, v95, v98
	v_add_co_u32 v98, vcc_lo, v46, v32
	v_add_co_ci_u32_e32 v99, vcc_lo, v47, v33, vcc_lo
	s_delay_alu instid0(VALU_DEP_3) | instskip(SKIP_1) | instid1(VALU_DEP_1)
	v_lshrrev_b32_e32 v96, 16, v95
	s_and_b32 vcc_lo, exec_lo, s0
	v_min3_f16 v97, v97, v95, v96
	v_dual_mov_b32 v95, 0 :: v_dual_mov_b32 v96, 0
	global_store_b16 v[98:99], v97, off
	s_cbranch_vccnz .LBB278_80
; %bb.79:
	v_add_co_u32 v96, vcc_lo, v20, v34
	v_add_co_ci_u32_e32 v97, vcc_lo, v21, v35, vcc_lo
	flat_load_u16 v96, v[96:97]
	s_waitcnt vmcnt(0) lgkmcnt(0)
	v_mul_f16_e32 v96, s18, v96
.LBB278_80:
	v_pk_add_f16 v97, v10, v22
	v_pk_max_f16 v94, v94, v94
	v_pk_add_f16 v98, v11, v23
	s_delay_alu instid0(VALU_DEP_2) | instskip(NEXT) | instid1(VALU_DEP_1)
	v_pk_min_f16 v94, v94, v97
	v_pk_min_f16 v94, v94, v98
	s_delay_alu instid0(VALU_DEP_1) | instskip(NEXT) | instid1(VALU_DEP_1)
	v_lshrrev_b32_e32 v97, 16, v94
	v_min3_f16 v94, v96, v94, v97
	v_add_co_u32 v96, vcc_lo, v46, v34
	v_add_co_ci_u32_e32 v97, vcc_lo, v47, v35, vcc_lo
	s_and_b32 vcc_lo, exec_lo, s0
	global_store_b16 v[96:97], v94, off
	s_cbranch_vccnz .LBB278_82
; %bb.81:
	v_add_co_u32 v94, vcc_lo, v20, v40
	v_add_co_ci_u32_e32 v95, vcc_lo, v21, v41, vcc_lo
	flat_load_u16 v94, v[94:95]
	s_waitcnt vmcnt(0) lgkmcnt(0)
	v_mul_f16_e32 v95, s18, v94
.LBB278_82:
	v_pk_add_f16 v94, v4, v22
	v_pk_max_f16 v93, v93, v93
	v_pk_add_f16 v96, v5, v23
	s_delay_alu instid0(VALU_DEP_2) | instskip(NEXT) | instid1(VALU_DEP_1)
	v_pk_min_f16 v93, v93, v94
	v_pk_min_f16 v93, v93, v96
	v_add_co_u32 v96, vcc_lo, v46, v40
	v_add_co_ci_u32_e32 v97, vcc_lo, v47, v41, vcc_lo
	s_delay_alu instid0(VALU_DEP_3) | instskip(SKIP_1) | instid1(VALU_DEP_1)
	v_lshrrev_b32_e32 v94, 16, v93
	s_and_b32 vcc_lo, exec_lo, s0
	v_min3_f16 v95, v95, v93, v94
	v_dual_mov_b32 v93, 0 :: v_dual_mov_b32 v94, 0
	global_store_b16 v[96:97], v95, off
	s_cbranch_vccnz .LBB278_84
; %bb.83:
	v_add_co_u32 v94, vcc_lo, v20, v42
	v_add_co_ci_u32_e32 v95, vcc_lo, v21, v43, vcc_lo
	flat_load_u16 v94, v[94:95]
	s_waitcnt vmcnt(0) lgkmcnt(0)
	v_mul_f16_e32 v94, s18, v94
.LBB278_84:
	v_pk_add_f16 v95, v6, v22
	v_pk_max_f16 v92, v92, v92
	v_pk_add_f16 v96, v7, v23
	s_delay_alu instid0(VALU_DEP_2) | instskip(NEXT) | instid1(VALU_DEP_1)
	v_pk_min_f16 v92, v92, v95
	v_pk_min_f16 v92, v92, v96
	s_delay_alu instid0(VALU_DEP_1) | instskip(NEXT) | instid1(VALU_DEP_1)
	v_lshrrev_b32_e32 v95, 16, v92
	v_min3_f16 v92, v94, v92, v95
	v_add_co_u32 v94, vcc_lo, v46, v42
	;; [unrolled: 43-line block ×3, first 2 shown]
	v_add_co_ci_u32_e32 v93, vcc_lo, v47, v37, vcc_lo
	s_and_b32 vcc_lo, exec_lo, s0
	global_store_b16 v[92:93], v90, off
	s_cbranch_vccnz .LBB278_90
; %bb.89:
	v_add_co_u32 v20, vcc_lo, v20, v44
	v_add_co_ci_u32_e32 v21, vcc_lo, v21, v45, vcc_lo
	flat_load_u16 v20, v[20:21]
	s_waitcnt vmcnt(0) lgkmcnt(0)
	v_mul_f16_e32 v91, s18, v20
.LBB278_90:
	v_pk_add_f16 v22, v24, v22
	v_pk_max_f16 v89, v89, v89
	v_pk_add_f16 v23, v25, v23
	v_add_nc_u32_e32 v90, 0x60, v86
	s_delay_alu instid0(VALU_DEP_3) | instskip(NEXT) | instid1(VALU_DEP_1)
	v_pk_min_f16 v22, v89, v22
	v_pk_min_f16 v89, v22, v23
	v_add_co_u32 v22, vcc_lo, v46, v44
	v_add_co_ci_u32_e32 v23, vcc_lo, v47, v45, vcc_lo
	v_mov_b32_e32 v47, 0
	v_mad_i64_i32 v[20:21], null, v90, s4, 0
	v_lshrrev_b32_e32 v46, 16, v89
	s_delay_alu instid0(VALU_DEP_1) | instskip(NEXT) | instid1(VALU_DEP_3)
	v_min3_f16 v89, v91, v89, v46
	v_lshlrev_b64 v[20:21], 1, v[20:21]
	v_mov_b32_e32 v46, 0
	global_store_b16 v[22:23], v89, off
	v_add_co_u32 v20, vcc_lo, s8, v20
	v_add_co_ci_u32_e32 v21, vcc_lo, s9, v21, vcc_lo
	s_and_b32 vcc_lo, exec_lo, s0
	s_cbranch_vccnz .LBB278_92
; %bb.91:
	s_delay_alu instid0(VALU_DEP_2) | instskip(NEXT) | instid1(VALU_DEP_2)
	v_add_co_u32 v22, vcc_lo, v20, v30
	v_add_co_ci_u32_e32 v23, vcc_lo, v21, v31, vcc_lo
	flat_load_u16 v22, v[22:23]
	s_waitcnt vmcnt(0) lgkmcnt(0)
	v_mul_f16_e32 v47, s18, v22
.LBB278_92:
	v_pk_add_f16 v89, v28, v16
	v_pk_max_f16 v88, v88, v88
	v_mad_i64_i32 v[22:23], null, v90, s3, 0
	v_pk_add_f16 v90, v29, v17
	s_delay_alu instid0(VALU_DEP_3) | instskip(NEXT) | instid1(VALU_DEP_3)
	v_pk_min_f16 v88, v88, v89
	v_lshlrev_b64 v[22:23], 1, v[22:23]
	s_delay_alu instid0(VALU_DEP_2) | instskip(NEXT) | instid1(VALU_DEP_2)
	v_pk_min_f16 v88, v88, v90
	v_add_co_u32 v22, vcc_lo, s1, v22
	s_delay_alu instid0(VALU_DEP_2) | instskip(NEXT) | instid1(VALU_DEP_4)
	v_lshrrev_b32_e32 v89, 16, v88
	v_add_co_ci_u32_e32 v23, vcc_lo, s5, v23, vcc_lo
	s_delay_alu instid0(VALU_DEP_2) | instskip(NEXT) | instid1(VALU_DEP_4)
	v_min3_f16 v47, v47, v88, v89
	v_add_co_u32 v88, vcc_lo, v22, v30
	s_delay_alu instid0(VALU_DEP_3)
	v_add_co_ci_u32_e32 v89, vcc_lo, v23, v31, vcc_lo
	s_and_b32 vcc_lo, exec_lo, s0
	global_store_b16 v[88:89], v47, off
	s_cbranch_vccnz .LBB278_94
; %bb.93:
	v_add_co_u32 v46, vcc_lo, v20, v32
	v_add_co_ci_u32_e32 v47, vcc_lo, v21, v33, vcc_lo
	flat_load_u16 v46, v[46:47]
	s_waitcnt vmcnt(0) lgkmcnt(0)
	v_mul_f16_e32 v46, s18, v46
.LBB278_94:
	v_pk_add_f16 v47, v8, v16
	v_pk_max_f16 v87, v87, v87
	v_pk_add_f16 v88, v9, v17
	s_delay_alu instid0(VALU_DEP_2) | instskip(SKIP_1) | instid1(VALU_DEP_2)
	v_pk_min_f16 v47, v87, v47
	v_add_co_u32 v87, vcc_lo, v22, v32
	v_pk_min_f16 v47, v47, v88
	v_add_co_ci_u32_e32 v88, vcc_lo, v23, v33, vcc_lo
	s_and_b32 vcc_lo, exec_lo, s0
	s_delay_alu instid0(VALU_DEP_2) | instskip(NEXT) | instid1(VALU_DEP_1)
	v_lshrrev_b32_e32 v89, 16, v47
	v_min3_f16 v89, v46, v47, v89
	v_dual_mov_b32 v46, 0 :: v_dual_mov_b32 v47, 0
	global_store_b16 v[87:88], v89, off
	s_cbranch_vccnz .LBB278_96
; %bb.95:
	v_add_co_u32 v87, vcc_lo, v20, v34
	v_add_co_ci_u32_e32 v88, vcc_lo, v21, v35, vcc_lo
	flat_load_u16 v47, v[87:88]
	s_waitcnt vmcnt(0) lgkmcnt(0)
	v_mul_f16_e32 v47, s18, v47
.LBB278_96:
	v_pk_add_f16 v87, v10, v16
	v_pk_max_f16 v85, v85, v85
	v_pk_add_f16 v88, v11, v17
	s_delay_alu instid0(VALU_DEP_2) | instskip(NEXT) | instid1(VALU_DEP_1)
	v_pk_min_f16 v85, v85, v87
	v_pk_min_f16 v85, v85, v88
	s_delay_alu instid0(VALU_DEP_1) | instskip(NEXT) | instid1(VALU_DEP_1)
	v_lshrrev_b32_e32 v87, 16, v85
	v_min3_f16 v47, v47, v85, v87
	v_add_co_u32 v87, vcc_lo, v22, v34
	v_add_co_ci_u32_e32 v88, vcc_lo, v23, v35, vcc_lo
	s_and_b32 vcc_lo, exec_lo, s0
	global_store_b16 v[87:88], v47, off
	s_cbranch_vccnz .LBB278_98
; %bb.97:
	v_add_co_u32 v46, vcc_lo, v20, v40
	v_add_co_ci_u32_e32 v47, vcc_lo, v21, v41, vcc_lo
	flat_load_u16 v46, v[46:47]
	s_waitcnt vmcnt(0) lgkmcnt(0)
	v_mul_f16_e32 v46, s18, v46
.LBB278_98:
	v_pk_add_f16 v47, v4, v16
	v_pk_max_f16 v84, v84, v84
	v_pk_add_f16 v85, v5, v17
	s_delay_alu instid0(VALU_DEP_2) | instskip(SKIP_1) | instid1(VALU_DEP_2)
	v_pk_min_f16 v47, v84, v47
	v_add_co_u32 v84, vcc_lo, v22, v40
	v_pk_min_f16 v47, v47, v85
	v_add_co_ci_u32_e32 v85, vcc_lo, v23, v41, vcc_lo
	s_and_b32 vcc_lo, exec_lo, s0
	s_delay_alu instid0(VALU_DEP_2) | instskip(NEXT) | instid1(VALU_DEP_1)
	v_lshrrev_b32_e32 v87, 16, v47
	v_min3_f16 v87, v46, v47, v87
	v_dual_mov_b32 v46, 0 :: v_dual_mov_b32 v47, 0
	global_store_b16 v[84:85], v87, off
	s_cbranch_vccnz .LBB278_100
; %bb.99:
	v_add_co_u32 v84, vcc_lo, v20, v42
	v_add_co_ci_u32_e32 v85, vcc_lo, v21, v43, vcc_lo
	flat_load_u16 v47, v[84:85]
	s_waitcnt vmcnt(0) lgkmcnt(0)
	v_mul_f16_e32 v47, s18, v47
.LBB278_100:
	v_pk_add_f16 v84, v6, v16
	v_pk_max_f16 v83, v83, v83
	v_pk_add_f16 v85, v7, v17
	s_delay_alu instid0(VALU_DEP_2) | instskip(NEXT) | instid1(VALU_DEP_1)
	v_pk_min_f16 v83, v83, v84
	v_pk_min_f16 v83, v83, v85
	s_delay_alu instid0(VALU_DEP_1) | instskip(NEXT) | instid1(VALU_DEP_1)
	v_lshrrev_b32_e32 v84, 16, v83
	v_min3_f16 v47, v47, v83, v84
	v_add_co_u32 v83, vcc_lo, v22, v42
	;; [unrolled: 43-line block ×3, first 2 shown]
	v_add_co_ci_u32_e32 v82, vcc_lo, v23, v37, vcc_lo
	s_and_b32 vcc_lo, exec_lo, s0
	global_store_b16 v[81:82], v47, off
	s_cbranch_vccnz .LBB278_106
; %bb.105:
	v_add_co_u32 v20, vcc_lo, v20, v44
	v_add_co_ci_u32_e32 v21, vcc_lo, v21, v45, vcc_lo
	flat_load_u16 v20, v[20:21]
	s_waitcnt vmcnt(0) lgkmcnt(0)
	v_mul_f16_e32 v46, s18, v20
.LBB278_106:
	v_add_nc_u32_e32 v20, 0x80, v86
	v_pk_add_f16 v16, v24, v16
	v_pk_max_f16 v21, v80, v80
	v_pk_add_f16 v17, v25, v17
	s_delay_alu instid0(VALU_DEP_4) | instskip(NEXT) | instid1(VALU_DEP_3)
	v_mad_i64_i32 v[80:81], null, v20, s4, 0
	v_pk_min_f16 v16, v21, v16
	s_delay_alu instid0(VALU_DEP_1) | instskip(NEXT) | instid1(VALU_DEP_3)
	v_pk_min_f16 v21, v16, v17
	v_lshlrev_b64 v[16:17], 1, v[80:81]
	v_add_co_u32 v80, vcc_lo, v22, v44
	v_add_co_ci_u32_e32 v81, vcc_lo, v23, v45, vcc_lo
	v_mov_b32_e32 v23, 0
	v_lshrrev_b32_e32 v22, 16, v21
	v_add_co_u32 v16, vcc_lo, s8, v16
	v_add_co_ci_u32_e32 v17, vcc_lo, s9, v17, vcc_lo
	s_delay_alu instid0(VALU_DEP_3)
	v_min3_f16 v21, v46, v21, v22
	v_mov_b32_e32 v22, 0
	s_and_b32 vcc_lo, exec_lo, s0
	global_store_b16 v[80:81], v21, off
	s_cbranch_vccnz .LBB278_108
; %bb.107:
	v_add_co_u32 v46, vcc_lo, v16, v30
	v_add_co_ci_u32_e32 v47, vcc_lo, v17, v31, vcc_lo
	flat_load_u16 v21, v[46:47]
	s_waitcnt vmcnt(0) lgkmcnt(0)
	v_mul_f16_e32 v23, s18, v21
.LBB278_108:
	v_pk_add_f16 v21, v28, v18
	v_pk_max_f16 v79, v79, v79
	v_mad_i64_i32 v[46:47], null, v20, s3, 0
	v_pk_add_f16 v20, v29, v19
	s_delay_alu instid0(VALU_DEP_3) | instskip(NEXT) | instid1(VALU_DEP_1)
	v_pk_min_f16 v21, v79, v21
	v_pk_min_f16 v79, v21, v20
	s_delay_alu instid0(VALU_DEP_4) | instskip(NEXT) | instid1(VALU_DEP_2)
	v_lshlrev_b64 v[20:21], 1, v[46:47]
	v_lshrrev_b32_e32 v46, 16, v79
	s_delay_alu instid0(VALU_DEP_2) | instskip(NEXT) | instid1(VALU_DEP_3)
	v_add_co_u32 v20, vcc_lo, s1, v20
	v_add_co_ci_u32_e32 v21, vcc_lo, s5, v21, vcc_lo
	s_delay_alu instid0(VALU_DEP_3) | instskip(NEXT) | instid1(VALU_DEP_3)
	v_min3_f16 v23, v23, v79, v46
	v_add_co_u32 v46, vcc_lo, v20, v30
	s_delay_alu instid0(VALU_DEP_3)
	v_add_co_ci_u32_e32 v47, vcc_lo, v21, v31, vcc_lo
	s_and_b32 vcc_lo, exec_lo, s0
	global_store_b16 v[46:47], v23, off
	s_cbranch_vccnz .LBB278_110
; %bb.109:
	v_add_co_u32 v22, vcc_lo, v16, v32
	v_add_co_ci_u32_e32 v23, vcc_lo, v17, v33, vcc_lo
	flat_load_u16 v22, v[22:23]
	s_waitcnt vmcnt(0) lgkmcnt(0)
	v_mul_f16_e32 v22, s18, v22
.LBB278_110:
	v_pk_add_f16 v23, v8, v18
	v_pk_max_f16 v46, v78, v78
	v_pk_add_f16 v47, v9, v19
	s_delay_alu instid0(VALU_DEP_2) | instskip(SKIP_1) | instid1(VALU_DEP_2)
	v_pk_min_f16 v23, v46, v23
	v_add_co_u32 v46, vcc_lo, v20, v32
	v_pk_min_f16 v23, v23, v47
	v_add_co_ci_u32_e32 v47, vcc_lo, v21, v33, vcc_lo
	s_and_b32 vcc_lo, exec_lo, s0
	s_delay_alu instid0(VALU_DEP_2) | instskip(NEXT) | instid1(VALU_DEP_1)
	v_lshrrev_b32_e32 v78, 16, v23
	v_min3_f16 v78, v22, v23, v78
	v_dual_mov_b32 v22, 0 :: v_dual_mov_b32 v23, 0
	global_store_b16 v[46:47], v78, off
	s_cbranch_vccnz .LBB278_112
; %bb.111:
	v_add_co_u32 v46, vcc_lo, v16, v34
	v_add_co_ci_u32_e32 v47, vcc_lo, v17, v35, vcc_lo
	flat_load_u16 v23, v[46:47]
	s_waitcnt vmcnt(0) lgkmcnt(0)
	v_mul_f16_e32 v23, s18, v23
.LBB278_112:
	v_pk_add_f16 v46, v10, v18
	v_pk_max_f16 v47, v77, v77
	v_pk_add_f16 v77, v11, v19
	s_delay_alu instid0(VALU_DEP_2) | instskip(NEXT) | instid1(VALU_DEP_1)
	v_pk_min_f16 v46, v47, v46
	v_pk_min_f16 v46, v46, v77
	s_delay_alu instid0(VALU_DEP_1) | instskip(NEXT) | instid1(VALU_DEP_1)
	v_lshrrev_b32_e32 v47, 16, v46
	v_min3_f16 v23, v23, v46, v47
	v_add_co_u32 v46, vcc_lo, v20, v34
	v_add_co_ci_u32_e32 v47, vcc_lo, v21, v35, vcc_lo
	s_and_b32 vcc_lo, exec_lo, s0
	global_store_b16 v[46:47], v23, off
	s_cbranch_vccnz .LBB278_114
; %bb.113:
	v_add_co_u32 v22, vcc_lo, v16, v40
	v_add_co_ci_u32_e32 v23, vcc_lo, v17, v41, vcc_lo
	flat_load_u16 v22, v[22:23]
	s_waitcnt vmcnt(0) lgkmcnt(0)
	v_mul_f16_e32 v22, s18, v22
.LBB278_114:
	v_pk_add_f16 v23, v4, v18
	v_pk_max_f16 v46, v76, v76
	v_pk_add_f16 v47, v5, v19
	s_delay_alu instid0(VALU_DEP_2) | instskip(SKIP_1) | instid1(VALU_DEP_2)
	v_pk_min_f16 v23, v46, v23
	v_add_co_u32 v46, vcc_lo, v20, v40
	v_pk_min_f16 v23, v23, v47
	v_add_co_ci_u32_e32 v47, vcc_lo, v21, v41, vcc_lo
	s_and_b32 vcc_lo, exec_lo, s0
	s_delay_alu instid0(VALU_DEP_2) | instskip(NEXT) | instid1(VALU_DEP_1)
	v_lshrrev_b32_e32 v76, 16, v23
	v_min3_f16 v76, v22, v23, v76
	v_dual_mov_b32 v22, 0 :: v_dual_mov_b32 v23, 0
	global_store_b16 v[46:47], v76, off
	s_cbranch_vccnz .LBB278_116
; %bb.115:
	v_add_co_u32 v46, vcc_lo, v16, v42
	v_add_co_ci_u32_e32 v47, vcc_lo, v17, v43, vcc_lo
	flat_load_u16 v23, v[46:47]
	s_waitcnt vmcnt(0) lgkmcnt(0)
	v_mul_f16_e32 v23, s18, v23
.LBB278_116:
	v_pk_add_f16 v46, v6, v18
	v_pk_max_f16 v47, v75, v75
	v_pk_add_f16 v75, v7, v19
	s_delay_alu instid0(VALU_DEP_2) | instskip(NEXT) | instid1(VALU_DEP_1)
	v_pk_min_f16 v46, v47, v46
	v_pk_min_f16 v46, v46, v75
	s_delay_alu instid0(VALU_DEP_1) | instskip(NEXT) | instid1(VALU_DEP_1)
	v_lshrrev_b32_e32 v47, 16, v46
	v_min3_f16 v23, v23, v46, v47
	v_add_co_u32 v46, vcc_lo, v20, v42
	;; [unrolled: 43-line block ×3, first 2 shown]
	v_add_co_ci_u32_e32 v47, vcc_lo, v21, v37, vcc_lo
	s_and_b32 vcc_lo, exec_lo, s0
	global_store_b16 v[46:47], v23, off
	s_cbranch_vccnz .LBB278_122
; %bb.121:
	v_add_co_u32 v16, vcc_lo, v16, v44
	v_add_co_ci_u32_e32 v17, vcc_lo, v17, v45, vcc_lo
	flat_load_u16 v16, v[16:17]
	s_waitcnt vmcnt(0) lgkmcnt(0)
	v_mul_f16_e32 v22, s18, v16
.LBB278_122:
	v_pk_add_f16 v18, v24, v18
	v_pk_max_f16 v46, v72, v72
	v_pk_add_f16 v19, v25, v19
	v_add_nc_u32_e32 v23, 0xa0, v86
	s_delay_alu instid0(VALU_DEP_3) | instskip(NEXT) | instid1(VALU_DEP_1)
	v_pk_min_f16 v18, v46, v18
	v_pk_min_f16 v46, v18, v19
	v_add_co_u32 v18, vcc_lo, v20, v44
	v_add_co_ci_u32_e32 v19, vcc_lo, v21, v45, vcc_lo
	s_delay_alu instid0(VALU_DEP_3) | instskip(SKIP_1) | instid1(VALU_DEP_2)
	v_lshrrev_b32_e32 v20, 16, v46
	v_mov_b32_e32 v21, 0
	v_min3_f16 v22, v22, v46, v20
	v_mov_b32_e32 v20, 0
	v_mad_i64_i32 v[16:17], null, v23, s4, 0
	global_store_b16 v[18:19], v22, off
	v_lshlrev_b64 v[16:17], 1, v[16:17]
	s_delay_alu instid0(VALU_DEP_1) | instskip(NEXT) | instid1(VALU_DEP_2)
	v_add_co_u32 v16, vcc_lo, s8, v16
	v_add_co_ci_u32_e32 v17, vcc_lo, s9, v17, vcc_lo
	s_and_b32 vcc_lo, exec_lo, s0
	s_cbranch_vccnz .LBB278_124
; %bb.123:
	s_delay_alu instid0(VALU_DEP_2) | instskip(NEXT) | instid1(VALU_DEP_2)
	v_add_co_u32 v18, vcc_lo, v16, v30
	v_add_co_ci_u32_e32 v19, vcc_lo, v17, v31, vcc_lo
	flat_load_u16 v18, v[18:19]
	s_waitcnt vmcnt(0) lgkmcnt(0)
	v_mul_f16_e32 v21, s18, v18
.LBB278_124:
	v_pk_add_f16 v22, v28, v12
	v_pk_max_f16 v46, v71, v71
	v_mad_i64_i32 v[18:19], null, v23, s3, 0
	v_pk_add_f16 v23, v29, v13
	s_delay_alu instid0(VALU_DEP_3) | instskip(NEXT) | instid1(VALU_DEP_3)
	v_pk_min_f16 v22, v46, v22
	v_lshlrev_b64 v[18:19], 1, v[18:19]
	s_delay_alu instid0(VALU_DEP_2) | instskip(NEXT) | instid1(VALU_DEP_2)
	v_pk_min_f16 v22, v22, v23
	v_add_co_u32 v18, vcc_lo, s1, v18
	s_delay_alu instid0(VALU_DEP_2) | instskip(NEXT) | instid1(VALU_DEP_4)
	v_lshrrev_b32_e32 v23, 16, v22
	v_add_co_ci_u32_e32 v19, vcc_lo, s5, v19, vcc_lo
	s_delay_alu instid0(VALU_DEP_2) | instskip(NEXT) | instid1(VALU_DEP_4)
	v_min3_f16 v23, v21, v22, v23
	v_add_co_u32 v21, vcc_lo, v18, v30
	s_delay_alu instid0(VALU_DEP_3)
	v_add_co_ci_u32_e32 v22, vcc_lo, v19, v31, vcc_lo
	s_and_b32 vcc_lo, exec_lo, s0
	global_store_b16 v[21:22], v23, off
	s_cbranch_vccnz .LBB278_126
; %bb.125:
	v_add_co_u32 v20, vcc_lo, v16, v32
	v_add_co_ci_u32_e32 v21, vcc_lo, v17, v33, vcc_lo
	flat_load_u16 v20, v[20:21]
	s_waitcnt vmcnt(0) lgkmcnt(0)
	v_mul_f16_e32 v20, s18, v20
.LBB278_126:
	v_pk_add_f16 v21, v8, v12
	v_pk_max_f16 v22, v70, v70
	v_pk_add_f16 v23, v9, v13
	s_delay_alu instid0(VALU_DEP_2) | instskip(SKIP_1) | instid1(VALU_DEP_2)
	v_pk_min_f16 v21, v22, v21
	v_add_co_u32 v22, vcc_lo, v18, v32
	v_pk_min_f16 v21, v21, v23
	v_add_co_ci_u32_e32 v23, vcc_lo, v19, v33, vcc_lo
	s_and_b32 vcc_lo, exec_lo, s0
	s_delay_alu instid0(VALU_DEP_2) | instskip(NEXT) | instid1(VALU_DEP_1)
	v_lshrrev_b32_e32 v46, 16, v21
	v_min3_f16 v46, v20, v21, v46
	v_dual_mov_b32 v20, 0 :: v_dual_mov_b32 v21, 0
	global_store_b16 v[22:23], v46, off
	s_cbranch_vccnz .LBB278_128
; %bb.127:
	v_add_co_u32 v21, vcc_lo, v16, v34
	v_add_co_ci_u32_e32 v22, vcc_lo, v17, v35, vcc_lo
	flat_load_u16 v21, v[21:22]
	s_waitcnt vmcnt(0) lgkmcnt(0)
	v_mul_f16_e32 v21, s18, v21
.LBB278_128:
	v_pk_add_f16 v22, v10, v12
	v_pk_max_f16 v23, v69, v69
	v_pk_add_f16 v46, v11, v13
	s_delay_alu instid0(VALU_DEP_2) | instskip(NEXT) | instid1(VALU_DEP_1)
	v_pk_min_f16 v22, v23, v22
	v_pk_min_f16 v22, v22, v46
	s_delay_alu instid0(VALU_DEP_1) | instskip(NEXT) | instid1(VALU_DEP_1)
	v_lshrrev_b32_e32 v23, 16, v22
	v_min3_f16 v23, v21, v22, v23
	v_add_co_u32 v21, vcc_lo, v18, v34
	v_add_co_ci_u32_e32 v22, vcc_lo, v19, v35, vcc_lo
	s_and_b32 vcc_lo, exec_lo, s0
	global_store_b16 v[21:22], v23, off
	s_cbranch_vccnz .LBB278_130
; %bb.129:
	v_add_co_u32 v20, vcc_lo, v16, v40
	v_add_co_ci_u32_e32 v21, vcc_lo, v17, v41, vcc_lo
	flat_load_u16 v20, v[20:21]
	s_waitcnt vmcnt(0) lgkmcnt(0)
	v_mul_f16_e32 v20, s18, v20
.LBB278_130:
	v_pk_add_f16 v21, v4, v12
	v_pk_max_f16 v22, v68, v68
	v_pk_add_f16 v23, v5, v13
	s_delay_alu instid0(VALU_DEP_2) | instskip(SKIP_1) | instid1(VALU_DEP_2)
	v_pk_min_f16 v21, v22, v21
	v_add_co_u32 v22, vcc_lo, v18, v40
	v_pk_min_f16 v21, v21, v23
	v_add_co_ci_u32_e32 v23, vcc_lo, v19, v41, vcc_lo
	s_and_b32 vcc_lo, exec_lo, s0
	s_delay_alu instid0(VALU_DEP_2) | instskip(NEXT) | instid1(VALU_DEP_1)
	v_lshrrev_b32_e32 v46, 16, v21
	v_min3_f16 v46, v20, v21, v46
	v_dual_mov_b32 v20, 0 :: v_dual_mov_b32 v21, 0
	global_store_b16 v[22:23], v46, off
	s_cbranch_vccnz .LBB278_132
; %bb.131:
	v_add_co_u32 v21, vcc_lo, v16, v42
	v_add_co_ci_u32_e32 v22, vcc_lo, v17, v43, vcc_lo
	flat_load_u16 v21, v[21:22]
	s_waitcnt vmcnt(0) lgkmcnt(0)
	v_mul_f16_e32 v21, s18, v21
.LBB278_132:
	v_pk_add_f16 v22, v6, v12
	v_pk_max_f16 v23, v67, v67
	v_pk_add_f16 v46, v7, v13
	s_delay_alu instid0(VALU_DEP_2) | instskip(NEXT) | instid1(VALU_DEP_1)
	v_pk_min_f16 v22, v23, v22
	v_pk_min_f16 v22, v22, v46
	s_delay_alu instid0(VALU_DEP_1) | instskip(NEXT) | instid1(VALU_DEP_1)
	v_lshrrev_b32_e32 v23, 16, v22
	v_min3_f16 v23, v21, v22, v23
	v_add_co_u32 v21, vcc_lo, v18, v42
	;; [unrolled: 43-line block ×3, first 2 shown]
	v_add_co_ci_u32_e32 v22, vcc_lo, v19, v37, vcc_lo
	s_and_b32 vcc_lo, exec_lo, s0
	global_store_b16 v[21:22], v23, off
	s_cbranch_vccnz .LBB278_138
; %bb.137:
	v_add_co_u32 v16, vcc_lo, v16, v44
	v_add_co_ci_u32_e32 v17, vcc_lo, v17, v45, vcc_lo
	flat_load_u16 v16, v[16:17]
	s_waitcnt vmcnt(0) lgkmcnt(0)
	v_mul_f16_e32 v20, s18, v16
.LBB278_138:
	v_add_nc_u32_e32 v16, 0xc0, v86
	v_pk_add_f16 v12, v24, v12
	v_pk_max_f16 v17, v64, v64
	v_pk_add_f16 v13, v25, v13
	s_delay_alu instid0(VALU_DEP_4) | instskip(NEXT) | instid1(VALU_DEP_3)
	v_mad_i64_i32 v[21:22], null, v16, s4, 0
	v_pk_min_f16 v12, v17, v12
	s_delay_alu instid0(VALU_DEP_1) | instskip(NEXT) | instid1(VALU_DEP_3)
	v_pk_min_f16 v17, v12, v13
	v_lshlrev_b64 v[12:13], 1, v[21:22]
	v_add_co_u32 v21, vcc_lo, v18, v44
	v_add_co_ci_u32_e32 v22, vcc_lo, v19, v45, vcc_lo
	v_mov_b32_e32 v19, 0
	v_lshrrev_b32_e32 v18, 16, v17
	v_add_co_u32 v12, vcc_lo, s8, v12
	v_add_co_ci_u32_e32 v13, vcc_lo, s9, v13, vcc_lo
	s_delay_alu instid0(VALU_DEP_3)
	v_min3_f16 v17, v20, v17, v18
	v_mov_b32_e32 v18, 0
	s_and_b32 vcc_lo, exec_lo, s0
	global_store_b16 v[21:22], v17, off
	s_cbranch_vccnz .LBB278_140
; %bb.139:
	v_add_co_u32 v19, vcc_lo, v12, v30
	v_add_co_ci_u32_e32 v20, vcc_lo, v13, v31, vcc_lo
	flat_load_u16 v17, v[19:20]
	s_waitcnt vmcnt(0) lgkmcnt(0)
	v_mul_f16_e32 v19, s18, v17
.LBB278_140:
	v_pk_add_f16 v17, v28, v14
	v_pk_max_f16 v22, v63, v63
	v_mad_i64_i32 v[20:21], null, v16, s3, 0
	v_pk_add_f16 v16, v29, v15
	s_delay_alu instid0(VALU_DEP_3) | instskip(NEXT) | instid1(VALU_DEP_1)
	v_pk_min_f16 v17, v22, v17
	v_pk_min_f16 v22, v17, v16
	s_delay_alu instid0(VALU_DEP_4) | instskip(NEXT) | instid1(VALU_DEP_2)
	v_lshlrev_b64 v[16:17], 1, v[20:21]
	v_lshrrev_b32_e32 v20, 16, v22
	s_delay_alu instid0(VALU_DEP_2) | instskip(NEXT) | instid1(VALU_DEP_3)
	v_add_co_u32 v16, vcc_lo, s1, v16
	v_add_co_ci_u32_e32 v17, vcc_lo, s5, v17, vcc_lo
	s_delay_alu instid0(VALU_DEP_3) | instskip(NEXT) | instid1(VALU_DEP_3)
	v_min3_f16 v21, v19, v22, v20
	v_add_co_u32 v19, vcc_lo, v16, v30
	s_delay_alu instid0(VALU_DEP_3)
	v_add_co_ci_u32_e32 v20, vcc_lo, v17, v31, vcc_lo
	s_and_b32 vcc_lo, exec_lo, s0
	global_store_b16 v[19:20], v21, off
	s_cbranch_vccnz .LBB278_142
; %bb.141:
	v_add_co_u32 v18, vcc_lo, v12, v32
	v_add_co_ci_u32_e32 v19, vcc_lo, v13, v33, vcc_lo
	flat_load_u16 v18, v[18:19]
	s_waitcnt vmcnt(0) lgkmcnt(0)
	v_mul_f16_e32 v18, s18, v18
.LBB278_142:
	v_pk_add_f16 v19, v8, v14
	v_pk_max_f16 v20, v62, v62
	v_pk_add_f16 v21, v9, v15
	s_delay_alu instid0(VALU_DEP_2) | instskip(SKIP_1) | instid1(VALU_DEP_2)
	v_pk_min_f16 v19, v20, v19
	v_add_co_u32 v20, vcc_lo, v16, v32
	v_pk_min_f16 v19, v19, v21
	v_add_co_ci_u32_e32 v21, vcc_lo, v17, v33, vcc_lo
	s_and_b32 vcc_lo, exec_lo, s0
	s_delay_alu instid0(VALU_DEP_2) | instskip(NEXT) | instid1(VALU_DEP_1)
	v_lshrrev_b32_e32 v22, 16, v19
	v_min3_f16 v22, v18, v19, v22
	v_dual_mov_b32 v18, 0 :: v_dual_mov_b32 v19, 0
	global_store_b16 v[20:21], v22, off
	s_cbranch_vccnz .LBB278_144
; %bb.143:
	v_add_co_u32 v19, vcc_lo, v12, v34
	v_add_co_ci_u32_e32 v20, vcc_lo, v13, v35, vcc_lo
	flat_load_u16 v19, v[19:20]
	s_waitcnt vmcnt(0) lgkmcnt(0)
	v_mul_f16_e32 v19, s18, v19
.LBB278_144:
	v_pk_add_f16 v20, v10, v14
	v_pk_max_f16 v21, v61, v61
	v_pk_add_f16 v22, v11, v15
	s_delay_alu instid0(VALU_DEP_2) | instskip(NEXT) | instid1(VALU_DEP_1)
	v_pk_min_f16 v20, v21, v20
	v_pk_min_f16 v20, v20, v22
	s_delay_alu instid0(VALU_DEP_1) | instskip(NEXT) | instid1(VALU_DEP_1)
	v_lshrrev_b32_e32 v21, 16, v20
	v_min3_f16 v21, v19, v20, v21
	v_add_co_u32 v19, vcc_lo, v16, v34
	v_add_co_ci_u32_e32 v20, vcc_lo, v17, v35, vcc_lo
	s_and_b32 vcc_lo, exec_lo, s0
	global_store_b16 v[19:20], v21, off
	s_cbranch_vccnz .LBB278_146
; %bb.145:
	v_add_co_u32 v18, vcc_lo, v12, v40
	v_add_co_ci_u32_e32 v19, vcc_lo, v13, v41, vcc_lo
	flat_load_u16 v18, v[18:19]
	s_waitcnt vmcnt(0) lgkmcnt(0)
	v_mul_f16_e32 v18, s18, v18
.LBB278_146:
	v_pk_add_f16 v19, v4, v14
	v_pk_max_f16 v20, v60, v60
	v_pk_add_f16 v21, v5, v15
	s_delay_alu instid0(VALU_DEP_2) | instskip(SKIP_1) | instid1(VALU_DEP_2)
	v_pk_min_f16 v19, v20, v19
	v_add_co_u32 v20, vcc_lo, v16, v40
	v_pk_min_f16 v19, v19, v21
	v_add_co_ci_u32_e32 v21, vcc_lo, v17, v41, vcc_lo
	s_and_b32 vcc_lo, exec_lo, s0
	s_delay_alu instid0(VALU_DEP_2) | instskip(NEXT) | instid1(VALU_DEP_1)
	v_lshrrev_b32_e32 v22, 16, v19
	v_min3_f16 v22, v18, v19, v22
	v_dual_mov_b32 v18, 0 :: v_dual_mov_b32 v19, 0
	global_store_b16 v[20:21], v22, off
	s_cbranch_vccnz .LBB278_148
; %bb.147:
	v_add_co_u32 v19, vcc_lo, v12, v42
	v_add_co_ci_u32_e32 v20, vcc_lo, v13, v43, vcc_lo
	flat_load_u16 v19, v[19:20]
	s_waitcnt vmcnt(0) lgkmcnt(0)
	v_mul_f16_e32 v19, s18, v19
.LBB278_148:
	v_pk_add_f16 v20, v6, v14
	v_pk_max_f16 v21, v59, v59
	v_pk_add_f16 v22, v7, v15
	s_delay_alu instid0(VALU_DEP_2) | instskip(NEXT) | instid1(VALU_DEP_1)
	v_pk_min_f16 v20, v21, v20
	v_pk_min_f16 v20, v20, v22
	s_delay_alu instid0(VALU_DEP_1) | instskip(NEXT) | instid1(VALU_DEP_1)
	v_lshrrev_b32_e32 v21, 16, v20
	v_min3_f16 v21, v19, v20, v21
	v_add_co_u32 v19, vcc_lo, v16, v42
	;; [unrolled: 43-line block ×3, first 2 shown]
	v_add_co_ci_u32_e32 v20, vcc_lo, v17, v37, vcc_lo
	s_and_b32 vcc_lo, exec_lo, s0
	global_store_b16 v[19:20], v21, off
	s_cbranch_vccnz .LBB278_154
; %bb.153:
	v_add_co_u32 v12, vcc_lo, v12, v44
	v_add_co_ci_u32_e32 v13, vcc_lo, v13, v45, vcc_lo
	flat_load_u16 v12, v[12:13]
	s_waitcnt vmcnt(0) lgkmcnt(0)
	v_mul_f16_e32 v18, s18, v12
.LBB278_154:
	v_pk_add_f16 v14, v24, v14
	v_pk_max_f16 v20, v56, v56
	v_pk_add_f16 v15, v25, v15
	v_add_nc_u32_e32 v19, 0xe0, v86
	s_delay_alu instid0(VALU_DEP_3) | instskip(NEXT) | instid1(VALU_DEP_1)
	v_pk_min_f16 v14, v20, v14
	v_pk_min_f16 v20, v14, v15
	v_add_co_u32 v14, vcc_lo, v16, v44
	v_add_co_ci_u32_e32 v15, vcc_lo, v17, v45, vcc_lo
	s_delay_alu instid0(VALU_DEP_3) | instskip(SKIP_1) | instid1(VALU_DEP_2)
	v_lshrrev_b32_e32 v16, 16, v20
	v_mov_b32_e32 v17, 0
	v_min3_f16 v18, v18, v20, v16
	v_mov_b32_e32 v16, 0
	v_mad_i64_i32 v[12:13], null, v19, s4, 0
	global_store_b16 v[14:15], v18, off
	v_lshlrev_b64 v[12:13], 1, v[12:13]
	s_delay_alu instid0(VALU_DEP_1) | instskip(NEXT) | instid1(VALU_DEP_2)
	v_add_co_u32 v12, vcc_lo, s8, v12
	v_add_co_ci_u32_e32 v13, vcc_lo, s9, v13, vcc_lo
	s_and_b32 vcc_lo, exec_lo, s0
	s_cbranch_vccnz .LBB278_156
; %bb.155:
	s_delay_alu instid0(VALU_DEP_2) | instskip(NEXT) | instid1(VALU_DEP_2)
	v_add_co_u32 v14, vcc_lo, v12, v30
	v_add_co_ci_u32_e32 v15, vcc_lo, v13, v31, vcc_lo
	flat_load_u16 v14, v[14:15]
	s_waitcnt vmcnt(0) lgkmcnt(0)
	v_mul_f16_e32 v17, s18, v14
.LBB278_156:
	v_pk_add_f16 v18, v28, v26
	v_pk_max_f16 v20, v55, v55
	v_mad_i64_i32 v[14:15], null, v19, s3, 0
	v_pk_add_f16 v19, v29, v27
	s_delay_alu instid0(VALU_DEP_3) | instskip(NEXT) | instid1(VALU_DEP_3)
	v_pk_min_f16 v18, v20, v18
	v_lshlrev_b64 v[14:15], 1, v[14:15]
	s_delay_alu instid0(VALU_DEP_2) | instskip(NEXT) | instid1(VALU_DEP_2)
	v_pk_min_f16 v18, v18, v19
	v_add_co_u32 v14, vcc_lo, s1, v14
	s_delay_alu instid0(VALU_DEP_2) | instskip(NEXT) | instid1(VALU_DEP_4)
	v_lshrrev_b32_e32 v19, 16, v18
	v_add_co_ci_u32_e32 v15, vcc_lo, s5, v15, vcc_lo
	s_delay_alu instid0(VALU_DEP_2) | instskip(NEXT) | instid1(VALU_DEP_4)
	v_min3_f16 v19, v17, v18, v19
	v_add_co_u32 v17, vcc_lo, v14, v30
	s_delay_alu instid0(VALU_DEP_3)
	v_add_co_ci_u32_e32 v18, vcc_lo, v15, v31, vcc_lo
	s_and_b32 vcc_lo, exec_lo, s0
	global_store_b16 v[17:18], v19, off
	s_cbranch_vccnz .LBB278_158
; %bb.157:
	v_add_co_u32 v16, vcc_lo, v12, v32
	v_add_co_ci_u32_e32 v17, vcc_lo, v13, v33, vcc_lo
	flat_load_u16 v16, v[16:17]
	s_waitcnt vmcnt(0) lgkmcnt(0)
	v_mul_f16_e32 v16, s18, v16
.LBB278_158:
	v_pk_add_f16 v8, v8, v26
	v_pk_max_f16 v17, v54, v54
	v_pk_add_f16 v9, v9, v27
	s_delay_alu instid0(VALU_DEP_2) | instskip(SKIP_2) | instid1(VALU_DEP_3)
	v_pk_min_f16 v8, v17, v8
	v_add_co_u32 v17, vcc_lo, v14, v32
	v_add_co_ci_u32_e32 v18, vcc_lo, v15, v33, vcc_lo
	v_pk_min_f16 v8, v8, v9
	s_and_b32 vcc_lo, exec_lo, s0
	s_delay_alu instid0(VALU_DEP_1) | instskip(NEXT) | instid1(VALU_DEP_1)
	v_lshrrev_b32_e32 v9, 16, v8
	v_min3_f16 v16, v16, v8, v9
	v_dual_mov_b32 v8, 0 :: v_dual_mov_b32 v9, 0
	global_store_b16 v[17:18], v16, off
	s_cbranch_vccnz .LBB278_160
; %bb.159:
	v_add_co_u32 v16, vcc_lo, v12, v34
	v_add_co_ci_u32_e32 v17, vcc_lo, v13, v35, vcc_lo
	flat_load_u16 v9, v[16:17]
	s_waitcnt vmcnt(0) lgkmcnt(0)
	v_mul_f16_e32 v9, s18, v9
.LBB278_160:
	v_pk_add_f16 v10, v10, v26
	v_pk_max_f16 v16, v53, v53
	v_pk_add_f16 v11, v11, v27
	s_delay_alu instid0(VALU_DEP_2) | instskip(NEXT) | instid1(VALU_DEP_1)
	v_pk_min_f16 v10, v16, v10
	v_pk_min_f16 v10, v10, v11
	s_delay_alu instid0(VALU_DEP_1) | instskip(NEXT) | instid1(VALU_DEP_1)
	v_lshrrev_b32_e32 v11, 16, v10
	v_min3_f16 v11, v9, v10, v11
	v_add_co_u32 v9, vcc_lo, v14, v34
	v_add_co_ci_u32_e32 v10, vcc_lo, v15, v35, vcc_lo
	s_and_b32 vcc_lo, exec_lo, s0
	global_store_b16 v[9:10], v11, off
	s_cbranch_vccnz .LBB278_162
; %bb.161:
	v_add_co_u32 v8, vcc_lo, v12, v40
	v_add_co_ci_u32_e32 v9, vcc_lo, v13, v41, vcc_lo
	flat_load_u16 v8, v[8:9]
	s_waitcnt vmcnt(0) lgkmcnt(0)
	v_mul_f16_e32 v8, s18, v8
.LBB278_162:
	v_pk_add_f16 v4, v4, v26
	v_pk_max_f16 v9, v52, v52
	v_pk_add_f16 v5, v5, v27
	s_delay_alu instid0(VALU_DEP_2) | instskip(SKIP_2) | instid1(VALU_DEP_3)
	v_pk_min_f16 v4, v9, v4
	v_add_co_u32 v9, vcc_lo, v14, v40
	v_add_co_ci_u32_e32 v10, vcc_lo, v15, v41, vcc_lo
	v_pk_min_f16 v4, v4, v5
	s_and_b32 vcc_lo, exec_lo, s0
	s_delay_alu instid0(VALU_DEP_1) | instskip(NEXT) | instid1(VALU_DEP_1)
	v_lshrrev_b32_e32 v5, 16, v4
	v_min3_f16 v8, v8, v4, v5
	v_dual_mov_b32 v4, 0 :: v_dual_mov_b32 v5, 0
	global_store_b16 v[9:10], v8, off
	s_cbranch_vccnz .LBB278_164
; %bb.163:
	v_add_co_u32 v8, vcc_lo, v12, v42
	v_add_co_ci_u32_e32 v9, vcc_lo, v13, v43, vcc_lo
	flat_load_u16 v5, v[8:9]
	s_waitcnt vmcnt(0) lgkmcnt(0)
	v_mul_f16_e32 v5, s18, v5
.LBB278_164:
	v_pk_add_f16 v6, v6, v26
	v_pk_max_f16 v8, v51, v51
	v_pk_add_f16 v7, v7, v27
	s_delay_alu instid0(VALU_DEP_2) | instskip(NEXT) | instid1(VALU_DEP_1)
	v_pk_min_f16 v6, v8, v6
	v_pk_min_f16 v6, v6, v7
	s_delay_alu instid0(VALU_DEP_1) | instskip(NEXT) | instid1(VALU_DEP_1)
	v_lshrrev_b32_e32 v7, 16, v6
	v_min3_f16 v7, v5, v6, v7
	v_add_co_u32 v5, vcc_lo, v14, v42
	v_add_co_ci_u32_e32 v6, vcc_lo, v15, v43, vcc_lo
	s_and_b32 vcc_lo, exec_lo, s0
	global_store_b16 v[5:6], v7, off
	s_cbranch_vccnz .LBB278_166
; %bb.165:
	v_add_co_u32 v4, vcc_lo, v12, v38
	v_add_co_ci_u32_e32 v5, vcc_lo, v13, v39, vcc_lo
	flat_load_u16 v4, v[4:5]
	s_waitcnt vmcnt(0) lgkmcnt(0)
	v_mul_f16_e32 v4, s18, v4
.LBB278_166:
	v_pk_add_f16 v0, v0, v26
	v_pk_max_f16 v5, v50, v50
	v_pk_add_f16 v2, v2, v26
	v_pk_max_f16 v6, v49, v49
	v_pk_add_f16 v1, v1, v27
	v_pk_add_f16 v3, v3, v27
	v_pk_min_f16 v0, v5, v0
	s_delay_alu instid0(VALU_DEP_4) | instskip(NEXT) | instid1(VALU_DEP_2)
	v_pk_min_f16 v2, v6, v2
	v_pk_min_f16 v0, v0, v1
	s_delay_alu instid0(VALU_DEP_2) | instskip(NEXT) | instid1(VALU_DEP_2)
	v_pk_min_f16 v1, v2, v3
	v_lshrrev_b32_e32 v2, 16, v0
	s_delay_alu instid0(VALU_DEP_2) | instskip(NEXT) | instid1(VALU_DEP_2)
	v_lshrrev_b32_e32 v3, 16, v1
	v_min3_f16 v4, v4, v0, v2
	s_delay_alu instid0(VALU_DEP_2) | instskip(SKIP_2) | instid1(VALU_DEP_3)
	v_min_f16_e32 v0, v1, v3
	v_add_co_u32 v1, vcc_lo, v14, v38
	v_add_co_ci_u32_e32 v2, vcc_lo, v15, v39, vcc_lo
	v_max_f16_e32 v0, v0, v0
	s_mov_b32 vcc_lo, s2
	global_store_b16 v[1:2], v4, off
	s_cbranch_vccz .LBB278_169
; %bb.167:
	v_add_co_u32 v1, vcc_lo, v14, v36
	v_min_f16_e32 v3, 0, v0
	v_add_co_ci_u32_e32 v2, vcc_lo, v15, v37, vcc_lo
	s_mov_b32 s0, 0
	global_store_b16 v[1:2], v3, off
	s_cbranch_execz .LBB278_170
; %bb.168:
	v_mov_b32_e32 v0, s0
	s_branch .LBB278_171
.LBB278_169:
	s_mov_b32 s0, -1
.LBB278_170:
	v_add_co_u32 v1, vcc_lo, v12, v36
	v_add_co_ci_u32_e32 v2, vcc_lo, v13, v37, vcc_lo
	flat_load_u16 v1, v[1:2]
	s_waitcnt vmcnt(0) lgkmcnt(0)
	v_mul_f16_e32 v3, s18, v1
	v_add_co_u32 v1, vcc_lo, v14, v36
	v_add_co_ci_u32_e32 v2, vcc_lo, v15, v37, vcc_lo
	s_delay_alu instid0(VALU_DEP_3)
	v_min_f16_e32 v0, v3, v0
	v_add_co_u32 v3, vcc_lo, v12, v44
	v_add_co_ci_u32_e32 v4, vcc_lo, v13, v45, vcc_lo
	global_store_b16 v[1:2], v0, off
	flat_load_u16 v0, v[3:4]
	s_waitcnt vmcnt(0) lgkmcnt(0)
	v_mul_f16_e32 v0, s18, v0
.LBB278_171:
	v_pk_add_f16 v1, v24, v26
	v_pk_max_f16 v2, v48, v48
	v_pk_add_f16 v3, v25, v27
	s_delay_alu instid0(VALU_DEP_2) | instskip(NEXT) | instid1(VALU_DEP_1)
	v_pk_min_f16 v1, v2, v1
	v_pk_min_f16 v1, v1, v3
	s_delay_alu instid0(VALU_DEP_1) | instskip(NEXT) | instid1(VALU_DEP_1)
	v_lshrrev_b32_e32 v2, 16, v1
	v_min3_f16 v2, v0, v1, v2
	v_add_co_u32 v0, vcc_lo, v14, v44
	v_add_co_ci_u32_e32 v1, vcc_lo, v15, v45, vcc_lo
	global_store_b16 v[0:1], v2, off
	s_nop 0
	s_sendmsg sendmsg(MSG_DEALLOC_VGPRS)
	s_endpgm
	.section	.rodata,"a",@progbits
	.p2align	6, 0x0
	.amdhsa_kernel _ZN12_GLOBAL__N_120geam_min_plus_kernelIDF16_Dv2_DF16_S1_Li8ELi32ELi64ELi256ELi4ELi4ELi64ELi64ELi4ELc84ELc84ELb0ELb0ELb1EDF16_KDF16_DF16_EEviiiT16_PT17_ilS5_ilS3_S5_ilPT18_ili26rocblas_geam_ex_operation_
		.amdhsa_group_segment_fixed_size 5120
		.amdhsa_private_segment_fixed_size 0
		.amdhsa_kernarg_size 128
		.amdhsa_user_sgpr_count 14
		.amdhsa_user_sgpr_dispatch_ptr 0
		.amdhsa_user_sgpr_queue_ptr 0
		.amdhsa_user_sgpr_kernarg_segment_ptr 1
		.amdhsa_user_sgpr_dispatch_id 0
		.amdhsa_user_sgpr_private_segment_size 0
		.amdhsa_wavefront_size32 1
		.amdhsa_uses_dynamic_stack 0
		.amdhsa_enable_private_segment 0
		.amdhsa_system_sgpr_workgroup_id_x 1
		.amdhsa_system_sgpr_workgroup_id_y 0
		.amdhsa_system_sgpr_workgroup_id_z 1
		.amdhsa_system_sgpr_workgroup_info 0
		.amdhsa_system_vgpr_workitem_id 1
		.amdhsa_next_free_vgpr 163
		.amdhsa_next_free_sgpr 25
		.amdhsa_reserve_vcc 1
		.amdhsa_float_round_mode_32 0
		.amdhsa_float_round_mode_16_64 0
		.amdhsa_float_denorm_mode_32 3
		.amdhsa_float_denorm_mode_16_64 3
		.amdhsa_dx10_clamp 1
		.amdhsa_ieee_mode 1
		.amdhsa_fp16_overflow 0
		.amdhsa_workgroup_processor_mode 1
		.amdhsa_memory_ordered 1
		.amdhsa_forward_progress 0
		.amdhsa_shared_vgpr_count 0
		.amdhsa_exception_fp_ieee_invalid_op 0
		.amdhsa_exception_fp_denorm_src 0
		.amdhsa_exception_fp_ieee_div_zero 0
		.amdhsa_exception_fp_ieee_overflow 0
		.amdhsa_exception_fp_ieee_underflow 0
		.amdhsa_exception_fp_ieee_inexact 0
		.amdhsa_exception_int_div_zero 0
	.end_amdhsa_kernel
	.section	.text._ZN12_GLOBAL__N_120geam_min_plus_kernelIDF16_Dv2_DF16_S1_Li8ELi32ELi64ELi256ELi4ELi4ELi64ELi64ELi4ELc84ELc84ELb0ELb0ELb1EDF16_KDF16_DF16_EEviiiT16_PT17_ilS5_ilS3_S5_ilPT18_ili26rocblas_geam_ex_operation_,"axG",@progbits,_ZN12_GLOBAL__N_120geam_min_plus_kernelIDF16_Dv2_DF16_S1_Li8ELi32ELi64ELi256ELi4ELi4ELi64ELi64ELi4ELc84ELc84ELb0ELb0ELb1EDF16_KDF16_DF16_EEviiiT16_PT17_ilS5_ilS3_S5_ilPT18_ili26rocblas_geam_ex_operation_,comdat
.Lfunc_end278:
	.size	_ZN12_GLOBAL__N_120geam_min_plus_kernelIDF16_Dv2_DF16_S1_Li8ELi32ELi64ELi256ELi4ELi4ELi64ELi64ELi4ELc84ELc84ELb0ELb0ELb1EDF16_KDF16_DF16_EEviiiT16_PT17_ilS5_ilS3_S5_ilPT18_ili26rocblas_geam_ex_operation_, .Lfunc_end278-_ZN12_GLOBAL__N_120geam_min_plus_kernelIDF16_Dv2_DF16_S1_Li8ELi32ELi64ELi256ELi4ELi4ELi64ELi64ELi4ELc84ELc84ELb0ELb0ELb1EDF16_KDF16_DF16_EEviiiT16_PT17_ilS5_ilS3_S5_ilPT18_ili26rocblas_geam_ex_operation_
                                        ; -- End function
	.section	.AMDGPU.csdata,"",@progbits
; Kernel info:
; codeLenInByte = 18420
; NumSgprs: 27
; NumVgprs: 163
; ScratchSize: 0
; MemoryBound: 0
; FloatMode: 240
; IeeeMode: 1
; LDSByteSize: 5120 bytes/workgroup (compile time only)
; SGPRBlocks: 3
; VGPRBlocks: 20
; NumSGPRsForWavesPerEU: 27
; NumVGPRsForWavesPerEU: 163
; Occupancy: 9
; WaveLimiterHint : 1
; COMPUTE_PGM_RSRC2:SCRATCH_EN: 0
; COMPUTE_PGM_RSRC2:USER_SGPR: 14
; COMPUTE_PGM_RSRC2:TRAP_HANDLER: 0
; COMPUTE_PGM_RSRC2:TGID_X_EN: 1
; COMPUTE_PGM_RSRC2:TGID_Y_EN: 0
; COMPUTE_PGM_RSRC2:TGID_Z_EN: 1
; COMPUTE_PGM_RSRC2:TIDIG_COMP_CNT: 1
	.section	.text._ZN12_GLOBAL__N_120geam_min_plus_kernelIDF16_Dv2_DF16_S1_Li8ELi32ELi64ELi256ELi4ELi4ELi64ELi64ELi4ELc84ELc84ELb0ELb1ELb1EPKDF16_S2_DF16_EEviiiT16_PT17_ilS6_ilS4_S6_ilPT18_ili26rocblas_geam_ex_operation_,"axG",@progbits,_ZN12_GLOBAL__N_120geam_min_plus_kernelIDF16_Dv2_DF16_S1_Li8ELi32ELi64ELi256ELi4ELi4ELi64ELi64ELi4ELc84ELc84ELb0ELb1ELb1EPKDF16_S2_DF16_EEviiiT16_PT17_ilS6_ilS4_S6_ilPT18_ili26rocblas_geam_ex_operation_,comdat
	.globl	_ZN12_GLOBAL__N_120geam_min_plus_kernelIDF16_Dv2_DF16_S1_Li8ELi32ELi64ELi256ELi4ELi4ELi64ELi64ELi4ELc84ELc84ELb0ELb1ELb1EPKDF16_S2_DF16_EEviiiT16_PT17_ilS6_ilS4_S6_ilPT18_ili26rocblas_geam_ex_operation_ ; -- Begin function _ZN12_GLOBAL__N_120geam_min_plus_kernelIDF16_Dv2_DF16_S1_Li8ELi32ELi64ELi256ELi4ELi4ELi64ELi64ELi4ELc84ELc84ELb0ELb1ELb1EPKDF16_S2_DF16_EEviiiT16_PT17_ilS6_ilS4_S6_ilPT18_ili26rocblas_geam_ex_operation_
	.p2align	8
	.type	_ZN12_GLOBAL__N_120geam_min_plus_kernelIDF16_Dv2_DF16_S1_Li8ELi32ELi64ELi256ELi4ELi4ELi64ELi64ELi4ELc84ELc84ELb0ELb1ELb1EPKDF16_S2_DF16_EEviiiT16_PT17_ilS6_ilS4_S6_ilPT18_ili26rocblas_geam_ex_operation_,@function
_ZN12_GLOBAL__N_120geam_min_plus_kernelIDF16_Dv2_DF16_S1_Li8ELi32ELi64ELi256ELi4ELi4ELi64ELi64ELi4ELc84ELc84ELb0ELb1ELb1EPKDF16_S2_DF16_EEviiiT16_PT17_ilS6_ilS4_S6_ilPT18_ili26rocblas_geam_ex_operation_: ; @_ZN12_GLOBAL__N_120geam_min_plus_kernelIDF16_Dv2_DF16_S1_Li8ELi32ELi64ELi256ELi4ELi4ELi64ELi64ELi4ELc84ELc84ELb0ELb1ELb1EPKDF16_S2_DF16_EEviiiT16_PT17_ilS6_ilS4_S6_ilPT18_ili26rocblas_geam_ex_operation_
; %bb.0:
	s_clause 0x1
	s_load_b128 s[16:19], s[0:1], 0x10
	s_load_b128 s[4:7], s[0:1], 0x40
	s_mov_b32 s20, s15
	s_mov_b32 s21, 0
	v_mov_b32_e32 v1, 0
	s_lshl_b64 s[2:3], s[20:21], 1
	s_load_b128 s[8:11], s[0:1], 0x28
	s_mov_b64 s[22:23], 0
	s_mov_b64 s[24:25], 0
	s_waitcnt lgkmcnt(0)
	s_add_u32 s12, s16, s2
	s_addc_u32 s13, s17, s3
	s_add_u32 s2, s6, s2
	global_load_u16 v44, v1, s[12:13]
	s_addc_u32 s3, s7, s3
	global_load_u16 v48, v1, s[2:3]
	s_load_b64 s[12:13], s[0:1], 0x50
	s_waitcnt vmcnt(1)
	v_cmp_eq_f16_e64 s3, 0, v44
	v_cmp_neq_f16_e64 s2, 0, v44
	s_delay_alu instid0(VALU_DEP_2)
	s_and_b32 vcc_lo, exec_lo, s3
	s_cbranch_vccnz .LBB279_2
; %bb.1:
	s_mul_i32 s6, s20, s9
	s_mul_hi_u32 s7, s20, s8
	s_delay_alu instid0(SALU_CYCLE_1) | instskip(SKIP_1) | instid1(SALU_CYCLE_1)
	s_add_i32 s7, s7, s6
	s_mul_i32 s6, s20, s8
	s_lshl_b64 s[6:7], s[6:7], 1
	s_delay_alu instid0(SALU_CYCLE_1)
	s_add_u32 s24, s18, s6
	s_addc_u32 s25, s19, s7
.LBB279_2:
	s_delay_alu instid0(VALU_DEP_1)
	s_and_not1_b32 vcc_lo, exec_lo, s2
	s_cbranch_vccnz .LBB279_4
; %bb.3:
	s_mul_i32 s2, s20, s5
	s_mul_hi_u32 s5, s20, s4
	s_mul_i32 s4, s20, s4
	s_add_i32 s5, s5, s2
	s_delay_alu instid0(SALU_CYCLE_1) | instskip(NEXT) | instid1(SALU_CYCLE_1)
	s_lshl_b64 s[4:5], s[4:5], 1
	s_add_u32 s22, s10, s4
	s_addc_u32 s23, s11, s5
.LBB279_4:
	s_load_b128 s[8:11], s[0:1], 0x60
	s_waitcnt vmcnt(0)
	v_cmp_eq_f16_e32 vcc_lo, 0, v48
	v_cmp_neq_f16_e64 s2, 0, v48
	s_cbranch_vccnz .LBB279_6
; %bb.5:
	s_waitcnt lgkmcnt(0)
	s_mul_i32 s4, s20, s9
	s_mul_hi_u32 s5, s20, s8
	s_delay_alu instid0(SALU_CYCLE_1) | instskip(SKIP_1) | instid1(SALU_CYCLE_1)
	s_add_i32 s5, s5, s4
	s_mul_i32 s4, s20, s8
	s_lshl_b64 s[4:5], s[4:5], 1
	s_delay_alu instid0(SALU_CYCLE_1)
	s_add_u32 s12, s12, s4
	s_addc_u32 s13, s13, s5
	s_branch .LBB279_7
.LBB279_6:
	s_waitcnt lgkmcnt(0)
	s_mov_b64 s[12:13], 0
.LBB279_7:
	s_clause 0x1
	s_load_b128 s[16:19], s[0:1], 0x0
	s_load_b32 s26, s[0:1], 0x20
	v_and_b32_e32 v42, 0x3ff, v0
	v_bfe_u32 v43, v0, 10, 10
	s_delay_alu instid0(VALU_DEP_2) | instskip(NEXT) | instid1(VALU_DEP_2)
	v_and_b32_e32 v45, 3, v42
	v_lshl_add_u32 v2, v43, 3, v42
	s_delay_alu instid0(VALU_DEP_2) | instskip(SKIP_2) | instid1(SALU_CYCLE_1)
	v_lshlrev_b32_e32 v28, 1, v45
	s_waitcnt lgkmcnt(0)
	s_add_i32 s6, s16, -1
	s_ashr_i32 s4, s6, 31
	s_delay_alu instid0(SALU_CYCLE_1) | instskip(NEXT) | instid1(SALU_CYCLE_1)
	s_lshr_b32 s4, s4, 26
	s_add_i32 s4, s6, s4
	s_delay_alu instid0(SALU_CYCLE_1) | instskip(NEXT) | instid1(SALU_CYCLE_1)
	s_ashr_i32 s4, s4, 6
	s_add_i32 s7, s4, 1
	s_not_b32 s4, s4
	v_cvt_f32_u32_e32 v1, s7
	s_delay_alu instid0(VALU_DEP_1) | instskip(SKIP_2) | instid1(VALU_DEP_1)
	v_rcp_iflag_f32_e32 v1, v1
	s_waitcnt_depctr 0xfff
	v_mul_f32_e32 v1, 0x4f7ffffe, v1
	v_cvt_u32_f32_e32 v1, v1
	s_delay_alu instid0(VALU_DEP_1) | instskip(SKIP_1) | instid1(VALU_DEP_2)
	v_readfirstlane_b32 s5, v1
	v_lshrrev_b32_e32 v1, 2, v2
	s_mul_i32 s4, s4, s5
	s_delay_alu instid0(SALU_CYCLE_1) | instskip(NEXT) | instid1(SALU_CYCLE_1)
	s_mul_hi_u32 s4, s5, s4
	s_add_i32 s5, s5, s4
	s_delay_alu instid0(SALU_CYCLE_1) | instskip(NEXT) | instid1(SALU_CYCLE_1)
	s_mul_hi_u32 s4, s14, s5
	s_mul_i32 s5, s4, s7
	s_add_i32 s8, s4, 1
	s_sub_i32 s5, s14, s5
	s_delay_alu instid0(SALU_CYCLE_1)
	s_sub_i32 s9, s5, s7
	s_cmp_ge_u32 s5, s7
	s_cselect_b32 s4, s8, s4
	s_cselect_b32 s5, s9, s5
	s_add_i32 s8, s4, 1
	s_cmp_ge_u32 s5, s7
	s_cselect_b32 s5, s8, s4
	s_delay_alu instid0(SALU_CYCLE_1) | instskip(NEXT) | instid1(SALU_CYCLE_1)
	s_mul_i32 s4, s5, s7
	s_sub_i32 s4, s14, s4
	s_delay_alu instid0(SALU_CYCLE_1) | instskip(SKIP_2) | instid1(VALU_DEP_1)
	s_lshl_b32 s14, s4, 6
	v_cmp_le_i32_e64 s4, s18, v45
	v_add_nc_u32_e32 v0, s14, v1
	v_cmp_le_i32_e32 vcc_lo, s16, v0
	v_min_i32_e32 v29, s6, v0
	s_delay_alu instid0(VALU_DEP_4) | instskip(NEXT) | instid1(SALU_CYCLE_1)
	s_or_b32 s4, s4, vcc_lo
	v_cndmask_b32_e64 v0, 0, 0x7c00, s4
	s_or_b32 s4, s3, s4
	s_delay_alu instid0(SALU_CYCLE_1) | instskip(NEXT) | instid1(SALU_CYCLE_1)
	s_xor_b32 s4, s4, -1
	s_and_saveexec_b32 s6, s4
	s_cbranch_execz .LBB279_9
; %bb.8:
	v_mad_i64_i32 v[3:4], null, v29, s26, 0
	s_delay_alu instid0(VALU_DEP_1) | instskip(NEXT) | instid1(VALU_DEP_1)
	v_lshlrev_b64 v[3:4], 1, v[3:4]
	v_add_co_u32 v0, s4, s24, v3
	s_delay_alu instid0(VALU_DEP_1) | instskip(NEXT) | instid1(VALU_DEP_2)
	v_add_co_ci_u32_e64 v4, s4, s25, v4, s4
	v_add_co_u32 v3, s4, v0, v28
	s_delay_alu instid0(VALU_DEP_1)
	v_add_co_ci_u32_e64 v4, s4, 0, v4, s4
	flat_load_u16 v0, v[3:4]
	s_waitcnt vmcnt(0) lgkmcnt(0)
	v_mul_f16_e32 v0, v44, v0
.LBB279_9:
	s_or_b32 exec_lo, exec_lo, s6
	s_load_b32 s15, s[0:1], 0x38
	v_lshrrev_b32_e32 v46, 6, v2
	s_add_i32 s21, s18, -1
	v_and_b32_e32 v2, 63, v2
	s_lshl_b32 s19, s5, 8
	s_delay_alu instid0(VALU_DEP_2) | instskip(SKIP_1) | instid1(VALU_DEP_3)
	v_min_i32_e32 v5, s21, v46
	v_cmp_le_i32_e64 s8, s18, v46
	v_or_b32_e32 v20, s19, v2
	s_delay_alu instid0(VALU_DEP_1) | instskip(SKIP_1) | instid1(VALU_DEP_2)
	v_cmp_le_i32_e64 s4, s17, v20
	v_ashrrev_i32_e32 v21, 31, v20
	s_or_b32 s6, s4, s8
	s_waitcnt lgkmcnt(0)
	v_mad_i64_i32 v[3:4], null, s15, v5, 0
	s_delay_alu instid0(VALU_DEP_1) | instskip(SKIP_1) | instid1(VALU_DEP_2)
	v_lshlrev_b64 v[4:5], 1, v[3:4]
	v_cndmask_b32_e64 v3, 0, 0x7c00, s6
	v_add_co_u32 v7, s5, s22, v4
	s_delay_alu instid0(VALU_DEP_1) | instskip(SKIP_1) | instid1(SALU_CYCLE_1)
	v_add_co_ci_u32_e64 v8, s5, s23, v5, s5
	s_or_b32 s5, s3, s6
	s_xor_b32 s5, s5, -1
	s_delay_alu instid0(SALU_CYCLE_1)
	s_and_saveexec_b32 s6, s5
	s_cbranch_execz .LBB279_11
; %bb.10:
	v_lshlrev_b64 v[3:4], 1, v[20:21]
	s_delay_alu instid0(VALU_DEP_1) | instskip(NEXT) | instid1(VALU_DEP_1)
	v_add_co_u32 v3, s5, v7, v3
	v_add_co_ci_u32_e64 v4, s5, v8, v4, s5
	flat_load_u16 v3, v[3:4]
	s_waitcnt vmcnt(0) lgkmcnt(0)
	v_mul_f16_e32 v3, v44, v3
.LBB279_11:
	s_or_b32 exec_lo, exec_lo, s6
	v_or_b32_e32 v4, 64, v20
	s_add_i32 s9, s17, -1
	s_delay_alu instid0(VALU_DEP_1) | instskip(SKIP_1) | instid1(VALU_DEP_2)
	v_cmp_le_i32_e64 s5, s17, v4
	v_min_i32_e32 v22, s9, v4
	s_or_b32 s6, s5, s8
	s_delay_alu instid0(VALU_DEP_1) | instskip(SKIP_2) | instid1(SALU_CYCLE_1)
	v_ashrrev_i32_e32 v23, 31, v22
	v_cndmask_b32_e64 v4, 0, 0x7c00, s6
	s_or_b32 s6, s3, s6
	s_xor_b32 s6, s6, -1
	s_delay_alu instid0(SALU_CYCLE_1)
	s_and_saveexec_b32 s7, s6
	s_cbranch_execz .LBB279_13
; %bb.12:
	v_lshlrev_b64 v[4:5], 1, v[22:23]
	s_delay_alu instid0(VALU_DEP_1) | instskip(NEXT) | instid1(VALU_DEP_1)
	v_add_co_u32 v4, s6, v7, v4
	v_add_co_ci_u32_e64 v5, s6, v8, v5, s6
	flat_load_u16 v4, v[4:5]
	s_waitcnt vmcnt(0) lgkmcnt(0)
	v_mul_f16_e32 v4, v44, v4
.LBB279_13:
	s_or_b32 exec_lo, exec_lo, s7
	v_or_b32_e32 v5, 0x80, v20
	s_delay_alu instid0(VALU_DEP_1) | instskip(SKIP_1) | instid1(VALU_DEP_2)
	v_cmp_le_i32_e64 s6, s17, v5
	v_min_i32_e32 v24, s9, v5
	s_or_b32 s7, s6, s8
	s_delay_alu instid0(VALU_DEP_1) | instskip(SKIP_2) | instid1(SALU_CYCLE_1)
	v_ashrrev_i32_e32 v25, 31, v24
	v_cndmask_b32_e64 v5, 0, 0x7c00, s7
	s_or_b32 s7, s3, s7
	s_xor_b32 s7, s7, -1
	s_delay_alu instid0(SALU_CYCLE_1)
	s_and_saveexec_b32 s27, s7
	s_cbranch_execz .LBB279_15
; %bb.14:
	v_lshlrev_b64 v[5:6], 1, v[24:25]
	s_delay_alu instid0(VALU_DEP_1) | instskip(NEXT) | instid1(VALU_DEP_1)
	v_add_co_u32 v5, s7, v7, v5
	v_add_co_ci_u32_e64 v6, s7, v8, v6, s7
	flat_load_u16 v5, v[5:6]
	s_waitcnt vmcnt(0) lgkmcnt(0)
	v_mul_f16_e32 v5, v44, v5
.LBB279_15:
	s_or_b32 exec_lo, exec_lo, s27
	v_or_b32_e32 v6, 0xc0, v20
	;; [unrolled: 23-line block ×3, first 2 shown]
	s_delay_alu instid0(VALU_DEP_1) | instskip(NEXT) | instid1(VALU_DEP_1)
	v_cmp_le_i32_e64 s8, s18, v7
	s_or_b32 s8, s8, vcc_lo
	s_delay_alu instid0(SALU_CYCLE_1) | instskip(SKIP_1) | instid1(SALU_CYCLE_1)
	v_cndmask_b32_e64 v30, 0, 0x7c00, s8
	s_or_b32 s8, s3, s8
	s_xor_b32 s8, s8, -1
	s_delay_alu instid0(SALU_CYCLE_1)
	s_and_saveexec_b32 s9, s8
	s_cbranch_execz .LBB279_19
; %bb.18:
	v_mad_i64_i32 v[7:8], null, v29, s26, 0
	s_delay_alu instid0(VALU_DEP_1) | instskip(NEXT) | instid1(VALU_DEP_1)
	v_lshlrev_b64 v[7:8], 1, v[7:8]
	v_add_co_u32 v7, s8, s24, v7
	s_delay_alu instid0(VALU_DEP_1) | instskip(NEXT) | instid1(VALU_DEP_2)
	v_add_co_ci_u32_e64 v8, s8, s25, v8, s8
	v_add_co_u32 v7, s8, v7, v28
	s_delay_alu instid0(VALU_DEP_1)
	v_add_co_ci_u32_e64 v8, s8, 0, v8, s8
	flat_load_u16 v7, v[7:8] offset:8
	s_waitcnt vmcnt(0) lgkmcnt(0)
	v_mul_f16_e32 v30, v44, v7
.LBB279_19:
	s_or_b32 exec_lo, exec_lo, s9
	v_add_nc_u32_e32 v9, 4, v46
	s_delay_alu instid0(VALU_DEP_1) | instskip(SKIP_1) | instid1(VALU_DEP_2)
	v_min_i32_e32 v10, s21, v9
	v_cmp_le_i32_e64 s8, s18, v9
	v_mad_i64_i32 v[7:8], null, s15, v10, 0
	s_delay_alu instid0(VALU_DEP_1) | instskip(NEXT) | instid1(VALU_DEP_1)
	v_lshlrev_b64 v[7:8], 1, v[7:8]
	v_add_co_u32 v7, s9, s22, v7
	s_delay_alu instid0(VALU_DEP_1) | instskip(SKIP_1) | instid1(SALU_CYCLE_1)
	v_add_co_ci_u32_e64 v8, s9, s23, v8, s9
	s_or_b32 s9, s4, s8
	v_cndmask_b32_e64 v31, 0, 0x7c00, s9
	s_or_b32 s9, s3, s9
	s_delay_alu instid0(SALU_CYCLE_1) | instskip(NEXT) | instid1(SALU_CYCLE_1)
	s_xor_b32 s9, s9, -1
	s_and_saveexec_b32 s27, s9
	s_cbranch_execz .LBB279_21
; %bb.20:
	v_lshlrev_b64 v[9:10], 1, v[20:21]
	s_delay_alu instid0(VALU_DEP_1) | instskip(NEXT) | instid1(VALU_DEP_1)
	v_add_co_u32 v9, s9, v7, v9
	v_add_co_ci_u32_e64 v10, s9, v8, v10, s9
	flat_load_u16 v9, v[9:10]
	s_waitcnt vmcnt(0) lgkmcnt(0)
	v_mul_f16_e32 v31, v44, v9
.LBB279_21:
	s_or_b32 exec_lo, exec_lo, s27
	s_or_b32 s9, s5, s8
	s_delay_alu instid0(SALU_CYCLE_1) | instskip(SKIP_1) | instid1(SALU_CYCLE_1)
	v_cndmask_b32_e64 v32, 0, 0x7c00, s9
	s_or_b32 s9, s3, s9
	s_xor_b32 s9, s9, -1
	s_delay_alu instid0(SALU_CYCLE_1)
	s_and_saveexec_b32 s27, s9
	s_cbranch_execz .LBB279_23
; %bb.22:
	v_lshlrev_b64 v[9:10], 1, v[22:23]
	s_delay_alu instid0(VALU_DEP_1) | instskip(NEXT) | instid1(VALU_DEP_1)
	v_add_co_u32 v9, s9, v7, v9
	v_add_co_ci_u32_e64 v10, s9, v8, v10, s9
	flat_load_u16 v9, v[9:10]
	s_waitcnt vmcnt(0) lgkmcnt(0)
	v_mul_f16_e32 v32, v44, v9
.LBB279_23:
	s_or_b32 exec_lo, exec_lo, s27
	s_or_b32 s9, s6, s8
	s_delay_alu instid0(SALU_CYCLE_1) | instskip(SKIP_1) | instid1(SALU_CYCLE_1)
	v_cndmask_b32_e64 v33, 0, 0x7c00, s9
	s_or_b32 s9, s3, s9
	s_xor_b32 s9, s9, -1
	s_delay_alu instid0(SALU_CYCLE_1)
	s_and_saveexec_b32 s27, s9
	s_cbranch_execz .LBB279_25
; %bb.24:
	v_lshlrev_b64 v[9:10], 1, v[24:25]
	s_delay_alu instid0(VALU_DEP_1) | instskip(NEXT) | instid1(VALU_DEP_1)
	v_add_co_u32 v9, s9, v7, v9
	v_add_co_ci_u32_e64 v10, s9, v8, v10, s9
	flat_load_u16 v9, v[9:10]
	s_waitcnt vmcnt(0) lgkmcnt(0)
	v_mul_f16_e32 v33, v44, v9
.LBB279_25:
	s_or_b32 exec_lo, exec_lo, s27
	s_or_b32 s8, s7, s8
	s_delay_alu instid0(SALU_CYCLE_1) | instskip(SKIP_1) | instid1(SALU_CYCLE_1)
	v_cndmask_b32_e64 v34, 0, 0x7c00, s8
	s_or_b32 s8, s3, s8
	s_xor_b32 s8, s8, -1
	s_delay_alu instid0(SALU_CYCLE_1)
	s_and_saveexec_b32 s9, s8
	s_cbranch_execz .LBB279_27
; %bb.26:
	v_lshlrev_b64 v[9:10], 1, v[26:27]
	s_delay_alu instid0(VALU_DEP_1) | instskip(NEXT) | instid1(VALU_DEP_1)
	v_add_co_u32 v7, s8, v7, v9
	v_add_co_ci_u32_e64 v8, s8, v8, v10, s8
	flat_load_u16 v7, v[7:8]
	s_waitcnt vmcnt(0) lgkmcnt(0)
	v_mul_f16_e32 v34, v44, v7
.LBB279_27:
	s_or_b32 exec_lo, exec_lo, s9
	v_lshlrev_b32_e32 v7, 1, v46
	v_lshlrev_b32_e32 v47, 3, v42
	v_lshl_or_b32 v35, v1, 3, v28
	v_lshlrev_b32_e32 v77, 3, v43
	s_cmp_lt_i32 s18, 9
	v_lshl_add_u32 v85, v2, 3, v7
	v_add_nc_u32_e32 v1, 0x1000, v47
	ds_store_b16 v85, v3
	ds_store_b16 v85, v4 offset:512
	ds_store_b16 v85, v5 offset:1024
	;; [unrolled: 1-line block ×4, first 2 shown]
	s_waitcnt lgkmcnt(0)
	s_barrier
	buffer_gl0_inv
	ds_load_2addr_b64 v[16:19], v1 offset1:8
	ds_load_2addr_b64 v[36:39], v77 offset1:32
	ds_load_2addr_b64 v[12:15], v1 offset0:16 offset1:24
	ds_load_2addr_b64 v[4:7], v1 offset0:32 offset1:40
	;; [unrolled: 1-line block ×6, first 2 shown]
	ds_store_b16 v85, v31 offset:2048
	ds_store_b16 v85, v32 offset:2560
	;; [unrolled: 1-line block ×5, first 2 shown]
	s_waitcnt lgkmcnt(0)
	s_barrier
	buffer_gl0_inv
	v_pk_add_f16 v40, v16, v36
	v_pk_add_f16 v41, v18, v36
	;; [unrolled: 1-line block ×10, first 2 shown]
	v_pk_min_f16 v115, 0x7c00, v84 op_sel_hi:[0,1]
	v_pk_add_f16 v84, v18, v53
	v_pk_min_f16 v117, 0x7c00, v86 op_sel_hi:[0,1]
	v_pk_add_f16 v86, v16, v55
	v_pk_min_f16 v118, 0x7c00, v87 op_sel_hi:[0,1]
	v_pk_min_f16 v119, 0x7c00, v88 op_sel_hi:[0,1]
	;; [unrolled: 1-line block ×3, first 2 shown]
	v_pk_add_f16 v84, v0, v53
	v_pk_add_f16 v87, v18, v55
	;; [unrolled: 1-line block ×3, first 2 shown]
	v_pk_min_f16 v122, 0x7c00, v86 op_sel_hi:[0,1]
	v_pk_add_f16 v86, v4, v55
	v_pk_min_f16 v121, 0x7c00, v84 op_sel_hi:[0,1]
	v_pk_add_f16 v84, v14, v55
	v_pk_min_f16 v123, 0x7c00, v87 op_sel_hi:[0,1]
	v_pk_min_f16 v124, 0x7c00, v88 op_sel_hi:[0,1]
	v_pk_add_f16 v87, v6, v55
	v_pk_add_f16 v88, v0, v55
	v_pk_min_f16 v125, 0x7c00, v84 op_sel_hi:[0,1]
	v_pk_min_f16 v126, 0x7c00, v86 op_sel_hi:[0,1]
	v_pk_add_f16 v84, v16, v8
	v_pk_add_f16 v86, v18, v8
	;; [unrolled: 1-line block ×5, first 2 shown]
	v_pk_min_f16 v40, 0x7c00, v40 op_sel_hi:[0,1]
	v_pk_add_f16 v62, v16, v38
	v_pk_add_f16 v63, v18, v38
	;; [unrolled: 1-line block ×24, first 2 shown]
	v_pk_min_f16 v120, 0x7c00, v89 op_sel_hi:[0,1]
	v_pk_add_f16 v53, v2, v53
	v_pk_add_f16 v55, v2, v55
	v_pk_min_f16 v127, 0x7c00, v87 op_sel_hi:[0,1]
	v_pk_min_f16 v128, 0x7c00, v88 op_sel_hi:[0,1]
	v_pk_add_f16 v87, v12, v8
	v_pk_add_f16 v88, v14, v8
	;; [unrolled: 1-line block ×3, first 2 shown]
	v_pk_min_f16 v129, 0x7c00, v84 op_sel_hi:[0,1]
	v_pk_min_f16 v130, 0x7c00, v86 op_sel_hi:[0,1]
	v_pk_add_f16 v84, v6, v8
	v_pk_add_f16 v86, v0, v8
	;; [unrolled: 1-line block ×12, first 2 shown]
	v_pk_min_f16 v41, 0x7c00, v41 op_sel_hi:[0,1]
	v_pk_min_f16 v59, 0x7c00, v59 op_sel_hi:[0,1]
	;; [unrolled: 1-line block ×3, first 2 shown]
	v_pk_add_f16 v84, v19, v37
	v_pk_min_f16 v114, v40, v10
	v_pk_add_f16 v10, v5, v37
	v_pk_min_f16 v36, 0x7c00, v36 op_sel_hi:[0,1]
	v_pk_min_f16 v63, 0x7c00, v63 op_sel_hi:[0,1]
	v_pk_min_f16 v131, 0x7c00, v87 op_sel_hi:[0,1]
	v_pk_min_f16 v135, 0x7c00, v86 op_sel_hi:[0,1]
	v_pk_add_f16 v86, v13, v37
	v_pk_add_f16 v87, v15, v37
	v_pk_min_f16 v113, v41, v84
	v_pk_add_f16 v40, v7, v37
	v_pk_add_f16 v41, v1, v37
	;; [unrolled: 1-line block ×3, first 2 shown]
	v_pk_min_f16 v110, v59, v10
	v_pk_add_f16 v10, v19, v39
	v_pk_min_f16 v57, 0x7c00, v57 op_sel_hi:[0,1]
	v_pk_min_f16 v60, 0x7c00, v60 op_sel_hi:[0,1]
	v_pk_min_f16 v61, 0x7c00, v61 op_sel_hi:[0,1]
	v_pk_min_f16 v64, 0x7c00, v64 op_sel_hi:[0,1]
	v_pk_min_f16 v65, 0x7c00, v65 op_sel_hi:[0,1]
	v_pk_min_f16 v68, 0x7c00, v68 op_sel_hi:[0,1]
	v_pk_min_f16 v107, v36, v37
	v_pk_add_f16 v36, v13, v39
	v_pk_add_f16 v37, v15, v39
	v_pk_min_f16 v105, v63, v10
	v_pk_add_f16 v10, v1, v39
	v_pk_min_f16 v38, 0x7c00, v38 op_sel_hi:[0,1]
	v_pk_min_f16 v69, 0x7c00, v69 op_sel_hi:[0,1]
	;; [unrolled: 1-line block ×4, first 2 shown]
	v_pk_min_f16 v112, v57, v86
	v_pk_add_f16 v57, v17, v39
	v_pk_min_f16 v109, v60, v40
	v_pk_min_f16 v108, v61, v41
	v_pk_add_f16 v40, v5, v39
	v_pk_add_f16 v41, v7, v39
	v_pk_min_f16 v104, v64, v36
	v_pk_min_f16 v103, v65, v37
	v_pk_add_f16 v36, v3, v39
	v_pk_add_f16 v37, v17, v50
	;; [unrolled: 1-line block ×3, first 2 shown]
	v_pk_min_f16 v100, v68, v10
	v_pk_add_f16 v10, v15, v50
	v_pk_min_f16 v73, 0x7c00, v73 op_sel_hi:[0,1]
	v_pk_min_f16 v74, 0x7c00, v74 op_sel_hi:[0,1]
	;; [unrolled: 1-line block ×5, first 2 shown]
	v_pk_min_f16 v99, v38, v36
	v_pk_min_f16 v98, v69, v37
	;; [unrolled: 1-line block ×3, first 2 shown]
	v_pk_add_f16 v36, v5, v50
	v_pk_add_f16 v37, v7, v50
	;; [unrolled: 1-line block ×4, first 2 shown]
	v_pk_min_f16 v95, v72, v10
	v_pk_add_f16 v10, v17, v52
	v_pk_min_f16 v58, 0x7c00, v58 op_sel_hi:[0,1]
	v_pk_min_f16 v78, 0x7c00, v78 op_sel_hi:[0,1]
	;; [unrolled: 1-line block ×6, first 2 shown]
	v_pk_min_f16 v94, v73, v36
	v_pk_min_f16 v93, v74, v37
	;; [unrolled: 1-line block ×4, first 2 shown]
	v_pk_add_f16 v36, v19, v52
	v_pk_add_f16 v37, v13, v52
	;; [unrolled: 1-line block ×4, first 2 shown]
	v_pk_min_f16 v90, v76, v10
	v_pk_add_f16 v10, v7, v52
	v_pk_min_f16 v83, 0x7c00, v83 op_sel_hi:[0,1]
	v_pk_min_f16 v51, 0x7c00, v51 op_sel_hi:[0,1]
	;; [unrolled: 1-line block ×4, first 2 shown]
	v_pk_min_f16 v111, v58, v87
	v_pk_min_f16 v89, v78, v36
	;; [unrolled: 1-line block ×5, first 2 shown]
	v_pk_add_f16 v36, v1, v52
	v_pk_add_f16 v37, v3, v52
	;; [unrolled: 1-line block ×4, first 2 shown]
	v_pk_min_f16 v84, v82, v10
	v_pk_add_f16 v10, v13, v54
	v_pk_min_f16 v66, 0x7c00, v66 op_sel_hi:[0,1]
	v_pk_min_f16 v53, 0x7c00, v53 op_sel_hi:[0,1]
	v_pk_min_f16 v83, v83, v36
	v_pk_min_f16 v82, v51, v37
	;; [unrolled: 1-line block ×4, first 2 shown]
	v_pk_add_f16 v36, v15, v54
	v_pk_add_f16 v37, v5, v54
	;; [unrolled: 1-line block ×4, first 2 shown]
	v_pk_min_f16 v79, v117, v10
	v_pk_add_f16 v10, v3, v54
	v_pk_min_f16 v71, 0x7c00, v71 op_sel_hi:[0,1]
	v_pk_min_f16 v102, v66, v40
	v_pk_add_f16 v40, v13, v50
	v_pk_min_f16 v78, v118, v36
	v_pk_min_f16 v76, v119, v37
	;; [unrolled: 1-line block ×4, first 2 shown]
	v_pk_add_f16 v36, v17, v56
	v_pk_add_f16 v37, v19, v56
	;; [unrolled: 1-line block ×4, first 2 shown]
	v_pk_min_f16 v73, v53, v10
	v_pk_add_f16 v10, v5, v56
	v_pk_min_f16 v67, 0x7c00, v67 op_sel_hi:[0,1]
	v_pk_min_f16 v55, 0x7c00, v55 op_sel_hi:[0,1]
	v_pk_min_f16 v96, v71, v40
	v_pk_min_f16 v72, v122, v36
	;; [unrolled: 1-line block ×5, first 2 shown]
	v_pk_add_f16 v36, v7, v56
	v_pk_add_f16 v37, v1, v56
	v_pk_add_f16 v38, v3, v56
	v_pk_add_f16 v39, v17, v9
	v_pk_min_f16 v68, v126, v10
	v_pk_add_f16 v10, v19, v9
	v_pk_min_f16 v62, 0x7c00, v62 op_sel_hi:[0,1]
	v_pk_min_f16 v8, 0x7c00, v8 op_sel_hi:[0,1]
	v_pk_min_f16 v101, v67, v41
	v_pk_min_f16 v67, v127, v36
	;; [unrolled: 1-line block ×5, first 2 shown]
	v_pk_add_f16 v36, v13, v9
	v_pk_add_f16 v37, v15, v9
	;; [unrolled: 1-line block ×4, first 2 shown]
	v_pk_min_f16 v63, v130, v10
	v_pk_add_f16 v10, v1, v9
	v_pk_add_f16 v9, v3, v9
	v_pk_min_f16 v16, 0x7c00, v16 op_sel_hi:[0,1]
	v_pk_min_f16 v18, 0x7c00, v18 op_sel_hi:[0,1]
	;; [unrolled: 1-line block ×8, first 2 shown]
	v_pk_min_f16 v106, v62, v57
	v_pk_add_f16 v17, v17, v11
	v_pk_add_f16 v19, v19, v11
	;; [unrolled: 1-line block ×3, first 2 shown]
	v_pk_min_f16 v57, v8, v9
	v_pk_add_f16 v8, v15, v11
	v_pk_add_f16 v5, v5, v11
	;; [unrolled: 1-line block ×5, first 2 shown]
	v_pk_min_f16 v62, v131, v36
	v_pk_min_f16 v61, v132, v37
	;; [unrolled: 1-line block ×13, first 2 shown]
	s_cbranch_scc1 .LBB279_50
; %bb.28:
	v_mad_i64_i32 v[0:1], null, v29, s26, 0
	v_add_nc_u32_e32 v115, 0x1000, v35
	v_add_nc_u32_e32 v117, 0x1200, v35
	v_lshlrev_b64 v[32:33], 1, v[20:21]
	v_lshlrev_b64 v[34:35], 1, v[22:23]
	;; [unrolled: 1-line block ×5, first 2 shown]
	v_add_nc_u32_e32 v116, 0x1000, v47
	v_or_b32_e32 v118, 0x800, v85
	v_lshl_add_u32 v119, v42, 3, 0x1200
	v_lshl_add_u32 v120, v43, 3, 0x800
	v_add_co_u32 v0, s8, v0, v28
	s_delay_alu instid0(VALU_DEP_1) | instskip(NEXT) | instid1(VALU_DEP_2)
	v_add_co_ci_u32_e64 v1, s8, 0, v1, s8
	v_add_co_u32 v0, s8, v0, s24
	s_delay_alu instid0(VALU_DEP_1) | instskip(SKIP_1) | instid1(VALU_DEP_2)
	v_add_co_ci_u32_e64 v1, s8, s25, v1, s8
	s_add_i32 s24, s18, -8
	v_add_co_u32 v40, s8, v0, 24
	s_delay_alu instid0(VALU_DEP_1)
	v_add_co_ci_u32_e64 v41, s8, 0, v1, s8
	s_mov_b32 s25, 0
	s_branch .LBB279_30
.LBB279_29:                             ;   in Loop: Header=BB279_30 Depth=1
	s_or_b32 exec_lo, exec_lo, s9
	ds_load_2addr_b64 v[125:128], v116 offset1:8
	ds_load_2addr_b64 v[88:91], v77 offset1:32
	ds_load_2addr_b64 v[129:132], v116 offset0:16 offset1:24
	ds_load_2addr_b64 v[133:136], v116 offset0:32 offset1:40
	ds_load_2addr_b64 v[137:140], v116 offset0:48 offset1:56
	ds_load_2addr_b64 v[141:144], v77 offset0:64 offset1:96
	ds_load_2addr_b64 v[145:148], v77 offset0:128 offset1:160
	ds_load_2addr_b64 v[149:152], v77 offset0:192 offset1:224
	v_pk_max_f16 v11, v86, v86
	v_pk_max_f16 v15, v83, v83
	;; [unrolled: 1-line block ×13, first 2 shown]
	s_waitcnt lgkmcnt(6)
	v_pk_add_f16 v83, v125, v88
	v_pk_add_f16 v84, v127, v88
	s_waitcnt lgkmcnt(5)
	v_pk_add_f16 v86, v129, v88
	v_pk_add_f16 v87, v131, v88
	s_waitcnt lgkmcnt(4)
	v_pk_add_f16 v92, v133, v88
	v_pk_add_f16 v93, v135, v88
	s_waitcnt lgkmcnt(3)
	v_pk_add_f16 v94, v137, v88
	v_pk_add_f16 v88, v139, v88
	v_pk_min_f16 v11, v11, v83
	v_pk_min_f16 v15, v15, v84
	;; [unrolled: 1-line block ×5, first 2 shown]
	v_pk_add_f16 v83, v125, v90
	v_pk_add_f16 v84, v127, v90
	;; [unrolled: 1-line block ×5, first 2 shown]
	v_pk_min_f16 v71, v71, v83
	v_pk_min_f16 v79, v79, v84
	;; [unrolled: 1-line block ×5, first 2 shown]
	v_pk_add_f16 v83, v135, v90
	v_pk_add_f16 v84, v137, v90
	v_pk_max_f16 v74, v74, v74
	v_pk_add_f16 v86, v139, v90
	v_pk_max_f16 v72, v72, v72
	s_waitcnt lgkmcnt(2)
	v_pk_add_f16 v87, v125, v141
	v_pk_max_f16 v70, v70, v70
	v_pk_add_f16 v88, v127, v141
	v_pk_max_f16 v68, v68, v68
	v_pk_min_f16 v66, v66, v83
	v_pk_min_f16 v74, v74, v84
	v_pk_min_f16 v72, v72, v86
	v_pk_min_f16 v70, v70, v87
	v_pk_min_f16 v68, v68, v88
	v_pk_add_f16 v83, v129, v141
	v_pk_max_f16 v61, v61, v61
	v_pk_add_f16 v84, v131, v141
	v_pk_max_f16 v69, v69, v69
	v_pk_add_f16 v86, v133, v141
	v_pk_max_f16 v67, v67, v67
	v_pk_add_f16 v87, v135, v141
	v_pk_max_f16 v65, v65, v65
	v_pk_add_f16 v88, v137, v141
	v_pk_max_f16 v63, v63, v63
	v_pk_min_f16 v61, v61, v83
	v_pk_min_f16 v69, v69, v84
	v_pk_min_f16 v67, v67, v86
	v_pk_min_f16 v65, v65, v87
	v_pk_min_f16 v63, v63, v88
	v_pk_add_f16 v83, v139, v141
	v_pk_max_f16 v56, v56, v56
	v_pk_add_f16 v84, v125, v143
	v_pk_max_f16 v64, v64, v64
	v_pk_add_f16 v86, v127, v143
	v_pk_max_f16 v62, v62, v62
	;; [unrolled: 15-line block ×3, first 2 shown]
	v_pk_add_f16 v87, v139, v143
	v_pk_max_f16 v55, v55, v55
	s_waitcnt lgkmcnt(1)
	v_pk_add_f16 v88, v125, v145
	v_pk_max_f16 v53, v53, v53
	v_pk_min_f16 v51, v51, v83
	v_pk_min_f16 v59, v59, v84
	v_pk_min_f16 v57, v57, v86
	v_pk_min_f16 v55, v55, v87
	v_pk_min_f16 v53, v53, v88
	v_pk_add_f16 v83, v127, v145
	v_pk_max_f16 v29, v29, v29
	v_pk_add_f16 v84, v129, v145
	v_pk_max_f16 v54, v54, v54
	v_pk_add_f16 v86, v131, v145
	v_pk_max_f16 v52, v52, v52
	v_pk_add_f16 v87, v133, v145
	v_pk_max_f16 v50, v50, v50
	v_pk_add_f16 v88, v135, v145
	v_pk_max_f16 v31, v31, v31
	v_pk_min_f16 v29, v29, v83
	v_pk_min_f16 v54, v54, v84
	v_pk_min_f16 v52, v52, v86
	v_pk_min_f16 v50, v50, v87
	v_pk_min_f16 v31, v31, v88
	v_pk_add_f16 v83, v137, v145
	v_pk_max_f16 v24, v24, v24
	v_pk_add_f16 v84, v139, v145
	v_pk_max_f16 v49, v49, v49
	v_pk_add_f16 v86, v125, v147
	v_pk_max_f16 v30, v30, v30
	v_pk_add_f16 v87, v127, v147
	v_pk_max_f16 v28, v28, v28
	;; [unrolled: 15-line block ×3, first 2 shown]
	v_pk_add_f16 v88, v139, v147
	v_pk_max_f16 v21, v21, v21
	v_pk_min_f16 v18, v18, v83
	v_pk_min_f16 v27, v27, v84
	;; [unrolled: 1-line block ×5, first 2 shown]
	s_waitcnt lgkmcnt(0)
	v_pk_add_f16 v83, v125, v149
	v_pk_max_f16 v10, v10, v10
	v_pk_add_f16 v84, v127, v149
	v_pk_max_f16 v22, v22, v22
	;; [unrolled: 2-line block ×5, first 2 shown]
	v_pk_min_f16 v10, v10, v83
	v_pk_min_f16 v22, v22, v84
	;; [unrolled: 1-line block ×5, first 2 shown]
	v_pk_add_f16 v83, v135, v149
	v_pk_max_f16 v6, v6, v6
	v_pk_add_f16 v84, v137, v149
	v_pk_max_f16 v13, v13, v13
	;; [unrolled: 2-line block ×5, first 2 shown]
	v_pk_min_f16 v6, v6, v83
	v_pk_min_f16 v13, v13, v84
	;; [unrolled: 1-line block ×5, first 2 shown]
	v_pk_add_f16 v83, v129, v151
	v_pk_max_f16 v2, v2, v2
	v_pk_add_f16 v84, v131, v151
	v_pk_max_f16 v7, v7, v7
	v_pk_add_f16 v86, v133, v151
	v_pk_max_f16 v5, v5, v5
	v_pk_add_f16 v87, v135, v151
	v_pk_max_f16 v4, v4, v4
	v_pk_add_f16 v88, v137, v151
	v_pk_max_f16 v3, v3, v3
	v_pk_max_f16 v82, v82, v82
	v_pk_min_f16 v2, v2, v83
	v_pk_min_f16 v7, v7, v84
	;; [unrolled: 1-line block ×5, first 2 shown]
	v_pk_add_f16 v83, v139, v151
	v_pk_max_f16 v1, v1, v1
	v_pk_add_f16 v84, v126, v89
	v_pk_add_f16 v86, v128, v89
	;; [unrolled: 1-line block ×4, first 2 shown]
	v_pk_min_f16 v80, v80, v92
	v_pk_min_f16 v81, v81, v93
	;; [unrolled: 1-line block ×8, first 2 shown]
	v_pk_add_f16 v11, v134, v89
	v_pk_add_f16 v15, v136, v89
	v_pk_add_f16 v17, v138, v89
	v_pk_add_f16 v19, v140, v89
	v_pk_add_f16 v83, v126, v91
	v_pk_min_f16 v110, v80, v11
	v_pk_min_f16 v109, v81, v15
	v_pk_min_f16 v108, v82, v17
	v_pk_min_f16 v107, v78, v19
	v_pk_min_f16 v106, v71, v83
	v_pk_add_f16 v11, v128, v91
	v_pk_add_f16 v15, v130, v91
	v_pk_add_f16 v17, v132, v91
	v_pk_add_f16 v19, v134, v91
	v_pk_add_f16 v71, v136, v91
	v_pk_min_f16 v105, v79, v11
	v_pk_min_f16 v104, v76, v15
	v_pk_min_f16 v103, v75, v17
	v_pk_min_f16 v102, v73, v19
	v_pk_min_f16 v101, v66, v71
	;; [unrolled: 10-line block ×11, first 2 shown]
	v_pk_add_f16 v2, v132, v152
	v_pk_add_f16 v6, v134, v152
	;; [unrolled: 1-line block ×5, first 2 shown]
	v_add_co_u32 v40, s8, v40, 16
	v_pk_min_f16 v56, v7, v2
	v_pk_min_f16 v54, v5, v6
	;; [unrolled: 1-line block ×5, first 2 shown]
	v_add_co_ci_u32_e64 v41, s8, 0, v41, s8
	s_add_i32 s25, s25, 8
	ds_store_b16 v117, v121
	ds_store_b16 v118, v122
	ds_store_b16 v118, v123 offset:512
	ds_store_b16 v118, v124 offset:1024
	;; [unrolled: 1-line block ×3, first 2 shown]
	s_cmp_ge_i32 s25, s24
	s_waitcnt lgkmcnt(0)
	s_barrier
	buffer_gl0_inv
	s_cbranch_scc1 .LBB279_50
.LBB279_30:                             ; =>This Inner Loop Header: Depth=1
	v_add_nc_u32_e32 v121, s25, v45
	s_delay_alu instid0(VALU_DEP_1) | instskip(NEXT) | instid1(VALU_DEP_1)
	v_add_nc_u32_e32 v0, 8, v121
	v_cmp_le_i32_e64 s8, s18, v0
	s_delay_alu instid0(VALU_DEP_1) | instskip(NEXT) | instid1(SALU_CYCLE_1)
	s_or_b32 s8, s8, vcc_lo
	v_cndmask_b32_e64 v123, 0, 0x7c00, s8
	s_or_b32 s8, s3, s8
	s_delay_alu instid0(SALU_CYCLE_1) | instskip(NEXT) | instid1(SALU_CYCLE_1)
	s_xor_b32 s8, s8, -1
	s_and_saveexec_b32 s9, s8
	s_cbranch_execz .LBB279_32
; %bb.31:                               ;   in Loop: Header=BB279_30 Depth=1
	v_add_co_u32 v0, s8, -8, v40
	s_delay_alu instid0(VALU_DEP_1)
	v_add_co_ci_u32_e64 v1, s8, -1, v41, s8
	flat_load_u16 v0, v[0:1]
	s_waitcnt vmcnt(0) lgkmcnt(0)
	v_mul_f16_e32 v123, v44, v0
.LBB279_32:                             ;   in Loop: Header=BB279_30 Depth=1
	s_or_b32 exec_lo, exec_lo, s9
	v_add_nc_u32_e32 v122, s25, v46
	s_delay_alu instid0(VALU_DEP_1) | instskip(NEXT) | instid1(VALU_DEP_1)
	v_add_nc_u32_e32 v2, 8, v122
	v_min_i32_e32 v3, s21, v2
	v_cmp_le_i32_e64 s8, s18, v2
	s_delay_alu instid0(VALU_DEP_2) | instskip(NEXT) | instid1(VALU_DEP_1)
	v_mad_i64_i32 v[0:1], null, v3, s15, 0
	v_lshlrev_b64 v[0:1], 1, v[0:1]
	s_delay_alu instid0(VALU_DEP_1) | instskip(NEXT) | instid1(VALU_DEP_1)
	v_add_co_u32 v0, s9, s22, v0
	v_add_co_ci_u32_e64 v1, s9, s23, v1, s9
	s_or_b32 s9, s4, s8
	s_delay_alu instid0(SALU_CYCLE_1) | instskip(SKIP_1) | instid1(SALU_CYCLE_1)
	v_cndmask_b32_e64 v124, 0, 0x7c00, s9
	s_or_b32 s9, s3, s9
	s_xor_b32 s9, s9, -1
	s_delay_alu instid0(SALU_CYCLE_1)
	s_and_saveexec_b32 s26, s9
	s_cbranch_execz .LBB279_34
; %bb.33:                               ;   in Loop: Header=BB279_30 Depth=1
	v_add_co_u32 v2, s9, v0, v32
	s_delay_alu instid0(VALU_DEP_1)
	v_add_co_ci_u32_e64 v3, s9, v1, v33, s9
	flat_load_u16 v2, v[2:3]
	s_waitcnt vmcnt(0) lgkmcnt(0)
	v_mul_f16_e32 v124, v44, v2
.LBB279_34:                             ;   in Loop: Header=BB279_30 Depth=1
	s_or_b32 exec_lo, exec_lo, s26
	s_or_b32 s9, s5, s8
	s_delay_alu instid0(SALU_CYCLE_1) | instskip(SKIP_1) | instid1(SALU_CYCLE_1)
	v_cndmask_b32_e64 v125, 0, 0x7c00, s9
	s_or_b32 s9, s3, s9
	s_xor_b32 s9, s9, -1
	s_delay_alu instid0(SALU_CYCLE_1)
	s_and_saveexec_b32 s26, s9
	s_cbranch_execz .LBB279_36
; %bb.35:                               ;   in Loop: Header=BB279_30 Depth=1
	v_add_co_u32 v2, s9, v0, v34
	s_delay_alu instid0(VALU_DEP_1)
	v_add_co_ci_u32_e64 v3, s9, v1, v35, s9
	flat_load_u16 v2, v[2:3]
	s_waitcnt vmcnt(0) lgkmcnt(0)
	v_mul_f16_e32 v125, v44, v2
.LBB279_36:                             ;   in Loop: Header=BB279_30 Depth=1
	s_or_b32 exec_lo, exec_lo, s26
	;; [unrolled: 17-line block ×4, first 2 shown]
	ds_load_2addr_b64 v[12:15], v119 offset1:8
	ds_load_2addr_b64 v[8:11], v119 offset0:16 offset1:24
	ds_load_2addr_b64 v[4:7], v119 offset0:32 offset1:40
	;; [unrolled: 1-line block ×3, first 2 shown]
	ds_load_2addr_b64 v[28:31], v120 offset1:32
	ds_load_2addr_b64 v[24:27], v120 offset0:64 offset1:96
	ds_load_2addr_b64 v[20:23], v120 offset0:128 offset1:160
	;; [unrolled: 1-line block ×3, first 2 shown]
	v_add_nc_u32_e32 v121, 12, v121
	ds_store_b16 v115, v123
	ds_store_b16 v85, v124
	ds_store_b16 v85, v125 offset:512
	ds_store_b16 v85, v126 offset:1024
	;; [unrolled: 1-line block ×3, first 2 shown]
	s_waitcnt lgkmcnt(0)
	s_barrier
	buffer_gl0_inv
	v_cmp_le_i32_e64 s8, s18, v121
	s_delay_alu instid0(VALU_DEP_1) | instskip(NEXT) | instid1(SALU_CYCLE_1)
	s_or_b32 s8, s8, vcc_lo
	v_cndmask_b32_e64 v121, 0, 0x7c00, s8
	s_or_b32 s8, s3, s8
	s_delay_alu instid0(SALU_CYCLE_1) | instskip(NEXT) | instid1(SALU_CYCLE_1)
	s_xor_b32 s8, s8, -1
	s_and_saveexec_b32 s9, s8
	s_delay_alu instid0(SALU_CYCLE_1)
	s_xor_b32 s8, exec_lo, s9
	s_cbranch_execz .LBB279_42
; %bb.41:                               ;   in Loop: Header=BB279_30 Depth=1
	flat_load_u16 v121, v[40:41]
	s_waitcnt vmcnt(0) lgkmcnt(0)
	v_mul_f16_e32 v121, v44, v121
.LBB279_42:                             ;   in Loop: Header=BB279_30 Depth=1
	s_or_b32 exec_lo, exec_lo, s8
	v_add_nc_u32_e32 v124, 12, v122
	s_delay_alu instid0(VALU_DEP_1) | instskip(SKIP_1) | instid1(VALU_DEP_2)
	v_min_i32_e32 v125, s21, v124
	v_cmp_le_i32_e64 s8, s18, v124
	v_mad_i64_i32 v[122:123], null, v125, s15, 0
	s_delay_alu instid0(VALU_DEP_1) | instskip(NEXT) | instid1(VALU_DEP_1)
	v_lshlrev_b64 v[122:123], 1, v[122:123]
	v_add_co_u32 v125, s9, s22, v122
	s_delay_alu instid0(VALU_DEP_1) | instskip(SKIP_1) | instid1(SALU_CYCLE_1)
	v_add_co_ci_u32_e64 v126, s9, s23, v123, s9
	s_or_b32 s9, s4, s8
	v_cndmask_b32_e64 v122, 0, 0x7c00, s9
	s_or_b32 s9, s3, s9
	s_delay_alu instid0(SALU_CYCLE_1) | instskip(NEXT) | instid1(SALU_CYCLE_1)
	s_xor_b32 s9, s9, -1
	s_and_saveexec_b32 s26, s9
	s_cbranch_execz .LBB279_44
; %bb.43:                               ;   in Loop: Header=BB279_30 Depth=1
	v_add_co_u32 v122, s9, v125, v32
	s_delay_alu instid0(VALU_DEP_1)
	v_add_co_ci_u32_e64 v123, s9, v126, v33, s9
	flat_load_u16 v122, v[122:123]
	s_waitcnt vmcnt(0) lgkmcnt(0)
	v_mul_f16_e32 v122, v44, v122
.LBB279_44:                             ;   in Loop: Header=BB279_30 Depth=1
	s_or_b32 exec_lo, exec_lo, s26
	s_or_b32 s9, s5, s8
	s_delay_alu instid0(SALU_CYCLE_1) | instskip(SKIP_1) | instid1(SALU_CYCLE_1)
	v_cndmask_b32_e64 v123, 0, 0x7c00, s9
	s_or_b32 s9, s3, s9
	s_xor_b32 s9, s9, -1
	s_delay_alu instid0(SALU_CYCLE_1)
	s_and_saveexec_b32 s26, s9
	s_cbranch_execz .LBB279_46
; %bb.45:                               ;   in Loop: Header=BB279_30 Depth=1
	v_add_co_u32 v123, s9, v125, v34
	s_delay_alu instid0(VALU_DEP_1)
	v_add_co_ci_u32_e64 v124, s9, v126, v35, s9
	flat_load_u16 v123, v[123:124]
	s_waitcnt vmcnt(0) lgkmcnt(0)
	v_mul_f16_e32 v123, v44, v123
.LBB279_46:                             ;   in Loop: Header=BB279_30 Depth=1
	s_or_b32 exec_lo, exec_lo, s26
	s_or_b32 s9, s6, s8
	s_delay_alu instid0(SALU_CYCLE_1) | instskip(SKIP_1) | instid1(SALU_CYCLE_1)
	v_cndmask_b32_e64 v124, 0, 0x7c00, s9
	s_or_b32 s9, s3, s9
	s_xor_b32 s9, s9, -1
	s_delay_alu instid0(SALU_CYCLE_1)
	s_and_saveexec_b32 s26, s9
	s_cbranch_execz .LBB279_48
; %bb.47:                               ;   in Loop: Header=BB279_30 Depth=1
	v_add_co_u32 v127, s9, v125, v36
	s_delay_alu instid0(VALU_DEP_1)
	v_add_co_ci_u32_e64 v128, s9, v126, v37, s9
	flat_load_u16 v124, v[127:128]
	s_waitcnt vmcnt(0) lgkmcnt(0)
	v_mul_f16_e32 v124, v44, v124
.LBB279_48:                             ;   in Loop: Header=BB279_30 Depth=1
	s_or_b32 exec_lo, exec_lo, s26
	v_pk_add_f16 v127, v12, v28
	v_pk_max_f16 v114, v114, v114
	v_pk_add_f16 v128, v14, v28
	v_pk_max_f16 v113, v113, v113
	;; [unrolled: 2-line block ×3, first 2 shown]
	v_pk_min_f16 v114, v114, v127
	v_pk_add_f16 v127, v10, v28
	v_pk_min_f16 v113, v113, v128
	v_pk_max_f16 v111, v111, v111
	v_pk_min_f16 v112, v112, v129
	v_pk_add_f16 v128, v4, v28
	v_pk_max_f16 v110, v110, v110
	v_pk_add_f16 v129, v6, v28
	v_pk_add_f16 v130, v0, v28
	;; [unrolled: 1-line block ×3, first 2 shown]
	v_pk_max_f16 v107, v107, v107
	v_pk_max_f16 v109, v109, v109
	;; [unrolled: 1-line block ×3, first 2 shown]
	v_pk_min_f16 v111, v111, v127
	v_pk_min_f16 v110, v110, v128
	;; [unrolled: 1-line block ×3, first 2 shown]
	v_pk_add_f16 v107, v12, v30
	v_pk_max_f16 v106, v106, v106
	v_pk_add_f16 v127, v14, v30
	v_pk_max_f16 v105, v105, v105
	;; [unrolled: 2-line block ×3, first 2 shown]
	v_pk_min_f16 v109, v109, v129
	v_pk_min_f16 v108, v108, v130
	v_pk_add_f16 v129, v10, v30
	v_pk_max_f16 v103, v103, v103
	v_pk_add_f16 v130, v4, v30
	v_pk_min_f16 v106, v106, v107
	v_pk_min_f16 v105, v105, v127
	;; [unrolled: 1-line block ×3, first 2 shown]
	v_pk_add_f16 v107, v6, v30
	v_pk_max_f16 v101, v101, v101
	v_pk_add_f16 v127, v0, v30
	v_pk_add_f16 v30, v2, v30
	v_pk_max_f16 v99, v99, v99
	v_pk_add_f16 v128, v12, v24
	v_pk_max_f16 v98, v98, v98
	v_pk_min_f16 v103, v103, v129
	v_pk_max_f16 v100, v100, v100
	v_pk_add_f16 v129, v14, v24
	v_pk_max_f16 v97, v97, v97
	v_pk_min_f16 v101, v101, v107
	v_pk_min_f16 v30, v99, v30
	;; [unrolled: 1-line block ×3, first 2 shown]
	v_pk_add_f16 v99, v8, v24
	v_pk_max_f16 v96, v96, v96
	v_pk_add_f16 v107, v10, v24
	v_pk_max_f16 v95, v95, v95
	;; [unrolled: 2-line block ×3, first 2 shown]
	v_pk_min_f16 v100, v100, v127
	v_pk_min_f16 v97, v97, v129
	v_pk_add_f16 v127, v4, v24
	v_pk_max_f16 v94, v94, v94
	v_pk_add_f16 v129, v0, v24
	v_pk_min_f16 v96, v96, v99
	v_pk_min_f16 v95, v95, v107
	;; [unrolled: 1-line block ×3, first 2 shown]
	v_pk_add_f16 v24, v2, v24
	v_pk_max_f16 v91, v91, v91
	v_pk_add_f16 v99, v12, v26
	v_pk_max_f16 v90, v90, v90
	;; [unrolled: 2-line block ×4, first 2 shown]
	v_pk_min_f16 v94, v94, v127
	v_pk_add_f16 v127, v8, v26
	v_pk_max_f16 v88, v88, v88
	v_pk_min_f16 v24, v91, v24
	v_pk_min_f16 v90, v90, v99
	;; [unrolled: 1-line block ×4, first 2 shown]
	v_pk_add_f16 v87, v4, v26
	v_pk_max_f16 v86, v86, v86
	v_pk_add_f16 v99, v6, v26
	v_pk_max_f16 v84, v84, v84
	;; [unrolled: 2-line block ×4, first 2 shown]
	v_pk_max_f16 v102, v102, v102
	v_pk_min_f16 v88, v88, v127
	v_pk_add_f16 v127, v12, v20
	v_pk_max_f16 v81, v81, v81
	v_pk_min_f16 v128, v86, v87
	v_pk_min_f16 v99, v84, v99
	v_pk_min_f16 v107, v83, v107
	v_pk_min_f16 v26, v82, v26
	v_pk_add_f16 v82, v8, v20
	v_pk_max_f16 v79, v79, v79
	v_pk_add_f16 v83, v10, v20
	v_pk_max_f16 v78, v78, v78
	;; [unrolled: 2-line block ×4, first 2 shown]
	v_pk_min_f16 v102, v102, v130
	v_pk_min_f16 v127, v81, v127
	v_pk_add_f16 v81, v14, v20
	v_pk_min_f16 v130, v79, v82
	v_pk_min_f16 v131, v78, v83
	;; [unrolled: 1-line block ×4, first 2 shown]
	v_pk_add_f16 v75, v0, v20
	v_pk_add_f16 v20, v2, v20
	v_pk_max_f16 v73, v73, v73
	v_pk_add_f16 v76, v12, v22
	v_pk_max_f16 v72, v72, v72
	;; [unrolled: 2-line block ×4, first 2 shown]
	v_pk_min_f16 v20, v73, v20
	v_pk_min_f16 v135, v72, v76
	;; [unrolled: 1-line block ×3, first 2 shown]
	v_pk_max_f16 v69, v69, v69
	v_pk_min_f16 v137, v70, v79
	v_pk_add_f16 v70, v10, v22
	v_pk_add_f16 v71, v4, v22
	;; [unrolled: 1-line block ×5, first 2 shown]
	v_pk_max_f16 v65, v65, v65
	v_pk_max_f16 v68, v68, v68
	v_pk_max_f16 v67, v67, v67
	v_pk_max_f16 v66, v66, v66
	v_pk_min_f16 v138, v69, v70
	v_pk_min_f16 v22, v65, v22
	v_pk_add_f16 v65, v12, v16
	v_pk_add_f16 v69, v4, v16
	v_pk_max_f16 v60, v60, v60
	v_pk_add_f16 v12, v12, v18
	v_pk_max_f16 v55, v55, v55
	v_pk_min_f16 v139, v68, v71
	v_pk_min_f16 v140, v67, v72
	;; [unrolled: 1-line block ×3, first 2 shown]
	v_pk_add_f16 v66, v14, v16
	v_pk_add_f16 v67, v8, v16
	;; [unrolled: 1-line block ×3, first 2 shown]
	v_pk_max_f16 v61, v61, v61
	v_pk_min_f16 v146, v60, v69
	v_pk_add_f16 v60, v6, v16
	v_pk_add_f16 v14, v14, v18
	v_pk_max_f16 v53, v53, v53
	v_pk_min_f16 v150, v55, v12
	v_pk_add_f16 v8, v8, v18
	v_pk_max_f16 v12, v51, v51
	v_pk_add_f16 v6, v6, v18
	v_pk_max_f16 v51, v52, v52
	v_pk_min_f16 v145, v61, v68
	v_pk_add_f16 v61, v0, v16
	v_pk_add_f16 v16, v2, v16
	v_pk_min_f16 v151, v53, v14
	v_pk_add_f16 v10, v10, v18
	v_pk_max_f16 v14, v56, v56
	v_pk_min_f16 v152, v12, v8
	v_pk_min_f16 v154, v51, v6
	v_pk_add_f16 v2, v2, v18
	v_pk_max_f16 v6, v49, v49
	v_pk_add_f16 v8, v13, v29
	v_pk_max_f16 v92, v92, v92
	v_pk_max_f16 v80, v80, v80
	v_pk_min_f16 v153, v14, v10
	v_pk_add_f16 v10, v15, v29
	v_pk_add_f16 v12, v9, v29
	v_pk_min_f16 v155, v6, v2
	v_pk_min_f16 v86, v114, v8
	v_pk_add_f16 v2, v5, v29
	v_pk_add_f16 v8, v1, v29
	v_pk_min_f16 v92, v92, v129
	v_pk_min_f16 v129, v80, v81
	v_pk_max_f16 v74, v74, v74
	v_pk_min_f16 v83, v113, v10
	v_pk_min_f16 v81, v112, v12
	v_pk_add_f16 v6, v7, v29
	v_pk_add_f16 v10, v3, v29
	v_pk_add_f16 v12, v13, v31
	v_pk_min_f16 v87, v110, v2
	v_pk_min_f16 v82, v108, v8
	v_pk_add_f16 v2, v15, v31
	v_pk_add_f16 v8, v11, v31
	v_pk_min_f16 v134, v74, v75
	v_pk_max_f16 v63, v63, v63
	v_pk_min_f16 v84, v109, v6
	v_pk_min_f16 v78, v28, v10
	;; [unrolled: 1-line block ×3, first 2 shown]
	v_pk_add_f16 v6, v9, v31
	v_pk_add_f16 v10, v5, v31
	;; [unrolled: 1-line block ×3, first 2 shown]
	v_pk_min_f16 v79, v105, v2
	v_pk_min_f16 v75, v103, v8
	v_pk_add_f16 v2, v1, v31
	v_pk_add_f16 v8, v13, v25
	v_pk_max_f16 v64, v64, v64
	v_pk_min_f16 v143, v63, v66
	v_pk_max_f16 v58, v58, v58
	v_pk_min_f16 v76, v104, v6
	v_pk_min_f16 v73, v102, v10
	;; [unrolled: 1-line block ×3, first 2 shown]
	v_pk_add_f16 v6, v3, v31
	v_pk_add_f16 v10, v15, v25
	;; [unrolled: 1-line block ×3, first 2 shown]
	v_pk_min_f16 v74, v100, v2
	v_pk_min_f16 v70, v98, v8
	v_pk_add_f16 v2, v11, v25
	v_pk_add_f16 v8, v7, v25
	v_pk_max_f16 v62, v62, v62
	v_pk_min_f16 v142, v64, v65
	v_pk_max_f16 v59, v59, v59
	v_pk_min_f16 v148, v58, v61
	v_pk_min_f16 v72, v30, v6
	;; [unrolled: 1-line block ×4, first 2 shown]
	v_pk_add_f16 v6, v5, v25
	v_pk_add_f16 v10, v1, v25
	;; [unrolled: 1-line block ×3, first 2 shown]
	v_pk_min_f16 v69, v95, v2
	v_pk_min_f16 v65, v93, v8
	v_pk_add_f16 v2, v13, v27
	v_pk_add_f16 v8, v9, v27
	v_pk_min_f16 v144, v62, v67
	v_pk_min_f16 v147, v59, v60
	v_pk_min_f16 v67, v94, v6
	v_pk_min_f16 v63, v92, v10
	v_pk_min_f16 v56, v24, v12
	v_pk_add_f16 v6, v15, v27
	v_pk_add_f16 v10, v11, v27
	;; [unrolled: 1-line block ×3, first 2 shown]
	v_pk_min_f16 v64, v90, v2
	v_pk_min_f16 v60, v88, v8
	v_pk_add_f16 v2, v7, v27
	v_pk_add_f16 v8, v3, v27
	v_pk_max_f16 v57, v57, v57
	v_pk_add_f16 v0, v0, v18
	v_pk_max_f16 v50, v50, v50
	v_pk_min_f16 v62, v89, v6
	v_pk_min_f16 v58, v91, v10
	;; [unrolled: 1-line block ×3, first 2 shown]
	v_pk_add_f16 v6, v1, v27
	v_pk_add_f16 v10, v13, v21
	v_pk_add_f16 v12, v15, v21
	v_pk_min_f16 v59, v99, v2
	v_pk_min_f16 v55, v26, v8
	v_pk_add_f16 v2, v9, v21
	v_pk_add_f16 v8, v5, v21
	v_pk_min_f16 v149, v57, v16
	v_pk_max_f16 v16, v54, v54
	v_pk_min_f16 v0, v50, v0
	v_pk_add_f16 v14, v11, v29
	v_pk_min_f16 v57, v107, v6
	v_pk_min_f16 v53, v127, v10
	;; [unrolled: 1-line block ×3, first 2 shown]
	v_pk_add_f16 v6, v11, v21
	v_pk_add_f16 v10, v7, v21
	;; [unrolled: 1-line block ×3, first 2 shown]
	v_pk_min_f16 v54, v130, v2
	v_pk_min_f16 v50, v132, v8
	v_pk_add_f16 v2, v3, v21
	v_pk_add_f16 v8, v15, v23
	v_pk_min_f16 v52, v131, v6
	v_pk_min_f16 v31, v133, v10
	;; [unrolled: 1-line block ×3, first 2 shown]
	v_pk_add_f16 v6, v13, v23
	v_pk_add_f16 v10, v9, v23
	;; [unrolled: 1-line block ×3, first 2 shown]
	v_pk_min_f16 v49, v20, v2
	v_pk_min_f16 v28, v136, v8
	v_pk_add_f16 v2, v5, v23
	v_pk_add_f16 v8, v1, v23
	;; [unrolled: 1-line block ×3, first 2 shown]
	v_pk_min_f16 v30, v135, v6
	v_pk_min_f16 v26, v137, v10
	;; [unrolled: 1-line block ×3, first 2 shown]
	v_pk_add_f16 v6, v7, v23
	v_pk_add_f16 v10, v3, v23
	;; [unrolled: 1-line block ×3, first 2 shown]
	v_pk_min_f16 v27, v139, v2
	v_pk_min_f16 v23, v141, v8
	v_pk_add_f16 v2, v15, v17
	v_pk_add_f16 v8, v11, v17
	v_pk_min_f16 v4, v16, v4
	v_pk_min_f16 v25, v140, v6
	v_pk_min_f16 v21, v22, v10
	v_pk_min_f16 v10, v142, v12
	v_pk_add_f16 v6, v9, v17
	v_pk_add_f16 v12, v5, v17
	;; [unrolled: 1-line block ×3, first 2 shown]
	v_pk_min_f16 v22, v143, v2
	v_pk_min_f16 v16, v145, v8
	v_pk_add_f16 v2, v1, v17
	v_pk_add_f16 v8, v3, v17
	;; [unrolled: 1-line block ×4, first 2 shown]
	v_pk_min_f16 v80, v111, v14
	v_pk_min_f16 v20, v144, v6
	v_pk_min_f16 v14, v146, v12
	v_pk_min_f16 v6, v147, v88
	v_pk_add_f16 v88, v9, v19
	v_pk_min_f16 v12, v149, v8
	v_pk_min_f16 v9, v150, v17
	;; [unrolled: 1-line block ×3, first 2 shown]
	v_pk_add_f16 v11, v11, v19
	v_pk_add_f16 v5, v5, v19
	;; [unrolled: 1-line block ×5, first 2 shown]
	s_or_b32 s8, s7, s8
	v_pk_min_f16 v13, v148, v2
	v_pk_min_f16 v2, v152, v88
	;; [unrolled: 1-line block ×7, first 2 shown]
	v_cndmask_b32_e64 v0, 0, 0x7c00, s8
	s_or_b32 s8, s3, s8
	s_delay_alu instid0(SALU_CYCLE_1) | instskip(NEXT) | instid1(SALU_CYCLE_1)
	s_xor_b32 s8, s8, -1
	s_and_saveexec_b32 s9, s8
	s_cbranch_execz .LBB279_29
; %bb.49:                               ;   in Loop: Header=BB279_30 Depth=1
	v_add_co_u32 v88, s8, v125, v38
	s_delay_alu instid0(VALU_DEP_1)
	v_add_co_ci_u32_e64 v89, s8, v126, v39, s8
	flat_load_u16 v0, v[88:89]
	s_waitcnt vmcnt(0) lgkmcnt(0)
	v_mul_f16_e32 v0, v44, v0
	s_branch .LBB279_29
.LBB279_50:
	s_clause 0x2
	s_load_b64 s[4:5], s[0:1], 0x78
	s_load_b32 s15, s[0:1], 0x58
	s_load_b32 s9, s[0:1], 0x70
	v_add_nc_u32_e32 v0, 0x1000, v47
	v_add_nc_u32_e32 v85, s19, v43
	;; [unrolled: 1-line block ×4, first 2 shown]
	ds_load_2addr_b64 v[16:19], v0 offset0:64 offset1:72
	ds_load_2addr_b64 v[12:15], v0 offset0:80 offset1:88
	;; [unrolled: 1-line block ×4, first 2 shown]
	ds_load_2addr_b64 v[28:31], v4 offset1:32
	ds_load_2addr_b64 v[24:27], v4 offset0:64 offset1:96
	ds_load_2addr_b64 v[20:23], v4 offset0:128 offset1:160
	;; [unrolled: 1-line block ×3, first 2 shown]
	v_cmp_gt_i32_e64 s8, s17, v85
	v_cndmask_b32_e64 v77, 0, 1, s2
	v_cmp_gt_i32_e64 s0, s16, v32
	v_ashrrev_i32_e32 v33, 31, v32
	s_waitcnt lgkmcnt(0)
	s_mul_i32 s1, s20, s5
	v_mad_i64_i32 v[34:35], null, v85, s15, 0
	v_mad_i64_i32 v[36:37], null, v85, s9, 0
	s_mul_hi_u32 s3, s20, s4
	s_mul_i32 s4, s20, s4
	s_add_i32 s5, s3, s1
	s_delay_alu instid0(SALU_CYCLE_1) | instskip(NEXT) | instid1(VALU_DEP_2)
	s_lshl_b64 s[4:5], s[4:5], 1
	v_lshlrev_b64 v[34:35], 1, v[34:35]
	s_delay_alu instid0(VALU_DEP_2) | instskip(SKIP_3) | instid1(VALU_DEP_2)
	v_lshlrev_b64 v[36:37], 1, v[36:37]
	s_add_u32 s10, s10, s4
	s_addc_u32 s11, s11, s5
	s_and_b32 s1, s0, s8
	v_add_co_u32 v117, vcc_lo, s12, v34
	v_add_co_ci_u32_e32 v118, vcc_lo, s13, v35, vcc_lo
	v_add_co_u32 v115, vcc_lo, s10, v36
	v_add_co_ci_u32_e32 v116, vcc_lo, s11, v37, vcc_lo
	s_and_saveexec_b32 s3, s1
	s_delay_alu instid0(SALU_CYCLE_1)
	s_xor_b32 s1, exec_lo, s3
	s_cbranch_execz .LBB279_55
; %bb.51:
	s_and_not1_b32 vcc_lo, exec_lo, s2
	s_cbranch_vccnz .LBB279_53
; %bb.52:
	v_lshlrev_b64 v[34:35], 1, v[32:33]
	s_delay_alu instid0(VALU_DEP_1) | instskip(NEXT) | instid1(VALU_DEP_2)
	v_add_co_u32 v34, vcc_lo, v117, v34
	v_add_co_ci_u32_e32 v35, vcc_lo, v118, v35, vcc_lo
	flat_load_u16 v34, v[34:35]
	s_waitcnt vmcnt(0) lgkmcnt(0)
	v_mul_f16_e32 v34, v48, v34
	s_branch .LBB279_54
.LBB279_53:
	v_mov_b32_e32 v34, 0
.LBB279_54:
	v_pk_add_f16 v35, v16, v28
	v_pk_max_f16 v36, v114, v114
	v_pk_add_f16 v37, v17, v29
	s_delay_alu instid0(VALU_DEP_2) | instskip(NEXT) | instid1(VALU_DEP_1)
	v_pk_min_f16 v35, v36, v35
	v_pk_min_f16 v37, v35, v37
	v_lshlrev_b64 v[35:36], 1, v[32:33]
	s_delay_alu instid0(VALU_DEP_2) | instskip(NEXT) | instid1(VALU_DEP_1)
	v_lshrrev_b32_e32 v38, 16, v37
	v_min3_f16 v37, v34, v37, v38
	s_delay_alu instid0(VALU_DEP_3) | instskip(NEXT) | instid1(VALU_DEP_4)
	v_add_co_u32 v34, vcc_lo, v115, v35
	v_add_co_ci_u32_e32 v35, vcc_lo, v116, v36, vcc_lo
	global_store_b16 v[34:35], v37, off
.LBB279_55:
	s_or_b32 exec_lo, exec_lo, s1
	v_add_nc_u32_e32 v34, 8, v32
	s_delay_alu instid0(VALU_DEP_1) | instskip(SKIP_1) | instid1(VALU_DEP_2)
	v_cmp_gt_i32_e64 s1, s16, v34
	v_ashrrev_i32_e32 v35, 31, v34
	s_and_b32 s3, s1, s8
	s_delay_alu instid0(SALU_CYCLE_1)
	s_and_saveexec_b32 s2, s3
	s_cbranch_execz .LBB279_60
; %bb.56:
	v_cmp_ne_u32_e32 vcc_lo, 1, v77
	s_cbranch_vccnz .LBB279_58
; %bb.57:
	v_lshlrev_b64 v[36:37], 1, v[34:35]
	s_delay_alu instid0(VALU_DEP_1) | instskip(NEXT) | instid1(VALU_DEP_2)
	v_add_co_u32 v36, vcc_lo, v117, v36
	v_add_co_ci_u32_e32 v37, vcc_lo, v118, v37, vcc_lo
	flat_load_u16 v36, v[36:37]
	s_waitcnt vmcnt(0) lgkmcnt(0)
	v_mul_f16_e32 v36, v48, v36
	s_branch .LBB279_59
.LBB279_58:
	v_mov_b32_e32 v36, 0
.LBB279_59:
	v_pk_add_f16 v37, v18, v28
	v_pk_max_f16 v38, v113, v113
	v_pk_add_f16 v39, v19, v29
	s_delay_alu instid0(VALU_DEP_2) | instskip(NEXT) | instid1(VALU_DEP_1)
	v_pk_min_f16 v37, v38, v37
	v_pk_min_f16 v39, v37, v39
	v_lshlrev_b64 v[37:38], 1, v[34:35]
	s_delay_alu instid0(VALU_DEP_2) | instskip(NEXT) | instid1(VALU_DEP_1)
	v_lshrrev_b32_e32 v40, 16, v39
	v_min3_f16 v39, v36, v39, v40
	s_delay_alu instid0(VALU_DEP_3) | instskip(NEXT) | instid1(VALU_DEP_4)
	v_add_co_u32 v36, vcc_lo, v115, v37
	v_add_co_ci_u32_e32 v37, vcc_lo, v116, v38, vcc_lo
	global_store_b16 v[36:37], v39, off
.LBB279_60:
	s_or_b32 exec_lo, exec_lo, s2
	v_add_nc_u32_e32 v36, 16, v32
	s_delay_alu instid0(VALU_DEP_1) | instskip(SKIP_1) | instid1(VALU_DEP_2)
	v_cmp_gt_i32_e64 s2, s16, v36
	v_ashrrev_i32_e32 v37, 31, v36
	s_and_b32 s4, s2, s8
	s_delay_alu instid0(SALU_CYCLE_1)
	s_and_saveexec_b32 s3, s4
	s_cbranch_execz .LBB279_65
; %bb.61:
	v_cmp_ne_u32_e32 vcc_lo, 1, v77
	s_cbranch_vccnz .LBB279_63
; %bb.62:
	v_lshlrev_b64 v[38:39], 1, v[36:37]
	s_delay_alu instid0(VALU_DEP_1) | instskip(NEXT) | instid1(VALU_DEP_2)
	v_add_co_u32 v38, vcc_lo, v117, v38
	v_add_co_ci_u32_e32 v39, vcc_lo, v118, v39, vcc_lo
	flat_load_u16 v38, v[38:39]
	s_waitcnt vmcnt(0) lgkmcnt(0)
	v_mul_f16_e32 v38, v48, v38
	s_branch .LBB279_64
.LBB279_63:
	v_mov_b32_e32 v38, 0
.LBB279_64:
	v_pk_add_f16 v39, v12, v28
	v_pk_max_f16 v40, v112, v112
	v_pk_add_f16 v41, v13, v29
	s_delay_alu instid0(VALU_DEP_2) | instskip(NEXT) | instid1(VALU_DEP_1)
	v_pk_min_f16 v39, v40, v39
	v_pk_min_f16 v41, v39, v41
	v_lshlrev_b64 v[39:40], 1, v[36:37]
	s_delay_alu instid0(VALU_DEP_2) | instskip(NEXT) | instid1(VALU_DEP_1)
	v_lshrrev_b32_e32 v42, 16, v41
	v_min3_f16 v41, v38, v41, v42
	s_delay_alu instid0(VALU_DEP_3) | instskip(NEXT) | instid1(VALU_DEP_4)
	v_add_co_u32 v38, vcc_lo, v115, v39
	v_add_co_ci_u32_e32 v39, vcc_lo, v116, v40, vcc_lo
	global_store_b16 v[38:39], v41, off
.LBB279_65:
	;; [unrolled: 39-line block ×6, first 2 shown]
	s_or_b32 exec_lo, exec_lo, s7
	v_add_nc_u32_e32 v46, 56, v32
	s_delay_alu instid0(VALU_DEP_1) | instskip(SKIP_1) | instid1(VALU_DEP_2)
	v_cmp_gt_i32_e64 s7, s16, v46
	v_ashrrev_i32_e32 v47, 31, v46
	s_and_b32 s14, s7, s8
	s_delay_alu instid0(SALU_CYCLE_1)
	s_and_saveexec_b32 s8, s14
	s_cbranch_execz .LBB279_90
; %bb.86:
	v_cmp_ne_u32_e32 vcc_lo, 1, v77
	s_cbranch_vccnz .LBB279_88
; %bb.87:
	v_lshlrev_b64 v[108:109], 1, v[46:47]
	s_delay_alu instid0(VALU_DEP_1) | instskip(NEXT) | instid1(VALU_DEP_2)
	v_add_co_u32 v108, vcc_lo, v117, v108
	v_add_co_ci_u32_e32 v109, vcc_lo, v118, v109, vcc_lo
	flat_load_u16 v108, v[108:109]
	s_waitcnt vmcnt(0) lgkmcnt(0)
	v_mul_f16_e32 v108, v48, v108
	s_branch .LBB279_89
.LBB279_88:
	v_mov_b32_e32 v108, 0
.LBB279_89:
	v_pk_add_f16 v28, v2, v28
	v_pk_max_f16 v107, v107, v107
	v_pk_add_f16 v29, v3, v29
	s_delay_alu instid0(VALU_DEP_2) | instskip(NEXT) | instid1(VALU_DEP_1)
	v_pk_min_f16 v28, v107, v28
	v_pk_min_f16 v107, v28, v29
	v_lshlrev_b64 v[28:29], 1, v[46:47]
	s_delay_alu instid0(VALU_DEP_2) | instskip(NEXT) | instid1(VALU_DEP_2)
	v_lshrrev_b32_e32 v109, 16, v107
	v_add_co_u32 v28, vcc_lo, v115, v28
	s_delay_alu instid0(VALU_DEP_3) | instskip(NEXT) | instid1(VALU_DEP_3)
	v_add_co_ci_u32_e32 v29, vcc_lo, v116, v29, vcc_lo
	v_min3_f16 v107, v108, v107, v109
	global_store_b16 v[28:29], v107, off
.LBB279_90:
	s_or_b32 exec_lo, exec_lo, s8
	v_add_nc_u32_e32 v109, 32, v85
	s_delay_alu instid0(VALU_DEP_1) | instskip(SKIP_2) | instid1(VALU_DEP_3)
	v_mad_i64_i32 v[28:29], null, v109, s15, 0
	v_mad_i64_i32 v[107:108], null, v109, s9, 0
	v_cmp_gt_i32_e64 s8, s17, v109
	v_lshlrev_b64 v[28:29], 1, v[28:29]
	s_delay_alu instid0(VALU_DEP_2) | instskip(NEXT) | instid1(VALU_DEP_3)
	s_and_b32 s16, s0, s8
	v_lshlrev_b64 v[109:110], 1, v[107:108]
	s_delay_alu instid0(VALU_DEP_2) | instskip(NEXT) | instid1(VALU_DEP_3)
	v_add_co_u32 v107, vcc_lo, s12, v28
	v_add_co_ci_u32_e32 v108, vcc_lo, s13, v29, vcc_lo
	s_delay_alu instid0(VALU_DEP_3) | instskip(NEXT) | instid1(VALU_DEP_4)
	v_add_co_u32 v28, vcc_lo, s10, v109
	v_add_co_ci_u32_e32 v29, vcc_lo, s11, v110, vcc_lo
	s_and_saveexec_b32 s14, s16
	s_cbranch_execnz .LBB279_98
; %bb.91:
	s_or_b32 exec_lo, exec_lo, s14
	s_and_b32 s16, s1, s8
	s_delay_alu instid0(SALU_CYCLE_1)
	s_and_saveexec_b32 s14, s16
	s_cbranch_execnz .LBB279_102
.LBB279_92:
	s_or_b32 exec_lo, exec_lo, s14
	s_and_b32 s16, s2, s8
	s_delay_alu instid0(SALU_CYCLE_1)
	s_and_saveexec_b32 s14, s16
	s_cbranch_execnz .LBB279_106
.LBB279_93:
	s_or_b32 exec_lo, exec_lo, s14
	s_and_b32 s16, s3, s8
	s_delay_alu instid0(SALU_CYCLE_1)
	s_and_saveexec_b32 s14, s16
	s_cbranch_execnz .LBB279_110
.LBB279_94:
	s_or_b32 exec_lo, exec_lo, s14
	s_and_b32 s16, s4, s8
	s_delay_alu instid0(SALU_CYCLE_1)
	s_and_saveexec_b32 s14, s16
	s_cbranch_execnz .LBB279_114
.LBB279_95:
	s_or_b32 exec_lo, exec_lo, s14
	s_and_b32 s16, s5, s8
	s_delay_alu instid0(SALU_CYCLE_1)
	s_and_saveexec_b32 s14, s16
	s_cbranch_execnz .LBB279_118
.LBB279_96:
	s_or_b32 exec_lo, exec_lo, s14
	s_and_b32 s16, s6, s8
	s_delay_alu instid0(SALU_CYCLE_1)
	s_and_saveexec_b32 s14, s16
	s_cbranch_execnz .LBB279_122
.LBB279_97:
	s_or_b32 exec_lo, exec_lo, s14
	s_and_b32 s14, s7, s8
	s_delay_alu instid0(SALU_CYCLE_1)
	s_and_saveexec_b32 s8, s14
	s_cbranch_execnz .LBB279_126
	s_branch .LBB279_130
.LBB279_98:
	v_cmp_ne_u32_e32 vcc_lo, 1, v77
	s_cbranch_vccnz .LBB279_100
; %bb.99:
	v_lshlrev_b64 v[109:110], 1, v[32:33]
	s_delay_alu instid0(VALU_DEP_1) | instskip(NEXT) | instid1(VALU_DEP_2)
	v_add_co_u32 v109, vcc_lo, v107, v109
	v_add_co_ci_u32_e32 v110, vcc_lo, v108, v110, vcc_lo
	flat_load_u16 v109, v[109:110]
	s_waitcnt vmcnt(0) lgkmcnt(0)
	v_mul_f16_e32 v109, v48, v109
	s_branch .LBB279_101
.LBB279_100:
	v_mov_b32_e32 v109, 0
.LBB279_101:
	v_pk_add_f16 v110, v16, v30
	v_pk_max_f16 v106, v106, v106
	v_pk_add_f16 v111, v17, v31
	s_delay_alu instid0(VALU_DEP_2) | instskip(NEXT) | instid1(VALU_DEP_1)
	v_pk_min_f16 v106, v106, v110
	v_pk_min_f16 v106, v106, v111
	v_lshlrev_b64 v[110:111], 1, v[32:33]
	s_delay_alu instid0(VALU_DEP_2) | instskip(NEXT) | instid1(VALU_DEP_1)
	v_lshrrev_b32_e32 v112, 16, v106
	v_min3_f16 v106, v109, v106, v112
	s_delay_alu instid0(VALU_DEP_3) | instskip(NEXT) | instid1(VALU_DEP_4)
	v_add_co_u32 v109, vcc_lo, v28, v110
	v_add_co_ci_u32_e32 v110, vcc_lo, v29, v111, vcc_lo
	global_store_b16 v[109:110], v106, off
	s_or_b32 exec_lo, exec_lo, s14
	s_and_b32 s16, s1, s8
	s_delay_alu instid0(SALU_CYCLE_1)
	s_and_saveexec_b32 s14, s16
	s_cbranch_execz .LBB279_92
.LBB279_102:
	v_cmp_ne_u32_e32 vcc_lo, 1, v77
	s_cbranch_vccnz .LBB279_104
; %bb.103:
	v_lshlrev_b64 v[109:110], 1, v[34:35]
	s_delay_alu instid0(VALU_DEP_1) | instskip(NEXT) | instid1(VALU_DEP_2)
	v_add_co_u32 v109, vcc_lo, v107, v109
	v_add_co_ci_u32_e32 v110, vcc_lo, v108, v110, vcc_lo
	flat_load_u16 v106, v[109:110]
	s_waitcnt vmcnt(0) lgkmcnt(0)
	v_mul_f16_e32 v106, v48, v106
	s_branch .LBB279_105
.LBB279_104:
	v_mov_b32_e32 v106, 0
.LBB279_105:
	v_pk_add_f16 v109, v18, v30
	v_pk_max_f16 v105, v105, v105
	v_pk_add_f16 v110, v19, v31
	s_delay_alu instid0(VALU_DEP_2) | instskip(NEXT) | instid1(VALU_DEP_1)
	v_pk_min_f16 v105, v105, v109
	v_pk_min_f16 v105, v105, v110
	v_lshlrev_b64 v[109:110], 1, v[34:35]
	s_delay_alu instid0(VALU_DEP_2) | instskip(NEXT) | instid1(VALU_DEP_1)
	v_lshrrev_b32_e32 v111, 16, v105
	v_min3_f16 v111, v106, v105, v111
	s_delay_alu instid0(VALU_DEP_3) | instskip(NEXT) | instid1(VALU_DEP_4)
	v_add_co_u32 v105, vcc_lo, v28, v109
	v_add_co_ci_u32_e32 v106, vcc_lo, v29, v110, vcc_lo
	global_store_b16 v[105:106], v111, off
	s_or_b32 exec_lo, exec_lo, s14
	s_and_b32 s16, s2, s8
	s_delay_alu instid0(SALU_CYCLE_1)
	s_and_saveexec_b32 s14, s16
	s_cbranch_execz .LBB279_93
.LBB279_106:
	v_cmp_ne_u32_e32 vcc_lo, 1, v77
	s_cbranch_vccnz .LBB279_108
; %bb.107:
	v_lshlrev_b64 v[105:106], 1, v[36:37]
	s_delay_alu instid0(VALU_DEP_1) | instskip(NEXT) | instid1(VALU_DEP_2)
	v_add_co_u32 v105, vcc_lo, v107, v105
	v_add_co_ci_u32_e32 v106, vcc_lo, v108, v106, vcc_lo
	flat_load_u16 v105, v[105:106]
	s_waitcnt vmcnt(0) lgkmcnt(0)
	v_mul_f16_e32 v105, v48, v105
	s_branch .LBB279_109
.LBB279_108:
	v_mov_b32_e32 v105, 0
.LBB279_109:
	v_pk_add_f16 v106, v12, v30
	v_pk_max_f16 v104, v104, v104
	v_pk_add_f16 v109, v13, v31
	s_delay_alu instid0(VALU_DEP_2) | instskip(NEXT) | instid1(VALU_DEP_1)
	v_pk_min_f16 v104, v104, v106
	v_pk_min_f16 v104, v104, v109
	v_lshlrev_b64 v[109:110], 1, v[36:37]
	s_delay_alu instid0(VALU_DEP_2) | instskip(NEXT) | instid1(VALU_DEP_1)
	v_lshrrev_b32_e32 v106, 16, v104
	v_min3_f16 v106, v105, v104, v106
	s_delay_alu instid0(VALU_DEP_3) | instskip(NEXT) | instid1(VALU_DEP_4)
	v_add_co_u32 v104, vcc_lo, v28, v109
	v_add_co_ci_u32_e32 v105, vcc_lo, v29, v110, vcc_lo
	global_store_b16 v[104:105], v106, off
	s_or_b32 exec_lo, exec_lo, s14
	s_and_b32 s16, s3, s8
	s_delay_alu instid0(SALU_CYCLE_1)
	s_and_saveexec_b32 s14, s16
	s_cbranch_execz .LBB279_94
.LBB279_110:
	v_cmp_ne_u32_e32 vcc_lo, 1, v77
	s_cbranch_vccnz .LBB279_112
; %bb.111:
	v_lshlrev_b64 v[104:105], 1, v[38:39]
	s_delay_alu instid0(VALU_DEP_1) | instskip(NEXT) | instid1(VALU_DEP_2)
	v_add_co_u32 v104, vcc_lo, v107, v104
	v_add_co_ci_u32_e32 v105, vcc_lo, v108, v105, vcc_lo
	flat_load_u16 v104, v[104:105]
	s_waitcnt vmcnt(0) lgkmcnt(0)
	v_mul_f16_e32 v104, v48, v104
	s_branch .LBB279_113
.LBB279_112:
	v_mov_b32_e32 v104, 0
.LBB279_113:
	v_pk_add_f16 v105, v14, v30
	v_pk_max_f16 v103, v103, v103
	v_pk_add_f16 v106, v15, v31
	s_delay_alu instid0(VALU_DEP_2) | instskip(NEXT) | instid1(VALU_DEP_1)
	v_pk_min_f16 v103, v103, v105
	v_pk_min_f16 v103, v103, v106
	v_lshlrev_b64 v[105:106], 1, v[38:39]
	s_delay_alu instid0(VALU_DEP_2) | instskip(NEXT) | instid1(VALU_DEP_1)
	v_lshrrev_b32_e32 v109, 16, v103
	v_min3_f16 v109, v104, v103, v109
	s_delay_alu instid0(VALU_DEP_3) | instskip(NEXT) | instid1(VALU_DEP_4)
	v_add_co_u32 v103, vcc_lo, v28, v105
	v_add_co_ci_u32_e32 v104, vcc_lo, v29, v106, vcc_lo
	global_store_b16 v[103:104], v109, off
	s_or_b32 exec_lo, exec_lo, s14
	s_and_b32 s16, s4, s8
	s_delay_alu instid0(SALU_CYCLE_1)
	s_and_saveexec_b32 s14, s16
	s_cbranch_execz .LBB279_95
.LBB279_114:
	v_cmp_ne_u32_e32 vcc_lo, 1, v77
	s_cbranch_vccnz .LBB279_116
; %bb.115:
	v_lshlrev_b64 v[103:104], 1, v[40:41]
	s_delay_alu instid0(VALU_DEP_1) | instskip(NEXT) | instid1(VALU_DEP_2)
	v_add_co_u32 v103, vcc_lo, v107, v103
	v_add_co_ci_u32_e32 v104, vcc_lo, v108, v104, vcc_lo
	flat_load_u16 v103, v[103:104]
	s_waitcnt vmcnt(0) lgkmcnt(0)
	v_mul_f16_e32 v103, v48, v103
	s_branch .LBB279_117
.LBB279_116:
	v_mov_b32_e32 v103, 0
.LBB279_117:
	v_pk_add_f16 v104, v8, v30
	v_pk_max_f16 v102, v102, v102
	v_pk_add_f16 v105, v9, v31
	s_delay_alu instid0(VALU_DEP_2) | instskip(NEXT) | instid1(VALU_DEP_1)
	v_pk_min_f16 v102, v102, v104
	v_pk_min_f16 v102, v102, v105
	v_lshlrev_b64 v[104:105], 1, v[40:41]
	s_delay_alu instid0(VALU_DEP_2) | instskip(NEXT) | instid1(VALU_DEP_1)
	v_lshrrev_b32_e32 v106, 16, v102
	v_min3_f16 v106, v103, v102, v106
	s_delay_alu instid0(VALU_DEP_3) | instskip(NEXT) | instid1(VALU_DEP_4)
	v_add_co_u32 v102, vcc_lo, v28, v104
	v_add_co_ci_u32_e32 v103, vcc_lo, v29, v105, vcc_lo
	global_store_b16 v[102:103], v106, off
	s_or_b32 exec_lo, exec_lo, s14
	s_and_b32 s16, s5, s8
	s_delay_alu instid0(SALU_CYCLE_1)
	s_and_saveexec_b32 s14, s16
	s_cbranch_execz .LBB279_96
.LBB279_118:
	v_cmp_ne_u32_e32 vcc_lo, 1, v77
	s_cbranch_vccnz .LBB279_120
; %bb.119:
	v_lshlrev_b64 v[102:103], 1, v[42:43]
	s_delay_alu instid0(VALU_DEP_1) | instskip(NEXT) | instid1(VALU_DEP_2)
	v_add_co_u32 v102, vcc_lo, v107, v102
	v_add_co_ci_u32_e32 v103, vcc_lo, v108, v103, vcc_lo
	flat_load_u16 v102, v[102:103]
	s_waitcnt vmcnt(0) lgkmcnt(0)
	v_mul_f16_e32 v102, v48, v102
	s_branch .LBB279_121
.LBB279_120:
	v_mov_b32_e32 v102, 0
.LBB279_121:
	v_pk_add_f16 v103, v10, v30
	v_pk_max_f16 v101, v101, v101
	v_pk_add_f16 v104, v11, v31
	s_delay_alu instid0(VALU_DEP_2) | instskip(NEXT) | instid1(VALU_DEP_1)
	v_pk_min_f16 v101, v101, v103
	v_pk_min_f16 v101, v101, v104
	v_lshlrev_b64 v[103:104], 1, v[42:43]
	s_delay_alu instid0(VALU_DEP_2) | instskip(NEXT) | instid1(VALU_DEP_1)
	v_lshrrev_b32_e32 v105, 16, v101
	v_min3_f16 v105, v102, v101, v105
	s_delay_alu instid0(VALU_DEP_3) | instskip(NEXT) | instid1(VALU_DEP_4)
	v_add_co_u32 v101, vcc_lo, v28, v103
	v_add_co_ci_u32_e32 v102, vcc_lo, v29, v104, vcc_lo
	global_store_b16 v[101:102], v105, off
	s_or_b32 exec_lo, exec_lo, s14
	s_and_b32 s16, s6, s8
	s_delay_alu instid0(SALU_CYCLE_1)
	s_and_saveexec_b32 s14, s16
	s_cbranch_execz .LBB279_97
.LBB279_122:
	v_cmp_ne_u32_e32 vcc_lo, 1, v77
	s_cbranch_vccnz .LBB279_124
; %bb.123:
	v_lshlrev_b64 v[101:102], 1, v[44:45]
	s_delay_alu instid0(VALU_DEP_1) | instskip(NEXT) | instid1(VALU_DEP_2)
	v_add_co_u32 v101, vcc_lo, v107, v101
	v_add_co_ci_u32_e32 v102, vcc_lo, v108, v102, vcc_lo
	flat_load_u16 v101, v[101:102]
	s_waitcnt vmcnt(0) lgkmcnt(0)
	v_mul_f16_e32 v101, v48, v101
	s_branch .LBB279_125
.LBB279_124:
	v_mov_b32_e32 v101, 0
.LBB279_125:
	v_pk_add_f16 v102, v0, v30
	v_pk_max_f16 v100, v100, v100
	v_pk_add_f16 v103, v1, v31
	s_delay_alu instid0(VALU_DEP_2) | instskip(NEXT) | instid1(VALU_DEP_1)
	v_pk_min_f16 v100, v100, v102
	v_pk_min_f16 v100, v100, v103
	v_lshlrev_b64 v[102:103], 1, v[44:45]
	s_delay_alu instid0(VALU_DEP_2) | instskip(NEXT) | instid1(VALU_DEP_1)
	v_lshrrev_b32_e32 v104, 16, v100
	v_min3_f16 v104, v101, v100, v104
	s_delay_alu instid0(VALU_DEP_3) | instskip(NEXT) | instid1(VALU_DEP_4)
	v_add_co_u32 v100, vcc_lo, v28, v102
	v_add_co_ci_u32_e32 v101, vcc_lo, v29, v103, vcc_lo
	global_store_b16 v[100:101], v104, off
	s_or_b32 exec_lo, exec_lo, s14
	s_and_b32 s14, s7, s8
	s_delay_alu instid0(SALU_CYCLE_1)
	s_and_saveexec_b32 s8, s14
	s_cbranch_execz .LBB279_130
.LBB279_126:
	v_cmp_ne_u32_e32 vcc_lo, 1, v77
	s_cbranch_vccnz .LBB279_128
; %bb.127:
	v_lshlrev_b64 v[100:101], 1, v[46:47]
	s_delay_alu instid0(VALU_DEP_1) | instskip(NEXT) | instid1(VALU_DEP_2)
	v_add_co_u32 v100, vcc_lo, v107, v100
	v_add_co_ci_u32_e32 v101, vcc_lo, v108, v101, vcc_lo
	flat_load_u16 v100, v[100:101]
	s_waitcnt vmcnt(0) lgkmcnt(0)
	v_mul_f16_e32 v100, v48, v100
	s_branch .LBB279_129
.LBB279_128:
	v_mov_b32_e32 v100, 0
.LBB279_129:
	v_pk_add_f16 v30, v2, v30
	v_pk_max_f16 v99, v99, v99
	v_pk_add_f16 v31, v3, v31
	s_delay_alu instid0(VALU_DEP_2) | instskip(NEXT) | instid1(VALU_DEP_1)
	v_pk_min_f16 v30, v99, v30
	v_pk_min_f16 v99, v30, v31
	v_lshlrev_b64 v[30:31], 1, v[46:47]
	s_delay_alu instid0(VALU_DEP_2) | instskip(NEXT) | instid1(VALU_DEP_2)
	v_lshrrev_b32_e32 v101, 16, v99
	v_add_co_u32 v28, vcc_lo, v28, v30
	s_delay_alu instid0(VALU_DEP_3) | instskip(NEXT) | instid1(VALU_DEP_3)
	v_add_co_ci_u32_e32 v29, vcc_lo, v29, v31, vcc_lo
	v_min3_f16 v99, v100, v99, v101
	global_store_b16 v[28:29], v99, off
.LBB279_130:
	s_or_b32 exec_lo, exec_lo, s8
	v_add_nc_u32_e32 v99, 64, v85
	s_delay_alu instid0(VALU_DEP_1) | instskip(SKIP_2) | instid1(VALU_DEP_3)
	v_mad_i64_i32 v[28:29], null, v99, s15, 0
	v_mad_i64_i32 v[30:31], null, v99, s9, 0
	v_cmp_gt_i32_e64 s8, s17, v99
	v_lshlrev_b64 v[28:29], 1, v[28:29]
	s_delay_alu instid0(VALU_DEP_2) | instskip(NEXT) | instid1(VALU_DEP_3)
	s_and_b32 s16, s0, s8
	v_lshlrev_b64 v[99:100], 1, v[30:31]
	s_delay_alu instid0(VALU_DEP_2) | instskip(NEXT) | instid1(VALU_DEP_3)
	v_add_co_u32 v30, vcc_lo, s12, v28
	v_add_co_ci_u32_e32 v31, vcc_lo, s13, v29, vcc_lo
	s_delay_alu instid0(VALU_DEP_3) | instskip(NEXT) | instid1(VALU_DEP_4)
	v_add_co_u32 v28, vcc_lo, s10, v99
	v_add_co_ci_u32_e32 v29, vcc_lo, s11, v100, vcc_lo
	s_and_saveexec_b32 s14, s16
	s_cbranch_execnz .LBB279_138
; %bb.131:
	s_or_b32 exec_lo, exec_lo, s14
	s_and_b32 s16, s1, s8
	s_delay_alu instid0(SALU_CYCLE_1)
	s_and_saveexec_b32 s14, s16
	s_cbranch_execnz .LBB279_142
.LBB279_132:
	s_or_b32 exec_lo, exec_lo, s14
	s_and_b32 s16, s2, s8
	s_delay_alu instid0(SALU_CYCLE_1)
	s_and_saveexec_b32 s14, s16
	s_cbranch_execnz .LBB279_146
.LBB279_133:
	s_or_b32 exec_lo, exec_lo, s14
	s_and_b32 s16, s3, s8
	s_delay_alu instid0(SALU_CYCLE_1)
	s_and_saveexec_b32 s14, s16
	s_cbranch_execnz .LBB279_150
.LBB279_134:
	s_or_b32 exec_lo, exec_lo, s14
	s_and_b32 s16, s4, s8
	s_delay_alu instid0(SALU_CYCLE_1)
	s_and_saveexec_b32 s14, s16
	s_cbranch_execnz .LBB279_154
.LBB279_135:
	s_or_b32 exec_lo, exec_lo, s14
	s_and_b32 s16, s5, s8
	s_delay_alu instid0(SALU_CYCLE_1)
	s_and_saveexec_b32 s14, s16
	s_cbranch_execnz .LBB279_158
.LBB279_136:
	s_or_b32 exec_lo, exec_lo, s14
	s_and_b32 s16, s6, s8
	s_delay_alu instid0(SALU_CYCLE_1)
	s_and_saveexec_b32 s14, s16
	s_cbranch_execnz .LBB279_162
.LBB279_137:
	s_or_b32 exec_lo, exec_lo, s14
	s_and_b32 s14, s7, s8
	s_delay_alu instid0(SALU_CYCLE_1)
	s_and_saveexec_b32 s8, s14
	s_cbranch_execnz .LBB279_166
	s_branch .LBB279_170
.LBB279_138:
	v_cmp_ne_u32_e32 vcc_lo, 1, v77
	s_cbranch_vccnz .LBB279_140
; %bb.139:
	v_lshlrev_b64 v[99:100], 1, v[32:33]
	s_delay_alu instid0(VALU_DEP_1) | instskip(NEXT) | instid1(VALU_DEP_2)
	v_add_co_u32 v99, vcc_lo, v30, v99
	v_add_co_ci_u32_e32 v100, vcc_lo, v31, v100, vcc_lo
	flat_load_u16 v99, v[99:100]
	s_waitcnt vmcnt(0) lgkmcnt(0)
	v_mul_f16_e32 v99, v48, v99
	s_branch .LBB279_141
.LBB279_140:
	v_mov_b32_e32 v99, 0
.LBB279_141:
	v_pk_add_f16 v100, v16, v24
	v_pk_max_f16 v98, v98, v98
	v_pk_add_f16 v101, v17, v25
	s_delay_alu instid0(VALU_DEP_2) | instskip(NEXT) | instid1(VALU_DEP_1)
	v_pk_min_f16 v98, v98, v100
	v_pk_min_f16 v98, v98, v101
	v_lshlrev_b64 v[100:101], 1, v[32:33]
	s_delay_alu instid0(VALU_DEP_2) | instskip(NEXT) | instid1(VALU_DEP_1)
	v_lshrrev_b32_e32 v102, 16, v98
	v_min3_f16 v102, v99, v98, v102
	s_delay_alu instid0(VALU_DEP_3) | instskip(NEXT) | instid1(VALU_DEP_4)
	v_add_co_u32 v98, vcc_lo, v28, v100
	v_add_co_ci_u32_e32 v99, vcc_lo, v29, v101, vcc_lo
	global_store_b16 v[98:99], v102, off
	s_or_b32 exec_lo, exec_lo, s14
	s_and_b32 s16, s1, s8
	s_delay_alu instid0(SALU_CYCLE_1)
	s_and_saveexec_b32 s14, s16
	s_cbranch_execz .LBB279_132
.LBB279_142:
	v_cmp_ne_u32_e32 vcc_lo, 1, v77
	s_cbranch_vccnz .LBB279_144
; %bb.143:
	v_lshlrev_b64 v[98:99], 1, v[34:35]
	s_delay_alu instid0(VALU_DEP_1) | instskip(NEXT) | instid1(VALU_DEP_2)
	v_add_co_u32 v98, vcc_lo, v30, v98
	v_add_co_ci_u32_e32 v99, vcc_lo, v31, v99, vcc_lo
	flat_load_u16 v98, v[98:99]
	s_waitcnt vmcnt(0) lgkmcnt(0)
	v_mul_f16_e32 v98, v48, v98
	s_branch .LBB279_145
.LBB279_144:
	v_mov_b32_e32 v98, 0
.LBB279_145:
	v_pk_add_f16 v99, v18, v24
	v_pk_max_f16 v97, v97, v97
	v_pk_add_f16 v100, v19, v25
	s_delay_alu instid0(VALU_DEP_2) | instskip(NEXT) | instid1(VALU_DEP_1)
	v_pk_min_f16 v97, v97, v99
	v_pk_min_f16 v97, v97, v100
	v_lshlrev_b64 v[99:100], 1, v[34:35]
	s_delay_alu instid0(VALU_DEP_2) | instskip(NEXT) | instid1(VALU_DEP_1)
	v_lshrrev_b32_e32 v101, 16, v97
	v_min3_f16 v101, v98, v97, v101
	s_delay_alu instid0(VALU_DEP_3) | instskip(NEXT) | instid1(VALU_DEP_4)
	v_add_co_u32 v97, vcc_lo, v28, v99
	v_add_co_ci_u32_e32 v98, vcc_lo, v29, v100, vcc_lo
	global_store_b16 v[97:98], v101, off
	s_or_b32 exec_lo, exec_lo, s14
	s_and_b32 s16, s2, s8
	s_delay_alu instid0(SALU_CYCLE_1)
	s_and_saveexec_b32 s14, s16
	s_cbranch_execz .LBB279_133
.LBB279_146:
	v_cmp_ne_u32_e32 vcc_lo, 1, v77
	s_cbranch_vccnz .LBB279_148
; %bb.147:
	v_lshlrev_b64 v[97:98], 1, v[36:37]
	s_delay_alu instid0(VALU_DEP_1) | instskip(NEXT) | instid1(VALU_DEP_2)
	v_add_co_u32 v97, vcc_lo, v30, v97
	v_add_co_ci_u32_e32 v98, vcc_lo, v31, v98, vcc_lo
	flat_load_u16 v97, v[97:98]
	s_waitcnt vmcnt(0) lgkmcnt(0)
	v_mul_f16_e32 v97, v48, v97
	s_branch .LBB279_149
.LBB279_148:
	v_mov_b32_e32 v97, 0
.LBB279_149:
	v_pk_add_f16 v98, v12, v24
	v_pk_max_f16 v96, v96, v96
	v_pk_add_f16 v99, v13, v25
	s_delay_alu instid0(VALU_DEP_2) | instskip(NEXT) | instid1(VALU_DEP_1)
	v_pk_min_f16 v96, v96, v98
	v_pk_min_f16 v96, v96, v99
	v_lshlrev_b64 v[98:99], 1, v[36:37]
	s_delay_alu instid0(VALU_DEP_2) | instskip(NEXT) | instid1(VALU_DEP_1)
	v_lshrrev_b32_e32 v100, 16, v96
	v_min3_f16 v100, v97, v96, v100
	s_delay_alu instid0(VALU_DEP_3) | instskip(NEXT) | instid1(VALU_DEP_4)
	v_add_co_u32 v96, vcc_lo, v28, v98
	v_add_co_ci_u32_e32 v97, vcc_lo, v29, v99, vcc_lo
	global_store_b16 v[96:97], v100, off
	s_or_b32 exec_lo, exec_lo, s14
	s_and_b32 s16, s3, s8
	s_delay_alu instid0(SALU_CYCLE_1)
	s_and_saveexec_b32 s14, s16
	s_cbranch_execz .LBB279_134
.LBB279_150:
	v_cmp_ne_u32_e32 vcc_lo, 1, v77
	s_cbranch_vccnz .LBB279_152
; %bb.151:
	v_lshlrev_b64 v[96:97], 1, v[38:39]
	s_delay_alu instid0(VALU_DEP_1) | instskip(NEXT) | instid1(VALU_DEP_2)
	v_add_co_u32 v96, vcc_lo, v30, v96
	v_add_co_ci_u32_e32 v97, vcc_lo, v31, v97, vcc_lo
	flat_load_u16 v96, v[96:97]
	s_waitcnt vmcnt(0) lgkmcnt(0)
	v_mul_f16_e32 v96, v48, v96
	s_branch .LBB279_153
.LBB279_152:
	v_mov_b32_e32 v96, 0
.LBB279_153:
	v_pk_add_f16 v97, v14, v24
	v_pk_max_f16 v95, v95, v95
	v_pk_add_f16 v98, v15, v25
	s_delay_alu instid0(VALU_DEP_2) | instskip(NEXT) | instid1(VALU_DEP_1)
	v_pk_min_f16 v95, v95, v97
	v_pk_min_f16 v95, v95, v98
	v_lshlrev_b64 v[97:98], 1, v[38:39]
	s_delay_alu instid0(VALU_DEP_2) | instskip(NEXT) | instid1(VALU_DEP_1)
	v_lshrrev_b32_e32 v99, 16, v95
	v_min3_f16 v99, v96, v95, v99
	s_delay_alu instid0(VALU_DEP_3) | instskip(NEXT) | instid1(VALU_DEP_4)
	v_add_co_u32 v95, vcc_lo, v28, v97
	v_add_co_ci_u32_e32 v96, vcc_lo, v29, v98, vcc_lo
	global_store_b16 v[95:96], v99, off
	s_or_b32 exec_lo, exec_lo, s14
	s_and_b32 s16, s4, s8
	s_delay_alu instid0(SALU_CYCLE_1)
	s_and_saveexec_b32 s14, s16
	s_cbranch_execz .LBB279_135
.LBB279_154:
	v_cmp_ne_u32_e32 vcc_lo, 1, v77
	s_cbranch_vccnz .LBB279_156
; %bb.155:
	v_lshlrev_b64 v[95:96], 1, v[40:41]
	s_delay_alu instid0(VALU_DEP_1) | instskip(NEXT) | instid1(VALU_DEP_2)
	v_add_co_u32 v95, vcc_lo, v30, v95
	v_add_co_ci_u32_e32 v96, vcc_lo, v31, v96, vcc_lo
	flat_load_u16 v95, v[95:96]
	s_waitcnt vmcnt(0) lgkmcnt(0)
	v_mul_f16_e32 v95, v48, v95
	s_branch .LBB279_157
.LBB279_156:
	v_mov_b32_e32 v95, 0
.LBB279_157:
	v_pk_add_f16 v96, v8, v24
	v_pk_max_f16 v94, v94, v94
	v_pk_add_f16 v97, v9, v25
	s_delay_alu instid0(VALU_DEP_2) | instskip(NEXT) | instid1(VALU_DEP_1)
	v_pk_min_f16 v94, v94, v96
	v_pk_min_f16 v94, v94, v97
	v_lshlrev_b64 v[96:97], 1, v[40:41]
	s_delay_alu instid0(VALU_DEP_2) | instskip(NEXT) | instid1(VALU_DEP_1)
	v_lshrrev_b32_e32 v98, 16, v94
	v_min3_f16 v98, v95, v94, v98
	s_delay_alu instid0(VALU_DEP_3) | instskip(NEXT) | instid1(VALU_DEP_4)
	v_add_co_u32 v94, vcc_lo, v28, v96
	v_add_co_ci_u32_e32 v95, vcc_lo, v29, v97, vcc_lo
	global_store_b16 v[94:95], v98, off
	s_or_b32 exec_lo, exec_lo, s14
	s_and_b32 s16, s5, s8
	s_delay_alu instid0(SALU_CYCLE_1)
	s_and_saveexec_b32 s14, s16
	s_cbranch_execz .LBB279_136
.LBB279_158:
	v_cmp_ne_u32_e32 vcc_lo, 1, v77
	s_cbranch_vccnz .LBB279_160
; %bb.159:
	v_lshlrev_b64 v[94:95], 1, v[42:43]
	s_delay_alu instid0(VALU_DEP_1) | instskip(NEXT) | instid1(VALU_DEP_2)
	v_add_co_u32 v94, vcc_lo, v30, v94
	v_add_co_ci_u32_e32 v95, vcc_lo, v31, v95, vcc_lo
	flat_load_u16 v94, v[94:95]
	s_waitcnt vmcnt(0) lgkmcnt(0)
	v_mul_f16_e32 v94, v48, v94
	s_branch .LBB279_161
.LBB279_160:
	v_mov_b32_e32 v94, 0
.LBB279_161:
	v_pk_add_f16 v95, v10, v24
	v_pk_max_f16 v93, v93, v93
	v_pk_add_f16 v96, v11, v25
	s_delay_alu instid0(VALU_DEP_2) | instskip(NEXT) | instid1(VALU_DEP_1)
	v_pk_min_f16 v93, v93, v95
	v_pk_min_f16 v93, v93, v96
	v_lshlrev_b64 v[95:96], 1, v[42:43]
	s_delay_alu instid0(VALU_DEP_2) | instskip(NEXT) | instid1(VALU_DEP_1)
	v_lshrrev_b32_e32 v97, 16, v93
	v_min3_f16 v97, v94, v93, v97
	s_delay_alu instid0(VALU_DEP_3) | instskip(NEXT) | instid1(VALU_DEP_4)
	v_add_co_u32 v93, vcc_lo, v28, v95
	v_add_co_ci_u32_e32 v94, vcc_lo, v29, v96, vcc_lo
	global_store_b16 v[93:94], v97, off
	s_or_b32 exec_lo, exec_lo, s14
	s_and_b32 s16, s6, s8
	s_delay_alu instid0(SALU_CYCLE_1)
	s_and_saveexec_b32 s14, s16
	s_cbranch_execz .LBB279_137
.LBB279_162:
	v_cmp_ne_u32_e32 vcc_lo, 1, v77
	s_cbranch_vccnz .LBB279_164
; %bb.163:
	v_lshlrev_b64 v[93:94], 1, v[44:45]
	s_delay_alu instid0(VALU_DEP_1) | instskip(NEXT) | instid1(VALU_DEP_2)
	v_add_co_u32 v93, vcc_lo, v30, v93
	v_add_co_ci_u32_e32 v94, vcc_lo, v31, v94, vcc_lo
	flat_load_u16 v93, v[93:94]
	s_waitcnt vmcnt(0) lgkmcnt(0)
	v_mul_f16_e32 v93, v48, v93
	s_branch .LBB279_165
.LBB279_164:
	v_mov_b32_e32 v93, 0
.LBB279_165:
	v_pk_add_f16 v94, v0, v24
	v_pk_max_f16 v92, v92, v92
	v_pk_add_f16 v95, v1, v25
	s_delay_alu instid0(VALU_DEP_2) | instskip(NEXT) | instid1(VALU_DEP_1)
	v_pk_min_f16 v92, v92, v94
	v_pk_min_f16 v92, v92, v95
	v_lshlrev_b64 v[94:95], 1, v[44:45]
	s_delay_alu instid0(VALU_DEP_2) | instskip(NEXT) | instid1(VALU_DEP_1)
	v_lshrrev_b32_e32 v96, 16, v92
	v_min3_f16 v96, v93, v92, v96
	s_delay_alu instid0(VALU_DEP_3) | instskip(NEXT) | instid1(VALU_DEP_4)
	v_add_co_u32 v92, vcc_lo, v28, v94
	v_add_co_ci_u32_e32 v93, vcc_lo, v29, v95, vcc_lo
	global_store_b16 v[92:93], v96, off
	s_or_b32 exec_lo, exec_lo, s14
	s_and_b32 s14, s7, s8
	s_delay_alu instid0(SALU_CYCLE_1)
	s_and_saveexec_b32 s8, s14
	s_cbranch_execz .LBB279_170
.LBB279_166:
	v_cmp_ne_u32_e32 vcc_lo, 1, v77
	s_cbranch_vccnz .LBB279_168
; %bb.167:
	v_lshlrev_b64 v[92:93], 1, v[46:47]
	s_delay_alu instid0(VALU_DEP_1) | instskip(NEXT) | instid1(VALU_DEP_2)
	v_add_co_u32 v30, vcc_lo, v30, v92
	v_add_co_ci_u32_e32 v31, vcc_lo, v31, v93, vcc_lo
	flat_load_u16 v30, v[30:31]
	s_waitcnt vmcnt(0) lgkmcnt(0)
	v_mul_f16_e32 v30, v48, v30
	s_branch .LBB279_169
.LBB279_168:
	v_mov_b32_e32 v30, 0
.LBB279_169:
	v_pk_add_f16 v24, v2, v24
	v_pk_max_f16 v31, v91, v91
	v_pk_add_f16 v25, v3, v25
	s_delay_alu instid0(VALU_DEP_2) | instskip(NEXT) | instid1(VALU_DEP_1)
	v_pk_min_f16 v24, v31, v24
	v_pk_min_f16 v31, v24, v25
	v_lshlrev_b64 v[24:25], 1, v[46:47]
	s_delay_alu instid0(VALU_DEP_2) | instskip(NEXT) | instid1(VALU_DEP_2)
	v_lshrrev_b32_e32 v91, 16, v31
	v_add_co_u32 v24, vcc_lo, v28, v24
	s_delay_alu instid0(VALU_DEP_3) | instskip(NEXT) | instid1(VALU_DEP_3)
	v_add_co_ci_u32_e32 v25, vcc_lo, v29, v25, vcc_lo
	v_min3_f16 v30, v30, v31, v91
	global_store_b16 v[24:25], v30, off
.LBB279_170:
	s_or_b32 exec_lo, exec_lo, s8
	v_add_nc_u32_e32 v30, 0x60, v85
	s_delay_alu instid0(VALU_DEP_1) | instskip(SKIP_2) | instid1(VALU_DEP_3)
	v_mad_i64_i32 v[24:25], null, v30, s15, 0
	v_mad_i64_i32 v[28:29], null, v30, s9, 0
	v_cmp_gt_i32_e64 s8, s17, v30
	v_lshlrev_b64 v[24:25], 1, v[24:25]
	s_delay_alu instid0(VALU_DEP_2) | instskip(NEXT) | instid1(VALU_DEP_3)
	s_and_b32 s16, s0, s8
	v_lshlrev_b64 v[30:31], 1, v[28:29]
	s_delay_alu instid0(VALU_DEP_2) | instskip(NEXT) | instid1(VALU_DEP_3)
	v_add_co_u32 v28, vcc_lo, s12, v24
	v_add_co_ci_u32_e32 v29, vcc_lo, s13, v25, vcc_lo
	s_delay_alu instid0(VALU_DEP_3) | instskip(NEXT) | instid1(VALU_DEP_4)
	v_add_co_u32 v24, vcc_lo, s10, v30
	v_add_co_ci_u32_e32 v25, vcc_lo, s11, v31, vcc_lo
	s_and_saveexec_b32 s14, s16
	s_cbranch_execnz .LBB279_178
; %bb.171:
	s_or_b32 exec_lo, exec_lo, s14
	s_and_b32 s16, s1, s8
	s_delay_alu instid0(SALU_CYCLE_1)
	s_and_saveexec_b32 s14, s16
	s_cbranch_execnz .LBB279_182
.LBB279_172:
	s_or_b32 exec_lo, exec_lo, s14
	s_and_b32 s16, s2, s8
	s_delay_alu instid0(SALU_CYCLE_1)
	s_and_saveexec_b32 s14, s16
	s_cbranch_execnz .LBB279_186
.LBB279_173:
	s_or_b32 exec_lo, exec_lo, s14
	s_and_b32 s16, s3, s8
	s_delay_alu instid0(SALU_CYCLE_1)
	s_and_saveexec_b32 s14, s16
	s_cbranch_execnz .LBB279_190
.LBB279_174:
	s_or_b32 exec_lo, exec_lo, s14
	s_and_b32 s16, s4, s8
	s_delay_alu instid0(SALU_CYCLE_1)
	s_and_saveexec_b32 s14, s16
	s_cbranch_execnz .LBB279_194
.LBB279_175:
	s_or_b32 exec_lo, exec_lo, s14
	s_and_b32 s16, s5, s8
	s_delay_alu instid0(SALU_CYCLE_1)
	s_and_saveexec_b32 s14, s16
	s_cbranch_execnz .LBB279_198
.LBB279_176:
	s_or_b32 exec_lo, exec_lo, s14
	s_and_b32 s16, s6, s8
	s_delay_alu instid0(SALU_CYCLE_1)
	s_and_saveexec_b32 s14, s16
	s_cbranch_execnz .LBB279_202
.LBB279_177:
	s_or_b32 exec_lo, exec_lo, s14
	s_and_b32 s14, s7, s8
	s_delay_alu instid0(SALU_CYCLE_1)
	s_and_saveexec_b32 s8, s14
	s_cbranch_execnz .LBB279_206
	s_branch .LBB279_210
.LBB279_178:
	v_cmp_ne_u32_e32 vcc_lo, 1, v77
	s_cbranch_vccnz .LBB279_180
; %bb.179:
	v_lshlrev_b64 v[30:31], 1, v[32:33]
	s_delay_alu instid0(VALU_DEP_1) | instskip(NEXT) | instid1(VALU_DEP_2)
	v_add_co_u32 v30, vcc_lo, v28, v30
	v_add_co_ci_u32_e32 v31, vcc_lo, v29, v31, vcc_lo
	flat_load_u16 v30, v[30:31]
	s_waitcnt vmcnt(0) lgkmcnt(0)
	v_mul_f16_e32 v30, v48, v30
	s_branch .LBB279_181
.LBB279_180:
	v_mov_b32_e32 v30, 0
.LBB279_181:
	v_pk_add_f16 v31, v16, v26
	v_pk_max_f16 v90, v90, v90
	v_pk_add_f16 v91, v17, v27
	s_delay_alu instid0(VALU_DEP_2) | instskip(NEXT) | instid1(VALU_DEP_1)
	v_pk_min_f16 v31, v90, v31
	v_pk_min_f16 v31, v31, v91
	v_lshlrev_b64 v[90:91], 1, v[32:33]
	s_delay_alu instid0(VALU_DEP_2) | instskip(NEXT) | instid1(VALU_DEP_1)
	v_lshrrev_b32_e32 v92, 16, v31
	v_min3_f16 v92, v30, v31, v92
	s_delay_alu instid0(VALU_DEP_3) | instskip(NEXT) | instid1(VALU_DEP_4)
	v_add_co_u32 v30, vcc_lo, v24, v90
	v_add_co_ci_u32_e32 v31, vcc_lo, v25, v91, vcc_lo
	global_store_b16 v[30:31], v92, off
	s_or_b32 exec_lo, exec_lo, s14
	s_and_b32 s16, s1, s8
	s_delay_alu instid0(SALU_CYCLE_1)
	s_and_saveexec_b32 s14, s16
	s_cbranch_execz .LBB279_172
.LBB279_182:
	v_cmp_ne_u32_e32 vcc_lo, 1, v77
	s_cbranch_vccnz .LBB279_184
; %bb.183:
	v_lshlrev_b64 v[30:31], 1, v[34:35]
	s_delay_alu instid0(VALU_DEP_1) | instskip(NEXT) | instid1(VALU_DEP_2)
	v_add_co_u32 v30, vcc_lo, v28, v30
	v_add_co_ci_u32_e32 v31, vcc_lo, v29, v31, vcc_lo
	flat_load_u16 v30, v[30:31]
	s_waitcnt vmcnt(0) lgkmcnt(0)
	v_mul_f16_e32 v30, v48, v30
	s_branch .LBB279_185
.LBB279_184:
	v_mov_b32_e32 v30, 0
.LBB279_185:
	v_pk_add_f16 v31, v18, v26
	v_pk_max_f16 v89, v89, v89
	v_pk_add_f16 v90, v19, v27
	s_delay_alu instid0(VALU_DEP_2) | instskip(NEXT) | instid1(VALU_DEP_1)
	v_pk_min_f16 v31, v89, v31
	v_pk_min_f16 v31, v31, v90
	v_lshlrev_b64 v[89:90], 1, v[34:35]
	s_delay_alu instid0(VALU_DEP_2) | instskip(NEXT) | instid1(VALU_DEP_1)
	v_lshrrev_b32_e32 v91, 16, v31
	v_min3_f16 v91, v30, v31, v91
	s_delay_alu instid0(VALU_DEP_3) | instskip(NEXT) | instid1(VALU_DEP_4)
	v_add_co_u32 v30, vcc_lo, v24, v89
	v_add_co_ci_u32_e32 v31, vcc_lo, v25, v90, vcc_lo
	global_store_b16 v[30:31], v91, off
	s_or_b32 exec_lo, exec_lo, s14
	s_and_b32 s16, s2, s8
	s_delay_alu instid0(SALU_CYCLE_1)
	s_and_saveexec_b32 s14, s16
	s_cbranch_execz .LBB279_173
.LBB279_186:
	v_cmp_ne_u32_e32 vcc_lo, 1, v77
	s_cbranch_vccnz .LBB279_188
; %bb.187:
	v_lshlrev_b64 v[30:31], 1, v[36:37]
	s_delay_alu instid0(VALU_DEP_1) | instskip(NEXT) | instid1(VALU_DEP_2)
	v_add_co_u32 v30, vcc_lo, v28, v30
	v_add_co_ci_u32_e32 v31, vcc_lo, v29, v31, vcc_lo
	flat_load_u16 v30, v[30:31]
	s_waitcnt vmcnt(0) lgkmcnt(0)
	v_mul_f16_e32 v30, v48, v30
	s_branch .LBB279_189
.LBB279_188:
	v_mov_b32_e32 v30, 0
.LBB279_189:
	v_pk_add_f16 v31, v12, v26
	v_pk_max_f16 v88, v88, v88
	v_pk_add_f16 v89, v13, v27
	s_delay_alu instid0(VALU_DEP_2) | instskip(NEXT) | instid1(VALU_DEP_1)
	v_pk_min_f16 v31, v88, v31
	v_pk_min_f16 v31, v31, v89
	v_lshlrev_b64 v[88:89], 1, v[36:37]
	s_delay_alu instid0(VALU_DEP_2) | instskip(NEXT) | instid1(VALU_DEP_1)
	v_lshrrev_b32_e32 v90, 16, v31
	v_min3_f16 v90, v30, v31, v90
	s_delay_alu instid0(VALU_DEP_3) | instskip(NEXT) | instid1(VALU_DEP_4)
	v_add_co_u32 v30, vcc_lo, v24, v88
	v_add_co_ci_u32_e32 v31, vcc_lo, v25, v89, vcc_lo
	global_store_b16 v[30:31], v90, off
	s_or_b32 exec_lo, exec_lo, s14
	s_and_b32 s16, s3, s8
	s_delay_alu instid0(SALU_CYCLE_1)
	s_and_saveexec_b32 s14, s16
	s_cbranch_execz .LBB279_174
.LBB279_190:
	v_cmp_ne_u32_e32 vcc_lo, 1, v77
	s_cbranch_vccnz .LBB279_192
; %bb.191:
	v_lshlrev_b64 v[30:31], 1, v[38:39]
	s_delay_alu instid0(VALU_DEP_1) | instskip(NEXT) | instid1(VALU_DEP_2)
	v_add_co_u32 v30, vcc_lo, v28, v30
	v_add_co_ci_u32_e32 v31, vcc_lo, v29, v31, vcc_lo
	flat_load_u16 v30, v[30:31]
	s_waitcnt vmcnt(0) lgkmcnt(0)
	v_mul_f16_e32 v30, v48, v30
	s_branch .LBB279_193
.LBB279_192:
	v_mov_b32_e32 v30, 0
.LBB279_193:
	v_pk_add_f16 v31, v14, v26
	v_pk_max_f16 v87, v87, v87
	v_pk_add_f16 v88, v15, v27
	s_delay_alu instid0(VALU_DEP_2) | instskip(NEXT) | instid1(VALU_DEP_1)
	v_pk_min_f16 v31, v87, v31
	v_pk_min_f16 v31, v31, v88
	v_lshlrev_b64 v[87:88], 1, v[38:39]
	s_delay_alu instid0(VALU_DEP_2) | instskip(NEXT) | instid1(VALU_DEP_1)
	v_lshrrev_b32_e32 v89, 16, v31
	v_min3_f16 v89, v30, v31, v89
	s_delay_alu instid0(VALU_DEP_3) | instskip(NEXT) | instid1(VALU_DEP_4)
	v_add_co_u32 v30, vcc_lo, v24, v87
	v_add_co_ci_u32_e32 v31, vcc_lo, v25, v88, vcc_lo
	global_store_b16 v[30:31], v89, off
	s_or_b32 exec_lo, exec_lo, s14
	s_and_b32 s16, s4, s8
	s_delay_alu instid0(SALU_CYCLE_1)
	s_and_saveexec_b32 s14, s16
	s_cbranch_execz .LBB279_175
.LBB279_194:
	v_cmp_ne_u32_e32 vcc_lo, 1, v77
	s_cbranch_vccnz .LBB279_196
; %bb.195:
	v_lshlrev_b64 v[30:31], 1, v[40:41]
	s_delay_alu instid0(VALU_DEP_1) | instskip(NEXT) | instid1(VALU_DEP_2)
	v_add_co_u32 v30, vcc_lo, v28, v30
	v_add_co_ci_u32_e32 v31, vcc_lo, v29, v31, vcc_lo
	flat_load_u16 v30, v[30:31]
	s_waitcnt vmcnt(0) lgkmcnt(0)
	v_mul_f16_e32 v30, v48, v30
	s_branch .LBB279_197
.LBB279_196:
	v_mov_b32_e32 v30, 0
.LBB279_197:
	v_pk_add_f16 v31, v8, v26
	v_pk_max_f16 v86, v86, v86
	v_pk_add_f16 v87, v9, v27
	s_delay_alu instid0(VALU_DEP_2) | instskip(NEXT) | instid1(VALU_DEP_1)
	v_pk_min_f16 v31, v86, v31
	v_pk_min_f16 v31, v31, v87
	v_lshlrev_b64 v[86:87], 1, v[40:41]
	s_delay_alu instid0(VALU_DEP_2) | instskip(NEXT) | instid1(VALU_DEP_1)
	v_lshrrev_b32_e32 v88, 16, v31
	v_min3_f16 v88, v30, v31, v88
	s_delay_alu instid0(VALU_DEP_3) | instskip(NEXT) | instid1(VALU_DEP_4)
	v_add_co_u32 v30, vcc_lo, v24, v86
	v_add_co_ci_u32_e32 v31, vcc_lo, v25, v87, vcc_lo
	global_store_b16 v[30:31], v88, off
	s_or_b32 exec_lo, exec_lo, s14
	s_and_b32 s16, s5, s8
	s_delay_alu instid0(SALU_CYCLE_1)
	s_and_saveexec_b32 s14, s16
	s_cbranch_execz .LBB279_176
.LBB279_198:
	v_cmp_ne_u32_e32 vcc_lo, 1, v77
	s_cbranch_vccnz .LBB279_200
; %bb.199:
	v_lshlrev_b64 v[30:31], 1, v[42:43]
	s_delay_alu instid0(VALU_DEP_1) | instskip(NEXT) | instid1(VALU_DEP_2)
	v_add_co_u32 v30, vcc_lo, v28, v30
	v_add_co_ci_u32_e32 v31, vcc_lo, v29, v31, vcc_lo
	flat_load_u16 v30, v[30:31]
	s_waitcnt vmcnt(0) lgkmcnt(0)
	v_mul_f16_e32 v30, v48, v30
	s_branch .LBB279_201
.LBB279_200:
	v_mov_b32_e32 v30, 0
.LBB279_201:
	v_pk_add_f16 v31, v10, v26
	v_pk_max_f16 v84, v84, v84
	v_pk_add_f16 v86, v11, v27
	s_delay_alu instid0(VALU_DEP_2) | instskip(NEXT) | instid1(VALU_DEP_1)
	v_pk_min_f16 v31, v84, v31
	v_pk_min_f16 v31, v31, v86
	v_lshlrev_b64 v[86:87], 1, v[42:43]
	s_delay_alu instid0(VALU_DEP_2) | instskip(NEXT) | instid1(VALU_DEP_1)
	v_lshrrev_b32_e32 v84, 16, v31
	v_min3_f16 v84, v30, v31, v84
	s_delay_alu instid0(VALU_DEP_3) | instskip(NEXT) | instid1(VALU_DEP_4)
	v_add_co_u32 v30, vcc_lo, v24, v86
	v_add_co_ci_u32_e32 v31, vcc_lo, v25, v87, vcc_lo
	global_store_b16 v[30:31], v84, off
	s_or_b32 exec_lo, exec_lo, s14
	s_and_b32 s16, s6, s8
	s_delay_alu instid0(SALU_CYCLE_1)
	s_and_saveexec_b32 s14, s16
	s_cbranch_execz .LBB279_177
.LBB279_202:
	v_cmp_ne_u32_e32 vcc_lo, 1, v77
	s_cbranch_vccnz .LBB279_204
; %bb.203:
	v_lshlrev_b64 v[30:31], 1, v[44:45]
	s_delay_alu instid0(VALU_DEP_1) | instskip(NEXT) | instid1(VALU_DEP_2)
	v_add_co_u32 v30, vcc_lo, v28, v30
	v_add_co_ci_u32_e32 v31, vcc_lo, v29, v31, vcc_lo
	flat_load_u16 v30, v[30:31]
	s_waitcnt vmcnt(0) lgkmcnt(0)
	v_mul_f16_e32 v30, v48, v30
	s_branch .LBB279_205
.LBB279_204:
	v_mov_b32_e32 v30, 0
.LBB279_205:
	v_pk_add_f16 v31, v0, v26
	v_pk_max_f16 v83, v83, v83
	v_pk_add_f16 v84, v1, v27
	s_delay_alu instid0(VALU_DEP_2) | instskip(NEXT) | instid1(VALU_DEP_1)
	v_pk_min_f16 v31, v83, v31
	v_pk_min_f16 v31, v31, v84
	v_lshlrev_b64 v[83:84], 1, v[44:45]
	s_delay_alu instid0(VALU_DEP_2) | instskip(NEXT) | instid1(VALU_DEP_1)
	v_lshrrev_b32_e32 v86, 16, v31
	v_min3_f16 v86, v30, v31, v86
	s_delay_alu instid0(VALU_DEP_3) | instskip(NEXT) | instid1(VALU_DEP_4)
	v_add_co_u32 v30, vcc_lo, v24, v83
	v_add_co_ci_u32_e32 v31, vcc_lo, v25, v84, vcc_lo
	global_store_b16 v[30:31], v86, off
	s_or_b32 exec_lo, exec_lo, s14
	s_and_b32 s14, s7, s8
	s_delay_alu instid0(SALU_CYCLE_1)
	s_and_saveexec_b32 s8, s14
	s_cbranch_execz .LBB279_210
.LBB279_206:
	v_cmp_ne_u32_e32 vcc_lo, 1, v77
	s_cbranch_vccnz .LBB279_208
; %bb.207:
	v_lshlrev_b64 v[30:31], 1, v[46:47]
	s_delay_alu instid0(VALU_DEP_1) | instskip(NEXT) | instid1(VALU_DEP_2)
	v_add_co_u32 v28, vcc_lo, v28, v30
	v_add_co_ci_u32_e32 v29, vcc_lo, v29, v31, vcc_lo
	flat_load_u16 v28, v[28:29]
	s_waitcnt vmcnt(0) lgkmcnt(0)
	v_mul_f16_e32 v28, v48, v28
	s_branch .LBB279_209
.LBB279_208:
	v_mov_b32_e32 v28, 0
.LBB279_209:
	v_pk_add_f16 v26, v2, v26
	v_pk_max_f16 v29, v82, v82
	v_pk_add_f16 v27, v3, v27
	s_delay_alu instid0(VALU_DEP_2) | instskip(NEXT) | instid1(VALU_DEP_1)
	v_pk_min_f16 v26, v29, v26
	v_pk_min_f16 v29, v26, v27
	v_lshlrev_b64 v[26:27], 1, v[46:47]
	s_delay_alu instid0(VALU_DEP_2) | instskip(NEXT) | instid1(VALU_DEP_2)
	v_lshrrev_b32_e32 v30, 16, v29
	v_add_co_u32 v24, vcc_lo, v24, v26
	s_delay_alu instid0(VALU_DEP_3) | instskip(NEXT) | instid1(VALU_DEP_3)
	v_add_co_ci_u32_e32 v25, vcc_lo, v25, v27, vcc_lo
	v_min3_f16 v28, v28, v29, v30
	global_store_b16 v[24:25], v28, off
.LBB279_210:
	s_or_b32 exec_lo, exec_lo, s8
	v_add_nc_u32_e32 v28, 0x80, v85
	s_delay_alu instid0(VALU_DEP_1) | instskip(SKIP_2) | instid1(VALU_DEP_3)
	v_mad_i64_i32 v[24:25], null, v28, s15, 0
	v_mad_i64_i32 v[26:27], null, v28, s9, 0
	v_cmp_gt_i32_e64 s8, s17, v28
	v_lshlrev_b64 v[24:25], 1, v[24:25]
	s_delay_alu instid0(VALU_DEP_2) | instskip(NEXT) | instid1(VALU_DEP_3)
	s_and_b32 s16, s0, s8
	v_lshlrev_b64 v[28:29], 1, v[26:27]
	s_delay_alu instid0(VALU_DEP_2) | instskip(NEXT) | instid1(VALU_DEP_3)
	v_add_co_u32 v26, vcc_lo, s12, v24
	v_add_co_ci_u32_e32 v27, vcc_lo, s13, v25, vcc_lo
	s_delay_alu instid0(VALU_DEP_3) | instskip(NEXT) | instid1(VALU_DEP_4)
	v_add_co_u32 v24, vcc_lo, s10, v28
	v_add_co_ci_u32_e32 v25, vcc_lo, s11, v29, vcc_lo
	s_and_saveexec_b32 s14, s16
	s_cbranch_execnz .LBB279_218
; %bb.211:
	s_or_b32 exec_lo, exec_lo, s14
	s_and_b32 s16, s1, s8
	s_delay_alu instid0(SALU_CYCLE_1)
	s_and_saveexec_b32 s14, s16
	s_cbranch_execnz .LBB279_222
.LBB279_212:
	s_or_b32 exec_lo, exec_lo, s14
	s_and_b32 s16, s2, s8
	s_delay_alu instid0(SALU_CYCLE_1)
	s_and_saveexec_b32 s14, s16
	s_cbranch_execnz .LBB279_226
.LBB279_213:
	s_or_b32 exec_lo, exec_lo, s14
	s_and_b32 s16, s3, s8
	s_delay_alu instid0(SALU_CYCLE_1)
	s_and_saveexec_b32 s14, s16
	s_cbranch_execnz .LBB279_230
.LBB279_214:
	s_or_b32 exec_lo, exec_lo, s14
	s_and_b32 s16, s4, s8
	s_delay_alu instid0(SALU_CYCLE_1)
	s_and_saveexec_b32 s14, s16
	s_cbranch_execnz .LBB279_234
.LBB279_215:
	s_or_b32 exec_lo, exec_lo, s14
	s_and_b32 s16, s5, s8
	s_delay_alu instid0(SALU_CYCLE_1)
	s_and_saveexec_b32 s14, s16
	s_cbranch_execnz .LBB279_238
.LBB279_216:
	s_or_b32 exec_lo, exec_lo, s14
	s_and_b32 s16, s6, s8
	s_delay_alu instid0(SALU_CYCLE_1)
	s_and_saveexec_b32 s14, s16
	s_cbranch_execnz .LBB279_242
.LBB279_217:
	s_or_b32 exec_lo, exec_lo, s14
	s_and_b32 s14, s7, s8
	s_delay_alu instid0(SALU_CYCLE_1)
	s_and_saveexec_b32 s8, s14
	s_cbranch_execnz .LBB279_246
	s_branch .LBB279_250
.LBB279_218:
	v_cmp_ne_u32_e32 vcc_lo, 1, v77
	s_cbranch_vccnz .LBB279_220
; %bb.219:
	v_lshlrev_b64 v[28:29], 1, v[32:33]
	s_delay_alu instid0(VALU_DEP_1) | instskip(NEXT) | instid1(VALU_DEP_2)
	v_add_co_u32 v28, vcc_lo, v26, v28
	v_add_co_ci_u32_e32 v29, vcc_lo, v27, v29, vcc_lo
	flat_load_u16 v28, v[28:29]
	s_waitcnt vmcnt(0) lgkmcnt(0)
	v_mul_f16_e32 v28, v48, v28
	s_branch .LBB279_221
.LBB279_220:
	v_mov_b32_e32 v28, 0
.LBB279_221:
	v_pk_add_f16 v29, v16, v20
	v_pk_max_f16 v30, v81, v81
	v_pk_add_f16 v31, v17, v21
	s_delay_alu instid0(VALU_DEP_2) | instskip(NEXT) | instid1(VALU_DEP_1)
	v_pk_min_f16 v29, v30, v29
	v_pk_min_f16 v31, v29, v31
	v_lshlrev_b64 v[29:30], 1, v[32:33]
	s_delay_alu instid0(VALU_DEP_2) | instskip(NEXT) | instid1(VALU_DEP_1)
	v_lshrrev_b32_e32 v81, 16, v31
	v_min3_f16 v31, v28, v31, v81
	s_delay_alu instid0(VALU_DEP_3) | instskip(NEXT) | instid1(VALU_DEP_4)
	v_add_co_u32 v28, vcc_lo, v24, v29
	v_add_co_ci_u32_e32 v29, vcc_lo, v25, v30, vcc_lo
	global_store_b16 v[28:29], v31, off
	s_or_b32 exec_lo, exec_lo, s14
	s_and_b32 s16, s1, s8
	s_delay_alu instid0(SALU_CYCLE_1)
	s_and_saveexec_b32 s14, s16
	s_cbranch_execz .LBB279_212
.LBB279_222:
	v_cmp_ne_u32_e32 vcc_lo, 1, v77
	s_cbranch_vccnz .LBB279_224
; %bb.223:
	v_lshlrev_b64 v[28:29], 1, v[34:35]
	s_delay_alu instid0(VALU_DEP_1) | instskip(NEXT) | instid1(VALU_DEP_2)
	v_add_co_u32 v28, vcc_lo, v26, v28
	v_add_co_ci_u32_e32 v29, vcc_lo, v27, v29, vcc_lo
	flat_load_u16 v28, v[28:29]
	s_waitcnt vmcnt(0) lgkmcnt(0)
	v_mul_f16_e32 v28, v48, v28
	s_branch .LBB279_225
.LBB279_224:
	v_mov_b32_e32 v28, 0
.LBB279_225:
	v_pk_add_f16 v29, v18, v20
	v_pk_max_f16 v30, v80, v80
	v_pk_add_f16 v31, v19, v21
	s_delay_alu instid0(VALU_DEP_2) | instskip(NEXT) | instid1(VALU_DEP_1)
	v_pk_min_f16 v29, v30, v29
	v_pk_min_f16 v31, v29, v31
	v_lshlrev_b64 v[29:30], 1, v[34:35]
	s_delay_alu instid0(VALU_DEP_2) | instskip(NEXT) | instid1(VALU_DEP_1)
	v_lshrrev_b32_e32 v80, 16, v31
	v_min3_f16 v31, v28, v31, v80
	s_delay_alu instid0(VALU_DEP_3) | instskip(NEXT) | instid1(VALU_DEP_4)
	v_add_co_u32 v28, vcc_lo, v24, v29
	v_add_co_ci_u32_e32 v29, vcc_lo, v25, v30, vcc_lo
	global_store_b16 v[28:29], v31, off
	s_or_b32 exec_lo, exec_lo, s14
	s_and_b32 s16, s2, s8
	s_delay_alu instid0(SALU_CYCLE_1)
	s_and_saveexec_b32 s14, s16
	s_cbranch_execz .LBB279_213
.LBB279_226:
	v_cmp_ne_u32_e32 vcc_lo, 1, v77
	s_cbranch_vccnz .LBB279_228
; %bb.227:
	v_lshlrev_b64 v[28:29], 1, v[36:37]
	s_delay_alu instid0(VALU_DEP_1) | instskip(NEXT) | instid1(VALU_DEP_2)
	v_add_co_u32 v28, vcc_lo, v26, v28
	v_add_co_ci_u32_e32 v29, vcc_lo, v27, v29, vcc_lo
	flat_load_u16 v28, v[28:29]
	s_waitcnt vmcnt(0) lgkmcnt(0)
	v_mul_f16_e32 v28, v48, v28
	s_branch .LBB279_229
.LBB279_228:
	v_mov_b32_e32 v28, 0
.LBB279_229:
	v_pk_add_f16 v29, v12, v20
	v_pk_max_f16 v30, v79, v79
	v_pk_add_f16 v31, v13, v21
	s_delay_alu instid0(VALU_DEP_2) | instskip(NEXT) | instid1(VALU_DEP_1)
	v_pk_min_f16 v29, v30, v29
	v_pk_min_f16 v31, v29, v31
	v_lshlrev_b64 v[29:30], 1, v[36:37]
	s_delay_alu instid0(VALU_DEP_2) | instskip(NEXT) | instid1(VALU_DEP_1)
	v_lshrrev_b32_e32 v79, 16, v31
	v_min3_f16 v31, v28, v31, v79
	s_delay_alu instid0(VALU_DEP_3) | instskip(NEXT) | instid1(VALU_DEP_4)
	v_add_co_u32 v28, vcc_lo, v24, v29
	v_add_co_ci_u32_e32 v29, vcc_lo, v25, v30, vcc_lo
	global_store_b16 v[28:29], v31, off
	s_or_b32 exec_lo, exec_lo, s14
	s_and_b32 s16, s3, s8
	s_delay_alu instid0(SALU_CYCLE_1)
	s_and_saveexec_b32 s14, s16
	s_cbranch_execz .LBB279_214
.LBB279_230:
	v_cmp_ne_u32_e32 vcc_lo, 1, v77
	s_cbranch_vccnz .LBB279_232
; %bb.231:
	v_lshlrev_b64 v[28:29], 1, v[38:39]
	s_delay_alu instid0(VALU_DEP_1) | instskip(NEXT) | instid1(VALU_DEP_2)
	v_add_co_u32 v28, vcc_lo, v26, v28
	v_add_co_ci_u32_e32 v29, vcc_lo, v27, v29, vcc_lo
	flat_load_u16 v28, v[28:29]
	s_waitcnt vmcnt(0) lgkmcnt(0)
	v_mul_f16_e32 v28, v48, v28
	s_branch .LBB279_233
.LBB279_232:
	v_mov_b32_e32 v28, 0
.LBB279_233:
	v_pk_add_f16 v29, v14, v20
	v_pk_max_f16 v30, v78, v78
	v_pk_add_f16 v31, v15, v21
	s_delay_alu instid0(VALU_DEP_2) | instskip(NEXT) | instid1(VALU_DEP_1)
	v_pk_min_f16 v29, v30, v29
	v_pk_min_f16 v31, v29, v31
	v_lshlrev_b64 v[29:30], 1, v[38:39]
	s_delay_alu instid0(VALU_DEP_2) | instskip(NEXT) | instid1(VALU_DEP_1)
	v_lshrrev_b32_e32 v78, 16, v31
	v_min3_f16 v31, v28, v31, v78
	s_delay_alu instid0(VALU_DEP_3) | instskip(NEXT) | instid1(VALU_DEP_4)
	v_add_co_u32 v28, vcc_lo, v24, v29
	v_add_co_ci_u32_e32 v29, vcc_lo, v25, v30, vcc_lo
	global_store_b16 v[28:29], v31, off
	s_or_b32 exec_lo, exec_lo, s14
	s_and_b32 s16, s4, s8
	s_delay_alu instid0(SALU_CYCLE_1)
	s_and_saveexec_b32 s14, s16
	s_cbranch_execz .LBB279_215
.LBB279_234:
	v_cmp_ne_u32_e32 vcc_lo, 1, v77
	s_cbranch_vccnz .LBB279_236
; %bb.235:
	v_lshlrev_b64 v[28:29], 1, v[40:41]
	s_delay_alu instid0(VALU_DEP_1) | instskip(NEXT) | instid1(VALU_DEP_2)
	v_add_co_u32 v28, vcc_lo, v26, v28
	v_add_co_ci_u32_e32 v29, vcc_lo, v27, v29, vcc_lo
	flat_load_u16 v28, v[28:29]
	s_waitcnt vmcnt(0) lgkmcnt(0)
	v_mul_f16_e32 v28, v48, v28
	s_branch .LBB279_237
.LBB279_236:
	v_mov_b32_e32 v28, 0
.LBB279_237:
	v_pk_add_f16 v29, v8, v20
	v_pk_max_f16 v30, v76, v76
	v_pk_add_f16 v31, v9, v21
	s_delay_alu instid0(VALU_DEP_2) | instskip(NEXT) | instid1(VALU_DEP_1)
	v_pk_min_f16 v29, v30, v29
	v_pk_min_f16 v31, v29, v31
	v_lshlrev_b64 v[29:30], 1, v[40:41]
	s_delay_alu instid0(VALU_DEP_2) | instskip(NEXT) | instid1(VALU_DEP_1)
	v_lshrrev_b32_e32 v76, 16, v31
	v_min3_f16 v31, v28, v31, v76
	s_delay_alu instid0(VALU_DEP_3) | instskip(NEXT) | instid1(VALU_DEP_4)
	v_add_co_u32 v28, vcc_lo, v24, v29
	v_add_co_ci_u32_e32 v29, vcc_lo, v25, v30, vcc_lo
	global_store_b16 v[28:29], v31, off
	s_or_b32 exec_lo, exec_lo, s14
	s_and_b32 s16, s5, s8
	s_delay_alu instid0(SALU_CYCLE_1)
	s_and_saveexec_b32 s14, s16
	s_cbranch_execz .LBB279_216
.LBB279_238:
	v_cmp_ne_u32_e32 vcc_lo, 1, v77
	s_cbranch_vccnz .LBB279_240
; %bb.239:
	v_lshlrev_b64 v[28:29], 1, v[42:43]
	s_delay_alu instid0(VALU_DEP_1) | instskip(NEXT) | instid1(VALU_DEP_2)
	v_add_co_u32 v28, vcc_lo, v26, v28
	v_add_co_ci_u32_e32 v29, vcc_lo, v27, v29, vcc_lo
	flat_load_u16 v28, v[28:29]
	s_waitcnt vmcnt(0) lgkmcnt(0)
	v_mul_f16_e32 v28, v48, v28
	s_branch .LBB279_241
.LBB279_240:
	v_mov_b32_e32 v28, 0
.LBB279_241:
	v_pk_add_f16 v29, v10, v20
	v_pk_max_f16 v30, v75, v75
	v_pk_add_f16 v31, v11, v21
	s_delay_alu instid0(VALU_DEP_2) | instskip(NEXT) | instid1(VALU_DEP_1)
	v_pk_min_f16 v29, v30, v29
	v_pk_min_f16 v31, v29, v31
	v_lshlrev_b64 v[29:30], 1, v[42:43]
	s_delay_alu instid0(VALU_DEP_2) | instskip(NEXT) | instid1(VALU_DEP_1)
	v_lshrrev_b32_e32 v75, 16, v31
	v_min3_f16 v31, v28, v31, v75
	s_delay_alu instid0(VALU_DEP_3) | instskip(NEXT) | instid1(VALU_DEP_4)
	v_add_co_u32 v28, vcc_lo, v24, v29
	v_add_co_ci_u32_e32 v29, vcc_lo, v25, v30, vcc_lo
	global_store_b16 v[28:29], v31, off
	s_or_b32 exec_lo, exec_lo, s14
	s_and_b32 s16, s6, s8
	s_delay_alu instid0(SALU_CYCLE_1)
	s_and_saveexec_b32 s14, s16
	s_cbranch_execz .LBB279_217
.LBB279_242:
	v_cmp_ne_u32_e32 vcc_lo, 1, v77
	s_cbranch_vccnz .LBB279_244
; %bb.243:
	v_lshlrev_b64 v[28:29], 1, v[44:45]
	s_delay_alu instid0(VALU_DEP_1) | instskip(NEXT) | instid1(VALU_DEP_2)
	v_add_co_u32 v28, vcc_lo, v26, v28
	v_add_co_ci_u32_e32 v29, vcc_lo, v27, v29, vcc_lo
	flat_load_u16 v28, v[28:29]
	s_waitcnt vmcnt(0) lgkmcnt(0)
	v_mul_f16_e32 v28, v48, v28
	s_branch .LBB279_245
.LBB279_244:
	v_mov_b32_e32 v28, 0
.LBB279_245:
	v_pk_add_f16 v29, v0, v20
	v_pk_max_f16 v30, v74, v74
	v_pk_add_f16 v31, v1, v21
	s_delay_alu instid0(VALU_DEP_2) | instskip(NEXT) | instid1(VALU_DEP_1)
	v_pk_min_f16 v29, v30, v29
	v_pk_min_f16 v31, v29, v31
	v_lshlrev_b64 v[29:30], 1, v[44:45]
	s_delay_alu instid0(VALU_DEP_2) | instskip(NEXT) | instid1(VALU_DEP_1)
	v_lshrrev_b32_e32 v74, 16, v31
	v_min3_f16 v31, v28, v31, v74
	s_delay_alu instid0(VALU_DEP_3) | instskip(NEXT) | instid1(VALU_DEP_4)
	v_add_co_u32 v28, vcc_lo, v24, v29
	v_add_co_ci_u32_e32 v29, vcc_lo, v25, v30, vcc_lo
	global_store_b16 v[28:29], v31, off
	s_or_b32 exec_lo, exec_lo, s14
	s_and_b32 s14, s7, s8
	s_delay_alu instid0(SALU_CYCLE_1)
	s_and_saveexec_b32 s8, s14
	s_cbranch_execz .LBB279_250
.LBB279_246:
	v_cmp_ne_u32_e32 vcc_lo, 1, v77
	s_cbranch_vccnz .LBB279_248
; %bb.247:
	v_lshlrev_b64 v[28:29], 1, v[46:47]
	s_delay_alu instid0(VALU_DEP_1) | instskip(NEXT) | instid1(VALU_DEP_2)
	v_add_co_u32 v26, vcc_lo, v26, v28
	v_add_co_ci_u32_e32 v27, vcc_lo, v27, v29, vcc_lo
	flat_load_u16 v26, v[26:27]
	s_waitcnt vmcnt(0) lgkmcnt(0)
	v_mul_f16_e32 v26, v48, v26
	s_branch .LBB279_249
.LBB279_248:
	v_mov_b32_e32 v26, 0
.LBB279_249:
	v_pk_add_f16 v20, v2, v20
	v_pk_max_f16 v27, v73, v73
	v_pk_add_f16 v21, v3, v21
	s_delay_alu instid0(VALU_DEP_2) | instskip(NEXT) | instid1(VALU_DEP_1)
	v_pk_min_f16 v20, v27, v20
	v_pk_min_f16 v27, v20, v21
	v_lshlrev_b64 v[20:21], 1, v[46:47]
	s_delay_alu instid0(VALU_DEP_2) | instskip(NEXT) | instid1(VALU_DEP_2)
	v_lshrrev_b32_e32 v28, 16, v27
	v_add_co_u32 v20, vcc_lo, v24, v20
	s_delay_alu instid0(VALU_DEP_3) | instskip(NEXT) | instid1(VALU_DEP_3)
	v_add_co_ci_u32_e32 v21, vcc_lo, v25, v21, vcc_lo
	v_min3_f16 v26, v26, v27, v28
	global_store_b16 v[20:21], v26, off
.LBB279_250:
	s_or_b32 exec_lo, exec_lo, s8
	v_add_nc_u32_e32 v26, 0xa0, v85
	s_delay_alu instid0(VALU_DEP_1) | instskip(SKIP_2) | instid1(VALU_DEP_3)
	v_mad_i64_i32 v[20:21], null, v26, s15, 0
	v_mad_i64_i32 v[24:25], null, v26, s9, 0
	v_cmp_gt_i32_e64 s8, s17, v26
	v_lshlrev_b64 v[20:21], 1, v[20:21]
	s_delay_alu instid0(VALU_DEP_2) | instskip(NEXT) | instid1(VALU_DEP_3)
	s_and_b32 s16, s0, s8
	v_lshlrev_b64 v[26:27], 1, v[24:25]
	s_delay_alu instid0(VALU_DEP_2) | instskip(NEXT) | instid1(VALU_DEP_3)
	v_add_co_u32 v24, vcc_lo, s12, v20
	v_add_co_ci_u32_e32 v25, vcc_lo, s13, v21, vcc_lo
	s_delay_alu instid0(VALU_DEP_3) | instskip(NEXT) | instid1(VALU_DEP_4)
	v_add_co_u32 v20, vcc_lo, s10, v26
	v_add_co_ci_u32_e32 v21, vcc_lo, s11, v27, vcc_lo
	s_and_saveexec_b32 s14, s16
	s_cbranch_execnz .LBB279_258
; %bb.251:
	s_or_b32 exec_lo, exec_lo, s14
	s_and_b32 s16, s1, s8
	s_delay_alu instid0(SALU_CYCLE_1)
	s_and_saveexec_b32 s14, s16
	s_cbranch_execnz .LBB279_262
.LBB279_252:
	s_or_b32 exec_lo, exec_lo, s14
	s_and_b32 s16, s2, s8
	s_delay_alu instid0(SALU_CYCLE_1)
	s_and_saveexec_b32 s14, s16
	s_cbranch_execnz .LBB279_266
.LBB279_253:
	s_or_b32 exec_lo, exec_lo, s14
	s_and_b32 s16, s3, s8
	s_delay_alu instid0(SALU_CYCLE_1)
	s_and_saveexec_b32 s14, s16
	s_cbranch_execnz .LBB279_270
.LBB279_254:
	s_or_b32 exec_lo, exec_lo, s14
	s_and_b32 s16, s4, s8
	s_delay_alu instid0(SALU_CYCLE_1)
	s_and_saveexec_b32 s14, s16
	s_cbranch_execnz .LBB279_274
.LBB279_255:
	s_or_b32 exec_lo, exec_lo, s14
	s_and_b32 s16, s5, s8
	s_delay_alu instid0(SALU_CYCLE_1)
	s_and_saveexec_b32 s14, s16
	s_cbranch_execnz .LBB279_278
.LBB279_256:
	s_or_b32 exec_lo, exec_lo, s14
	s_and_b32 s16, s6, s8
	s_delay_alu instid0(SALU_CYCLE_1)
	s_and_saveexec_b32 s14, s16
	s_cbranch_execnz .LBB279_282
.LBB279_257:
	s_or_b32 exec_lo, exec_lo, s14
	s_and_b32 s14, s7, s8
	s_delay_alu instid0(SALU_CYCLE_1)
	s_and_saveexec_b32 s8, s14
	s_cbranch_execnz .LBB279_286
	s_branch .LBB279_290
.LBB279_258:
	v_cmp_ne_u32_e32 vcc_lo, 1, v77
	s_cbranch_vccnz .LBB279_260
; %bb.259:
	v_lshlrev_b64 v[26:27], 1, v[32:33]
	s_delay_alu instid0(VALU_DEP_1) | instskip(NEXT) | instid1(VALU_DEP_2)
	v_add_co_u32 v26, vcc_lo, v24, v26
	v_add_co_ci_u32_e32 v27, vcc_lo, v25, v27, vcc_lo
	flat_load_u16 v26, v[26:27]
	s_waitcnt vmcnt(0) lgkmcnt(0)
	v_mul_f16_e32 v26, v48, v26
	s_branch .LBB279_261
.LBB279_260:
	v_mov_b32_e32 v26, 0
.LBB279_261:
	v_pk_add_f16 v27, v16, v22
	v_pk_max_f16 v28, v72, v72
	v_pk_add_f16 v29, v17, v23
	s_delay_alu instid0(VALU_DEP_2) | instskip(NEXT) | instid1(VALU_DEP_1)
	v_pk_min_f16 v27, v28, v27
	v_pk_min_f16 v29, v27, v29
	v_lshlrev_b64 v[27:28], 1, v[32:33]
	s_delay_alu instid0(VALU_DEP_2) | instskip(NEXT) | instid1(VALU_DEP_1)
	v_lshrrev_b32_e32 v30, 16, v29
	v_min3_f16 v29, v26, v29, v30
	s_delay_alu instid0(VALU_DEP_3) | instskip(NEXT) | instid1(VALU_DEP_4)
	v_add_co_u32 v26, vcc_lo, v20, v27
	v_add_co_ci_u32_e32 v27, vcc_lo, v21, v28, vcc_lo
	global_store_b16 v[26:27], v29, off
	s_or_b32 exec_lo, exec_lo, s14
	s_and_b32 s16, s1, s8
	s_delay_alu instid0(SALU_CYCLE_1)
	s_and_saveexec_b32 s14, s16
	s_cbranch_execz .LBB279_252
.LBB279_262:
	v_cmp_ne_u32_e32 vcc_lo, 1, v77
	s_cbranch_vccnz .LBB279_264
; %bb.263:
	v_lshlrev_b64 v[26:27], 1, v[34:35]
	s_delay_alu instid0(VALU_DEP_1) | instskip(NEXT) | instid1(VALU_DEP_2)
	v_add_co_u32 v26, vcc_lo, v24, v26
	v_add_co_ci_u32_e32 v27, vcc_lo, v25, v27, vcc_lo
	flat_load_u16 v26, v[26:27]
	s_waitcnt vmcnt(0) lgkmcnt(0)
	v_mul_f16_e32 v26, v48, v26
	s_branch .LBB279_265
.LBB279_264:
	v_mov_b32_e32 v26, 0
.LBB279_265:
	v_pk_add_f16 v27, v18, v22
	v_pk_max_f16 v28, v71, v71
	v_pk_add_f16 v29, v19, v23
	s_delay_alu instid0(VALU_DEP_2) | instskip(NEXT) | instid1(VALU_DEP_1)
	v_pk_min_f16 v27, v28, v27
	v_pk_min_f16 v29, v27, v29
	v_lshlrev_b64 v[27:28], 1, v[34:35]
	s_delay_alu instid0(VALU_DEP_2) | instskip(NEXT) | instid1(VALU_DEP_1)
	v_lshrrev_b32_e32 v30, 16, v29
	v_min3_f16 v29, v26, v29, v30
	s_delay_alu instid0(VALU_DEP_3) | instskip(NEXT) | instid1(VALU_DEP_4)
	v_add_co_u32 v26, vcc_lo, v20, v27
	v_add_co_ci_u32_e32 v27, vcc_lo, v21, v28, vcc_lo
	global_store_b16 v[26:27], v29, off
	s_or_b32 exec_lo, exec_lo, s14
	s_and_b32 s16, s2, s8
	s_delay_alu instid0(SALU_CYCLE_1)
	s_and_saveexec_b32 s14, s16
	s_cbranch_execz .LBB279_253
.LBB279_266:
	v_cmp_ne_u32_e32 vcc_lo, 1, v77
	s_cbranch_vccnz .LBB279_268
; %bb.267:
	v_lshlrev_b64 v[26:27], 1, v[36:37]
	s_delay_alu instid0(VALU_DEP_1) | instskip(NEXT) | instid1(VALU_DEP_2)
	v_add_co_u32 v26, vcc_lo, v24, v26
	v_add_co_ci_u32_e32 v27, vcc_lo, v25, v27, vcc_lo
	flat_load_u16 v26, v[26:27]
	s_waitcnt vmcnt(0) lgkmcnt(0)
	v_mul_f16_e32 v26, v48, v26
	s_branch .LBB279_269
.LBB279_268:
	v_mov_b32_e32 v26, 0
.LBB279_269:
	v_pk_add_f16 v27, v12, v22
	v_pk_max_f16 v28, v70, v70
	v_pk_add_f16 v29, v13, v23
	s_delay_alu instid0(VALU_DEP_2) | instskip(NEXT) | instid1(VALU_DEP_1)
	v_pk_min_f16 v27, v28, v27
	v_pk_min_f16 v29, v27, v29
	v_lshlrev_b64 v[27:28], 1, v[36:37]
	s_delay_alu instid0(VALU_DEP_2) | instskip(NEXT) | instid1(VALU_DEP_1)
	v_lshrrev_b32_e32 v30, 16, v29
	v_min3_f16 v29, v26, v29, v30
	s_delay_alu instid0(VALU_DEP_3) | instskip(NEXT) | instid1(VALU_DEP_4)
	v_add_co_u32 v26, vcc_lo, v20, v27
	v_add_co_ci_u32_e32 v27, vcc_lo, v21, v28, vcc_lo
	global_store_b16 v[26:27], v29, off
	s_or_b32 exec_lo, exec_lo, s14
	s_and_b32 s16, s3, s8
	s_delay_alu instid0(SALU_CYCLE_1)
	s_and_saveexec_b32 s14, s16
	s_cbranch_execz .LBB279_254
.LBB279_270:
	v_cmp_ne_u32_e32 vcc_lo, 1, v77
	s_cbranch_vccnz .LBB279_272
; %bb.271:
	v_lshlrev_b64 v[26:27], 1, v[38:39]
	s_delay_alu instid0(VALU_DEP_1) | instskip(NEXT) | instid1(VALU_DEP_2)
	v_add_co_u32 v26, vcc_lo, v24, v26
	v_add_co_ci_u32_e32 v27, vcc_lo, v25, v27, vcc_lo
	flat_load_u16 v26, v[26:27]
	s_waitcnt vmcnt(0) lgkmcnt(0)
	v_mul_f16_e32 v26, v48, v26
	s_branch .LBB279_273
.LBB279_272:
	v_mov_b32_e32 v26, 0
.LBB279_273:
	v_pk_add_f16 v27, v14, v22
	v_pk_max_f16 v28, v69, v69
	v_pk_add_f16 v29, v15, v23
	s_delay_alu instid0(VALU_DEP_2) | instskip(NEXT) | instid1(VALU_DEP_1)
	v_pk_min_f16 v27, v28, v27
	v_pk_min_f16 v29, v27, v29
	v_lshlrev_b64 v[27:28], 1, v[38:39]
	s_delay_alu instid0(VALU_DEP_2) | instskip(NEXT) | instid1(VALU_DEP_1)
	v_lshrrev_b32_e32 v30, 16, v29
	v_min3_f16 v29, v26, v29, v30
	s_delay_alu instid0(VALU_DEP_3) | instskip(NEXT) | instid1(VALU_DEP_4)
	v_add_co_u32 v26, vcc_lo, v20, v27
	v_add_co_ci_u32_e32 v27, vcc_lo, v21, v28, vcc_lo
	global_store_b16 v[26:27], v29, off
	s_or_b32 exec_lo, exec_lo, s14
	s_and_b32 s16, s4, s8
	s_delay_alu instid0(SALU_CYCLE_1)
	s_and_saveexec_b32 s14, s16
	s_cbranch_execz .LBB279_255
.LBB279_274:
	v_cmp_ne_u32_e32 vcc_lo, 1, v77
	s_cbranch_vccnz .LBB279_276
; %bb.275:
	v_lshlrev_b64 v[26:27], 1, v[40:41]
	s_delay_alu instid0(VALU_DEP_1) | instskip(NEXT) | instid1(VALU_DEP_2)
	v_add_co_u32 v26, vcc_lo, v24, v26
	v_add_co_ci_u32_e32 v27, vcc_lo, v25, v27, vcc_lo
	flat_load_u16 v26, v[26:27]
	s_waitcnt vmcnt(0) lgkmcnt(0)
	v_mul_f16_e32 v26, v48, v26
	s_branch .LBB279_277
.LBB279_276:
	v_mov_b32_e32 v26, 0
.LBB279_277:
	v_pk_add_f16 v27, v8, v22
	v_pk_max_f16 v28, v68, v68
	v_pk_add_f16 v29, v9, v23
	s_delay_alu instid0(VALU_DEP_2) | instskip(NEXT) | instid1(VALU_DEP_1)
	v_pk_min_f16 v27, v28, v27
	v_pk_min_f16 v29, v27, v29
	v_lshlrev_b64 v[27:28], 1, v[40:41]
	s_delay_alu instid0(VALU_DEP_2) | instskip(NEXT) | instid1(VALU_DEP_1)
	v_lshrrev_b32_e32 v30, 16, v29
	v_min3_f16 v29, v26, v29, v30
	s_delay_alu instid0(VALU_DEP_3) | instskip(NEXT) | instid1(VALU_DEP_4)
	v_add_co_u32 v26, vcc_lo, v20, v27
	v_add_co_ci_u32_e32 v27, vcc_lo, v21, v28, vcc_lo
	global_store_b16 v[26:27], v29, off
	s_or_b32 exec_lo, exec_lo, s14
	s_and_b32 s16, s5, s8
	s_delay_alu instid0(SALU_CYCLE_1)
	s_and_saveexec_b32 s14, s16
	s_cbranch_execz .LBB279_256
.LBB279_278:
	v_cmp_ne_u32_e32 vcc_lo, 1, v77
	s_cbranch_vccnz .LBB279_280
; %bb.279:
	v_lshlrev_b64 v[26:27], 1, v[42:43]
	s_delay_alu instid0(VALU_DEP_1) | instskip(NEXT) | instid1(VALU_DEP_2)
	v_add_co_u32 v26, vcc_lo, v24, v26
	v_add_co_ci_u32_e32 v27, vcc_lo, v25, v27, vcc_lo
	flat_load_u16 v26, v[26:27]
	s_waitcnt vmcnt(0) lgkmcnt(0)
	v_mul_f16_e32 v26, v48, v26
	s_branch .LBB279_281
.LBB279_280:
	v_mov_b32_e32 v26, 0
.LBB279_281:
	v_pk_add_f16 v27, v10, v22
	v_pk_max_f16 v28, v67, v67
	v_pk_add_f16 v29, v11, v23
	s_delay_alu instid0(VALU_DEP_2) | instskip(NEXT) | instid1(VALU_DEP_1)
	v_pk_min_f16 v27, v28, v27
	v_pk_min_f16 v29, v27, v29
	v_lshlrev_b64 v[27:28], 1, v[42:43]
	s_delay_alu instid0(VALU_DEP_2) | instskip(NEXT) | instid1(VALU_DEP_1)
	v_lshrrev_b32_e32 v30, 16, v29
	v_min3_f16 v29, v26, v29, v30
	s_delay_alu instid0(VALU_DEP_3) | instskip(NEXT) | instid1(VALU_DEP_4)
	v_add_co_u32 v26, vcc_lo, v20, v27
	v_add_co_ci_u32_e32 v27, vcc_lo, v21, v28, vcc_lo
	global_store_b16 v[26:27], v29, off
	s_or_b32 exec_lo, exec_lo, s14
	s_and_b32 s16, s6, s8
	s_delay_alu instid0(SALU_CYCLE_1)
	s_and_saveexec_b32 s14, s16
	s_cbranch_execz .LBB279_257
.LBB279_282:
	v_cmp_ne_u32_e32 vcc_lo, 1, v77
	s_cbranch_vccnz .LBB279_284
; %bb.283:
	v_lshlrev_b64 v[26:27], 1, v[44:45]
	s_delay_alu instid0(VALU_DEP_1) | instskip(NEXT) | instid1(VALU_DEP_2)
	v_add_co_u32 v26, vcc_lo, v24, v26
	v_add_co_ci_u32_e32 v27, vcc_lo, v25, v27, vcc_lo
	flat_load_u16 v26, v[26:27]
	s_waitcnt vmcnt(0) lgkmcnt(0)
	v_mul_f16_e32 v26, v48, v26
	s_branch .LBB279_285
.LBB279_284:
	v_mov_b32_e32 v26, 0
.LBB279_285:
	v_pk_add_f16 v27, v0, v22
	v_pk_max_f16 v28, v66, v66
	v_pk_add_f16 v29, v1, v23
	s_delay_alu instid0(VALU_DEP_2) | instskip(NEXT) | instid1(VALU_DEP_1)
	v_pk_min_f16 v27, v28, v27
	v_pk_min_f16 v29, v27, v29
	v_lshlrev_b64 v[27:28], 1, v[44:45]
	s_delay_alu instid0(VALU_DEP_2) | instskip(NEXT) | instid1(VALU_DEP_1)
	v_lshrrev_b32_e32 v30, 16, v29
	v_min3_f16 v29, v26, v29, v30
	s_delay_alu instid0(VALU_DEP_3) | instskip(NEXT) | instid1(VALU_DEP_4)
	v_add_co_u32 v26, vcc_lo, v20, v27
	v_add_co_ci_u32_e32 v27, vcc_lo, v21, v28, vcc_lo
	global_store_b16 v[26:27], v29, off
	s_or_b32 exec_lo, exec_lo, s14
	s_and_b32 s14, s7, s8
	s_delay_alu instid0(SALU_CYCLE_1)
	s_and_saveexec_b32 s8, s14
	s_cbranch_execz .LBB279_290
.LBB279_286:
	v_cmp_ne_u32_e32 vcc_lo, 1, v77
	s_cbranch_vccnz .LBB279_288
; %bb.287:
	v_lshlrev_b64 v[26:27], 1, v[46:47]
	s_delay_alu instid0(VALU_DEP_1) | instskip(NEXT) | instid1(VALU_DEP_2)
	v_add_co_u32 v24, vcc_lo, v24, v26
	v_add_co_ci_u32_e32 v25, vcc_lo, v25, v27, vcc_lo
	flat_load_u16 v24, v[24:25]
	s_waitcnt vmcnt(0) lgkmcnt(0)
	v_mul_f16_e32 v24, v48, v24
	s_branch .LBB279_289
.LBB279_288:
	v_mov_b32_e32 v24, 0
.LBB279_289:
	v_pk_add_f16 v22, v2, v22
	v_pk_max_f16 v25, v65, v65
	v_pk_add_f16 v23, v3, v23
	s_delay_alu instid0(VALU_DEP_2) | instskip(NEXT) | instid1(VALU_DEP_1)
	v_pk_min_f16 v22, v25, v22
	v_pk_min_f16 v25, v22, v23
	v_lshlrev_b64 v[22:23], 1, v[46:47]
	s_delay_alu instid0(VALU_DEP_2) | instskip(NEXT) | instid1(VALU_DEP_2)
	v_lshrrev_b32_e32 v26, 16, v25
	v_add_co_u32 v20, vcc_lo, v20, v22
	s_delay_alu instid0(VALU_DEP_3) | instskip(NEXT) | instid1(VALU_DEP_3)
	v_add_co_ci_u32_e32 v21, vcc_lo, v21, v23, vcc_lo
	v_min3_f16 v24, v24, v25, v26
	global_store_b16 v[20:21], v24, off
.LBB279_290:
	s_or_b32 exec_lo, exec_lo, s8
	v_add_nc_u32_e32 v24, 0xc0, v85
	s_delay_alu instid0(VALU_DEP_1) | instskip(SKIP_2) | instid1(VALU_DEP_3)
	v_mad_i64_i32 v[20:21], null, v24, s15, 0
	v_mad_i64_i32 v[22:23], null, v24, s9, 0
	v_cmp_gt_i32_e64 s8, s17, v24
	v_lshlrev_b64 v[20:21], 1, v[20:21]
	s_delay_alu instid0(VALU_DEP_2) | instskip(NEXT) | instid1(VALU_DEP_3)
	s_and_b32 s16, s0, s8
	v_lshlrev_b64 v[24:25], 1, v[22:23]
	s_delay_alu instid0(VALU_DEP_2) | instskip(NEXT) | instid1(VALU_DEP_3)
	v_add_co_u32 v22, vcc_lo, s12, v20
	v_add_co_ci_u32_e32 v23, vcc_lo, s13, v21, vcc_lo
	s_delay_alu instid0(VALU_DEP_3) | instskip(NEXT) | instid1(VALU_DEP_4)
	v_add_co_u32 v20, vcc_lo, s10, v24
	v_add_co_ci_u32_e32 v21, vcc_lo, s11, v25, vcc_lo
	s_and_saveexec_b32 s14, s16
	s_cbranch_execnz .LBB279_298
; %bb.291:
	s_or_b32 exec_lo, exec_lo, s14
	s_and_b32 s16, s1, s8
	s_delay_alu instid0(SALU_CYCLE_1)
	s_and_saveexec_b32 s14, s16
	s_cbranch_execnz .LBB279_302
.LBB279_292:
	s_or_b32 exec_lo, exec_lo, s14
	s_and_b32 s16, s2, s8
	s_delay_alu instid0(SALU_CYCLE_1)
	s_and_saveexec_b32 s14, s16
	s_cbranch_execnz .LBB279_306
.LBB279_293:
	s_or_b32 exec_lo, exec_lo, s14
	s_and_b32 s16, s3, s8
	s_delay_alu instid0(SALU_CYCLE_1)
	s_and_saveexec_b32 s14, s16
	s_cbranch_execnz .LBB279_310
.LBB279_294:
	s_or_b32 exec_lo, exec_lo, s14
	s_and_b32 s16, s4, s8
	s_delay_alu instid0(SALU_CYCLE_1)
	s_and_saveexec_b32 s14, s16
	s_cbranch_execnz .LBB279_314
.LBB279_295:
	s_or_b32 exec_lo, exec_lo, s14
	s_and_b32 s16, s5, s8
	s_delay_alu instid0(SALU_CYCLE_1)
	s_and_saveexec_b32 s14, s16
	s_cbranch_execnz .LBB279_318
.LBB279_296:
	s_or_b32 exec_lo, exec_lo, s14
	s_and_b32 s16, s6, s8
	s_delay_alu instid0(SALU_CYCLE_1)
	s_and_saveexec_b32 s14, s16
	s_cbranch_execnz .LBB279_322
.LBB279_297:
	s_or_b32 exec_lo, exec_lo, s14
	s_and_b32 s14, s7, s8
	s_delay_alu instid0(SALU_CYCLE_1)
	s_and_saveexec_b32 s8, s14
	s_cbranch_execnz .LBB279_326
	s_branch .LBB279_330
.LBB279_298:
	v_cmp_ne_u32_e32 vcc_lo, 1, v77
	s_cbranch_vccnz .LBB279_300
; %bb.299:
	v_lshlrev_b64 v[24:25], 1, v[32:33]
	s_delay_alu instid0(VALU_DEP_1) | instskip(NEXT) | instid1(VALU_DEP_2)
	v_add_co_u32 v24, vcc_lo, v22, v24
	v_add_co_ci_u32_e32 v25, vcc_lo, v23, v25, vcc_lo
	flat_load_u16 v24, v[24:25]
	s_waitcnt vmcnt(0) lgkmcnt(0)
	v_mul_f16_e32 v24, v48, v24
	s_branch .LBB279_301
.LBB279_300:
	v_mov_b32_e32 v24, 0
.LBB279_301:
	v_pk_add_f16 v25, v16, v4
	v_pk_max_f16 v26, v64, v64
	v_pk_add_f16 v27, v17, v5
	s_delay_alu instid0(VALU_DEP_2) | instskip(NEXT) | instid1(VALU_DEP_1)
	v_pk_min_f16 v25, v26, v25
	v_pk_min_f16 v27, v25, v27
	v_lshlrev_b64 v[25:26], 1, v[32:33]
	s_delay_alu instid0(VALU_DEP_2) | instskip(NEXT) | instid1(VALU_DEP_1)
	v_lshrrev_b32_e32 v28, 16, v27
	v_min3_f16 v27, v24, v27, v28
	s_delay_alu instid0(VALU_DEP_3) | instskip(NEXT) | instid1(VALU_DEP_4)
	v_add_co_u32 v24, vcc_lo, v20, v25
	v_add_co_ci_u32_e32 v25, vcc_lo, v21, v26, vcc_lo
	global_store_b16 v[24:25], v27, off
	s_or_b32 exec_lo, exec_lo, s14
	s_and_b32 s16, s1, s8
	s_delay_alu instid0(SALU_CYCLE_1)
	s_and_saveexec_b32 s14, s16
	s_cbranch_execz .LBB279_292
.LBB279_302:
	v_cmp_ne_u32_e32 vcc_lo, 1, v77
	s_cbranch_vccnz .LBB279_304
; %bb.303:
	v_lshlrev_b64 v[24:25], 1, v[34:35]
	s_delay_alu instid0(VALU_DEP_1) | instskip(NEXT) | instid1(VALU_DEP_2)
	v_add_co_u32 v24, vcc_lo, v22, v24
	v_add_co_ci_u32_e32 v25, vcc_lo, v23, v25, vcc_lo
	flat_load_u16 v24, v[24:25]
	s_waitcnt vmcnt(0) lgkmcnt(0)
	v_mul_f16_e32 v24, v48, v24
	s_branch .LBB279_305
.LBB279_304:
	v_mov_b32_e32 v24, 0
.LBB279_305:
	v_pk_add_f16 v25, v18, v4
	v_pk_max_f16 v26, v63, v63
	v_pk_add_f16 v27, v19, v5
	s_delay_alu instid0(VALU_DEP_2) | instskip(NEXT) | instid1(VALU_DEP_1)
	v_pk_min_f16 v25, v26, v25
	v_pk_min_f16 v27, v25, v27
	v_lshlrev_b64 v[25:26], 1, v[34:35]
	s_delay_alu instid0(VALU_DEP_2) | instskip(NEXT) | instid1(VALU_DEP_1)
	v_lshrrev_b32_e32 v28, 16, v27
	v_min3_f16 v27, v24, v27, v28
	s_delay_alu instid0(VALU_DEP_3) | instskip(NEXT) | instid1(VALU_DEP_4)
	v_add_co_u32 v24, vcc_lo, v20, v25
	v_add_co_ci_u32_e32 v25, vcc_lo, v21, v26, vcc_lo
	global_store_b16 v[24:25], v27, off
	s_or_b32 exec_lo, exec_lo, s14
	s_and_b32 s16, s2, s8
	s_delay_alu instid0(SALU_CYCLE_1)
	s_and_saveexec_b32 s14, s16
	s_cbranch_execz .LBB279_293
.LBB279_306:
	v_cmp_ne_u32_e32 vcc_lo, 1, v77
	s_cbranch_vccnz .LBB279_308
; %bb.307:
	v_lshlrev_b64 v[24:25], 1, v[36:37]
	s_delay_alu instid0(VALU_DEP_1) | instskip(NEXT) | instid1(VALU_DEP_2)
	v_add_co_u32 v24, vcc_lo, v22, v24
	v_add_co_ci_u32_e32 v25, vcc_lo, v23, v25, vcc_lo
	flat_load_u16 v24, v[24:25]
	s_waitcnt vmcnt(0) lgkmcnt(0)
	v_mul_f16_e32 v24, v48, v24
	s_branch .LBB279_309
.LBB279_308:
	v_mov_b32_e32 v24, 0
.LBB279_309:
	v_pk_add_f16 v25, v12, v4
	v_pk_max_f16 v26, v62, v62
	v_pk_add_f16 v27, v13, v5
	s_delay_alu instid0(VALU_DEP_2) | instskip(NEXT) | instid1(VALU_DEP_1)
	v_pk_min_f16 v25, v26, v25
	v_pk_min_f16 v27, v25, v27
	v_lshlrev_b64 v[25:26], 1, v[36:37]
	s_delay_alu instid0(VALU_DEP_2) | instskip(NEXT) | instid1(VALU_DEP_1)
	v_lshrrev_b32_e32 v28, 16, v27
	v_min3_f16 v27, v24, v27, v28
	s_delay_alu instid0(VALU_DEP_3) | instskip(NEXT) | instid1(VALU_DEP_4)
	v_add_co_u32 v24, vcc_lo, v20, v25
	v_add_co_ci_u32_e32 v25, vcc_lo, v21, v26, vcc_lo
	global_store_b16 v[24:25], v27, off
	s_or_b32 exec_lo, exec_lo, s14
	s_and_b32 s16, s3, s8
	s_delay_alu instid0(SALU_CYCLE_1)
	s_and_saveexec_b32 s14, s16
	s_cbranch_execz .LBB279_294
.LBB279_310:
	v_cmp_ne_u32_e32 vcc_lo, 1, v77
	s_cbranch_vccnz .LBB279_312
; %bb.311:
	v_lshlrev_b64 v[24:25], 1, v[38:39]
	s_delay_alu instid0(VALU_DEP_1) | instskip(NEXT) | instid1(VALU_DEP_2)
	v_add_co_u32 v24, vcc_lo, v22, v24
	v_add_co_ci_u32_e32 v25, vcc_lo, v23, v25, vcc_lo
	flat_load_u16 v24, v[24:25]
	s_waitcnt vmcnt(0) lgkmcnt(0)
	v_mul_f16_e32 v24, v48, v24
	s_branch .LBB279_313
.LBB279_312:
	v_mov_b32_e32 v24, 0
.LBB279_313:
	v_pk_add_f16 v25, v14, v4
	v_pk_max_f16 v26, v61, v61
	v_pk_add_f16 v27, v15, v5
	s_delay_alu instid0(VALU_DEP_2) | instskip(NEXT) | instid1(VALU_DEP_1)
	v_pk_min_f16 v25, v26, v25
	v_pk_min_f16 v27, v25, v27
	v_lshlrev_b64 v[25:26], 1, v[38:39]
	s_delay_alu instid0(VALU_DEP_2) | instskip(NEXT) | instid1(VALU_DEP_1)
	v_lshrrev_b32_e32 v28, 16, v27
	v_min3_f16 v27, v24, v27, v28
	s_delay_alu instid0(VALU_DEP_3) | instskip(NEXT) | instid1(VALU_DEP_4)
	v_add_co_u32 v24, vcc_lo, v20, v25
	v_add_co_ci_u32_e32 v25, vcc_lo, v21, v26, vcc_lo
	global_store_b16 v[24:25], v27, off
	s_or_b32 exec_lo, exec_lo, s14
	s_and_b32 s16, s4, s8
	s_delay_alu instid0(SALU_CYCLE_1)
	s_and_saveexec_b32 s14, s16
	s_cbranch_execz .LBB279_295
.LBB279_314:
	v_cmp_ne_u32_e32 vcc_lo, 1, v77
	s_cbranch_vccnz .LBB279_316
; %bb.315:
	v_lshlrev_b64 v[24:25], 1, v[40:41]
	s_delay_alu instid0(VALU_DEP_1) | instskip(NEXT) | instid1(VALU_DEP_2)
	v_add_co_u32 v24, vcc_lo, v22, v24
	v_add_co_ci_u32_e32 v25, vcc_lo, v23, v25, vcc_lo
	flat_load_u16 v24, v[24:25]
	s_waitcnt vmcnt(0) lgkmcnt(0)
	v_mul_f16_e32 v24, v48, v24
	s_branch .LBB279_317
.LBB279_316:
	v_mov_b32_e32 v24, 0
.LBB279_317:
	v_pk_add_f16 v25, v8, v4
	v_pk_max_f16 v26, v60, v60
	v_pk_add_f16 v27, v9, v5
	s_delay_alu instid0(VALU_DEP_2) | instskip(NEXT) | instid1(VALU_DEP_1)
	v_pk_min_f16 v25, v26, v25
	v_pk_min_f16 v27, v25, v27
	v_lshlrev_b64 v[25:26], 1, v[40:41]
	s_delay_alu instid0(VALU_DEP_2) | instskip(NEXT) | instid1(VALU_DEP_1)
	v_lshrrev_b32_e32 v28, 16, v27
	v_min3_f16 v27, v24, v27, v28
	s_delay_alu instid0(VALU_DEP_3) | instskip(NEXT) | instid1(VALU_DEP_4)
	v_add_co_u32 v24, vcc_lo, v20, v25
	v_add_co_ci_u32_e32 v25, vcc_lo, v21, v26, vcc_lo
	global_store_b16 v[24:25], v27, off
	s_or_b32 exec_lo, exec_lo, s14
	s_and_b32 s16, s5, s8
	s_delay_alu instid0(SALU_CYCLE_1)
	s_and_saveexec_b32 s14, s16
	s_cbranch_execz .LBB279_296
.LBB279_318:
	v_cmp_ne_u32_e32 vcc_lo, 1, v77
	s_cbranch_vccnz .LBB279_320
; %bb.319:
	v_lshlrev_b64 v[24:25], 1, v[42:43]
	s_delay_alu instid0(VALU_DEP_1) | instskip(NEXT) | instid1(VALU_DEP_2)
	v_add_co_u32 v24, vcc_lo, v22, v24
	v_add_co_ci_u32_e32 v25, vcc_lo, v23, v25, vcc_lo
	flat_load_u16 v24, v[24:25]
	s_waitcnt vmcnt(0) lgkmcnt(0)
	v_mul_f16_e32 v24, v48, v24
	s_branch .LBB279_321
.LBB279_320:
	v_mov_b32_e32 v24, 0
.LBB279_321:
	v_pk_add_f16 v25, v10, v4
	v_pk_max_f16 v26, v59, v59
	v_pk_add_f16 v27, v11, v5
	s_delay_alu instid0(VALU_DEP_2) | instskip(NEXT) | instid1(VALU_DEP_1)
	v_pk_min_f16 v25, v26, v25
	v_pk_min_f16 v27, v25, v27
	v_lshlrev_b64 v[25:26], 1, v[42:43]
	s_delay_alu instid0(VALU_DEP_2) | instskip(NEXT) | instid1(VALU_DEP_1)
	v_lshrrev_b32_e32 v28, 16, v27
	v_min3_f16 v27, v24, v27, v28
	s_delay_alu instid0(VALU_DEP_3) | instskip(NEXT) | instid1(VALU_DEP_4)
	v_add_co_u32 v24, vcc_lo, v20, v25
	v_add_co_ci_u32_e32 v25, vcc_lo, v21, v26, vcc_lo
	global_store_b16 v[24:25], v27, off
	s_or_b32 exec_lo, exec_lo, s14
	s_and_b32 s16, s6, s8
	s_delay_alu instid0(SALU_CYCLE_1)
	s_and_saveexec_b32 s14, s16
	s_cbranch_execz .LBB279_297
.LBB279_322:
	v_cmp_ne_u32_e32 vcc_lo, 1, v77
	s_cbranch_vccnz .LBB279_324
; %bb.323:
	v_lshlrev_b64 v[24:25], 1, v[44:45]
	s_delay_alu instid0(VALU_DEP_1) | instskip(NEXT) | instid1(VALU_DEP_2)
	v_add_co_u32 v24, vcc_lo, v22, v24
	v_add_co_ci_u32_e32 v25, vcc_lo, v23, v25, vcc_lo
	flat_load_u16 v24, v[24:25]
	s_waitcnt vmcnt(0) lgkmcnt(0)
	v_mul_f16_e32 v24, v48, v24
	s_branch .LBB279_325
.LBB279_324:
	v_mov_b32_e32 v24, 0
.LBB279_325:
	v_pk_add_f16 v25, v0, v4
	v_pk_max_f16 v26, v58, v58
	v_pk_add_f16 v27, v1, v5
	s_delay_alu instid0(VALU_DEP_2) | instskip(NEXT) | instid1(VALU_DEP_1)
	v_pk_min_f16 v25, v26, v25
	v_pk_min_f16 v27, v25, v27
	v_lshlrev_b64 v[25:26], 1, v[44:45]
	s_delay_alu instid0(VALU_DEP_2) | instskip(NEXT) | instid1(VALU_DEP_1)
	v_lshrrev_b32_e32 v28, 16, v27
	v_min3_f16 v27, v24, v27, v28
	s_delay_alu instid0(VALU_DEP_3) | instskip(NEXT) | instid1(VALU_DEP_4)
	v_add_co_u32 v24, vcc_lo, v20, v25
	v_add_co_ci_u32_e32 v25, vcc_lo, v21, v26, vcc_lo
	global_store_b16 v[24:25], v27, off
	s_or_b32 exec_lo, exec_lo, s14
	s_and_b32 s14, s7, s8
	s_delay_alu instid0(SALU_CYCLE_1)
	s_and_saveexec_b32 s8, s14
	s_cbranch_execz .LBB279_330
.LBB279_326:
	v_cmp_ne_u32_e32 vcc_lo, 1, v77
	s_cbranch_vccnz .LBB279_328
; %bb.327:
	v_lshlrev_b64 v[24:25], 1, v[46:47]
	s_delay_alu instid0(VALU_DEP_1) | instskip(NEXT) | instid1(VALU_DEP_2)
	v_add_co_u32 v22, vcc_lo, v22, v24
	v_add_co_ci_u32_e32 v23, vcc_lo, v23, v25, vcc_lo
	flat_load_u16 v22, v[22:23]
	s_waitcnt vmcnt(0) lgkmcnt(0)
	v_mul_f16_e32 v22, v48, v22
	s_branch .LBB279_329
.LBB279_328:
	v_mov_b32_e32 v22, 0
.LBB279_329:
	v_pk_add_f16 v4, v2, v4
	v_pk_max_f16 v23, v57, v57
	v_pk_add_f16 v5, v3, v5
	s_delay_alu instid0(VALU_DEP_2) | instskip(NEXT) | instid1(VALU_DEP_1)
	v_pk_min_f16 v4, v23, v4
	v_pk_min_f16 v23, v4, v5
	v_lshlrev_b64 v[4:5], 1, v[46:47]
	s_delay_alu instid0(VALU_DEP_2) | instskip(NEXT) | instid1(VALU_DEP_2)
	v_lshrrev_b32_e32 v24, 16, v23
	v_add_co_u32 v4, vcc_lo, v20, v4
	s_delay_alu instid0(VALU_DEP_3) | instskip(NEXT) | instid1(VALU_DEP_3)
	v_add_co_ci_u32_e32 v5, vcc_lo, v21, v5, vcc_lo
	v_min3_f16 v22, v22, v23, v24
	global_store_b16 v[4:5], v22, off
.LBB279_330:
	s_or_b32 exec_lo, exec_lo, s8
	v_add_nc_u32_e32 v22, 0xe0, v85
	s_delay_alu instid0(VALU_DEP_1) | instskip(SKIP_2) | instid1(VALU_DEP_3)
	v_mad_i64_i32 v[4:5], null, v22, s15, 0
	v_mad_i64_i32 v[20:21], null, v22, s9, 0
	v_cmp_gt_i32_e64 s8, s17, v22
	v_lshlrev_b64 v[4:5], 1, v[4:5]
	s_delay_alu instid0(VALU_DEP_2) | instskip(NEXT) | instid1(VALU_DEP_3)
	s_and_b32 s9, s0, s8
	v_lshlrev_b64 v[20:21], 1, v[20:21]
	s_delay_alu instid0(VALU_DEP_2) | instskip(NEXT) | instid1(VALU_DEP_3)
	v_add_co_u32 v22, vcc_lo, s12, v4
	v_add_co_ci_u32_e32 v23, vcc_lo, s13, v5, vcc_lo
	s_delay_alu instid0(VALU_DEP_3) | instskip(NEXT) | instid1(VALU_DEP_4)
	v_add_co_u32 v20, vcc_lo, s10, v20
	v_add_co_ci_u32_e32 v21, vcc_lo, s11, v21, vcc_lo
	s_and_saveexec_b32 s0, s9
	s_cbranch_execnz .LBB279_339
; %bb.331:
	s_or_b32 exec_lo, exec_lo, s0
	s_and_b32 s1, s1, s8
	s_delay_alu instid0(SALU_CYCLE_1)
	s_and_saveexec_b32 s0, s1
	s_cbranch_execnz .LBB279_343
.LBB279_332:
	s_or_b32 exec_lo, exec_lo, s0
	s_and_b32 s1, s2, s8
	s_delay_alu instid0(SALU_CYCLE_1)
	s_and_saveexec_b32 s0, s1
	s_cbranch_execnz .LBB279_347
.LBB279_333:
	s_or_b32 exec_lo, exec_lo, s0
	s_and_b32 s1, s3, s8
	s_delay_alu instid0(SALU_CYCLE_1)
	s_and_saveexec_b32 s0, s1
	s_cbranch_execnz .LBB279_351
.LBB279_334:
	s_or_b32 exec_lo, exec_lo, s0
	s_and_b32 s1, s4, s8
	s_delay_alu instid0(SALU_CYCLE_1)
	s_and_saveexec_b32 s0, s1
	s_cbranch_execnz .LBB279_355
.LBB279_335:
	s_or_b32 exec_lo, exec_lo, s0
	s_and_b32 s1, s5, s8
	s_delay_alu instid0(SALU_CYCLE_1)
	s_and_saveexec_b32 s0, s1
	s_cbranch_execnz .LBB279_359
.LBB279_336:
	s_or_b32 exec_lo, exec_lo, s0
	s_and_b32 s1, s6, s8
	s_delay_alu instid0(SALU_CYCLE_1)
	s_and_saveexec_b32 s0, s1
	s_cbranch_execnz .LBB279_363
.LBB279_337:
	s_or_b32 exec_lo, exec_lo, s0
	s_and_b32 s0, s7, s8
	s_delay_alu instid0(SALU_CYCLE_1)
	s_and_saveexec_b32 s1, s0
	s_cbranch_execnz .LBB279_367
.LBB279_338:
	s_nop 0
	s_sendmsg sendmsg(MSG_DEALLOC_VGPRS)
	s_endpgm
.LBB279_339:
	v_cmp_ne_u32_e32 vcc_lo, 1, v77
	v_lshlrev_b64 v[4:5], 1, v[32:33]
	s_cbranch_vccnz .LBB279_341
; %bb.340:
	s_delay_alu instid0(VALU_DEP_1) | instskip(NEXT) | instid1(VALU_DEP_2)
	v_add_co_u32 v24, vcc_lo, v22, v4
	v_add_co_ci_u32_e32 v25, vcc_lo, v23, v5, vcc_lo
	flat_load_u16 v24, v[24:25]
	s_waitcnt vmcnt(0) lgkmcnt(0)
	v_mul_f16_e32 v24, v48, v24
	s_branch .LBB279_342
.LBB279_341:
	v_mov_b32_e32 v24, 0
.LBB279_342:
	v_pk_add_f16 v16, v16, v6
	v_pk_max_f16 v25, v55, v55
	v_pk_add_f16 v17, v17, v7
	v_add_co_u32 v4, vcc_lo, v20, v4
	v_add_co_ci_u32_e32 v5, vcc_lo, v21, v5, vcc_lo
	s_delay_alu instid0(VALU_DEP_4) | instskip(NEXT) | instid1(VALU_DEP_1)
	v_pk_min_f16 v16, v25, v16
	v_pk_min_f16 v16, v16, v17
	s_delay_alu instid0(VALU_DEP_1) | instskip(NEXT) | instid1(VALU_DEP_1)
	v_lshrrev_b32_e32 v17, 16, v16
	v_min3_f16 v16, v24, v16, v17
	global_store_b16 v[4:5], v16, off
	s_or_b32 exec_lo, exec_lo, s0
	s_and_b32 s1, s1, s8
	s_delay_alu instid0(SALU_CYCLE_1)
	s_and_saveexec_b32 s0, s1
	s_cbranch_execz .LBB279_332
.LBB279_343:
	v_cmp_ne_u32_e32 vcc_lo, 1, v77
	v_lshlrev_b64 v[4:5], 1, v[34:35]
	s_cbranch_vccnz .LBB279_345
; %bb.344:
	s_delay_alu instid0(VALU_DEP_1) | instskip(NEXT) | instid1(VALU_DEP_2)
	v_add_co_u32 v16, vcc_lo, v22, v4
	v_add_co_ci_u32_e32 v17, vcc_lo, v23, v5, vcc_lo
	flat_load_u16 v16, v[16:17]
	s_waitcnt vmcnt(0) lgkmcnt(0)
	v_mul_f16_e32 v16, v48, v16
	s_branch .LBB279_346
.LBB279_345:
	v_mov_b32_e32 v16, 0
.LBB279_346:
	v_pk_add_f16 v17, v18, v6
	v_pk_max_f16 v18, v53, v53
	v_pk_add_f16 v19, v19, v7
	v_add_co_u32 v4, vcc_lo, v20, v4
	v_add_co_ci_u32_e32 v5, vcc_lo, v21, v5, vcc_lo
	s_delay_alu instid0(VALU_DEP_4) | instskip(NEXT) | instid1(VALU_DEP_1)
	v_pk_min_f16 v17, v18, v17
	v_pk_min_f16 v17, v17, v19
	s_delay_alu instid0(VALU_DEP_1) | instskip(NEXT) | instid1(VALU_DEP_1)
	v_lshrrev_b32_e32 v18, 16, v17
	v_min3_f16 v16, v16, v17, v18
	global_store_b16 v[4:5], v16, off
	s_or_b32 exec_lo, exec_lo, s0
	s_and_b32 s1, s2, s8
	s_delay_alu instid0(SALU_CYCLE_1)
	s_and_saveexec_b32 s0, s1
	s_cbranch_execz .LBB279_333
.LBB279_347:
	v_cmp_ne_u32_e32 vcc_lo, 1, v77
	v_lshlrev_b64 v[4:5], 1, v[36:37]
	s_cbranch_vccnz .LBB279_349
; %bb.348:
	s_delay_alu instid0(VALU_DEP_1) | instskip(NEXT) | instid1(VALU_DEP_2)
	v_add_co_u32 v16, vcc_lo, v22, v4
	v_add_co_ci_u32_e32 v17, vcc_lo, v23, v5, vcc_lo
	flat_load_u16 v16, v[16:17]
	s_waitcnt vmcnt(0) lgkmcnt(0)
	v_mul_f16_e32 v16, v48, v16
	s_branch .LBB279_350
.LBB279_349:
	v_mov_b32_e32 v16, 0
.LBB279_350:
	v_pk_add_f16 v12, v12, v6
	v_pk_max_f16 v17, v51, v51
	v_pk_add_f16 v13, v13, v7
	v_add_co_u32 v4, vcc_lo, v20, v4
	v_add_co_ci_u32_e32 v5, vcc_lo, v21, v5, vcc_lo
	s_delay_alu instid0(VALU_DEP_4) | instskip(NEXT) | instid1(VALU_DEP_1)
	v_pk_min_f16 v12, v17, v12
	v_pk_min_f16 v12, v12, v13
	s_delay_alu instid0(VALU_DEP_1) | instskip(NEXT) | instid1(VALU_DEP_1)
	v_lshrrev_b32_e32 v13, 16, v12
	v_min3_f16 v12, v16, v12, v13
	global_store_b16 v[4:5], v12, off
	s_or_b32 exec_lo, exec_lo, s0
	s_and_b32 s1, s3, s8
	s_delay_alu instid0(SALU_CYCLE_1)
	s_and_saveexec_b32 s0, s1
	s_cbranch_execz .LBB279_334
.LBB279_351:
	v_cmp_ne_u32_e32 vcc_lo, 1, v77
	v_lshlrev_b64 v[4:5], 1, v[38:39]
	s_cbranch_vccnz .LBB279_353
; %bb.352:
	s_delay_alu instid0(VALU_DEP_1) | instskip(NEXT) | instid1(VALU_DEP_2)
	v_add_co_u32 v12, vcc_lo, v22, v4
	v_add_co_ci_u32_e32 v13, vcc_lo, v23, v5, vcc_lo
	flat_load_u16 v12, v[12:13]
	s_waitcnt vmcnt(0) lgkmcnt(0)
	v_mul_f16_e32 v12, v48, v12
	s_branch .LBB279_354
.LBB279_353:
	v_mov_b32_e32 v12, 0
.LBB279_354:
	v_pk_add_f16 v13, v14, v6
	v_pk_max_f16 v14, v56, v56
	v_pk_add_f16 v15, v15, v7
	v_add_co_u32 v4, vcc_lo, v20, v4
	v_add_co_ci_u32_e32 v5, vcc_lo, v21, v5, vcc_lo
	s_delay_alu instid0(VALU_DEP_4) | instskip(NEXT) | instid1(VALU_DEP_1)
	v_pk_min_f16 v13, v14, v13
	v_pk_min_f16 v13, v13, v15
	s_delay_alu instid0(VALU_DEP_1) | instskip(NEXT) | instid1(VALU_DEP_1)
	v_lshrrev_b32_e32 v14, 16, v13
	v_min3_f16 v12, v12, v13, v14
	global_store_b16 v[4:5], v12, off
	s_or_b32 exec_lo, exec_lo, s0
	s_and_b32 s1, s4, s8
	s_delay_alu instid0(SALU_CYCLE_1)
	s_and_saveexec_b32 s0, s1
	s_cbranch_execz .LBB279_335
.LBB279_355:
	v_cmp_ne_u32_e32 vcc_lo, 1, v77
	v_lshlrev_b64 v[4:5], 1, v[40:41]
	s_cbranch_vccnz .LBB279_357
; %bb.356:
	s_delay_alu instid0(VALU_DEP_1) | instskip(NEXT) | instid1(VALU_DEP_2)
	v_add_co_u32 v12, vcc_lo, v22, v4
	v_add_co_ci_u32_e32 v13, vcc_lo, v23, v5, vcc_lo
	flat_load_u16 v12, v[12:13]
	s_waitcnt vmcnt(0) lgkmcnt(0)
	v_mul_f16_e32 v12, v48, v12
	s_branch .LBB279_358
.LBB279_357:
	v_mov_b32_e32 v12, 0
.LBB279_358:
	v_pk_add_f16 v8, v8, v6
	v_pk_max_f16 v13, v54, v54
	v_pk_add_f16 v9, v9, v7
	v_add_co_u32 v4, vcc_lo, v20, v4
	v_add_co_ci_u32_e32 v5, vcc_lo, v21, v5, vcc_lo
	s_delay_alu instid0(VALU_DEP_4) | instskip(NEXT) | instid1(VALU_DEP_1)
	v_pk_min_f16 v8, v13, v8
	v_pk_min_f16 v8, v8, v9
	s_delay_alu instid0(VALU_DEP_1) | instskip(NEXT) | instid1(VALU_DEP_1)
	v_lshrrev_b32_e32 v9, 16, v8
	v_min3_f16 v8, v12, v8, v9
	global_store_b16 v[4:5], v8, off
	s_or_b32 exec_lo, exec_lo, s0
	s_and_b32 s1, s5, s8
	s_delay_alu instid0(SALU_CYCLE_1)
	s_and_saveexec_b32 s0, s1
	s_cbranch_execz .LBB279_336
.LBB279_359:
	v_cmp_ne_u32_e32 vcc_lo, 1, v77
	v_lshlrev_b64 v[4:5], 1, v[42:43]
	s_cbranch_vccnz .LBB279_361
; %bb.360:
	s_delay_alu instid0(VALU_DEP_1) | instskip(NEXT) | instid1(VALU_DEP_2)
	v_add_co_u32 v8, vcc_lo, v22, v4
	v_add_co_ci_u32_e32 v9, vcc_lo, v23, v5, vcc_lo
	flat_load_u16 v8, v[8:9]
	s_waitcnt vmcnt(0) lgkmcnt(0)
	v_mul_f16_e32 v8, v48, v8
	s_branch .LBB279_362
.LBB279_361:
	v_mov_b32_e32 v8, 0
.LBB279_362:
	v_pk_add_f16 v9, v10, v6
	v_pk_max_f16 v10, v52, v52
	v_pk_add_f16 v11, v11, v7
	v_add_co_u32 v4, vcc_lo, v20, v4
	v_add_co_ci_u32_e32 v5, vcc_lo, v21, v5, vcc_lo
	s_delay_alu instid0(VALU_DEP_4) | instskip(NEXT) | instid1(VALU_DEP_1)
	v_pk_min_f16 v9, v10, v9
	v_pk_min_f16 v9, v9, v11
	s_delay_alu instid0(VALU_DEP_1) | instskip(NEXT) | instid1(VALU_DEP_1)
	v_lshrrev_b32_e32 v10, 16, v9
	v_min3_f16 v8, v8, v9, v10
	global_store_b16 v[4:5], v8, off
	s_or_b32 exec_lo, exec_lo, s0
	s_and_b32 s1, s6, s8
	s_delay_alu instid0(SALU_CYCLE_1)
	s_and_saveexec_b32 s0, s1
	s_cbranch_execz .LBB279_337
.LBB279_363:
	v_cmp_ne_u32_e32 vcc_lo, 1, v77
	v_lshlrev_b64 v[4:5], 1, v[44:45]
	s_cbranch_vccnz .LBB279_365
; %bb.364:
	s_delay_alu instid0(VALU_DEP_1) | instskip(NEXT) | instid1(VALU_DEP_2)
	v_add_co_u32 v8, vcc_lo, v22, v4
	v_add_co_ci_u32_e32 v9, vcc_lo, v23, v5, vcc_lo
	flat_load_u16 v8, v[8:9]
	s_waitcnt vmcnt(0) lgkmcnt(0)
	v_mul_f16_e32 v8, v48, v8
	s_branch .LBB279_366
.LBB279_365:
	v_mov_b32_e32 v8, 0
.LBB279_366:
	v_pk_add_f16 v0, v0, v6
	v_pk_max_f16 v9, v50, v50
	v_pk_add_f16 v1, v1, v7
	s_delay_alu instid0(VALU_DEP_2) | instskip(NEXT) | instid1(VALU_DEP_1)
	v_pk_min_f16 v0, v9, v0
	v_pk_min_f16 v0, v0, v1
	s_delay_alu instid0(VALU_DEP_1) | instskip(NEXT) | instid1(VALU_DEP_1)
	v_lshrrev_b32_e32 v1, 16, v0
	v_min3_f16 v8, v8, v0, v1
	v_add_co_u32 v0, vcc_lo, v20, v4
	v_add_co_ci_u32_e32 v1, vcc_lo, v21, v5, vcc_lo
	global_store_b16 v[0:1], v8, off
	s_or_b32 exec_lo, exec_lo, s0
	s_and_b32 s0, s7, s8
	s_delay_alu instid0(SALU_CYCLE_1)
	s_and_saveexec_b32 s1, s0
	s_cbranch_execz .LBB279_338
.LBB279_367:
	v_cmp_ne_u32_e32 vcc_lo, 1, v77
	v_lshlrev_b64 v[0:1], 1, v[46:47]
	s_cbranch_vccnz .LBB279_369
; %bb.368:
	s_delay_alu instid0(VALU_DEP_1) | instskip(NEXT) | instid1(VALU_DEP_2)
	v_add_co_u32 v4, vcc_lo, v22, v0
	v_add_co_ci_u32_e32 v5, vcc_lo, v23, v1, vcc_lo
	flat_load_u16 v4, v[4:5]
	s_waitcnt vmcnt(0) lgkmcnt(0)
	v_mul_f16_e32 v4, v48, v4
	s_branch .LBB279_370
.LBB279_369:
	v_mov_b32_e32 v4, 0
.LBB279_370:
	v_pk_add_f16 v2, v2, v6
	v_pk_max_f16 v5, v49, v49
	v_pk_add_f16 v3, v3, v7
	v_add_co_u32 v0, vcc_lo, v20, v0
	v_add_co_ci_u32_e32 v1, vcc_lo, v21, v1, vcc_lo
	s_delay_alu instid0(VALU_DEP_4) | instskip(NEXT) | instid1(VALU_DEP_1)
	v_pk_min_f16 v2, v5, v2
	v_pk_min_f16 v2, v2, v3
	s_delay_alu instid0(VALU_DEP_1) | instskip(NEXT) | instid1(VALU_DEP_1)
	v_lshrrev_b32_e32 v3, 16, v2
	v_min3_f16 v2, v4, v2, v3
	global_store_b16 v[0:1], v2, off
	s_nop 0
	s_sendmsg sendmsg(MSG_DEALLOC_VGPRS)
	s_endpgm
	.section	.rodata,"a",@progbits
	.p2align	6, 0x0
	.amdhsa_kernel _ZN12_GLOBAL__N_120geam_min_plus_kernelIDF16_Dv2_DF16_S1_Li8ELi32ELi64ELi256ELi4ELi4ELi64ELi64ELi4ELc84ELc84ELb0ELb1ELb1EPKDF16_S2_DF16_EEviiiT16_PT17_ilS6_ilS4_S6_ilPT18_ili26rocblas_geam_ex_operation_
		.amdhsa_group_segment_fixed_size 5120
		.amdhsa_private_segment_fixed_size 0
		.amdhsa_kernarg_size 136
		.amdhsa_user_sgpr_count 14
		.amdhsa_user_sgpr_dispatch_ptr 0
		.amdhsa_user_sgpr_queue_ptr 0
		.amdhsa_user_sgpr_kernarg_segment_ptr 1
		.amdhsa_user_sgpr_dispatch_id 0
		.amdhsa_user_sgpr_private_segment_size 0
		.amdhsa_wavefront_size32 1
		.amdhsa_uses_dynamic_stack 0
		.amdhsa_enable_private_segment 0
		.amdhsa_system_sgpr_workgroup_id_x 1
		.amdhsa_system_sgpr_workgroup_id_y 0
		.amdhsa_system_sgpr_workgroup_id_z 1
		.amdhsa_system_sgpr_workgroup_info 0
		.amdhsa_system_vgpr_workitem_id 1
		.amdhsa_next_free_vgpr 156
		.amdhsa_next_free_sgpr 28
		.amdhsa_reserve_vcc 1
		.amdhsa_float_round_mode_32 0
		.amdhsa_float_round_mode_16_64 0
		.amdhsa_float_denorm_mode_32 3
		.amdhsa_float_denorm_mode_16_64 3
		.amdhsa_dx10_clamp 1
		.amdhsa_ieee_mode 1
		.amdhsa_fp16_overflow 0
		.amdhsa_workgroup_processor_mode 1
		.amdhsa_memory_ordered 1
		.amdhsa_forward_progress 0
		.amdhsa_shared_vgpr_count 0
		.amdhsa_exception_fp_ieee_invalid_op 0
		.amdhsa_exception_fp_denorm_src 0
		.amdhsa_exception_fp_ieee_div_zero 0
		.amdhsa_exception_fp_ieee_overflow 0
		.amdhsa_exception_fp_ieee_underflow 0
		.amdhsa_exception_fp_ieee_inexact 0
		.amdhsa_exception_int_div_zero 0
	.end_amdhsa_kernel
	.section	.text._ZN12_GLOBAL__N_120geam_min_plus_kernelIDF16_Dv2_DF16_S1_Li8ELi32ELi64ELi256ELi4ELi4ELi64ELi64ELi4ELc84ELc84ELb0ELb1ELb1EPKDF16_S2_DF16_EEviiiT16_PT17_ilS6_ilS4_S6_ilPT18_ili26rocblas_geam_ex_operation_,"axG",@progbits,_ZN12_GLOBAL__N_120geam_min_plus_kernelIDF16_Dv2_DF16_S1_Li8ELi32ELi64ELi256ELi4ELi4ELi64ELi64ELi4ELc84ELc84ELb0ELb1ELb1EPKDF16_S2_DF16_EEviiiT16_PT17_ilS6_ilS4_S6_ilPT18_ili26rocblas_geam_ex_operation_,comdat
.Lfunc_end279:
	.size	_ZN12_GLOBAL__N_120geam_min_plus_kernelIDF16_Dv2_DF16_S1_Li8ELi32ELi64ELi256ELi4ELi4ELi64ELi64ELi4ELc84ELc84ELb0ELb1ELb1EPKDF16_S2_DF16_EEviiiT16_PT17_ilS6_ilS4_S6_ilPT18_ili26rocblas_geam_ex_operation_, .Lfunc_end279-_ZN12_GLOBAL__N_120geam_min_plus_kernelIDF16_Dv2_DF16_S1_Li8ELi32ELi64ELi256ELi4ELi4ELi64ELi64ELi4ELc84ELc84ELb0ELb1ELb1EPKDF16_S2_DF16_EEviiiT16_PT17_ilS6_ilS4_S6_ilPT18_ili26rocblas_geam_ex_operation_
                                        ; -- End function
	.section	.AMDGPU.csdata,"",@progbits
; Kernel info:
; codeLenInByte = 23436
; NumSgprs: 30
; NumVgprs: 156
; ScratchSize: 0
; MemoryBound: 0
; FloatMode: 240
; IeeeMode: 1
; LDSByteSize: 5120 bytes/workgroup (compile time only)
; SGPRBlocks: 3
; VGPRBlocks: 19
; NumSGPRsForWavesPerEU: 30
; NumVGPRsForWavesPerEU: 156
; Occupancy: 9
; WaveLimiterHint : 0
; COMPUTE_PGM_RSRC2:SCRATCH_EN: 0
; COMPUTE_PGM_RSRC2:USER_SGPR: 14
; COMPUTE_PGM_RSRC2:TRAP_HANDLER: 0
; COMPUTE_PGM_RSRC2:TGID_X_EN: 1
; COMPUTE_PGM_RSRC2:TGID_Y_EN: 0
; COMPUTE_PGM_RSRC2:TGID_Z_EN: 1
; COMPUTE_PGM_RSRC2:TIDIG_COMP_CNT: 1
	.section	.text._ZN12_GLOBAL__N_120geam_min_plus_kernelIDF16_Dv2_DF16_S1_Li8ELi32ELi64ELi256ELi4ELi4ELi64ELi64ELi4ELc84ELc84ELb1ELb1ELb1EDF16_KDF16_DF16_EEviiiT16_PT17_ilS5_ilS3_S5_ilPT18_ili26rocblas_geam_ex_operation_,"axG",@progbits,_ZN12_GLOBAL__N_120geam_min_plus_kernelIDF16_Dv2_DF16_S1_Li8ELi32ELi64ELi256ELi4ELi4ELi64ELi64ELi4ELc84ELc84ELb1ELb1ELb1EDF16_KDF16_DF16_EEviiiT16_PT17_ilS5_ilS3_S5_ilPT18_ili26rocblas_geam_ex_operation_,comdat
	.globl	_ZN12_GLOBAL__N_120geam_min_plus_kernelIDF16_Dv2_DF16_S1_Li8ELi32ELi64ELi256ELi4ELi4ELi64ELi64ELi4ELc84ELc84ELb1ELb1ELb1EDF16_KDF16_DF16_EEviiiT16_PT17_ilS5_ilS3_S5_ilPT18_ili26rocblas_geam_ex_operation_ ; -- Begin function _ZN12_GLOBAL__N_120geam_min_plus_kernelIDF16_Dv2_DF16_S1_Li8ELi32ELi64ELi256ELi4ELi4ELi64ELi64ELi4ELc84ELc84ELb1ELb1ELb1EDF16_KDF16_DF16_EEviiiT16_PT17_ilS5_ilS3_S5_ilPT18_ili26rocblas_geam_ex_operation_
	.p2align	8
	.type	_ZN12_GLOBAL__N_120geam_min_plus_kernelIDF16_Dv2_DF16_S1_Li8ELi32ELi64ELi256ELi4ELi4ELi64ELi64ELi4ELc84ELc84ELb1ELb1ELb1EDF16_KDF16_DF16_EEviiiT16_PT17_ilS5_ilS3_S5_ilPT18_ili26rocblas_geam_ex_operation_,@function
_ZN12_GLOBAL__N_120geam_min_plus_kernelIDF16_Dv2_DF16_S1_Li8ELi32ELi64ELi256ELi4ELi4ELi64ELi64ELi4ELc84ELc84ELb1ELb1ELb1EDF16_KDF16_DF16_EEviiiT16_PT17_ilS5_ilS3_S5_ilPT18_ili26rocblas_geam_ex_operation_: ; @_ZN12_GLOBAL__N_120geam_min_plus_kernelIDF16_Dv2_DF16_S1_Li8ELi32ELi64ELi256ELi4ELi4ELi64ELi64ELi4ELc84ELc84ELb1ELb1ELb1EDF16_KDF16_DF16_EEviiiT16_PT17_ilS5_ilS3_S5_ilPT18_ili26rocblas_geam_ex_operation_
; %bb.0:
	s_clause 0x1
	s_load_b128 s[16:19], s[0:1], 0x0
	s_load_b128 s[4:7], s[0:1], 0x20
	s_waitcnt lgkmcnt(0)
	v_cmp_eq_f16_e64 s2, s19, 0
	s_delay_alu instid0(VALU_DEP_1)
	s_and_b32 vcc_lo, exec_lo, s2
	s_cbranch_vccnz .LBB280_3
; %bb.1:
	s_load_b64 s[8:9], s[0:1], 0x10
	s_mul_i32 s3, s15, s5
	s_mul_hi_u32 s5, s15, s4
	s_mul_i32 s4, s15, s4
	s_add_i32 s5, s5, s3
	s_delay_alu instid0(SALU_CYCLE_1)
	s_lshl_b64 s[4:5], s[4:5], 1
	s_waitcnt lgkmcnt(0)
	s_add_u32 s20, s8, s4
	s_addc_u32 s21, s9, s5
	s_and_not1_b32 vcc_lo, exec_lo, s2
	s_cbranch_vccnz .LBB280_4
.LBB280_2:
	s_mov_b32 s24, 0
	s_mov_b64 s[22:23], 0
	s_cbranch_execz .LBB280_5
	s_branch .LBB280_6
.LBB280_3:
	s_mov_b64 s[20:21], 0
	s_and_not1_b32 vcc_lo, exec_lo, s2
	s_cbranch_vccz .LBB280_2
.LBB280_4:
	s_mov_b32 s24, -1
                                        ; implicit-def: $sgpr22_sgpr23
.LBB280_5:
	s_load_b64 s[2:3], s[0:1], 0x38
	s_mov_b32 s24, 0
	s_waitcnt lgkmcnt(0)
	s_mul_i32 s3, s15, s3
	s_mul_hi_u32 s4, s15, s2
	s_mul_i32 s2, s15, s2
	s_add_i32 s3, s4, s3
	s_delay_alu instid0(SALU_CYCLE_1) | instskip(NEXT) | instid1(SALU_CYCLE_1)
	s_lshl_b64 s[2:3], s[2:3], 1
	s_add_u32 s22, s6, s2
	s_addc_u32 s23, s7, s3
.LBB280_6:
	s_clause 0x1
	s_load_b32 s19, s[0:1], 0x40
	s_load_b128 s[8:11], s[0:1], 0x58
	s_waitcnt lgkmcnt(0)
	v_cmp_eq_f16_e64 s2, s19, 0
	v_cmp_neq_f16_e64 s7, s19, 0
	s_delay_alu instid0(VALU_DEP_2)
	s_and_b32 vcc_lo, exec_lo, s2
	s_cbranch_vccnz .LBB280_8
; %bb.7:
	s_load_b64 s[2:3], s[0:1], 0x48
	s_mul_i32 s4, s15, s9
	s_mul_hi_u32 s5, s15, s8
	s_delay_alu instid0(SALU_CYCLE_1) | instskip(SKIP_1) | instid1(SALU_CYCLE_1)
	s_add_i32 s4, s5, s4
	s_mul_i32 s5, s24, s8
	s_add_i32 s5, s4, s5
	s_mul_i32 s4, s15, s8
	s_delay_alu instid0(SALU_CYCLE_1)
	s_lshl_b64 s[4:5], s[4:5], 1
	s_waitcnt lgkmcnt(0)
	s_add_u32 s12, s2, s4
	s_addc_u32 s13, s3, s5
	s_branch .LBB280_9
.LBB280_8:
	s_mov_b64 s[12:13], 0
.LBB280_9:
	s_add_i32 s2, s16, -1
	v_and_b32_e32 v38, 0x3ff, v0
	s_ashr_i32 s3, s2, 31
	v_bfe_u32 v39, v0, 10, 10
	s_lshr_b32 s3, s3, 26
	s_load_b32 s28, s[0:1], 0x18
	s_add_i32 s2, s2, s3
	v_and_b32_e32 v40, 3, v38
	s_ashr_i32 s2, s2, 6
	v_lshl_add_u32 v2, v39, 3, v38
	s_add_i32 s4, s2, 1
	s_not_b32 s2, s2
	v_cvt_f32_u32_e32 v1, s4
	v_mov_b32_e32 v0, 0x7c00
	v_lshrrev_b32_e32 v23, 2, v2
	s_delay_alu instid0(VALU_DEP_3) | instskip(SKIP_2) | instid1(VALU_DEP_1)
	v_rcp_iflag_f32_e32 v1, v1
	s_waitcnt_depctr 0xfff
	v_mul_f32_e32 v1, 0x4f7ffffe, v1
	v_cvt_u32_f32_e32 v1, v1
	s_delay_alu instid0(VALU_DEP_1) | instskip(SKIP_1) | instid1(VALU_DEP_2)
	v_readfirstlane_b32 s3, v1
	v_dual_mov_b32 v1, 0x7c00 :: v_dual_lshlrev_b32 v22, 1, v40
	s_mul_i32 s2, s2, s3
	s_delay_alu instid0(SALU_CYCLE_1) | instskip(NEXT) | instid1(SALU_CYCLE_1)
	s_mul_hi_u32 s2, s3, s2
	s_add_i32 s3, s3, s2
	s_delay_alu instid0(SALU_CYCLE_1) | instskip(NEXT) | instid1(SALU_CYCLE_1)
	s_mul_hi_u32 s2, s14, s3
	s_mul_i32 s3, s2, s4
	s_add_i32 s5, s2, 1
	s_sub_i32 s3, s14, s3
	s_delay_alu instid0(SALU_CYCLE_1)
	s_sub_i32 s6, s3, s4
	s_cmp_ge_u32 s3, s4
	s_cselect_b32 s2, s5, s2
	s_cselect_b32 s3, s6, s3
	s_add_i32 s5, s2, 1
	s_cmp_ge_u32 s3, s4
	s_cselect_b32 s3, s5, s2
	s_delay_alu instid0(SALU_CYCLE_1) | instskip(NEXT) | instid1(SALU_CYCLE_1)
	s_mul_i32 s29, s3, s4
	s_sub_i32 s2, s14, s29
	s_delay_alu instid0(SALU_CYCLE_1) | instskip(SKIP_2) | instid1(VALU_DEP_1)
	s_lshl_b32 s25, s2, 6
	v_cmp_gt_i32_e64 s2, s18, v40
	v_add_nc_u32_e32 v6, s25, v23
	v_cmp_le_i32_e32 vcc_lo, s16, v6
	s_xor_b32 s27, vcc_lo, -1
	s_delay_alu instid0(VALU_DEP_3) | instid1(SALU_CYCLE_1)
	s_and_b32 s4, s2, s27
	s_delay_alu instid0(SALU_CYCLE_1)
	s_and_saveexec_b32 s2, s4
	s_cbranch_execz .LBB280_11
; %bb.10:
	s_waitcnt lgkmcnt(0)
	v_mad_i64_i32 v[3:4], null, v6, s28, 0
	s_delay_alu instid0(VALU_DEP_1) | instskip(NEXT) | instid1(VALU_DEP_1)
	v_lshlrev_b64 v[3:4], 1, v[3:4]
	v_add_co_u32 v1, vcc_lo, s20, v3
	s_delay_alu instid0(VALU_DEP_2) | instskip(NEXT) | instid1(VALU_DEP_2)
	v_add_co_ci_u32_e32 v4, vcc_lo, s21, v4, vcc_lo
	v_add_co_u32 v3, vcc_lo, v1, v22
	s_delay_alu instid0(VALU_DEP_2)
	v_add_co_ci_u32_e32 v4, vcc_lo, 0, v4, vcc_lo
	flat_load_u16 v1, v[3:4]
.LBB280_11:
	s_or_b32 exec_lo, exec_lo, s2
	s_load_b32 s8, s[0:1], 0x30
	v_lshrrev_b32_e32 v41, 6, v2
	v_and_b32_e32 v2, 63, v2
	s_lshl_b32 s26, s3, 8
	s_delay_alu instid0(VALU_DEP_2) | instskip(NEXT) | instid1(VALU_DEP_2)
	v_cmp_le_i32_e64 s5, s18, v41
	v_or_b32_e32 v20, s26, v2
	s_delay_alu instid0(VALU_DEP_1) | instskip(SKIP_3) | instid1(VALU_DEP_1)
	v_cmp_le_i32_e32 vcc_lo, s17, v20
	v_ashrrev_i32_e32 v21, 31, v20
	s_waitcnt lgkmcnt(0)
	v_mad_i64_i32 v[3:4], null, s8, v41, 0
	v_lshlrev_b64 v[3:4], 1, v[3:4]
	s_delay_alu instid0(VALU_DEP_1) | instskip(NEXT) | instid1(VALU_DEP_1)
	v_add_co_u32 v7, s2, s22, v3
	v_add_co_ci_u32_e64 v8, s2, s23, v4, s2
	s_or_b32 s2, vcc_lo, s5
	s_delay_alu instid0(SALU_CYCLE_1) | instskip(NEXT) | instid1(SALU_CYCLE_1)
	s_xor_b32 s2, s2, -1
	s_and_saveexec_b32 s3, s2
	s_cbranch_execz .LBB280_13
; %bb.12:
	v_lshlrev_b64 v[3:4], 1, v[20:21]
	s_delay_alu instid0(VALU_DEP_1) | instskip(NEXT) | instid1(VALU_DEP_1)
	v_add_co_u32 v3, s2, v7, v3
	v_add_co_ci_u32_e64 v4, s2, v8, v4, s2
	flat_load_u16 v0, v[3:4]
.LBB280_13:
	s_or_b32 exec_lo, exec_lo, s3
	v_or_b32_e32 v3, 64, v20
	v_mov_b32_e32 v4, 0x7c00
	s_delay_alu instid0(VALU_DEP_2) | instskip(SKIP_1) | instid1(VALU_DEP_2)
	v_cmp_le_i32_e64 s2, s17, v3
	v_mov_b32_e32 v3, 0x7c00
	s_or_b32 s3, s2, s5
	s_delay_alu instid0(SALU_CYCLE_1) | instskip(NEXT) | instid1(SALU_CYCLE_1)
	s_xor_b32 s3, s3, -1
	s_and_saveexec_b32 s4, s3
	s_cbranch_execz .LBB280_15
; %bb.14:
	v_lshlrev_b64 v[4:5], 1, v[20:21]
	s_delay_alu instid0(VALU_DEP_1) | instskip(NEXT) | instid1(VALU_DEP_1)
	v_add_co_u32 v4, s3, v7, v4
	v_add_co_ci_u32_e64 v5, s3, v8, v5, s3
	flat_load_u16 v4, v[4:5] offset:128
.LBB280_15:
	s_or_b32 exec_lo, exec_lo, s4
	v_or_b32_e32 v5, 0x80, v20
	s_ashr_i32 s9, s8, 31
	s_delay_alu instid0(VALU_DEP_1) | instskip(NEXT) | instid1(VALU_DEP_1)
	v_cmp_le_i32_e64 s3, s17, v5
	s_or_b32 s4, s3, s5
	s_delay_alu instid0(SALU_CYCLE_1) | instskip(NEXT) | instid1(SALU_CYCLE_1)
	s_xor_b32 s4, s4, -1
	s_and_saveexec_b32 s6, s4
	s_cbranch_execz .LBB280_17
; %bb.16:
	v_lshlrev_b64 v[9:10], 1, v[20:21]
	s_delay_alu instid0(VALU_DEP_1) | instskip(NEXT) | instid1(VALU_DEP_1)
	v_add_co_u32 v9, s4, v7, v9
	v_add_co_ci_u32_e64 v10, s4, v8, v10, s4
	flat_load_u16 v3, v[9:10] offset:256
.LBB280_17:
	s_or_b32 exec_lo, exec_lo, s6
	v_or_b32_e32 v5, 0xc0, v20
	v_mov_b32_e32 v24, 0x7c00
	s_delay_alu instid0(VALU_DEP_2) | instskip(SKIP_1) | instid1(VALU_DEP_2)
	v_cmp_le_i32_e64 s4, s17, v5
	v_mov_b32_e32 v5, 0x7c00
	s_or_b32 s5, s4, s5
	s_delay_alu instid0(SALU_CYCLE_1) | instskip(NEXT) | instid1(SALU_CYCLE_1)
	s_xor_b32 s5, s5, -1
	s_and_saveexec_b32 s6, s5
	s_cbranch_execz .LBB280_19
; %bb.18:
	v_lshlrev_b64 v[9:10], 1, v[20:21]
	s_delay_alu instid0(VALU_DEP_1) | instskip(NEXT) | instid1(VALU_DEP_1)
	v_add_co_u32 v7, s5, v7, v9
	v_add_co_ci_u32_e64 v8, s5, v8, v10, s5
	flat_load_u16 v5, v[7:8] offset:384
.LBB280_19:
	s_or_b32 exec_lo, exec_lo, s6
	v_or_b32_e32 v7, 4, v40
	s_delay_alu instid0(VALU_DEP_1) | instskip(NEXT) | instid1(VALU_DEP_1)
	v_cmp_gt_i32_e64 s5, s18, v7
	s_and_b32 s5, s5, s27
	s_delay_alu instid0(SALU_CYCLE_1)
	s_and_saveexec_b32 s6, s5
	s_cbranch_execz .LBB280_21
; %bb.20:
	v_mad_i64_i32 v[7:8], null, v6, s28, 0
	s_delay_alu instid0(VALU_DEP_1) | instskip(NEXT) | instid1(VALU_DEP_1)
	v_lshlrev_b64 v[6:7], 1, v[7:8]
	v_add_co_u32 v6, s5, s20, v6
	s_delay_alu instid0(VALU_DEP_1) | instskip(NEXT) | instid1(VALU_DEP_2)
	v_add_co_ci_u32_e64 v7, s5, s21, v7, s5
	v_add_co_u32 v6, s5, v6, v22
	s_delay_alu instid0(VALU_DEP_1)
	v_add_co_ci_u32_e64 v7, s5, 0, v7, s5
	flat_load_u16 v24, v[6:7] offset:8
.LBB280_21:
	s_or_b32 exec_lo, exec_lo, s6
	v_dual_mov_b32 v25, 0x7c00 :: v_dual_add_nc_u32 v8, 4, v41
	v_mov_b32_e32 v26, 0x7c00
	s_delay_alu instid0(VALU_DEP_2) | instskip(SKIP_1) | instid1(VALU_DEP_2)
	v_mad_i64_i32 v[6:7], null, s8, v8, 0
	v_cmp_le_i32_e64 s5, s18, v8
	v_lshlrev_b64 v[6:7], 1, v[6:7]
	s_delay_alu instid0(VALU_DEP_1) | instskip(NEXT) | instid1(VALU_DEP_1)
	v_add_co_u32 v6, s6, s22, v6
	v_add_co_ci_u32_e64 v7, s6, s23, v7, s6
	s_delay_alu instid0(VALU_DEP_4) | instskip(NEXT) | instid1(SALU_CYCLE_1)
	s_or_b32 s6, vcc_lo, s5
	s_xor_b32 s6, s6, -1
	s_delay_alu instid0(SALU_CYCLE_1)
	s_and_saveexec_b32 s30, s6
	s_cbranch_execz .LBB280_23
; %bb.22:
	v_lshlrev_b64 v[8:9], 1, v[20:21]
	s_delay_alu instid0(VALU_DEP_1) | instskip(NEXT) | instid1(VALU_DEP_1)
	v_add_co_u32 v8, s6, v6, v8
	v_add_co_ci_u32_e64 v9, s6, v7, v9, s6
	flat_load_u16 v26, v[8:9]
.LBB280_23:
	s_or_b32 exec_lo, exec_lo, s30
	s_or_b32 s6, s2, s5
	s_delay_alu instid0(SALU_CYCLE_1) | instskip(NEXT) | instid1(SALU_CYCLE_1)
	s_xor_b32 s6, s6, -1
	s_and_saveexec_b32 s30, s6
	s_cbranch_execz .LBB280_25
; %bb.24:
	v_lshlrev_b64 v[8:9], 1, v[20:21]
	s_delay_alu instid0(VALU_DEP_1) | instskip(NEXT) | instid1(VALU_DEP_1)
	v_add_co_u32 v8, s6, v6, v8
	v_add_co_ci_u32_e64 v9, s6, v7, v9, s6
	flat_load_u16 v25, v[8:9] offset:128
.LBB280_25:
	s_or_b32 exec_lo, exec_lo, s30
	v_dual_mov_b32 v27, 0x7c00 :: v_dual_mov_b32 v28, 0x7c00
	s_or_b32 s6, s3, s5
	s_delay_alu instid0(SALU_CYCLE_1) | instskip(NEXT) | instid1(SALU_CYCLE_1)
	s_xor_b32 s6, s6, -1
	s_and_saveexec_b32 s30, s6
	s_cbranch_execz .LBB280_27
; %bb.26:
	v_lshlrev_b64 v[8:9], 1, v[20:21]
	s_delay_alu instid0(VALU_DEP_1) | instskip(NEXT) | instid1(VALU_DEP_1)
	v_add_co_u32 v8, s6, v6, v8
	v_add_co_ci_u32_e64 v9, s6, v7, v9, s6
	flat_load_u16 v28, v[8:9] offset:256
.LBB280_27:
	s_or_b32 exec_lo, exec_lo, s30
	s_or_b32 s5, s4, s5
	s_delay_alu instid0(SALU_CYCLE_1) | instskip(NEXT) | instid1(SALU_CYCLE_1)
	s_xor_b32 s5, s5, -1
	s_and_saveexec_b32 s6, s5
	s_cbranch_execz .LBB280_29
; %bb.28:
	v_lshlrev_b64 v[8:9], 1, v[20:21]
	s_delay_alu instid0(VALU_DEP_1) | instskip(NEXT) | instid1(VALU_DEP_1)
	v_add_co_u32 v6, s5, v6, v8
	v_add_co_ci_u32_e64 v7, s5, v7, v9, s5
	flat_load_u16 v27, v[6:7] offset:384
.LBB280_29:
	s_or_b32 exec_lo, exec_lo, s6
	v_lshlrev_b32_e32 v6, 1, v41
	v_lshlrev_b32_e32 v42, 3, v38
	;; [unrolled: 1-line block ×3, first 2 shown]
	v_lshl_or_b32 v29, v23, 3, v22
	s_cmp_lt_i32 s18, 9
	v_lshl_add_u32 v44, v2, 3, v6
	v_add_nc_u32_e32 v2, 0x1000, v42
	s_waitcnt vmcnt(0) lgkmcnt(0)
	ds_store_b16 v44, v0
	ds_store_b16 v44, v4 offset:512
	ds_store_b16 v44, v3 offset:1024
	;; [unrolled: 1-line block ×4, first 2 shown]
	s_waitcnt lgkmcnt(0)
	s_barrier
	buffer_gl0_inv
	ds_load_2addr_b64 v[16:19], v2 offset1:8
	ds_load_2addr_b64 v[30:33], v43 offset1:32
	ds_load_2addr_b64 v[12:15], v2 offset0:16 offset1:24
	ds_load_2addr_b64 v[4:7], v2 offset0:32 offset1:40
	;; [unrolled: 1-line block ×6, first 2 shown]
	ds_store_b16 v44, v26 offset:2048
	ds_store_b16 v44, v25 offset:2560
	;; [unrolled: 1-line block ×5, first 2 shown]
	s_waitcnt lgkmcnt(0)
	s_barrier
	buffer_gl0_inv
	v_pk_add_f16 v45, v16, v30
	v_pk_add_f16 v46, v18, v30
	;; [unrolled: 1-line block ×11, first 2 shown]
	v_pk_min_f16 v83, 0x7c00, v79 op_sel_hi:[0,1]
	v_pk_add_f16 v79, v0, v47
	v_pk_add_f16 v47, v2, v47
	v_pk_min_f16 v111, 0x7c00, v80 op_sel_hi:[0,1]
	v_pk_min_f16 v112, 0x7c00, v81 op_sel_hi:[0,1]
	v_pk_add_f16 v80, v16, v49
	v_pk_add_f16 v81, v18, v49
	v_pk_min_f16 v114, 0x7c00, v79 op_sel_hi:[0,1]
	;; [unrolled: 4-line block ×3, first 2 shown]
	v_pk_add_f16 v82, v12, v49
	v_pk_min_f16 v116, 0x7c00, v80 op_sel_hi:[0,1]
	v_pk_min_f16 v117, 0x7c00, v81 op_sel_hi:[0,1]
	v_pk_add_f16 v80, v6, v49
	v_pk_add_f16 v81, v0, v49
	v_pk_min_f16 v119, 0x7c00, v47 op_sel_hi:[0,1]
	v_pk_min_f16 v120, 0x7c00, v79 op_sel_hi:[0,1]
	v_pk_add_f16 v47, v16, v8
	v_pk_add_f16 v79, v18, v8
	v_pk_add_f16 v54, v6, v30
	v_pk_add_f16 v55, v0, v30
	v_pk_add_f16 v30, v2, v30
	v_pk_min_f16 v45, 0x7c00, v45 op_sel_hi:[0,1]
	v_pk_add_f16 v56, v16, v32
	v_pk_add_f16 v57, v18, v32
	;; [unrolled: 1-line block ×24, first 2 shown]
	v_pk_min_f16 v118, 0x7c00, v82 op_sel_hi:[0,1]
	v_pk_add_f16 v49, v2, v49
	v_pk_min_f16 v121, 0x7c00, v80 op_sel_hi:[0,1]
	v_pk_min_f16 v122, 0x7c00, v81 op_sel_hi:[0,1]
	v_pk_add_f16 v80, v12, v8
	v_pk_add_f16 v81, v14, v8
	;; [unrolled: 1-line block ×3, first 2 shown]
	v_pk_min_f16 v123, 0x7c00, v47 op_sel_hi:[0,1]
	v_pk_min_f16 v124, 0x7c00, v79 op_sel_hi:[0,1]
	v_pk_add_f16 v47, v6, v8
	v_pk_add_f16 v79, v0, v8
	;; [unrolled: 1-line block ×12, first 2 shown]
	v_pk_min_f16 v46, 0x7c00, v46 op_sel_hi:[0,1]
	v_pk_min_f16 v53, 0x7c00, v53 op_sel_hi:[0,1]
	;; [unrolled: 1-line block ×3, first 2 shown]
	v_pk_add_f16 v47, v19, v31
	v_pk_min_f16 v110, v45, v10
	v_pk_add_f16 v10, v5, v31
	v_pk_min_f16 v51, 0x7c00, v51 op_sel_hi:[0,1]
	v_pk_min_f16 v30, 0x7c00, v30 op_sel_hi:[0,1]
	;; [unrolled: 1-line block ×5, first 2 shown]
	v_pk_add_f16 v79, v13, v31
	v_pk_add_f16 v80, v15, v31
	v_pk_min_f16 v109, v46, v47
	v_pk_add_f16 v45, v7, v31
	v_pk_add_f16 v46, v1, v31
	;; [unrolled: 1-line block ×3, first 2 shown]
	v_pk_min_f16 v47, v53, v10
	v_pk_add_f16 v10, v19, v33
	v_pk_min_f16 v52, 0x7c00, v52 op_sel_hi:[0,1]
	v_pk_min_f16 v56, 0x7c00, v56 op_sel_hi:[0,1]
	;; [unrolled: 1-line block ×5, first 2 shown]
	v_pk_min_f16 v108, v51, v79
	v_pk_add_f16 v51, v17, v33
	v_pk_min_f16 v106, v30, v31
	v_pk_add_f16 v30, v13, v33
	v_pk_add_f16 v31, v15, v33
	v_pk_min_f16 v104, v57, v10
	v_pk_add_f16 v10, v1, v33
	v_pk_min_f16 v32, 0x7c00, v32 op_sel_hi:[0,1]
	v_pk_min_f16 v63, 0x7c00, v63 op_sel_hi:[0,1]
	;; [unrolled: 1-line block ×4, first 2 shown]
	v_pk_min_f16 v107, v52, v80
	v_pk_min_f16 v105, v56, v51
	v_pk_add_f16 v51, v5, v33
	v_pk_add_f16 v52, v7, v33
	v_pk_min_f16 v103, v58, v30
	v_pk_min_f16 v102, v59, v31
	v_pk_add_f16 v30, v3, v33
	v_pk_add_f16 v31, v17, v35
	;; [unrolled: 1-line block ×3, first 2 shown]
	v_pk_min_f16 v99, v62, v10
	v_pk_add_f16 v10, v15, v35
	v_pk_min_f16 v67, 0x7c00, v67 op_sel_hi:[0,1]
	v_pk_min_f16 v68, 0x7c00, v68 op_sel_hi:[0,1]
	;; [unrolled: 1-line block ×5, first 2 shown]
	v_pk_min_f16 v98, v32, v30
	v_pk_min_f16 v97, v63, v31
	;; [unrolled: 1-line block ×3, first 2 shown]
	v_pk_add_f16 v30, v5, v35
	v_pk_add_f16 v31, v7, v35
	;; [unrolled: 1-line block ×4, first 2 shown]
	v_pk_min_f16 v94, v66, v10
	v_pk_add_f16 v10, v17, v37
	v_pk_min_f16 v71, 0x7c00, v71 op_sel_hi:[0,1]
	v_pk_min_f16 v72, 0x7c00, v72 op_sel_hi:[0,1]
	;; [unrolled: 1-line block ×5, first 2 shown]
	v_pk_min_f16 v93, v67, v30
	v_pk_min_f16 v92, v68, v31
	;; [unrolled: 1-line block ×4, first 2 shown]
	v_pk_add_f16 v30, v19, v37
	v_pk_add_f16 v31, v13, v37
	;; [unrolled: 1-line block ×4, first 2 shown]
	v_pk_min_f16 v89, v70, v10
	v_pk_add_f16 v10, v7, v37
	v_pk_min_f16 v76, 0x7c00, v76 op_sel_hi:[0,1]
	v_pk_min_f16 v36, 0x7c00, v36 op_sel_hi:[0,1]
	v_pk_min_f16 v77, 0x7c00, v77 op_sel_hi:[0,1]
	v_pk_min_f16 v78, 0x7c00, v78 op_sel_hi:[0,1]
	v_pk_min_f16 v88, v71, v30
	v_pk_min_f16 v87, v72, v31
	;; [unrolled: 1-line block ×4, first 2 shown]
	v_pk_add_f16 v30, v1, v37
	v_pk_add_f16 v31, v3, v37
	;; [unrolled: 1-line block ×4, first 2 shown]
	v_pk_min_f16 v84, v75, v10
	v_pk_add_f16 v10, v13, v48
	v_pk_min_f16 v126, 0x7c00, v81 op_sel_hi:[0,1]
	v_pk_min_f16 v127, 0x7c00, v82 op_sel_hi:[0,1]
	v_pk_min_f16 v82, v76, v30
	v_pk_min_f16 v81, v36, v31
	;; [unrolled: 1-line block ×4, first 2 shown]
	v_pk_add_f16 v30, v15, v48
	v_pk_add_f16 v31, v5, v48
	;; [unrolled: 1-line block ×4, first 2 shown]
	v_pk_min_f16 v78, v83, v10
	v_pk_add_f16 v10, v3, v48
	v_pk_min_f16 v60, 0x7c00, v60 op_sel_hi:[0,1]
	v_pk_min_f16 v77, v111, v30
	v_pk_min_f16 v75, v112, v31
	;; [unrolled: 1-line block ×4, first 2 shown]
	v_pk_add_f16 v30, v17, v50
	v_pk_add_f16 v31, v19, v50
	;; [unrolled: 1-line block ×4, first 2 shown]
	v_pk_min_f16 v72, v115, v10
	v_pk_add_f16 v10, v5, v50
	v_pk_min_f16 v65, 0x7c00, v65 op_sel_hi:[0,1]
	v_pk_min_f16 v49, 0x7c00, v49 op_sel_hi:[0,1]
	v_pk_min_f16 v101, v60, v51
	v_pk_add_f16 v51, v13, v35
	v_pk_min_f16 v71, v116, v30
	v_pk_min_f16 v70, v117, v31
	;; [unrolled: 1-line block ×4, first 2 shown]
	v_pk_add_f16 v30, v7, v50
	v_pk_add_f16 v31, v1, v50
	;; [unrolled: 1-line block ×4, first 2 shown]
	v_pk_min_f16 v67, v120, v10
	v_pk_add_f16 v10, v19, v9
	v_pk_min_f16 v8, 0x7c00, v8 op_sel_hi:[0,1]
	v_pk_min_f16 v95, v65, v51
	v_pk_min_f16 v66, v121, v30
	v_pk_min_f16 v65, v122, v31
	v_pk_min_f16 v64, v49, v32
	v_pk_min_f16 v63, v123, v33
	v_pk_add_f16 v30, v13, v9
	v_pk_add_f16 v31, v15, v9
	;; [unrolled: 1-line block ×4, first 2 shown]
	v_pk_min_f16 v62, v124, v10
	v_pk_add_f16 v10, v1, v9
	v_pk_add_f16 v9, v3, v9
	v_pk_min_f16 v54, 0x7c00, v54 op_sel_hi:[0,1]
	v_pk_min_f16 v55, 0x7c00, v55 op_sel_hi:[0,1]
	;; [unrolled: 1-line block ×11, first 2 shown]
	v_pk_add_f16 v17, v17, v11
	v_pk_add_f16 v19, v19, v11
	;; [unrolled: 1-line block ×3, first 2 shown]
	v_pk_min_f16 v56, v8, v9
	v_pk_add_f16 v8, v15, v11
	v_pk_add_f16 v5, v5, v11
	;; [unrolled: 1-line block ×5, first 2 shown]
	v_pk_min_f16 v45, v54, v45
	v_pk_min_f16 v46, v55, v46
	;; [unrolled: 1-line block ×16, first 2 shown]
	s_cbranch_scc1 .LBB280_52
; %bb.30:
	v_lshl_add_u32 v0, s14, 6, v23
	s_lshl_b32 s5, s29, 6
	v_add_nc_u32_e32 v4, 8, v41
	v_add_nc_u32_e32 v8, 12, v41
	;; [unrolled: 1-line block ×3, first 2 shown]
	v_subrev_nc_u32_e32 v2, s5, v0
	v_add_nc_u32_e32 v83, 0x1000, v42
	v_add_nc_u32_e32 v111, 0x1200, v29
	v_mad_i64_i32 v[6:7], null, v8, s8, 0
	s_delay_alu instid0(VALU_DEP_4)
	v_mad_i64_i32 v[0:1], null, s28, v2, 0
	v_mad_i64_i32 v[2:3], null, v4, s8, 0
	v_lshlrev_b64 v[4:5], 1, v[20:21]
	v_or_b32_e32 v112, 0x800, v44
	v_lshlrev_b64 v[34:35], 1, v[6:7]
	v_lshl_add_u32 v113, v38, 3, 0x1200
	v_lshlrev_b64 v[0:1], 1, v[0:1]
	v_lshl_add_u32 v114, v39, 3, 0x800
	v_lshlrev_b64 v[32:33], 1, v[2:3]
	s_add_i32 s14, s18, -8
	s_lshl_b64 s[8:9], s[8:9], 4
	s_delay_alu instid0(VALU_DEP_3) | instskip(NEXT) | instid1(VALU_DEP_1)
	v_add_co_u32 v0, s5, v0, v22
	v_add_co_ci_u32_e64 v1, s5, 0, v1, s5
	s_delay_alu instid0(VALU_DEP_2) | instskip(NEXT) | instid1(VALU_DEP_1)
	v_add_co_u32 v0, s5, v0, s20
	v_add_co_ci_u32_e64 v1, s5, s21, v1, s5
	s_mov_b32 s20, 0
	s_delay_alu instid0(VALU_DEP_2) | instskip(NEXT) | instid1(VALU_DEP_1)
	v_add_co_u32 v36, s5, v0, 16
	v_add_co_ci_u32_e64 v37, s5, 0, v1, s5
	v_add_co_u32 v115, s5, s22, v4
	s_delay_alu instid0(VALU_DEP_1)
	v_add_co_ci_u32_e64 v116, s5, s23, v5, s5
	s_branch .LBB280_32
.LBB280_31:                             ;   in Loop: Header=BB280_32 Depth=1
	s_or_b32 exec_lo, exec_lo, s6
	ds_load_2addr_b64 v[122:125], v83 offset1:8
	ds_load_2addr_b64 v[84:87], v43 offset1:32
	ds_load_2addr_b64 v[126:129], v83 offset0:16 offset1:24
	ds_load_2addr_b64 v[130:133], v83 offset0:32 offset1:40
	;; [unrolled: 1-line block ×6, first 2 shown]
	v_pk_max_f16 v11, v80, v80
	v_pk_max_f16 v15, v78, v78
	;; [unrolled: 1-line block ×13, first 2 shown]
	s_waitcnt lgkmcnt(6)
	v_pk_add_f16 v78, v122, v84
	v_pk_add_f16 v79, v124, v84
	s_waitcnt lgkmcnt(5)
	v_pk_add_f16 v80, v126, v84
	v_pk_add_f16 v81, v128, v84
	v_pk_max_f16 v65, v65, v65
	v_pk_min_f16 v11, v11, v78
	v_pk_min_f16 v15, v15, v79
	;; [unrolled: 1-line block ×3, first 2 shown]
	v_pk_add_f16 v78, v122, v86
	v_pk_add_f16 v79, v124, v86
	;; [unrolled: 1-line block ×3, first 2 shown]
	v_pk_min_f16 v19, v19, v81
	v_pk_add_f16 v81, v128, v86
	v_pk_min_f16 v66, v66, v78
	v_pk_min_f16 v73, v73, v79
	v_pk_min_f16 v71, v71, v80
	s_waitcnt lgkmcnt(4)
	v_pk_add_f16 v78, v132, v86
	s_waitcnt lgkmcnt(3)
	v_pk_add_f16 v79, v134, v86
	v_pk_add_f16 v80, v136, v86
	v_pk_min_f16 v70, v70, v81
	s_waitcnt lgkmcnt(2)
	v_pk_add_f16 v81, v122, v138
	v_pk_min_f16 v61, v61, v78
	v_pk_min_f16 v69, v69, v79
	;; [unrolled: 1-line block ×3, first 2 shown]
	v_pk_add_f16 v78, v126, v138
	v_pk_max_f16 v56, v56, v56
	v_pk_add_f16 v79, v128, v138
	v_pk_max_f16 v64, v64, v64
	;; [unrolled: 2-line block ×3, first 2 shown]
	v_pk_add_f16 v82, v130, v84
	v_pk_min_f16 v65, v65, v81
	v_pk_add_f16 v81, v132, v138
	v_pk_max_f16 v60, v60, v60
	v_pk_min_f16 v56, v56, v78
	v_pk_min_f16 v64, v64, v79
	;; [unrolled: 1-line block ×3, first 2 shown]
	v_pk_add_f16 v78, v136, v138
	v_pk_max_f16 v51, v51, v51
	v_pk_add_f16 v79, v122, v140
	v_pk_max_f16 v59, v59, v59
	;; [unrolled: 2-line block ×3, first 2 shown]
	v_pk_min_f16 v74, v74, v82
	v_pk_add_f16 v82, v130, v86
	v_pk_max_f16 v68, v68, v68
	v_pk_min_f16 v60, v60, v81
	v_pk_add_f16 v81, v126, v140
	v_pk_max_f16 v55, v55, v55
	v_pk_min_f16 v51, v51, v78
	v_pk_min_f16 v59, v59, v79
	;; [unrolled: 1-line block ×3, first 2 shown]
	v_pk_add_f16 v78, v130, v140
	v_pk_max_f16 v46, v46, v46
	v_pk_add_f16 v79, v132, v140
	v_pk_max_f16 v54, v54, v54
	;; [unrolled: 2-line block ×3, first 2 shown]
	v_pk_min_f16 v68, v68, v82
	v_pk_add_f16 v82, v124, v138
	v_pk_max_f16 v63, v63, v63
	v_pk_min_f16 v55, v55, v81
	v_pk_add_f16 v81, v136, v140
	v_pk_max_f16 v50, v50, v50
	v_pk_min_f16 v78, v46, v78
	v_pk_min_f16 v54, v54, v79
	;; [unrolled: 1-line block ×3, first 2 shown]
	s_waitcnt lgkmcnt(1)
	v_pk_add_f16 v46, v124, v142
	v_pk_max_f16 v28, v28, v28
	v_pk_add_f16 v79, v126, v142
	v_pk_max_f16 v49, v49, v49
	;; [unrolled: 2-line block ×3, first 2 shown]
	v_pk_min_f16 v63, v63, v82
	v_pk_add_f16 v82, v134, v138
	v_pk_max_f16 v58, v58, v58
	v_pk_min_f16 v50, v50, v81
	v_pk_add_f16 v81, v130, v142
	v_pk_max_f16 v45, v45, v45
	v_pk_min_f16 v28, v28, v46
	v_pk_min_f16 v49, v49, v79
	;; [unrolled: 1-line block ×3, first 2 shown]
	v_pk_add_f16 v46, v136, v142
	v_pk_max_f16 v31, v31, v31
	v_pk_add_f16 v47, v122, v144
	v_pk_max_f16 v29, v29, v29
	;; [unrolled: 2-line block ×4, first 2 shown]
	v_pk_min_f16 v58, v58, v82
	v_pk_add_f16 v82, v128, v140
	v_pk_min_f16 v140, v45, v81
	v_pk_add_f16 v45, v134, v142
	v_pk_max_f16 v24, v24, v24
	v_pk_min_f16 v31, v31, v46
	v_pk_min_f16 v29, v29, v47
	;; [unrolled: 1-line block ×4, first 2 shown]
	v_pk_add_f16 v46, v130, v144
	v_pk_max_f16 v26, v26, v26
	v_pk_add_f16 v47, v132, v144
	v_pk_max_f16 v23, v23, v23
	;; [unrolled: 2-line block ×4, first 2 shown]
	v_pk_min_f16 v24, v24, v45
	v_pk_add_f16 v45, v128, v144
	v_pk_max_f16 v16, v16, v16
	v_pk_min_f16 v26, v26, v46
	v_pk_min_f16 v23, v23, v47
	;; [unrolled: 1-line block ×4, first 2 shown]
	s_waitcnt lgkmcnt(0)
	v_pk_add_f16 v46, v124, v146
	v_pk_max_f16 v21, v21, v21
	v_pk_add_f16 v47, v126, v146
	v_pk_max_f16 v18, v18, v18
	v_pk_add_f16 v79, v128, v146
	v_pk_max_f16 v14, v14, v14
	v_pk_add_f16 v80, v130, v146
	v_pk_max_f16 v12, v12, v12
	v_pk_min_f16 v16, v16, v45
	v_pk_add_f16 v45, v122, v146
	v_pk_max_f16 v10, v10, v10
	v_pk_min_f16 v21, v21, v46
	v_pk_min_f16 v18, v18, v47
	;; [unrolled: 1-line block ×4, first 2 shown]
	v_pk_add_f16 v46, v134, v146
	v_pk_max_f16 v13, v13, v13
	v_pk_add_f16 v47, v136, v146
	v_pk_max_f16 v9, v9, v9
	;; [unrolled: 2-line block ×4, first 2 shown]
	v_pk_min_f16 v10, v10, v45
	v_pk_add_f16 v45, v132, v146
	v_pk_max_f16 v4, v4, v4
	v_pk_min_f16 v13, v13, v46
	v_pk_min_f16 v9, v9, v47
	v_pk_min_f16 v8, v8, v79
	v_pk_min_f16 v6, v6, v80
	v_pk_add_f16 v46, v128, v148
	v_pk_max_f16 v7, v7, v7
	v_pk_add_f16 v47, v130, v148
	v_pk_max_f16 v5, v5, v5
	;; [unrolled: 2-line block ×4, first 2 shown]
	v_pk_max_f16 v77, v77, v77
	v_pk_add_f16 v88, v132, v84
	v_pk_add_f16 v89, v134, v84
	;; [unrolled: 1-line block ×3, first 2 shown]
	v_pk_max_f16 v72, v72, v72
	v_pk_min_f16 v4, v4, v45
	v_pk_add_f16 v45, v126, v148
	v_pk_max_f16 v2, v2, v2
	v_pk_min_f16 v7, v7, v46
	v_pk_min_f16 v5, v5, v47
	v_pk_min_f16 v3, v3, v79
	v_pk_min_f16 v1, v1, v80
	v_pk_add_f16 v46, v123, v85
	v_pk_add_f16 v47, v125, v85
	;; [unrolled: 1-line block ×4, first 2 shown]
	v_pk_min_f16 v75, v75, v88
	v_pk_min_f16 v77, v77, v89
	;; [unrolled: 1-line block ×4, first 2 shown]
	v_pk_add_f16 v45, v136, v148
	v_pk_max_f16 v0, v0, v0
	v_pk_min_f16 v110, v11, v46
	v_pk_min_f16 v109, v15, v47
	;; [unrolled: 1-line block ×4, first 2 shown]
	v_pk_add_f16 v11, v131, v85
	v_pk_add_f16 v15, v133, v85
	;; [unrolled: 1-line block ×5, first 2 shown]
	v_pk_min_f16 v0, v0, v45
	v_pk_min_f16 v47, v74, v11
	;; [unrolled: 1-line block ×6, first 2 shown]
	v_pk_add_f16 v11, v125, v87
	v_pk_add_f16 v15, v127, v87
	;; [unrolled: 1-line block ×5, first 2 shown]
	v_pk_min_f16 v104, v73, v11
	v_pk_min_f16 v103, v71, v15
	;; [unrolled: 1-line block ×5, first 2 shown]
	v_pk_add_f16 v11, v135, v87
	v_pk_add_f16 v15, v137, v87
	;; [unrolled: 1-line block ×5, first 2 shown]
	v_pk_max_f16 v53, v53, v53
	v_pk_min_f16 v99, v69, v11
	v_pk_min_f16 v98, v67, v15
	;; [unrolled: 1-line block ×5, first 2 shown]
	v_pk_add_f16 v11, v129, v139
	v_pk_add_f16 v15, v131, v139
	;; [unrolled: 1-line block ×5, first 2 shown]
	v_pk_min_f16 v53, v53, v82
	v_pk_add_f16 v82, v122, v142
	v_pk_max_f16 v48, v48, v48
	v_pk_min_f16 v94, v64, v11
	v_pk_min_f16 v93, v62, v15
	;; [unrolled: 1-line block ×5, first 2 shown]
	v_pk_add_f16 v11, v123, v141
	v_pk_add_f16 v15, v125, v141
	;; [unrolled: 1-line block ×5, first 2 shown]
	v_pk_min_f16 v48, v48, v82
	v_pk_add_f16 v82, v132, v142
	v_pk_max_f16 v30, v30, v30
	v_pk_min_f16 v89, v59, v11
	v_pk_min_f16 v88, v57, v15
	;; [unrolled: 1-line block ×5, first 2 shown]
	v_pk_add_f16 v11, v133, v141
	v_pk_add_f16 v15, v135, v141
	;; [unrolled: 1-line block ×5, first 2 shown]
	v_pk_min_f16 v30, v30, v82
	v_pk_min_f16 v84, v54, v11
	;; [unrolled: 1-line block ×6, first 2 shown]
	v_pk_add_f16 v11, v127, v143
	v_pk_add_f16 v15, v129, v143
	v_pk_add_f16 v17, v131, v143
	v_pk_add_f16 v19, v133, v143
	v_pk_add_f16 v28, v135, v143
	v_pk_min_f16 v78, v49, v11
	v_pk_min_f16 v77, v138, v15
	v_pk_min_f16 v75, v140, v17
	v_pk_min_f16 v74, v30, v19
	v_pk_min_f16 v73, v24, v28
	v_pk_add_f16 v11, v137, v143
	v_pk_add_f16 v15, v123, v145
	v_pk_add_f16 v17, v125, v145
	v_pk_add_f16 v19, v127, v145
	v_pk_add_f16 v24, v129, v145
	v_pk_min_f16 v72, v31, v11
	v_pk_min_f16 v71, v29, v15
	v_pk_min_f16 v70, v27, v17
	v_pk_min_f16 v69, v25, v19
	v_pk_min_f16 v68, v16, v24
	;; [unrolled: 10-line block ×5, first 2 shown]
	v_pk_add_f16 v2, v129, v149
	v_pk_add_f16 v4, v131, v149
	;; [unrolled: 1-line block ×5, first 2 shown]
	v_add_co_u32 v36, s5, v36, 16
	s_delay_alu instid0(VALU_DEP_1)
	v_add_co_ci_u32_e64 v37, s5, 0, v37, s5
	v_add_co_u32 v115, s5, v115, s8
	v_pk_min_f16 v55, v7, v2
	v_pk_min_f16 v53, v5, v4
	;; [unrolled: 1-line block ×5, first 2 shown]
	v_add_co_ci_u32_e64 v116, s5, s9, v116, s5
	s_add_i32 s20, s20, 8
	s_waitcnt vmcnt(0)
	ds_store_b16 v111, v117
	ds_store_b16 v112, v119
	ds_store_b16 v112, v118 offset:512
	ds_store_b16 v112, v121 offset:1024
	;; [unrolled: 1-line block ×3, first 2 shown]
	s_cmp_ge_i32 s20, s14
	s_waitcnt lgkmcnt(0)
	s_barrier
	buffer_gl0_inv
	s_cbranch_scc1 .LBB280_52
.LBB280_32:                             ; =>This Inner Loop Header: Depth=1
	v_dual_mov_b32 v120, 0x7c00 :: v_dual_add_nc_u32 v119, s20, v40
	s_delay_alu instid0(VALU_DEP_1) | instskip(NEXT) | instid1(VALU_DEP_1)
	v_dual_mov_b32 v121, 0x7c00 :: v_dual_add_nc_u32 v0, 8, v119
	v_cmp_gt_i32_e64 s5, s18, v0
	s_delay_alu instid0(VALU_DEP_1) | instskip(NEXT) | instid1(SALU_CYCLE_1)
	s_and_b32 s6, s5, s27
	s_and_saveexec_b32 s5, s6
	s_cbranch_execz .LBB280_34
; %bb.33:                               ;   in Loop: Header=BB280_32 Depth=1
	flat_load_u16 v120, v[36:37]
.LBB280_34:                             ;   in Loop: Header=BB280_32 Depth=1
	s_or_b32 exec_lo, exec_lo, s5
	v_add_nc_u32_e32 v118, s20, v41
	s_delay_alu instid0(VALU_DEP_1) | instskip(NEXT) | instid1(VALU_DEP_1)
	v_add_nc_u32_e32 v0, 8, v118
	v_cmp_le_i32_e64 s5, s18, v0
	s_delay_alu instid0(VALU_DEP_1) | instskip(NEXT) | instid1(SALU_CYCLE_1)
	s_or_b32 s6, vcc_lo, s5
	s_xor_b32 s6, s6, -1
	s_delay_alu instid0(SALU_CYCLE_1)
	s_and_saveexec_b32 s21, s6
	s_cbranch_execz .LBB280_36
; %bb.35:                               ;   in Loop: Header=BB280_32 Depth=1
	v_add_co_u32 v0, s6, v115, v32
	s_delay_alu instid0(VALU_DEP_1)
	v_add_co_ci_u32_e64 v1, s6, v116, v33, s6
	flat_load_u16 v121, v[0:1]
.LBB280_36:                             ;   in Loop: Header=BB280_32 Depth=1
	s_or_b32 exec_lo, exec_lo, s21
	v_dual_mov_b32 v122, 0x7c00 :: v_dual_mov_b32 v123, 0x7c00
	s_or_b32 s6, s2, s5
	s_delay_alu instid0(SALU_CYCLE_1) | instskip(NEXT) | instid1(SALU_CYCLE_1)
	s_xor_b32 s6, s6, -1
	s_and_saveexec_b32 s21, s6
	s_cbranch_execz .LBB280_38
; %bb.37:                               ;   in Loop: Header=BB280_32 Depth=1
	v_add_co_u32 v0, s6, v115, v32
	s_delay_alu instid0(VALU_DEP_1)
	v_add_co_ci_u32_e64 v1, s6, v116, v33, s6
	flat_load_u16 v123, v[0:1] offset:128
.LBB280_38:                             ;   in Loop: Header=BB280_32 Depth=1
	s_or_b32 exec_lo, exec_lo, s21
	s_or_b32 s6, s3, s5
	s_delay_alu instid0(SALU_CYCLE_1) | instskip(NEXT) | instid1(SALU_CYCLE_1)
	s_xor_b32 s6, s6, -1
	s_and_saveexec_b32 s21, s6
	s_cbranch_execz .LBB280_40
; %bb.39:                               ;   in Loop: Header=BB280_32 Depth=1
	v_add_co_u32 v0, s6, v115, v32
	s_delay_alu instid0(VALU_DEP_1)
	v_add_co_ci_u32_e64 v1, s6, v116, v33, s6
	flat_load_u16 v122, v[0:1] offset:256
.LBB280_40:                             ;   in Loop: Header=BB280_32 Depth=1
	s_or_b32 exec_lo, exec_lo, s21
	v_dual_mov_b32 v117, 0x7c00 :: v_dual_mov_b32 v124, 0x7c00
	s_or_b32 s5, s4, s5
	s_delay_alu instid0(SALU_CYCLE_1) | instskip(NEXT) | instid1(SALU_CYCLE_1)
	s_xor_b32 s5, s5, -1
	s_and_saveexec_b32 s6, s5
	s_cbranch_execz .LBB280_42
; %bb.41:                               ;   in Loop: Header=BB280_32 Depth=1
	v_add_co_u32 v0, s5, v115, v32
	s_delay_alu instid0(VALU_DEP_1)
	v_add_co_ci_u32_e64 v1, s5, v116, v33, s5
	flat_load_u16 v124, v[0:1] offset:384
.LBB280_42:                             ;   in Loop: Header=BB280_32 Depth=1
	s_or_b32 exec_lo, exec_lo, s6
	ds_load_2addr_b64 v[12:15], v113 offset1:8
	ds_load_2addr_b64 v[8:11], v113 offset0:16 offset1:24
	ds_load_2addr_b64 v[4:7], v113 offset0:32 offset1:40
	;; [unrolled: 1-line block ×3, first 2 shown]
	ds_load_2addr_b64 v[28:31], v114 offset1:32
	ds_load_2addr_b64 v[24:27], v114 offset0:64 offset1:96
	ds_load_2addr_b64 v[20:23], v114 offset0:128 offset1:160
	;; [unrolled: 1-line block ×3, first 2 shown]
	v_add_nc_u32_e32 v119, 12, v119
	s_waitcnt vmcnt(0) lgkmcnt(8)
	ds_store_b16 v76, v120
	ds_store_b16 v44, v121
	ds_store_b16 v44, v123 offset:512
	ds_store_b16 v44, v122 offset:1024
	;; [unrolled: 1-line block ×3, first 2 shown]
	s_waitcnt lgkmcnt(0)
	s_barrier
	buffer_gl0_inv
	v_cmp_gt_i32_e64 s5, s18, v119
	s_delay_alu instid0(VALU_DEP_1) | instskip(NEXT) | instid1(SALU_CYCLE_1)
	s_and_b32 s5, s5, s27
	s_and_saveexec_b32 s6, s5
	s_delay_alu instid0(SALU_CYCLE_1)
	s_xor_b32 s5, exec_lo, s6
	s_cbranch_execz .LBB280_44
; %bb.43:                               ;   in Loop: Header=BB280_32 Depth=1
	flat_load_u16 v117, v[36:37] offset:8
.LBB280_44:                             ;   in Loop: Header=BB280_32 Depth=1
	s_or_b32 exec_lo, exec_lo, s5
	v_dual_mov_b32 v119, 0x7c00 :: v_dual_add_nc_u32 v118, 12, v118
	s_delay_alu instid0(VALU_DEP_1) | instskip(SKIP_1) | instid1(VALU_DEP_2)
	v_cmp_le_i32_e64 s5, s18, v118
	v_mov_b32_e32 v118, 0x7c00
	s_or_b32 s6, vcc_lo, s5
	s_delay_alu instid0(SALU_CYCLE_1) | instskip(NEXT) | instid1(SALU_CYCLE_1)
	s_xor_b32 s6, s6, -1
	s_and_saveexec_b32 s21, s6
	s_cbranch_execz .LBB280_46
; %bb.45:                               ;   in Loop: Header=BB280_32 Depth=1
	v_add_co_u32 v119, s6, v115, v34
	s_delay_alu instid0(VALU_DEP_1)
	v_add_co_ci_u32_e64 v120, s6, v116, v35, s6
	flat_load_u16 v119, v[119:120]
.LBB280_46:                             ;   in Loop: Header=BB280_32 Depth=1
	s_or_b32 exec_lo, exec_lo, s21
	s_or_b32 s6, s2, s5
	s_delay_alu instid0(SALU_CYCLE_1) | instskip(NEXT) | instid1(SALU_CYCLE_1)
	s_xor_b32 s6, s6, -1
	s_and_saveexec_b32 s21, s6
	s_cbranch_execz .LBB280_48
; %bb.47:                               ;   in Loop: Header=BB280_32 Depth=1
	v_add_co_u32 v120, s6, v115, v34
	s_delay_alu instid0(VALU_DEP_1)
	v_add_co_ci_u32_e64 v121, s6, v116, v35, s6
	flat_load_u16 v118, v[120:121] offset:128
.LBB280_48:                             ;   in Loop: Header=BB280_32 Depth=1
	s_or_b32 exec_lo, exec_lo, s21
	v_dual_mov_b32 v120, 0x7c00 :: v_dual_mov_b32 v121, 0x7c00
	s_or_b32 s6, s3, s5
	s_delay_alu instid0(SALU_CYCLE_1) | instskip(NEXT) | instid1(SALU_CYCLE_1)
	s_xor_b32 s6, s6, -1
	s_and_saveexec_b32 s21, s6
	s_cbranch_execz .LBB280_50
; %bb.49:                               ;   in Loop: Header=BB280_32 Depth=1
	v_add_co_u32 v121, s6, v115, v34
	s_delay_alu instid0(VALU_DEP_1)
	v_add_co_ci_u32_e64 v122, s6, v116, v35, s6
	flat_load_u16 v121, v[121:122] offset:256
.LBB280_50:                             ;   in Loop: Header=BB280_32 Depth=1
	s_or_b32 exec_lo, exec_lo, s21
	v_pk_add_f16 v122, v12, v28
	v_pk_max_f16 v110, v110, v110
	v_pk_add_f16 v123, v14, v28
	v_pk_max_f16 v109, v109, v109
	;; [unrolled: 2-line block ×3, first 2 shown]
	v_pk_min_f16 v110, v110, v122
	v_pk_add_f16 v122, v10, v28
	v_pk_min_f16 v109, v109, v123
	v_pk_max_f16 v107, v107, v107
	v_pk_min_f16 v108, v108, v124
	v_pk_add_f16 v123, v4, v28
	v_pk_add_f16 v124, v6, v28
	;; [unrolled: 1-line block ×4, first 2 shown]
	v_pk_max_f16 v106, v106, v106
	v_pk_max_f16 v47, v47, v47
	;; [unrolled: 1-line block ×4, first 2 shown]
	v_pk_min_f16 v107, v107, v122
	v_pk_min_f16 v28, v106, v28
	v_pk_add_f16 v106, v12, v30
	v_pk_max_f16 v105, v105, v105
	v_pk_add_f16 v122, v14, v30
	v_pk_max_f16 v104, v104, v104
	v_pk_min_f16 v47, v47, v123
	v_pk_min_f16 v45, v45, v124
	;; [unrolled: 1-line block ×3, first 2 shown]
	v_pk_add_f16 v123, v8, v30
	v_pk_max_f16 v103, v103, v103
	v_pk_add_f16 v124, v10, v30
	v_pk_max_f16 v102, v102, v102
	v_pk_add_f16 v125, v4, v30
	v_pk_min_f16 v105, v105, v106
	v_pk_min_f16 v104, v104, v122
	v_pk_add_f16 v106, v6, v30
	v_pk_max_f16 v100, v100, v100
	v_pk_add_f16 v122, v0, v30
	v_pk_max_f16 v99, v99, v99
	v_pk_add_f16 v30, v2, v30
	v_pk_max_f16 v98, v98, v98
	v_pk_min_f16 v103, v103, v123
	v_pk_min_f16 v102, v102, v124
	v_pk_add_f16 v123, v12, v24
	v_pk_max_f16 v97, v97, v97
	v_pk_add_f16 v124, v14, v24
	v_pk_max_f16 v96, v96, v96
	v_pk_min_f16 v100, v100, v106
	v_pk_min_f16 v99, v99, v122
	;; [unrolled: 1-line block ×3, first 2 shown]
	v_pk_add_f16 v98, v8, v24
	v_pk_max_f16 v95, v95, v95
	v_pk_add_f16 v106, v10, v24
	v_pk_max_f16 v94, v94, v94
	;; [unrolled: 2-line block ×3, first 2 shown]
	v_pk_min_f16 v97, v97, v123
	v_pk_min_f16 v96, v96, v124
	v_pk_add_f16 v123, v6, v24
	v_pk_max_f16 v92, v92, v92
	v_pk_add_f16 v124, v0, v24
	v_pk_min_f16 v95, v95, v98
	v_pk_min_f16 v94, v94, v106
	v_pk_min_f16 v93, v93, v122
	v_pk_add_f16 v24, v2, v24
	v_pk_max_f16 v90, v90, v90
	v_pk_add_f16 v98, v12, v26
	v_pk_max_f16 v89, v89, v89
	;; [unrolled: 2-line block ×4, first 2 shown]
	v_pk_min_f16 v92, v92, v123
	v_pk_add_f16 v123, v10, v26
	v_pk_min_f16 v24, v90, v24
	v_pk_min_f16 v89, v89, v98
	;; [unrolled: 1-line block ×4, first 2 shown]
	v_pk_add_f16 v90, v4, v26
	v_pk_max_f16 v85, v85, v85
	v_pk_add_f16 v98, v6, v26
	v_pk_max_f16 v84, v84, v84
	;; [unrolled: 2-line block ×5, first 2 shown]
	v_pk_max_f16 v91, v91, v91
	v_pk_min_f16 v85, v85, v90
	v_pk_min_f16 v84, v84, v98
	;; [unrolled: 1-line block ×5, first 2 shown]
	v_pk_add_f16 v81, v8, v20
	v_pk_max_f16 v78, v78, v78
	v_pk_add_f16 v98, v10, v20
	v_pk_max_f16 v77, v77, v77
	;; [unrolled: 2-line block ×4, first 2 shown]
	v_pk_min_f16 v91, v91, v124
	v_pk_add_f16 v80, v14, v20
	v_pk_min_f16 v124, v78, v81
	v_pk_min_f16 v98, v77, v98
	;; [unrolled: 1-line block ×4, first 2 shown]
	v_pk_add_f16 v74, v0, v20
	v_pk_add_f16 v20, v2, v20
	v_pk_max_f16 v72, v72, v72
	v_pk_add_f16 v75, v12, v22
	v_pk_max_f16 v71, v71, v71
	;; [unrolled: 2-line block ×4, first 2 shown]
	v_pk_min_f16 v20, v72, v20
	v_pk_min_f16 v126, v71, v75
	;; [unrolled: 1-line block ×3, first 2 shown]
	v_pk_add_f16 v70, v4, v22
	v_pk_min_f16 v128, v69, v78
	v_pk_add_f16 v69, v10, v22
	v_pk_max_f16 v67, v67, v67
	v_pk_add_f16 v71, v6, v22
	v_pk_add_f16 v72, v0, v22
	;; [unrolled: 1-line block ×3, first 2 shown]
	v_pk_max_f16 v64, v64, v64
	v_pk_max_f16 v66, v66, v66
	;; [unrolled: 1-line block ×3, first 2 shown]
	v_pk_min_f16 v130, v67, v70
	v_pk_max_f16 v63, v63, v63
	v_pk_min_f16 v133, v64, v22
	v_pk_add_f16 v22, v12, v16
	v_pk_add_f16 v67, v4, v16
	v_pk_max_f16 v59, v59, v59
	v_pk_min_f16 v131, v66, v71
	v_pk_min_f16 v132, v65, v72
	v_pk_add_f16 v64, v14, v16
	v_pk_add_f16 v65, v8, v16
	;; [unrolled: 1-line block ×3, first 2 shown]
	v_pk_min_f16 v134, v63, v22
	v_pk_min_f16 v138, v59, v67
	v_pk_add_f16 v22, v6, v16
	v_pk_max_f16 v58, v58, v58
	v_pk_add_f16 v59, v0, v16
	v_pk_add_f16 v16, v2, v16
	v_pk_max_f16 v56, v56, v56
	v_pk_add_f16 v12, v12, v18
	v_pk_max_f16 v54, v54, v54
	v_pk_min_f16 v139, v58, v22
	v_pk_add_f16 v4, v4, v18
	v_pk_min_f16 v141, v56, v16
	v_pk_max_f16 v16, v53, v53
	v_pk_add_f16 v6, v6, v18
	v_pk_max_f16 v22, v51, v51
	v_pk_max_f16 v86, v86, v86
	;; [unrolled: 1-line block ×3, first 2 shown]
	v_pk_add_f16 v14, v14, v18
	v_pk_max_f16 v52, v52, v52
	v_pk_min_f16 v142, v54, v12
	v_pk_add_f16 v8, v8, v18
	v_pk_max_f16 v12, v50, v50
	v_pk_min_f16 v146, v16, v4
	v_pk_min_f16 v147, v22, v6
	v_pk_add_f16 v2, v2, v18
	v_pk_max_f16 v4, v48, v48
	v_pk_add_f16 v6, v13, v29
	v_pk_min_f16 v86, v86, v123
	v_pk_min_f16 v123, v79, v80
	;; [unrolled: 1-line block ×3, first 2 shown]
	v_pk_add_f16 v10, v10, v18
	v_pk_max_f16 v14, v55, v55
	v_pk_min_f16 v144, v12, v8
	v_pk_add_f16 v8, v15, v29
	v_pk_min_f16 v148, v4, v2
	v_pk_min_f16 v80, v110, v6
	v_pk_add_f16 v2, v5, v29
	v_pk_add_f16 v6, v1, v29
	v_pk_max_f16 v101, v101, v101
	v_pk_max_f16 v73, v73, v73
	v_pk_min_f16 v145, v14, v10
	v_pk_add_f16 v10, v9, v29
	v_pk_min_f16 v78, v109, v8
	v_pk_add_f16 v4, v7, v29
	v_pk_add_f16 v8, v3, v29
	v_pk_min_f16 v81, v47, v2
	v_pk_min_f16 v77, v46, v6
	v_pk_add_f16 v2, v15, v31
	v_pk_add_f16 v6, v11, v31
	v_pk_min_f16 v101, v101, v125
	v_pk_min_f16 v125, v73, v74
	v_pk_max_f16 v68, v68, v68
	v_pk_max_f16 v61, v61, v61
	;; [unrolled: 1-line block ×3, first 2 shown]
	v_pk_min_f16 v75, v108, v10
	v_pk_add_f16 v10, v13, v31
	v_pk_min_f16 v79, v45, v4
	v_pk_min_f16 v72, v28, v8
	v_pk_add_f16 v4, v9, v31
	v_pk_add_f16 v8, v5, v31
	v_pk_min_f16 v73, v104, v2
	v_pk_min_f16 v70, v102, v6
	v_pk_add_f16 v2, v1, v31
	v_pk_add_f16 v6, v13, v25
	v_pk_min_f16 v129, v68, v69
	v_pk_max_f16 v62, v62, v62
	v_pk_min_f16 v136, v61, v65
	v_pk_min_f16 v137, v60, v66
	;; [unrolled: 1-line block ×3, first 2 shown]
	v_pk_add_f16 v10, v7, v31
	v_pk_min_f16 v71, v103, v4
	v_pk_min_f16 v68, v101, v8
	v_pk_add_f16 v4, v3, v31
	v_pk_add_f16 v8, v15, v25
	v_pk_min_f16 v69, v99, v2
	v_pk_min_f16 v65, v97, v6
	v_pk_add_f16 v2, v11, v25
	v_pk_add_f16 v6, v7, v25
	v_pk_min_f16 v135, v62, v64
	v_pk_max_f16 v57, v57, v57
	v_pk_min_f16 v61, v100, v10
	v_pk_add_f16 v10, v9, v25
	v_pk_min_f16 v67, v30, v4
	v_pk_min_f16 v63, v96, v8
	v_pk_add_f16 v4, v5, v25
	v_pk_add_f16 v8, v1, v25
	v_pk_min_f16 v64, v94, v2
	v_pk_min_f16 v60, v92, v6
	v_pk_add_f16 v2, v13, v27
	;; [unrolled: 4-line block ×3, first 2 shown]
	v_pk_min_f16 v62, v93, v4
	v_pk_min_f16 v58, v91, v8
	v_pk_add_f16 v4, v15, v27
	v_pk_add_f16 v8, v11, v27
	v_pk_min_f16 v59, v89, v2
	v_pk_min_f16 v55, v87, v6
	v_pk_add_f16 v2, v7, v27
	v_pk_add_f16 v6, v3, v27
	;; [unrolled: 1-line block ×3, first 2 shown]
	v_pk_max_f16 v49, v49, v49
	v_pk_min_f16 v51, v24, v10
	v_pk_add_f16 v10, v5, v27
	v_pk_min_f16 v57, v88, v4
	v_pk_min_f16 v53, v86, v8
	v_pk_add_f16 v4, v1, v27
	v_pk_add_f16 v8, v13, v21
	v_pk_min_f16 v54, v84, v2
	v_pk_min_f16 v50, v26, v6
	v_pk_add_f16 v2, v9, v21
	;; [unrolled: 4-line block ×3, first 2 shown]
	v_pk_min_f16 v52, v82, v4
	v_pk_min_f16 v48, v90, v8
	v_pk_add_f16 v4, v11, v21
	v_pk_add_f16 v8, v7, v21
	v_pk_min_f16 v49, v124, v2
	v_pk_min_f16 v45, v106, v6
	v_pk_add_f16 v2, v3, v21
	v_pk_add_f16 v6, v15, v23
	v_pk_min_f16 v28, v123, v10
	v_pk_add_f16 v10, v1, v21
	v_pk_min_f16 v47, v98, v4
	v_pk_min_f16 v30, v122, v8
	v_pk_add_f16 v4, v13, v23
	v_pk_add_f16 v8, v9, v23
	v_pk_min_f16 v31, v20, v2
	v_pk_min_f16 v27, v127, v6
	v_pk_add_f16 v2, v5, v23
	v_pk_add_f16 v6, v1, v23
	;; [unrolled: 1-line block ×3, first 2 shown]
	v_pk_min_f16 v24, v125, v10
	v_pk_add_f16 v10, v11, v23
	v_pk_min_f16 v29, v126, v4
	v_pk_min_f16 v25, v128, v8
	v_pk_add_f16 v4, v7, v23
	v_pk_add_f16 v8, v3, v23
	v_pk_min_f16 v26, v130, v2
	v_pk_min_f16 v22, v132, v6
	v_pk_add_f16 v2, v15, v17
	v_pk_add_f16 v6, v11, v17
	v_pk_min_f16 v16, v129, v10
	v_pk_add_f16 v10, v13, v17
	v_pk_min_f16 v23, v131, v4
	v_pk_min_f16 v20, v133, v8
	v_pk_add_f16 v4, v9, v17
	v_pk_add_f16 v8, v5, v17
	;; [unrolled: 1-line block ×3, first 2 shown]
	v_pk_min_f16 v21, v135, v2
	v_pk_min_f16 v14, v137, v6
	v_pk_add_f16 v2, v1, v17
	v_pk_add_f16 v6, v3, v17
	;; [unrolled: 1-line block ×4, first 2 shown]
	v_pk_min_f16 v74, v107, v12
	v_pk_min_f16 v12, v138, v8
	v_pk_add_f16 v8, v13, v19
	v_pk_min_f16 v13, v140, v2
	v_pk_min_f16 v9, v141, v6
	;; [unrolled: 1-line block ×4, first 2 shown]
	v_pk_add_f16 v11, v11, v19
	v_pk_add_f16 v5, v5, v19
	;; [unrolled: 1-line block ×5, first 2 shown]
	v_pk_min_f16 v10, v134, v10
	v_pk_min_f16 v18, v136, v4
	;; [unrolled: 1-line block ×9, first 2 shown]
	s_or_b32 s5, s4, s5
	s_delay_alu instid0(SALU_CYCLE_1) | instskip(NEXT) | instid1(SALU_CYCLE_1)
	s_xor_b32 s5, s5, -1
	s_and_saveexec_b32 s6, s5
	s_cbranch_execz .LBB280_31
; %bb.51:                               ;   in Loop: Header=BB280_32 Depth=1
	v_add_co_u32 v84, s5, v115, v34
	s_delay_alu instid0(VALU_DEP_1)
	v_add_co_ci_u32_e64 v85, s5, v116, v35, s5
	flat_load_u16 v120, v[84:85] offset:384
	s_branch .LBB280_31
.LBB280_52:
	s_clause 0x2
	s_load_b64 s[2:3], s[0:1], 0x70
	s_load_b32 s14, s[0:1], 0x50
	s_load_b32 s9, s[0:1], 0x68
	v_add_nc_u32_e32 v0, 0x1000, v42
	v_add_nc_u32_e32 v83, s26, v39
	;; [unrolled: 1-line block ×4, first 2 shown]
	ds_load_2addr_b64 v[16:19], v0 offset0:64 offset1:72
	ds_load_2addr_b64 v[12:15], v0 offset0:80 offset1:88
	;; [unrolled: 1-line block ×4, first 2 shown]
	ds_load_2addr_b64 v[28:31], v4 offset1:32
	ds_load_2addr_b64 v[24:27], v4 offset0:64 offset1:96
	ds_load_2addr_b64 v[20:23], v4 offset0:128 offset1:160
	;; [unrolled: 1-line block ×3, first 2 shown]
	v_cmp_gt_i32_e64 s8, s17, v83
	v_cndmask_b32_e64 v76, 0, 1, s7
	v_cmp_gt_i32_e64 s0, s16, v32
	v_ashrrev_i32_e32 v33, 31, v32
	s_waitcnt lgkmcnt(0)
	s_mul_i32 s1, s15, s3
	v_mad_i64_i32 v[34:35], null, v83, s14, 0
	v_mad_i64_i32 v[36:37], null, v83, s9, 0
	s_mul_hi_u32 s3, s15, s2
	s_mul_i32 s4, s24, s2
	s_add_i32 s1, s3, s1
	s_mul_i32 s2, s15, s2
	s_delay_alu instid0(VALU_DEP_2) | instskip(SKIP_1) | instid1(VALU_DEP_2)
	v_lshlrev_b64 v[34:35], 1, v[34:35]
	s_add_i32 s3, s1, s4
	v_lshlrev_b64 v[36:37], 1, v[36:37]
	s_lshl_b64 s[2:3], s[2:3], 1
	s_delay_alu instid0(SALU_CYCLE_1) | instskip(NEXT) | instid1(VALU_DEP_2)
	s_add_u32 s10, s10, s2
	v_add_co_u32 v113, vcc_lo, s12, v34
	v_add_co_ci_u32_e32 v114, vcc_lo, s13, v35, vcc_lo
	s_addc_u32 s11, s11, s3
	v_add_co_u32 v111, vcc_lo, s10, v36
	v_add_co_ci_u32_e32 v112, vcc_lo, s11, v37, vcc_lo
	s_and_b32 s1, s0, s8
	s_delay_alu instid0(SALU_CYCLE_1) | instskip(NEXT) | instid1(SALU_CYCLE_1)
	s_and_saveexec_b32 s2, s1
	s_xor_b32 s1, exec_lo, s2
	s_cbranch_execz .LBB280_57
; %bb.53:
	s_and_not1_b32 vcc_lo, exec_lo, s7
	s_cbranch_vccnz .LBB280_55
; %bb.54:
	v_lshlrev_b64 v[34:35], 1, v[32:33]
	s_delay_alu instid0(VALU_DEP_1) | instskip(NEXT) | instid1(VALU_DEP_2)
	v_add_co_u32 v34, vcc_lo, v113, v34
	v_add_co_ci_u32_e32 v35, vcc_lo, v114, v35, vcc_lo
	flat_load_u16 v34, v[34:35]
	s_waitcnt vmcnt(0) lgkmcnt(0)
	v_mul_f16_e32 v34, s19, v34
	s_branch .LBB280_56
.LBB280_55:
	v_mov_b32_e32 v34, 0
.LBB280_56:
	v_pk_add_f16 v35, v16, v28
	v_pk_max_f16 v36, v110, v110
	v_pk_add_f16 v37, v17, v29
	s_delay_alu instid0(VALU_DEP_2) | instskip(NEXT) | instid1(VALU_DEP_1)
	v_pk_min_f16 v35, v36, v35
	v_pk_min_f16 v37, v35, v37
	v_lshlrev_b64 v[35:36], 1, v[32:33]
	s_delay_alu instid0(VALU_DEP_2) | instskip(NEXT) | instid1(VALU_DEP_1)
	v_lshrrev_b32_e32 v38, 16, v37
	v_min3_f16 v37, v34, v37, v38
	s_delay_alu instid0(VALU_DEP_3) | instskip(NEXT) | instid1(VALU_DEP_4)
	v_add_co_u32 v34, vcc_lo, v111, v35
	v_add_co_ci_u32_e32 v35, vcc_lo, v112, v36, vcc_lo
	global_store_b16 v[34:35], v37, off
.LBB280_57:
	s_or_b32 exec_lo, exec_lo, s1
	v_add_nc_u32_e32 v34, 8, v32
	s_delay_alu instid0(VALU_DEP_1) | instskip(SKIP_1) | instid1(VALU_DEP_2)
	v_cmp_gt_i32_e64 s1, s16, v34
	v_ashrrev_i32_e32 v35, 31, v34
	s_and_b32 s3, s1, s8
	s_delay_alu instid0(SALU_CYCLE_1)
	s_and_saveexec_b32 s2, s3
	s_cbranch_execz .LBB280_62
; %bb.58:
	v_cmp_ne_u32_e32 vcc_lo, 1, v76
	s_cbranch_vccnz .LBB280_60
; %bb.59:
	v_lshlrev_b64 v[36:37], 1, v[34:35]
	s_delay_alu instid0(VALU_DEP_1) | instskip(NEXT) | instid1(VALU_DEP_2)
	v_add_co_u32 v36, vcc_lo, v113, v36
	v_add_co_ci_u32_e32 v37, vcc_lo, v114, v37, vcc_lo
	flat_load_u16 v36, v[36:37]
	s_waitcnt vmcnt(0) lgkmcnt(0)
	v_mul_f16_e32 v36, s19, v36
	s_branch .LBB280_61
.LBB280_60:
	v_mov_b32_e32 v36, 0
.LBB280_61:
	v_pk_add_f16 v37, v18, v28
	v_pk_max_f16 v38, v109, v109
	v_pk_add_f16 v39, v19, v29
	s_delay_alu instid0(VALU_DEP_2) | instskip(NEXT) | instid1(VALU_DEP_1)
	v_pk_min_f16 v37, v38, v37
	v_pk_min_f16 v39, v37, v39
	v_lshlrev_b64 v[37:38], 1, v[34:35]
	s_delay_alu instid0(VALU_DEP_2) | instskip(NEXT) | instid1(VALU_DEP_1)
	v_lshrrev_b32_e32 v40, 16, v39
	v_min3_f16 v39, v36, v39, v40
	s_delay_alu instid0(VALU_DEP_3) | instskip(NEXT) | instid1(VALU_DEP_4)
	v_add_co_u32 v36, vcc_lo, v111, v37
	v_add_co_ci_u32_e32 v37, vcc_lo, v112, v38, vcc_lo
	global_store_b16 v[36:37], v39, off
.LBB280_62:
	s_or_b32 exec_lo, exec_lo, s2
	v_add_nc_u32_e32 v36, 16, v32
	s_delay_alu instid0(VALU_DEP_1) | instskip(SKIP_1) | instid1(VALU_DEP_2)
	v_cmp_gt_i32_e64 s2, s16, v36
	v_ashrrev_i32_e32 v37, 31, v36
	s_and_b32 s4, s2, s8
	s_delay_alu instid0(SALU_CYCLE_1)
	s_and_saveexec_b32 s3, s4
	s_cbranch_execz .LBB280_67
; %bb.63:
	v_cmp_ne_u32_e32 vcc_lo, 1, v76
	s_cbranch_vccnz .LBB280_65
; %bb.64:
	v_lshlrev_b64 v[38:39], 1, v[36:37]
	s_delay_alu instid0(VALU_DEP_1) | instskip(NEXT) | instid1(VALU_DEP_2)
	v_add_co_u32 v38, vcc_lo, v113, v38
	v_add_co_ci_u32_e32 v39, vcc_lo, v114, v39, vcc_lo
	flat_load_u16 v38, v[38:39]
	s_waitcnt vmcnt(0) lgkmcnt(0)
	v_mul_f16_e32 v38, s19, v38
	s_branch .LBB280_66
.LBB280_65:
	v_mov_b32_e32 v38, 0
.LBB280_66:
	v_pk_add_f16 v39, v12, v28
	v_pk_max_f16 v40, v108, v108
	v_pk_add_f16 v41, v13, v29
	s_delay_alu instid0(VALU_DEP_2) | instskip(NEXT) | instid1(VALU_DEP_1)
	v_pk_min_f16 v39, v40, v39
	v_pk_min_f16 v41, v39, v41
	v_lshlrev_b64 v[39:40], 1, v[36:37]
	s_delay_alu instid0(VALU_DEP_2) | instskip(NEXT) | instid1(VALU_DEP_1)
	v_lshrrev_b32_e32 v42, 16, v41
	v_min3_f16 v41, v38, v41, v42
	s_delay_alu instid0(VALU_DEP_3) | instskip(NEXT) | instid1(VALU_DEP_4)
	v_add_co_u32 v38, vcc_lo, v111, v39
	v_add_co_ci_u32_e32 v39, vcc_lo, v112, v40, vcc_lo
	global_store_b16 v[38:39], v41, off
.LBB280_67:
	;; [unrolled: 39-line block ×6, first 2 shown]
	s_or_b32 exec_lo, exec_lo, s7
	v_add_nc_u32_e32 v46, 56, v32
	s_delay_alu instid0(VALU_DEP_1) | instskip(SKIP_1) | instid1(VALU_DEP_2)
	v_cmp_gt_i32_e64 s7, s16, v46
	v_ashrrev_i32_e32 v47, 31, v46
	s_and_b32 s15, s7, s8
	s_delay_alu instid0(SALU_CYCLE_1)
	s_and_saveexec_b32 s8, s15
	s_cbranch_execz .LBB280_92
; %bb.88:
	v_cmp_ne_u32_e32 vcc_lo, 1, v76
	s_cbranch_vccnz .LBB280_90
; %bb.89:
	v_lshlrev_b64 v[107:108], 1, v[46:47]
	s_delay_alu instid0(VALU_DEP_1) | instskip(NEXT) | instid1(VALU_DEP_2)
	v_add_co_u32 v107, vcc_lo, v113, v107
	v_add_co_ci_u32_e32 v108, vcc_lo, v114, v108, vcc_lo
	flat_load_u16 v107, v[107:108]
	s_waitcnt vmcnt(0) lgkmcnt(0)
	v_mul_f16_e32 v107, s19, v107
	s_branch .LBB280_91
.LBB280_90:
	v_mov_b32_e32 v107, 0
.LBB280_91:
	v_pk_add_f16 v28, v2, v28
	v_pk_max_f16 v106, v106, v106
	v_pk_add_f16 v29, v3, v29
	s_delay_alu instid0(VALU_DEP_2) | instskip(NEXT) | instid1(VALU_DEP_1)
	v_pk_min_f16 v28, v106, v28
	v_pk_min_f16 v106, v28, v29
	v_lshlrev_b64 v[28:29], 1, v[46:47]
	s_delay_alu instid0(VALU_DEP_2) | instskip(NEXT) | instid1(VALU_DEP_2)
	v_lshrrev_b32_e32 v108, 16, v106
	v_add_co_u32 v28, vcc_lo, v111, v28
	s_delay_alu instid0(VALU_DEP_3) | instskip(NEXT) | instid1(VALU_DEP_3)
	v_add_co_ci_u32_e32 v29, vcc_lo, v112, v29, vcc_lo
	v_min3_f16 v106, v107, v106, v108
	global_store_b16 v[28:29], v106, off
.LBB280_92:
	s_or_b32 exec_lo, exec_lo, s8
	v_add_nc_u32_e32 v108, 32, v83
	s_delay_alu instid0(VALU_DEP_1) | instskip(SKIP_2) | instid1(VALU_DEP_3)
	v_mad_i64_i32 v[28:29], null, v108, s14, 0
	v_mad_i64_i32 v[106:107], null, v108, s9, 0
	v_cmp_gt_i32_e64 s8, s17, v108
	v_lshlrev_b64 v[28:29], 1, v[28:29]
	s_delay_alu instid0(VALU_DEP_2) | instskip(NEXT) | instid1(VALU_DEP_3)
	s_and_b32 s16, s0, s8
	v_lshlrev_b64 v[108:109], 1, v[106:107]
	s_delay_alu instid0(VALU_DEP_2) | instskip(NEXT) | instid1(VALU_DEP_3)
	v_add_co_u32 v106, vcc_lo, s12, v28
	v_add_co_ci_u32_e32 v107, vcc_lo, s13, v29, vcc_lo
	s_delay_alu instid0(VALU_DEP_3) | instskip(NEXT) | instid1(VALU_DEP_4)
	v_add_co_u32 v28, vcc_lo, s10, v108
	v_add_co_ci_u32_e32 v29, vcc_lo, s11, v109, vcc_lo
	s_and_saveexec_b32 s15, s16
	s_cbranch_execnz .LBB280_100
; %bb.93:
	s_or_b32 exec_lo, exec_lo, s15
	s_and_b32 s16, s1, s8
	s_delay_alu instid0(SALU_CYCLE_1)
	s_and_saveexec_b32 s15, s16
	s_cbranch_execnz .LBB280_104
.LBB280_94:
	s_or_b32 exec_lo, exec_lo, s15
	s_and_b32 s16, s2, s8
	s_delay_alu instid0(SALU_CYCLE_1)
	s_and_saveexec_b32 s15, s16
	s_cbranch_execnz .LBB280_108
.LBB280_95:
	s_or_b32 exec_lo, exec_lo, s15
	s_and_b32 s16, s3, s8
	s_delay_alu instid0(SALU_CYCLE_1)
	s_and_saveexec_b32 s15, s16
	s_cbranch_execnz .LBB280_112
.LBB280_96:
	s_or_b32 exec_lo, exec_lo, s15
	s_and_b32 s16, s4, s8
	s_delay_alu instid0(SALU_CYCLE_1)
	s_and_saveexec_b32 s15, s16
	s_cbranch_execnz .LBB280_116
.LBB280_97:
	s_or_b32 exec_lo, exec_lo, s15
	s_and_b32 s16, s5, s8
	s_delay_alu instid0(SALU_CYCLE_1)
	s_and_saveexec_b32 s15, s16
	s_cbranch_execnz .LBB280_120
.LBB280_98:
	s_or_b32 exec_lo, exec_lo, s15
	s_and_b32 s16, s6, s8
	s_delay_alu instid0(SALU_CYCLE_1)
	s_and_saveexec_b32 s15, s16
	s_cbranch_execnz .LBB280_124
.LBB280_99:
	s_or_b32 exec_lo, exec_lo, s15
	s_and_b32 s15, s7, s8
	s_delay_alu instid0(SALU_CYCLE_1)
	s_and_saveexec_b32 s8, s15
	s_cbranch_execnz .LBB280_128
	s_branch .LBB280_132
.LBB280_100:
	v_cmp_ne_u32_e32 vcc_lo, 1, v76
	s_cbranch_vccnz .LBB280_102
; %bb.101:
	v_lshlrev_b64 v[108:109], 1, v[32:33]
	s_delay_alu instid0(VALU_DEP_1) | instskip(NEXT) | instid1(VALU_DEP_2)
	v_add_co_u32 v108, vcc_lo, v106, v108
	v_add_co_ci_u32_e32 v109, vcc_lo, v107, v109, vcc_lo
	flat_load_u16 v108, v[108:109]
	s_waitcnt vmcnt(0) lgkmcnt(0)
	v_mul_f16_e32 v108, s19, v108
	s_branch .LBB280_103
.LBB280_102:
	v_mov_b32_e32 v108, 0
.LBB280_103:
	v_pk_add_f16 v109, v16, v30
	v_pk_max_f16 v105, v105, v105
	v_pk_add_f16 v110, v17, v31
	s_delay_alu instid0(VALU_DEP_2) | instskip(NEXT) | instid1(VALU_DEP_1)
	v_pk_min_f16 v105, v105, v109
	v_pk_min_f16 v105, v105, v110
	v_lshlrev_b64 v[109:110], 1, v[32:33]
	s_delay_alu instid0(VALU_DEP_2) | instskip(NEXT) | instid1(VALU_DEP_1)
	v_lshrrev_b32_e32 v111, 16, v105
	v_min3_f16 v105, v108, v105, v111
	s_delay_alu instid0(VALU_DEP_3) | instskip(NEXT) | instid1(VALU_DEP_4)
	v_add_co_u32 v108, vcc_lo, v28, v109
	v_add_co_ci_u32_e32 v109, vcc_lo, v29, v110, vcc_lo
	global_store_b16 v[108:109], v105, off
	s_or_b32 exec_lo, exec_lo, s15
	s_and_b32 s16, s1, s8
	s_delay_alu instid0(SALU_CYCLE_1)
	s_and_saveexec_b32 s15, s16
	s_cbranch_execz .LBB280_94
.LBB280_104:
	v_cmp_ne_u32_e32 vcc_lo, 1, v76
	s_cbranch_vccnz .LBB280_106
; %bb.105:
	v_lshlrev_b64 v[108:109], 1, v[34:35]
	s_delay_alu instid0(VALU_DEP_1) | instskip(NEXT) | instid1(VALU_DEP_2)
	v_add_co_u32 v108, vcc_lo, v106, v108
	v_add_co_ci_u32_e32 v109, vcc_lo, v107, v109, vcc_lo
	flat_load_u16 v105, v[108:109]
	s_waitcnt vmcnt(0) lgkmcnt(0)
	v_mul_f16_e32 v105, s19, v105
	s_branch .LBB280_107
.LBB280_106:
	v_mov_b32_e32 v105, 0
.LBB280_107:
	v_pk_add_f16 v108, v18, v30
	v_pk_max_f16 v104, v104, v104
	v_pk_add_f16 v109, v19, v31
	s_delay_alu instid0(VALU_DEP_2) | instskip(NEXT) | instid1(VALU_DEP_1)
	v_pk_min_f16 v104, v104, v108
	v_pk_min_f16 v104, v104, v109
	v_lshlrev_b64 v[108:109], 1, v[34:35]
	s_delay_alu instid0(VALU_DEP_2) | instskip(NEXT) | instid1(VALU_DEP_1)
	v_lshrrev_b32_e32 v110, 16, v104
	v_min3_f16 v110, v105, v104, v110
	s_delay_alu instid0(VALU_DEP_3) | instskip(NEXT) | instid1(VALU_DEP_4)
	v_add_co_u32 v104, vcc_lo, v28, v108
	v_add_co_ci_u32_e32 v105, vcc_lo, v29, v109, vcc_lo
	global_store_b16 v[104:105], v110, off
	s_or_b32 exec_lo, exec_lo, s15
	s_and_b32 s16, s2, s8
	s_delay_alu instid0(SALU_CYCLE_1)
	s_and_saveexec_b32 s15, s16
	s_cbranch_execz .LBB280_95
.LBB280_108:
	v_cmp_ne_u32_e32 vcc_lo, 1, v76
	s_cbranch_vccnz .LBB280_110
; %bb.109:
	v_lshlrev_b64 v[104:105], 1, v[36:37]
	s_delay_alu instid0(VALU_DEP_1) | instskip(NEXT) | instid1(VALU_DEP_2)
	v_add_co_u32 v104, vcc_lo, v106, v104
	v_add_co_ci_u32_e32 v105, vcc_lo, v107, v105, vcc_lo
	flat_load_u16 v104, v[104:105]
	s_waitcnt vmcnt(0) lgkmcnt(0)
	v_mul_f16_e32 v104, s19, v104
	s_branch .LBB280_111
.LBB280_110:
	v_mov_b32_e32 v104, 0
.LBB280_111:
	v_pk_add_f16 v105, v12, v30
	v_pk_max_f16 v103, v103, v103
	v_pk_add_f16 v108, v13, v31
	s_delay_alu instid0(VALU_DEP_2) | instskip(NEXT) | instid1(VALU_DEP_1)
	v_pk_min_f16 v103, v103, v105
	v_pk_min_f16 v103, v103, v108
	v_lshlrev_b64 v[108:109], 1, v[36:37]
	s_delay_alu instid0(VALU_DEP_2) | instskip(NEXT) | instid1(VALU_DEP_1)
	v_lshrrev_b32_e32 v105, 16, v103
	v_min3_f16 v105, v104, v103, v105
	s_delay_alu instid0(VALU_DEP_3) | instskip(NEXT) | instid1(VALU_DEP_4)
	v_add_co_u32 v103, vcc_lo, v28, v108
	v_add_co_ci_u32_e32 v104, vcc_lo, v29, v109, vcc_lo
	global_store_b16 v[103:104], v105, off
	s_or_b32 exec_lo, exec_lo, s15
	s_and_b32 s16, s3, s8
	s_delay_alu instid0(SALU_CYCLE_1)
	s_and_saveexec_b32 s15, s16
	s_cbranch_execz .LBB280_96
.LBB280_112:
	v_cmp_ne_u32_e32 vcc_lo, 1, v76
	s_cbranch_vccnz .LBB280_114
; %bb.113:
	v_lshlrev_b64 v[103:104], 1, v[38:39]
	s_delay_alu instid0(VALU_DEP_1) | instskip(NEXT) | instid1(VALU_DEP_2)
	v_add_co_u32 v103, vcc_lo, v106, v103
	v_add_co_ci_u32_e32 v104, vcc_lo, v107, v104, vcc_lo
	flat_load_u16 v103, v[103:104]
	s_waitcnt vmcnt(0) lgkmcnt(0)
	v_mul_f16_e32 v103, s19, v103
	s_branch .LBB280_115
.LBB280_114:
	v_mov_b32_e32 v103, 0
.LBB280_115:
	v_pk_add_f16 v104, v14, v30
	v_pk_max_f16 v102, v102, v102
	v_pk_add_f16 v105, v15, v31
	s_delay_alu instid0(VALU_DEP_2) | instskip(NEXT) | instid1(VALU_DEP_1)
	v_pk_min_f16 v102, v102, v104
	v_pk_min_f16 v102, v102, v105
	v_lshlrev_b64 v[104:105], 1, v[38:39]
	s_delay_alu instid0(VALU_DEP_2) | instskip(NEXT) | instid1(VALU_DEP_1)
	v_lshrrev_b32_e32 v108, 16, v102
	v_min3_f16 v108, v103, v102, v108
	s_delay_alu instid0(VALU_DEP_3) | instskip(NEXT) | instid1(VALU_DEP_4)
	v_add_co_u32 v102, vcc_lo, v28, v104
	v_add_co_ci_u32_e32 v103, vcc_lo, v29, v105, vcc_lo
	global_store_b16 v[102:103], v108, off
	s_or_b32 exec_lo, exec_lo, s15
	s_and_b32 s16, s4, s8
	s_delay_alu instid0(SALU_CYCLE_1)
	s_and_saveexec_b32 s15, s16
	s_cbranch_execz .LBB280_97
.LBB280_116:
	v_cmp_ne_u32_e32 vcc_lo, 1, v76
	s_cbranch_vccnz .LBB280_118
; %bb.117:
	v_lshlrev_b64 v[102:103], 1, v[40:41]
	s_delay_alu instid0(VALU_DEP_1) | instskip(NEXT) | instid1(VALU_DEP_2)
	v_add_co_u32 v102, vcc_lo, v106, v102
	v_add_co_ci_u32_e32 v103, vcc_lo, v107, v103, vcc_lo
	flat_load_u16 v102, v[102:103]
	s_waitcnt vmcnt(0) lgkmcnt(0)
	v_mul_f16_e32 v102, s19, v102
	s_branch .LBB280_119
.LBB280_118:
	v_mov_b32_e32 v102, 0
.LBB280_119:
	v_pk_add_f16 v103, v8, v30
	v_pk_max_f16 v101, v101, v101
	v_pk_add_f16 v104, v9, v31
	s_delay_alu instid0(VALU_DEP_2) | instskip(NEXT) | instid1(VALU_DEP_1)
	v_pk_min_f16 v101, v101, v103
	v_pk_min_f16 v101, v101, v104
	v_lshlrev_b64 v[103:104], 1, v[40:41]
	s_delay_alu instid0(VALU_DEP_2) | instskip(NEXT) | instid1(VALU_DEP_1)
	v_lshrrev_b32_e32 v105, 16, v101
	v_min3_f16 v105, v102, v101, v105
	s_delay_alu instid0(VALU_DEP_3) | instskip(NEXT) | instid1(VALU_DEP_4)
	v_add_co_u32 v101, vcc_lo, v28, v103
	v_add_co_ci_u32_e32 v102, vcc_lo, v29, v104, vcc_lo
	global_store_b16 v[101:102], v105, off
	s_or_b32 exec_lo, exec_lo, s15
	s_and_b32 s16, s5, s8
	s_delay_alu instid0(SALU_CYCLE_1)
	s_and_saveexec_b32 s15, s16
	s_cbranch_execz .LBB280_98
.LBB280_120:
	v_cmp_ne_u32_e32 vcc_lo, 1, v76
	s_cbranch_vccnz .LBB280_122
; %bb.121:
	v_lshlrev_b64 v[101:102], 1, v[42:43]
	s_delay_alu instid0(VALU_DEP_1) | instskip(NEXT) | instid1(VALU_DEP_2)
	v_add_co_u32 v101, vcc_lo, v106, v101
	v_add_co_ci_u32_e32 v102, vcc_lo, v107, v102, vcc_lo
	flat_load_u16 v101, v[101:102]
	s_waitcnt vmcnt(0) lgkmcnt(0)
	v_mul_f16_e32 v101, s19, v101
	s_branch .LBB280_123
.LBB280_122:
	v_mov_b32_e32 v101, 0
.LBB280_123:
	v_pk_add_f16 v102, v10, v30
	v_pk_max_f16 v100, v100, v100
	v_pk_add_f16 v103, v11, v31
	s_delay_alu instid0(VALU_DEP_2) | instskip(NEXT) | instid1(VALU_DEP_1)
	v_pk_min_f16 v100, v100, v102
	v_pk_min_f16 v100, v100, v103
	v_lshlrev_b64 v[102:103], 1, v[42:43]
	s_delay_alu instid0(VALU_DEP_2) | instskip(NEXT) | instid1(VALU_DEP_1)
	v_lshrrev_b32_e32 v104, 16, v100
	v_min3_f16 v104, v101, v100, v104
	s_delay_alu instid0(VALU_DEP_3) | instskip(NEXT) | instid1(VALU_DEP_4)
	v_add_co_u32 v100, vcc_lo, v28, v102
	v_add_co_ci_u32_e32 v101, vcc_lo, v29, v103, vcc_lo
	global_store_b16 v[100:101], v104, off
	s_or_b32 exec_lo, exec_lo, s15
	s_and_b32 s16, s6, s8
	s_delay_alu instid0(SALU_CYCLE_1)
	s_and_saveexec_b32 s15, s16
	s_cbranch_execz .LBB280_99
.LBB280_124:
	v_cmp_ne_u32_e32 vcc_lo, 1, v76
	s_cbranch_vccnz .LBB280_126
; %bb.125:
	v_lshlrev_b64 v[100:101], 1, v[44:45]
	s_delay_alu instid0(VALU_DEP_1) | instskip(NEXT) | instid1(VALU_DEP_2)
	v_add_co_u32 v100, vcc_lo, v106, v100
	v_add_co_ci_u32_e32 v101, vcc_lo, v107, v101, vcc_lo
	flat_load_u16 v100, v[100:101]
	s_waitcnt vmcnt(0) lgkmcnt(0)
	v_mul_f16_e32 v100, s19, v100
	s_branch .LBB280_127
.LBB280_126:
	v_mov_b32_e32 v100, 0
.LBB280_127:
	v_pk_add_f16 v101, v0, v30
	v_pk_max_f16 v99, v99, v99
	v_pk_add_f16 v102, v1, v31
	s_delay_alu instid0(VALU_DEP_2) | instskip(NEXT) | instid1(VALU_DEP_1)
	v_pk_min_f16 v99, v99, v101
	v_pk_min_f16 v99, v99, v102
	v_lshlrev_b64 v[101:102], 1, v[44:45]
	s_delay_alu instid0(VALU_DEP_2) | instskip(NEXT) | instid1(VALU_DEP_1)
	v_lshrrev_b32_e32 v103, 16, v99
	v_min3_f16 v103, v100, v99, v103
	s_delay_alu instid0(VALU_DEP_3) | instskip(NEXT) | instid1(VALU_DEP_4)
	v_add_co_u32 v99, vcc_lo, v28, v101
	v_add_co_ci_u32_e32 v100, vcc_lo, v29, v102, vcc_lo
	global_store_b16 v[99:100], v103, off
	s_or_b32 exec_lo, exec_lo, s15
	s_and_b32 s15, s7, s8
	s_delay_alu instid0(SALU_CYCLE_1)
	s_and_saveexec_b32 s8, s15
	s_cbranch_execz .LBB280_132
.LBB280_128:
	v_cmp_ne_u32_e32 vcc_lo, 1, v76
	s_cbranch_vccnz .LBB280_130
; %bb.129:
	v_lshlrev_b64 v[99:100], 1, v[46:47]
	s_delay_alu instid0(VALU_DEP_1) | instskip(NEXT) | instid1(VALU_DEP_2)
	v_add_co_u32 v99, vcc_lo, v106, v99
	v_add_co_ci_u32_e32 v100, vcc_lo, v107, v100, vcc_lo
	flat_load_u16 v99, v[99:100]
	s_waitcnt vmcnt(0) lgkmcnt(0)
	v_mul_f16_e32 v99, s19, v99
	s_branch .LBB280_131
.LBB280_130:
	v_mov_b32_e32 v99, 0
.LBB280_131:
	v_pk_add_f16 v30, v2, v30
	v_pk_max_f16 v98, v98, v98
	v_pk_add_f16 v31, v3, v31
	s_delay_alu instid0(VALU_DEP_2) | instskip(NEXT) | instid1(VALU_DEP_1)
	v_pk_min_f16 v30, v98, v30
	v_pk_min_f16 v98, v30, v31
	v_lshlrev_b64 v[30:31], 1, v[46:47]
	s_delay_alu instid0(VALU_DEP_2) | instskip(NEXT) | instid1(VALU_DEP_2)
	v_lshrrev_b32_e32 v100, 16, v98
	v_add_co_u32 v28, vcc_lo, v28, v30
	s_delay_alu instid0(VALU_DEP_3) | instskip(NEXT) | instid1(VALU_DEP_3)
	v_add_co_ci_u32_e32 v29, vcc_lo, v29, v31, vcc_lo
	v_min3_f16 v98, v99, v98, v100
	global_store_b16 v[28:29], v98, off
.LBB280_132:
	s_or_b32 exec_lo, exec_lo, s8
	v_add_nc_u32_e32 v98, 64, v83
	s_delay_alu instid0(VALU_DEP_1) | instskip(SKIP_2) | instid1(VALU_DEP_3)
	v_mad_i64_i32 v[28:29], null, v98, s14, 0
	v_mad_i64_i32 v[30:31], null, v98, s9, 0
	v_cmp_gt_i32_e64 s8, s17, v98
	v_lshlrev_b64 v[28:29], 1, v[28:29]
	s_delay_alu instid0(VALU_DEP_2) | instskip(NEXT) | instid1(VALU_DEP_3)
	s_and_b32 s16, s0, s8
	v_lshlrev_b64 v[98:99], 1, v[30:31]
	s_delay_alu instid0(VALU_DEP_2) | instskip(NEXT) | instid1(VALU_DEP_3)
	v_add_co_u32 v30, vcc_lo, s12, v28
	v_add_co_ci_u32_e32 v31, vcc_lo, s13, v29, vcc_lo
	s_delay_alu instid0(VALU_DEP_3) | instskip(NEXT) | instid1(VALU_DEP_4)
	v_add_co_u32 v28, vcc_lo, s10, v98
	v_add_co_ci_u32_e32 v29, vcc_lo, s11, v99, vcc_lo
	s_and_saveexec_b32 s15, s16
	s_cbranch_execnz .LBB280_140
; %bb.133:
	s_or_b32 exec_lo, exec_lo, s15
	s_and_b32 s16, s1, s8
	s_delay_alu instid0(SALU_CYCLE_1)
	s_and_saveexec_b32 s15, s16
	s_cbranch_execnz .LBB280_144
.LBB280_134:
	s_or_b32 exec_lo, exec_lo, s15
	s_and_b32 s16, s2, s8
	s_delay_alu instid0(SALU_CYCLE_1)
	s_and_saveexec_b32 s15, s16
	s_cbranch_execnz .LBB280_148
.LBB280_135:
	s_or_b32 exec_lo, exec_lo, s15
	s_and_b32 s16, s3, s8
	s_delay_alu instid0(SALU_CYCLE_1)
	s_and_saveexec_b32 s15, s16
	s_cbranch_execnz .LBB280_152
.LBB280_136:
	s_or_b32 exec_lo, exec_lo, s15
	s_and_b32 s16, s4, s8
	s_delay_alu instid0(SALU_CYCLE_1)
	s_and_saveexec_b32 s15, s16
	s_cbranch_execnz .LBB280_156
.LBB280_137:
	s_or_b32 exec_lo, exec_lo, s15
	s_and_b32 s16, s5, s8
	s_delay_alu instid0(SALU_CYCLE_1)
	s_and_saveexec_b32 s15, s16
	s_cbranch_execnz .LBB280_160
.LBB280_138:
	s_or_b32 exec_lo, exec_lo, s15
	s_and_b32 s16, s6, s8
	s_delay_alu instid0(SALU_CYCLE_1)
	s_and_saveexec_b32 s15, s16
	s_cbranch_execnz .LBB280_164
.LBB280_139:
	s_or_b32 exec_lo, exec_lo, s15
	s_and_b32 s15, s7, s8
	s_delay_alu instid0(SALU_CYCLE_1)
	s_and_saveexec_b32 s8, s15
	s_cbranch_execnz .LBB280_168
	s_branch .LBB280_172
.LBB280_140:
	v_cmp_ne_u32_e32 vcc_lo, 1, v76
	s_cbranch_vccnz .LBB280_142
; %bb.141:
	v_lshlrev_b64 v[98:99], 1, v[32:33]
	s_delay_alu instid0(VALU_DEP_1) | instskip(NEXT) | instid1(VALU_DEP_2)
	v_add_co_u32 v98, vcc_lo, v30, v98
	v_add_co_ci_u32_e32 v99, vcc_lo, v31, v99, vcc_lo
	flat_load_u16 v98, v[98:99]
	s_waitcnt vmcnt(0) lgkmcnt(0)
	v_mul_f16_e32 v98, s19, v98
	s_branch .LBB280_143
.LBB280_142:
	v_mov_b32_e32 v98, 0
.LBB280_143:
	v_pk_add_f16 v99, v16, v24
	v_pk_max_f16 v97, v97, v97
	v_pk_add_f16 v100, v17, v25
	s_delay_alu instid0(VALU_DEP_2) | instskip(NEXT) | instid1(VALU_DEP_1)
	v_pk_min_f16 v97, v97, v99
	v_pk_min_f16 v97, v97, v100
	v_lshlrev_b64 v[99:100], 1, v[32:33]
	s_delay_alu instid0(VALU_DEP_2) | instskip(NEXT) | instid1(VALU_DEP_1)
	v_lshrrev_b32_e32 v101, 16, v97
	v_min3_f16 v101, v98, v97, v101
	s_delay_alu instid0(VALU_DEP_3) | instskip(NEXT) | instid1(VALU_DEP_4)
	v_add_co_u32 v97, vcc_lo, v28, v99
	v_add_co_ci_u32_e32 v98, vcc_lo, v29, v100, vcc_lo
	global_store_b16 v[97:98], v101, off
	s_or_b32 exec_lo, exec_lo, s15
	s_and_b32 s16, s1, s8
	s_delay_alu instid0(SALU_CYCLE_1)
	s_and_saveexec_b32 s15, s16
	s_cbranch_execz .LBB280_134
.LBB280_144:
	v_cmp_ne_u32_e32 vcc_lo, 1, v76
	s_cbranch_vccnz .LBB280_146
; %bb.145:
	v_lshlrev_b64 v[97:98], 1, v[34:35]
	s_delay_alu instid0(VALU_DEP_1) | instskip(NEXT) | instid1(VALU_DEP_2)
	v_add_co_u32 v97, vcc_lo, v30, v97
	v_add_co_ci_u32_e32 v98, vcc_lo, v31, v98, vcc_lo
	flat_load_u16 v97, v[97:98]
	s_waitcnt vmcnt(0) lgkmcnt(0)
	v_mul_f16_e32 v97, s19, v97
	s_branch .LBB280_147
.LBB280_146:
	v_mov_b32_e32 v97, 0
.LBB280_147:
	v_pk_add_f16 v98, v18, v24
	v_pk_max_f16 v96, v96, v96
	v_pk_add_f16 v99, v19, v25
	s_delay_alu instid0(VALU_DEP_2) | instskip(NEXT) | instid1(VALU_DEP_1)
	v_pk_min_f16 v96, v96, v98
	v_pk_min_f16 v96, v96, v99
	v_lshlrev_b64 v[98:99], 1, v[34:35]
	s_delay_alu instid0(VALU_DEP_2) | instskip(NEXT) | instid1(VALU_DEP_1)
	v_lshrrev_b32_e32 v100, 16, v96
	v_min3_f16 v100, v97, v96, v100
	s_delay_alu instid0(VALU_DEP_3) | instskip(NEXT) | instid1(VALU_DEP_4)
	v_add_co_u32 v96, vcc_lo, v28, v98
	v_add_co_ci_u32_e32 v97, vcc_lo, v29, v99, vcc_lo
	global_store_b16 v[96:97], v100, off
	s_or_b32 exec_lo, exec_lo, s15
	s_and_b32 s16, s2, s8
	s_delay_alu instid0(SALU_CYCLE_1)
	s_and_saveexec_b32 s15, s16
	s_cbranch_execz .LBB280_135
.LBB280_148:
	v_cmp_ne_u32_e32 vcc_lo, 1, v76
	s_cbranch_vccnz .LBB280_150
; %bb.149:
	v_lshlrev_b64 v[96:97], 1, v[36:37]
	s_delay_alu instid0(VALU_DEP_1) | instskip(NEXT) | instid1(VALU_DEP_2)
	v_add_co_u32 v96, vcc_lo, v30, v96
	v_add_co_ci_u32_e32 v97, vcc_lo, v31, v97, vcc_lo
	flat_load_u16 v96, v[96:97]
	s_waitcnt vmcnt(0) lgkmcnt(0)
	v_mul_f16_e32 v96, s19, v96
	s_branch .LBB280_151
.LBB280_150:
	v_mov_b32_e32 v96, 0
.LBB280_151:
	v_pk_add_f16 v97, v12, v24
	v_pk_max_f16 v95, v95, v95
	v_pk_add_f16 v98, v13, v25
	s_delay_alu instid0(VALU_DEP_2) | instskip(NEXT) | instid1(VALU_DEP_1)
	v_pk_min_f16 v95, v95, v97
	v_pk_min_f16 v95, v95, v98
	v_lshlrev_b64 v[97:98], 1, v[36:37]
	s_delay_alu instid0(VALU_DEP_2) | instskip(NEXT) | instid1(VALU_DEP_1)
	v_lshrrev_b32_e32 v99, 16, v95
	v_min3_f16 v99, v96, v95, v99
	s_delay_alu instid0(VALU_DEP_3) | instskip(NEXT) | instid1(VALU_DEP_4)
	v_add_co_u32 v95, vcc_lo, v28, v97
	v_add_co_ci_u32_e32 v96, vcc_lo, v29, v98, vcc_lo
	global_store_b16 v[95:96], v99, off
	s_or_b32 exec_lo, exec_lo, s15
	s_and_b32 s16, s3, s8
	s_delay_alu instid0(SALU_CYCLE_1)
	s_and_saveexec_b32 s15, s16
	s_cbranch_execz .LBB280_136
.LBB280_152:
	v_cmp_ne_u32_e32 vcc_lo, 1, v76
	s_cbranch_vccnz .LBB280_154
; %bb.153:
	v_lshlrev_b64 v[95:96], 1, v[38:39]
	s_delay_alu instid0(VALU_DEP_1) | instskip(NEXT) | instid1(VALU_DEP_2)
	v_add_co_u32 v95, vcc_lo, v30, v95
	v_add_co_ci_u32_e32 v96, vcc_lo, v31, v96, vcc_lo
	flat_load_u16 v95, v[95:96]
	s_waitcnt vmcnt(0) lgkmcnt(0)
	v_mul_f16_e32 v95, s19, v95
	s_branch .LBB280_155
.LBB280_154:
	v_mov_b32_e32 v95, 0
.LBB280_155:
	v_pk_add_f16 v96, v14, v24
	v_pk_max_f16 v94, v94, v94
	v_pk_add_f16 v97, v15, v25
	s_delay_alu instid0(VALU_DEP_2) | instskip(NEXT) | instid1(VALU_DEP_1)
	v_pk_min_f16 v94, v94, v96
	v_pk_min_f16 v94, v94, v97
	v_lshlrev_b64 v[96:97], 1, v[38:39]
	s_delay_alu instid0(VALU_DEP_2) | instskip(NEXT) | instid1(VALU_DEP_1)
	v_lshrrev_b32_e32 v98, 16, v94
	v_min3_f16 v98, v95, v94, v98
	s_delay_alu instid0(VALU_DEP_3) | instskip(NEXT) | instid1(VALU_DEP_4)
	v_add_co_u32 v94, vcc_lo, v28, v96
	v_add_co_ci_u32_e32 v95, vcc_lo, v29, v97, vcc_lo
	global_store_b16 v[94:95], v98, off
	s_or_b32 exec_lo, exec_lo, s15
	s_and_b32 s16, s4, s8
	s_delay_alu instid0(SALU_CYCLE_1)
	s_and_saveexec_b32 s15, s16
	s_cbranch_execz .LBB280_137
.LBB280_156:
	v_cmp_ne_u32_e32 vcc_lo, 1, v76
	s_cbranch_vccnz .LBB280_158
; %bb.157:
	v_lshlrev_b64 v[94:95], 1, v[40:41]
	s_delay_alu instid0(VALU_DEP_1) | instskip(NEXT) | instid1(VALU_DEP_2)
	v_add_co_u32 v94, vcc_lo, v30, v94
	v_add_co_ci_u32_e32 v95, vcc_lo, v31, v95, vcc_lo
	flat_load_u16 v94, v[94:95]
	s_waitcnt vmcnt(0) lgkmcnt(0)
	v_mul_f16_e32 v94, s19, v94
	s_branch .LBB280_159
.LBB280_158:
	v_mov_b32_e32 v94, 0
.LBB280_159:
	v_pk_add_f16 v95, v8, v24
	v_pk_max_f16 v93, v93, v93
	v_pk_add_f16 v96, v9, v25
	s_delay_alu instid0(VALU_DEP_2) | instskip(NEXT) | instid1(VALU_DEP_1)
	v_pk_min_f16 v93, v93, v95
	v_pk_min_f16 v93, v93, v96
	v_lshlrev_b64 v[95:96], 1, v[40:41]
	s_delay_alu instid0(VALU_DEP_2) | instskip(NEXT) | instid1(VALU_DEP_1)
	v_lshrrev_b32_e32 v97, 16, v93
	v_min3_f16 v97, v94, v93, v97
	s_delay_alu instid0(VALU_DEP_3) | instskip(NEXT) | instid1(VALU_DEP_4)
	v_add_co_u32 v93, vcc_lo, v28, v95
	v_add_co_ci_u32_e32 v94, vcc_lo, v29, v96, vcc_lo
	global_store_b16 v[93:94], v97, off
	s_or_b32 exec_lo, exec_lo, s15
	s_and_b32 s16, s5, s8
	s_delay_alu instid0(SALU_CYCLE_1)
	s_and_saveexec_b32 s15, s16
	s_cbranch_execz .LBB280_138
.LBB280_160:
	v_cmp_ne_u32_e32 vcc_lo, 1, v76
	s_cbranch_vccnz .LBB280_162
; %bb.161:
	v_lshlrev_b64 v[93:94], 1, v[42:43]
	s_delay_alu instid0(VALU_DEP_1) | instskip(NEXT) | instid1(VALU_DEP_2)
	v_add_co_u32 v93, vcc_lo, v30, v93
	v_add_co_ci_u32_e32 v94, vcc_lo, v31, v94, vcc_lo
	flat_load_u16 v93, v[93:94]
	s_waitcnt vmcnt(0) lgkmcnt(0)
	v_mul_f16_e32 v93, s19, v93
	s_branch .LBB280_163
.LBB280_162:
	v_mov_b32_e32 v93, 0
.LBB280_163:
	v_pk_add_f16 v94, v10, v24
	v_pk_max_f16 v92, v92, v92
	v_pk_add_f16 v95, v11, v25
	s_delay_alu instid0(VALU_DEP_2) | instskip(NEXT) | instid1(VALU_DEP_1)
	v_pk_min_f16 v92, v92, v94
	v_pk_min_f16 v92, v92, v95
	v_lshlrev_b64 v[94:95], 1, v[42:43]
	s_delay_alu instid0(VALU_DEP_2) | instskip(NEXT) | instid1(VALU_DEP_1)
	v_lshrrev_b32_e32 v96, 16, v92
	v_min3_f16 v96, v93, v92, v96
	s_delay_alu instid0(VALU_DEP_3) | instskip(NEXT) | instid1(VALU_DEP_4)
	v_add_co_u32 v92, vcc_lo, v28, v94
	v_add_co_ci_u32_e32 v93, vcc_lo, v29, v95, vcc_lo
	global_store_b16 v[92:93], v96, off
	s_or_b32 exec_lo, exec_lo, s15
	s_and_b32 s16, s6, s8
	s_delay_alu instid0(SALU_CYCLE_1)
	s_and_saveexec_b32 s15, s16
	s_cbranch_execz .LBB280_139
.LBB280_164:
	v_cmp_ne_u32_e32 vcc_lo, 1, v76
	s_cbranch_vccnz .LBB280_166
; %bb.165:
	v_lshlrev_b64 v[92:93], 1, v[44:45]
	s_delay_alu instid0(VALU_DEP_1) | instskip(NEXT) | instid1(VALU_DEP_2)
	v_add_co_u32 v92, vcc_lo, v30, v92
	v_add_co_ci_u32_e32 v93, vcc_lo, v31, v93, vcc_lo
	flat_load_u16 v92, v[92:93]
	s_waitcnt vmcnt(0) lgkmcnt(0)
	v_mul_f16_e32 v92, s19, v92
	s_branch .LBB280_167
.LBB280_166:
	v_mov_b32_e32 v92, 0
.LBB280_167:
	v_pk_add_f16 v93, v0, v24
	v_pk_max_f16 v91, v91, v91
	v_pk_add_f16 v94, v1, v25
	s_delay_alu instid0(VALU_DEP_2) | instskip(NEXT) | instid1(VALU_DEP_1)
	v_pk_min_f16 v91, v91, v93
	v_pk_min_f16 v91, v91, v94
	v_lshlrev_b64 v[93:94], 1, v[44:45]
	s_delay_alu instid0(VALU_DEP_2) | instskip(NEXT) | instid1(VALU_DEP_1)
	v_lshrrev_b32_e32 v95, 16, v91
	v_min3_f16 v95, v92, v91, v95
	s_delay_alu instid0(VALU_DEP_3) | instskip(NEXT) | instid1(VALU_DEP_4)
	v_add_co_u32 v91, vcc_lo, v28, v93
	v_add_co_ci_u32_e32 v92, vcc_lo, v29, v94, vcc_lo
	global_store_b16 v[91:92], v95, off
	s_or_b32 exec_lo, exec_lo, s15
	s_and_b32 s15, s7, s8
	s_delay_alu instid0(SALU_CYCLE_1)
	s_and_saveexec_b32 s8, s15
	s_cbranch_execz .LBB280_172
.LBB280_168:
	v_cmp_ne_u32_e32 vcc_lo, 1, v76
	s_cbranch_vccnz .LBB280_170
; %bb.169:
	v_lshlrev_b64 v[91:92], 1, v[46:47]
	s_delay_alu instid0(VALU_DEP_1) | instskip(NEXT) | instid1(VALU_DEP_2)
	v_add_co_u32 v30, vcc_lo, v30, v91
	v_add_co_ci_u32_e32 v31, vcc_lo, v31, v92, vcc_lo
	flat_load_u16 v30, v[30:31]
	s_waitcnt vmcnt(0) lgkmcnt(0)
	v_mul_f16_e32 v30, s19, v30
	s_branch .LBB280_171
.LBB280_170:
	v_mov_b32_e32 v30, 0
.LBB280_171:
	v_pk_add_f16 v24, v2, v24
	v_pk_max_f16 v31, v90, v90
	v_pk_add_f16 v25, v3, v25
	s_delay_alu instid0(VALU_DEP_2) | instskip(NEXT) | instid1(VALU_DEP_1)
	v_pk_min_f16 v24, v31, v24
	v_pk_min_f16 v31, v24, v25
	v_lshlrev_b64 v[24:25], 1, v[46:47]
	s_delay_alu instid0(VALU_DEP_2) | instskip(NEXT) | instid1(VALU_DEP_2)
	v_lshrrev_b32_e32 v90, 16, v31
	v_add_co_u32 v24, vcc_lo, v28, v24
	s_delay_alu instid0(VALU_DEP_3) | instskip(NEXT) | instid1(VALU_DEP_3)
	v_add_co_ci_u32_e32 v25, vcc_lo, v29, v25, vcc_lo
	v_min3_f16 v30, v30, v31, v90
	global_store_b16 v[24:25], v30, off
.LBB280_172:
	s_or_b32 exec_lo, exec_lo, s8
	v_add_nc_u32_e32 v30, 0x60, v83
	s_delay_alu instid0(VALU_DEP_1) | instskip(SKIP_2) | instid1(VALU_DEP_3)
	v_mad_i64_i32 v[24:25], null, v30, s14, 0
	v_mad_i64_i32 v[28:29], null, v30, s9, 0
	v_cmp_gt_i32_e64 s8, s17, v30
	v_lshlrev_b64 v[24:25], 1, v[24:25]
	s_delay_alu instid0(VALU_DEP_2) | instskip(NEXT) | instid1(VALU_DEP_3)
	s_and_b32 s16, s0, s8
	v_lshlrev_b64 v[30:31], 1, v[28:29]
	s_delay_alu instid0(VALU_DEP_2) | instskip(NEXT) | instid1(VALU_DEP_3)
	v_add_co_u32 v28, vcc_lo, s12, v24
	v_add_co_ci_u32_e32 v29, vcc_lo, s13, v25, vcc_lo
	s_delay_alu instid0(VALU_DEP_3) | instskip(NEXT) | instid1(VALU_DEP_4)
	v_add_co_u32 v24, vcc_lo, s10, v30
	v_add_co_ci_u32_e32 v25, vcc_lo, s11, v31, vcc_lo
	s_and_saveexec_b32 s15, s16
	s_cbranch_execnz .LBB280_180
; %bb.173:
	s_or_b32 exec_lo, exec_lo, s15
	s_and_b32 s16, s1, s8
	s_delay_alu instid0(SALU_CYCLE_1)
	s_and_saveexec_b32 s15, s16
	s_cbranch_execnz .LBB280_184
.LBB280_174:
	s_or_b32 exec_lo, exec_lo, s15
	s_and_b32 s16, s2, s8
	s_delay_alu instid0(SALU_CYCLE_1)
	s_and_saveexec_b32 s15, s16
	s_cbranch_execnz .LBB280_188
.LBB280_175:
	s_or_b32 exec_lo, exec_lo, s15
	s_and_b32 s16, s3, s8
	s_delay_alu instid0(SALU_CYCLE_1)
	s_and_saveexec_b32 s15, s16
	s_cbranch_execnz .LBB280_192
.LBB280_176:
	s_or_b32 exec_lo, exec_lo, s15
	s_and_b32 s16, s4, s8
	s_delay_alu instid0(SALU_CYCLE_1)
	s_and_saveexec_b32 s15, s16
	s_cbranch_execnz .LBB280_196
.LBB280_177:
	s_or_b32 exec_lo, exec_lo, s15
	s_and_b32 s16, s5, s8
	s_delay_alu instid0(SALU_CYCLE_1)
	s_and_saveexec_b32 s15, s16
	s_cbranch_execnz .LBB280_200
.LBB280_178:
	s_or_b32 exec_lo, exec_lo, s15
	s_and_b32 s16, s6, s8
	s_delay_alu instid0(SALU_CYCLE_1)
	s_and_saveexec_b32 s15, s16
	s_cbranch_execnz .LBB280_204
.LBB280_179:
	s_or_b32 exec_lo, exec_lo, s15
	s_and_b32 s15, s7, s8
	s_delay_alu instid0(SALU_CYCLE_1)
	s_and_saveexec_b32 s8, s15
	s_cbranch_execnz .LBB280_208
	s_branch .LBB280_212
.LBB280_180:
	v_cmp_ne_u32_e32 vcc_lo, 1, v76
	s_cbranch_vccnz .LBB280_182
; %bb.181:
	v_lshlrev_b64 v[30:31], 1, v[32:33]
	s_delay_alu instid0(VALU_DEP_1) | instskip(NEXT) | instid1(VALU_DEP_2)
	v_add_co_u32 v30, vcc_lo, v28, v30
	v_add_co_ci_u32_e32 v31, vcc_lo, v29, v31, vcc_lo
	flat_load_u16 v30, v[30:31]
	s_waitcnt vmcnt(0) lgkmcnt(0)
	v_mul_f16_e32 v30, s19, v30
	s_branch .LBB280_183
.LBB280_182:
	v_mov_b32_e32 v30, 0
.LBB280_183:
	v_pk_add_f16 v31, v16, v26
	v_pk_max_f16 v89, v89, v89
	v_pk_add_f16 v90, v17, v27
	s_delay_alu instid0(VALU_DEP_2) | instskip(NEXT) | instid1(VALU_DEP_1)
	v_pk_min_f16 v31, v89, v31
	v_pk_min_f16 v31, v31, v90
	v_lshlrev_b64 v[89:90], 1, v[32:33]
	s_delay_alu instid0(VALU_DEP_2) | instskip(NEXT) | instid1(VALU_DEP_1)
	v_lshrrev_b32_e32 v91, 16, v31
	v_min3_f16 v91, v30, v31, v91
	s_delay_alu instid0(VALU_DEP_3) | instskip(NEXT) | instid1(VALU_DEP_4)
	v_add_co_u32 v30, vcc_lo, v24, v89
	v_add_co_ci_u32_e32 v31, vcc_lo, v25, v90, vcc_lo
	global_store_b16 v[30:31], v91, off
	s_or_b32 exec_lo, exec_lo, s15
	s_and_b32 s16, s1, s8
	s_delay_alu instid0(SALU_CYCLE_1)
	s_and_saveexec_b32 s15, s16
	s_cbranch_execz .LBB280_174
.LBB280_184:
	v_cmp_ne_u32_e32 vcc_lo, 1, v76
	s_cbranch_vccnz .LBB280_186
; %bb.185:
	v_lshlrev_b64 v[30:31], 1, v[34:35]
	s_delay_alu instid0(VALU_DEP_1) | instskip(NEXT) | instid1(VALU_DEP_2)
	v_add_co_u32 v30, vcc_lo, v28, v30
	v_add_co_ci_u32_e32 v31, vcc_lo, v29, v31, vcc_lo
	flat_load_u16 v30, v[30:31]
	s_waitcnt vmcnt(0) lgkmcnt(0)
	v_mul_f16_e32 v30, s19, v30
	s_branch .LBB280_187
.LBB280_186:
	v_mov_b32_e32 v30, 0
.LBB280_187:
	v_pk_add_f16 v31, v18, v26
	v_pk_max_f16 v88, v88, v88
	v_pk_add_f16 v89, v19, v27
	s_delay_alu instid0(VALU_DEP_2) | instskip(NEXT) | instid1(VALU_DEP_1)
	v_pk_min_f16 v31, v88, v31
	v_pk_min_f16 v31, v31, v89
	v_lshlrev_b64 v[88:89], 1, v[34:35]
	s_delay_alu instid0(VALU_DEP_2) | instskip(NEXT) | instid1(VALU_DEP_1)
	v_lshrrev_b32_e32 v90, 16, v31
	v_min3_f16 v90, v30, v31, v90
	s_delay_alu instid0(VALU_DEP_3) | instskip(NEXT) | instid1(VALU_DEP_4)
	v_add_co_u32 v30, vcc_lo, v24, v88
	v_add_co_ci_u32_e32 v31, vcc_lo, v25, v89, vcc_lo
	global_store_b16 v[30:31], v90, off
	s_or_b32 exec_lo, exec_lo, s15
	s_and_b32 s16, s2, s8
	s_delay_alu instid0(SALU_CYCLE_1)
	s_and_saveexec_b32 s15, s16
	s_cbranch_execz .LBB280_175
.LBB280_188:
	v_cmp_ne_u32_e32 vcc_lo, 1, v76
	s_cbranch_vccnz .LBB280_190
; %bb.189:
	v_lshlrev_b64 v[30:31], 1, v[36:37]
	s_delay_alu instid0(VALU_DEP_1) | instskip(NEXT) | instid1(VALU_DEP_2)
	v_add_co_u32 v30, vcc_lo, v28, v30
	v_add_co_ci_u32_e32 v31, vcc_lo, v29, v31, vcc_lo
	flat_load_u16 v30, v[30:31]
	s_waitcnt vmcnt(0) lgkmcnt(0)
	v_mul_f16_e32 v30, s19, v30
	s_branch .LBB280_191
.LBB280_190:
	v_mov_b32_e32 v30, 0
.LBB280_191:
	v_pk_add_f16 v31, v12, v26
	v_pk_max_f16 v87, v87, v87
	v_pk_add_f16 v88, v13, v27
	s_delay_alu instid0(VALU_DEP_2) | instskip(NEXT) | instid1(VALU_DEP_1)
	v_pk_min_f16 v31, v87, v31
	v_pk_min_f16 v31, v31, v88
	v_lshlrev_b64 v[87:88], 1, v[36:37]
	s_delay_alu instid0(VALU_DEP_2) | instskip(NEXT) | instid1(VALU_DEP_1)
	v_lshrrev_b32_e32 v89, 16, v31
	v_min3_f16 v89, v30, v31, v89
	s_delay_alu instid0(VALU_DEP_3) | instskip(NEXT) | instid1(VALU_DEP_4)
	v_add_co_u32 v30, vcc_lo, v24, v87
	v_add_co_ci_u32_e32 v31, vcc_lo, v25, v88, vcc_lo
	global_store_b16 v[30:31], v89, off
	s_or_b32 exec_lo, exec_lo, s15
	s_and_b32 s16, s3, s8
	s_delay_alu instid0(SALU_CYCLE_1)
	s_and_saveexec_b32 s15, s16
	s_cbranch_execz .LBB280_176
.LBB280_192:
	v_cmp_ne_u32_e32 vcc_lo, 1, v76
	s_cbranch_vccnz .LBB280_194
; %bb.193:
	v_lshlrev_b64 v[30:31], 1, v[38:39]
	s_delay_alu instid0(VALU_DEP_1) | instskip(NEXT) | instid1(VALU_DEP_2)
	v_add_co_u32 v30, vcc_lo, v28, v30
	v_add_co_ci_u32_e32 v31, vcc_lo, v29, v31, vcc_lo
	flat_load_u16 v30, v[30:31]
	s_waitcnt vmcnt(0) lgkmcnt(0)
	v_mul_f16_e32 v30, s19, v30
	s_branch .LBB280_195
.LBB280_194:
	v_mov_b32_e32 v30, 0
.LBB280_195:
	v_pk_add_f16 v31, v14, v26
	v_pk_max_f16 v86, v86, v86
	v_pk_add_f16 v87, v15, v27
	s_delay_alu instid0(VALU_DEP_2) | instskip(NEXT) | instid1(VALU_DEP_1)
	v_pk_min_f16 v31, v86, v31
	v_pk_min_f16 v31, v31, v87
	v_lshlrev_b64 v[86:87], 1, v[38:39]
	s_delay_alu instid0(VALU_DEP_2) | instskip(NEXT) | instid1(VALU_DEP_1)
	v_lshrrev_b32_e32 v88, 16, v31
	v_min3_f16 v88, v30, v31, v88
	s_delay_alu instid0(VALU_DEP_3) | instskip(NEXT) | instid1(VALU_DEP_4)
	v_add_co_u32 v30, vcc_lo, v24, v86
	v_add_co_ci_u32_e32 v31, vcc_lo, v25, v87, vcc_lo
	global_store_b16 v[30:31], v88, off
	s_or_b32 exec_lo, exec_lo, s15
	s_and_b32 s16, s4, s8
	s_delay_alu instid0(SALU_CYCLE_1)
	s_and_saveexec_b32 s15, s16
	s_cbranch_execz .LBB280_177
.LBB280_196:
	v_cmp_ne_u32_e32 vcc_lo, 1, v76
	s_cbranch_vccnz .LBB280_198
; %bb.197:
	v_lshlrev_b64 v[30:31], 1, v[40:41]
	s_delay_alu instid0(VALU_DEP_1) | instskip(NEXT) | instid1(VALU_DEP_2)
	v_add_co_u32 v30, vcc_lo, v28, v30
	v_add_co_ci_u32_e32 v31, vcc_lo, v29, v31, vcc_lo
	flat_load_u16 v30, v[30:31]
	s_waitcnt vmcnt(0) lgkmcnt(0)
	v_mul_f16_e32 v30, s19, v30
	s_branch .LBB280_199
.LBB280_198:
	v_mov_b32_e32 v30, 0
.LBB280_199:
	v_pk_add_f16 v31, v8, v26
	v_pk_max_f16 v85, v85, v85
	v_pk_add_f16 v86, v9, v27
	s_delay_alu instid0(VALU_DEP_2) | instskip(NEXT) | instid1(VALU_DEP_1)
	v_pk_min_f16 v31, v85, v31
	v_pk_min_f16 v31, v31, v86
	v_lshlrev_b64 v[85:86], 1, v[40:41]
	s_delay_alu instid0(VALU_DEP_2) | instskip(NEXT) | instid1(VALU_DEP_1)
	v_lshrrev_b32_e32 v87, 16, v31
	v_min3_f16 v87, v30, v31, v87
	s_delay_alu instid0(VALU_DEP_3) | instskip(NEXT) | instid1(VALU_DEP_4)
	v_add_co_u32 v30, vcc_lo, v24, v85
	v_add_co_ci_u32_e32 v31, vcc_lo, v25, v86, vcc_lo
	global_store_b16 v[30:31], v87, off
	s_or_b32 exec_lo, exec_lo, s15
	s_and_b32 s16, s5, s8
	s_delay_alu instid0(SALU_CYCLE_1)
	s_and_saveexec_b32 s15, s16
	s_cbranch_execz .LBB280_178
.LBB280_200:
	v_cmp_ne_u32_e32 vcc_lo, 1, v76
	s_cbranch_vccnz .LBB280_202
; %bb.201:
	v_lshlrev_b64 v[30:31], 1, v[42:43]
	s_delay_alu instid0(VALU_DEP_1) | instskip(NEXT) | instid1(VALU_DEP_2)
	v_add_co_u32 v30, vcc_lo, v28, v30
	v_add_co_ci_u32_e32 v31, vcc_lo, v29, v31, vcc_lo
	flat_load_u16 v30, v[30:31]
	s_waitcnt vmcnt(0) lgkmcnt(0)
	v_mul_f16_e32 v30, s19, v30
	s_branch .LBB280_203
.LBB280_202:
	v_mov_b32_e32 v30, 0
.LBB280_203:
	v_pk_add_f16 v31, v10, v26
	v_pk_max_f16 v84, v84, v84
	v_pk_add_f16 v85, v11, v27
	s_delay_alu instid0(VALU_DEP_2) | instskip(NEXT) | instid1(VALU_DEP_1)
	v_pk_min_f16 v31, v84, v31
	v_pk_min_f16 v31, v31, v85
	v_lshlrev_b64 v[84:85], 1, v[42:43]
	s_delay_alu instid0(VALU_DEP_2) | instskip(NEXT) | instid1(VALU_DEP_1)
	v_lshrrev_b32_e32 v86, 16, v31
	v_min3_f16 v86, v30, v31, v86
	s_delay_alu instid0(VALU_DEP_3) | instskip(NEXT) | instid1(VALU_DEP_4)
	v_add_co_u32 v30, vcc_lo, v24, v84
	v_add_co_ci_u32_e32 v31, vcc_lo, v25, v85, vcc_lo
	global_store_b16 v[30:31], v86, off
	s_or_b32 exec_lo, exec_lo, s15
	s_and_b32 s16, s6, s8
	s_delay_alu instid0(SALU_CYCLE_1)
	s_and_saveexec_b32 s15, s16
	s_cbranch_execz .LBB280_179
.LBB280_204:
	v_cmp_ne_u32_e32 vcc_lo, 1, v76
	s_cbranch_vccnz .LBB280_206
; %bb.205:
	v_lshlrev_b64 v[30:31], 1, v[44:45]
	s_delay_alu instid0(VALU_DEP_1) | instskip(NEXT) | instid1(VALU_DEP_2)
	v_add_co_u32 v30, vcc_lo, v28, v30
	v_add_co_ci_u32_e32 v31, vcc_lo, v29, v31, vcc_lo
	flat_load_u16 v30, v[30:31]
	s_waitcnt vmcnt(0) lgkmcnt(0)
	v_mul_f16_e32 v30, s19, v30
	s_branch .LBB280_207
.LBB280_206:
	v_mov_b32_e32 v30, 0
.LBB280_207:
	v_pk_add_f16 v31, v0, v26
	v_pk_max_f16 v82, v82, v82
	v_pk_add_f16 v84, v1, v27
	s_delay_alu instid0(VALU_DEP_2) | instskip(NEXT) | instid1(VALU_DEP_1)
	v_pk_min_f16 v31, v82, v31
	v_pk_min_f16 v31, v31, v84
	v_lshlrev_b64 v[84:85], 1, v[44:45]
	s_delay_alu instid0(VALU_DEP_2) | instskip(NEXT) | instid1(VALU_DEP_1)
	v_lshrrev_b32_e32 v82, 16, v31
	v_min3_f16 v82, v30, v31, v82
	s_delay_alu instid0(VALU_DEP_3) | instskip(NEXT) | instid1(VALU_DEP_4)
	v_add_co_u32 v30, vcc_lo, v24, v84
	v_add_co_ci_u32_e32 v31, vcc_lo, v25, v85, vcc_lo
	global_store_b16 v[30:31], v82, off
	s_or_b32 exec_lo, exec_lo, s15
	s_and_b32 s15, s7, s8
	s_delay_alu instid0(SALU_CYCLE_1)
	s_and_saveexec_b32 s8, s15
	s_cbranch_execz .LBB280_212
.LBB280_208:
	v_cmp_ne_u32_e32 vcc_lo, 1, v76
	s_cbranch_vccnz .LBB280_210
; %bb.209:
	v_lshlrev_b64 v[30:31], 1, v[46:47]
	s_delay_alu instid0(VALU_DEP_1) | instskip(NEXT) | instid1(VALU_DEP_2)
	v_add_co_u32 v28, vcc_lo, v28, v30
	v_add_co_ci_u32_e32 v29, vcc_lo, v29, v31, vcc_lo
	flat_load_u16 v28, v[28:29]
	s_waitcnt vmcnt(0) lgkmcnt(0)
	v_mul_f16_e32 v28, s19, v28
	s_branch .LBB280_211
.LBB280_210:
	v_mov_b32_e32 v28, 0
.LBB280_211:
	v_pk_add_f16 v26, v2, v26
	v_pk_max_f16 v29, v81, v81
	v_pk_add_f16 v27, v3, v27
	s_delay_alu instid0(VALU_DEP_2) | instskip(NEXT) | instid1(VALU_DEP_1)
	v_pk_min_f16 v26, v29, v26
	v_pk_min_f16 v29, v26, v27
	v_lshlrev_b64 v[26:27], 1, v[46:47]
	s_delay_alu instid0(VALU_DEP_2) | instskip(NEXT) | instid1(VALU_DEP_2)
	v_lshrrev_b32_e32 v30, 16, v29
	v_add_co_u32 v24, vcc_lo, v24, v26
	s_delay_alu instid0(VALU_DEP_3) | instskip(NEXT) | instid1(VALU_DEP_3)
	v_add_co_ci_u32_e32 v25, vcc_lo, v25, v27, vcc_lo
	v_min3_f16 v28, v28, v29, v30
	global_store_b16 v[24:25], v28, off
.LBB280_212:
	s_or_b32 exec_lo, exec_lo, s8
	v_add_nc_u32_e32 v28, 0x80, v83
	s_delay_alu instid0(VALU_DEP_1) | instskip(SKIP_2) | instid1(VALU_DEP_3)
	v_mad_i64_i32 v[24:25], null, v28, s14, 0
	v_mad_i64_i32 v[26:27], null, v28, s9, 0
	v_cmp_gt_i32_e64 s8, s17, v28
	v_lshlrev_b64 v[24:25], 1, v[24:25]
	s_delay_alu instid0(VALU_DEP_2) | instskip(NEXT) | instid1(VALU_DEP_3)
	s_and_b32 s16, s0, s8
	v_lshlrev_b64 v[28:29], 1, v[26:27]
	s_delay_alu instid0(VALU_DEP_2) | instskip(NEXT) | instid1(VALU_DEP_3)
	v_add_co_u32 v26, vcc_lo, s12, v24
	v_add_co_ci_u32_e32 v27, vcc_lo, s13, v25, vcc_lo
	s_delay_alu instid0(VALU_DEP_3) | instskip(NEXT) | instid1(VALU_DEP_4)
	v_add_co_u32 v24, vcc_lo, s10, v28
	v_add_co_ci_u32_e32 v25, vcc_lo, s11, v29, vcc_lo
	s_and_saveexec_b32 s15, s16
	s_cbranch_execnz .LBB280_220
; %bb.213:
	s_or_b32 exec_lo, exec_lo, s15
	s_and_b32 s16, s1, s8
	s_delay_alu instid0(SALU_CYCLE_1)
	s_and_saveexec_b32 s15, s16
	s_cbranch_execnz .LBB280_224
.LBB280_214:
	s_or_b32 exec_lo, exec_lo, s15
	s_and_b32 s16, s2, s8
	s_delay_alu instid0(SALU_CYCLE_1)
	s_and_saveexec_b32 s15, s16
	s_cbranch_execnz .LBB280_228
.LBB280_215:
	s_or_b32 exec_lo, exec_lo, s15
	s_and_b32 s16, s3, s8
	s_delay_alu instid0(SALU_CYCLE_1)
	s_and_saveexec_b32 s15, s16
	s_cbranch_execnz .LBB280_232
.LBB280_216:
	s_or_b32 exec_lo, exec_lo, s15
	s_and_b32 s16, s4, s8
	s_delay_alu instid0(SALU_CYCLE_1)
	s_and_saveexec_b32 s15, s16
	s_cbranch_execnz .LBB280_236
.LBB280_217:
	s_or_b32 exec_lo, exec_lo, s15
	s_and_b32 s16, s5, s8
	s_delay_alu instid0(SALU_CYCLE_1)
	s_and_saveexec_b32 s15, s16
	s_cbranch_execnz .LBB280_240
.LBB280_218:
	s_or_b32 exec_lo, exec_lo, s15
	s_and_b32 s16, s6, s8
	s_delay_alu instid0(SALU_CYCLE_1)
	s_and_saveexec_b32 s15, s16
	s_cbranch_execnz .LBB280_244
.LBB280_219:
	s_or_b32 exec_lo, exec_lo, s15
	s_and_b32 s15, s7, s8
	s_delay_alu instid0(SALU_CYCLE_1)
	s_and_saveexec_b32 s8, s15
	s_cbranch_execnz .LBB280_248
	s_branch .LBB280_252
.LBB280_220:
	v_cmp_ne_u32_e32 vcc_lo, 1, v76
	s_cbranch_vccnz .LBB280_222
; %bb.221:
	v_lshlrev_b64 v[28:29], 1, v[32:33]
	s_delay_alu instid0(VALU_DEP_1) | instskip(NEXT) | instid1(VALU_DEP_2)
	v_add_co_u32 v28, vcc_lo, v26, v28
	v_add_co_ci_u32_e32 v29, vcc_lo, v27, v29, vcc_lo
	flat_load_u16 v28, v[28:29]
	s_waitcnt vmcnt(0) lgkmcnt(0)
	v_mul_f16_e32 v28, s19, v28
	s_branch .LBB280_223
.LBB280_222:
	v_mov_b32_e32 v28, 0
.LBB280_223:
	v_pk_add_f16 v29, v16, v20
	v_pk_max_f16 v30, v80, v80
	v_pk_add_f16 v31, v17, v21
	s_delay_alu instid0(VALU_DEP_2) | instskip(NEXT) | instid1(VALU_DEP_1)
	v_pk_min_f16 v29, v30, v29
	v_pk_min_f16 v31, v29, v31
	v_lshlrev_b64 v[29:30], 1, v[32:33]
	s_delay_alu instid0(VALU_DEP_2) | instskip(NEXT) | instid1(VALU_DEP_1)
	v_lshrrev_b32_e32 v80, 16, v31
	v_min3_f16 v31, v28, v31, v80
	s_delay_alu instid0(VALU_DEP_3) | instskip(NEXT) | instid1(VALU_DEP_4)
	v_add_co_u32 v28, vcc_lo, v24, v29
	v_add_co_ci_u32_e32 v29, vcc_lo, v25, v30, vcc_lo
	global_store_b16 v[28:29], v31, off
	s_or_b32 exec_lo, exec_lo, s15
	s_and_b32 s16, s1, s8
	s_delay_alu instid0(SALU_CYCLE_1)
	s_and_saveexec_b32 s15, s16
	s_cbranch_execz .LBB280_214
.LBB280_224:
	v_cmp_ne_u32_e32 vcc_lo, 1, v76
	s_cbranch_vccnz .LBB280_226
; %bb.225:
	v_lshlrev_b64 v[28:29], 1, v[34:35]
	s_delay_alu instid0(VALU_DEP_1) | instskip(NEXT) | instid1(VALU_DEP_2)
	v_add_co_u32 v28, vcc_lo, v26, v28
	v_add_co_ci_u32_e32 v29, vcc_lo, v27, v29, vcc_lo
	flat_load_u16 v28, v[28:29]
	s_waitcnt vmcnt(0) lgkmcnt(0)
	v_mul_f16_e32 v28, s19, v28
	s_branch .LBB280_227
.LBB280_226:
	v_mov_b32_e32 v28, 0
.LBB280_227:
	v_pk_add_f16 v29, v18, v20
	v_pk_max_f16 v30, v79, v79
	v_pk_add_f16 v31, v19, v21
	s_delay_alu instid0(VALU_DEP_2) | instskip(NEXT) | instid1(VALU_DEP_1)
	v_pk_min_f16 v29, v30, v29
	v_pk_min_f16 v31, v29, v31
	v_lshlrev_b64 v[29:30], 1, v[34:35]
	s_delay_alu instid0(VALU_DEP_2) | instskip(NEXT) | instid1(VALU_DEP_1)
	v_lshrrev_b32_e32 v79, 16, v31
	v_min3_f16 v31, v28, v31, v79
	s_delay_alu instid0(VALU_DEP_3) | instskip(NEXT) | instid1(VALU_DEP_4)
	v_add_co_u32 v28, vcc_lo, v24, v29
	v_add_co_ci_u32_e32 v29, vcc_lo, v25, v30, vcc_lo
	global_store_b16 v[28:29], v31, off
	s_or_b32 exec_lo, exec_lo, s15
	s_and_b32 s16, s2, s8
	s_delay_alu instid0(SALU_CYCLE_1)
	s_and_saveexec_b32 s15, s16
	s_cbranch_execz .LBB280_215
.LBB280_228:
	v_cmp_ne_u32_e32 vcc_lo, 1, v76
	s_cbranch_vccnz .LBB280_230
; %bb.229:
	v_lshlrev_b64 v[28:29], 1, v[36:37]
	s_delay_alu instid0(VALU_DEP_1) | instskip(NEXT) | instid1(VALU_DEP_2)
	v_add_co_u32 v28, vcc_lo, v26, v28
	v_add_co_ci_u32_e32 v29, vcc_lo, v27, v29, vcc_lo
	flat_load_u16 v28, v[28:29]
	s_waitcnt vmcnt(0) lgkmcnt(0)
	v_mul_f16_e32 v28, s19, v28
	s_branch .LBB280_231
.LBB280_230:
	v_mov_b32_e32 v28, 0
.LBB280_231:
	v_pk_add_f16 v29, v12, v20
	v_pk_max_f16 v30, v78, v78
	v_pk_add_f16 v31, v13, v21
	s_delay_alu instid0(VALU_DEP_2) | instskip(NEXT) | instid1(VALU_DEP_1)
	v_pk_min_f16 v29, v30, v29
	v_pk_min_f16 v31, v29, v31
	v_lshlrev_b64 v[29:30], 1, v[36:37]
	s_delay_alu instid0(VALU_DEP_2) | instskip(NEXT) | instid1(VALU_DEP_1)
	v_lshrrev_b32_e32 v78, 16, v31
	v_min3_f16 v31, v28, v31, v78
	s_delay_alu instid0(VALU_DEP_3) | instskip(NEXT) | instid1(VALU_DEP_4)
	v_add_co_u32 v28, vcc_lo, v24, v29
	v_add_co_ci_u32_e32 v29, vcc_lo, v25, v30, vcc_lo
	global_store_b16 v[28:29], v31, off
	s_or_b32 exec_lo, exec_lo, s15
	s_and_b32 s16, s3, s8
	s_delay_alu instid0(SALU_CYCLE_1)
	s_and_saveexec_b32 s15, s16
	s_cbranch_execz .LBB280_216
.LBB280_232:
	v_cmp_ne_u32_e32 vcc_lo, 1, v76
	s_cbranch_vccnz .LBB280_234
; %bb.233:
	v_lshlrev_b64 v[28:29], 1, v[38:39]
	s_delay_alu instid0(VALU_DEP_1) | instskip(NEXT) | instid1(VALU_DEP_2)
	v_add_co_u32 v28, vcc_lo, v26, v28
	v_add_co_ci_u32_e32 v29, vcc_lo, v27, v29, vcc_lo
	flat_load_u16 v28, v[28:29]
	s_waitcnt vmcnt(0) lgkmcnt(0)
	v_mul_f16_e32 v28, s19, v28
	s_branch .LBB280_235
.LBB280_234:
	v_mov_b32_e32 v28, 0
.LBB280_235:
	v_pk_add_f16 v29, v14, v20
	v_pk_max_f16 v30, v77, v77
	v_pk_add_f16 v31, v15, v21
	s_delay_alu instid0(VALU_DEP_2) | instskip(NEXT) | instid1(VALU_DEP_1)
	v_pk_min_f16 v29, v30, v29
	v_pk_min_f16 v31, v29, v31
	v_lshlrev_b64 v[29:30], 1, v[38:39]
	s_delay_alu instid0(VALU_DEP_2) | instskip(NEXT) | instid1(VALU_DEP_1)
	v_lshrrev_b32_e32 v77, 16, v31
	v_min3_f16 v31, v28, v31, v77
	s_delay_alu instid0(VALU_DEP_3) | instskip(NEXT) | instid1(VALU_DEP_4)
	v_add_co_u32 v28, vcc_lo, v24, v29
	v_add_co_ci_u32_e32 v29, vcc_lo, v25, v30, vcc_lo
	global_store_b16 v[28:29], v31, off
	s_or_b32 exec_lo, exec_lo, s15
	s_and_b32 s16, s4, s8
	s_delay_alu instid0(SALU_CYCLE_1)
	s_and_saveexec_b32 s15, s16
	s_cbranch_execz .LBB280_217
.LBB280_236:
	v_cmp_ne_u32_e32 vcc_lo, 1, v76
	s_cbranch_vccnz .LBB280_238
; %bb.237:
	v_lshlrev_b64 v[28:29], 1, v[40:41]
	s_delay_alu instid0(VALU_DEP_1) | instskip(NEXT) | instid1(VALU_DEP_2)
	v_add_co_u32 v28, vcc_lo, v26, v28
	v_add_co_ci_u32_e32 v29, vcc_lo, v27, v29, vcc_lo
	flat_load_u16 v28, v[28:29]
	s_waitcnt vmcnt(0) lgkmcnt(0)
	v_mul_f16_e32 v28, s19, v28
	s_branch .LBB280_239
.LBB280_238:
	v_mov_b32_e32 v28, 0
.LBB280_239:
	v_pk_add_f16 v29, v8, v20
	v_pk_max_f16 v30, v75, v75
	v_pk_add_f16 v31, v9, v21
	s_delay_alu instid0(VALU_DEP_2) | instskip(NEXT) | instid1(VALU_DEP_1)
	v_pk_min_f16 v29, v30, v29
	v_pk_min_f16 v31, v29, v31
	v_lshlrev_b64 v[29:30], 1, v[40:41]
	s_delay_alu instid0(VALU_DEP_2) | instskip(NEXT) | instid1(VALU_DEP_1)
	v_lshrrev_b32_e32 v75, 16, v31
	v_min3_f16 v31, v28, v31, v75
	s_delay_alu instid0(VALU_DEP_3) | instskip(NEXT) | instid1(VALU_DEP_4)
	v_add_co_u32 v28, vcc_lo, v24, v29
	v_add_co_ci_u32_e32 v29, vcc_lo, v25, v30, vcc_lo
	global_store_b16 v[28:29], v31, off
	s_or_b32 exec_lo, exec_lo, s15
	s_and_b32 s16, s5, s8
	s_delay_alu instid0(SALU_CYCLE_1)
	s_and_saveexec_b32 s15, s16
	s_cbranch_execz .LBB280_218
.LBB280_240:
	v_cmp_ne_u32_e32 vcc_lo, 1, v76
	s_cbranch_vccnz .LBB280_242
; %bb.241:
	v_lshlrev_b64 v[28:29], 1, v[42:43]
	s_delay_alu instid0(VALU_DEP_1) | instskip(NEXT) | instid1(VALU_DEP_2)
	v_add_co_u32 v28, vcc_lo, v26, v28
	v_add_co_ci_u32_e32 v29, vcc_lo, v27, v29, vcc_lo
	flat_load_u16 v28, v[28:29]
	s_waitcnt vmcnt(0) lgkmcnt(0)
	v_mul_f16_e32 v28, s19, v28
	s_branch .LBB280_243
.LBB280_242:
	v_mov_b32_e32 v28, 0
.LBB280_243:
	v_pk_add_f16 v29, v10, v20
	v_pk_max_f16 v30, v74, v74
	v_pk_add_f16 v31, v11, v21
	s_delay_alu instid0(VALU_DEP_2) | instskip(NEXT) | instid1(VALU_DEP_1)
	v_pk_min_f16 v29, v30, v29
	v_pk_min_f16 v31, v29, v31
	v_lshlrev_b64 v[29:30], 1, v[42:43]
	s_delay_alu instid0(VALU_DEP_2) | instskip(NEXT) | instid1(VALU_DEP_1)
	v_lshrrev_b32_e32 v74, 16, v31
	v_min3_f16 v31, v28, v31, v74
	s_delay_alu instid0(VALU_DEP_3) | instskip(NEXT) | instid1(VALU_DEP_4)
	v_add_co_u32 v28, vcc_lo, v24, v29
	v_add_co_ci_u32_e32 v29, vcc_lo, v25, v30, vcc_lo
	global_store_b16 v[28:29], v31, off
	s_or_b32 exec_lo, exec_lo, s15
	s_and_b32 s16, s6, s8
	s_delay_alu instid0(SALU_CYCLE_1)
	s_and_saveexec_b32 s15, s16
	s_cbranch_execz .LBB280_219
.LBB280_244:
	v_cmp_ne_u32_e32 vcc_lo, 1, v76
	s_cbranch_vccnz .LBB280_246
; %bb.245:
	v_lshlrev_b64 v[28:29], 1, v[44:45]
	s_delay_alu instid0(VALU_DEP_1) | instskip(NEXT) | instid1(VALU_DEP_2)
	v_add_co_u32 v28, vcc_lo, v26, v28
	v_add_co_ci_u32_e32 v29, vcc_lo, v27, v29, vcc_lo
	flat_load_u16 v28, v[28:29]
	s_waitcnt vmcnt(0) lgkmcnt(0)
	v_mul_f16_e32 v28, s19, v28
	s_branch .LBB280_247
.LBB280_246:
	v_mov_b32_e32 v28, 0
.LBB280_247:
	v_pk_add_f16 v29, v0, v20
	v_pk_max_f16 v30, v73, v73
	v_pk_add_f16 v31, v1, v21
	s_delay_alu instid0(VALU_DEP_2) | instskip(NEXT) | instid1(VALU_DEP_1)
	v_pk_min_f16 v29, v30, v29
	v_pk_min_f16 v31, v29, v31
	v_lshlrev_b64 v[29:30], 1, v[44:45]
	s_delay_alu instid0(VALU_DEP_2) | instskip(NEXT) | instid1(VALU_DEP_1)
	v_lshrrev_b32_e32 v73, 16, v31
	v_min3_f16 v31, v28, v31, v73
	s_delay_alu instid0(VALU_DEP_3) | instskip(NEXT) | instid1(VALU_DEP_4)
	v_add_co_u32 v28, vcc_lo, v24, v29
	v_add_co_ci_u32_e32 v29, vcc_lo, v25, v30, vcc_lo
	global_store_b16 v[28:29], v31, off
	s_or_b32 exec_lo, exec_lo, s15
	s_and_b32 s15, s7, s8
	s_delay_alu instid0(SALU_CYCLE_1)
	s_and_saveexec_b32 s8, s15
	s_cbranch_execz .LBB280_252
.LBB280_248:
	v_cmp_ne_u32_e32 vcc_lo, 1, v76
	s_cbranch_vccnz .LBB280_250
; %bb.249:
	v_lshlrev_b64 v[28:29], 1, v[46:47]
	s_delay_alu instid0(VALU_DEP_1) | instskip(NEXT) | instid1(VALU_DEP_2)
	v_add_co_u32 v26, vcc_lo, v26, v28
	v_add_co_ci_u32_e32 v27, vcc_lo, v27, v29, vcc_lo
	flat_load_u16 v26, v[26:27]
	s_waitcnt vmcnt(0) lgkmcnt(0)
	v_mul_f16_e32 v26, s19, v26
	s_branch .LBB280_251
.LBB280_250:
	v_mov_b32_e32 v26, 0
.LBB280_251:
	v_pk_add_f16 v20, v2, v20
	v_pk_max_f16 v27, v72, v72
	v_pk_add_f16 v21, v3, v21
	s_delay_alu instid0(VALU_DEP_2) | instskip(NEXT) | instid1(VALU_DEP_1)
	v_pk_min_f16 v20, v27, v20
	v_pk_min_f16 v27, v20, v21
	v_lshlrev_b64 v[20:21], 1, v[46:47]
	s_delay_alu instid0(VALU_DEP_2) | instskip(NEXT) | instid1(VALU_DEP_2)
	v_lshrrev_b32_e32 v28, 16, v27
	v_add_co_u32 v20, vcc_lo, v24, v20
	s_delay_alu instid0(VALU_DEP_3) | instskip(NEXT) | instid1(VALU_DEP_3)
	v_add_co_ci_u32_e32 v21, vcc_lo, v25, v21, vcc_lo
	v_min3_f16 v26, v26, v27, v28
	global_store_b16 v[20:21], v26, off
.LBB280_252:
	s_or_b32 exec_lo, exec_lo, s8
	v_add_nc_u32_e32 v26, 0xa0, v83
	s_delay_alu instid0(VALU_DEP_1) | instskip(SKIP_2) | instid1(VALU_DEP_3)
	v_mad_i64_i32 v[20:21], null, v26, s14, 0
	v_mad_i64_i32 v[24:25], null, v26, s9, 0
	v_cmp_gt_i32_e64 s8, s17, v26
	v_lshlrev_b64 v[20:21], 1, v[20:21]
	s_delay_alu instid0(VALU_DEP_2) | instskip(NEXT) | instid1(VALU_DEP_3)
	s_and_b32 s16, s0, s8
	v_lshlrev_b64 v[26:27], 1, v[24:25]
	s_delay_alu instid0(VALU_DEP_2) | instskip(NEXT) | instid1(VALU_DEP_3)
	v_add_co_u32 v24, vcc_lo, s12, v20
	v_add_co_ci_u32_e32 v25, vcc_lo, s13, v21, vcc_lo
	s_delay_alu instid0(VALU_DEP_3) | instskip(NEXT) | instid1(VALU_DEP_4)
	v_add_co_u32 v20, vcc_lo, s10, v26
	v_add_co_ci_u32_e32 v21, vcc_lo, s11, v27, vcc_lo
	s_and_saveexec_b32 s15, s16
	s_cbranch_execnz .LBB280_260
; %bb.253:
	s_or_b32 exec_lo, exec_lo, s15
	s_and_b32 s16, s1, s8
	s_delay_alu instid0(SALU_CYCLE_1)
	s_and_saveexec_b32 s15, s16
	s_cbranch_execnz .LBB280_264
.LBB280_254:
	s_or_b32 exec_lo, exec_lo, s15
	s_and_b32 s16, s2, s8
	s_delay_alu instid0(SALU_CYCLE_1)
	s_and_saveexec_b32 s15, s16
	s_cbranch_execnz .LBB280_268
.LBB280_255:
	s_or_b32 exec_lo, exec_lo, s15
	s_and_b32 s16, s3, s8
	s_delay_alu instid0(SALU_CYCLE_1)
	s_and_saveexec_b32 s15, s16
	s_cbranch_execnz .LBB280_272
.LBB280_256:
	s_or_b32 exec_lo, exec_lo, s15
	s_and_b32 s16, s4, s8
	s_delay_alu instid0(SALU_CYCLE_1)
	s_and_saveexec_b32 s15, s16
	s_cbranch_execnz .LBB280_276
.LBB280_257:
	s_or_b32 exec_lo, exec_lo, s15
	s_and_b32 s16, s5, s8
	s_delay_alu instid0(SALU_CYCLE_1)
	s_and_saveexec_b32 s15, s16
	s_cbranch_execnz .LBB280_280
.LBB280_258:
	s_or_b32 exec_lo, exec_lo, s15
	s_and_b32 s16, s6, s8
	s_delay_alu instid0(SALU_CYCLE_1)
	s_and_saveexec_b32 s15, s16
	s_cbranch_execnz .LBB280_284
.LBB280_259:
	s_or_b32 exec_lo, exec_lo, s15
	s_and_b32 s15, s7, s8
	s_delay_alu instid0(SALU_CYCLE_1)
	s_and_saveexec_b32 s8, s15
	s_cbranch_execnz .LBB280_288
	s_branch .LBB280_292
.LBB280_260:
	v_cmp_ne_u32_e32 vcc_lo, 1, v76
	s_cbranch_vccnz .LBB280_262
; %bb.261:
	v_lshlrev_b64 v[26:27], 1, v[32:33]
	s_delay_alu instid0(VALU_DEP_1) | instskip(NEXT) | instid1(VALU_DEP_2)
	v_add_co_u32 v26, vcc_lo, v24, v26
	v_add_co_ci_u32_e32 v27, vcc_lo, v25, v27, vcc_lo
	flat_load_u16 v26, v[26:27]
	s_waitcnt vmcnt(0) lgkmcnt(0)
	v_mul_f16_e32 v26, s19, v26
	s_branch .LBB280_263
.LBB280_262:
	v_mov_b32_e32 v26, 0
.LBB280_263:
	v_pk_add_f16 v27, v16, v22
	v_pk_max_f16 v28, v71, v71
	v_pk_add_f16 v29, v17, v23
	s_delay_alu instid0(VALU_DEP_2) | instskip(NEXT) | instid1(VALU_DEP_1)
	v_pk_min_f16 v27, v28, v27
	v_pk_min_f16 v29, v27, v29
	v_lshlrev_b64 v[27:28], 1, v[32:33]
	s_delay_alu instid0(VALU_DEP_2) | instskip(NEXT) | instid1(VALU_DEP_1)
	v_lshrrev_b32_e32 v30, 16, v29
	v_min3_f16 v29, v26, v29, v30
	s_delay_alu instid0(VALU_DEP_3) | instskip(NEXT) | instid1(VALU_DEP_4)
	v_add_co_u32 v26, vcc_lo, v20, v27
	v_add_co_ci_u32_e32 v27, vcc_lo, v21, v28, vcc_lo
	global_store_b16 v[26:27], v29, off
	s_or_b32 exec_lo, exec_lo, s15
	s_and_b32 s16, s1, s8
	s_delay_alu instid0(SALU_CYCLE_1)
	s_and_saveexec_b32 s15, s16
	s_cbranch_execz .LBB280_254
.LBB280_264:
	v_cmp_ne_u32_e32 vcc_lo, 1, v76
	s_cbranch_vccnz .LBB280_266
; %bb.265:
	v_lshlrev_b64 v[26:27], 1, v[34:35]
	s_delay_alu instid0(VALU_DEP_1) | instskip(NEXT) | instid1(VALU_DEP_2)
	v_add_co_u32 v26, vcc_lo, v24, v26
	v_add_co_ci_u32_e32 v27, vcc_lo, v25, v27, vcc_lo
	flat_load_u16 v26, v[26:27]
	s_waitcnt vmcnt(0) lgkmcnt(0)
	v_mul_f16_e32 v26, s19, v26
	s_branch .LBB280_267
.LBB280_266:
	v_mov_b32_e32 v26, 0
.LBB280_267:
	v_pk_add_f16 v27, v18, v22
	v_pk_max_f16 v28, v70, v70
	v_pk_add_f16 v29, v19, v23
	s_delay_alu instid0(VALU_DEP_2) | instskip(NEXT) | instid1(VALU_DEP_1)
	v_pk_min_f16 v27, v28, v27
	v_pk_min_f16 v29, v27, v29
	v_lshlrev_b64 v[27:28], 1, v[34:35]
	s_delay_alu instid0(VALU_DEP_2) | instskip(NEXT) | instid1(VALU_DEP_1)
	v_lshrrev_b32_e32 v30, 16, v29
	v_min3_f16 v29, v26, v29, v30
	s_delay_alu instid0(VALU_DEP_3) | instskip(NEXT) | instid1(VALU_DEP_4)
	v_add_co_u32 v26, vcc_lo, v20, v27
	v_add_co_ci_u32_e32 v27, vcc_lo, v21, v28, vcc_lo
	global_store_b16 v[26:27], v29, off
	s_or_b32 exec_lo, exec_lo, s15
	s_and_b32 s16, s2, s8
	s_delay_alu instid0(SALU_CYCLE_1)
	s_and_saveexec_b32 s15, s16
	s_cbranch_execz .LBB280_255
.LBB280_268:
	v_cmp_ne_u32_e32 vcc_lo, 1, v76
	s_cbranch_vccnz .LBB280_270
; %bb.269:
	v_lshlrev_b64 v[26:27], 1, v[36:37]
	s_delay_alu instid0(VALU_DEP_1) | instskip(NEXT) | instid1(VALU_DEP_2)
	v_add_co_u32 v26, vcc_lo, v24, v26
	v_add_co_ci_u32_e32 v27, vcc_lo, v25, v27, vcc_lo
	flat_load_u16 v26, v[26:27]
	s_waitcnt vmcnt(0) lgkmcnt(0)
	v_mul_f16_e32 v26, s19, v26
	s_branch .LBB280_271
.LBB280_270:
	v_mov_b32_e32 v26, 0
.LBB280_271:
	v_pk_add_f16 v27, v12, v22
	v_pk_max_f16 v28, v69, v69
	v_pk_add_f16 v29, v13, v23
	s_delay_alu instid0(VALU_DEP_2) | instskip(NEXT) | instid1(VALU_DEP_1)
	v_pk_min_f16 v27, v28, v27
	v_pk_min_f16 v29, v27, v29
	v_lshlrev_b64 v[27:28], 1, v[36:37]
	s_delay_alu instid0(VALU_DEP_2) | instskip(NEXT) | instid1(VALU_DEP_1)
	v_lshrrev_b32_e32 v30, 16, v29
	v_min3_f16 v29, v26, v29, v30
	s_delay_alu instid0(VALU_DEP_3) | instskip(NEXT) | instid1(VALU_DEP_4)
	v_add_co_u32 v26, vcc_lo, v20, v27
	v_add_co_ci_u32_e32 v27, vcc_lo, v21, v28, vcc_lo
	global_store_b16 v[26:27], v29, off
	s_or_b32 exec_lo, exec_lo, s15
	s_and_b32 s16, s3, s8
	s_delay_alu instid0(SALU_CYCLE_1)
	s_and_saveexec_b32 s15, s16
	s_cbranch_execz .LBB280_256
.LBB280_272:
	v_cmp_ne_u32_e32 vcc_lo, 1, v76
	s_cbranch_vccnz .LBB280_274
; %bb.273:
	v_lshlrev_b64 v[26:27], 1, v[38:39]
	s_delay_alu instid0(VALU_DEP_1) | instskip(NEXT) | instid1(VALU_DEP_2)
	v_add_co_u32 v26, vcc_lo, v24, v26
	v_add_co_ci_u32_e32 v27, vcc_lo, v25, v27, vcc_lo
	flat_load_u16 v26, v[26:27]
	s_waitcnt vmcnt(0) lgkmcnt(0)
	v_mul_f16_e32 v26, s19, v26
	s_branch .LBB280_275
.LBB280_274:
	v_mov_b32_e32 v26, 0
.LBB280_275:
	v_pk_add_f16 v27, v14, v22
	v_pk_max_f16 v28, v68, v68
	v_pk_add_f16 v29, v15, v23
	s_delay_alu instid0(VALU_DEP_2) | instskip(NEXT) | instid1(VALU_DEP_1)
	v_pk_min_f16 v27, v28, v27
	v_pk_min_f16 v29, v27, v29
	v_lshlrev_b64 v[27:28], 1, v[38:39]
	s_delay_alu instid0(VALU_DEP_2) | instskip(NEXT) | instid1(VALU_DEP_1)
	v_lshrrev_b32_e32 v30, 16, v29
	v_min3_f16 v29, v26, v29, v30
	s_delay_alu instid0(VALU_DEP_3) | instskip(NEXT) | instid1(VALU_DEP_4)
	v_add_co_u32 v26, vcc_lo, v20, v27
	v_add_co_ci_u32_e32 v27, vcc_lo, v21, v28, vcc_lo
	global_store_b16 v[26:27], v29, off
	s_or_b32 exec_lo, exec_lo, s15
	s_and_b32 s16, s4, s8
	s_delay_alu instid0(SALU_CYCLE_1)
	s_and_saveexec_b32 s15, s16
	s_cbranch_execz .LBB280_257
.LBB280_276:
	v_cmp_ne_u32_e32 vcc_lo, 1, v76
	s_cbranch_vccnz .LBB280_278
; %bb.277:
	v_lshlrev_b64 v[26:27], 1, v[40:41]
	s_delay_alu instid0(VALU_DEP_1) | instskip(NEXT) | instid1(VALU_DEP_2)
	v_add_co_u32 v26, vcc_lo, v24, v26
	v_add_co_ci_u32_e32 v27, vcc_lo, v25, v27, vcc_lo
	flat_load_u16 v26, v[26:27]
	s_waitcnt vmcnt(0) lgkmcnt(0)
	v_mul_f16_e32 v26, s19, v26
	s_branch .LBB280_279
.LBB280_278:
	v_mov_b32_e32 v26, 0
.LBB280_279:
	v_pk_add_f16 v27, v8, v22
	v_pk_max_f16 v28, v67, v67
	v_pk_add_f16 v29, v9, v23
	s_delay_alu instid0(VALU_DEP_2) | instskip(NEXT) | instid1(VALU_DEP_1)
	v_pk_min_f16 v27, v28, v27
	v_pk_min_f16 v29, v27, v29
	v_lshlrev_b64 v[27:28], 1, v[40:41]
	s_delay_alu instid0(VALU_DEP_2) | instskip(NEXT) | instid1(VALU_DEP_1)
	v_lshrrev_b32_e32 v30, 16, v29
	v_min3_f16 v29, v26, v29, v30
	s_delay_alu instid0(VALU_DEP_3) | instskip(NEXT) | instid1(VALU_DEP_4)
	v_add_co_u32 v26, vcc_lo, v20, v27
	v_add_co_ci_u32_e32 v27, vcc_lo, v21, v28, vcc_lo
	global_store_b16 v[26:27], v29, off
	s_or_b32 exec_lo, exec_lo, s15
	s_and_b32 s16, s5, s8
	s_delay_alu instid0(SALU_CYCLE_1)
	s_and_saveexec_b32 s15, s16
	s_cbranch_execz .LBB280_258
.LBB280_280:
	v_cmp_ne_u32_e32 vcc_lo, 1, v76
	s_cbranch_vccnz .LBB280_282
; %bb.281:
	v_lshlrev_b64 v[26:27], 1, v[42:43]
	s_delay_alu instid0(VALU_DEP_1) | instskip(NEXT) | instid1(VALU_DEP_2)
	v_add_co_u32 v26, vcc_lo, v24, v26
	v_add_co_ci_u32_e32 v27, vcc_lo, v25, v27, vcc_lo
	flat_load_u16 v26, v[26:27]
	s_waitcnt vmcnt(0) lgkmcnt(0)
	v_mul_f16_e32 v26, s19, v26
	s_branch .LBB280_283
.LBB280_282:
	v_mov_b32_e32 v26, 0
.LBB280_283:
	v_pk_add_f16 v27, v10, v22
	v_pk_max_f16 v28, v66, v66
	v_pk_add_f16 v29, v11, v23
	s_delay_alu instid0(VALU_DEP_2) | instskip(NEXT) | instid1(VALU_DEP_1)
	v_pk_min_f16 v27, v28, v27
	v_pk_min_f16 v29, v27, v29
	v_lshlrev_b64 v[27:28], 1, v[42:43]
	s_delay_alu instid0(VALU_DEP_2) | instskip(NEXT) | instid1(VALU_DEP_1)
	v_lshrrev_b32_e32 v30, 16, v29
	v_min3_f16 v29, v26, v29, v30
	s_delay_alu instid0(VALU_DEP_3) | instskip(NEXT) | instid1(VALU_DEP_4)
	v_add_co_u32 v26, vcc_lo, v20, v27
	v_add_co_ci_u32_e32 v27, vcc_lo, v21, v28, vcc_lo
	global_store_b16 v[26:27], v29, off
	s_or_b32 exec_lo, exec_lo, s15
	s_and_b32 s16, s6, s8
	s_delay_alu instid0(SALU_CYCLE_1)
	s_and_saveexec_b32 s15, s16
	s_cbranch_execz .LBB280_259
.LBB280_284:
	v_cmp_ne_u32_e32 vcc_lo, 1, v76
	s_cbranch_vccnz .LBB280_286
; %bb.285:
	v_lshlrev_b64 v[26:27], 1, v[44:45]
	s_delay_alu instid0(VALU_DEP_1) | instskip(NEXT) | instid1(VALU_DEP_2)
	v_add_co_u32 v26, vcc_lo, v24, v26
	v_add_co_ci_u32_e32 v27, vcc_lo, v25, v27, vcc_lo
	flat_load_u16 v26, v[26:27]
	s_waitcnt vmcnt(0) lgkmcnt(0)
	v_mul_f16_e32 v26, s19, v26
	s_branch .LBB280_287
.LBB280_286:
	v_mov_b32_e32 v26, 0
.LBB280_287:
	v_pk_add_f16 v27, v0, v22
	v_pk_max_f16 v28, v65, v65
	v_pk_add_f16 v29, v1, v23
	s_delay_alu instid0(VALU_DEP_2) | instskip(NEXT) | instid1(VALU_DEP_1)
	v_pk_min_f16 v27, v28, v27
	v_pk_min_f16 v29, v27, v29
	v_lshlrev_b64 v[27:28], 1, v[44:45]
	s_delay_alu instid0(VALU_DEP_2) | instskip(NEXT) | instid1(VALU_DEP_1)
	v_lshrrev_b32_e32 v30, 16, v29
	v_min3_f16 v29, v26, v29, v30
	s_delay_alu instid0(VALU_DEP_3) | instskip(NEXT) | instid1(VALU_DEP_4)
	v_add_co_u32 v26, vcc_lo, v20, v27
	v_add_co_ci_u32_e32 v27, vcc_lo, v21, v28, vcc_lo
	global_store_b16 v[26:27], v29, off
	s_or_b32 exec_lo, exec_lo, s15
	s_and_b32 s15, s7, s8
	s_delay_alu instid0(SALU_CYCLE_1)
	s_and_saveexec_b32 s8, s15
	s_cbranch_execz .LBB280_292
.LBB280_288:
	v_cmp_ne_u32_e32 vcc_lo, 1, v76
	s_cbranch_vccnz .LBB280_290
; %bb.289:
	v_lshlrev_b64 v[26:27], 1, v[46:47]
	s_delay_alu instid0(VALU_DEP_1) | instskip(NEXT) | instid1(VALU_DEP_2)
	v_add_co_u32 v24, vcc_lo, v24, v26
	v_add_co_ci_u32_e32 v25, vcc_lo, v25, v27, vcc_lo
	flat_load_u16 v24, v[24:25]
	s_waitcnt vmcnt(0) lgkmcnt(0)
	v_mul_f16_e32 v24, s19, v24
	s_branch .LBB280_291
.LBB280_290:
	v_mov_b32_e32 v24, 0
.LBB280_291:
	v_pk_add_f16 v22, v2, v22
	v_pk_max_f16 v25, v64, v64
	v_pk_add_f16 v23, v3, v23
	s_delay_alu instid0(VALU_DEP_2) | instskip(NEXT) | instid1(VALU_DEP_1)
	v_pk_min_f16 v22, v25, v22
	v_pk_min_f16 v25, v22, v23
	v_lshlrev_b64 v[22:23], 1, v[46:47]
	s_delay_alu instid0(VALU_DEP_2) | instskip(NEXT) | instid1(VALU_DEP_2)
	v_lshrrev_b32_e32 v26, 16, v25
	v_add_co_u32 v20, vcc_lo, v20, v22
	s_delay_alu instid0(VALU_DEP_3) | instskip(NEXT) | instid1(VALU_DEP_3)
	v_add_co_ci_u32_e32 v21, vcc_lo, v21, v23, vcc_lo
	v_min3_f16 v24, v24, v25, v26
	global_store_b16 v[20:21], v24, off
.LBB280_292:
	s_or_b32 exec_lo, exec_lo, s8
	v_add_nc_u32_e32 v24, 0xc0, v83
	s_delay_alu instid0(VALU_DEP_1) | instskip(SKIP_2) | instid1(VALU_DEP_3)
	v_mad_i64_i32 v[20:21], null, v24, s14, 0
	v_mad_i64_i32 v[22:23], null, v24, s9, 0
	v_cmp_gt_i32_e64 s8, s17, v24
	v_lshlrev_b64 v[20:21], 1, v[20:21]
	s_delay_alu instid0(VALU_DEP_2) | instskip(NEXT) | instid1(VALU_DEP_3)
	s_and_b32 s16, s0, s8
	v_lshlrev_b64 v[24:25], 1, v[22:23]
	s_delay_alu instid0(VALU_DEP_2) | instskip(NEXT) | instid1(VALU_DEP_3)
	v_add_co_u32 v22, vcc_lo, s12, v20
	v_add_co_ci_u32_e32 v23, vcc_lo, s13, v21, vcc_lo
	s_delay_alu instid0(VALU_DEP_3) | instskip(NEXT) | instid1(VALU_DEP_4)
	v_add_co_u32 v20, vcc_lo, s10, v24
	v_add_co_ci_u32_e32 v21, vcc_lo, s11, v25, vcc_lo
	s_and_saveexec_b32 s15, s16
	s_cbranch_execnz .LBB280_300
; %bb.293:
	s_or_b32 exec_lo, exec_lo, s15
	s_and_b32 s16, s1, s8
	s_delay_alu instid0(SALU_CYCLE_1)
	s_and_saveexec_b32 s15, s16
	s_cbranch_execnz .LBB280_304
.LBB280_294:
	s_or_b32 exec_lo, exec_lo, s15
	s_and_b32 s16, s2, s8
	s_delay_alu instid0(SALU_CYCLE_1)
	s_and_saveexec_b32 s15, s16
	s_cbranch_execnz .LBB280_308
.LBB280_295:
	s_or_b32 exec_lo, exec_lo, s15
	s_and_b32 s16, s3, s8
	s_delay_alu instid0(SALU_CYCLE_1)
	s_and_saveexec_b32 s15, s16
	s_cbranch_execnz .LBB280_312
.LBB280_296:
	s_or_b32 exec_lo, exec_lo, s15
	s_and_b32 s16, s4, s8
	s_delay_alu instid0(SALU_CYCLE_1)
	s_and_saveexec_b32 s15, s16
	s_cbranch_execnz .LBB280_316
.LBB280_297:
	s_or_b32 exec_lo, exec_lo, s15
	s_and_b32 s16, s5, s8
	s_delay_alu instid0(SALU_CYCLE_1)
	s_and_saveexec_b32 s15, s16
	s_cbranch_execnz .LBB280_320
.LBB280_298:
	s_or_b32 exec_lo, exec_lo, s15
	s_and_b32 s16, s6, s8
	s_delay_alu instid0(SALU_CYCLE_1)
	s_and_saveexec_b32 s15, s16
	s_cbranch_execnz .LBB280_324
.LBB280_299:
	s_or_b32 exec_lo, exec_lo, s15
	s_and_b32 s15, s7, s8
	s_delay_alu instid0(SALU_CYCLE_1)
	s_and_saveexec_b32 s8, s15
	s_cbranch_execnz .LBB280_328
	s_branch .LBB280_332
.LBB280_300:
	v_cmp_ne_u32_e32 vcc_lo, 1, v76
	s_cbranch_vccnz .LBB280_302
; %bb.301:
	v_lshlrev_b64 v[24:25], 1, v[32:33]
	s_delay_alu instid0(VALU_DEP_1) | instskip(NEXT) | instid1(VALU_DEP_2)
	v_add_co_u32 v24, vcc_lo, v22, v24
	v_add_co_ci_u32_e32 v25, vcc_lo, v23, v25, vcc_lo
	flat_load_u16 v24, v[24:25]
	s_waitcnt vmcnt(0) lgkmcnt(0)
	v_mul_f16_e32 v24, s19, v24
	s_branch .LBB280_303
.LBB280_302:
	v_mov_b32_e32 v24, 0
.LBB280_303:
	v_pk_add_f16 v25, v16, v4
	v_pk_max_f16 v26, v63, v63
	v_pk_add_f16 v27, v17, v5
	s_delay_alu instid0(VALU_DEP_2) | instskip(NEXT) | instid1(VALU_DEP_1)
	v_pk_min_f16 v25, v26, v25
	v_pk_min_f16 v27, v25, v27
	v_lshlrev_b64 v[25:26], 1, v[32:33]
	s_delay_alu instid0(VALU_DEP_2) | instskip(NEXT) | instid1(VALU_DEP_1)
	v_lshrrev_b32_e32 v28, 16, v27
	v_min3_f16 v27, v24, v27, v28
	s_delay_alu instid0(VALU_DEP_3) | instskip(NEXT) | instid1(VALU_DEP_4)
	v_add_co_u32 v24, vcc_lo, v20, v25
	v_add_co_ci_u32_e32 v25, vcc_lo, v21, v26, vcc_lo
	global_store_b16 v[24:25], v27, off
	s_or_b32 exec_lo, exec_lo, s15
	s_and_b32 s16, s1, s8
	s_delay_alu instid0(SALU_CYCLE_1)
	s_and_saveexec_b32 s15, s16
	s_cbranch_execz .LBB280_294
.LBB280_304:
	v_cmp_ne_u32_e32 vcc_lo, 1, v76
	s_cbranch_vccnz .LBB280_306
; %bb.305:
	v_lshlrev_b64 v[24:25], 1, v[34:35]
	s_delay_alu instid0(VALU_DEP_1) | instskip(NEXT) | instid1(VALU_DEP_2)
	v_add_co_u32 v24, vcc_lo, v22, v24
	v_add_co_ci_u32_e32 v25, vcc_lo, v23, v25, vcc_lo
	flat_load_u16 v24, v[24:25]
	s_waitcnt vmcnt(0) lgkmcnt(0)
	v_mul_f16_e32 v24, s19, v24
	s_branch .LBB280_307
.LBB280_306:
	v_mov_b32_e32 v24, 0
.LBB280_307:
	v_pk_add_f16 v25, v18, v4
	v_pk_max_f16 v26, v62, v62
	v_pk_add_f16 v27, v19, v5
	s_delay_alu instid0(VALU_DEP_2) | instskip(NEXT) | instid1(VALU_DEP_1)
	v_pk_min_f16 v25, v26, v25
	v_pk_min_f16 v27, v25, v27
	v_lshlrev_b64 v[25:26], 1, v[34:35]
	s_delay_alu instid0(VALU_DEP_2) | instskip(NEXT) | instid1(VALU_DEP_1)
	v_lshrrev_b32_e32 v28, 16, v27
	v_min3_f16 v27, v24, v27, v28
	s_delay_alu instid0(VALU_DEP_3) | instskip(NEXT) | instid1(VALU_DEP_4)
	v_add_co_u32 v24, vcc_lo, v20, v25
	v_add_co_ci_u32_e32 v25, vcc_lo, v21, v26, vcc_lo
	global_store_b16 v[24:25], v27, off
	s_or_b32 exec_lo, exec_lo, s15
	s_and_b32 s16, s2, s8
	s_delay_alu instid0(SALU_CYCLE_1)
	s_and_saveexec_b32 s15, s16
	s_cbranch_execz .LBB280_295
.LBB280_308:
	v_cmp_ne_u32_e32 vcc_lo, 1, v76
	s_cbranch_vccnz .LBB280_310
; %bb.309:
	v_lshlrev_b64 v[24:25], 1, v[36:37]
	s_delay_alu instid0(VALU_DEP_1) | instskip(NEXT) | instid1(VALU_DEP_2)
	v_add_co_u32 v24, vcc_lo, v22, v24
	v_add_co_ci_u32_e32 v25, vcc_lo, v23, v25, vcc_lo
	flat_load_u16 v24, v[24:25]
	s_waitcnt vmcnt(0) lgkmcnt(0)
	v_mul_f16_e32 v24, s19, v24
	s_branch .LBB280_311
.LBB280_310:
	v_mov_b32_e32 v24, 0
.LBB280_311:
	v_pk_add_f16 v25, v12, v4
	v_pk_max_f16 v26, v61, v61
	v_pk_add_f16 v27, v13, v5
	s_delay_alu instid0(VALU_DEP_2) | instskip(NEXT) | instid1(VALU_DEP_1)
	v_pk_min_f16 v25, v26, v25
	v_pk_min_f16 v27, v25, v27
	v_lshlrev_b64 v[25:26], 1, v[36:37]
	s_delay_alu instid0(VALU_DEP_2) | instskip(NEXT) | instid1(VALU_DEP_1)
	v_lshrrev_b32_e32 v28, 16, v27
	v_min3_f16 v27, v24, v27, v28
	s_delay_alu instid0(VALU_DEP_3) | instskip(NEXT) | instid1(VALU_DEP_4)
	v_add_co_u32 v24, vcc_lo, v20, v25
	v_add_co_ci_u32_e32 v25, vcc_lo, v21, v26, vcc_lo
	global_store_b16 v[24:25], v27, off
	s_or_b32 exec_lo, exec_lo, s15
	s_and_b32 s16, s3, s8
	s_delay_alu instid0(SALU_CYCLE_1)
	s_and_saveexec_b32 s15, s16
	s_cbranch_execz .LBB280_296
.LBB280_312:
	v_cmp_ne_u32_e32 vcc_lo, 1, v76
	s_cbranch_vccnz .LBB280_314
; %bb.313:
	v_lshlrev_b64 v[24:25], 1, v[38:39]
	s_delay_alu instid0(VALU_DEP_1) | instskip(NEXT) | instid1(VALU_DEP_2)
	v_add_co_u32 v24, vcc_lo, v22, v24
	v_add_co_ci_u32_e32 v25, vcc_lo, v23, v25, vcc_lo
	flat_load_u16 v24, v[24:25]
	s_waitcnt vmcnt(0) lgkmcnt(0)
	v_mul_f16_e32 v24, s19, v24
	s_branch .LBB280_315
.LBB280_314:
	v_mov_b32_e32 v24, 0
.LBB280_315:
	v_pk_add_f16 v25, v14, v4
	v_pk_max_f16 v26, v60, v60
	v_pk_add_f16 v27, v15, v5
	s_delay_alu instid0(VALU_DEP_2) | instskip(NEXT) | instid1(VALU_DEP_1)
	v_pk_min_f16 v25, v26, v25
	v_pk_min_f16 v27, v25, v27
	v_lshlrev_b64 v[25:26], 1, v[38:39]
	s_delay_alu instid0(VALU_DEP_2) | instskip(NEXT) | instid1(VALU_DEP_1)
	v_lshrrev_b32_e32 v28, 16, v27
	v_min3_f16 v27, v24, v27, v28
	s_delay_alu instid0(VALU_DEP_3) | instskip(NEXT) | instid1(VALU_DEP_4)
	v_add_co_u32 v24, vcc_lo, v20, v25
	v_add_co_ci_u32_e32 v25, vcc_lo, v21, v26, vcc_lo
	global_store_b16 v[24:25], v27, off
	s_or_b32 exec_lo, exec_lo, s15
	s_and_b32 s16, s4, s8
	s_delay_alu instid0(SALU_CYCLE_1)
	s_and_saveexec_b32 s15, s16
	s_cbranch_execz .LBB280_297
.LBB280_316:
	v_cmp_ne_u32_e32 vcc_lo, 1, v76
	s_cbranch_vccnz .LBB280_318
; %bb.317:
	v_lshlrev_b64 v[24:25], 1, v[40:41]
	s_delay_alu instid0(VALU_DEP_1) | instskip(NEXT) | instid1(VALU_DEP_2)
	v_add_co_u32 v24, vcc_lo, v22, v24
	v_add_co_ci_u32_e32 v25, vcc_lo, v23, v25, vcc_lo
	flat_load_u16 v24, v[24:25]
	s_waitcnt vmcnt(0) lgkmcnt(0)
	v_mul_f16_e32 v24, s19, v24
	s_branch .LBB280_319
.LBB280_318:
	v_mov_b32_e32 v24, 0
.LBB280_319:
	v_pk_add_f16 v25, v8, v4
	v_pk_max_f16 v26, v59, v59
	v_pk_add_f16 v27, v9, v5
	s_delay_alu instid0(VALU_DEP_2) | instskip(NEXT) | instid1(VALU_DEP_1)
	v_pk_min_f16 v25, v26, v25
	v_pk_min_f16 v27, v25, v27
	v_lshlrev_b64 v[25:26], 1, v[40:41]
	s_delay_alu instid0(VALU_DEP_2) | instskip(NEXT) | instid1(VALU_DEP_1)
	v_lshrrev_b32_e32 v28, 16, v27
	v_min3_f16 v27, v24, v27, v28
	s_delay_alu instid0(VALU_DEP_3) | instskip(NEXT) | instid1(VALU_DEP_4)
	v_add_co_u32 v24, vcc_lo, v20, v25
	v_add_co_ci_u32_e32 v25, vcc_lo, v21, v26, vcc_lo
	global_store_b16 v[24:25], v27, off
	s_or_b32 exec_lo, exec_lo, s15
	s_and_b32 s16, s5, s8
	s_delay_alu instid0(SALU_CYCLE_1)
	s_and_saveexec_b32 s15, s16
	s_cbranch_execz .LBB280_298
.LBB280_320:
	v_cmp_ne_u32_e32 vcc_lo, 1, v76
	s_cbranch_vccnz .LBB280_322
; %bb.321:
	v_lshlrev_b64 v[24:25], 1, v[42:43]
	s_delay_alu instid0(VALU_DEP_1) | instskip(NEXT) | instid1(VALU_DEP_2)
	v_add_co_u32 v24, vcc_lo, v22, v24
	v_add_co_ci_u32_e32 v25, vcc_lo, v23, v25, vcc_lo
	flat_load_u16 v24, v[24:25]
	s_waitcnt vmcnt(0) lgkmcnt(0)
	v_mul_f16_e32 v24, s19, v24
	s_branch .LBB280_323
.LBB280_322:
	v_mov_b32_e32 v24, 0
.LBB280_323:
	v_pk_add_f16 v25, v10, v4
	v_pk_max_f16 v26, v58, v58
	v_pk_add_f16 v27, v11, v5
	s_delay_alu instid0(VALU_DEP_2) | instskip(NEXT) | instid1(VALU_DEP_1)
	v_pk_min_f16 v25, v26, v25
	v_pk_min_f16 v27, v25, v27
	v_lshlrev_b64 v[25:26], 1, v[42:43]
	s_delay_alu instid0(VALU_DEP_2) | instskip(NEXT) | instid1(VALU_DEP_1)
	v_lshrrev_b32_e32 v28, 16, v27
	v_min3_f16 v27, v24, v27, v28
	s_delay_alu instid0(VALU_DEP_3) | instskip(NEXT) | instid1(VALU_DEP_4)
	v_add_co_u32 v24, vcc_lo, v20, v25
	v_add_co_ci_u32_e32 v25, vcc_lo, v21, v26, vcc_lo
	global_store_b16 v[24:25], v27, off
	s_or_b32 exec_lo, exec_lo, s15
	s_and_b32 s16, s6, s8
	s_delay_alu instid0(SALU_CYCLE_1)
	s_and_saveexec_b32 s15, s16
	s_cbranch_execz .LBB280_299
.LBB280_324:
	v_cmp_ne_u32_e32 vcc_lo, 1, v76
	s_cbranch_vccnz .LBB280_326
; %bb.325:
	v_lshlrev_b64 v[24:25], 1, v[44:45]
	s_delay_alu instid0(VALU_DEP_1) | instskip(NEXT) | instid1(VALU_DEP_2)
	v_add_co_u32 v24, vcc_lo, v22, v24
	v_add_co_ci_u32_e32 v25, vcc_lo, v23, v25, vcc_lo
	flat_load_u16 v24, v[24:25]
	s_waitcnt vmcnt(0) lgkmcnt(0)
	v_mul_f16_e32 v24, s19, v24
	s_branch .LBB280_327
.LBB280_326:
	v_mov_b32_e32 v24, 0
.LBB280_327:
	v_pk_add_f16 v25, v0, v4
	v_pk_max_f16 v26, v57, v57
	v_pk_add_f16 v27, v1, v5
	s_delay_alu instid0(VALU_DEP_2) | instskip(NEXT) | instid1(VALU_DEP_1)
	v_pk_min_f16 v25, v26, v25
	v_pk_min_f16 v27, v25, v27
	v_lshlrev_b64 v[25:26], 1, v[44:45]
	s_delay_alu instid0(VALU_DEP_2) | instskip(NEXT) | instid1(VALU_DEP_1)
	v_lshrrev_b32_e32 v28, 16, v27
	v_min3_f16 v27, v24, v27, v28
	s_delay_alu instid0(VALU_DEP_3) | instskip(NEXT) | instid1(VALU_DEP_4)
	v_add_co_u32 v24, vcc_lo, v20, v25
	v_add_co_ci_u32_e32 v25, vcc_lo, v21, v26, vcc_lo
	global_store_b16 v[24:25], v27, off
	s_or_b32 exec_lo, exec_lo, s15
	s_and_b32 s15, s7, s8
	s_delay_alu instid0(SALU_CYCLE_1)
	s_and_saveexec_b32 s8, s15
	s_cbranch_execz .LBB280_332
.LBB280_328:
	v_cmp_ne_u32_e32 vcc_lo, 1, v76
	s_cbranch_vccnz .LBB280_330
; %bb.329:
	v_lshlrev_b64 v[24:25], 1, v[46:47]
	s_delay_alu instid0(VALU_DEP_1) | instskip(NEXT) | instid1(VALU_DEP_2)
	v_add_co_u32 v22, vcc_lo, v22, v24
	v_add_co_ci_u32_e32 v23, vcc_lo, v23, v25, vcc_lo
	flat_load_u16 v22, v[22:23]
	s_waitcnt vmcnt(0) lgkmcnt(0)
	v_mul_f16_e32 v22, s19, v22
	s_branch .LBB280_331
.LBB280_330:
	v_mov_b32_e32 v22, 0
.LBB280_331:
	v_pk_add_f16 v4, v2, v4
	v_pk_max_f16 v23, v56, v56
	v_pk_add_f16 v5, v3, v5
	s_delay_alu instid0(VALU_DEP_2) | instskip(NEXT) | instid1(VALU_DEP_1)
	v_pk_min_f16 v4, v23, v4
	v_pk_min_f16 v23, v4, v5
	v_lshlrev_b64 v[4:5], 1, v[46:47]
	s_delay_alu instid0(VALU_DEP_2) | instskip(NEXT) | instid1(VALU_DEP_2)
	v_lshrrev_b32_e32 v24, 16, v23
	v_add_co_u32 v4, vcc_lo, v20, v4
	s_delay_alu instid0(VALU_DEP_3) | instskip(NEXT) | instid1(VALU_DEP_3)
	v_add_co_ci_u32_e32 v5, vcc_lo, v21, v5, vcc_lo
	v_min3_f16 v22, v22, v23, v24
	global_store_b16 v[4:5], v22, off
.LBB280_332:
	s_or_b32 exec_lo, exec_lo, s8
	v_add_nc_u32_e32 v22, 0xe0, v83
	s_delay_alu instid0(VALU_DEP_1) | instskip(SKIP_2) | instid1(VALU_DEP_3)
	v_mad_i64_i32 v[4:5], null, v22, s14, 0
	v_mad_i64_i32 v[20:21], null, v22, s9, 0
	v_cmp_gt_i32_e64 s8, s17, v22
	v_lshlrev_b64 v[4:5], 1, v[4:5]
	s_delay_alu instid0(VALU_DEP_2) | instskip(NEXT) | instid1(VALU_DEP_3)
	s_and_b32 s9, s0, s8
	v_lshlrev_b64 v[20:21], 1, v[20:21]
	s_delay_alu instid0(VALU_DEP_2) | instskip(NEXT) | instid1(VALU_DEP_3)
	v_add_co_u32 v22, vcc_lo, s12, v4
	v_add_co_ci_u32_e32 v23, vcc_lo, s13, v5, vcc_lo
	s_delay_alu instid0(VALU_DEP_3) | instskip(NEXT) | instid1(VALU_DEP_4)
	v_add_co_u32 v20, vcc_lo, s10, v20
	v_add_co_ci_u32_e32 v21, vcc_lo, s11, v21, vcc_lo
	s_and_saveexec_b32 s0, s9
	s_cbranch_execnz .LBB280_341
; %bb.333:
	s_or_b32 exec_lo, exec_lo, s0
	s_and_b32 s1, s1, s8
	s_delay_alu instid0(SALU_CYCLE_1)
	s_and_saveexec_b32 s0, s1
	s_cbranch_execnz .LBB280_345
.LBB280_334:
	s_or_b32 exec_lo, exec_lo, s0
	s_and_b32 s1, s2, s8
	s_delay_alu instid0(SALU_CYCLE_1)
	s_and_saveexec_b32 s0, s1
	s_cbranch_execnz .LBB280_349
.LBB280_335:
	s_or_b32 exec_lo, exec_lo, s0
	s_and_b32 s1, s3, s8
	s_delay_alu instid0(SALU_CYCLE_1)
	s_and_saveexec_b32 s0, s1
	s_cbranch_execnz .LBB280_353
.LBB280_336:
	s_or_b32 exec_lo, exec_lo, s0
	s_and_b32 s1, s4, s8
	s_delay_alu instid0(SALU_CYCLE_1)
	s_and_saveexec_b32 s0, s1
	s_cbranch_execnz .LBB280_357
.LBB280_337:
	s_or_b32 exec_lo, exec_lo, s0
	s_and_b32 s1, s5, s8
	s_delay_alu instid0(SALU_CYCLE_1)
	s_and_saveexec_b32 s0, s1
	s_cbranch_execnz .LBB280_361
.LBB280_338:
	s_or_b32 exec_lo, exec_lo, s0
	s_and_b32 s1, s6, s8
	s_delay_alu instid0(SALU_CYCLE_1)
	s_and_saveexec_b32 s0, s1
	s_cbranch_execnz .LBB280_365
.LBB280_339:
	s_or_b32 exec_lo, exec_lo, s0
	s_and_b32 s0, s7, s8
	s_delay_alu instid0(SALU_CYCLE_1)
	s_and_saveexec_b32 s1, s0
	s_cbranch_execnz .LBB280_369
.LBB280_340:
	s_nop 0
	s_sendmsg sendmsg(MSG_DEALLOC_VGPRS)
	s_endpgm
.LBB280_341:
	v_cmp_ne_u32_e32 vcc_lo, 1, v76
	v_lshlrev_b64 v[4:5], 1, v[32:33]
	s_cbranch_vccnz .LBB280_343
; %bb.342:
	s_delay_alu instid0(VALU_DEP_1) | instskip(NEXT) | instid1(VALU_DEP_2)
	v_add_co_u32 v24, vcc_lo, v22, v4
	v_add_co_ci_u32_e32 v25, vcc_lo, v23, v5, vcc_lo
	flat_load_u16 v24, v[24:25]
	s_waitcnt vmcnt(0) lgkmcnt(0)
	v_mul_f16_e32 v24, s19, v24
	s_branch .LBB280_344
.LBB280_343:
	v_mov_b32_e32 v24, 0
.LBB280_344:
	v_pk_add_f16 v16, v16, v6
	v_pk_max_f16 v25, v54, v54
	v_pk_add_f16 v17, v17, v7
	v_add_co_u32 v4, vcc_lo, v20, v4
	v_add_co_ci_u32_e32 v5, vcc_lo, v21, v5, vcc_lo
	s_delay_alu instid0(VALU_DEP_4) | instskip(NEXT) | instid1(VALU_DEP_1)
	v_pk_min_f16 v16, v25, v16
	v_pk_min_f16 v16, v16, v17
	s_delay_alu instid0(VALU_DEP_1) | instskip(NEXT) | instid1(VALU_DEP_1)
	v_lshrrev_b32_e32 v17, 16, v16
	v_min3_f16 v16, v24, v16, v17
	global_store_b16 v[4:5], v16, off
	s_or_b32 exec_lo, exec_lo, s0
	s_and_b32 s1, s1, s8
	s_delay_alu instid0(SALU_CYCLE_1)
	s_and_saveexec_b32 s0, s1
	s_cbranch_execz .LBB280_334
.LBB280_345:
	v_cmp_ne_u32_e32 vcc_lo, 1, v76
	v_lshlrev_b64 v[4:5], 1, v[34:35]
	s_cbranch_vccnz .LBB280_347
; %bb.346:
	s_delay_alu instid0(VALU_DEP_1) | instskip(NEXT) | instid1(VALU_DEP_2)
	v_add_co_u32 v16, vcc_lo, v22, v4
	v_add_co_ci_u32_e32 v17, vcc_lo, v23, v5, vcc_lo
	flat_load_u16 v16, v[16:17]
	s_waitcnt vmcnt(0) lgkmcnt(0)
	v_mul_f16_e32 v16, s19, v16
	s_branch .LBB280_348
.LBB280_347:
	v_mov_b32_e32 v16, 0
.LBB280_348:
	v_pk_add_f16 v17, v18, v6
	v_pk_max_f16 v18, v52, v52
	v_pk_add_f16 v19, v19, v7
	v_add_co_u32 v4, vcc_lo, v20, v4
	v_add_co_ci_u32_e32 v5, vcc_lo, v21, v5, vcc_lo
	s_delay_alu instid0(VALU_DEP_4) | instskip(NEXT) | instid1(VALU_DEP_1)
	v_pk_min_f16 v17, v18, v17
	v_pk_min_f16 v17, v17, v19
	s_delay_alu instid0(VALU_DEP_1) | instskip(NEXT) | instid1(VALU_DEP_1)
	v_lshrrev_b32_e32 v18, 16, v17
	v_min3_f16 v16, v16, v17, v18
	global_store_b16 v[4:5], v16, off
	s_or_b32 exec_lo, exec_lo, s0
	s_and_b32 s1, s2, s8
	s_delay_alu instid0(SALU_CYCLE_1)
	s_and_saveexec_b32 s0, s1
	s_cbranch_execz .LBB280_335
.LBB280_349:
	v_cmp_ne_u32_e32 vcc_lo, 1, v76
	v_lshlrev_b64 v[4:5], 1, v[36:37]
	s_cbranch_vccnz .LBB280_351
; %bb.350:
	s_delay_alu instid0(VALU_DEP_1) | instskip(NEXT) | instid1(VALU_DEP_2)
	v_add_co_u32 v16, vcc_lo, v22, v4
	v_add_co_ci_u32_e32 v17, vcc_lo, v23, v5, vcc_lo
	flat_load_u16 v16, v[16:17]
	s_waitcnt vmcnt(0) lgkmcnt(0)
	v_mul_f16_e32 v16, s19, v16
	s_branch .LBB280_352
.LBB280_351:
	v_mov_b32_e32 v16, 0
.LBB280_352:
	v_pk_add_f16 v12, v12, v6
	v_pk_max_f16 v17, v50, v50
	v_pk_add_f16 v13, v13, v7
	v_add_co_u32 v4, vcc_lo, v20, v4
	v_add_co_ci_u32_e32 v5, vcc_lo, v21, v5, vcc_lo
	s_delay_alu instid0(VALU_DEP_4) | instskip(NEXT) | instid1(VALU_DEP_1)
	v_pk_min_f16 v12, v17, v12
	v_pk_min_f16 v12, v12, v13
	s_delay_alu instid0(VALU_DEP_1) | instskip(NEXT) | instid1(VALU_DEP_1)
	v_lshrrev_b32_e32 v13, 16, v12
	v_min3_f16 v12, v16, v12, v13
	global_store_b16 v[4:5], v12, off
	s_or_b32 exec_lo, exec_lo, s0
	s_and_b32 s1, s3, s8
	s_delay_alu instid0(SALU_CYCLE_1)
	s_and_saveexec_b32 s0, s1
	s_cbranch_execz .LBB280_336
.LBB280_353:
	v_cmp_ne_u32_e32 vcc_lo, 1, v76
	v_lshlrev_b64 v[4:5], 1, v[38:39]
	s_cbranch_vccnz .LBB280_355
; %bb.354:
	s_delay_alu instid0(VALU_DEP_1) | instskip(NEXT) | instid1(VALU_DEP_2)
	v_add_co_u32 v12, vcc_lo, v22, v4
	v_add_co_ci_u32_e32 v13, vcc_lo, v23, v5, vcc_lo
	flat_load_u16 v12, v[12:13]
	s_waitcnt vmcnt(0) lgkmcnt(0)
	v_mul_f16_e32 v12, s19, v12
	s_branch .LBB280_356
.LBB280_355:
	v_mov_b32_e32 v12, 0
.LBB280_356:
	v_pk_add_f16 v13, v14, v6
	v_pk_max_f16 v14, v55, v55
	v_pk_add_f16 v15, v15, v7
	v_add_co_u32 v4, vcc_lo, v20, v4
	v_add_co_ci_u32_e32 v5, vcc_lo, v21, v5, vcc_lo
	s_delay_alu instid0(VALU_DEP_4) | instskip(NEXT) | instid1(VALU_DEP_1)
	v_pk_min_f16 v13, v14, v13
	v_pk_min_f16 v13, v13, v15
	s_delay_alu instid0(VALU_DEP_1) | instskip(NEXT) | instid1(VALU_DEP_1)
	v_lshrrev_b32_e32 v14, 16, v13
	v_min3_f16 v12, v12, v13, v14
	global_store_b16 v[4:5], v12, off
	s_or_b32 exec_lo, exec_lo, s0
	s_and_b32 s1, s4, s8
	s_delay_alu instid0(SALU_CYCLE_1)
	s_and_saveexec_b32 s0, s1
	s_cbranch_execz .LBB280_337
.LBB280_357:
	v_cmp_ne_u32_e32 vcc_lo, 1, v76
	v_lshlrev_b64 v[4:5], 1, v[40:41]
	s_cbranch_vccnz .LBB280_359
; %bb.358:
	s_delay_alu instid0(VALU_DEP_1) | instskip(NEXT) | instid1(VALU_DEP_2)
	v_add_co_u32 v12, vcc_lo, v22, v4
	v_add_co_ci_u32_e32 v13, vcc_lo, v23, v5, vcc_lo
	flat_load_u16 v12, v[12:13]
	s_waitcnt vmcnt(0) lgkmcnt(0)
	v_mul_f16_e32 v12, s19, v12
	s_branch .LBB280_360
.LBB280_359:
	v_mov_b32_e32 v12, 0
.LBB280_360:
	v_pk_add_f16 v8, v8, v6
	v_pk_max_f16 v13, v53, v53
	v_pk_add_f16 v9, v9, v7
	v_add_co_u32 v4, vcc_lo, v20, v4
	v_add_co_ci_u32_e32 v5, vcc_lo, v21, v5, vcc_lo
	s_delay_alu instid0(VALU_DEP_4) | instskip(NEXT) | instid1(VALU_DEP_1)
	v_pk_min_f16 v8, v13, v8
	v_pk_min_f16 v8, v8, v9
	s_delay_alu instid0(VALU_DEP_1) | instskip(NEXT) | instid1(VALU_DEP_1)
	v_lshrrev_b32_e32 v9, 16, v8
	v_min3_f16 v8, v12, v8, v9
	global_store_b16 v[4:5], v8, off
	s_or_b32 exec_lo, exec_lo, s0
	s_and_b32 s1, s5, s8
	s_delay_alu instid0(SALU_CYCLE_1)
	s_and_saveexec_b32 s0, s1
	s_cbranch_execz .LBB280_338
.LBB280_361:
	v_cmp_ne_u32_e32 vcc_lo, 1, v76
	v_lshlrev_b64 v[4:5], 1, v[42:43]
	s_cbranch_vccnz .LBB280_363
; %bb.362:
	s_delay_alu instid0(VALU_DEP_1) | instskip(NEXT) | instid1(VALU_DEP_2)
	v_add_co_u32 v8, vcc_lo, v22, v4
	v_add_co_ci_u32_e32 v9, vcc_lo, v23, v5, vcc_lo
	flat_load_u16 v8, v[8:9]
	s_waitcnt vmcnt(0) lgkmcnt(0)
	v_mul_f16_e32 v8, s19, v8
	s_branch .LBB280_364
.LBB280_363:
	v_mov_b32_e32 v8, 0
.LBB280_364:
	v_pk_add_f16 v9, v10, v6
	v_pk_max_f16 v10, v51, v51
	v_pk_add_f16 v11, v11, v7
	v_add_co_u32 v4, vcc_lo, v20, v4
	v_add_co_ci_u32_e32 v5, vcc_lo, v21, v5, vcc_lo
	s_delay_alu instid0(VALU_DEP_4) | instskip(NEXT) | instid1(VALU_DEP_1)
	v_pk_min_f16 v9, v10, v9
	v_pk_min_f16 v9, v9, v11
	s_delay_alu instid0(VALU_DEP_1) | instskip(NEXT) | instid1(VALU_DEP_1)
	v_lshrrev_b32_e32 v10, 16, v9
	v_min3_f16 v8, v8, v9, v10
	global_store_b16 v[4:5], v8, off
	s_or_b32 exec_lo, exec_lo, s0
	s_and_b32 s1, s6, s8
	s_delay_alu instid0(SALU_CYCLE_1)
	s_and_saveexec_b32 s0, s1
	s_cbranch_execz .LBB280_339
.LBB280_365:
	v_cmp_ne_u32_e32 vcc_lo, 1, v76
	v_lshlrev_b64 v[4:5], 1, v[44:45]
	s_cbranch_vccnz .LBB280_367
; %bb.366:
	s_delay_alu instid0(VALU_DEP_1) | instskip(NEXT) | instid1(VALU_DEP_2)
	v_add_co_u32 v8, vcc_lo, v22, v4
	v_add_co_ci_u32_e32 v9, vcc_lo, v23, v5, vcc_lo
	flat_load_u16 v8, v[8:9]
	s_waitcnt vmcnt(0) lgkmcnt(0)
	v_mul_f16_e32 v8, s19, v8
	s_branch .LBB280_368
.LBB280_367:
	v_mov_b32_e32 v8, 0
.LBB280_368:
	v_pk_add_f16 v0, v0, v6
	v_pk_max_f16 v9, v49, v49
	v_pk_add_f16 v1, v1, v7
	s_delay_alu instid0(VALU_DEP_2) | instskip(NEXT) | instid1(VALU_DEP_1)
	v_pk_min_f16 v0, v9, v0
	v_pk_min_f16 v0, v0, v1
	s_delay_alu instid0(VALU_DEP_1) | instskip(NEXT) | instid1(VALU_DEP_1)
	v_lshrrev_b32_e32 v1, 16, v0
	v_min3_f16 v8, v8, v0, v1
	v_add_co_u32 v0, vcc_lo, v20, v4
	v_add_co_ci_u32_e32 v1, vcc_lo, v21, v5, vcc_lo
	global_store_b16 v[0:1], v8, off
	s_or_b32 exec_lo, exec_lo, s0
	s_and_b32 s0, s7, s8
	s_delay_alu instid0(SALU_CYCLE_1)
	s_and_saveexec_b32 s1, s0
	s_cbranch_execz .LBB280_340
.LBB280_369:
	v_cmp_ne_u32_e32 vcc_lo, 1, v76
	v_lshlrev_b64 v[0:1], 1, v[46:47]
	s_cbranch_vccnz .LBB280_371
; %bb.370:
	s_delay_alu instid0(VALU_DEP_1) | instskip(NEXT) | instid1(VALU_DEP_2)
	v_add_co_u32 v4, vcc_lo, v22, v0
	v_add_co_ci_u32_e32 v5, vcc_lo, v23, v1, vcc_lo
	flat_load_u16 v4, v[4:5]
	s_waitcnt vmcnt(0) lgkmcnt(0)
	v_mul_f16_e32 v4, s19, v4
	s_branch .LBB280_372
.LBB280_371:
	v_mov_b32_e32 v4, 0
.LBB280_372:
	v_pk_add_f16 v2, v2, v6
	v_pk_max_f16 v5, v48, v48
	v_pk_add_f16 v3, v3, v7
	v_add_co_u32 v0, vcc_lo, v20, v0
	v_add_co_ci_u32_e32 v1, vcc_lo, v21, v1, vcc_lo
	s_delay_alu instid0(VALU_DEP_4) | instskip(NEXT) | instid1(VALU_DEP_1)
	v_pk_min_f16 v2, v5, v2
	v_pk_min_f16 v2, v2, v3
	s_delay_alu instid0(VALU_DEP_1) | instskip(NEXT) | instid1(VALU_DEP_1)
	v_lshrrev_b32_e32 v3, 16, v2
	v_min3_f16 v2, v4, v2, v3
	global_store_b16 v[0:1], v2, off
	s_nop 0
	s_sendmsg sendmsg(MSG_DEALLOC_VGPRS)
	s_endpgm
	.section	.rodata,"a",@progbits
	.p2align	6, 0x0
	.amdhsa_kernel _ZN12_GLOBAL__N_120geam_min_plus_kernelIDF16_Dv2_DF16_S1_Li8ELi32ELi64ELi256ELi4ELi4ELi64ELi64ELi4ELc84ELc84ELb1ELb1ELb1EDF16_KDF16_DF16_EEviiiT16_PT17_ilS5_ilS3_S5_ilPT18_ili26rocblas_geam_ex_operation_
		.amdhsa_group_segment_fixed_size 5120
		.amdhsa_private_segment_fixed_size 0
		.amdhsa_kernarg_size 128
		.amdhsa_user_sgpr_count 14
		.amdhsa_user_sgpr_dispatch_ptr 0
		.amdhsa_user_sgpr_queue_ptr 0
		.amdhsa_user_sgpr_kernarg_segment_ptr 1
		.amdhsa_user_sgpr_dispatch_id 0
		.amdhsa_user_sgpr_private_segment_size 0
		.amdhsa_wavefront_size32 1
		.amdhsa_uses_dynamic_stack 0
		.amdhsa_enable_private_segment 0
		.amdhsa_system_sgpr_workgroup_id_x 1
		.amdhsa_system_sgpr_workgroup_id_y 0
		.amdhsa_system_sgpr_workgroup_id_z 1
		.amdhsa_system_sgpr_workgroup_info 0
		.amdhsa_system_vgpr_workitem_id 1
		.amdhsa_next_free_vgpr 150
		.amdhsa_next_free_sgpr 31
		.amdhsa_reserve_vcc 1
		.amdhsa_float_round_mode_32 0
		.amdhsa_float_round_mode_16_64 0
		.amdhsa_float_denorm_mode_32 3
		.amdhsa_float_denorm_mode_16_64 3
		.amdhsa_dx10_clamp 1
		.amdhsa_ieee_mode 1
		.amdhsa_fp16_overflow 0
		.amdhsa_workgroup_processor_mode 1
		.amdhsa_memory_ordered 1
		.amdhsa_forward_progress 0
		.amdhsa_shared_vgpr_count 0
		.amdhsa_exception_fp_ieee_invalid_op 0
		.amdhsa_exception_fp_denorm_src 0
		.amdhsa_exception_fp_ieee_div_zero 0
		.amdhsa_exception_fp_ieee_overflow 0
		.amdhsa_exception_fp_ieee_underflow 0
		.amdhsa_exception_fp_ieee_inexact 0
		.amdhsa_exception_int_div_zero 0
	.end_amdhsa_kernel
	.section	.text._ZN12_GLOBAL__N_120geam_min_plus_kernelIDF16_Dv2_DF16_S1_Li8ELi32ELi64ELi256ELi4ELi4ELi64ELi64ELi4ELc84ELc84ELb1ELb1ELb1EDF16_KDF16_DF16_EEviiiT16_PT17_ilS5_ilS3_S5_ilPT18_ili26rocblas_geam_ex_operation_,"axG",@progbits,_ZN12_GLOBAL__N_120geam_min_plus_kernelIDF16_Dv2_DF16_S1_Li8ELi32ELi64ELi256ELi4ELi4ELi64ELi64ELi4ELc84ELc84ELb1ELb1ELb1EDF16_KDF16_DF16_EEviiiT16_PT17_ilS5_ilS3_S5_ilPT18_ili26rocblas_geam_ex_operation_,comdat
.Lfunc_end280:
	.size	_ZN12_GLOBAL__N_120geam_min_plus_kernelIDF16_Dv2_DF16_S1_Li8ELi32ELi64ELi256ELi4ELi4ELi64ELi64ELi4ELc84ELc84ELb1ELb1ELb1EDF16_KDF16_DF16_EEviiiT16_PT17_ilS5_ilS3_S5_ilPT18_ili26rocblas_geam_ex_operation_, .Lfunc_end280-_ZN12_GLOBAL__N_120geam_min_plus_kernelIDF16_Dv2_DF16_S1_Li8ELi32ELi64ELi256ELi4ELi4ELi64ELi64ELi4ELc84ELc84ELb1ELb1ELb1EDF16_KDF16_DF16_EEviiiT16_PT17_ilS5_ilS3_S5_ilPT18_ili26rocblas_geam_ex_operation_
                                        ; -- End function
	.section	.AMDGPU.csdata,"",@progbits
; Kernel info:
; codeLenInByte = 22944
; NumSgprs: 33
; NumVgprs: 150
; ScratchSize: 0
; MemoryBound: 0
; FloatMode: 240
; IeeeMode: 1
; LDSByteSize: 5120 bytes/workgroup (compile time only)
; SGPRBlocks: 4
; VGPRBlocks: 18
; NumSGPRsForWavesPerEU: 33
; NumVGPRsForWavesPerEU: 150
; Occupancy: 9
; WaveLimiterHint : 0
; COMPUTE_PGM_RSRC2:SCRATCH_EN: 0
; COMPUTE_PGM_RSRC2:USER_SGPR: 14
; COMPUTE_PGM_RSRC2:TRAP_HANDLER: 0
; COMPUTE_PGM_RSRC2:TGID_X_EN: 1
; COMPUTE_PGM_RSRC2:TGID_Y_EN: 0
; COMPUTE_PGM_RSRC2:TGID_Z_EN: 1
; COMPUTE_PGM_RSRC2:TIDIG_COMP_CNT: 1
	.section	.text._ZN12_GLOBAL__N_120geam_min_plus_kernelIDF16_Dv2_DF16_S1_Li8ELi32ELi64ELi256ELi4ELi4ELi64ELi64ELi4ELc84ELc84ELb0ELb1ELb1EDF16_KDF16_DF16_EEviiiT16_PT17_ilS5_ilS3_S5_ilPT18_ili26rocblas_geam_ex_operation_,"axG",@progbits,_ZN12_GLOBAL__N_120geam_min_plus_kernelIDF16_Dv2_DF16_S1_Li8ELi32ELi64ELi256ELi4ELi4ELi64ELi64ELi4ELc84ELc84ELb0ELb1ELb1EDF16_KDF16_DF16_EEviiiT16_PT17_ilS5_ilS3_S5_ilPT18_ili26rocblas_geam_ex_operation_,comdat
	.globl	_ZN12_GLOBAL__N_120geam_min_plus_kernelIDF16_Dv2_DF16_S1_Li8ELi32ELi64ELi256ELi4ELi4ELi64ELi64ELi4ELc84ELc84ELb0ELb1ELb1EDF16_KDF16_DF16_EEviiiT16_PT17_ilS5_ilS3_S5_ilPT18_ili26rocblas_geam_ex_operation_ ; -- Begin function _ZN12_GLOBAL__N_120geam_min_plus_kernelIDF16_Dv2_DF16_S1_Li8ELi32ELi64ELi256ELi4ELi4ELi64ELi64ELi4ELc84ELc84ELb0ELb1ELb1EDF16_KDF16_DF16_EEviiiT16_PT17_ilS5_ilS3_S5_ilPT18_ili26rocblas_geam_ex_operation_
	.p2align	8
	.type	_ZN12_GLOBAL__N_120geam_min_plus_kernelIDF16_Dv2_DF16_S1_Li8ELi32ELi64ELi256ELi4ELi4ELi64ELi64ELi4ELc84ELc84ELb0ELb1ELb1EDF16_KDF16_DF16_EEviiiT16_PT17_ilS5_ilS3_S5_ilPT18_ili26rocblas_geam_ex_operation_,@function
_ZN12_GLOBAL__N_120geam_min_plus_kernelIDF16_Dv2_DF16_S1_Li8ELi32ELi64ELi256ELi4ELi4ELi64ELi64ELi4ELc84ELc84ELb0ELb1ELb1EDF16_KDF16_DF16_EEviiiT16_PT17_ilS5_ilS3_S5_ilPT18_ili26rocblas_geam_ex_operation_: ; @_ZN12_GLOBAL__N_120geam_min_plus_kernelIDF16_Dv2_DF16_S1_Li8ELi32ELi64ELi256ELi4ELi4ELi64ELi64ELi4ELc84ELc84ELb0ELb1ELb1EDF16_KDF16_DF16_EEviiiT16_PT17_ilS5_ilS3_S5_ilPT18_ili26rocblas_geam_ex_operation_
; %bb.0:
	s_clause 0x1
	s_load_b128 s[16:19], s[0:1], 0x0
	s_load_b128 s[4:7], s[0:1], 0x20
	s_mov_b64 s[22:23], 0
	s_waitcnt lgkmcnt(0)
	v_cmp_eq_f16_e64 s28, s19, 0
	v_cmp_neq_f16_e64 s2, s19, 0
	s_delay_alu instid0(VALU_DEP_2)
	s_and_b32 vcc_lo, exec_lo, s28
	s_cbranch_vccnz .LBB281_2
; %bb.1:
	s_load_b64 s[8:9], s[0:1], 0x10
	s_mul_i32 s3, s15, s5
	s_mul_hi_u32 s5, s15, s4
	s_mul_i32 s4, s15, s4
	s_add_i32 s5, s5, s3
	s_delay_alu instid0(SALU_CYCLE_1)
	s_lshl_b64 s[4:5], s[4:5], 1
	s_waitcnt lgkmcnt(0)
	s_add_u32 s22, s8, s4
	s_addc_u32 s23, s9, s5
.LBB281_2:
	s_delay_alu instid0(VALU_DEP_1)
	s_and_b32 vcc_lo, exec_lo, s2
	s_cbranch_vccz .LBB281_4
; %bb.3:
	s_load_b64 s[2:3], s[0:1], 0x38
	s_mov_b32 s26, 0
	s_waitcnt lgkmcnt(0)
	s_mul_i32 s3, s15, s3
	s_mul_hi_u32 s4, s15, s2
	s_mul_i32 s2, s15, s2
	s_add_i32 s3, s4, s3
	s_delay_alu instid0(SALU_CYCLE_1) | instskip(NEXT) | instid1(SALU_CYCLE_1)
	s_lshl_b64 s[2:3], s[2:3], 1
	s_add_u32 s20, s6, s2
	s_addc_u32 s21, s7, s3
	s_cbranch_execz .LBB281_5
	s_branch .LBB281_6
.LBB281_4:
	s_mov_b32 s26, -1
                                        ; implicit-def: $sgpr20_sgpr21
.LBB281_5:
	s_mov_b32 s26, 0
	s_mov_b64 s[20:21], 0
.LBB281_6:
	s_clause 0x1
	s_load_b32 s24, s[0:1], 0x40
	s_load_b128 s[8:11], s[0:1], 0x58
	s_waitcnt lgkmcnt(0)
	v_cmp_eq_f16_e64 s2, s24, 0
	v_cmp_neq_f16_e64 s25, s24, 0
	s_delay_alu instid0(VALU_DEP_2)
	s_and_b32 vcc_lo, exec_lo, s2
	s_cbranch_vccnz .LBB281_8
; %bb.7:
	s_load_b64 s[2:3], s[0:1], 0x48
	s_mul_i32 s4, s15, s9
	s_mul_hi_u32 s5, s15, s8
	s_delay_alu instid0(SALU_CYCLE_1) | instskip(SKIP_1) | instid1(SALU_CYCLE_1)
	s_add_i32 s4, s5, s4
	s_mul_i32 s5, s26, s8
	s_add_i32 s5, s4, s5
	s_mul_i32 s4, s15, s8
	s_delay_alu instid0(SALU_CYCLE_1)
	s_lshl_b64 s[4:5], s[4:5], 1
	s_waitcnt lgkmcnt(0)
	s_add_u32 s12, s2, s4
	s_addc_u32 s13, s3, s5
	s_branch .LBB281_9
.LBB281_8:
	s_mov_b64 s[12:13], 0
.LBB281_9:
	s_add_i32 s4, s16, -1
	v_and_b32_e32 v42, 0x3ff, v0
	s_ashr_i32 s2, s4, 31
	v_bfe_u32 v43, v0, 10, 10
	s_lshr_b32 s2, s2, 26
	s_load_b32 s29, s[0:1], 0x18
	s_add_i32 s2, s4, s2
	v_and_b32_e32 v44, 3, v42
	s_ashr_i32 s2, s2, 6
	v_lshl_add_u32 v2, v43, 3, v42
	s_add_i32 s5, s2, 1
	s_not_b32 s2, s2
	v_cvt_f32_u32_e32 v1, s5
	v_lshlrev_b32_e32 v28, 1, v44
	s_delay_alu instid0(VALU_DEP_2) | instskip(SKIP_2) | instid1(VALU_DEP_1)
	v_rcp_iflag_f32_e32 v1, v1
	s_waitcnt_depctr 0xfff
	v_mul_f32_e32 v1, 0x4f7ffffe, v1
	v_cvt_u32_f32_e32 v1, v1
	s_delay_alu instid0(VALU_DEP_1) | instskip(SKIP_1) | instid1(VALU_DEP_2)
	v_readfirstlane_b32 s3, v1
	v_lshrrev_b32_e32 v1, 2, v2
	s_mul_i32 s2, s2, s3
	s_delay_alu instid0(SALU_CYCLE_1) | instskip(NEXT) | instid1(SALU_CYCLE_1)
	s_mul_hi_u32 s2, s3, s2
	s_add_i32 s3, s3, s2
	s_delay_alu instid0(SALU_CYCLE_1) | instskip(NEXT) | instid1(SALU_CYCLE_1)
	s_mul_hi_u32 s2, s14, s3
	s_mul_i32 s3, s2, s5
	s_add_i32 s6, s2, 1
	s_sub_i32 s3, s14, s3
	s_delay_alu instid0(SALU_CYCLE_1)
	s_sub_i32 s7, s3, s5
	s_cmp_ge_u32 s3, s5
	s_cselect_b32 s2, s6, s2
	s_cselect_b32 s3, s7, s3
	s_add_i32 s6, s2, 1
	s_cmp_ge_u32 s3, s5
	s_cselect_b32 s3, s6, s2
	s_delay_alu instid0(SALU_CYCLE_1) | instskip(NEXT) | instid1(SALU_CYCLE_1)
	s_mul_i32 s2, s3, s5
	s_sub_i32 s2, s14, s2
	s_delay_alu instid0(SALU_CYCLE_1) | instskip(SKIP_2) | instid1(VALU_DEP_1)
	s_lshl_b32 s8, s2, 6
	v_cmp_le_i32_e64 s2, s18, v44
	v_add_nc_u32_e32 v0, s8, v1
	v_cmp_le_i32_e32 vcc_lo, s16, v0
	v_min_i32_e32 v29, s4, v0
	s_delay_alu instid0(VALU_DEP_4) | instskip(NEXT) | instid1(SALU_CYCLE_1)
	s_or_b32 s2, s2, vcc_lo
	v_cndmask_b32_e64 v0, 0, 0x7c00, s2
	s_or_b32 s2, s28, s2
	s_delay_alu instid0(SALU_CYCLE_1) | instskip(NEXT) | instid1(SALU_CYCLE_1)
	s_xor_b32 s2, s2, -1
	s_and_saveexec_b32 s4, s2
	s_cbranch_execz .LBB281_11
; %bb.10:
	s_waitcnt lgkmcnt(0)
	v_mad_i64_i32 v[3:4], null, v29, s29, 0
	s_delay_alu instid0(VALU_DEP_1) | instskip(NEXT) | instid1(VALU_DEP_1)
	v_lshlrev_b64 v[3:4], 1, v[3:4]
	v_add_co_u32 v0, s2, s22, v3
	s_delay_alu instid0(VALU_DEP_1) | instskip(NEXT) | instid1(VALU_DEP_2)
	v_add_co_ci_u32_e64 v4, s2, s23, v4, s2
	v_add_co_u32 v3, s2, v0, v28
	s_delay_alu instid0(VALU_DEP_1)
	v_add_co_ci_u32_e64 v4, s2, 0, v4, s2
	flat_load_u16 v0, v[3:4]
	s_waitcnt vmcnt(0) lgkmcnt(0)
	v_mul_f16_e32 v0, s19, v0
.LBB281_11:
	s_or_b32 exec_lo, exec_lo, s4
	s_load_b32 s9, s[0:1], 0x30
	v_lshrrev_b32_e32 v45, 6, v2
	s_add_i32 s14, s18, -1
	v_and_b32_e32 v2, 63, v2
	s_lshl_b32 s27, s3, 8
	s_delay_alu instid0(VALU_DEP_2) | instskip(SKIP_1) | instid1(VALU_DEP_3)
	v_min_i32_e32 v5, s14, v45
	v_cmp_le_i32_e64 s6, s18, v45
	v_or_b32_e32 v20, s27, v2
	s_delay_alu instid0(VALU_DEP_1) | instskip(SKIP_1) | instid1(VALU_DEP_2)
	v_cmp_le_i32_e64 s2, s17, v20
	v_ashrrev_i32_e32 v21, 31, v20
	s_or_b32 s4, s2, s6
	s_waitcnt lgkmcnt(0)
	v_mad_i64_i32 v[3:4], null, s9, v5, 0
	s_delay_alu instid0(VALU_DEP_1) | instskip(SKIP_1) | instid1(VALU_DEP_2)
	v_lshlrev_b64 v[4:5], 1, v[3:4]
	v_cndmask_b32_e64 v3, 0, 0x7c00, s4
	v_add_co_u32 v7, s3, s20, v4
	s_delay_alu instid0(VALU_DEP_1) | instskip(SKIP_1) | instid1(SALU_CYCLE_1)
	v_add_co_ci_u32_e64 v8, s3, s21, v5, s3
	s_or_b32 s3, s28, s4
	s_xor_b32 s3, s3, -1
	s_delay_alu instid0(SALU_CYCLE_1)
	s_and_saveexec_b32 s4, s3
	s_cbranch_execz .LBB281_13
; %bb.12:
	v_lshlrev_b64 v[3:4], 1, v[20:21]
	s_delay_alu instid0(VALU_DEP_1) | instskip(NEXT) | instid1(VALU_DEP_1)
	v_add_co_u32 v3, s3, v7, v3
	v_add_co_ci_u32_e64 v4, s3, v8, v4, s3
	flat_load_u16 v3, v[3:4]
	s_waitcnt vmcnt(0) lgkmcnt(0)
	v_mul_f16_e32 v3, s19, v3
.LBB281_13:
	s_or_b32 exec_lo, exec_lo, s4
	v_or_b32_e32 v4, 64, v20
	s_add_i32 s7, s17, -1
	s_delay_alu instid0(VALU_DEP_1) | instskip(SKIP_1) | instid1(VALU_DEP_2)
	v_cmp_le_i32_e64 s3, s17, v4
	v_min_i32_e32 v22, s7, v4
	s_or_b32 s4, s3, s6
	s_delay_alu instid0(VALU_DEP_1) | instskip(SKIP_2) | instid1(SALU_CYCLE_1)
	v_ashrrev_i32_e32 v23, 31, v22
	v_cndmask_b32_e64 v4, 0, 0x7c00, s4
	s_or_b32 s4, s28, s4
	s_xor_b32 s4, s4, -1
	s_delay_alu instid0(SALU_CYCLE_1)
	s_and_saveexec_b32 s5, s4
	s_cbranch_execz .LBB281_15
; %bb.14:
	v_lshlrev_b64 v[4:5], 1, v[22:23]
	s_delay_alu instid0(VALU_DEP_1) | instskip(NEXT) | instid1(VALU_DEP_1)
	v_add_co_u32 v4, s4, v7, v4
	v_add_co_ci_u32_e64 v5, s4, v8, v5, s4
	flat_load_u16 v4, v[4:5]
	s_waitcnt vmcnt(0) lgkmcnt(0)
	v_mul_f16_e32 v4, s19, v4
.LBB281_15:
	s_or_b32 exec_lo, exec_lo, s5
	v_or_b32_e32 v5, 0x80, v20
	s_delay_alu instid0(VALU_DEP_1) | instskip(SKIP_1) | instid1(VALU_DEP_2)
	v_cmp_le_i32_e64 s4, s17, v5
	v_min_i32_e32 v24, s7, v5
	s_or_b32 s5, s4, s6
	s_delay_alu instid0(VALU_DEP_1) | instskip(SKIP_2) | instid1(SALU_CYCLE_1)
	v_ashrrev_i32_e32 v25, 31, v24
	v_cndmask_b32_e64 v5, 0, 0x7c00, s5
	s_or_b32 s5, s28, s5
	s_xor_b32 s5, s5, -1
	s_delay_alu instid0(SALU_CYCLE_1)
	s_and_saveexec_b32 s30, s5
	s_cbranch_execz .LBB281_17
; %bb.16:
	v_lshlrev_b64 v[5:6], 1, v[24:25]
	s_delay_alu instid0(VALU_DEP_1) | instskip(NEXT) | instid1(VALU_DEP_1)
	v_add_co_u32 v5, s5, v7, v5
	v_add_co_ci_u32_e64 v6, s5, v8, v6, s5
	flat_load_u16 v5, v[5:6]
	s_waitcnt vmcnt(0) lgkmcnt(0)
	v_mul_f16_e32 v5, s19, v5
.LBB281_17:
	s_or_b32 exec_lo, exec_lo, s30
	v_or_b32_e32 v6, 0xc0, v20
	;; [unrolled: 23-line block ×3, first 2 shown]
	s_delay_alu instid0(VALU_DEP_1) | instskip(NEXT) | instid1(VALU_DEP_1)
	v_cmp_le_i32_e64 s6, s18, v7
	s_or_b32 s6, s6, vcc_lo
	s_delay_alu instid0(SALU_CYCLE_1) | instskip(SKIP_1) | instid1(SALU_CYCLE_1)
	v_cndmask_b32_e64 v30, 0, 0x7c00, s6
	s_or_b32 s6, s28, s6
	s_xor_b32 s6, s6, -1
	s_delay_alu instid0(SALU_CYCLE_1)
	s_and_saveexec_b32 s7, s6
	s_cbranch_execz .LBB281_21
; %bb.20:
	v_mad_i64_i32 v[7:8], null, v29, s29, 0
	s_delay_alu instid0(VALU_DEP_1) | instskip(NEXT) | instid1(VALU_DEP_1)
	v_lshlrev_b64 v[7:8], 1, v[7:8]
	v_add_co_u32 v7, s6, s22, v7
	s_delay_alu instid0(VALU_DEP_1) | instskip(NEXT) | instid1(VALU_DEP_2)
	v_add_co_ci_u32_e64 v8, s6, s23, v8, s6
	v_add_co_u32 v7, s6, v7, v28
	s_delay_alu instid0(VALU_DEP_1)
	v_add_co_ci_u32_e64 v8, s6, 0, v8, s6
	flat_load_u16 v7, v[7:8] offset:8
	s_waitcnt vmcnt(0) lgkmcnt(0)
	v_mul_f16_e32 v30, s19, v7
.LBB281_21:
	s_or_b32 exec_lo, exec_lo, s7
	v_add_nc_u32_e32 v9, 4, v45
	s_delay_alu instid0(VALU_DEP_1) | instskip(SKIP_1) | instid1(VALU_DEP_2)
	v_min_i32_e32 v10, s14, v9
	v_cmp_le_i32_e64 s6, s18, v9
	v_mad_i64_i32 v[7:8], null, s9, v10, 0
	s_delay_alu instid0(VALU_DEP_1) | instskip(NEXT) | instid1(VALU_DEP_1)
	v_lshlrev_b64 v[7:8], 1, v[7:8]
	v_add_co_u32 v7, s7, s20, v7
	s_delay_alu instid0(VALU_DEP_1) | instskip(SKIP_1) | instid1(SALU_CYCLE_1)
	v_add_co_ci_u32_e64 v8, s7, s21, v8, s7
	s_or_b32 s7, s2, s6
	v_cndmask_b32_e64 v31, 0, 0x7c00, s7
	s_or_b32 s7, s28, s7
	s_delay_alu instid0(SALU_CYCLE_1) | instskip(NEXT) | instid1(SALU_CYCLE_1)
	s_xor_b32 s7, s7, -1
	s_and_saveexec_b32 s30, s7
	s_cbranch_execz .LBB281_23
; %bb.22:
	v_lshlrev_b64 v[9:10], 1, v[20:21]
	s_delay_alu instid0(VALU_DEP_1) | instskip(NEXT) | instid1(VALU_DEP_1)
	v_add_co_u32 v9, s7, v7, v9
	v_add_co_ci_u32_e64 v10, s7, v8, v10, s7
	flat_load_u16 v9, v[9:10]
	s_waitcnt vmcnt(0) lgkmcnt(0)
	v_mul_f16_e32 v31, s19, v9
.LBB281_23:
	s_or_b32 exec_lo, exec_lo, s30
	s_or_b32 s7, s3, s6
	s_delay_alu instid0(SALU_CYCLE_1) | instskip(SKIP_1) | instid1(SALU_CYCLE_1)
	v_cndmask_b32_e64 v32, 0, 0x7c00, s7
	s_or_b32 s7, s28, s7
	s_xor_b32 s7, s7, -1
	s_delay_alu instid0(SALU_CYCLE_1)
	s_and_saveexec_b32 s30, s7
	s_cbranch_execz .LBB281_25
; %bb.24:
	v_lshlrev_b64 v[9:10], 1, v[22:23]
	s_delay_alu instid0(VALU_DEP_1) | instskip(NEXT) | instid1(VALU_DEP_1)
	v_add_co_u32 v9, s7, v7, v9
	v_add_co_ci_u32_e64 v10, s7, v8, v10, s7
	flat_load_u16 v9, v[9:10]
	s_waitcnt vmcnt(0) lgkmcnt(0)
	v_mul_f16_e32 v32, s19, v9
.LBB281_25:
	s_or_b32 exec_lo, exec_lo, s30
	s_or_b32 s7, s4, s6
	s_delay_alu instid0(SALU_CYCLE_1) | instskip(SKIP_1) | instid1(SALU_CYCLE_1)
	v_cndmask_b32_e64 v33, 0, 0x7c00, s7
	s_or_b32 s7, s28, s7
	s_xor_b32 s7, s7, -1
	s_delay_alu instid0(SALU_CYCLE_1)
	s_and_saveexec_b32 s30, s7
	s_cbranch_execz .LBB281_27
; %bb.26:
	v_lshlrev_b64 v[9:10], 1, v[24:25]
	s_delay_alu instid0(VALU_DEP_1) | instskip(NEXT) | instid1(VALU_DEP_1)
	v_add_co_u32 v9, s7, v7, v9
	v_add_co_ci_u32_e64 v10, s7, v8, v10, s7
	flat_load_u16 v9, v[9:10]
	s_waitcnt vmcnt(0) lgkmcnt(0)
	v_mul_f16_e32 v33, s19, v9
.LBB281_27:
	s_or_b32 exec_lo, exec_lo, s30
	s_or_b32 s6, s5, s6
	s_delay_alu instid0(SALU_CYCLE_1) | instskip(SKIP_1) | instid1(SALU_CYCLE_1)
	v_cndmask_b32_e64 v34, 0, 0x7c00, s6
	s_or_b32 s6, s28, s6
	s_xor_b32 s6, s6, -1
	s_delay_alu instid0(SALU_CYCLE_1)
	s_and_saveexec_b32 s7, s6
	s_cbranch_execz .LBB281_29
; %bb.28:
	v_lshlrev_b64 v[9:10], 1, v[26:27]
	s_delay_alu instid0(VALU_DEP_1) | instskip(NEXT) | instid1(VALU_DEP_1)
	v_add_co_u32 v7, s6, v7, v9
	v_add_co_ci_u32_e64 v8, s6, v8, v10, s6
	flat_load_u16 v7, v[7:8]
	s_waitcnt vmcnt(0) lgkmcnt(0)
	v_mul_f16_e32 v34, s19, v7
.LBB281_29:
	s_or_b32 exec_lo, exec_lo, s7
	v_lshlrev_b32_e32 v7, 1, v45
	v_lshlrev_b32_e32 v46, 3, v42
	v_lshl_or_b32 v35, v1, 3, v28
	v_lshlrev_b32_e32 v47, 3, v43
	s_cmp_lt_i32 s18, 9
	v_lshl_add_u32 v76, v2, 3, v7
	v_add_nc_u32_e32 v1, 0x1000, v46
	ds_store_b16 v76, v3
	ds_store_b16 v76, v4 offset:512
	ds_store_b16 v76, v5 offset:1024
	;; [unrolled: 1-line block ×4, first 2 shown]
	s_waitcnt lgkmcnt(0)
	s_barrier
	buffer_gl0_inv
	ds_load_2addr_b64 v[16:19], v1 offset1:8
	ds_load_2addr_b64 v[36:39], v47 offset1:32
	ds_load_2addr_b64 v[12:15], v1 offset0:16 offset1:24
	ds_load_2addr_b64 v[4:7], v1 offset0:32 offset1:40
	;; [unrolled: 1-line block ×6, first 2 shown]
	ds_store_b16 v76, v31 offset:2048
	ds_store_b16 v76, v32 offset:2560
	;; [unrolled: 1-line block ×5, first 2 shown]
	s_waitcnt lgkmcnt(0)
	s_barrier
	buffer_gl0_inv
	v_pk_add_f16 v40, v16, v36
	v_pk_add_f16 v41, v18, v36
	;; [unrolled: 1-line block ×10, first 2 shown]
	v_pk_min_f16 v84, 0x7c00, v83 op_sel_hi:[0,1]
	v_pk_add_f16 v83, v18, v52
	v_pk_min_f16 v115, 0x7c00, v85 op_sel_hi:[0,1]
	v_pk_add_f16 v85, v16, v54
	v_pk_min_f16 v116, 0x7c00, v86 op_sel_hi:[0,1]
	v_pk_min_f16 v117, 0x7c00, v87 op_sel_hi:[0,1]
	v_pk_min_f16 v114, 0x7c00, v83 op_sel_hi:[0,1]
	v_pk_add_f16 v83, v0, v52
	v_pk_add_f16 v86, v18, v54
	;; [unrolled: 1-line block ×3, first 2 shown]
	v_pk_min_f16 v120, 0x7c00, v85 op_sel_hi:[0,1]
	v_pk_add_f16 v85, v4, v54
	v_pk_min_f16 v119, 0x7c00, v83 op_sel_hi:[0,1]
	v_pk_add_f16 v83, v14, v54
	v_pk_min_f16 v121, 0x7c00, v86 op_sel_hi:[0,1]
	v_pk_min_f16 v122, 0x7c00, v87 op_sel_hi:[0,1]
	v_pk_add_f16 v86, v6, v54
	v_pk_add_f16 v87, v0, v54
	v_pk_min_f16 v123, 0x7c00, v83 op_sel_hi:[0,1]
	v_pk_min_f16 v124, 0x7c00, v85 op_sel_hi:[0,1]
	v_pk_add_f16 v83, v16, v8
	v_pk_add_f16 v85, v18, v8
	v_pk_add_f16 v59, v6, v36
	v_pk_add_f16 v60, v0, v36
	v_pk_add_f16 v36, v2, v36
	v_pk_min_f16 v40, 0x7c00, v40 op_sel_hi:[0,1]
	v_pk_add_f16 v61, v16, v38
	v_pk_add_f16 v62, v18, v38
	;; [unrolled: 1-line block ×24, first 2 shown]
	v_pk_min_f16 v118, 0x7c00, v88 op_sel_hi:[0,1]
	v_pk_add_f16 v52, v2, v52
	v_pk_add_f16 v54, v2, v54
	v_pk_min_f16 v125, 0x7c00, v86 op_sel_hi:[0,1]
	v_pk_min_f16 v126, 0x7c00, v87 op_sel_hi:[0,1]
	v_pk_add_f16 v86, v12, v8
	v_pk_add_f16 v87, v14, v8
	;; [unrolled: 1-line block ×3, first 2 shown]
	v_pk_min_f16 v127, 0x7c00, v83 op_sel_hi:[0,1]
	v_pk_min_f16 v128, 0x7c00, v85 op_sel_hi:[0,1]
	v_pk_add_f16 v83, v6, v8
	v_pk_add_f16 v85, v0, v8
	;; [unrolled: 1-line block ×12, first 2 shown]
	v_pk_min_f16 v41, 0x7c00, v41 op_sel_hi:[0,1]
	v_pk_min_f16 v58, 0x7c00, v58 op_sel_hi:[0,1]
	;; [unrolled: 1-line block ×3, first 2 shown]
	v_pk_add_f16 v83, v19, v37
	v_pk_min_f16 v113, v40, v10
	v_pk_add_f16 v10, v5, v37
	v_pk_min_f16 v36, 0x7c00, v36 op_sel_hi:[0,1]
	v_pk_min_f16 v62, 0x7c00, v62 op_sel_hi:[0,1]
	;; [unrolled: 1-line block ×4, first 2 shown]
	v_pk_add_f16 v85, v13, v37
	v_pk_add_f16 v86, v15, v37
	v_pk_min_f16 v112, v41, v83
	v_pk_add_f16 v40, v7, v37
	v_pk_add_f16 v41, v1, v37
	;; [unrolled: 1-line block ×3, first 2 shown]
	v_pk_min_f16 v109, v58, v10
	v_pk_add_f16 v10, v19, v39
	v_pk_min_f16 v56, 0x7c00, v56 op_sel_hi:[0,1]
	v_pk_min_f16 v59, 0x7c00, v59 op_sel_hi:[0,1]
	;; [unrolled: 1-line block ×6, first 2 shown]
	v_pk_min_f16 v106, v36, v37
	v_pk_add_f16 v36, v13, v39
	v_pk_add_f16 v37, v15, v39
	v_pk_min_f16 v104, v62, v10
	v_pk_add_f16 v10, v1, v39
	v_pk_min_f16 v38, 0x7c00, v38 op_sel_hi:[0,1]
	v_pk_min_f16 v68, 0x7c00, v68 op_sel_hi:[0,1]
	;; [unrolled: 1-line block ×4, first 2 shown]
	v_pk_min_f16 v111, v56, v85
	v_pk_add_f16 v56, v17, v39
	v_pk_min_f16 v108, v59, v40
	v_pk_min_f16 v107, v60, v41
	v_pk_add_f16 v40, v5, v39
	v_pk_add_f16 v41, v7, v39
	v_pk_min_f16 v103, v63, v36
	v_pk_min_f16 v102, v64, v37
	v_pk_add_f16 v36, v3, v39
	v_pk_add_f16 v37, v17, v49
	;; [unrolled: 1-line block ×3, first 2 shown]
	v_pk_min_f16 v99, v67, v10
	v_pk_add_f16 v10, v15, v49
	v_pk_min_f16 v72, 0x7c00, v72 op_sel_hi:[0,1]
	v_pk_min_f16 v73, 0x7c00, v73 op_sel_hi:[0,1]
	;; [unrolled: 1-line block ×5, first 2 shown]
	v_pk_min_f16 v98, v38, v36
	v_pk_min_f16 v97, v68, v37
	;; [unrolled: 1-line block ×3, first 2 shown]
	v_pk_add_f16 v36, v5, v49
	v_pk_add_f16 v37, v7, v49
	;; [unrolled: 1-line block ×4, first 2 shown]
	v_pk_min_f16 v94, v71, v10
	v_pk_add_f16 v10, v17, v51
	v_pk_min_f16 v57, 0x7c00, v57 op_sel_hi:[0,1]
	v_pk_min_f16 v77, 0x7c00, v77 op_sel_hi:[0,1]
	;; [unrolled: 1-line block ×6, first 2 shown]
	v_pk_min_f16 v93, v72, v36
	v_pk_min_f16 v92, v73, v37
	;; [unrolled: 1-line block ×4, first 2 shown]
	v_pk_add_f16 v36, v19, v51
	v_pk_add_f16 v37, v13, v51
	;; [unrolled: 1-line block ×4, first 2 shown]
	v_pk_min_f16 v89, v75, v10
	v_pk_add_f16 v10, v7, v51
	v_pk_min_f16 v82, 0x7c00, v82 op_sel_hi:[0,1]
	v_pk_min_f16 v50, 0x7c00, v50 op_sel_hi:[0,1]
	;; [unrolled: 1-line block ×4, first 2 shown]
	v_pk_min_f16 v110, v57, v86
	v_pk_min_f16 v88, v77, v36
	;; [unrolled: 1-line block ×5, first 2 shown]
	v_pk_add_f16 v36, v1, v51
	v_pk_add_f16 v37, v3, v51
	;; [unrolled: 1-line block ×4, first 2 shown]
	v_pk_min_f16 v83, v81, v10
	v_pk_add_f16 v10, v13, v53
	v_pk_min_f16 v65, 0x7c00, v65 op_sel_hi:[0,1]
	v_pk_min_f16 v52, 0x7c00, v52 op_sel_hi:[0,1]
	v_pk_min_f16 v82, v82, v36
	v_pk_min_f16 v81, v50, v37
	;; [unrolled: 1-line block ×4, first 2 shown]
	v_pk_add_f16 v36, v15, v53
	v_pk_add_f16 v37, v5, v53
	;; [unrolled: 1-line block ×4, first 2 shown]
	v_pk_min_f16 v78, v115, v10
	v_pk_add_f16 v10, v3, v53
	v_pk_min_f16 v70, 0x7c00, v70 op_sel_hi:[0,1]
	v_pk_min_f16 v101, v65, v40
	v_pk_add_f16 v40, v13, v49
	v_pk_min_f16 v77, v116, v36
	v_pk_min_f16 v75, v117, v37
	;; [unrolled: 1-line block ×4, first 2 shown]
	v_pk_add_f16 v36, v17, v55
	v_pk_add_f16 v37, v19, v55
	;; [unrolled: 1-line block ×4, first 2 shown]
	v_pk_min_f16 v72, v52, v10
	v_pk_add_f16 v10, v5, v55
	v_pk_min_f16 v66, 0x7c00, v66 op_sel_hi:[0,1]
	v_pk_min_f16 v54, 0x7c00, v54 op_sel_hi:[0,1]
	v_pk_min_f16 v95, v70, v40
	v_pk_min_f16 v71, v120, v36
	;; [unrolled: 1-line block ×5, first 2 shown]
	v_pk_add_f16 v36, v7, v55
	v_pk_add_f16 v37, v1, v55
	;; [unrolled: 1-line block ×4, first 2 shown]
	v_pk_min_f16 v67, v124, v10
	v_pk_add_f16 v10, v19, v9
	v_pk_min_f16 v61, 0x7c00, v61 op_sel_hi:[0,1]
	v_pk_min_f16 v8, 0x7c00, v8 op_sel_hi:[0,1]
	v_pk_min_f16 v100, v66, v41
	v_pk_min_f16 v66, v125, v36
	;; [unrolled: 1-line block ×5, first 2 shown]
	v_pk_add_f16 v36, v13, v9
	v_pk_add_f16 v37, v15, v9
	;; [unrolled: 1-line block ×4, first 2 shown]
	v_pk_min_f16 v62, v128, v10
	v_pk_add_f16 v10, v1, v9
	v_pk_add_f16 v9, v3, v9
	v_pk_min_f16 v16, 0x7c00, v16 op_sel_hi:[0,1]
	v_pk_min_f16 v18, 0x7c00, v18 op_sel_hi:[0,1]
	;; [unrolled: 1-line block ×8, first 2 shown]
	v_pk_min_f16 v105, v61, v56
	v_pk_add_f16 v17, v17, v11
	v_pk_add_f16 v19, v19, v11
	;; [unrolled: 1-line block ×3, first 2 shown]
	v_pk_min_f16 v56, v8, v9
	v_pk_add_f16 v8, v15, v11
	v_pk_add_f16 v5, v5, v11
	;; [unrolled: 1-line block ×5, first 2 shown]
	v_pk_min_f16 v61, v129, v36
	v_pk_min_f16 v60, v130, v37
	v_pk_min_f16 v59, v131, v38
	v_pk_min_f16 v58, v132, v39
	v_pk_min_f16 v57, v133, v10
	v_pk_min_f16 v54, v16, v17
	v_pk_min_f16 v52, v18, v19
	v_pk_min_f16 v50, v12, v13
	v_pk_min_f16 v55, v14, v8
	v_pk_min_f16 v53, v4, v5
	v_pk_min_f16 v51, v6, v7
	v_pk_min_f16 v49, v0, v1
	v_pk_min_f16 v48, v2, v3
	s_cbranch_scc1 .LBB281_52
; %bb.30:
	v_mad_i64_i32 v[0:1], null, v29, s29, 0
	v_add_nc_u32_e32 v84, 0x1000, v35
	v_add_nc_u32_e32 v115, 0x1200, v35
	v_lshlrev_b64 v[32:33], 1, v[20:21]
	v_lshlrev_b64 v[34:35], 1, v[22:23]
	;; [unrolled: 1-line block ×5, first 2 shown]
	v_add_nc_u32_e32 v114, 0x1000, v46
	v_or_b32_e32 v116, 0x800, v76
	v_lshl_add_u32 v117, v42, 3, 0x1200
	v_lshl_add_u32 v118, v43, 3, 0x800
	v_add_co_u32 v0, s6, v0, v28
	s_delay_alu instid0(VALU_DEP_1) | instskip(NEXT) | instid1(VALU_DEP_2)
	v_add_co_ci_u32_e64 v1, s6, 0, v1, s6
	v_add_co_u32 v0, s6, v0, s22
	s_delay_alu instid0(VALU_DEP_1) | instskip(SKIP_1) | instid1(VALU_DEP_2)
	v_add_co_ci_u32_e64 v1, s6, s23, v1, s6
	s_add_i32 s22, s18, -8
	v_add_co_u32 v40, s6, v0, 24
	s_delay_alu instid0(VALU_DEP_1)
	v_add_co_ci_u32_e64 v41, s6, 0, v1, s6
	s_mov_b32 s23, 0
	s_branch .LBB281_32
.LBB281_31:                             ;   in Loop: Header=BB281_32 Depth=1
	s_or_b32 exec_lo, exec_lo, s7
	ds_load_2addr_b64 v[123:126], v114 offset1:8
	ds_load_2addr_b64 v[87:90], v47 offset1:32
	ds_load_2addr_b64 v[127:130], v114 offset0:16 offset1:24
	ds_load_2addr_b64 v[131:134], v114 offset0:32 offset1:40
	;; [unrolled: 1-line block ×6, first 2 shown]
	v_pk_max_f16 v11, v85, v85
	v_pk_max_f16 v15, v82, v82
	;; [unrolled: 1-line block ×13, first 2 shown]
	s_waitcnt lgkmcnt(6)
	v_pk_add_f16 v82, v123, v87
	v_pk_add_f16 v83, v125, v87
	s_waitcnt lgkmcnt(5)
	v_pk_add_f16 v85, v127, v87
	v_pk_add_f16 v86, v129, v87
	;; [unrolled: 3-line block ×4, first 2 shown]
	v_pk_min_f16 v11, v11, v82
	v_pk_min_f16 v15, v15, v83
	;; [unrolled: 1-line block ×5, first 2 shown]
	v_pk_add_f16 v82, v123, v89
	v_pk_add_f16 v83, v125, v89
	;; [unrolled: 1-line block ×5, first 2 shown]
	v_pk_min_f16 v70, v70, v82
	v_pk_min_f16 v78, v78, v83
	;; [unrolled: 1-line block ×5, first 2 shown]
	v_pk_add_f16 v82, v133, v89
	v_pk_add_f16 v83, v135, v89
	v_pk_max_f16 v73, v73, v73
	v_pk_add_f16 v85, v137, v89
	v_pk_max_f16 v71, v71, v71
	s_waitcnt lgkmcnt(2)
	v_pk_add_f16 v86, v123, v139
	v_pk_max_f16 v69, v69, v69
	v_pk_add_f16 v87, v125, v139
	v_pk_max_f16 v67, v67, v67
	v_pk_min_f16 v65, v65, v82
	v_pk_min_f16 v73, v73, v83
	v_pk_min_f16 v71, v71, v85
	v_pk_min_f16 v69, v69, v86
	v_pk_min_f16 v67, v67, v87
	v_pk_add_f16 v82, v127, v139
	v_pk_max_f16 v60, v60, v60
	v_pk_add_f16 v83, v129, v139
	v_pk_max_f16 v68, v68, v68
	v_pk_add_f16 v85, v131, v139
	v_pk_max_f16 v66, v66, v66
	v_pk_add_f16 v86, v133, v139
	v_pk_max_f16 v64, v64, v64
	v_pk_add_f16 v87, v135, v139
	v_pk_max_f16 v62, v62, v62
	v_pk_min_f16 v60, v60, v82
	v_pk_min_f16 v68, v68, v83
	v_pk_min_f16 v66, v66, v85
	v_pk_min_f16 v64, v64, v86
	v_pk_min_f16 v62, v62, v87
	v_pk_add_f16 v82, v137, v139
	v_pk_max_f16 v55, v55, v55
	v_pk_add_f16 v83, v123, v141
	v_pk_max_f16 v63, v63, v63
	v_pk_add_f16 v85, v125, v141
	v_pk_max_f16 v61, v61, v61
	;; [unrolled: 15-line block ×3, first 2 shown]
	v_pk_add_f16 v86, v137, v141
	v_pk_max_f16 v54, v54, v54
	s_waitcnt lgkmcnt(1)
	v_pk_add_f16 v87, v123, v143
	v_pk_max_f16 v52, v52, v52
	v_pk_min_f16 v50, v50, v82
	v_pk_min_f16 v58, v58, v83
	v_pk_min_f16 v56, v56, v85
	v_pk_min_f16 v54, v54, v86
	v_pk_min_f16 v52, v52, v87
	v_pk_add_f16 v82, v125, v143
	v_pk_max_f16 v29, v29, v29
	v_pk_add_f16 v83, v127, v143
	v_pk_max_f16 v53, v53, v53
	v_pk_add_f16 v85, v129, v143
	v_pk_max_f16 v51, v51, v51
	v_pk_add_f16 v86, v131, v143
	v_pk_max_f16 v49, v49, v49
	v_pk_add_f16 v87, v133, v143
	v_pk_max_f16 v31, v31, v31
	v_pk_min_f16 v29, v29, v82
	v_pk_min_f16 v53, v53, v83
	v_pk_min_f16 v51, v51, v85
	v_pk_min_f16 v49, v49, v86
	v_pk_min_f16 v31, v31, v87
	v_pk_add_f16 v82, v135, v143
	v_pk_max_f16 v24, v24, v24
	v_pk_add_f16 v83, v137, v143
	v_pk_max_f16 v48, v48, v48
	v_pk_add_f16 v85, v123, v145
	v_pk_max_f16 v30, v30, v30
	v_pk_add_f16 v86, v125, v145
	v_pk_max_f16 v28, v28, v28
	;; [unrolled: 15-line block ×3, first 2 shown]
	v_pk_add_f16 v87, v137, v145
	v_pk_max_f16 v21, v21, v21
	v_pk_min_f16 v18, v18, v82
	v_pk_min_f16 v27, v27, v83
	v_pk_min_f16 v25, v25, v85
	v_pk_min_f16 v23, v23, v86
	v_pk_min_f16 v21, v21, v87
	s_waitcnt lgkmcnt(0)
	v_pk_add_f16 v82, v123, v147
	v_pk_max_f16 v10, v10, v10
	v_pk_add_f16 v83, v125, v147
	v_pk_max_f16 v22, v22, v22
	;; [unrolled: 2-line block ×5, first 2 shown]
	v_pk_min_f16 v10, v10, v82
	v_pk_min_f16 v22, v22, v83
	;; [unrolled: 1-line block ×5, first 2 shown]
	v_pk_add_f16 v82, v133, v147
	v_pk_max_f16 v6, v6, v6
	v_pk_add_f16 v83, v135, v147
	v_pk_max_f16 v13, v13, v13
	;; [unrolled: 2-line block ×5, first 2 shown]
	v_pk_min_f16 v6, v6, v82
	v_pk_min_f16 v13, v13, v83
	;; [unrolled: 1-line block ×5, first 2 shown]
	v_pk_add_f16 v82, v127, v149
	v_pk_max_f16 v2, v2, v2
	v_pk_add_f16 v83, v129, v149
	v_pk_max_f16 v7, v7, v7
	;; [unrolled: 2-line block ×5, first 2 shown]
	v_pk_max_f16 v81, v81, v81
	v_pk_min_f16 v2, v2, v82
	v_pk_min_f16 v7, v7, v83
	;; [unrolled: 1-line block ×5, first 2 shown]
	v_pk_add_f16 v82, v137, v149
	v_pk_max_f16 v1, v1, v1
	v_pk_add_f16 v83, v124, v88
	v_pk_add_f16 v85, v126, v88
	;; [unrolled: 1-line block ×4, first 2 shown]
	v_pk_min_f16 v79, v79, v91
	v_pk_min_f16 v80, v80, v92
	;; [unrolled: 1-line block ×8, first 2 shown]
	v_pk_add_f16 v11, v132, v88
	v_pk_add_f16 v15, v134, v88
	v_pk_add_f16 v17, v136, v88
	v_pk_add_f16 v19, v138, v88
	v_pk_add_f16 v82, v124, v90
	v_pk_min_f16 v109, v79, v11
	v_pk_min_f16 v108, v80, v15
	v_pk_min_f16 v107, v81, v17
	v_pk_min_f16 v106, v77, v19
	v_pk_min_f16 v105, v70, v82
	v_pk_add_f16 v11, v126, v90
	v_pk_add_f16 v15, v128, v90
	v_pk_add_f16 v17, v130, v90
	v_pk_add_f16 v19, v132, v90
	v_pk_add_f16 v70, v134, v90
	v_pk_min_f16 v104, v78, v11
	v_pk_min_f16 v103, v75, v15
	v_pk_min_f16 v102, v74, v17
	v_pk_min_f16 v101, v72, v19
	v_pk_min_f16 v100, v65, v70
	;; [unrolled: 10-line block ×11, first 2 shown]
	v_pk_add_f16 v2, v130, v150
	v_pk_add_f16 v6, v132, v150
	v_pk_add_f16 v8, v134, v150
	v_pk_add_f16 v9, v136, v150
	v_pk_add_f16 v10, v138, v150
	v_add_co_u32 v40, s6, v40, 16
	v_pk_min_f16 v55, v7, v2
	v_pk_min_f16 v53, v5, v6
	;; [unrolled: 1-line block ×5, first 2 shown]
	v_add_co_ci_u32_e64 v41, s6, 0, v41, s6
	s_add_i32 s23, s23, 8
	ds_store_b16 v115, v119
	ds_store_b16 v116, v120
	ds_store_b16 v116, v121 offset:512
	ds_store_b16 v116, v122 offset:1024
	;; [unrolled: 1-line block ×3, first 2 shown]
	s_cmp_ge_i32 s23, s22
	s_waitcnt lgkmcnt(0)
	s_barrier
	buffer_gl0_inv
	s_cbranch_scc1 .LBB281_52
.LBB281_32:                             ; =>This Inner Loop Header: Depth=1
	v_add_nc_u32_e32 v119, s23, v44
	s_delay_alu instid0(VALU_DEP_1) | instskip(NEXT) | instid1(VALU_DEP_1)
	v_add_nc_u32_e32 v0, 8, v119
	v_cmp_le_i32_e64 s6, s18, v0
	s_delay_alu instid0(VALU_DEP_1) | instskip(NEXT) | instid1(SALU_CYCLE_1)
	s_or_b32 s6, s6, vcc_lo
	v_cndmask_b32_e64 v121, 0, 0x7c00, s6
	s_or_b32 s6, s28, s6
	s_delay_alu instid0(SALU_CYCLE_1) | instskip(NEXT) | instid1(SALU_CYCLE_1)
	s_xor_b32 s6, s6, -1
	s_and_saveexec_b32 s7, s6
	s_cbranch_execz .LBB281_34
; %bb.33:                               ;   in Loop: Header=BB281_32 Depth=1
	v_add_co_u32 v0, s6, -8, v40
	s_delay_alu instid0(VALU_DEP_1)
	v_add_co_ci_u32_e64 v1, s6, -1, v41, s6
	flat_load_u16 v0, v[0:1]
	s_waitcnt vmcnt(0) lgkmcnt(0)
	v_mul_f16_e32 v121, s19, v0
.LBB281_34:                             ;   in Loop: Header=BB281_32 Depth=1
	s_or_b32 exec_lo, exec_lo, s7
	v_add_nc_u32_e32 v120, s23, v45
	s_delay_alu instid0(VALU_DEP_1) | instskip(NEXT) | instid1(VALU_DEP_1)
	v_add_nc_u32_e32 v2, 8, v120
	v_min_i32_e32 v3, s14, v2
	v_cmp_le_i32_e64 s6, s18, v2
	s_delay_alu instid0(VALU_DEP_2) | instskip(NEXT) | instid1(VALU_DEP_1)
	v_mad_i64_i32 v[0:1], null, v3, s9, 0
	v_lshlrev_b64 v[0:1], 1, v[0:1]
	s_delay_alu instid0(VALU_DEP_1) | instskip(NEXT) | instid1(VALU_DEP_1)
	v_add_co_u32 v0, s7, s20, v0
	v_add_co_ci_u32_e64 v1, s7, s21, v1, s7
	s_or_b32 s7, s2, s6
	s_delay_alu instid0(SALU_CYCLE_1) | instskip(SKIP_1) | instid1(SALU_CYCLE_1)
	v_cndmask_b32_e64 v122, 0, 0x7c00, s7
	s_or_b32 s7, s28, s7
	s_xor_b32 s7, s7, -1
	s_delay_alu instid0(SALU_CYCLE_1)
	s_and_saveexec_b32 s29, s7
	s_cbranch_execz .LBB281_36
; %bb.35:                               ;   in Loop: Header=BB281_32 Depth=1
	v_add_co_u32 v2, s7, v0, v32
	s_delay_alu instid0(VALU_DEP_1)
	v_add_co_ci_u32_e64 v3, s7, v1, v33, s7
	flat_load_u16 v2, v[2:3]
	s_waitcnt vmcnt(0) lgkmcnt(0)
	v_mul_f16_e32 v122, s19, v2
.LBB281_36:                             ;   in Loop: Header=BB281_32 Depth=1
	s_or_b32 exec_lo, exec_lo, s29
	s_or_b32 s7, s3, s6
	s_delay_alu instid0(SALU_CYCLE_1) | instskip(SKIP_1) | instid1(SALU_CYCLE_1)
	v_cndmask_b32_e64 v123, 0, 0x7c00, s7
	s_or_b32 s7, s28, s7
	s_xor_b32 s7, s7, -1
	s_delay_alu instid0(SALU_CYCLE_1)
	s_and_saveexec_b32 s29, s7
	s_cbranch_execz .LBB281_38
; %bb.37:                               ;   in Loop: Header=BB281_32 Depth=1
	v_add_co_u32 v2, s7, v0, v34
	s_delay_alu instid0(VALU_DEP_1)
	v_add_co_ci_u32_e64 v3, s7, v1, v35, s7
	flat_load_u16 v2, v[2:3]
	s_waitcnt vmcnt(0) lgkmcnt(0)
	v_mul_f16_e32 v123, s19, v2
.LBB281_38:                             ;   in Loop: Header=BB281_32 Depth=1
	s_or_b32 exec_lo, exec_lo, s29
	;; [unrolled: 17-line block ×4, first 2 shown]
	ds_load_2addr_b64 v[12:15], v117 offset1:8
	ds_load_2addr_b64 v[8:11], v117 offset0:16 offset1:24
	ds_load_2addr_b64 v[4:7], v117 offset0:32 offset1:40
	;; [unrolled: 1-line block ×3, first 2 shown]
	ds_load_2addr_b64 v[28:31], v118 offset1:32
	ds_load_2addr_b64 v[24:27], v118 offset0:64 offset1:96
	ds_load_2addr_b64 v[20:23], v118 offset0:128 offset1:160
	;; [unrolled: 1-line block ×3, first 2 shown]
	v_add_nc_u32_e32 v119, 12, v119
	ds_store_b16 v84, v121
	ds_store_b16 v76, v122
	ds_store_b16 v76, v123 offset:512
	ds_store_b16 v76, v124 offset:1024
	;; [unrolled: 1-line block ×3, first 2 shown]
	s_waitcnt lgkmcnt(0)
	s_barrier
	buffer_gl0_inv
	v_cmp_le_i32_e64 s6, s18, v119
	s_delay_alu instid0(VALU_DEP_1) | instskip(NEXT) | instid1(SALU_CYCLE_1)
	s_or_b32 s6, s6, vcc_lo
	v_cndmask_b32_e64 v119, 0, 0x7c00, s6
	s_or_b32 s6, s28, s6
	s_delay_alu instid0(SALU_CYCLE_1) | instskip(NEXT) | instid1(SALU_CYCLE_1)
	s_xor_b32 s6, s6, -1
	s_and_saveexec_b32 s7, s6
	s_delay_alu instid0(SALU_CYCLE_1)
	s_xor_b32 s6, exec_lo, s7
	s_cbranch_execz .LBB281_44
; %bb.43:                               ;   in Loop: Header=BB281_32 Depth=1
	flat_load_u16 v119, v[40:41]
	s_waitcnt vmcnt(0) lgkmcnt(0)
	v_mul_f16_e32 v119, s19, v119
.LBB281_44:                             ;   in Loop: Header=BB281_32 Depth=1
	s_or_b32 exec_lo, exec_lo, s6
	v_add_nc_u32_e32 v122, 12, v120
	s_delay_alu instid0(VALU_DEP_1) | instskip(SKIP_1) | instid1(VALU_DEP_2)
	v_min_i32_e32 v123, s14, v122
	v_cmp_le_i32_e64 s6, s18, v122
	v_mad_i64_i32 v[120:121], null, v123, s9, 0
	s_delay_alu instid0(VALU_DEP_1) | instskip(NEXT) | instid1(VALU_DEP_1)
	v_lshlrev_b64 v[120:121], 1, v[120:121]
	v_add_co_u32 v123, s7, s20, v120
	s_delay_alu instid0(VALU_DEP_1) | instskip(SKIP_1) | instid1(SALU_CYCLE_1)
	v_add_co_ci_u32_e64 v124, s7, s21, v121, s7
	s_or_b32 s7, s2, s6
	v_cndmask_b32_e64 v120, 0, 0x7c00, s7
	s_or_b32 s7, s28, s7
	s_delay_alu instid0(SALU_CYCLE_1) | instskip(NEXT) | instid1(SALU_CYCLE_1)
	s_xor_b32 s7, s7, -1
	s_and_saveexec_b32 s29, s7
	s_cbranch_execz .LBB281_46
; %bb.45:                               ;   in Loop: Header=BB281_32 Depth=1
	v_add_co_u32 v120, s7, v123, v32
	s_delay_alu instid0(VALU_DEP_1)
	v_add_co_ci_u32_e64 v121, s7, v124, v33, s7
	flat_load_u16 v120, v[120:121]
	s_waitcnt vmcnt(0) lgkmcnt(0)
	v_mul_f16_e32 v120, s19, v120
.LBB281_46:                             ;   in Loop: Header=BB281_32 Depth=1
	s_or_b32 exec_lo, exec_lo, s29
	s_or_b32 s7, s3, s6
	s_delay_alu instid0(SALU_CYCLE_1) | instskip(SKIP_1) | instid1(SALU_CYCLE_1)
	v_cndmask_b32_e64 v121, 0, 0x7c00, s7
	s_or_b32 s7, s28, s7
	s_xor_b32 s7, s7, -1
	s_delay_alu instid0(SALU_CYCLE_1)
	s_and_saveexec_b32 s29, s7
	s_cbranch_execz .LBB281_48
; %bb.47:                               ;   in Loop: Header=BB281_32 Depth=1
	v_add_co_u32 v121, s7, v123, v34
	s_delay_alu instid0(VALU_DEP_1)
	v_add_co_ci_u32_e64 v122, s7, v124, v35, s7
	flat_load_u16 v121, v[121:122]
	s_waitcnt vmcnt(0) lgkmcnt(0)
	v_mul_f16_e32 v121, s19, v121
.LBB281_48:                             ;   in Loop: Header=BB281_32 Depth=1
	s_or_b32 exec_lo, exec_lo, s29
	s_or_b32 s7, s4, s6
	s_delay_alu instid0(SALU_CYCLE_1) | instskip(SKIP_1) | instid1(SALU_CYCLE_1)
	v_cndmask_b32_e64 v122, 0, 0x7c00, s7
	s_or_b32 s7, s28, s7
	s_xor_b32 s7, s7, -1
	s_delay_alu instid0(SALU_CYCLE_1)
	s_and_saveexec_b32 s29, s7
	s_cbranch_execz .LBB281_50
; %bb.49:                               ;   in Loop: Header=BB281_32 Depth=1
	v_add_co_u32 v125, s7, v123, v36
	s_delay_alu instid0(VALU_DEP_1)
	v_add_co_ci_u32_e64 v126, s7, v124, v37, s7
	flat_load_u16 v122, v[125:126]
	s_waitcnt vmcnt(0) lgkmcnt(0)
	v_mul_f16_e32 v122, s19, v122
.LBB281_50:                             ;   in Loop: Header=BB281_32 Depth=1
	s_or_b32 exec_lo, exec_lo, s29
	v_pk_add_f16 v125, v12, v28
	v_pk_max_f16 v113, v113, v113
	v_pk_add_f16 v126, v14, v28
	v_pk_max_f16 v112, v112, v112
	;; [unrolled: 2-line block ×3, first 2 shown]
	v_pk_min_f16 v113, v113, v125
	v_pk_add_f16 v125, v10, v28
	v_pk_min_f16 v112, v112, v126
	v_pk_max_f16 v110, v110, v110
	v_pk_min_f16 v111, v111, v127
	v_pk_add_f16 v126, v4, v28
	v_pk_max_f16 v109, v109, v109
	v_pk_add_f16 v127, v6, v28
	v_pk_add_f16 v128, v0, v28
	;; [unrolled: 1-line block ×3, first 2 shown]
	v_pk_max_f16 v106, v106, v106
	v_pk_max_f16 v108, v108, v108
	;; [unrolled: 1-line block ×3, first 2 shown]
	v_pk_min_f16 v110, v110, v125
	v_pk_min_f16 v109, v109, v126
	v_pk_min_f16 v28, v106, v28
	v_pk_add_f16 v106, v12, v30
	v_pk_max_f16 v105, v105, v105
	v_pk_add_f16 v125, v14, v30
	v_pk_max_f16 v104, v104, v104
	;; [unrolled: 2-line block ×3, first 2 shown]
	v_pk_min_f16 v108, v108, v127
	v_pk_min_f16 v107, v107, v128
	v_pk_add_f16 v127, v10, v30
	v_pk_max_f16 v102, v102, v102
	v_pk_add_f16 v128, v4, v30
	v_pk_min_f16 v105, v105, v106
	v_pk_min_f16 v104, v104, v125
	;; [unrolled: 1-line block ×3, first 2 shown]
	v_pk_add_f16 v106, v6, v30
	v_pk_max_f16 v100, v100, v100
	v_pk_add_f16 v125, v0, v30
	v_pk_add_f16 v30, v2, v30
	v_pk_max_f16 v98, v98, v98
	v_pk_add_f16 v126, v12, v24
	v_pk_max_f16 v97, v97, v97
	v_pk_min_f16 v102, v102, v127
	v_pk_max_f16 v99, v99, v99
	v_pk_add_f16 v127, v14, v24
	v_pk_max_f16 v96, v96, v96
	v_pk_min_f16 v100, v100, v106
	v_pk_min_f16 v30, v98, v30
	;; [unrolled: 1-line block ×3, first 2 shown]
	v_pk_add_f16 v98, v8, v24
	v_pk_max_f16 v95, v95, v95
	v_pk_add_f16 v106, v10, v24
	v_pk_max_f16 v94, v94, v94
	;; [unrolled: 2-line block ×3, first 2 shown]
	v_pk_min_f16 v99, v99, v125
	v_pk_min_f16 v96, v96, v127
	v_pk_add_f16 v125, v4, v24
	v_pk_max_f16 v93, v93, v93
	v_pk_add_f16 v127, v0, v24
	v_pk_min_f16 v95, v95, v98
	v_pk_min_f16 v94, v94, v106
	;; [unrolled: 1-line block ×3, first 2 shown]
	v_pk_add_f16 v24, v2, v24
	v_pk_max_f16 v90, v90, v90
	v_pk_add_f16 v98, v12, v26
	v_pk_max_f16 v89, v89, v89
	;; [unrolled: 2-line block ×4, first 2 shown]
	v_pk_min_f16 v93, v93, v125
	v_pk_add_f16 v125, v8, v26
	v_pk_max_f16 v87, v87, v87
	v_pk_min_f16 v24, v90, v24
	v_pk_min_f16 v89, v89, v98
	v_pk_min_f16 v88, v88, v106
	v_pk_min_f16 v90, v86, v126
	v_pk_add_f16 v86, v4, v26
	v_pk_max_f16 v85, v85, v85
	v_pk_add_f16 v98, v6, v26
	v_pk_max_f16 v83, v83, v83
	;; [unrolled: 2-line block ×4, first 2 shown]
	v_pk_max_f16 v101, v101, v101
	v_pk_min_f16 v87, v87, v125
	v_pk_add_f16 v125, v12, v20
	v_pk_max_f16 v80, v80, v80
	v_pk_min_f16 v126, v85, v86
	v_pk_min_f16 v98, v83, v98
	;; [unrolled: 1-line block ×4, first 2 shown]
	v_pk_add_f16 v81, v8, v20
	v_pk_max_f16 v78, v78, v78
	v_pk_add_f16 v82, v10, v20
	v_pk_max_f16 v77, v77, v77
	;; [unrolled: 2-line block ×4, first 2 shown]
	v_pk_min_f16 v101, v101, v128
	v_pk_min_f16 v125, v80, v125
	v_pk_add_f16 v80, v14, v20
	v_pk_min_f16 v128, v78, v81
	v_pk_min_f16 v129, v77, v82
	;; [unrolled: 1-line block ×4, first 2 shown]
	v_pk_add_f16 v74, v0, v20
	v_pk_add_f16 v20, v2, v20
	v_pk_max_f16 v72, v72, v72
	v_pk_add_f16 v75, v12, v22
	v_pk_max_f16 v71, v71, v71
	;; [unrolled: 2-line block ×4, first 2 shown]
	v_pk_min_f16 v20, v72, v20
	v_pk_min_f16 v133, v71, v75
	;; [unrolled: 1-line block ×3, first 2 shown]
	v_pk_max_f16 v68, v68, v68
	v_pk_min_f16 v135, v69, v78
	v_pk_add_f16 v69, v10, v22
	v_pk_add_f16 v70, v4, v22
	;; [unrolled: 1-line block ×5, first 2 shown]
	v_pk_max_f16 v64, v64, v64
	v_pk_max_f16 v67, v67, v67
	;; [unrolled: 1-line block ×4, first 2 shown]
	v_pk_min_f16 v136, v68, v69
	v_pk_min_f16 v22, v64, v22
	v_pk_add_f16 v64, v12, v16
	v_pk_add_f16 v68, v4, v16
	v_pk_max_f16 v59, v59, v59
	v_pk_add_f16 v12, v12, v18
	v_pk_max_f16 v54, v54, v54
	v_pk_min_f16 v137, v67, v70
	v_pk_min_f16 v138, v66, v71
	;; [unrolled: 1-line block ×3, first 2 shown]
	v_pk_add_f16 v65, v14, v16
	v_pk_add_f16 v66, v8, v16
	v_pk_add_f16 v67, v10, v16
	v_pk_max_f16 v60, v60, v60
	v_pk_min_f16 v144, v59, v68
	v_pk_add_f16 v59, v6, v16
	v_pk_add_f16 v14, v14, v18
	v_pk_max_f16 v52, v52, v52
	v_pk_min_f16 v148, v54, v12
	v_pk_add_f16 v8, v8, v18
	v_pk_max_f16 v12, v50, v50
	v_pk_add_f16 v6, v6, v18
	v_pk_max_f16 v50, v51, v51
	v_pk_min_f16 v143, v60, v67
	v_pk_add_f16 v60, v0, v16
	v_pk_add_f16 v16, v2, v16
	v_pk_min_f16 v149, v52, v14
	v_pk_add_f16 v10, v10, v18
	v_pk_max_f16 v14, v55, v55
	v_pk_min_f16 v150, v12, v8
	v_pk_min_f16 v152, v50, v6
	v_pk_add_f16 v2, v2, v18
	v_pk_max_f16 v6, v48, v48
	v_pk_add_f16 v8, v13, v29
	v_pk_max_f16 v91, v91, v91
	v_pk_max_f16 v79, v79, v79
	v_pk_min_f16 v151, v14, v10
	v_pk_add_f16 v10, v15, v29
	v_pk_add_f16 v12, v9, v29
	v_pk_min_f16 v153, v6, v2
	v_pk_min_f16 v85, v113, v8
	v_pk_add_f16 v2, v5, v29
	v_pk_add_f16 v8, v1, v29
	v_pk_min_f16 v91, v91, v127
	v_pk_min_f16 v127, v79, v80
	v_pk_max_f16 v73, v73, v73
	v_pk_min_f16 v82, v112, v10
	v_pk_min_f16 v80, v111, v12
	v_pk_add_f16 v6, v7, v29
	v_pk_add_f16 v10, v3, v29
	;; [unrolled: 1-line block ×3, first 2 shown]
	v_pk_min_f16 v86, v109, v2
	v_pk_min_f16 v81, v107, v8
	v_pk_add_f16 v2, v15, v31
	v_pk_add_f16 v8, v11, v31
	v_pk_min_f16 v132, v73, v74
	v_pk_max_f16 v62, v62, v62
	v_pk_min_f16 v83, v108, v6
	v_pk_min_f16 v77, v28, v10
	;; [unrolled: 1-line block ×3, first 2 shown]
	v_pk_add_f16 v6, v9, v31
	v_pk_add_f16 v10, v5, v31
	;; [unrolled: 1-line block ×3, first 2 shown]
	v_pk_min_f16 v78, v104, v2
	v_pk_min_f16 v74, v102, v8
	v_pk_add_f16 v2, v1, v31
	v_pk_add_f16 v8, v13, v25
	v_pk_max_f16 v63, v63, v63
	v_pk_min_f16 v141, v62, v65
	v_pk_max_f16 v57, v57, v57
	v_pk_min_f16 v75, v103, v6
	v_pk_min_f16 v72, v101, v10
	;; [unrolled: 1-line block ×3, first 2 shown]
	v_pk_add_f16 v6, v3, v31
	v_pk_add_f16 v10, v15, v25
	;; [unrolled: 1-line block ×3, first 2 shown]
	v_pk_min_f16 v73, v99, v2
	v_pk_min_f16 v69, v97, v8
	v_pk_add_f16 v2, v11, v25
	v_pk_add_f16 v8, v7, v25
	v_pk_max_f16 v61, v61, v61
	v_pk_min_f16 v140, v63, v64
	v_pk_max_f16 v58, v58, v58
	v_pk_min_f16 v146, v57, v60
	v_pk_min_f16 v71, v30, v6
	;; [unrolled: 1-line block ×4, first 2 shown]
	v_pk_add_f16 v6, v5, v25
	v_pk_add_f16 v10, v1, v25
	;; [unrolled: 1-line block ×3, first 2 shown]
	v_pk_min_f16 v68, v94, v2
	v_pk_min_f16 v64, v92, v8
	v_pk_add_f16 v2, v13, v27
	v_pk_add_f16 v8, v9, v27
	v_pk_min_f16 v142, v61, v66
	v_pk_min_f16 v145, v58, v59
	;; [unrolled: 1-line block ×5, first 2 shown]
	v_pk_add_f16 v6, v15, v27
	v_pk_add_f16 v10, v11, v27
	;; [unrolled: 1-line block ×3, first 2 shown]
	v_pk_min_f16 v63, v89, v2
	v_pk_min_f16 v59, v87, v8
	v_pk_add_f16 v2, v7, v27
	v_pk_add_f16 v8, v3, v27
	v_pk_max_f16 v56, v56, v56
	v_pk_add_f16 v0, v0, v18
	v_pk_max_f16 v49, v49, v49
	v_pk_min_f16 v61, v88, v6
	v_pk_min_f16 v57, v90, v10
	v_pk_min_f16 v50, v126, v12
	v_pk_add_f16 v6, v1, v27
	v_pk_add_f16 v10, v13, v21
	;; [unrolled: 1-line block ×3, first 2 shown]
	v_pk_min_f16 v58, v98, v2
	v_pk_min_f16 v54, v26, v8
	v_pk_add_f16 v2, v9, v21
	v_pk_add_f16 v8, v5, v21
	v_pk_min_f16 v147, v56, v16
	v_pk_max_f16 v16, v53, v53
	v_pk_min_f16 v0, v49, v0
	v_pk_add_f16 v14, v11, v29
	v_pk_min_f16 v56, v106, v6
	v_pk_min_f16 v52, v125, v10
	;; [unrolled: 1-line block ×3, first 2 shown]
	v_pk_add_f16 v6, v11, v21
	v_pk_add_f16 v10, v7, v21
	;; [unrolled: 1-line block ×3, first 2 shown]
	v_pk_min_f16 v53, v128, v2
	v_pk_min_f16 v49, v130, v8
	v_pk_add_f16 v2, v3, v21
	v_pk_add_f16 v8, v15, v23
	v_pk_min_f16 v51, v129, v6
	v_pk_min_f16 v31, v131, v10
	;; [unrolled: 1-line block ×3, first 2 shown]
	v_pk_add_f16 v6, v13, v23
	v_pk_add_f16 v10, v9, v23
	;; [unrolled: 1-line block ×3, first 2 shown]
	v_pk_min_f16 v48, v20, v2
	v_pk_min_f16 v28, v134, v8
	v_pk_add_f16 v2, v5, v23
	v_pk_add_f16 v8, v1, v23
	;; [unrolled: 1-line block ×3, first 2 shown]
	v_pk_min_f16 v30, v133, v6
	v_pk_min_f16 v26, v135, v10
	;; [unrolled: 1-line block ×3, first 2 shown]
	v_pk_add_f16 v6, v7, v23
	v_pk_add_f16 v10, v3, v23
	;; [unrolled: 1-line block ×3, first 2 shown]
	v_pk_min_f16 v27, v137, v2
	v_pk_min_f16 v23, v139, v8
	v_pk_add_f16 v2, v15, v17
	v_pk_add_f16 v8, v11, v17
	v_pk_min_f16 v4, v16, v4
	v_pk_min_f16 v25, v138, v6
	;; [unrolled: 1-line block ×4, first 2 shown]
	v_pk_add_f16 v6, v9, v17
	v_pk_add_f16 v12, v5, v17
	;; [unrolled: 1-line block ×3, first 2 shown]
	v_pk_min_f16 v22, v141, v2
	v_pk_min_f16 v16, v143, v8
	v_pk_add_f16 v2, v1, v17
	v_pk_add_f16 v8, v3, v17
	;; [unrolled: 1-line block ×4, first 2 shown]
	v_pk_min_f16 v79, v110, v14
	v_pk_min_f16 v20, v142, v6
	;; [unrolled: 1-line block ×4, first 2 shown]
	v_pk_add_f16 v87, v9, v19
	v_pk_min_f16 v12, v147, v8
	v_pk_min_f16 v9, v148, v17
	;; [unrolled: 1-line block ×3, first 2 shown]
	v_pk_add_f16 v11, v11, v19
	v_pk_add_f16 v5, v5, v19
	;; [unrolled: 1-line block ×5, first 2 shown]
	s_or_b32 s6, s5, s6
	v_pk_min_f16 v13, v146, v2
	v_pk_min_f16 v2, v150, v87
	;; [unrolled: 1-line block ×7, first 2 shown]
	v_cndmask_b32_e64 v0, 0, 0x7c00, s6
	s_or_b32 s6, s28, s6
	s_delay_alu instid0(SALU_CYCLE_1) | instskip(NEXT) | instid1(SALU_CYCLE_1)
	s_xor_b32 s6, s6, -1
	s_and_saveexec_b32 s7, s6
	s_cbranch_execz .LBB281_31
; %bb.51:                               ;   in Loop: Header=BB281_32 Depth=1
	v_add_co_u32 v87, s6, v123, v38
	s_delay_alu instid0(VALU_DEP_1)
	v_add_co_ci_u32_e64 v88, s6, v124, v39, s6
	flat_load_u16 v0, v[87:88]
	s_waitcnt vmcnt(0) lgkmcnt(0)
	v_mul_f16_e32 v0, s19, v0
	s_branch .LBB281_31
.LBB281_52:
	s_clause 0x2
	s_load_b64 s[2:3], s[0:1], 0x70
	s_load_b32 s14, s[0:1], 0x50
	s_load_b32 s9, s[0:1], 0x68
	v_add_nc_u32_e32 v0, 0x1000, v46
	v_add_nc_u32_e32 v84, s27, v43
	;; [unrolled: 1-line block ×4, first 2 shown]
	ds_load_2addr_b64 v[16:19], v0 offset0:64 offset1:72
	ds_load_2addr_b64 v[12:15], v0 offset0:80 offset1:88
	;; [unrolled: 1-line block ×4, first 2 shown]
	ds_load_2addr_b64 v[28:31], v4 offset1:32
	ds_load_2addr_b64 v[24:27], v4 offset0:64 offset1:96
	ds_load_2addr_b64 v[20:23], v4 offset0:128 offset1:160
	;; [unrolled: 1-line block ×3, first 2 shown]
	v_cmp_gt_i32_e64 s8, s17, v84
	v_cndmask_b32_e64 v76, 0, 1, s25
	v_cmp_gt_i32_e64 s0, s16, v32
	v_ashrrev_i32_e32 v33, 31, v32
	s_waitcnt lgkmcnt(0)
	s_mul_i32 s1, s15, s3
	v_mad_i64_i32 v[34:35], null, v84, s14, 0
	v_mad_i64_i32 v[36:37], null, v84, s9, 0
	s_mul_hi_u32 s3, s15, s2
	s_mul_i32 s4, s26, s2
	s_add_i32 s1, s3, s1
	s_mul_i32 s2, s15, s2
	s_delay_alu instid0(VALU_DEP_2) | instskip(SKIP_1) | instid1(VALU_DEP_2)
	v_lshlrev_b64 v[34:35], 1, v[34:35]
	s_add_i32 s3, s1, s4
	v_lshlrev_b64 v[36:37], 1, v[36:37]
	s_lshl_b64 s[2:3], s[2:3], 1
	s_delay_alu instid0(SALU_CYCLE_1) | instskip(NEXT) | instid1(VALU_DEP_2)
	s_add_u32 s10, s10, s2
	v_add_co_u32 v116, vcc_lo, s12, v34
	v_add_co_ci_u32_e32 v117, vcc_lo, s13, v35, vcc_lo
	s_addc_u32 s11, s11, s3
	v_add_co_u32 v114, vcc_lo, s10, v36
	v_add_co_ci_u32_e32 v115, vcc_lo, s11, v37, vcc_lo
	s_and_b32 s1, s0, s8
	s_delay_alu instid0(SALU_CYCLE_1) | instskip(NEXT) | instid1(SALU_CYCLE_1)
	s_and_saveexec_b32 s2, s1
	s_xor_b32 s1, exec_lo, s2
	s_cbranch_execz .LBB281_57
; %bb.53:
	s_and_not1_b32 vcc_lo, exec_lo, s25
	s_cbranch_vccnz .LBB281_55
; %bb.54:
	v_lshlrev_b64 v[34:35], 1, v[32:33]
	s_delay_alu instid0(VALU_DEP_1) | instskip(NEXT) | instid1(VALU_DEP_2)
	v_add_co_u32 v34, vcc_lo, v116, v34
	v_add_co_ci_u32_e32 v35, vcc_lo, v117, v35, vcc_lo
	flat_load_u16 v34, v[34:35]
	s_waitcnt vmcnt(0) lgkmcnt(0)
	v_mul_f16_e32 v34, s24, v34
	s_branch .LBB281_56
.LBB281_55:
	v_mov_b32_e32 v34, 0
.LBB281_56:
	v_pk_add_f16 v35, v16, v28
	v_pk_max_f16 v36, v113, v113
	v_pk_add_f16 v37, v17, v29
	s_delay_alu instid0(VALU_DEP_2) | instskip(NEXT) | instid1(VALU_DEP_1)
	v_pk_min_f16 v35, v36, v35
	v_pk_min_f16 v37, v35, v37
	v_lshlrev_b64 v[35:36], 1, v[32:33]
	s_delay_alu instid0(VALU_DEP_2) | instskip(NEXT) | instid1(VALU_DEP_1)
	v_lshrrev_b32_e32 v38, 16, v37
	v_min3_f16 v37, v34, v37, v38
	s_delay_alu instid0(VALU_DEP_3) | instskip(NEXT) | instid1(VALU_DEP_4)
	v_add_co_u32 v34, vcc_lo, v114, v35
	v_add_co_ci_u32_e32 v35, vcc_lo, v115, v36, vcc_lo
	global_store_b16 v[34:35], v37, off
.LBB281_57:
	s_or_b32 exec_lo, exec_lo, s1
	v_add_nc_u32_e32 v34, 8, v32
	s_delay_alu instid0(VALU_DEP_1) | instskip(SKIP_1) | instid1(VALU_DEP_2)
	v_cmp_gt_i32_e64 s1, s16, v34
	v_ashrrev_i32_e32 v35, 31, v34
	s_and_b32 s3, s1, s8
	s_delay_alu instid0(SALU_CYCLE_1)
	s_and_saveexec_b32 s2, s3
	s_cbranch_execz .LBB281_62
; %bb.58:
	v_cmp_ne_u32_e32 vcc_lo, 1, v76
	s_cbranch_vccnz .LBB281_60
; %bb.59:
	v_lshlrev_b64 v[36:37], 1, v[34:35]
	s_delay_alu instid0(VALU_DEP_1) | instskip(NEXT) | instid1(VALU_DEP_2)
	v_add_co_u32 v36, vcc_lo, v116, v36
	v_add_co_ci_u32_e32 v37, vcc_lo, v117, v37, vcc_lo
	flat_load_u16 v36, v[36:37]
	s_waitcnt vmcnt(0) lgkmcnt(0)
	v_mul_f16_e32 v36, s24, v36
	s_branch .LBB281_61
.LBB281_60:
	v_mov_b32_e32 v36, 0
.LBB281_61:
	v_pk_add_f16 v37, v18, v28
	v_pk_max_f16 v38, v112, v112
	v_pk_add_f16 v39, v19, v29
	s_delay_alu instid0(VALU_DEP_2) | instskip(NEXT) | instid1(VALU_DEP_1)
	v_pk_min_f16 v37, v38, v37
	v_pk_min_f16 v39, v37, v39
	v_lshlrev_b64 v[37:38], 1, v[34:35]
	s_delay_alu instid0(VALU_DEP_2) | instskip(NEXT) | instid1(VALU_DEP_1)
	v_lshrrev_b32_e32 v40, 16, v39
	v_min3_f16 v39, v36, v39, v40
	s_delay_alu instid0(VALU_DEP_3) | instskip(NEXT) | instid1(VALU_DEP_4)
	v_add_co_u32 v36, vcc_lo, v114, v37
	v_add_co_ci_u32_e32 v37, vcc_lo, v115, v38, vcc_lo
	global_store_b16 v[36:37], v39, off
.LBB281_62:
	s_or_b32 exec_lo, exec_lo, s2
	v_add_nc_u32_e32 v36, 16, v32
	s_delay_alu instid0(VALU_DEP_1) | instskip(SKIP_1) | instid1(VALU_DEP_2)
	v_cmp_gt_i32_e64 s2, s16, v36
	v_ashrrev_i32_e32 v37, 31, v36
	s_and_b32 s4, s2, s8
	s_delay_alu instid0(SALU_CYCLE_1)
	s_and_saveexec_b32 s3, s4
	s_cbranch_execz .LBB281_67
; %bb.63:
	v_cmp_ne_u32_e32 vcc_lo, 1, v76
	s_cbranch_vccnz .LBB281_65
; %bb.64:
	v_lshlrev_b64 v[38:39], 1, v[36:37]
	s_delay_alu instid0(VALU_DEP_1) | instskip(NEXT) | instid1(VALU_DEP_2)
	v_add_co_u32 v38, vcc_lo, v116, v38
	v_add_co_ci_u32_e32 v39, vcc_lo, v117, v39, vcc_lo
	flat_load_u16 v38, v[38:39]
	s_waitcnt vmcnt(0) lgkmcnt(0)
	v_mul_f16_e32 v38, s24, v38
	s_branch .LBB281_66
.LBB281_65:
	v_mov_b32_e32 v38, 0
.LBB281_66:
	v_pk_add_f16 v39, v12, v28
	v_pk_max_f16 v40, v111, v111
	v_pk_add_f16 v41, v13, v29
	s_delay_alu instid0(VALU_DEP_2) | instskip(NEXT) | instid1(VALU_DEP_1)
	v_pk_min_f16 v39, v40, v39
	v_pk_min_f16 v41, v39, v41
	v_lshlrev_b64 v[39:40], 1, v[36:37]
	s_delay_alu instid0(VALU_DEP_2) | instskip(NEXT) | instid1(VALU_DEP_1)
	v_lshrrev_b32_e32 v42, 16, v41
	v_min3_f16 v41, v38, v41, v42
	s_delay_alu instid0(VALU_DEP_3) | instskip(NEXT) | instid1(VALU_DEP_4)
	v_add_co_u32 v38, vcc_lo, v114, v39
	v_add_co_ci_u32_e32 v39, vcc_lo, v115, v40, vcc_lo
	global_store_b16 v[38:39], v41, off
.LBB281_67:
	;; [unrolled: 39-line block ×6, first 2 shown]
	s_or_b32 exec_lo, exec_lo, s7
	v_add_nc_u32_e32 v46, 56, v32
	s_delay_alu instid0(VALU_DEP_1) | instskip(SKIP_1) | instid1(VALU_DEP_2)
	v_cmp_gt_i32_e64 s7, s16, v46
	v_ashrrev_i32_e32 v47, 31, v46
	s_and_b32 s15, s7, s8
	s_delay_alu instid0(SALU_CYCLE_1)
	s_and_saveexec_b32 s8, s15
	s_cbranch_execz .LBB281_92
; %bb.88:
	v_cmp_ne_u32_e32 vcc_lo, 1, v76
	s_cbranch_vccnz .LBB281_90
; %bb.89:
	v_lshlrev_b64 v[107:108], 1, v[46:47]
	s_delay_alu instid0(VALU_DEP_1) | instskip(NEXT) | instid1(VALU_DEP_2)
	v_add_co_u32 v107, vcc_lo, v116, v107
	v_add_co_ci_u32_e32 v108, vcc_lo, v117, v108, vcc_lo
	flat_load_u16 v107, v[107:108]
	s_waitcnt vmcnt(0) lgkmcnt(0)
	v_mul_f16_e32 v107, s24, v107
	s_branch .LBB281_91
.LBB281_90:
	v_mov_b32_e32 v107, 0
.LBB281_91:
	v_pk_add_f16 v28, v2, v28
	v_pk_max_f16 v106, v106, v106
	v_pk_add_f16 v29, v3, v29
	s_delay_alu instid0(VALU_DEP_2) | instskip(NEXT) | instid1(VALU_DEP_1)
	v_pk_min_f16 v28, v106, v28
	v_pk_min_f16 v106, v28, v29
	v_lshlrev_b64 v[28:29], 1, v[46:47]
	s_delay_alu instid0(VALU_DEP_2) | instskip(NEXT) | instid1(VALU_DEP_2)
	v_lshrrev_b32_e32 v108, 16, v106
	v_add_co_u32 v28, vcc_lo, v114, v28
	s_delay_alu instid0(VALU_DEP_3) | instskip(NEXT) | instid1(VALU_DEP_3)
	v_add_co_ci_u32_e32 v29, vcc_lo, v115, v29, vcc_lo
	v_min3_f16 v106, v107, v106, v108
	global_store_b16 v[28:29], v106, off
.LBB281_92:
	s_or_b32 exec_lo, exec_lo, s8
	v_add_nc_u32_e32 v108, 32, v84
	s_delay_alu instid0(VALU_DEP_1) | instskip(SKIP_2) | instid1(VALU_DEP_3)
	v_mad_i64_i32 v[28:29], null, v108, s14, 0
	v_mad_i64_i32 v[106:107], null, v108, s9, 0
	v_cmp_gt_i32_e64 s8, s17, v108
	v_lshlrev_b64 v[28:29], 1, v[28:29]
	s_delay_alu instid0(VALU_DEP_2) | instskip(NEXT) | instid1(VALU_DEP_3)
	s_and_b32 s16, s0, s8
	v_lshlrev_b64 v[108:109], 1, v[106:107]
	s_delay_alu instid0(VALU_DEP_2) | instskip(NEXT) | instid1(VALU_DEP_3)
	v_add_co_u32 v106, vcc_lo, s12, v28
	v_add_co_ci_u32_e32 v107, vcc_lo, s13, v29, vcc_lo
	s_delay_alu instid0(VALU_DEP_3) | instskip(NEXT) | instid1(VALU_DEP_4)
	v_add_co_u32 v28, vcc_lo, s10, v108
	v_add_co_ci_u32_e32 v29, vcc_lo, s11, v109, vcc_lo
	s_and_saveexec_b32 s15, s16
	s_cbranch_execnz .LBB281_100
; %bb.93:
	s_or_b32 exec_lo, exec_lo, s15
	s_and_b32 s16, s1, s8
	s_delay_alu instid0(SALU_CYCLE_1)
	s_and_saveexec_b32 s15, s16
	s_cbranch_execnz .LBB281_104
.LBB281_94:
	s_or_b32 exec_lo, exec_lo, s15
	s_and_b32 s16, s2, s8
	s_delay_alu instid0(SALU_CYCLE_1)
	s_and_saveexec_b32 s15, s16
	s_cbranch_execnz .LBB281_108
.LBB281_95:
	s_or_b32 exec_lo, exec_lo, s15
	s_and_b32 s16, s3, s8
	s_delay_alu instid0(SALU_CYCLE_1)
	s_and_saveexec_b32 s15, s16
	s_cbranch_execnz .LBB281_112
.LBB281_96:
	s_or_b32 exec_lo, exec_lo, s15
	s_and_b32 s16, s4, s8
	s_delay_alu instid0(SALU_CYCLE_1)
	s_and_saveexec_b32 s15, s16
	s_cbranch_execnz .LBB281_116
.LBB281_97:
	s_or_b32 exec_lo, exec_lo, s15
	s_and_b32 s16, s5, s8
	s_delay_alu instid0(SALU_CYCLE_1)
	s_and_saveexec_b32 s15, s16
	s_cbranch_execnz .LBB281_120
.LBB281_98:
	s_or_b32 exec_lo, exec_lo, s15
	s_and_b32 s16, s6, s8
	s_delay_alu instid0(SALU_CYCLE_1)
	s_and_saveexec_b32 s15, s16
	s_cbranch_execnz .LBB281_124
.LBB281_99:
	s_or_b32 exec_lo, exec_lo, s15
	s_and_b32 s15, s7, s8
	s_delay_alu instid0(SALU_CYCLE_1)
	s_and_saveexec_b32 s8, s15
	s_cbranch_execnz .LBB281_128
	s_branch .LBB281_132
.LBB281_100:
	v_cmp_ne_u32_e32 vcc_lo, 1, v76
	s_cbranch_vccnz .LBB281_102
; %bb.101:
	v_lshlrev_b64 v[108:109], 1, v[32:33]
	s_delay_alu instid0(VALU_DEP_1) | instskip(NEXT) | instid1(VALU_DEP_2)
	v_add_co_u32 v108, vcc_lo, v106, v108
	v_add_co_ci_u32_e32 v109, vcc_lo, v107, v109, vcc_lo
	flat_load_u16 v108, v[108:109]
	s_waitcnt vmcnt(0) lgkmcnt(0)
	v_mul_f16_e32 v108, s24, v108
	s_branch .LBB281_103
.LBB281_102:
	v_mov_b32_e32 v108, 0
.LBB281_103:
	v_pk_add_f16 v109, v16, v30
	v_pk_max_f16 v105, v105, v105
	v_pk_add_f16 v110, v17, v31
	s_delay_alu instid0(VALU_DEP_2) | instskip(NEXT) | instid1(VALU_DEP_1)
	v_pk_min_f16 v105, v105, v109
	v_pk_min_f16 v105, v105, v110
	v_lshlrev_b64 v[109:110], 1, v[32:33]
	s_delay_alu instid0(VALU_DEP_2) | instskip(NEXT) | instid1(VALU_DEP_1)
	v_lshrrev_b32_e32 v111, 16, v105
	v_min3_f16 v105, v108, v105, v111
	s_delay_alu instid0(VALU_DEP_3) | instskip(NEXT) | instid1(VALU_DEP_4)
	v_add_co_u32 v108, vcc_lo, v28, v109
	v_add_co_ci_u32_e32 v109, vcc_lo, v29, v110, vcc_lo
	global_store_b16 v[108:109], v105, off
	s_or_b32 exec_lo, exec_lo, s15
	s_and_b32 s16, s1, s8
	s_delay_alu instid0(SALU_CYCLE_1)
	s_and_saveexec_b32 s15, s16
	s_cbranch_execz .LBB281_94
.LBB281_104:
	v_cmp_ne_u32_e32 vcc_lo, 1, v76
	s_cbranch_vccnz .LBB281_106
; %bb.105:
	v_lshlrev_b64 v[108:109], 1, v[34:35]
	s_delay_alu instid0(VALU_DEP_1) | instskip(NEXT) | instid1(VALU_DEP_2)
	v_add_co_u32 v108, vcc_lo, v106, v108
	v_add_co_ci_u32_e32 v109, vcc_lo, v107, v109, vcc_lo
	flat_load_u16 v105, v[108:109]
	s_waitcnt vmcnt(0) lgkmcnt(0)
	v_mul_f16_e32 v105, s24, v105
	s_branch .LBB281_107
.LBB281_106:
	v_mov_b32_e32 v105, 0
.LBB281_107:
	v_pk_add_f16 v108, v18, v30
	v_pk_max_f16 v104, v104, v104
	v_pk_add_f16 v109, v19, v31
	s_delay_alu instid0(VALU_DEP_2) | instskip(NEXT) | instid1(VALU_DEP_1)
	v_pk_min_f16 v104, v104, v108
	v_pk_min_f16 v104, v104, v109
	v_lshlrev_b64 v[108:109], 1, v[34:35]
	s_delay_alu instid0(VALU_DEP_2) | instskip(NEXT) | instid1(VALU_DEP_1)
	v_lshrrev_b32_e32 v110, 16, v104
	v_min3_f16 v110, v105, v104, v110
	s_delay_alu instid0(VALU_DEP_3) | instskip(NEXT) | instid1(VALU_DEP_4)
	v_add_co_u32 v104, vcc_lo, v28, v108
	v_add_co_ci_u32_e32 v105, vcc_lo, v29, v109, vcc_lo
	global_store_b16 v[104:105], v110, off
	s_or_b32 exec_lo, exec_lo, s15
	s_and_b32 s16, s2, s8
	s_delay_alu instid0(SALU_CYCLE_1)
	s_and_saveexec_b32 s15, s16
	s_cbranch_execz .LBB281_95
.LBB281_108:
	v_cmp_ne_u32_e32 vcc_lo, 1, v76
	s_cbranch_vccnz .LBB281_110
; %bb.109:
	v_lshlrev_b64 v[104:105], 1, v[36:37]
	s_delay_alu instid0(VALU_DEP_1) | instskip(NEXT) | instid1(VALU_DEP_2)
	v_add_co_u32 v104, vcc_lo, v106, v104
	v_add_co_ci_u32_e32 v105, vcc_lo, v107, v105, vcc_lo
	flat_load_u16 v104, v[104:105]
	s_waitcnt vmcnt(0) lgkmcnt(0)
	v_mul_f16_e32 v104, s24, v104
	s_branch .LBB281_111
.LBB281_110:
	v_mov_b32_e32 v104, 0
.LBB281_111:
	v_pk_add_f16 v105, v12, v30
	v_pk_max_f16 v103, v103, v103
	v_pk_add_f16 v108, v13, v31
	s_delay_alu instid0(VALU_DEP_2) | instskip(NEXT) | instid1(VALU_DEP_1)
	v_pk_min_f16 v103, v103, v105
	v_pk_min_f16 v103, v103, v108
	v_lshlrev_b64 v[108:109], 1, v[36:37]
	s_delay_alu instid0(VALU_DEP_2) | instskip(NEXT) | instid1(VALU_DEP_1)
	v_lshrrev_b32_e32 v105, 16, v103
	v_min3_f16 v105, v104, v103, v105
	s_delay_alu instid0(VALU_DEP_3) | instskip(NEXT) | instid1(VALU_DEP_4)
	v_add_co_u32 v103, vcc_lo, v28, v108
	v_add_co_ci_u32_e32 v104, vcc_lo, v29, v109, vcc_lo
	global_store_b16 v[103:104], v105, off
	s_or_b32 exec_lo, exec_lo, s15
	s_and_b32 s16, s3, s8
	s_delay_alu instid0(SALU_CYCLE_1)
	s_and_saveexec_b32 s15, s16
	s_cbranch_execz .LBB281_96
.LBB281_112:
	v_cmp_ne_u32_e32 vcc_lo, 1, v76
	s_cbranch_vccnz .LBB281_114
; %bb.113:
	v_lshlrev_b64 v[103:104], 1, v[38:39]
	s_delay_alu instid0(VALU_DEP_1) | instskip(NEXT) | instid1(VALU_DEP_2)
	v_add_co_u32 v103, vcc_lo, v106, v103
	v_add_co_ci_u32_e32 v104, vcc_lo, v107, v104, vcc_lo
	flat_load_u16 v103, v[103:104]
	s_waitcnt vmcnt(0) lgkmcnt(0)
	v_mul_f16_e32 v103, s24, v103
	s_branch .LBB281_115
.LBB281_114:
	v_mov_b32_e32 v103, 0
.LBB281_115:
	v_pk_add_f16 v104, v14, v30
	v_pk_max_f16 v102, v102, v102
	v_pk_add_f16 v105, v15, v31
	s_delay_alu instid0(VALU_DEP_2) | instskip(NEXT) | instid1(VALU_DEP_1)
	v_pk_min_f16 v102, v102, v104
	v_pk_min_f16 v102, v102, v105
	v_lshlrev_b64 v[104:105], 1, v[38:39]
	s_delay_alu instid0(VALU_DEP_2) | instskip(NEXT) | instid1(VALU_DEP_1)
	v_lshrrev_b32_e32 v108, 16, v102
	v_min3_f16 v108, v103, v102, v108
	s_delay_alu instid0(VALU_DEP_3) | instskip(NEXT) | instid1(VALU_DEP_4)
	v_add_co_u32 v102, vcc_lo, v28, v104
	v_add_co_ci_u32_e32 v103, vcc_lo, v29, v105, vcc_lo
	global_store_b16 v[102:103], v108, off
	s_or_b32 exec_lo, exec_lo, s15
	s_and_b32 s16, s4, s8
	s_delay_alu instid0(SALU_CYCLE_1)
	s_and_saveexec_b32 s15, s16
	s_cbranch_execz .LBB281_97
.LBB281_116:
	v_cmp_ne_u32_e32 vcc_lo, 1, v76
	s_cbranch_vccnz .LBB281_118
; %bb.117:
	v_lshlrev_b64 v[102:103], 1, v[40:41]
	s_delay_alu instid0(VALU_DEP_1) | instskip(NEXT) | instid1(VALU_DEP_2)
	v_add_co_u32 v102, vcc_lo, v106, v102
	v_add_co_ci_u32_e32 v103, vcc_lo, v107, v103, vcc_lo
	flat_load_u16 v102, v[102:103]
	s_waitcnt vmcnt(0) lgkmcnt(0)
	v_mul_f16_e32 v102, s24, v102
	s_branch .LBB281_119
.LBB281_118:
	v_mov_b32_e32 v102, 0
.LBB281_119:
	v_pk_add_f16 v103, v8, v30
	v_pk_max_f16 v101, v101, v101
	v_pk_add_f16 v104, v9, v31
	s_delay_alu instid0(VALU_DEP_2) | instskip(NEXT) | instid1(VALU_DEP_1)
	v_pk_min_f16 v101, v101, v103
	v_pk_min_f16 v101, v101, v104
	v_lshlrev_b64 v[103:104], 1, v[40:41]
	s_delay_alu instid0(VALU_DEP_2) | instskip(NEXT) | instid1(VALU_DEP_1)
	v_lshrrev_b32_e32 v105, 16, v101
	v_min3_f16 v105, v102, v101, v105
	s_delay_alu instid0(VALU_DEP_3) | instskip(NEXT) | instid1(VALU_DEP_4)
	v_add_co_u32 v101, vcc_lo, v28, v103
	v_add_co_ci_u32_e32 v102, vcc_lo, v29, v104, vcc_lo
	global_store_b16 v[101:102], v105, off
	s_or_b32 exec_lo, exec_lo, s15
	s_and_b32 s16, s5, s8
	s_delay_alu instid0(SALU_CYCLE_1)
	s_and_saveexec_b32 s15, s16
	s_cbranch_execz .LBB281_98
.LBB281_120:
	v_cmp_ne_u32_e32 vcc_lo, 1, v76
	s_cbranch_vccnz .LBB281_122
; %bb.121:
	v_lshlrev_b64 v[101:102], 1, v[42:43]
	s_delay_alu instid0(VALU_DEP_1) | instskip(NEXT) | instid1(VALU_DEP_2)
	v_add_co_u32 v101, vcc_lo, v106, v101
	v_add_co_ci_u32_e32 v102, vcc_lo, v107, v102, vcc_lo
	flat_load_u16 v101, v[101:102]
	s_waitcnt vmcnt(0) lgkmcnt(0)
	v_mul_f16_e32 v101, s24, v101
	s_branch .LBB281_123
.LBB281_122:
	v_mov_b32_e32 v101, 0
.LBB281_123:
	v_pk_add_f16 v102, v10, v30
	v_pk_max_f16 v100, v100, v100
	v_pk_add_f16 v103, v11, v31
	s_delay_alu instid0(VALU_DEP_2) | instskip(NEXT) | instid1(VALU_DEP_1)
	v_pk_min_f16 v100, v100, v102
	v_pk_min_f16 v100, v100, v103
	v_lshlrev_b64 v[102:103], 1, v[42:43]
	s_delay_alu instid0(VALU_DEP_2) | instskip(NEXT) | instid1(VALU_DEP_1)
	v_lshrrev_b32_e32 v104, 16, v100
	v_min3_f16 v104, v101, v100, v104
	s_delay_alu instid0(VALU_DEP_3) | instskip(NEXT) | instid1(VALU_DEP_4)
	v_add_co_u32 v100, vcc_lo, v28, v102
	v_add_co_ci_u32_e32 v101, vcc_lo, v29, v103, vcc_lo
	global_store_b16 v[100:101], v104, off
	s_or_b32 exec_lo, exec_lo, s15
	s_and_b32 s16, s6, s8
	s_delay_alu instid0(SALU_CYCLE_1)
	s_and_saveexec_b32 s15, s16
	s_cbranch_execz .LBB281_99
.LBB281_124:
	v_cmp_ne_u32_e32 vcc_lo, 1, v76
	s_cbranch_vccnz .LBB281_126
; %bb.125:
	v_lshlrev_b64 v[100:101], 1, v[44:45]
	s_delay_alu instid0(VALU_DEP_1) | instskip(NEXT) | instid1(VALU_DEP_2)
	v_add_co_u32 v100, vcc_lo, v106, v100
	v_add_co_ci_u32_e32 v101, vcc_lo, v107, v101, vcc_lo
	flat_load_u16 v100, v[100:101]
	s_waitcnt vmcnt(0) lgkmcnt(0)
	v_mul_f16_e32 v100, s24, v100
	s_branch .LBB281_127
.LBB281_126:
	v_mov_b32_e32 v100, 0
.LBB281_127:
	v_pk_add_f16 v101, v0, v30
	v_pk_max_f16 v99, v99, v99
	v_pk_add_f16 v102, v1, v31
	s_delay_alu instid0(VALU_DEP_2) | instskip(NEXT) | instid1(VALU_DEP_1)
	v_pk_min_f16 v99, v99, v101
	v_pk_min_f16 v99, v99, v102
	v_lshlrev_b64 v[101:102], 1, v[44:45]
	s_delay_alu instid0(VALU_DEP_2) | instskip(NEXT) | instid1(VALU_DEP_1)
	v_lshrrev_b32_e32 v103, 16, v99
	v_min3_f16 v103, v100, v99, v103
	s_delay_alu instid0(VALU_DEP_3) | instskip(NEXT) | instid1(VALU_DEP_4)
	v_add_co_u32 v99, vcc_lo, v28, v101
	v_add_co_ci_u32_e32 v100, vcc_lo, v29, v102, vcc_lo
	global_store_b16 v[99:100], v103, off
	s_or_b32 exec_lo, exec_lo, s15
	s_and_b32 s15, s7, s8
	s_delay_alu instid0(SALU_CYCLE_1)
	s_and_saveexec_b32 s8, s15
	s_cbranch_execz .LBB281_132
.LBB281_128:
	v_cmp_ne_u32_e32 vcc_lo, 1, v76
	s_cbranch_vccnz .LBB281_130
; %bb.129:
	v_lshlrev_b64 v[99:100], 1, v[46:47]
	s_delay_alu instid0(VALU_DEP_1) | instskip(NEXT) | instid1(VALU_DEP_2)
	v_add_co_u32 v99, vcc_lo, v106, v99
	v_add_co_ci_u32_e32 v100, vcc_lo, v107, v100, vcc_lo
	flat_load_u16 v99, v[99:100]
	s_waitcnt vmcnt(0) lgkmcnt(0)
	v_mul_f16_e32 v99, s24, v99
	s_branch .LBB281_131
.LBB281_130:
	v_mov_b32_e32 v99, 0
.LBB281_131:
	v_pk_add_f16 v30, v2, v30
	v_pk_max_f16 v98, v98, v98
	v_pk_add_f16 v31, v3, v31
	s_delay_alu instid0(VALU_DEP_2) | instskip(NEXT) | instid1(VALU_DEP_1)
	v_pk_min_f16 v30, v98, v30
	v_pk_min_f16 v98, v30, v31
	v_lshlrev_b64 v[30:31], 1, v[46:47]
	s_delay_alu instid0(VALU_DEP_2) | instskip(NEXT) | instid1(VALU_DEP_2)
	v_lshrrev_b32_e32 v100, 16, v98
	v_add_co_u32 v28, vcc_lo, v28, v30
	s_delay_alu instid0(VALU_DEP_3) | instskip(NEXT) | instid1(VALU_DEP_3)
	v_add_co_ci_u32_e32 v29, vcc_lo, v29, v31, vcc_lo
	v_min3_f16 v98, v99, v98, v100
	global_store_b16 v[28:29], v98, off
.LBB281_132:
	s_or_b32 exec_lo, exec_lo, s8
	v_add_nc_u32_e32 v98, 64, v84
	s_delay_alu instid0(VALU_DEP_1) | instskip(SKIP_2) | instid1(VALU_DEP_3)
	v_mad_i64_i32 v[28:29], null, v98, s14, 0
	v_mad_i64_i32 v[30:31], null, v98, s9, 0
	v_cmp_gt_i32_e64 s8, s17, v98
	v_lshlrev_b64 v[28:29], 1, v[28:29]
	s_delay_alu instid0(VALU_DEP_2) | instskip(NEXT) | instid1(VALU_DEP_3)
	s_and_b32 s16, s0, s8
	v_lshlrev_b64 v[98:99], 1, v[30:31]
	s_delay_alu instid0(VALU_DEP_2) | instskip(NEXT) | instid1(VALU_DEP_3)
	v_add_co_u32 v30, vcc_lo, s12, v28
	v_add_co_ci_u32_e32 v31, vcc_lo, s13, v29, vcc_lo
	s_delay_alu instid0(VALU_DEP_3) | instskip(NEXT) | instid1(VALU_DEP_4)
	v_add_co_u32 v28, vcc_lo, s10, v98
	v_add_co_ci_u32_e32 v29, vcc_lo, s11, v99, vcc_lo
	s_and_saveexec_b32 s15, s16
	s_cbranch_execnz .LBB281_140
; %bb.133:
	s_or_b32 exec_lo, exec_lo, s15
	s_and_b32 s16, s1, s8
	s_delay_alu instid0(SALU_CYCLE_1)
	s_and_saveexec_b32 s15, s16
	s_cbranch_execnz .LBB281_144
.LBB281_134:
	s_or_b32 exec_lo, exec_lo, s15
	s_and_b32 s16, s2, s8
	s_delay_alu instid0(SALU_CYCLE_1)
	s_and_saveexec_b32 s15, s16
	s_cbranch_execnz .LBB281_148
.LBB281_135:
	s_or_b32 exec_lo, exec_lo, s15
	s_and_b32 s16, s3, s8
	s_delay_alu instid0(SALU_CYCLE_1)
	s_and_saveexec_b32 s15, s16
	s_cbranch_execnz .LBB281_152
.LBB281_136:
	s_or_b32 exec_lo, exec_lo, s15
	s_and_b32 s16, s4, s8
	s_delay_alu instid0(SALU_CYCLE_1)
	s_and_saveexec_b32 s15, s16
	s_cbranch_execnz .LBB281_156
.LBB281_137:
	s_or_b32 exec_lo, exec_lo, s15
	s_and_b32 s16, s5, s8
	s_delay_alu instid0(SALU_CYCLE_1)
	s_and_saveexec_b32 s15, s16
	s_cbranch_execnz .LBB281_160
.LBB281_138:
	s_or_b32 exec_lo, exec_lo, s15
	s_and_b32 s16, s6, s8
	s_delay_alu instid0(SALU_CYCLE_1)
	s_and_saveexec_b32 s15, s16
	s_cbranch_execnz .LBB281_164
.LBB281_139:
	s_or_b32 exec_lo, exec_lo, s15
	s_and_b32 s15, s7, s8
	s_delay_alu instid0(SALU_CYCLE_1)
	s_and_saveexec_b32 s8, s15
	s_cbranch_execnz .LBB281_168
	s_branch .LBB281_172
.LBB281_140:
	v_cmp_ne_u32_e32 vcc_lo, 1, v76
	s_cbranch_vccnz .LBB281_142
; %bb.141:
	v_lshlrev_b64 v[98:99], 1, v[32:33]
	s_delay_alu instid0(VALU_DEP_1) | instskip(NEXT) | instid1(VALU_DEP_2)
	v_add_co_u32 v98, vcc_lo, v30, v98
	v_add_co_ci_u32_e32 v99, vcc_lo, v31, v99, vcc_lo
	flat_load_u16 v98, v[98:99]
	s_waitcnt vmcnt(0) lgkmcnt(0)
	v_mul_f16_e32 v98, s24, v98
	s_branch .LBB281_143
.LBB281_142:
	v_mov_b32_e32 v98, 0
.LBB281_143:
	v_pk_add_f16 v99, v16, v24
	v_pk_max_f16 v97, v97, v97
	v_pk_add_f16 v100, v17, v25
	s_delay_alu instid0(VALU_DEP_2) | instskip(NEXT) | instid1(VALU_DEP_1)
	v_pk_min_f16 v97, v97, v99
	v_pk_min_f16 v97, v97, v100
	v_lshlrev_b64 v[99:100], 1, v[32:33]
	s_delay_alu instid0(VALU_DEP_2) | instskip(NEXT) | instid1(VALU_DEP_1)
	v_lshrrev_b32_e32 v101, 16, v97
	v_min3_f16 v101, v98, v97, v101
	s_delay_alu instid0(VALU_DEP_3) | instskip(NEXT) | instid1(VALU_DEP_4)
	v_add_co_u32 v97, vcc_lo, v28, v99
	v_add_co_ci_u32_e32 v98, vcc_lo, v29, v100, vcc_lo
	global_store_b16 v[97:98], v101, off
	s_or_b32 exec_lo, exec_lo, s15
	s_and_b32 s16, s1, s8
	s_delay_alu instid0(SALU_CYCLE_1)
	s_and_saveexec_b32 s15, s16
	s_cbranch_execz .LBB281_134
.LBB281_144:
	v_cmp_ne_u32_e32 vcc_lo, 1, v76
	s_cbranch_vccnz .LBB281_146
; %bb.145:
	v_lshlrev_b64 v[97:98], 1, v[34:35]
	s_delay_alu instid0(VALU_DEP_1) | instskip(NEXT) | instid1(VALU_DEP_2)
	v_add_co_u32 v97, vcc_lo, v30, v97
	v_add_co_ci_u32_e32 v98, vcc_lo, v31, v98, vcc_lo
	flat_load_u16 v97, v[97:98]
	s_waitcnt vmcnt(0) lgkmcnt(0)
	v_mul_f16_e32 v97, s24, v97
	s_branch .LBB281_147
.LBB281_146:
	v_mov_b32_e32 v97, 0
.LBB281_147:
	v_pk_add_f16 v98, v18, v24
	v_pk_max_f16 v96, v96, v96
	v_pk_add_f16 v99, v19, v25
	s_delay_alu instid0(VALU_DEP_2) | instskip(NEXT) | instid1(VALU_DEP_1)
	v_pk_min_f16 v96, v96, v98
	v_pk_min_f16 v96, v96, v99
	v_lshlrev_b64 v[98:99], 1, v[34:35]
	s_delay_alu instid0(VALU_DEP_2) | instskip(NEXT) | instid1(VALU_DEP_1)
	v_lshrrev_b32_e32 v100, 16, v96
	v_min3_f16 v100, v97, v96, v100
	s_delay_alu instid0(VALU_DEP_3) | instskip(NEXT) | instid1(VALU_DEP_4)
	v_add_co_u32 v96, vcc_lo, v28, v98
	v_add_co_ci_u32_e32 v97, vcc_lo, v29, v99, vcc_lo
	global_store_b16 v[96:97], v100, off
	s_or_b32 exec_lo, exec_lo, s15
	s_and_b32 s16, s2, s8
	s_delay_alu instid0(SALU_CYCLE_1)
	s_and_saveexec_b32 s15, s16
	s_cbranch_execz .LBB281_135
.LBB281_148:
	v_cmp_ne_u32_e32 vcc_lo, 1, v76
	s_cbranch_vccnz .LBB281_150
; %bb.149:
	v_lshlrev_b64 v[96:97], 1, v[36:37]
	s_delay_alu instid0(VALU_DEP_1) | instskip(NEXT) | instid1(VALU_DEP_2)
	v_add_co_u32 v96, vcc_lo, v30, v96
	v_add_co_ci_u32_e32 v97, vcc_lo, v31, v97, vcc_lo
	flat_load_u16 v96, v[96:97]
	s_waitcnt vmcnt(0) lgkmcnt(0)
	v_mul_f16_e32 v96, s24, v96
	s_branch .LBB281_151
.LBB281_150:
	v_mov_b32_e32 v96, 0
.LBB281_151:
	v_pk_add_f16 v97, v12, v24
	v_pk_max_f16 v95, v95, v95
	v_pk_add_f16 v98, v13, v25
	s_delay_alu instid0(VALU_DEP_2) | instskip(NEXT) | instid1(VALU_DEP_1)
	v_pk_min_f16 v95, v95, v97
	v_pk_min_f16 v95, v95, v98
	v_lshlrev_b64 v[97:98], 1, v[36:37]
	s_delay_alu instid0(VALU_DEP_2) | instskip(NEXT) | instid1(VALU_DEP_1)
	v_lshrrev_b32_e32 v99, 16, v95
	v_min3_f16 v99, v96, v95, v99
	s_delay_alu instid0(VALU_DEP_3) | instskip(NEXT) | instid1(VALU_DEP_4)
	v_add_co_u32 v95, vcc_lo, v28, v97
	v_add_co_ci_u32_e32 v96, vcc_lo, v29, v98, vcc_lo
	global_store_b16 v[95:96], v99, off
	s_or_b32 exec_lo, exec_lo, s15
	s_and_b32 s16, s3, s8
	s_delay_alu instid0(SALU_CYCLE_1)
	s_and_saveexec_b32 s15, s16
	s_cbranch_execz .LBB281_136
.LBB281_152:
	v_cmp_ne_u32_e32 vcc_lo, 1, v76
	s_cbranch_vccnz .LBB281_154
; %bb.153:
	v_lshlrev_b64 v[95:96], 1, v[38:39]
	s_delay_alu instid0(VALU_DEP_1) | instskip(NEXT) | instid1(VALU_DEP_2)
	v_add_co_u32 v95, vcc_lo, v30, v95
	v_add_co_ci_u32_e32 v96, vcc_lo, v31, v96, vcc_lo
	flat_load_u16 v95, v[95:96]
	s_waitcnt vmcnt(0) lgkmcnt(0)
	v_mul_f16_e32 v95, s24, v95
	s_branch .LBB281_155
.LBB281_154:
	v_mov_b32_e32 v95, 0
.LBB281_155:
	v_pk_add_f16 v96, v14, v24
	v_pk_max_f16 v94, v94, v94
	v_pk_add_f16 v97, v15, v25
	s_delay_alu instid0(VALU_DEP_2) | instskip(NEXT) | instid1(VALU_DEP_1)
	v_pk_min_f16 v94, v94, v96
	v_pk_min_f16 v94, v94, v97
	v_lshlrev_b64 v[96:97], 1, v[38:39]
	s_delay_alu instid0(VALU_DEP_2) | instskip(NEXT) | instid1(VALU_DEP_1)
	v_lshrrev_b32_e32 v98, 16, v94
	v_min3_f16 v98, v95, v94, v98
	s_delay_alu instid0(VALU_DEP_3) | instskip(NEXT) | instid1(VALU_DEP_4)
	v_add_co_u32 v94, vcc_lo, v28, v96
	v_add_co_ci_u32_e32 v95, vcc_lo, v29, v97, vcc_lo
	global_store_b16 v[94:95], v98, off
	s_or_b32 exec_lo, exec_lo, s15
	s_and_b32 s16, s4, s8
	s_delay_alu instid0(SALU_CYCLE_1)
	s_and_saveexec_b32 s15, s16
	s_cbranch_execz .LBB281_137
.LBB281_156:
	v_cmp_ne_u32_e32 vcc_lo, 1, v76
	s_cbranch_vccnz .LBB281_158
; %bb.157:
	v_lshlrev_b64 v[94:95], 1, v[40:41]
	s_delay_alu instid0(VALU_DEP_1) | instskip(NEXT) | instid1(VALU_DEP_2)
	v_add_co_u32 v94, vcc_lo, v30, v94
	v_add_co_ci_u32_e32 v95, vcc_lo, v31, v95, vcc_lo
	flat_load_u16 v94, v[94:95]
	s_waitcnt vmcnt(0) lgkmcnt(0)
	v_mul_f16_e32 v94, s24, v94
	s_branch .LBB281_159
.LBB281_158:
	v_mov_b32_e32 v94, 0
.LBB281_159:
	v_pk_add_f16 v95, v8, v24
	v_pk_max_f16 v93, v93, v93
	v_pk_add_f16 v96, v9, v25
	s_delay_alu instid0(VALU_DEP_2) | instskip(NEXT) | instid1(VALU_DEP_1)
	v_pk_min_f16 v93, v93, v95
	v_pk_min_f16 v93, v93, v96
	v_lshlrev_b64 v[95:96], 1, v[40:41]
	s_delay_alu instid0(VALU_DEP_2) | instskip(NEXT) | instid1(VALU_DEP_1)
	v_lshrrev_b32_e32 v97, 16, v93
	v_min3_f16 v97, v94, v93, v97
	s_delay_alu instid0(VALU_DEP_3) | instskip(NEXT) | instid1(VALU_DEP_4)
	v_add_co_u32 v93, vcc_lo, v28, v95
	v_add_co_ci_u32_e32 v94, vcc_lo, v29, v96, vcc_lo
	global_store_b16 v[93:94], v97, off
	s_or_b32 exec_lo, exec_lo, s15
	s_and_b32 s16, s5, s8
	s_delay_alu instid0(SALU_CYCLE_1)
	s_and_saveexec_b32 s15, s16
	s_cbranch_execz .LBB281_138
.LBB281_160:
	v_cmp_ne_u32_e32 vcc_lo, 1, v76
	s_cbranch_vccnz .LBB281_162
; %bb.161:
	v_lshlrev_b64 v[93:94], 1, v[42:43]
	s_delay_alu instid0(VALU_DEP_1) | instskip(NEXT) | instid1(VALU_DEP_2)
	v_add_co_u32 v93, vcc_lo, v30, v93
	v_add_co_ci_u32_e32 v94, vcc_lo, v31, v94, vcc_lo
	flat_load_u16 v93, v[93:94]
	s_waitcnt vmcnt(0) lgkmcnt(0)
	v_mul_f16_e32 v93, s24, v93
	s_branch .LBB281_163
.LBB281_162:
	v_mov_b32_e32 v93, 0
.LBB281_163:
	v_pk_add_f16 v94, v10, v24
	v_pk_max_f16 v92, v92, v92
	v_pk_add_f16 v95, v11, v25
	s_delay_alu instid0(VALU_DEP_2) | instskip(NEXT) | instid1(VALU_DEP_1)
	v_pk_min_f16 v92, v92, v94
	v_pk_min_f16 v92, v92, v95
	v_lshlrev_b64 v[94:95], 1, v[42:43]
	s_delay_alu instid0(VALU_DEP_2) | instskip(NEXT) | instid1(VALU_DEP_1)
	v_lshrrev_b32_e32 v96, 16, v92
	v_min3_f16 v96, v93, v92, v96
	s_delay_alu instid0(VALU_DEP_3) | instskip(NEXT) | instid1(VALU_DEP_4)
	v_add_co_u32 v92, vcc_lo, v28, v94
	v_add_co_ci_u32_e32 v93, vcc_lo, v29, v95, vcc_lo
	global_store_b16 v[92:93], v96, off
	s_or_b32 exec_lo, exec_lo, s15
	s_and_b32 s16, s6, s8
	s_delay_alu instid0(SALU_CYCLE_1)
	s_and_saveexec_b32 s15, s16
	s_cbranch_execz .LBB281_139
.LBB281_164:
	v_cmp_ne_u32_e32 vcc_lo, 1, v76
	s_cbranch_vccnz .LBB281_166
; %bb.165:
	v_lshlrev_b64 v[92:93], 1, v[44:45]
	s_delay_alu instid0(VALU_DEP_1) | instskip(NEXT) | instid1(VALU_DEP_2)
	v_add_co_u32 v92, vcc_lo, v30, v92
	v_add_co_ci_u32_e32 v93, vcc_lo, v31, v93, vcc_lo
	flat_load_u16 v92, v[92:93]
	s_waitcnt vmcnt(0) lgkmcnt(0)
	v_mul_f16_e32 v92, s24, v92
	s_branch .LBB281_167
.LBB281_166:
	v_mov_b32_e32 v92, 0
.LBB281_167:
	v_pk_add_f16 v93, v0, v24
	v_pk_max_f16 v91, v91, v91
	v_pk_add_f16 v94, v1, v25
	s_delay_alu instid0(VALU_DEP_2) | instskip(NEXT) | instid1(VALU_DEP_1)
	v_pk_min_f16 v91, v91, v93
	v_pk_min_f16 v91, v91, v94
	v_lshlrev_b64 v[93:94], 1, v[44:45]
	s_delay_alu instid0(VALU_DEP_2) | instskip(NEXT) | instid1(VALU_DEP_1)
	v_lshrrev_b32_e32 v95, 16, v91
	v_min3_f16 v95, v92, v91, v95
	s_delay_alu instid0(VALU_DEP_3) | instskip(NEXT) | instid1(VALU_DEP_4)
	v_add_co_u32 v91, vcc_lo, v28, v93
	v_add_co_ci_u32_e32 v92, vcc_lo, v29, v94, vcc_lo
	global_store_b16 v[91:92], v95, off
	s_or_b32 exec_lo, exec_lo, s15
	s_and_b32 s15, s7, s8
	s_delay_alu instid0(SALU_CYCLE_1)
	s_and_saveexec_b32 s8, s15
	s_cbranch_execz .LBB281_172
.LBB281_168:
	v_cmp_ne_u32_e32 vcc_lo, 1, v76
	s_cbranch_vccnz .LBB281_170
; %bb.169:
	v_lshlrev_b64 v[91:92], 1, v[46:47]
	s_delay_alu instid0(VALU_DEP_1) | instskip(NEXT) | instid1(VALU_DEP_2)
	v_add_co_u32 v30, vcc_lo, v30, v91
	v_add_co_ci_u32_e32 v31, vcc_lo, v31, v92, vcc_lo
	flat_load_u16 v30, v[30:31]
	s_waitcnt vmcnt(0) lgkmcnt(0)
	v_mul_f16_e32 v30, s24, v30
	s_branch .LBB281_171
.LBB281_170:
	v_mov_b32_e32 v30, 0
.LBB281_171:
	v_pk_add_f16 v24, v2, v24
	v_pk_max_f16 v31, v90, v90
	v_pk_add_f16 v25, v3, v25
	s_delay_alu instid0(VALU_DEP_2) | instskip(NEXT) | instid1(VALU_DEP_1)
	v_pk_min_f16 v24, v31, v24
	v_pk_min_f16 v31, v24, v25
	v_lshlrev_b64 v[24:25], 1, v[46:47]
	s_delay_alu instid0(VALU_DEP_2) | instskip(NEXT) | instid1(VALU_DEP_2)
	v_lshrrev_b32_e32 v90, 16, v31
	v_add_co_u32 v24, vcc_lo, v28, v24
	s_delay_alu instid0(VALU_DEP_3) | instskip(NEXT) | instid1(VALU_DEP_3)
	v_add_co_ci_u32_e32 v25, vcc_lo, v29, v25, vcc_lo
	v_min3_f16 v30, v30, v31, v90
	global_store_b16 v[24:25], v30, off
.LBB281_172:
	s_or_b32 exec_lo, exec_lo, s8
	v_add_nc_u32_e32 v30, 0x60, v84
	s_delay_alu instid0(VALU_DEP_1) | instskip(SKIP_2) | instid1(VALU_DEP_3)
	v_mad_i64_i32 v[24:25], null, v30, s14, 0
	v_mad_i64_i32 v[28:29], null, v30, s9, 0
	v_cmp_gt_i32_e64 s8, s17, v30
	v_lshlrev_b64 v[24:25], 1, v[24:25]
	s_delay_alu instid0(VALU_DEP_2) | instskip(NEXT) | instid1(VALU_DEP_3)
	s_and_b32 s16, s0, s8
	v_lshlrev_b64 v[30:31], 1, v[28:29]
	s_delay_alu instid0(VALU_DEP_2) | instskip(NEXT) | instid1(VALU_DEP_3)
	v_add_co_u32 v28, vcc_lo, s12, v24
	v_add_co_ci_u32_e32 v29, vcc_lo, s13, v25, vcc_lo
	s_delay_alu instid0(VALU_DEP_3) | instskip(NEXT) | instid1(VALU_DEP_4)
	v_add_co_u32 v24, vcc_lo, s10, v30
	v_add_co_ci_u32_e32 v25, vcc_lo, s11, v31, vcc_lo
	s_and_saveexec_b32 s15, s16
	s_cbranch_execnz .LBB281_180
; %bb.173:
	s_or_b32 exec_lo, exec_lo, s15
	s_and_b32 s16, s1, s8
	s_delay_alu instid0(SALU_CYCLE_1)
	s_and_saveexec_b32 s15, s16
	s_cbranch_execnz .LBB281_184
.LBB281_174:
	s_or_b32 exec_lo, exec_lo, s15
	s_and_b32 s16, s2, s8
	s_delay_alu instid0(SALU_CYCLE_1)
	s_and_saveexec_b32 s15, s16
	s_cbranch_execnz .LBB281_188
.LBB281_175:
	s_or_b32 exec_lo, exec_lo, s15
	s_and_b32 s16, s3, s8
	s_delay_alu instid0(SALU_CYCLE_1)
	s_and_saveexec_b32 s15, s16
	s_cbranch_execnz .LBB281_192
.LBB281_176:
	s_or_b32 exec_lo, exec_lo, s15
	s_and_b32 s16, s4, s8
	s_delay_alu instid0(SALU_CYCLE_1)
	s_and_saveexec_b32 s15, s16
	s_cbranch_execnz .LBB281_196
.LBB281_177:
	s_or_b32 exec_lo, exec_lo, s15
	s_and_b32 s16, s5, s8
	s_delay_alu instid0(SALU_CYCLE_1)
	s_and_saveexec_b32 s15, s16
	s_cbranch_execnz .LBB281_200
.LBB281_178:
	s_or_b32 exec_lo, exec_lo, s15
	s_and_b32 s16, s6, s8
	s_delay_alu instid0(SALU_CYCLE_1)
	s_and_saveexec_b32 s15, s16
	s_cbranch_execnz .LBB281_204
.LBB281_179:
	s_or_b32 exec_lo, exec_lo, s15
	s_and_b32 s15, s7, s8
	s_delay_alu instid0(SALU_CYCLE_1)
	s_and_saveexec_b32 s8, s15
	s_cbranch_execnz .LBB281_208
	s_branch .LBB281_212
.LBB281_180:
	v_cmp_ne_u32_e32 vcc_lo, 1, v76
	s_cbranch_vccnz .LBB281_182
; %bb.181:
	v_lshlrev_b64 v[30:31], 1, v[32:33]
	s_delay_alu instid0(VALU_DEP_1) | instskip(NEXT) | instid1(VALU_DEP_2)
	v_add_co_u32 v30, vcc_lo, v28, v30
	v_add_co_ci_u32_e32 v31, vcc_lo, v29, v31, vcc_lo
	flat_load_u16 v30, v[30:31]
	s_waitcnt vmcnt(0) lgkmcnt(0)
	v_mul_f16_e32 v30, s24, v30
	s_branch .LBB281_183
.LBB281_182:
	v_mov_b32_e32 v30, 0
.LBB281_183:
	v_pk_add_f16 v31, v16, v26
	v_pk_max_f16 v89, v89, v89
	v_pk_add_f16 v90, v17, v27
	s_delay_alu instid0(VALU_DEP_2) | instskip(NEXT) | instid1(VALU_DEP_1)
	v_pk_min_f16 v31, v89, v31
	v_pk_min_f16 v31, v31, v90
	v_lshlrev_b64 v[89:90], 1, v[32:33]
	s_delay_alu instid0(VALU_DEP_2) | instskip(NEXT) | instid1(VALU_DEP_1)
	v_lshrrev_b32_e32 v91, 16, v31
	v_min3_f16 v91, v30, v31, v91
	s_delay_alu instid0(VALU_DEP_3) | instskip(NEXT) | instid1(VALU_DEP_4)
	v_add_co_u32 v30, vcc_lo, v24, v89
	v_add_co_ci_u32_e32 v31, vcc_lo, v25, v90, vcc_lo
	global_store_b16 v[30:31], v91, off
	s_or_b32 exec_lo, exec_lo, s15
	s_and_b32 s16, s1, s8
	s_delay_alu instid0(SALU_CYCLE_1)
	s_and_saveexec_b32 s15, s16
	s_cbranch_execz .LBB281_174
.LBB281_184:
	v_cmp_ne_u32_e32 vcc_lo, 1, v76
	s_cbranch_vccnz .LBB281_186
; %bb.185:
	v_lshlrev_b64 v[30:31], 1, v[34:35]
	s_delay_alu instid0(VALU_DEP_1) | instskip(NEXT) | instid1(VALU_DEP_2)
	v_add_co_u32 v30, vcc_lo, v28, v30
	v_add_co_ci_u32_e32 v31, vcc_lo, v29, v31, vcc_lo
	flat_load_u16 v30, v[30:31]
	s_waitcnt vmcnt(0) lgkmcnt(0)
	v_mul_f16_e32 v30, s24, v30
	s_branch .LBB281_187
.LBB281_186:
	v_mov_b32_e32 v30, 0
.LBB281_187:
	v_pk_add_f16 v31, v18, v26
	v_pk_max_f16 v88, v88, v88
	v_pk_add_f16 v89, v19, v27
	s_delay_alu instid0(VALU_DEP_2) | instskip(NEXT) | instid1(VALU_DEP_1)
	v_pk_min_f16 v31, v88, v31
	v_pk_min_f16 v31, v31, v89
	v_lshlrev_b64 v[88:89], 1, v[34:35]
	s_delay_alu instid0(VALU_DEP_2) | instskip(NEXT) | instid1(VALU_DEP_1)
	v_lshrrev_b32_e32 v90, 16, v31
	v_min3_f16 v90, v30, v31, v90
	s_delay_alu instid0(VALU_DEP_3) | instskip(NEXT) | instid1(VALU_DEP_4)
	v_add_co_u32 v30, vcc_lo, v24, v88
	v_add_co_ci_u32_e32 v31, vcc_lo, v25, v89, vcc_lo
	global_store_b16 v[30:31], v90, off
	s_or_b32 exec_lo, exec_lo, s15
	s_and_b32 s16, s2, s8
	s_delay_alu instid0(SALU_CYCLE_1)
	s_and_saveexec_b32 s15, s16
	s_cbranch_execz .LBB281_175
.LBB281_188:
	v_cmp_ne_u32_e32 vcc_lo, 1, v76
	s_cbranch_vccnz .LBB281_190
; %bb.189:
	v_lshlrev_b64 v[30:31], 1, v[36:37]
	s_delay_alu instid0(VALU_DEP_1) | instskip(NEXT) | instid1(VALU_DEP_2)
	v_add_co_u32 v30, vcc_lo, v28, v30
	v_add_co_ci_u32_e32 v31, vcc_lo, v29, v31, vcc_lo
	flat_load_u16 v30, v[30:31]
	s_waitcnt vmcnt(0) lgkmcnt(0)
	v_mul_f16_e32 v30, s24, v30
	s_branch .LBB281_191
.LBB281_190:
	v_mov_b32_e32 v30, 0
.LBB281_191:
	v_pk_add_f16 v31, v12, v26
	v_pk_max_f16 v87, v87, v87
	v_pk_add_f16 v88, v13, v27
	s_delay_alu instid0(VALU_DEP_2) | instskip(NEXT) | instid1(VALU_DEP_1)
	v_pk_min_f16 v31, v87, v31
	v_pk_min_f16 v31, v31, v88
	v_lshlrev_b64 v[87:88], 1, v[36:37]
	s_delay_alu instid0(VALU_DEP_2) | instskip(NEXT) | instid1(VALU_DEP_1)
	v_lshrrev_b32_e32 v89, 16, v31
	v_min3_f16 v89, v30, v31, v89
	s_delay_alu instid0(VALU_DEP_3) | instskip(NEXT) | instid1(VALU_DEP_4)
	v_add_co_u32 v30, vcc_lo, v24, v87
	v_add_co_ci_u32_e32 v31, vcc_lo, v25, v88, vcc_lo
	global_store_b16 v[30:31], v89, off
	s_or_b32 exec_lo, exec_lo, s15
	s_and_b32 s16, s3, s8
	s_delay_alu instid0(SALU_CYCLE_1)
	s_and_saveexec_b32 s15, s16
	s_cbranch_execz .LBB281_176
.LBB281_192:
	v_cmp_ne_u32_e32 vcc_lo, 1, v76
	s_cbranch_vccnz .LBB281_194
; %bb.193:
	v_lshlrev_b64 v[30:31], 1, v[38:39]
	s_delay_alu instid0(VALU_DEP_1) | instskip(NEXT) | instid1(VALU_DEP_2)
	v_add_co_u32 v30, vcc_lo, v28, v30
	v_add_co_ci_u32_e32 v31, vcc_lo, v29, v31, vcc_lo
	flat_load_u16 v30, v[30:31]
	s_waitcnt vmcnt(0) lgkmcnt(0)
	v_mul_f16_e32 v30, s24, v30
	s_branch .LBB281_195
.LBB281_194:
	v_mov_b32_e32 v30, 0
.LBB281_195:
	v_pk_add_f16 v31, v14, v26
	v_pk_max_f16 v86, v86, v86
	v_pk_add_f16 v87, v15, v27
	s_delay_alu instid0(VALU_DEP_2) | instskip(NEXT) | instid1(VALU_DEP_1)
	v_pk_min_f16 v31, v86, v31
	v_pk_min_f16 v31, v31, v87
	v_lshlrev_b64 v[86:87], 1, v[38:39]
	s_delay_alu instid0(VALU_DEP_2) | instskip(NEXT) | instid1(VALU_DEP_1)
	v_lshrrev_b32_e32 v88, 16, v31
	v_min3_f16 v88, v30, v31, v88
	s_delay_alu instid0(VALU_DEP_3) | instskip(NEXT) | instid1(VALU_DEP_4)
	v_add_co_u32 v30, vcc_lo, v24, v86
	v_add_co_ci_u32_e32 v31, vcc_lo, v25, v87, vcc_lo
	global_store_b16 v[30:31], v88, off
	s_or_b32 exec_lo, exec_lo, s15
	s_and_b32 s16, s4, s8
	s_delay_alu instid0(SALU_CYCLE_1)
	s_and_saveexec_b32 s15, s16
	s_cbranch_execz .LBB281_177
.LBB281_196:
	v_cmp_ne_u32_e32 vcc_lo, 1, v76
	s_cbranch_vccnz .LBB281_198
; %bb.197:
	v_lshlrev_b64 v[30:31], 1, v[40:41]
	s_delay_alu instid0(VALU_DEP_1) | instskip(NEXT) | instid1(VALU_DEP_2)
	v_add_co_u32 v30, vcc_lo, v28, v30
	v_add_co_ci_u32_e32 v31, vcc_lo, v29, v31, vcc_lo
	flat_load_u16 v30, v[30:31]
	s_waitcnt vmcnt(0) lgkmcnt(0)
	v_mul_f16_e32 v30, s24, v30
	s_branch .LBB281_199
.LBB281_198:
	v_mov_b32_e32 v30, 0
.LBB281_199:
	v_pk_add_f16 v31, v8, v26
	v_pk_max_f16 v85, v85, v85
	v_pk_add_f16 v86, v9, v27
	s_delay_alu instid0(VALU_DEP_2) | instskip(NEXT) | instid1(VALU_DEP_1)
	v_pk_min_f16 v31, v85, v31
	v_pk_min_f16 v31, v31, v86
	v_lshlrev_b64 v[85:86], 1, v[40:41]
	s_delay_alu instid0(VALU_DEP_2) | instskip(NEXT) | instid1(VALU_DEP_1)
	v_lshrrev_b32_e32 v87, 16, v31
	v_min3_f16 v87, v30, v31, v87
	s_delay_alu instid0(VALU_DEP_3) | instskip(NEXT) | instid1(VALU_DEP_4)
	v_add_co_u32 v30, vcc_lo, v24, v85
	v_add_co_ci_u32_e32 v31, vcc_lo, v25, v86, vcc_lo
	global_store_b16 v[30:31], v87, off
	s_or_b32 exec_lo, exec_lo, s15
	s_and_b32 s16, s5, s8
	s_delay_alu instid0(SALU_CYCLE_1)
	s_and_saveexec_b32 s15, s16
	s_cbranch_execz .LBB281_178
.LBB281_200:
	v_cmp_ne_u32_e32 vcc_lo, 1, v76
	s_cbranch_vccnz .LBB281_202
; %bb.201:
	v_lshlrev_b64 v[30:31], 1, v[42:43]
	s_delay_alu instid0(VALU_DEP_1) | instskip(NEXT) | instid1(VALU_DEP_2)
	v_add_co_u32 v30, vcc_lo, v28, v30
	v_add_co_ci_u32_e32 v31, vcc_lo, v29, v31, vcc_lo
	flat_load_u16 v30, v[30:31]
	s_waitcnt vmcnt(0) lgkmcnt(0)
	v_mul_f16_e32 v30, s24, v30
	s_branch .LBB281_203
.LBB281_202:
	v_mov_b32_e32 v30, 0
.LBB281_203:
	v_pk_add_f16 v31, v10, v26
	v_pk_max_f16 v83, v83, v83
	v_pk_add_f16 v85, v11, v27
	s_delay_alu instid0(VALU_DEP_2) | instskip(NEXT) | instid1(VALU_DEP_1)
	v_pk_min_f16 v31, v83, v31
	v_pk_min_f16 v31, v31, v85
	v_lshlrev_b64 v[85:86], 1, v[42:43]
	s_delay_alu instid0(VALU_DEP_2) | instskip(NEXT) | instid1(VALU_DEP_1)
	v_lshrrev_b32_e32 v83, 16, v31
	v_min3_f16 v83, v30, v31, v83
	s_delay_alu instid0(VALU_DEP_3) | instskip(NEXT) | instid1(VALU_DEP_4)
	v_add_co_u32 v30, vcc_lo, v24, v85
	v_add_co_ci_u32_e32 v31, vcc_lo, v25, v86, vcc_lo
	global_store_b16 v[30:31], v83, off
	s_or_b32 exec_lo, exec_lo, s15
	s_and_b32 s16, s6, s8
	s_delay_alu instid0(SALU_CYCLE_1)
	s_and_saveexec_b32 s15, s16
	s_cbranch_execz .LBB281_179
.LBB281_204:
	v_cmp_ne_u32_e32 vcc_lo, 1, v76
	s_cbranch_vccnz .LBB281_206
; %bb.205:
	v_lshlrev_b64 v[30:31], 1, v[44:45]
	s_delay_alu instid0(VALU_DEP_1) | instskip(NEXT) | instid1(VALU_DEP_2)
	v_add_co_u32 v30, vcc_lo, v28, v30
	v_add_co_ci_u32_e32 v31, vcc_lo, v29, v31, vcc_lo
	flat_load_u16 v30, v[30:31]
	s_waitcnt vmcnt(0) lgkmcnt(0)
	v_mul_f16_e32 v30, s24, v30
	s_branch .LBB281_207
.LBB281_206:
	v_mov_b32_e32 v30, 0
.LBB281_207:
	v_pk_add_f16 v31, v0, v26
	v_pk_max_f16 v82, v82, v82
	v_pk_add_f16 v83, v1, v27
	s_delay_alu instid0(VALU_DEP_2) | instskip(NEXT) | instid1(VALU_DEP_1)
	v_pk_min_f16 v31, v82, v31
	v_pk_min_f16 v31, v31, v83
	v_lshlrev_b64 v[82:83], 1, v[44:45]
	s_delay_alu instid0(VALU_DEP_2) | instskip(NEXT) | instid1(VALU_DEP_1)
	v_lshrrev_b32_e32 v85, 16, v31
	v_min3_f16 v85, v30, v31, v85
	s_delay_alu instid0(VALU_DEP_3) | instskip(NEXT) | instid1(VALU_DEP_4)
	v_add_co_u32 v30, vcc_lo, v24, v82
	v_add_co_ci_u32_e32 v31, vcc_lo, v25, v83, vcc_lo
	global_store_b16 v[30:31], v85, off
	s_or_b32 exec_lo, exec_lo, s15
	s_and_b32 s15, s7, s8
	s_delay_alu instid0(SALU_CYCLE_1)
	s_and_saveexec_b32 s8, s15
	s_cbranch_execz .LBB281_212
.LBB281_208:
	v_cmp_ne_u32_e32 vcc_lo, 1, v76
	s_cbranch_vccnz .LBB281_210
; %bb.209:
	v_lshlrev_b64 v[30:31], 1, v[46:47]
	s_delay_alu instid0(VALU_DEP_1) | instskip(NEXT) | instid1(VALU_DEP_2)
	v_add_co_u32 v28, vcc_lo, v28, v30
	v_add_co_ci_u32_e32 v29, vcc_lo, v29, v31, vcc_lo
	flat_load_u16 v28, v[28:29]
	s_waitcnt vmcnt(0) lgkmcnt(0)
	v_mul_f16_e32 v28, s24, v28
	s_branch .LBB281_211
.LBB281_210:
	v_mov_b32_e32 v28, 0
.LBB281_211:
	v_pk_add_f16 v26, v2, v26
	v_pk_max_f16 v29, v81, v81
	v_pk_add_f16 v27, v3, v27
	s_delay_alu instid0(VALU_DEP_2) | instskip(NEXT) | instid1(VALU_DEP_1)
	v_pk_min_f16 v26, v29, v26
	v_pk_min_f16 v29, v26, v27
	v_lshlrev_b64 v[26:27], 1, v[46:47]
	s_delay_alu instid0(VALU_DEP_2) | instskip(NEXT) | instid1(VALU_DEP_2)
	v_lshrrev_b32_e32 v30, 16, v29
	v_add_co_u32 v24, vcc_lo, v24, v26
	s_delay_alu instid0(VALU_DEP_3) | instskip(NEXT) | instid1(VALU_DEP_3)
	v_add_co_ci_u32_e32 v25, vcc_lo, v25, v27, vcc_lo
	v_min3_f16 v28, v28, v29, v30
	global_store_b16 v[24:25], v28, off
.LBB281_212:
	s_or_b32 exec_lo, exec_lo, s8
	v_add_nc_u32_e32 v28, 0x80, v84
	s_delay_alu instid0(VALU_DEP_1) | instskip(SKIP_2) | instid1(VALU_DEP_3)
	v_mad_i64_i32 v[24:25], null, v28, s14, 0
	v_mad_i64_i32 v[26:27], null, v28, s9, 0
	v_cmp_gt_i32_e64 s8, s17, v28
	v_lshlrev_b64 v[24:25], 1, v[24:25]
	s_delay_alu instid0(VALU_DEP_2) | instskip(NEXT) | instid1(VALU_DEP_3)
	s_and_b32 s16, s0, s8
	v_lshlrev_b64 v[28:29], 1, v[26:27]
	s_delay_alu instid0(VALU_DEP_2) | instskip(NEXT) | instid1(VALU_DEP_3)
	v_add_co_u32 v26, vcc_lo, s12, v24
	v_add_co_ci_u32_e32 v27, vcc_lo, s13, v25, vcc_lo
	s_delay_alu instid0(VALU_DEP_3) | instskip(NEXT) | instid1(VALU_DEP_4)
	v_add_co_u32 v24, vcc_lo, s10, v28
	v_add_co_ci_u32_e32 v25, vcc_lo, s11, v29, vcc_lo
	s_and_saveexec_b32 s15, s16
	s_cbranch_execnz .LBB281_220
; %bb.213:
	s_or_b32 exec_lo, exec_lo, s15
	s_and_b32 s16, s1, s8
	s_delay_alu instid0(SALU_CYCLE_1)
	s_and_saveexec_b32 s15, s16
	s_cbranch_execnz .LBB281_224
.LBB281_214:
	s_or_b32 exec_lo, exec_lo, s15
	s_and_b32 s16, s2, s8
	s_delay_alu instid0(SALU_CYCLE_1)
	s_and_saveexec_b32 s15, s16
	s_cbranch_execnz .LBB281_228
.LBB281_215:
	s_or_b32 exec_lo, exec_lo, s15
	s_and_b32 s16, s3, s8
	s_delay_alu instid0(SALU_CYCLE_1)
	s_and_saveexec_b32 s15, s16
	s_cbranch_execnz .LBB281_232
.LBB281_216:
	s_or_b32 exec_lo, exec_lo, s15
	s_and_b32 s16, s4, s8
	s_delay_alu instid0(SALU_CYCLE_1)
	s_and_saveexec_b32 s15, s16
	s_cbranch_execnz .LBB281_236
.LBB281_217:
	s_or_b32 exec_lo, exec_lo, s15
	s_and_b32 s16, s5, s8
	s_delay_alu instid0(SALU_CYCLE_1)
	s_and_saveexec_b32 s15, s16
	s_cbranch_execnz .LBB281_240
.LBB281_218:
	s_or_b32 exec_lo, exec_lo, s15
	s_and_b32 s16, s6, s8
	s_delay_alu instid0(SALU_CYCLE_1)
	s_and_saveexec_b32 s15, s16
	s_cbranch_execnz .LBB281_244
.LBB281_219:
	s_or_b32 exec_lo, exec_lo, s15
	s_and_b32 s15, s7, s8
	s_delay_alu instid0(SALU_CYCLE_1)
	s_and_saveexec_b32 s8, s15
	s_cbranch_execnz .LBB281_248
	s_branch .LBB281_252
.LBB281_220:
	v_cmp_ne_u32_e32 vcc_lo, 1, v76
	s_cbranch_vccnz .LBB281_222
; %bb.221:
	v_lshlrev_b64 v[28:29], 1, v[32:33]
	s_delay_alu instid0(VALU_DEP_1) | instskip(NEXT) | instid1(VALU_DEP_2)
	v_add_co_u32 v28, vcc_lo, v26, v28
	v_add_co_ci_u32_e32 v29, vcc_lo, v27, v29, vcc_lo
	flat_load_u16 v28, v[28:29]
	s_waitcnt vmcnt(0) lgkmcnt(0)
	v_mul_f16_e32 v28, s24, v28
	s_branch .LBB281_223
.LBB281_222:
	v_mov_b32_e32 v28, 0
.LBB281_223:
	v_pk_add_f16 v29, v16, v20
	v_pk_max_f16 v30, v80, v80
	v_pk_add_f16 v31, v17, v21
	s_delay_alu instid0(VALU_DEP_2) | instskip(NEXT) | instid1(VALU_DEP_1)
	v_pk_min_f16 v29, v30, v29
	v_pk_min_f16 v31, v29, v31
	v_lshlrev_b64 v[29:30], 1, v[32:33]
	s_delay_alu instid0(VALU_DEP_2) | instskip(NEXT) | instid1(VALU_DEP_1)
	v_lshrrev_b32_e32 v80, 16, v31
	v_min3_f16 v31, v28, v31, v80
	s_delay_alu instid0(VALU_DEP_3) | instskip(NEXT) | instid1(VALU_DEP_4)
	v_add_co_u32 v28, vcc_lo, v24, v29
	v_add_co_ci_u32_e32 v29, vcc_lo, v25, v30, vcc_lo
	global_store_b16 v[28:29], v31, off
	s_or_b32 exec_lo, exec_lo, s15
	s_and_b32 s16, s1, s8
	s_delay_alu instid0(SALU_CYCLE_1)
	s_and_saveexec_b32 s15, s16
	s_cbranch_execz .LBB281_214
.LBB281_224:
	v_cmp_ne_u32_e32 vcc_lo, 1, v76
	s_cbranch_vccnz .LBB281_226
; %bb.225:
	v_lshlrev_b64 v[28:29], 1, v[34:35]
	s_delay_alu instid0(VALU_DEP_1) | instskip(NEXT) | instid1(VALU_DEP_2)
	v_add_co_u32 v28, vcc_lo, v26, v28
	v_add_co_ci_u32_e32 v29, vcc_lo, v27, v29, vcc_lo
	flat_load_u16 v28, v[28:29]
	s_waitcnt vmcnt(0) lgkmcnt(0)
	v_mul_f16_e32 v28, s24, v28
	s_branch .LBB281_227
.LBB281_226:
	v_mov_b32_e32 v28, 0
.LBB281_227:
	v_pk_add_f16 v29, v18, v20
	v_pk_max_f16 v30, v79, v79
	v_pk_add_f16 v31, v19, v21
	s_delay_alu instid0(VALU_DEP_2) | instskip(NEXT) | instid1(VALU_DEP_1)
	v_pk_min_f16 v29, v30, v29
	v_pk_min_f16 v31, v29, v31
	v_lshlrev_b64 v[29:30], 1, v[34:35]
	s_delay_alu instid0(VALU_DEP_2) | instskip(NEXT) | instid1(VALU_DEP_1)
	v_lshrrev_b32_e32 v79, 16, v31
	v_min3_f16 v31, v28, v31, v79
	s_delay_alu instid0(VALU_DEP_3) | instskip(NEXT) | instid1(VALU_DEP_4)
	v_add_co_u32 v28, vcc_lo, v24, v29
	v_add_co_ci_u32_e32 v29, vcc_lo, v25, v30, vcc_lo
	global_store_b16 v[28:29], v31, off
	s_or_b32 exec_lo, exec_lo, s15
	s_and_b32 s16, s2, s8
	s_delay_alu instid0(SALU_CYCLE_1)
	s_and_saveexec_b32 s15, s16
	s_cbranch_execz .LBB281_215
.LBB281_228:
	v_cmp_ne_u32_e32 vcc_lo, 1, v76
	s_cbranch_vccnz .LBB281_230
; %bb.229:
	v_lshlrev_b64 v[28:29], 1, v[36:37]
	s_delay_alu instid0(VALU_DEP_1) | instskip(NEXT) | instid1(VALU_DEP_2)
	v_add_co_u32 v28, vcc_lo, v26, v28
	v_add_co_ci_u32_e32 v29, vcc_lo, v27, v29, vcc_lo
	flat_load_u16 v28, v[28:29]
	s_waitcnt vmcnt(0) lgkmcnt(0)
	v_mul_f16_e32 v28, s24, v28
	s_branch .LBB281_231
.LBB281_230:
	v_mov_b32_e32 v28, 0
.LBB281_231:
	v_pk_add_f16 v29, v12, v20
	v_pk_max_f16 v30, v78, v78
	v_pk_add_f16 v31, v13, v21
	s_delay_alu instid0(VALU_DEP_2) | instskip(NEXT) | instid1(VALU_DEP_1)
	v_pk_min_f16 v29, v30, v29
	v_pk_min_f16 v31, v29, v31
	v_lshlrev_b64 v[29:30], 1, v[36:37]
	s_delay_alu instid0(VALU_DEP_2) | instskip(NEXT) | instid1(VALU_DEP_1)
	v_lshrrev_b32_e32 v78, 16, v31
	v_min3_f16 v31, v28, v31, v78
	s_delay_alu instid0(VALU_DEP_3) | instskip(NEXT) | instid1(VALU_DEP_4)
	v_add_co_u32 v28, vcc_lo, v24, v29
	v_add_co_ci_u32_e32 v29, vcc_lo, v25, v30, vcc_lo
	global_store_b16 v[28:29], v31, off
	s_or_b32 exec_lo, exec_lo, s15
	s_and_b32 s16, s3, s8
	s_delay_alu instid0(SALU_CYCLE_1)
	s_and_saveexec_b32 s15, s16
	s_cbranch_execz .LBB281_216
.LBB281_232:
	v_cmp_ne_u32_e32 vcc_lo, 1, v76
	s_cbranch_vccnz .LBB281_234
; %bb.233:
	v_lshlrev_b64 v[28:29], 1, v[38:39]
	s_delay_alu instid0(VALU_DEP_1) | instskip(NEXT) | instid1(VALU_DEP_2)
	v_add_co_u32 v28, vcc_lo, v26, v28
	v_add_co_ci_u32_e32 v29, vcc_lo, v27, v29, vcc_lo
	flat_load_u16 v28, v[28:29]
	s_waitcnt vmcnt(0) lgkmcnt(0)
	v_mul_f16_e32 v28, s24, v28
	s_branch .LBB281_235
.LBB281_234:
	v_mov_b32_e32 v28, 0
.LBB281_235:
	v_pk_add_f16 v29, v14, v20
	v_pk_max_f16 v30, v77, v77
	v_pk_add_f16 v31, v15, v21
	s_delay_alu instid0(VALU_DEP_2) | instskip(NEXT) | instid1(VALU_DEP_1)
	v_pk_min_f16 v29, v30, v29
	v_pk_min_f16 v31, v29, v31
	v_lshlrev_b64 v[29:30], 1, v[38:39]
	s_delay_alu instid0(VALU_DEP_2) | instskip(NEXT) | instid1(VALU_DEP_1)
	v_lshrrev_b32_e32 v77, 16, v31
	v_min3_f16 v31, v28, v31, v77
	s_delay_alu instid0(VALU_DEP_3) | instskip(NEXT) | instid1(VALU_DEP_4)
	v_add_co_u32 v28, vcc_lo, v24, v29
	v_add_co_ci_u32_e32 v29, vcc_lo, v25, v30, vcc_lo
	global_store_b16 v[28:29], v31, off
	s_or_b32 exec_lo, exec_lo, s15
	s_and_b32 s16, s4, s8
	s_delay_alu instid0(SALU_CYCLE_1)
	s_and_saveexec_b32 s15, s16
	s_cbranch_execz .LBB281_217
.LBB281_236:
	v_cmp_ne_u32_e32 vcc_lo, 1, v76
	s_cbranch_vccnz .LBB281_238
; %bb.237:
	v_lshlrev_b64 v[28:29], 1, v[40:41]
	s_delay_alu instid0(VALU_DEP_1) | instskip(NEXT) | instid1(VALU_DEP_2)
	v_add_co_u32 v28, vcc_lo, v26, v28
	v_add_co_ci_u32_e32 v29, vcc_lo, v27, v29, vcc_lo
	flat_load_u16 v28, v[28:29]
	s_waitcnt vmcnt(0) lgkmcnt(0)
	v_mul_f16_e32 v28, s24, v28
	s_branch .LBB281_239
.LBB281_238:
	v_mov_b32_e32 v28, 0
.LBB281_239:
	v_pk_add_f16 v29, v8, v20
	v_pk_max_f16 v30, v75, v75
	v_pk_add_f16 v31, v9, v21
	s_delay_alu instid0(VALU_DEP_2) | instskip(NEXT) | instid1(VALU_DEP_1)
	v_pk_min_f16 v29, v30, v29
	v_pk_min_f16 v31, v29, v31
	v_lshlrev_b64 v[29:30], 1, v[40:41]
	s_delay_alu instid0(VALU_DEP_2) | instskip(NEXT) | instid1(VALU_DEP_1)
	v_lshrrev_b32_e32 v75, 16, v31
	v_min3_f16 v31, v28, v31, v75
	s_delay_alu instid0(VALU_DEP_3) | instskip(NEXT) | instid1(VALU_DEP_4)
	v_add_co_u32 v28, vcc_lo, v24, v29
	v_add_co_ci_u32_e32 v29, vcc_lo, v25, v30, vcc_lo
	global_store_b16 v[28:29], v31, off
	s_or_b32 exec_lo, exec_lo, s15
	s_and_b32 s16, s5, s8
	s_delay_alu instid0(SALU_CYCLE_1)
	s_and_saveexec_b32 s15, s16
	s_cbranch_execz .LBB281_218
.LBB281_240:
	v_cmp_ne_u32_e32 vcc_lo, 1, v76
	s_cbranch_vccnz .LBB281_242
; %bb.241:
	v_lshlrev_b64 v[28:29], 1, v[42:43]
	s_delay_alu instid0(VALU_DEP_1) | instskip(NEXT) | instid1(VALU_DEP_2)
	v_add_co_u32 v28, vcc_lo, v26, v28
	v_add_co_ci_u32_e32 v29, vcc_lo, v27, v29, vcc_lo
	flat_load_u16 v28, v[28:29]
	s_waitcnt vmcnt(0) lgkmcnt(0)
	v_mul_f16_e32 v28, s24, v28
	s_branch .LBB281_243
.LBB281_242:
	v_mov_b32_e32 v28, 0
.LBB281_243:
	v_pk_add_f16 v29, v10, v20
	v_pk_max_f16 v30, v74, v74
	v_pk_add_f16 v31, v11, v21
	s_delay_alu instid0(VALU_DEP_2) | instskip(NEXT) | instid1(VALU_DEP_1)
	v_pk_min_f16 v29, v30, v29
	v_pk_min_f16 v31, v29, v31
	v_lshlrev_b64 v[29:30], 1, v[42:43]
	s_delay_alu instid0(VALU_DEP_2) | instskip(NEXT) | instid1(VALU_DEP_1)
	v_lshrrev_b32_e32 v74, 16, v31
	v_min3_f16 v31, v28, v31, v74
	s_delay_alu instid0(VALU_DEP_3) | instskip(NEXT) | instid1(VALU_DEP_4)
	v_add_co_u32 v28, vcc_lo, v24, v29
	v_add_co_ci_u32_e32 v29, vcc_lo, v25, v30, vcc_lo
	global_store_b16 v[28:29], v31, off
	s_or_b32 exec_lo, exec_lo, s15
	s_and_b32 s16, s6, s8
	s_delay_alu instid0(SALU_CYCLE_1)
	s_and_saveexec_b32 s15, s16
	s_cbranch_execz .LBB281_219
.LBB281_244:
	v_cmp_ne_u32_e32 vcc_lo, 1, v76
	s_cbranch_vccnz .LBB281_246
; %bb.245:
	v_lshlrev_b64 v[28:29], 1, v[44:45]
	s_delay_alu instid0(VALU_DEP_1) | instskip(NEXT) | instid1(VALU_DEP_2)
	v_add_co_u32 v28, vcc_lo, v26, v28
	v_add_co_ci_u32_e32 v29, vcc_lo, v27, v29, vcc_lo
	flat_load_u16 v28, v[28:29]
	s_waitcnt vmcnt(0) lgkmcnt(0)
	v_mul_f16_e32 v28, s24, v28
	s_branch .LBB281_247
.LBB281_246:
	v_mov_b32_e32 v28, 0
.LBB281_247:
	v_pk_add_f16 v29, v0, v20
	v_pk_max_f16 v30, v73, v73
	v_pk_add_f16 v31, v1, v21
	s_delay_alu instid0(VALU_DEP_2) | instskip(NEXT) | instid1(VALU_DEP_1)
	v_pk_min_f16 v29, v30, v29
	v_pk_min_f16 v31, v29, v31
	v_lshlrev_b64 v[29:30], 1, v[44:45]
	s_delay_alu instid0(VALU_DEP_2) | instskip(NEXT) | instid1(VALU_DEP_1)
	v_lshrrev_b32_e32 v73, 16, v31
	v_min3_f16 v31, v28, v31, v73
	s_delay_alu instid0(VALU_DEP_3) | instskip(NEXT) | instid1(VALU_DEP_4)
	v_add_co_u32 v28, vcc_lo, v24, v29
	v_add_co_ci_u32_e32 v29, vcc_lo, v25, v30, vcc_lo
	global_store_b16 v[28:29], v31, off
	s_or_b32 exec_lo, exec_lo, s15
	s_and_b32 s15, s7, s8
	s_delay_alu instid0(SALU_CYCLE_1)
	s_and_saveexec_b32 s8, s15
	s_cbranch_execz .LBB281_252
.LBB281_248:
	v_cmp_ne_u32_e32 vcc_lo, 1, v76
	s_cbranch_vccnz .LBB281_250
; %bb.249:
	v_lshlrev_b64 v[28:29], 1, v[46:47]
	s_delay_alu instid0(VALU_DEP_1) | instskip(NEXT) | instid1(VALU_DEP_2)
	v_add_co_u32 v26, vcc_lo, v26, v28
	v_add_co_ci_u32_e32 v27, vcc_lo, v27, v29, vcc_lo
	flat_load_u16 v26, v[26:27]
	s_waitcnt vmcnt(0) lgkmcnt(0)
	v_mul_f16_e32 v26, s24, v26
	s_branch .LBB281_251
.LBB281_250:
	v_mov_b32_e32 v26, 0
.LBB281_251:
	v_pk_add_f16 v20, v2, v20
	v_pk_max_f16 v27, v72, v72
	v_pk_add_f16 v21, v3, v21
	s_delay_alu instid0(VALU_DEP_2) | instskip(NEXT) | instid1(VALU_DEP_1)
	v_pk_min_f16 v20, v27, v20
	v_pk_min_f16 v27, v20, v21
	v_lshlrev_b64 v[20:21], 1, v[46:47]
	s_delay_alu instid0(VALU_DEP_2) | instskip(NEXT) | instid1(VALU_DEP_2)
	v_lshrrev_b32_e32 v28, 16, v27
	v_add_co_u32 v20, vcc_lo, v24, v20
	s_delay_alu instid0(VALU_DEP_3) | instskip(NEXT) | instid1(VALU_DEP_3)
	v_add_co_ci_u32_e32 v21, vcc_lo, v25, v21, vcc_lo
	v_min3_f16 v26, v26, v27, v28
	global_store_b16 v[20:21], v26, off
.LBB281_252:
	s_or_b32 exec_lo, exec_lo, s8
	v_add_nc_u32_e32 v26, 0xa0, v84
	s_delay_alu instid0(VALU_DEP_1) | instskip(SKIP_2) | instid1(VALU_DEP_3)
	v_mad_i64_i32 v[20:21], null, v26, s14, 0
	v_mad_i64_i32 v[24:25], null, v26, s9, 0
	v_cmp_gt_i32_e64 s8, s17, v26
	v_lshlrev_b64 v[20:21], 1, v[20:21]
	s_delay_alu instid0(VALU_DEP_2) | instskip(NEXT) | instid1(VALU_DEP_3)
	s_and_b32 s16, s0, s8
	v_lshlrev_b64 v[26:27], 1, v[24:25]
	s_delay_alu instid0(VALU_DEP_2) | instskip(NEXT) | instid1(VALU_DEP_3)
	v_add_co_u32 v24, vcc_lo, s12, v20
	v_add_co_ci_u32_e32 v25, vcc_lo, s13, v21, vcc_lo
	s_delay_alu instid0(VALU_DEP_3) | instskip(NEXT) | instid1(VALU_DEP_4)
	v_add_co_u32 v20, vcc_lo, s10, v26
	v_add_co_ci_u32_e32 v21, vcc_lo, s11, v27, vcc_lo
	s_and_saveexec_b32 s15, s16
	s_cbranch_execnz .LBB281_260
; %bb.253:
	s_or_b32 exec_lo, exec_lo, s15
	s_and_b32 s16, s1, s8
	s_delay_alu instid0(SALU_CYCLE_1)
	s_and_saveexec_b32 s15, s16
	s_cbranch_execnz .LBB281_264
.LBB281_254:
	s_or_b32 exec_lo, exec_lo, s15
	s_and_b32 s16, s2, s8
	s_delay_alu instid0(SALU_CYCLE_1)
	s_and_saveexec_b32 s15, s16
	s_cbranch_execnz .LBB281_268
.LBB281_255:
	s_or_b32 exec_lo, exec_lo, s15
	s_and_b32 s16, s3, s8
	s_delay_alu instid0(SALU_CYCLE_1)
	s_and_saveexec_b32 s15, s16
	s_cbranch_execnz .LBB281_272
.LBB281_256:
	s_or_b32 exec_lo, exec_lo, s15
	s_and_b32 s16, s4, s8
	s_delay_alu instid0(SALU_CYCLE_1)
	s_and_saveexec_b32 s15, s16
	s_cbranch_execnz .LBB281_276
.LBB281_257:
	s_or_b32 exec_lo, exec_lo, s15
	s_and_b32 s16, s5, s8
	s_delay_alu instid0(SALU_CYCLE_1)
	s_and_saveexec_b32 s15, s16
	s_cbranch_execnz .LBB281_280
.LBB281_258:
	s_or_b32 exec_lo, exec_lo, s15
	s_and_b32 s16, s6, s8
	s_delay_alu instid0(SALU_CYCLE_1)
	s_and_saveexec_b32 s15, s16
	s_cbranch_execnz .LBB281_284
.LBB281_259:
	s_or_b32 exec_lo, exec_lo, s15
	s_and_b32 s15, s7, s8
	s_delay_alu instid0(SALU_CYCLE_1)
	s_and_saveexec_b32 s8, s15
	s_cbranch_execnz .LBB281_288
	s_branch .LBB281_292
.LBB281_260:
	v_cmp_ne_u32_e32 vcc_lo, 1, v76
	s_cbranch_vccnz .LBB281_262
; %bb.261:
	v_lshlrev_b64 v[26:27], 1, v[32:33]
	s_delay_alu instid0(VALU_DEP_1) | instskip(NEXT) | instid1(VALU_DEP_2)
	v_add_co_u32 v26, vcc_lo, v24, v26
	v_add_co_ci_u32_e32 v27, vcc_lo, v25, v27, vcc_lo
	flat_load_u16 v26, v[26:27]
	s_waitcnt vmcnt(0) lgkmcnt(0)
	v_mul_f16_e32 v26, s24, v26
	s_branch .LBB281_263
.LBB281_262:
	v_mov_b32_e32 v26, 0
.LBB281_263:
	v_pk_add_f16 v27, v16, v22
	v_pk_max_f16 v28, v71, v71
	v_pk_add_f16 v29, v17, v23
	s_delay_alu instid0(VALU_DEP_2) | instskip(NEXT) | instid1(VALU_DEP_1)
	v_pk_min_f16 v27, v28, v27
	v_pk_min_f16 v29, v27, v29
	v_lshlrev_b64 v[27:28], 1, v[32:33]
	s_delay_alu instid0(VALU_DEP_2) | instskip(NEXT) | instid1(VALU_DEP_1)
	v_lshrrev_b32_e32 v30, 16, v29
	v_min3_f16 v29, v26, v29, v30
	s_delay_alu instid0(VALU_DEP_3) | instskip(NEXT) | instid1(VALU_DEP_4)
	v_add_co_u32 v26, vcc_lo, v20, v27
	v_add_co_ci_u32_e32 v27, vcc_lo, v21, v28, vcc_lo
	global_store_b16 v[26:27], v29, off
	s_or_b32 exec_lo, exec_lo, s15
	s_and_b32 s16, s1, s8
	s_delay_alu instid0(SALU_CYCLE_1)
	s_and_saveexec_b32 s15, s16
	s_cbranch_execz .LBB281_254
.LBB281_264:
	v_cmp_ne_u32_e32 vcc_lo, 1, v76
	s_cbranch_vccnz .LBB281_266
; %bb.265:
	v_lshlrev_b64 v[26:27], 1, v[34:35]
	s_delay_alu instid0(VALU_DEP_1) | instskip(NEXT) | instid1(VALU_DEP_2)
	v_add_co_u32 v26, vcc_lo, v24, v26
	v_add_co_ci_u32_e32 v27, vcc_lo, v25, v27, vcc_lo
	flat_load_u16 v26, v[26:27]
	s_waitcnt vmcnt(0) lgkmcnt(0)
	v_mul_f16_e32 v26, s24, v26
	s_branch .LBB281_267
.LBB281_266:
	v_mov_b32_e32 v26, 0
.LBB281_267:
	v_pk_add_f16 v27, v18, v22
	v_pk_max_f16 v28, v70, v70
	v_pk_add_f16 v29, v19, v23
	s_delay_alu instid0(VALU_DEP_2) | instskip(NEXT) | instid1(VALU_DEP_1)
	v_pk_min_f16 v27, v28, v27
	v_pk_min_f16 v29, v27, v29
	v_lshlrev_b64 v[27:28], 1, v[34:35]
	s_delay_alu instid0(VALU_DEP_2) | instskip(NEXT) | instid1(VALU_DEP_1)
	v_lshrrev_b32_e32 v30, 16, v29
	v_min3_f16 v29, v26, v29, v30
	s_delay_alu instid0(VALU_DEP_3) | instskip(NEXT) | instid1(VALU_DEP_4)
	v_add_co_u32 v26, vcc_lo, v20, v27
	v_add_co_ci_u32_e32 v27, vcc_lo, v21, v28, vcc_lo
	global_store_b16 v[26:27], v29, off
	s_or_b32 exec_lo, exec_lo, s15
	s_and_b32 s16, s2, s8
	s_delay_alu instid0(SALU_CYCLE_1)
	s_and_saveexec_b32 s15, s16
	s_cbranch_execz .LBB281_255
.LBB281_268:
	v_cmp_ne_u32_e32 vcc_lo, 1, v76
	s_cbranch_vccnz .LBB281_270
; %bb.269:
	v_lshlrev_b64 v[26:27], 1, v[36:37]
	s_delay_alu instid0(VALU_DEP_1) | instskip(NEXT) | instid1(VALU_DEP_2)
	v_add_co_u32 v26, vcc_lo, v24, v26
	v_add_co_ci_u32_e32 v27, vcc_lo, v25, v27, vcc_lo
	flat_load_u16 v26, v[26:27]
	s_waitcnt vmcnt(0) lgkmcnt(0)
	v_mul_f16_e32 v26, s24, v26
	s_branch .LBB281_271
.LBB281_270:
	v_mov_b32_e32 v26, 0
.LBB281_271:
	v_pk_add_f16 v27, v12, v22
	v_pk_max_f16 v28, v69, v69
	v_pk_add_f16 v29, v13, v23
	s_delay_alu instid0(VALU_DEP_2) | instskip(NEXT) | instid1(VALU_DEP_1)
	v_pk_min_f16 v27, v28, v27
	v_pk_min_f16 v29, v27, v29
	v_lshlrev_b64 v[27:28], 1, v[36:37]
	s_delay_alu instid0(VALU_DEP_2) | instskip(NEXT) | instid1(VALU_DEP_1)
	v_lshrrev_b32_e32 v30, 16, v29
	v_min3_f16 v29, v26, v29, v30
	s_delay_alu instid0(VALU_DEP_3) | instskip(NEXT) | instid1(VALU_DEP_4)
	v_add_co_u32 v26, vcc_lo, v20, v27
	v_add_co_ci_u32_e32 v27, vcc_lo, v21, v28, vcc_lo
	global_store_b16 v[26:27], v29, off
	s_or_b32 exec_lo, exec_lo, s15
	s_and_b32 s16, s3, s8
	s_delay_alu instid0(SALU_CYCLE_1)
	s_and_saveexec_b32 s15, s16
	s_cbranch_execz .LBB281_256
.LBB281_272:
	v_cmp_ne_u32_e32 vcc_lo, 1, v76
	s_cbranch_vccnz .LBB281_274
; %bb.273:
	v_lshlrev_b64 v[26:27], 1, v[38:39]
	s_delay_alu instid0(VALU_DEP_1) | instskip(NEXT) | instid1(VALU_DEP_2)
	v_add_co_u32 v26, vcc_lo, v24, v26
	v_add_co_ci_u32_e32 v27, vcc_lo, v25, v27, vcc_lo
	flat_load_u16 v26, v[26:27]
	s_waitcnt vmcnt(0) lgkmcnt(0)
	v_mul_f16_e32 v26, s24, v26
	s_branch .LBB281_275
.LBB281_274:
	v_mov_b32_e32 v26, 0
.LBB281_275:
	v_pk_add_f16 v27, v14, v22
	v_pk_max_f16 v28, v68, v68
	v_pk_add_f16 v29, v15, v23
	s_delay_alu instid0(VALU_DEP_2) | instskip(NEXT) | instid1(VALU_DEP_1)
	v_pk_min_f16 v27, v28, v27
	v_pk_min_f16 v29, v27, v29
	v_lshlrev_b64 v[27:28], 1, v[38:39]
	s_delay_alu instid0(VALU_DEP_2) | instskip(NEXT) | instid1(VALU_DEP_1)
	v_lshrrev_b32_e32 v30, 16, v29
	v_min3_f16 v29, v26, v29, v30
	s_delay_alu instid0(VALU_DEP_3) | instskip(NEXT) | instid1(VALU_DEP_4)
	v_add_co_u32 v26, vcc_lo, v20, v27
	v_add_co_ci_u32_e32 v27, vcc_lo, v21, v28, vcc_lo
	global_store_b16 v[26:27], v29, off
	s_or_b32 exec_lo, exec_lo, s15
	s_and_b32 s16, s4, s8
	s_delay_alu instid0(SALU_CYCLE_1)
	s_and_saveexec_b32 s15, s16
	s_cbranch_execz .LBB281_257
.LBB281_276:
	v_cmp_ne_u32_e32 vcc_lo, 1, v76
	s_cbranch_vccnz .LBB281_278
; %bb.277:
	v_lshlrev_b64 v[26:27], 1, v[40:41]
	s_delay_alu instid0(VALU_DEP_1) | instskip(NEXT) | instid1(VALU_DEP_2)
	v_add_co_u32 v26, vcc_lo, v24, v26
	v_add_co_ci_u32_e32 v27, vcc_lo, v25, v27, vcc_lo
	flat_load_u16 v26, v[26:27]
	s_waitcnt vmcnt(0) lgkmcnt(0)
	v_mul_f16_e32 v26, s24, v26
	s_branch .LBB281_279
.LBB281_278:
	v_mov_b32_e32 v26, 0
.LBB281_279:
	v_pk_add_f16 v27, v8, v22
	v_pk_max_f16 v28, v67, v67
	v_pk_add_f16 v29, v9, v23
	s_delay_alu instid0(VALU_DEP_2) | instskip(NEXT) | instid1(VALU_DEP_1)
	v_pk_min_f16 v27, v28, v27
	v_pk_min_f16 v29, v27, v29
	v_lshlrev_b64 v[27:28], 1, v[40:41]
	s_delay_alu instid0(VALU_DEP_2) | instskip(NEXT) | instid1(VALU_DEP_1)
	v_lshrrev_b32_e32 v30, 16, v29
	v_min3_f16 v29, v26, v29, v30
	s_delay_alu instid0(VALU_DEP_3) | instskip(NEXT) | instid1(VALU_DEP_4)
	v_add_co_u32 v26, vcc_lo, v20, v27
	v_add_co_ci_u32_e32 v27, vcc_lo, v21, v28, vcc_lo
	global_store_b16 v[26:27], v29, off
	s_or_b32 exec_lo, exec_lo, s15
	s_and_b32 s16, s5, s8
	s_delay_alu instid0(SALU_CYCLE_1)
	s_and_saveexec_b32 s15, s16
	s_cbranch_execz .LBB281_258
.LBB281_280:
	v_cmp_ne_u32_e32 vcc_lo, 1, v76
	s_cbranch_vccnz .LBB281_282
; %bb.281:
	v_lshlrev_b64 v[26:27], 1, v[42:43]
	s_delay_alu instid0(VALU_DEP_1) | instskip(NEXT) | instid1(VALU_DEP_2)
	v_add_co_u32 v26, vcc_lo, v24, v26
	v_add_co_ci_u32_e32 v27, vcc_lo, v25, v27, vcc_lo
	flat_load_u16 v26, v[26:27]
	s_waitcnt vmcnt(0) lgkmcnt(0)
	v_mul_f16_e32 v26, s24, v26
	s_branch .LBB281_283
.LBB281_282:
	v_mov_b32_e32 v26, 0
.LBB281_283:
	v_pk_add_f16 v27, v10, v22
	v_pk_max_f16 v28, v66, v66
	v_pk_add_f16 v29, v11, v23
	s_delay_alu instid0(VALU_DEP_2) | instskip(NEXT) | instid1(VALU_DEP_1)
	v_pk_min_f16 v27, v28, v27
	v_pk_min_f16 v29, v27, v29
	v_lshlrev_b64 v[27:28], 1, v[42:43]
	s_delay_alu instid0(VALU_DEP_2) | instskip(NEXT) | instid1(VALU_DEP_1)
	v_lshrrev_b32_e32 v30, 16, v29
	v_min3_f16 v29, v26, v29, v30
	s_delay_alu instid0(VALU_DEP_3) | instskip(NEXT) | instid1(VALU_DEP_4)
	v_add_co_u32 v26, vcc_lo, v20, v27
	v_add_co_ci_u32_e32 v27, vcc_lo, v21, v28, vcc_lo
	global_store_b16 v[26:27], v29, off
	s_or_b32 exec_lo, exec_lo, s15
	s_and_b32 s16, s6, s8
	s_delay_alu instid0(SALU_CYCLE_1)
	s_and_saveexec_b32 s15, s16
	s_cbranch_execz .LBB281_259
.LBB281_284:
	v_cmp_ne_u32_e32 vcc_lo, 1, v76
	s_cbranch_vccnz .LBB281_286
; %bb.285:
	v_lshlrev_b64 v[26:27], 1, v[44:45]
	s_delay_alu instid0(VALU_DEP_1) | instskip(NEXT) | instid1(VALU_DEP_2)
	v_add_co_u32 v26, vcc_lo, v24, v26
	v_add_co_ci_u32_e32 v27, vcc_lo, v25, v27, vcc_lo
	flat_load_u16 v26, v[26:27]
	s_waitcnt vmcnt(0) lgkmcnt(0)
	v_mul_f16_e32 v26, s24, v26
	s_branch .LBB281_287
.LBB281_286:
	v_mov_b32_e32 v26, 0
.LBB281_287:
	v_pk_add_f16 v27, v0, v22
	v_pk_max_f16 v28, v65, v65
	v_pk_add_f16 v29, v1, v23
	s_delay_alu instid0(VALU_DEP_2) | instskip(NEXT) | instid1(VALU_DEP_1)
	v_pk_min_f16 v27, v28, v27
	v_pk_min_f16 v29, v27, v29
	v_lshlrev_b64 v[27:28], 1, v[44:45]
	s_delay_alu instid0(VALU_DEP_2) | instskip(NEXT) | instid1(VALU_DEP_1)
	v_lshrrev_b32_e32 v30, 16, v29
	v_min3_f16 v29, v26, v29, v30
	s_delay_alu instid0(VALU_DEP_3) | instskip(NEXT) | instid1(VALU_DEP_4)
	v_add_co_u32 v26, vcc_lo, v20, v27
	v_add_co_ci_u32_e32 v27, vcc_lo, v21, v28, vcc_lo
	global_store_b16 v[26:27], v29, off
	s_or_b32 exec_lo, exec_lo, s15
	s_and_b32 s15, s7, s8
	s_delay_alu instid0(SALU_CYCLE_1)
	s_and_saveexec_b32 s8, s15
	s_cbranch_execz .LBB281_292
.LBB281_288:
	v_cmp_ne_u32_e32 vcc_lo, 1, v76
	s_cbranch_vccnz .LBB281_290
; %bb.289:
	v_lshlrev_b64 v[26:27], 1, v[46:47]
	s_delay_alu instid0(VALU_DEP_1) | instskip(NEXT) | instid1(VALU_DEP_2)
	v_add_co_u32 v24, vcc_lo, v24, v26
	v_add_co_ci_u32_e32 v25, vcc_lo, v25, v27, vcc_lo
	flat_load_u16 v24, v[24:25]
	s_waitcnt vmcnt(0) lgkmcnt(0)
	v_mul_f16_e32 v24, s24, v24
	s_branch .LBB281_291
.LBB281_290:
	v_mov_b32_e32 v24, 0
.LBB281_291:
	v_pk_add_f16 v22, v2, v22
	v_pk_max_f16 v25, v64, v64
	v_pk_add_f16 v23, v3, v23
	s_delay_alu instid0(VALU_DEP_2) | instskip(NEXT) | instid1(VALU_DEP_1)
	v_pk_min_f16 v22, v25, v22
	v_pk_min_f16 v25, v22, v23
	v_lshlrev_b64 v[22:23], 1, v[46:47]
	s_delay_alu instid0(VALU_DEP_2) | instskip(NEXT) | instid1(VALU_DEP_2)
	v_lshrrev_b32_e32 v26, 16, v25
	v_add_co_u32 v20, vcc_lo, v20, v22
	s_delay_alu instid0(VALU_DEP_3) | instskip(NEXT) | instid1(VALU_DEP_3)
	v_add_co_ci_u32_e32 v21, vcc_lo, v21, v23, vcc_lo
	v_min3_f16 v24, v24, v25, v26
	global_store_b16 v[20:21], v24, off
.LBB281_292:
	s_or_b32 exec_lo, exec_lo, s8
	v_add_nc_u32_e32 v24, 0xc0, v84
	s_delay_alu instid0(VALU_DEP_1) | instskip(SKIP_2) | instid1(VALU_DEP_3)
	v_mad_i64_i32 v[20:21], null, v24, s14, 0
	v_mad_i64_i32 v[22:23], null, v24, s9, 0
	v_cmp_gt_i32_e64 s8, s17, v24
	v_lshlrev_b64 v[20:21], 1, v[20:21]
	s_delay_alu instid0(VALU_DEP_2) | instskip(NEXT) | instid1(VALU_DEP_3)
	s_and_b32 s16, s0, s8
	v_lshlrev_b64 v[24:25], 1, v[22:23]
	s_delay_alu instid0(VALU_DEP_2) | instskip(NEXT) | instid1(VALU_DEP_3)
	v_add_co_u32 v22, vcc_lo, s12, v20
	v_add_co_ci_u32_e32 v23, vcc_lo, s13, v21, vcc_lo
	s_delay_alu instid0(VALU_DEP_3) | instskip(NEXT) | instid1(VALU_DEP_4)
	v_add_co_u32 v20, vcc_lo, s10, v24
	v_add_co_ci_u32_e32 v21, vcc_lo, s11, v25, vcc_lo
	s_and_saveexec_b32 s15, s16
	s_cbranch_execnz .LBB281_300
; %bb.293:
	s_or_b32 exec_lo, exec_lo, s15
	s_and_b32 s16, s1, s8
	s_delay_alu instid0(SALU_CYCLE_1)
	s_and_saveexec_b32 s15, s16
	s_cbranch_execnz .LBB281_304
.LBB281_294:
	s_or_b32 exec_lo, exec_lo, s15
	s_and_b32 s16, s2, s8
	s_delay_alu instid0(SALU_CYCLE_1)
	s_and_saveexec_b32 s15, s16
	s_cbranch_execnz .LBB281_308
.LBB281_295:
	s_or_b32 exec_lo, exec_lo, s15
	s_and_b32 s16, s3, s8
	s_delay_alu instid0(SALU_CYCLE_1)
	s_and_saveexec_b32 s15, s16
	s_cbranch_execnz .LBB281_312
.LBB281_296:
	s_or_b32 exec_lo, exec_lo, s15
	s_and_b32 s16, s4, s8
	s_delay_alu instid0(SALU_CYCLE_1)
	s_and_saveexec_b32 s15, s16
	s_cbranch_execnz .LBB281_316
.LBB281_297:
	s_or_b32 exec_lo, exec_lo, s15
	s_and_b32 s16, s5, s8
	s_delay_alu instid0(SALU_CYCLE_1)
	s_and_saveexec_b32 s15, s16
	s_cbranch_execnz .LBB281_320
.LBB281_298:
	s_or_b32 exec_lo, exec_lo, s15
	s_and_b32 s16, s6, s8
	s_delay_alu instid0(SALU_CYCLE_1)
	s_and_saveexec_b32 s15, s16
	s_cbranch_execnz .LBB281_324
.LBB281_299:
	s_or_b32 exec_lo, exec_lo, s15
	s_and_b32 s15, s7, s8
	s_delay_alu instid0(SALU_CYCLE_1)
	s_and_saveexec_b32 s8, s15
	s_cbranch_execnz .LBB281_328
	s_branch .LBB281_332
.LBB281_300:
	v_cmp_ne_u32_e32 vcc_lo, 1, v76
	s_cbranch_vccnz .LBB281_302
; %bb.301:
	v_lshlrev_b64 v[24:25], 1, v[32:33]
	s_delay_alu instid0(VALU_DEP_1) | instskip(NEXT) | instid1(VALU_DEP_2)
	v_add_co_u32 v24, vcc_lo, v22, v24
	v_add_co_ci_u32_e32 v25, vcc_lo, v23, v25, vcc_lo
	flat_load_u16 v24, v[24:25]
	s_waitcnt vmcnt(0) lgkmcnt(0)
	v_mul_f16_e32 v24, s24, v24
	s_branch .LBB281_303
.LBB281_302:
	v_mov_b32_e32 v24, 0
.LBB281_303:
	v_pk_add_f16 v25, v16, v4
	v_pk_max_f16 v26, v63, v63
	v_pk_add_f16 v27, v17, v5
	s_delay_alu instid0(VALU_DEP_2) | instskip(NEXT) | instid1(VALU_DEP_1)
	v_pk_min_f16 v25, v26, v25
	v_pk_min_f16 v27, v25, v27
	v_lshlrev_b64 v[25:26], 1, v[32:33]
	s_delay_alu instid0(VALU_DEP_2) | instskip(NEXT) | instid1(VALU_DEP_1)
	v_lshrrev_b32_e32 v28, 16, v27
	v_min3_f16 v27, v24, v27, v28
	s_delay_alu instid0(VALU_DEP_3) | instskip(NEXT) | instid1(VALU_DEP_4)
	v_add_co_u32 v24, vcc_lo, v20, v25
	v_add_co_ci_u32_e32 v25, vcc_lo, v21, v26, vcc_lo
	global_store_b16 v[24:25], v27, off
	s_or_b32 exec_lo, exec_lo, s15
	s_and_b32 s16, s1, s8
	s_delay_alu instid0(SALU_CYCLE_1)
	s_and_saveexec_b32 s15, s16
	s_cbranch_execz .LBB281_294
.LBB281_304:
	v_cmp_ne_u32_e32 vcc_lo, 1, v76
	s_cbranch_vccnz .LBB281_306
; %bb.305:
	v_lshlrev_b64 v[24:25], 1, v[34:35]
	s_delay_alu instid0(VALU_DEP_1) | instskip(NEXT) | instid1(VALU_DEP_2)
	v_add_co_u32 v24, vcc_lo, v22, v24
	v_add_co_ci_u32_e32 v25, vcc_lo, v23, v25, vcc_lo
	flat_load_u16 v24, v[24:25]
	s_waitcnt vmcnt(0) lgkmcnt(0)
	v_mul_f16_e32 v24, s24, v24
	s_branch .LBB281_307
.LBB281_306:
	v_mov_b32_e32 v24, 0
.LBB281_307:
	v_pk_add_f16 v25, v18, v4
	v_pk_max_f16 v26, v62, v62
	v_pk_add_f16 v27, v19, v5
	s_delay_alu instid0(VALU_DEP_2) | instskip(NEXT) | instid1(VALU_DEP_1)
	v_pk_min_f16 v25, v26, v25
	v_pk_min_f16 v27, v25, v27
	v_lshlrev_b64 v[25:26], 1, v[34:35]
	s_delay_alu instid0(VALU_DEP_2) | instskip(NEXT) | instid1(VALU_DEP_1)
	v_lshrrev_b32_e32 v28, 16, v27
	v_min3_f16 v27, v24, v27, v28
	s_delay_alu instid0(VALU_DEP_3) | instskip(NEXT) | instid1(VALU_DEP_4)
	v_add_co_u32 v24, vcc_lo, v20, v25
	v_add_co_ci_u32_e32 v25, vcc_lo, v21, v26, vcc_lo
	global_store_b16 v[24:25], v27, off
	s_or_b32 exec_lo, exec_lo, s15
	s_and_b32 s16, s2, s8
	s_delay_alu instid0(SALU_CYCLE_1)
	s_and_saveexec_b32 s15, s16
	s_cbranch_execz .LBB281_295
.LBB281_308:
	v_cmp_ne_u32_e32 vcc_lo, 1, v76
	s_cbranch_vccnz .LBB281_310
; %bb.309:
	v_lshlrev_b64 v[24:25], 1, v[36:37]
	s_delay_alu instid0(VALU_DEP_1) | instskip(NEXT) | instid1(VALU_DEP_2)
	v_add_co_u32 v24, vcc_lo, v22, v24
	v_add_co_ci_u32_e32 v25, vcc_lo, v23, v25, vcc_lo
	flat_load_u16 v24, v[24:25]
	s_waitcnt vmcnt(0) lgkmcnt(0)
	v_mul_f16_e32 v24, s24, v24
	s_branch .LBB281_311
.LBB281_310:
	v_mov_b32_e32 v24, 0
.LBB281_311:
	v_pk_add_f16 v25, v12, v4
	v_pk_max_f16 v26, v61, v61
	v_pk_add_f16 v27, v13, v5
	s_delay_alu instid0(VALU_DEP_2) | instskip(NEXT) | instid1(VALU_DEP_1)
	v_pk_min_f16 v25, v26, v25
	v_pk_min_f16 v27, v25, v27
	v_lshlrev_b64 v[25:26], 1, v[36:37]
	s_delay_alu instid0(VALU_DEP_2) | instskip(NEXT) | instid1(VALU_DEP_1)
	v_lshrrev_b32_e32 v28, 16, v27
	v_min3_f16 v27, v24, v27, v28
	s_delay_alu instid0(VALU_DEP_3) | instskip(NEXT) | instid1(VALU_DEP_4)
	v_add_co_u32 v24, vcc_lo, v20, v25
	v_add_co_ci_u32_e32 v25, vcc_lo, v21, v26, vcc_lo
	global_store_b16 v[24:25], v27, off
	s_or_b32 exec_lo, exec_lo, s15
	s_and_b32 s16, s3, s8
	s_delay_alu instid0(SALU_CYCLE_1)
	s_and_saveexec_b32 s15, s16
	s_cbranch_execz .LBB281_296
.LBB281_312:
	v_cmp_ne_u32_e32 vcc_lo, 1, v76
	s_cbranch_vccnz .LBB281_314
; %bb.313:
	v_lshlrev_b64 v[24:25], 1, v[38:39]
	s_delay_alu instid0(VALU_DEP_1) | instskip(NEXT) | instid1(VALU_DEP_2)
	v_add_co_u32 v24, vcc_lo, v22, v24
	v_add_co_ci_u32_e32 v25, vcc_lo, v23, v25, vcc_lo
	flat_load_u16 v24, v[24:25]
	s_waitcnt vmcnt(0) lgkmcnt(0)
	v_mul_f16_e32 v24, s24, v24
	s_branch .LBB281_315
.LBB281_314:
	v_mov_b32_e32 v24, 0
.LBB281_315:
	v_pk_add_f16 v25, v14, v4
	v_pk_max_f16 v26, v60, v60
	v_pk_add_f16 v27, v15, v5
	s_delay_alu instid0(VALU_DEP_2) | instskip(NEXT) | instid1(VALU_DEP_1)
	v_pk_min_f16 v25, v26, v25
	v_pk_min_f16 v27, v25, v27
	v_lshlrev_b64 v[25:26], 1, v[38:39]
	s_delay_alu instid0(VALU_DEP_2) | instskip(NEXT) | instid1(VALU_DEP_1)
	v_lshrrev_b32_e32 v28, 16, v27
	v_min3_f16 v27, v24, v27, v28
	s_delay_alu instid0(VALU_DEP_3) | instskip(NEXT) | instid1(VALU_DEP_4)
	v_add_co_u32 v24, vcc_lo, v20, v25
	v_add_co_ci_u32_e32 v25, vcc_lo, v21, v26, vcc_lo
	global_store_b16 v[24:25], v27, off
	s_or_b32 exec_lo, exec_lo, s15
	s_and_b32 s16, s4, s8
	s_delay_alu instid0(SALU_CYCLE_1)
	s_and_saveexec_b32 s15, s16
	s_cbranch_execz .LBB281_297
.LBB281_316:
	v_cmp_ne_u32_e32 vcc_lo, 1, v76
	s_cbranch_vccnz .LBB281_318
; %bb.317:
	v_lshlrev_b64 v[24:25], 1, v[40:41]
	s_delay_alu instid0(VALU_DEP_1) | instskip(NEXT) | instid1(VALU_DEP_2)
	v_add_co_u32 v24, vcc_lo, v22, v24
	v_add_co_ci_u32_e32 v25, vcc_lo, v23, v25, vcc_lo
	flat_load_u16 v24, v[24:25]
	s_waitcnt vmcnt(0) lgkmcnt(0)
	v_mul_f16_e32 v24, s24, v24
	s_branch .LBB281_319
.LBB281_318:
	v_mov_b32_e32 v24, 0
.LBB281_319:
	v_pk_add_f16 v25, v8, v4
	v_pk_max_f16 v26, v59, v59
	v_pk_add_f16 v27, v9, v5
	s_delay_alu instid0(VALU_DEP_2) | instskip(NEXT) | instid1(VALU_DEP_1)
	v_pk_min_f16 v25, v26, v25
	v_pk_min_f16 v27, v25, v27
	v_lshlrev_b64 v[25:26], 1, v[40:41]
	s_delay_alu instid0(VALU_DEP_2) | instskip(NEXT) | instid1(VALU_DEP_1)
	v_lshrrev_b32_e32 v28, 16, v27
	v_min3_f16 v27, v24, v27, v28
	s_delay_alu instid0(VALU_DEP_3) | instskip(NEXT) | instid1(VALU_DEP_4)
	v_add_co_u32 v24, vcc_lo, v20, v25
	v_add_co_ci_u32_e32 v25, vcc_lo, v21, v26, vcc_lo
	global_store_b16 v[24:25], v27, off
	s_or_b32 exec_lo, exec_lo, s15
	s_and_b32 s16, s5, s8
	s_delay_alu instid0(SALU_CYCLE_1)
	s_and_saveexec_b32 s15, s16
	s_cbranch_execz .LBB281_298
.LBB281_320:
	v_cmp_ne_u32_e32 vcc_lo, 1, v76
	s_cbranch_vccnz .LBB281_322
; %bb.321:
	v_lshlrev_b64 v[24:25], 1, v[42:43]
	s_delay_alu instid0(VALU_DEP_1) | instskip(NEXT) | instid1(VALU_DEP_2)
	v_add_co_u32 v24, vcc_lo, v22, v24
	v_add_co_ci_u32_e32 v25, vcc_lo, v23, v25, vcc_lo
	flat_load_u16 v24, v[24:25]
	s_waitcnt vmcnt(0) lgkmcnt(0)
	v_mul_f16_e32 v24, s24, v24
	s_branch .LBB281_323
.LBB281_322:
	v_mov_b32_e32 v24, 0
.LBB281_323:
	v_pk_add_f16 v25, v10, v4
	v_pk_max_f16 v26, v58, v58
	v_pk_add_f16 v27, v11, v5
	s_delay_alu instid0(VALU_DEP_2) | instskip(NEXT) | instid1(VALU_DEP_1)
	v_pk_min_f16 v25, v26, v25
	v_pk_min_f16 v27, v25, v27
	v_lshlrev_b64 v[25:26], 1, v[42:43]
	s_delay_alu instid0(VALU_DEP_2) | instskip(NEXT) | instid1(VALU_DEP_1)
	v_lshrrev_b32_e32 v28, 16, v27
	v_min3_f16 v27, v24, v27, v28
	s_delay_alu instid0(VALU_DEP_3) | instskip(NEXT) | instid1(VALU_DEP_4)
	v_add_co_u32 v24, vcc_lo, v20, v25
	v_add_co_ci_u32_e32 v25, vcc_lo, v21, v26, vcc_lo
	global_store_b16 v[24:25], v27, off
	s_or_b32 exec_lo, exec_lo, s15
	s_and_b32 s16, s6, s8
	s_delay_alu instid0(SALU_CYCLE_1)
	s_and_saveexec_b32 s15, s16
	s_cbranch_execz .LBB281_299
.LBB281_324:
	v_cmp_ne_u32_e32 vcc_lo, 1, v76
	s_cbranch_vccnz .LBB281_326
; %bb.325:
	v_lshlrev_b64 v[24:25], 1, v[44:45]
	s_delay_alu instid0(VALU_DEP_1) | instskip(NEXT) | instid1(VALU_DEP_2)
	v_add_co_u32 v24, vcc_lo, v22, v24
	v_add_co_ci_u32_e32 v25, vcc_lo, v23, v25, vcc_lo
	flat_load_u16 v24, v[24:25]
	s_waitcnt vmcnt(0) lgkmcnt(0)
	v_mul_f16_e32 v24, s24, v24
	s_branch .LBB281_327
.LBB281_326:
	v_mov_b32_e32 v24, 0
.LBB281_327:
	v_pk_add_f16 v25, v0, v4
	v_pk_max_f16 v26, v57, v57
	v_pk_add_f16 v27, v1, v5
	s_delay_alu instid0(VALU_DEP_2) | instskip(NEXT) | instid1(VALU_DEP_1)
	v_pk_min_f16 v25, v26, v25
	v_pk_min_f16 v27, v25, v27
	v_lshlrev_b64 v[25:26], 1, v[44:45]
	s_delay_alu instid0(VALU_DEP_2) | instskip(NEXT) | instid1(VALU_DEP_1)
	v_lshrrev_b32_e32 v28, 16, v27
	v_min3_f16 v27, v24, v27, v28
	s_delay_alu instid0(VALU_DEP_3) | instskip(NEXT) | instid1(VALU_DEP_4)
	v_add_co_u32 v24, vcc_lo, v20, v25
	v_add_co_ci_u32_e32 v25, vcc_lo, v21, v26, vcc_lo
	global_store_b16 v[24:25], v27, off
	s_or_b32 exec_lo, exec_lo, s15
	s_and_b32 s15, s7, s8
	s_delay_alu instid0(SALU_CYCLE_1)
	s_and_saveexec_b32 s8, s15
	s_cbranch_execz .LBB281_332
.LBB281_328:
	v_cmp_ne_u32_e32 vcc_lo, 1, v76
	s_cbranch_vccnz .LBB281_330
; %bb.329:
	v_lshlrev_b64 v[24:25], 1, v[46:47]
	s_delay_alu instid0(VALU_DEP_1) | instskip(NEXT) | instid1(VALU_DEP_2)
	v_add_co_u32 v22, vcc_lo, v22, v24
	v_add_co_ci_u32_e32 v23, vcc_lo, v23, v25, vcc_lo
	flat_load_u16 v22, v[22:23]
	s_waitcnt vmcnt(0) lgkmcnt(0)
	v_mul_f16_e32 v22, s24, v22
	s_branch .LBB281_331
.LBB281_330:
	v_mov_b32_e32 v22, 0
.LBB281_331:
	v_pk_add_f16 v4, v2, v4
	v_pk_max_f16 v23, v56, v56
	v_pk_add_f16 v5, v3, v5
	s_delay_alu instid0(VALU_DEP_2) | instskip(NEXT) | instid1(VALU_DEP_1)
	v_pk_min_f16 v4, v23, v4
	v_pk_min_f16 v23, v4, v5
	v_lshlrev_b64 v[4:5], 1, v[46:47]
	s_delay_alu instid0(VALU_DEP_2) | instskip(NEXT) | instid1(VALU_DEP_2)
	v_lshrrev_b32_e32 v24, 16, v23
	v_add_co_u32 v4, vcc_lo, v20, v4
	s_delay_alu instid0(VALU_DEP_3) | instskip(NEXT) | instid1(VALU_DEP_3)
	v_add_co_ci_u32_e32 v5, vcc_lo, v21, v5, vcc_lo
	v_min3_f16 v22, v22, v23, v24
	global_store_b16 v[4:5], v22, off
.LBB281_332:
	s_or_b32 exec_lo, exec_lo, s8
	v_add_nc_u32_e32 v22, 0xe0, v84
	s_delay_alu instid0(VALU_DEP_1) | instskip(SKIP_2) | instid1(VALU_DEP_3)
	v_mad_i64_i32 v[4:5], null, v22, s14, 0
	v_mad_i64_i32 v[20:21], null, v22, s9, 0
	v_cmp_gt_i32_e64 s8, s17, v22
	v_lshlrev_b64 v[4:5], 1, v[4:5]
	s_delay_alu instid0(VALU_DEP_2) | instskip(NEXT) | instid1(VALU_DEP_3)
	s_and_b32 s9, s0, s8
	v_lshlrev_b64 v[20:21], 1, v[20:21]
	s_delay_alu instid0(VALU_DEP_2) | instskip(NEXT) | instid1(VALU_DEP_3)
	v_add_co_u32 v22, vcc_lo, s12, v4
	v_add_co_ci_u32_e32 v23, vcc_lo, s13, v5, vcc_lo
	s_delay_alu instid0(VALU_DEP_3) | instskip(NEXT) | instid1(VALU_DEP_4)
	v_add_co_u32 v20, vcc_lo, s10, v20
	v_add_co_ci_u32_e32 v21, vcc_lo, s11, v21, vcc_lo
	s_and_saveexec_b32 s0, s9
	s_cbranch_execnz .LBB281_341
; %bb.333:
	s_or_b32 exec_lo, exec_lo, s0
	s_and_b32 s1, s1, s8
	s_delay_alu instid0(SALU_CYCLE_1)
	s_and_saveexec_b32 s0, s1
	s_cbranch_execnz .LBB281_345
.LBB281_334:
	s_or_b32 exec_lo, exec_lo, s0
	s_and_b32 s1, s2, s8
	s_delay_alu instid0(SALU_CYCLE_1)
	s_and_saveexec_b32 s0, s1
	s_cbranch_execnz .LBB281_349
.LBB281_335:
	s_or_b32 exec_lo, exec_lo, s0
	s_and_b32 s1, s3, s8
	s_delay_alu instid0(SALU_CYCLE_1)
	s_and_saveexec_b32 s0, s1
	s_cbranch_execnz .LBB281_353
.LBB281_336:
	s_or_b32 exec_lo, exec_lo, s0
	s_and_b32 s1, s4, s8
	s_delay_alu instid0(SALU_CYCLE_1)
	s_and_saveexec_b32 s0, s1
	s_cbranch_execnz .LBB281_357
.LBB281_337:
	s_or_b32 exec_lo, exec_lo, s0
	s_and_b32 s1, s5, s8
	s_delay_alu instid0(SALU_CYCLE_1)
	s_and_saveexec_b32 s0, s1
	s_cbranch_execnz .LBB281_361
.LBB281_338:
	s_or_b32 exec_lo, exec_lo, s0
	s_and_b32 s1, s6, s8
	s_delay_alu instid0(SALU_CYCLE_1)
	s_and_saveexec_b32 s0, s1
	s_cbranch_execnz .LBB281_365
.LBB281_339:
	s_or_b32 exec_lo, exec_lo, s0
	s_and_b32 s0, s7, s8
	s_delay_alu instid0(SALU_CYCLE_1)
	s_and_saveexec_b32 s1, s0
	s_cbranch_execnz .LBB281_369
.LBB281_340:
	s_nop 0
	s_sendmsg sendmsg(MSG_DEALLOC_VGPRS)
	s_endpgm
.LBB281_341:
	v_cmp_ne_u32_e32 vcc_lo, 1, v76
	v_lshlrev_b64 v[4:5], 1, v[32:33]
	s_cbranch_vccnz .LBB281_343
; %bb.342:
	s_delay_alu instid0(VALU_DEP_1) | instskip(NEXT) | instid1(VALU_DEP_2)
	v_add_co_u32 v24, vcc_lo, v22, v4
	v_add_co_ci_u32_e32 v25, vcc_lo, v23, v5, vcc_lo
	flat_load_u16 v24, v[24:25]
	s_waitcnt vmcnt(0) lgkmcnt(0)
	v_mul_f16_e32 v24, s24, v24
	s_branch .LBB281_344
.LBB281_343:
	v_mov_b32_e32 v24, 0
.LBB281_344:
	v_pk_add_f16 v16, v16, v6
	v_pk_max_f16 v25, v54, v54
	v_pk_add_f16 v17, v17, v7
	v_add_co_u32 v4, vcc_lo, v20, v4
	v_add_co_ci_u32_e32 v5, vcc_lo, v21, v5, vcc_lo
	s_delay_alu instid0(VALU_DEP_4) | instskip(NEXT) | instid1(VALU_DEP_1)
	v_pk_min_f16 v16, v25, v16
	v_pk_min_f16 v16, v16, v17
	s_delay_alu instid0(VALU_DEP_1) | instskip(NEXT) | instid1(VALU_DEP_1)
	v_lshrrev_b32_e32 v17, 16, v16
	v_min3_f16 v16, v24, v16, v17
	global_store_b16 v[4:5], v16, off
	s_or_b32 exec_lo, exec_lo, s0
	s_and_b32 s1, s1, s8
	s_delay_alu instid0(SALU_CYCLE_1)
	s_and_saveexec_b32 s0, s1
	s_cbranch_execz .LBB281_334
.LBB281_345:
	v_cmp_ne_u32_e32 vcc_lo, 1, v76
	v_lshlrev_b64 v[4:5], 1, v[34:35]
	s_cbranch_vccnz .LBB281_347
; %bb.346:
	s_delay_alu instid0(VALU_DEP_1) | instskip(NEXT) | instid1(VALU_DEP_2)
	v_add_co_u32 v16, vcc_lo, v22, v4
	v_add_co_ci_u32_e32 v17, vcc_lo, v23, v5, vcc_lo
	flat_load_u16 v16, v[16:17]
	s_waitcnt vmcnt(0) lgkmcnt(0)
	v_mul_f16_e32 v16, s24, v16
	s_branch .LBB281_348
.LBB281_347:
	v_mov_b32_e32 v16, 0
.LBB281_348:
	v_pk_add_f16 v17, v18, v6
	v_pk_max_f16 v18, v52, v52
	v_pk_add_f16 v19, v19, v7
	v_add_co_u32 v4, vcc_lo, v20, v4
	v_add_co_ci_u32_e32 v5, vcc_lo, v21, v5, vcc_lo
	s_delay_alu instid0(VALU_DEP_4) | instskip(NEXT) | instid1(VALU_DEP_1)
	v_pk_min_f16 v17, v18, v17
	v_pk_min_f16 v17, v17, v19
	s_delay_alu instid0(VALU_DEP_1) | instskip(NEXT) | instid1(VALU_DEP_1)
	v_lshrrev_b32_e32 v18, 16, v17
	v_min3_f16 v16, v16, v17, v18
	global_store_b16 v[4:5], v16, off
	s_or_b32 exec_lo, exec_lo, s0
	s_and_b32 s1, s2, s8
	s_delay_alu instid0(SALU_CYCLE_1)
	s_and_saveexec_b32 s0, s1
	s_cbranch_execz .LBB281_335
.LBB281_349:
	v_cmp_ne_u32_e32 vcc_lo, 1, v76
	v_lshlrev_b64 v[4:5], 1, v[36:37]
	s_cbranch_vccnz .LBB281_351
; %bb.350:
	s_delay_alu instid0(VALU_DEP_1) | instskip(NEXT) | instid1(VALU_DEP_2)
	v_add_co_u32 v16, vcc_lo, v22, v4
	v_add_co_ci_u32_e32 v17, vcc_lo, v23, v5, vcc_lo
	flat_load_u16 v16, v[16:17]
	s_waitcnt vmcnt(0) lgkmcnt(0)
	v_mul_f16_e32 v16, s24, v16
	s_branch .LBB281_352
.LBB281_351:
	v_mov_b32_e32 v16, 0
.LBB281_352:
	v_pk_add_f16 v12, v12, v6
	v_pk_max_f16 v17, v50, v50
	v_pk_add_f16 v13, v13, v7
	v_add_co_u32 v4, vcc_lo, v20, v4
	v_add_co_ci_u32_e32 v5, vcc_lo, v21, v5, vcc_lo
	s_delay_alu instid0(VALU_DEP_4) | instskip(NEXT) | instid1(VALU_DEP_1)
	v_pk_min_f16 v12, v17, v12
	v_pk_min_f16 v12, v12, v13
	s_delay_alu instid0(VALU_DEP_1) | instskip(NEXT) | instid1(VALU_DEP_1)
	v_lshrrev_b32_e32 v13, 16, v12
	v_min3_f16 v12, v16, v12, v13
	global_store_b16 v[4:5], v12, off
	s_or_b32 exec_lo, exec_lo, s0
	s_and_b32 s1, s3, s8
	s_delay_alu instid0(SALU_CYCLE_1)
	s_and_saveexec_b32 s0, s1
	s_cbranch_execz .LBB281_336
.LBB281_353:
	v_cmp_ne_u32_e32 vcc_lo, 1, v76
	v_lshlrev_b64 v[4:5], 1, v[38:39]
	s_cbranch_vccnz .LBB281_355
; %bb.354:
	s_delay_alu instid0(VALU_DEP_1) | instskip(NEXT) | instid1(VALU_DEP_2)
	v_add_co_u32 v12, vcc_lo, v22, v4
	v_add_co_ci_u32_e32 v13, vcc_lo, v23, v5, vcc_lo
	flat_load_u16 v12, v[12:13]
	s_waitcnt vmcnt(0) lgkmcnt(0)
	v_mul_f16_e32 v12, s24, v12
	s_branch .LBB281_356
.LBB281_355:
	v_mov_b32_e32 v12, 0
.LBB281_356:
	v_pk_add_f16 v13, v14, v6
	v_pk_max_f16 v14, v55, v55
	v_pk_add_f16 v15, v15, v7
	v_add_co_u32 v4, vcc_lo, v20, v4
	v_add_co_ci_u32_e32 v5, vcc_lo, v21, v5, vcc_lo
	s_delay_alu instid0(VALU_DEP_4) | instskip(NEXT) | instid1(VALU_DEP_1)
	v_pk_min_f16 v13, v14, v13
	v_pk_min_f16 v13, v13, v15
	s_delay_alu instid0(VALU_DEP_1) | instskip(NEXT) | instid1(VALU_DEP_1)
	v_lshrrev_b32_e32 v14, 16, v13
	v_min3_f16 v12, v12, v13, v14
	global_store_b16 v[4:5], v12, off
	s_or_b32 exec_lo, exec_lo, s0
	s_and_b32 s1, s4, s8
	s_delay_alu instid0(SALU_CYCLE_1)
	s_and_saveexec_b32 s0, s1
	s_cbranch_execz .LBB281_337
.LBB281_357:
	v_cmp_ne_u32_e32 vcc_lo, 1, v76
	v_lshlrev_b64 v[4:5], 1, v[40:41]
	s_cbranch_vccnz .LBB281_359
; %bb.358:
	s_delay_alu instid0(VALU_DEP_1) | instskip(NEXT) | instid1(VALU_DEP_2)
	v_add_co_u32 v12, vcc_lo, v22, v4
	v_add_co_ci_u32_e32 v13, vcc_lo, v23, v5, vcc_lo
	flat_load_u16 v12, v[12:13]
	s_waitcnt vmcnt(0) lgkmcnt(0)
	v_mul_f16_e32 v12, s24, v12
	s_branch .LBB281_360
.LBB281_359:
	v_mov_b32_e32 v12, 0
.LBB281_360:
	v_pk_add_f16 v8, v8, v6
	v_pk_max_f16 v13, v53, v53
	v_pk_add_f16 v9, v9, v7
	v_add_co_u32 v4, vcc_lo, v20, v4
	v_add_co_ci_u32_e32 v5, vcc_lo, v21, v5, vcc_lo
	s_delay_alu instid0(VALU_DEP_4) | instskip(NEXT) | instid1(VALU_DEP_1)
	v_pk_min_f16 v8, v13, v8
	v_pk_min_f16 v8, v8, v9
	s_delay_alu instid0(VALU_DEP_1) | instskip(NEXT) | instid1(VALU_DEP_1)
	v_lshrrev_b32_e32 v9, 16, v8
	v_min3_f16 v8, v12, v8, v9
	global_store_b16 v[4:5], v8, off
	s_or_b32 exec_lo, exec_lo, s0
	s_and_b32 s1, s5, s8
	s_delay_alu instid0(SALU_CYCLE_1)
	s_and_saveexec_b32 s0, s1
	s_cbranch_execz .LBB281_338
.LBB281_361:
	v_cmp_ne_u32_e32 vcc_lo, 1, v76
	v_lshlrev_b64 v[4:5], 1, v[42:43]
	s_cbranch_vccnz .LBB281_363
; %bb.362:
	s_delay_alu instid0(VALU_DEP_1) | instskip(NEXT) | instid1(VALU_DEP_2)
	v_add_co_u32 v8, vcc_lo, v22, v4
	v_add_co_ci_u32_e32 v9, vcc_lo, v23, v5, vcc_lo
	flat_load_u16 v8, v[8:9]
	s_waitcnt vmcnt(0) lgkmcnt(0)
	v_mul_f16_e32 v8, s24, v8
	s_branch .LBB281_364
.LBB281_363:
	v_mov_b32_e32 v8, 0
.LBB281_364:
	v_pk_add_f16 v9, v10, v6
	v_pk_max_f16 v10, v51, v51
	v_pk_add_f16 v11, v11, v7
	v_add_co_u32 v4, vcc_lo, v20, v4
	v_add_co_ci_u32_e32 v5, vcc_lo, v21, v5, vcc_lo
	s_delay_alu instid0(VALU_DEP_4) | instskip(NEXT) | instid1(VALU_DEP_1)
	v_pk_min_f16 v9, v10, v9
	v_pk_min_f16 v9, v9, v11
	s_delay_alu instid0(VALU_DEP_1) | instskip(NEXT) | instid1(VALU_DEP_1)
	v_lshrrev_b32_e32 v10, 16, v9
	v_min3_f16 v8, v8, v9, v10
	global_store_b16 v[4:5], v8, off
	s_or_b32 exec_lo, exec_lo, s0
	s_and_b32 s1, s6, s8
	s_delay_alu instid0(SALU_CYCLE_1)
	s_and_saveexec_b32 s0, s1
	s_cbranch_execz .LBB281_339
.LBB281_365:
	v_cmp_ne_u32_e32 vcc_lo, 1, v76
	v_lshlrev_b64 v[4:5], 1, v[44:45]
	s_cbranch_vccnz .LBB281_367
; %bb.366:
	s_delay_alu instid0(VALU_DEP_1) | instskip(NEXT) | instid1(VALU_DEP_2)
	v_add_co_u32 v8, vcc_lo, v22, v4
	v_add_co_ci_u32_e32 v9, vcc_lo, v23, v5, vcc_lo
	flat_load_u16 v8, v[8:9]
	s_waitcnt vmcnt(0) lgkmcnt(0)
	v_mul_f16_e32 v8, s24, v8
	s_branch .LBB281_368
.LBB281_367:
	v_mov_b32_e32 v8, 0
.LBB281_368:
	v_pk_add_f16 v0, v0, v6
	v_pk_max_f16 v9, v49, v49
	v_pk_add_f16 v1, v1, v7
	s_delay_alu instid0(VALU_DEP_2) | instskip(NEXT) | instid1(VALU_DEP_1)
	v_pk_min_f16 v0, v9, v0
	v_pk_min_f16 v0, v0, v1
	s_delay_alu instid0(VALU_DEP_1) | instskip(NEXT) | instid1(VALU_DEP_1)
	v_lshrrev_b32_e32 v1, 16, v0
	v_min3_f16 v8, v8, v0, v1
	v_add_co_u32 v0, vcc_lo, v20, v4
	v_add_co_ci_u32_e32 v1, vcc_lo, v21, v5, vcc_lo
	global_store_b16 v[0:1], v8, off
	s_or_b32 exec_lo, exec_lo, s0
	s_and_b32 s0, s7, s8
	s_delay_alu instid0(SALU_CYCLE_1)
	s_and_saveexec_b32 s1, s0
	s_cbranch_execz .LBB281_340
.LBB281_369:
	v_cmp_ne_u32_e32 vcc_lo, 1, v76
	v_lshlrev_b64 v[0:1], 1, v[46:47]
	s_cbranch_vccnz .LBB281_371
; %bb.370:
	s_delay_alu instid0(VALU_DEP_1) | instskip(NEXT) | instid1(VALU_DEP_2)
	v_add_co_u32 v4, vcc_lo, v22, v0
	v_add_co_ci_u32_e32 v5, vcc_lo, v23, v1, vcc_lo
	flat_load_u16 v4, v[4:5]
	s_waitcnt vmcnt(0) lgkmcnt(0)
	v_mul_f16_e32 v4, s24, v4
	s_branch .LBB281_372
.LBB281_371:
	v_mov_b32_e32 v4, 0
.LBB281_372:
	v_pk_add_f16 v2, v2, v6
	v_pk_max_f16 v5, v48, v48
	v_pk_add_f16 v3, v3, v7
	v_add_co_u32 v0, vcc_lo, v20, v0
	v_add_co_ci_u32_e32 v1, vcc_lo, v21, v1, vcc_lo
	s_delay_alu instid0(VALU_DEP_4) | instskip(NEXT) | instid1(VALU_DEP_1)
	v_pk_min_f16 v2, v5, v2
	v_pk_min_f16 v2, v2, v3
	s_delay_alu instid0(VALU_DEP_1) | instskip(NEXT) | instid1(VALU_DEP_1)
	v_lshrrev_b32_e32 v3, 16, v2
	v_min3_f16 v2, v4, v2, v3
	global_store_b16 v[0:1], v2, off
	s_nop 0
	s_sendmsg sendmsg(MSG_DEALLOC_VGPRS)
	s_endpgm
	.section	.rodata,"a",@progbits
	.p2align	6, 0x0
	.amdhsa_kernel _ZN12_GLOBAL__N_120geam_min_plus_kernelIDF16_Dv2_DF16_S1_Li8ELi32ELi64ELi256ELi4ELi4ELi64ELi64ELi4ELc84ELc84ELb0ELb1ELb1EDF16_KDF16_DF16_EEviiiT16_PT17_ilS5_ilS3_S5_ilPT18_ili26rocblas_geam_ex_operation_
		.amdhsa_group_segment_fixed_size 5120
		.amdhsa_private_segment_fixed_size 0
		.amdhsa_kernarg_size 128
		.amdhsa_user_sgpr_count 14
		.amdhsa_user_sgpr_dispatch_ptr 0
		.amdhsa_user_sgpr_queue_ptr 0
		.amdhsa_user_sgpr_kernarg_segment_ptr 1
		.amdhsa_user_sgpr_dispatch_id 0
		.amdhsa_user_sgpr_private_segment_size 0
		.amdhsa_wavefront_size32 1
		.amdhsa_uses_dynamic_stack 0
		.amdhsa_enable_private_segment 0
		.amdhsa_system_sgpr_workgroup_id_x 1
		.amdhsa_system_sgpr_workgroup_id_y 0
		.amdhsa_system_sgpr_workgroup_id_z 1
		.amdhsa_system_sgpr_workgroup_info 0
		.amdhsa_system_vgpr_workitem_id 1
		.amdhsa_next_free_vgpr 154
		.amdhsa_next_free_sgpr 31
		.amdhsa_reserve_vcc 1
		.amdhsa_float_round_mode_32 0
		.amdhsa_float_round_mode_16_64 0
		.amdhsa_float_denorm_mode_32 3
		.amdhsa_float_denorm_mode_16_64 3
		.amdhsa_dx10_clamp 1
		.amdhsa_ieee_mode 1
		.amdhsa_fp16_overflow 0
		.amdhsa_workgroup_processor_mode 1
		.amdhsa_memory_ordered 1
		.amdhsa_forward_progress 0
		.amdhsa_shared_vgpr_count 0
		.amdhsa_exception_fp_ieee_invalid_op 0
		.amdhsa_exception_fp_denorm_src 0
		.amdhsa_exception_fp_ieee_div_zero 0
		.amdhsa_exception_fp_ieee_overflow 0
		.amdhsa_exception_fp_ieee_underflow 0
		.amdhsa_exception_fp_ieee_inexact 0
		.amdhsa_exception_int_div_zero 0
	.end_amdhsa_kernel
	.section	.text._ZN12_GLOBAL__N_120geam_min_plus_kernelIDF16_Dv2_DF16_S1_Li8ELi32ELi64ELi256ELi4ELi4ELi64ELi64ELi4ELc84ELc84ELb0ELb1ELb1EDF16_KDF16_DF16_EEviiiT16_PT17_ilS5_ilS3_S5_ilPT18_ili26rocblas_geam_ex_operation_,"axG",@progbits,_ZN12_GLOBAL__N_120geam_min_plus_kernelIDF16_Dv2_DF16_S1_Li8ELi32ELi64ELi256ELi4ELi4ELi64ELi64ELi4ELc84ELc84ELb0ELb1ELb1EDF16_KDF16_DF16_EEviiiT16_PT17_ilS5_ilS3_S5_ilPT18_ili26rocblas_geam_ex_operation_,comdat
.Lfunc_end281:
	.size	_ZN12_GLOBAL__N_120geam_min_plus_kernelIDF16_Dv2_DF16_S1_Li8ELi32ELi64ELi256ELi4ELi4ELi64ELi64ELi4ELc84ELc84ELb0ELb1ELb1EDF16_KDF16_DF16_EEviiiT16_PT17_ilS5_ilS3_S5_ilPT18_ili26rocblas_geam_ex_operation_, .Lfunc_end281-_ZN12_GLOBAL__N_120geam_min_plus_kernelIDF16_Dv2_DF16_S1_Li8ELi32ELi64ELi256ELi4ELi4ELi64ELi64ELi4ELc84ELc84ELb0ELb1ELb1EDF16_KDF16_DF16_EEviiiT16_PT17_ilS5_ilS3_S5_ilPT18_ili26rocblas_geam_ex_operation_
                                        ; -- End function
	.section	.AMDGPU.csdata,"",@progbits
; Kernel info:
; codeLenInByte = 23424
; NumSgprs: 33
; NumVgprs: 154
; ScratchSize: 0
; MemoryBound: 0
; FloatMode: 240
; IeeeMode: 1
; LDSByteSize: 5120 bytes/workgroup (compile time only)
; SGPRBlocks: 4
; VGPRBlocks: 19
; NumSGPRsForWavesPerEU: 33
; NumVGPRsForWavesPerEU: 154
; Occupancy: 9
; WaveLimiterHint : 0
; COMPUTE_PGM_RSRC2:SCRATCH_EN: 0
; COMPUTE_PGM_RSRC2:USER_SGPR: 14
; COMPUTE_PGM_RSRC2:TRAP_HANDLER: 0
; COMPUTE_PGM_RSRC2:TGID_X_EN: 1
; COMPUTE_PGM_RSRC2:TGID_Y_EN: 0
; COMPUTE_PGM_RSRC2:TGID_Z_EN: 1
; COMPUTE_PGM_RSRC2:TIDIG_COMP_CNT: 1
	.section	.text._ZN12_GLOBAL__N_120geam_min_plus_kernelIDF16_Dv2_DF16_S1_Li8ELi32ELi64ELi128ELi4ELi64ELi4ELi4ELi64ELc78ELc78ELb0ELb0ELb0EPKDF16_S2_DF16_EEviiiT16_PT17_ilS6_ilS4_S6_ilPT18_ili26rocblas_geam_ex_operation_,"axG",@progbits,_ZN12_GLOBAL__N_120geam_min_plus_kernelIDF16_Dv2_DF16_S1_Li8ELi32ELi64ELi128ELi4ELi64ELi4ELi4ELi64ELc78ELc78ELb0ELb0ELb0EPKDF16_S2_DF16_EEviiiT16_PT17_ilS6_ilS4_S6_ilPT18_ili26rocblas_geam_ex_operation_,comdat
	.globl	_ZN12_GLOBAL__N_120geam_min_plus_kernelIDF16_Dv2_DF16_S1_Li8ELi32ELi64ELi128ELi4ELi64ELi4ELi4ELi64ELc78ELc78ELb0ELb0ELb0EPKDF16_S2_DF16_EEviiiT16_PT17_ilS6_ilS4_S6_ilPT18_ili26rocblas_geam_ex_operation_ ; -- Begin function _ZN12_GLOBAL__N_120geam_min_plus_kernelIDF16_Dv2_DF16_S1_Li8ELi32ELi64ELi128ELi4ELi64ELi4ELi4ELi64ELc78ELc78ELb0ELb0ELb0EPKDF16_S2_DF16_EEviiiT16_PT17_ilS6_ilS4_S6_ilPT18_ili26rocblas_geam_ex_operation_
	.p2align	8
	.type	_ZN12_GLOBAL__N_120geam_min_plus_kernelIDF16_Dv2_DF16_S1_Li8ELi32ELi64ELi128ELi4ELi64ELi4ELi4ELi64ELc78ELc78ELb0ELb0ELb0EPKDF16_S2_DF16_EEviiiT16_PT17_ilS6_ilS4_S6_ilPT18_ili26rocblas_geam_ex_operation_,@function
_ZN12_GLOBAL__N_120geam_min_plus_kernelIDF16_Dv2_DF16_S1_Li8ELi32ELi64ELi128ELi4ELi64ELi4ELi4ELi64ELc78ELc78ELb0ELb0ELb0EPKDF16_S2_DF16_EEviiiT16_PT17_ilS6_ilS4_S6_ilPT18_ili26rocblas_geam_ex_operation_: ; @_ZN12_GLOBAL__N_120geam_min_plus_kernelIDF16_Dv2_DF16_S1_Li8ELi32ELi64ELi128ELi4ELi64ELi4ELi4ELi64ELc78ELc78ELb0ELb0ELb0EPKDF16_S2_DF16_EEviiiT16_PT17_ilS6_ilS4_S6_ilPT18_ili26rocblas_geam_ex_operation_
; %bb.0:
	s_clause 0x1
	s_load_b128 s[8:11], s[0:1], 0x10
	s_load_b128 s[4:7], s[0:1], 0x28
	s_mov_b32 s12, s15
	s_mov_b32 s13, 0
	v_mov_b32_e32 v1, 0
	s_lshl_b64 s[2:3], s[12:13], 1
	s_mov_b64 s[20:21], 0
	s_waitcnt lgkmcnt(0)
	s_add_u32 s8, s8, s2
	s_addc_u32 s9, s9, s3
	global_load_u16 v46, v1, s[8:9]
	s_clause 0x1
	s_load_b128 s[16:19], s[0:1], 0x40
	s_load_b64 s[8:9], s[0:1], 0x50
	s_waitcnt lgkmcnt(0)
	s_add_u32 s22, s18, s2
	s_addc_u32 s23, s19, s3
	s_mov_b64 s[18:19], 0
	s_waitcnt vmcnt(0)
	v_cmp_eq_f16_e32 vcc_lo, 0, v46
	v_cmp_neq_f16_e64 s2, 0, v46
	s_cbranch_vccnz .LBB282_2
; %bb.1:
	s_mul_i32 s3, s12, s5
	s_mul_hi_u32 s5, s12, s4
	s_mul_i32 s4, s12, s4
	s_add_i32 s5, s5, s3
	s_delay_alu instid0(SALU_CYCLE_1) | instskip(NEXT) | instid1(SALU_CYCLE_1)
	s_lshl_b64 s[4:5], s[4:5], 1
	s_add_u32 s18, s10, s4
	s_addc_u32 s19, s11, s5
.LBB282_2:
	global_load_u16 v28, v1, s[22:23]
	v_cndmask_b32_e64 v1, 0, 1, s2
	s_and_not1_b32 vcc_lo, exec_lo, s2
	s_delay_alu instid0(VALU_DEP_1)
	v_cmp_ne_u32_e64 s3, 1, v1
	s_cbranch_vccnz .LBB282_4
; %bb.3:
	s_mul_i32 s2, s12, s17
	s_mul_hi_u32 s4, s12, s16
	s_delay_alu instid0(SALU_CYCLE_1) | instskip(SKIP_1) | instid1(SALU_CYCLE_1)
	s_add_i32 s5, s4, s2
	s_mul_i32 s4, s12, s16
	s_lshl_b64 s[4:5], s[4:5], 1
	s_delay_alu instid0(SALU_CYCLE_1)
	s_add_u32 s20, s6, s4
	s_addc_u32 s21, s7, s5
.LBB282_4:
	s_load_b128 s[4:7], s[0:1], 0x60
	s_waitcnt vmcnt(0)
	v_cmp_eq_f16_e32 vcc_lo, 0, v28
	s_and_b32 s2, exec_lo, vcc_lo
	s_delay_alu instid0(SALU_CYCLE_1)
	s_mov_b32 vcc_lo, s2
	s_cbranch_vccnz .LBB282_6
; %bb.5:
	s_waitcnt lgkmcnt(0)
	s_mul_i32 s5, s12, s5
	s_mul_hi_u32 s10, s12, s4
	s_mul_i32 s4, s12, s4
	s_add_i32 s5, s10, s5
	s_delay_alu instid0(SALU_CYCLE_1) | instskip(NEXT) | instid1(SALU_CYCLE_1)
	s_lshl_b64 s[4:5], s[4:5], 1
	s_add_u32 s8, s8, s4
	s_addc_u32 s9, s9, s5
	s_branch .LBB282_7
.LBB282_6:
	s_mov_b64 s[8:9], 0
.LBB282_7:
	s_waitcnt lgkmcnt(0)
	s_clause 0x1
	s_load_b32 s5, s[0:1], 0x0
	s_load_b32 s4, s[0:1], 0x20
	v_and_b32_e32 v47, 0x3ff, v0
	v_bfe_u32 v48, v0, 10, 10
	s_delay_alu instid0(VALU_DEP_1) | instskip(NEXT) | instid1(VALU_DEP_1)
	v_lshl_add_u32 v4, v48, 3, v47
	v_and_b32_e32 v3, 63, v4
	v_lshrrev_b32_e32 v2, 6, v4
	s_waitcnt lgkmcnt(0)
	s_add_i32 s5, s5, -1
	s_delay_alu instid0(SALU_CYCLE_1) | instskip(NEXT) | instid1(SALU_CYCLE_1)
	s_ashr_i32 s10, s5, 31
	s_lshr_b32 s10, s10, 26
	s_delay_alu instid0(SALU_CYCLE_1) | instskip(NEXT) | instid1(SALU_CYCLE_1)
	s_add_i32 s5, s5, s10
	s_ashr_i32 s5, s5, 6
	s_delay_alu instid0(SALU_CYCLE_1) | instskip(SKIP_2) | instid1(VALU_DEP_1)
	s_add_i32 s10, s5, 1
	s_not_b32 s5, s5
	v_cvt_f32_u32_e32 v1, s10
	v_rcp_iflag_f32_e32 v1, v1
	s_waitcnt_depctr 0xfff
	v_mul_f32_e32 v1, 0x4f7ffffe, v1
	s_delay_alu instid0(VALU_DEP_1) | instskip(NEXT) | instid1(VALU_DEP_1)
	v_cvt_u32_f32_e32 v1, v1
	v_readfirstlane_b32 s11, v1
	s_delay_alu instid0(VALU_DEP_1) | instskip(NEXT) | instid1(SALU_CYCLE_1)
	s_mul_i32 s5, s5, s11
	s_mul_hi_u32 s5, s11, s5
	s_delay_alu instid0(SALU_CYCLE_1) | instskip(SKIP_2) | instid1(SALU_CYCLE_1)
	s_add_i32 s11, s11, s5
	s_ashr_i32 s5, s4, 31
	s_mul_hi_u32 s11, s14, s11
	s_mul_i32 s13, s11, s10
	s_add_i32 s15, s11, 1
	s_sub_i32 s13, s14, s13
	s_delay_alu instid0(SALU_CYCLE_1)
	s_sub_i32 s16, s13, s10
	s_cmp_ge_u32 s13, s10
	s_cselect_b32 s11, s15, s11
	s_cselect_b32 s13, s16, s13
	s_add_i32 s15, s11, 1
	s_cmp_ge_u32 s13, s10
	s_cselect_b32 s11, s15, s11
	s_and_b32 vcc_lo, exec_lo, s3
	s_mul_i32 s13, s11, s10
	s_delay_alu instid0(SALU_CYCLE_1) | instskip(NEXT) | instid1(SALU_CYCLE_1)
	s_sub_i32 s10, s14, s13
	s_lshl_b32 s10, s10, 6
	s_delay_alu instid0(SALU_CYCLE_1) | instskip(NEXT) | instid1(VALU_DEP_1)
	v_or_b32_e32 v0, s10, v3
	v_ashrrev_i32_e32 v1, 31, v0
	s_cbranch_vccnz .LBB282_9
; %bb.8:
	v_mad_i64_i32 v[5:6], null, s4, v2, 0
	s_delay_alu instid0(VALU_DEP_2) | instskip(NEXT) | instid1(VALU_DEP_2)
	v_lshlrev_b64 v[7:8], 1, v[0:1]
	v_lshlrev_b64 v[5:6], 1, v[5:6]
	s_delay_alu instid0(VALU_DEP_1) | instskip(NEXT) | instid1(VALU_DEP_2)
	v_add_co_u32 v5, vcc_lo, s18, v5
	v_add_co_ci_u32_e32 v6, vcc_lo, s19, v6, vcc_lo
	s_delay_alu instid0(VALU_DEP_2) | instskip(NEXT) | instid1(VALU_DEP_2)
	v_add_co_u32 v5, vcc_lo, v5, v7
	v_add_co_ci_u32_e32 v6, vcc_lo, v6, v8, vcc_lo
	flat_load_u16 v5, v[5:6]
	s_waitcnt vmcnt(0) lgkmcnt(0)
	v_mul_f16_e32 v8, v46, v5
	s_branch .LBB282_10
.LBB282_9:
	v_mov_b32_e32 v8, 0
.LBB282_10:
	s_load_b32 s15, s[0:1], 0x38
	v_lshrrev_b32_e32 v9, 2, v4
	s_lshl_b32 s11, s11, 7
	v_and_b32_e32 v5, 3, v47
	s_and_b32 vcc_lo, exec_lo, s3
	s_delay_alu instid0(VALU_DEP_2) | instskip(NEXT) | instid1(VALU_DEP_2)
	v_add_nc_u32_e32 v4, s11, v9
	v_lshlrev_b32_e32 v52, 1, v5
	s_delay_alu instid0(VALU_DEP_2)
	v_add_nc_u32_e32 v5, 64, v4
	s_cbranch_vccnz .LBB282_14
; %bb.11:
	s_waitcnt lgkmcnt(0)
	v_mad_i64_i32 v[6:7], null, v4, s15, 0
	s_delay_alu instid0(VALU_DEP_2) | instskip(SKIP_1) | instid1(VALU_DEP_1)
	v_mad_i64_i32 v[10:11], null, v5, s15, 0
	v_add_co_u32 v12, s16, s20, v52
	v_add_co_ci_u32_e64 v13, null, s21, 0, s16
	s_delay_alu instid0(VALU_DEP_4) | instskip(NEXT) | instid1(VALU_DEP_4)
	v_lshlrev_b64 v[6:7], 1, v[6:7]
	v_lshlrev_b64 v[10:11], 1, v[10:11]
	s_delay_alu instid0(VALU_DEP_2) | instskip(NEXT) | instid1(VALU_DEP_3)
	v_add_co_u32 v6, vcc_lo, v12, v6
	v_add_co_ci_u32_e32 v7, vcc_lo, v13, v7, vcc_lo
	s_delay_alu instid0(VALU_DEP_3) | instskip(NEXT) | instid1(VALU_DEP_4)
	v_add_co_u32 v10, vcc_lo, v12, v10
	v_add_co_ci_u32_e32 v11, vcc_lo, v13, v11, vcc_lo
	s_clause 0x1
	flat_load_u16 v6, v[6:7]
	flat_load_u16 v7, v[10:11]
	s_waitcnt vmcnt(1) lgkmcnt(1)
	v_mul_f16_e32 v10, v46, v6
	s_waitcnt vmcnt(0) lgkmcnt(0)
	v_mul_f16_e32 v11, v46, v7
	s_and_b32 vcc_lo, exec_lo, s3
	s_cbranch_vccnz .LBB282_15
.LBB282_12:
	v_add_nc_u32_e32 v12, 4, v2
	v_lshlrev_b64 v[0:1], 1, v[0:1]
	s_delay_alu instid0(VALU_DEP_2) | instskip(NEXT) | instid1(VALU_DEP_1)
	v_mad_i64_i32 v[6:7], null, s4, v12, 0
	v_lshlrev_b64 v[6:7], 1, v[6:7]
	s_delay_alu instid0(VALU_DEP_1) | instskip(NEXT) | instid1(VALU_DEP_2)
	v_add_co_u32 v6, vcc_lo, s18, v6
	v_add_co_ci_u32_e32 v7, vcc_lo, s19, v7, vcc_lo
	s_delay_alu instid0(VALU_DEP_2) | instskip(NEXT) | instid1(VALU_DEP_2)
	v_add_co_u32 v0, vcc_lo, v6, v0
	v_add_co_ci_u32_e32 v1, vcc_lo, v7, v1, vcc_lo
	flat_load_u16 v0, v[0:1]
	s_waitcnt vmcnt(0) lgkmcnt(0)
	v_mul_f16_e32 v0, v46, v0
	s_and_b32 vcc_lo, exec_lo, s3
	s_cbranch_vccnz .LBB282_16
.LBB282_13:
	s_waitcnt lgkmcnt(0)
	v_mad_i64_i32 v[6:7], null, v4, s15, 0
	v_mad_i64_i32 v[12:13], null, v5, s15, 0
	v_add_co_u32 v1, s16, s20, v52
	s_delay_alu instid0(VALU_DEP_1) | instskip(NEXT) | instid1(VALU_DEP_4)
	v_add_co_ci_u32_e64 v14, null, s21, 0, s16
	v_lshlrev_b64 v[6:7], 1, v[6:7]
	s_delay_alu instid0(VALU_DEP_4) | instskip(NEXT) | instid1(VALU_DEP_2)
	v_lshlrev_b64 v[12:13], 1, v[12:13]
	v_add_co_u32 v6, vcc_lo, v1, v6
	s_delay_alu instid0(VALU_DEP_3) | instskip(NEXT) | instid1(VALU_DEP_3)
	v_add_co_ci_u32_e32 v7, vcc_lo, v14, v7, vcc_lo
	v_add_co_u32 v12, vcc_lo, v1, v12
	s_delay_alu instid0(VALU_DEP_4)
	v_add_co_ci_u32_e32 v13, vcc_lo, v14, v13, vcc_lo
	s_clause 0x1
	flat_load_u16 v1, v[6:7] offset:8
	flat_load_u16 v7, v[12:13] offset:8
	s_waitcnt vmcnt(1) lgkmcnt(1)
	v_mul_f16_e32 v6, v46, v1
	s_waitcnt vmcnt(0) lgkmcnt(0)
	v_mul_f16_e32 v7, v46, v7
	s_branch .LBB282_17
.LBB282_14:
	v_dual_mov_b32 v10, 0 :: v_dual_mov_b32 v11, 0
	s_and_b32 vcc_lo, exec_lo, s3
	s_cbranch_vccz .LBB282_12
.LBB282_15:
	v_mov_b32_e32 v0, 0
	s_and_b32 vcc_lo, exec_lo, s3
	s_cbranch_vccz .LBB282_13
.LBB282_16:
	v_dual_mov_b32 v6, 0 :: v_dual_mov_b32 v7, 0
.LBB282_17:
	v_lshlrev_b32_e32 v1, 3, v3
	v_lshlrev_b32_e32 v49, 3, v47
	v_lshl_or_b32 v60, v9, 3, v52
	v_lshlrev_b32_e32 v50, 3, v48
	s_load_b32 s16, s[0:1], 0x8
	v_lshl_add_u32 v1, v2, 1, v1
	v_add_nc_u32_e32 v29, 0x800, v49
	ds_store_b16 v60, v10
	ds_store_b16 v1, v8 offset:2048
	ds_store_b16 v60, v11 offset:512
	s_waitcnt lgkmcnt(0)
	s_barrier
	buffer_gl0_inv
	ds_load_2addr_b64 v[8:11], v50 offset1:32
	ds_load_2addr_b64 v[12:15], v29 offset0:48 offset1:56
	ds_load_2addr_b64 v[16:19], v50 offset0:64 offset1:96
	ds_load_2addr_b64 v[20:23], v29 offset1:8
	ds_load_2addr_b64 v[24:27], v29 offset0:16 offset1:24
	ds_load_2addr_b64 v[29:32], v29 offset0:32 offset1:40
	ds_store_b16 v60, v6 offset:1024
	ds_store_b16 v1, v0 offset:2560
	ds_store_b16 v60, v7 offset:1536
	s_waitcnt lgkmcnt(0)
	s_barrier
	buffer_gl0_inv
	s_cmp_lt_i32 s16, 9
	v_pk_max_f16 v10, v10, v10
	v_pk_max_f16 v8, v8, v8
	v_pk_max_f16 v16, v16, v16
	v_pk_max_f16 v20, v20, v20
	v_pk_max_f16 v22, v22, v22
	v_pk_max_f16 v24, v24, v24
	v_pk_max_f16 v26, v26, v26
	v_pk_max_f16 v29, v29, v29
	v_pk_min_f16 v37, v20, v10
	v_pk_max_f16 v14, v14, v14
	v_pk_min_f16 v43, v24, v10
	v_pk_min_f16 v44, v24, v16
	v_pk_max_f16 v18, v18, v18
	v_pk_add_f16 v40, v37, 0
	v_pk_min_f16 v37, v22, v10
	v_pk_add_f16 v53, v43, 0
	v_pk_min_f16 v43, v26, v10
	v_pk_min_f16 v33, v14, v8
	v_pk_add_f16 v54, v44, 0
	v_pk_add_f16 v42, v37, 0
	v_pk_min_f16 v37, v24, v8
	v_pk_min_f16 v44, v26, v16
	v_pk_add_f16 v61, v43, 0
	v_pk_min_f16 v43, v29, v10
	v_pk_max_f16 v31, v31, v31
	v_pk_add_f16 v51, v37, 0
	v_pk_min_f16 v37, v26, v8
	v_pk_max_f16 v12, v12, v12
	v_pk_max_f16 v9, v9, v9
	v_pk_max_f16 v15, v15, v15
	v_pk_min_f16 v34, v14, v10
	v_pk_add_f16 v55, v37, 0
	v_pk_min_f16 v37, v29, v8
	v_pk_min_f16 v35, v14, v16
	;; [unrolled: 1-line block ×5, first 2 shown]
	v_pk_add_f16 v63, v37, 0
	v_pk_min_f16 v37, v29, v16
	v_pk_min_f16 v39, v22, v8
	v_pk_add_f16 v33, v33, 0
	v_pk_min_f16 v41, v22, v16
	v_pk_min_f16 v22, v22, v18
	;; [unrolled: 1-line block ×4, first 2 shown]
	v_pk_add_f16 v62, v44, 0
	v_pk_min_f16 v29, v29, v18
	v_pk_add_f16 v68, v43, 0
	v_pk_min_f16 v43, v31, v8
	v_pk_min_f16 v44, v31, v10
	v_pk_add_f16 v69, v37, 0
	v_pk_min_f16 v37, v31, v16
	v_pk_min_f16 v31, v31, v18
	;; [unrolled: 1-line block ×6, first 2 shown]
	v_pk_max_f16 v11, v11, v11
	v_pk_min_f16 v14, v14, v18
	v_pk_min_f16 v18, v15, v9
	v_pk_add_f16 v34, v34, 0
	v_pk_add_f16 v73, v31, 0
	v_pk_max_f16 v17, v17, v17
	v_pk_min_f16 v31, v15, v11
	v_pk_max_f16 v21, v21, v21
	v_pk_add_f16 v59, v18, v33
	v_pk_max_f16 v18, v19, v19
	v_pk_add_f16 v36, v36, 0
	v_pk_add_f16 v20, v20, 0
	;; [unrolled: 1-line block ×3, first 2 shown]
	v_pk_min_f16 v19, v21, v9
	v_pk_min_f16 v31, v21, v11
	v_pk_min_f16 v33, v21, v17
	v_pk_min_f16 v21, v21, v18
	v_pk_max_f16 v23, v23, v23
	v_pk_add_f16 v35, v35, 0
	v_pk_add_f16 v39, v39, 0
	;; [unrolled: 1-line block ×5, first 2 shown]
	v_pk_min_f16 v37, v15, v17
	v_pk_add_f16 v67, v19, v36
	v_pk_add_f16 v36, v21, v20
	v_pk_min_f16 v19, v23, v9
	v_pk_min_f16 v20, v23, v11
	;; [unrolled: 1-line block ×4, first 2 shown]
	v_pk_max_f16 v25, v25, v25
	v_pk_add_f16 v24, v24, 0
	v_pk_add_f16 v70, v43, 0
	;; [unrolled: 1-line block ×7, first 2 shown]
	v_pk_min_f16 v19, v25, v9
	v_pk_min_f16 v20, v25, v11
	;; [unrolled: 1-line block ×4, first 2 shown]
	v_pk_max_f16 v23, v27, v27
	v_pk_add_f16 v38, v38, 0
	v_pk_add_f16 v26, v26, 0
	;; [unrolled: 1-line block ×6, first 2 shown]
	v_pk_min_f16 v19, v23, v9
	v_pk_min_f16 v20, v23, v11
	;; [unrolled: 1-line block ×4, first 2 shown]
	v_pk_max_f16 v23, v30, v30
	v_pk_add_f16 v29, v29, 0
	v_pk_add_f16 v71, v44, 0
	;; [unrolled: 1-line block ×7, first 2 shown]
	v_pk_min_f16 v19, v23, v9
	v_pk_min_f16 v20, v23, v11
	;; [unrolled: 1-line block ×4, first 2 shown]
	v_pk_max_f16 v23, v32, v32
	v_pk_max_f16 v13, v13, v13
	v_pk_add_f16 v8, v8, 0
	v_pk_add_f16 v10, v10, 0
	;; [unrolled: 1-line block ×10, first 2 shown]
	v_pk_min_f16 v19, v23, v9
	v_pk_min_f16 v20, v23, v11
	;; [unrolled: 1-line block ×9, first 2 shown]
	v_pk_add_f16 v62, v19, v70
	v_pk_add_f16 v53, v20, v71
	;; [unrolled: 1-line block ×9, first 2 shown]
	s_cbranch_scc1 .LBB282_31
; %bb.18:
	v_mad_i64_i32 v[6:7], null, s15, v5, 0
	v_lshl_or_b32 v5, s14, 6, v3
	s_lshl_b32 s13, s13, 6
	v_or_b32_e32 v68, 0x800, v1
	v_add_nc_u32_e32 v70, 0xa00, v1
	v_mad_i64_i32 v[0:1], null, s15, v4, 0
	v_lshlrev_b64 v[3:4], 1, v[6:7]
	v_add_nc_u32_e32 v6, 8, v2
	v_subrev_nc_u32_e32 v5, s13, v5
	v_add_nc_u32_e32 v2, 12, v2
	v_add_nc_u32_e32 v69, 0x800, v49
	;; [unrolled: 1-line block ×3, first 2 shown]
	v_mad_i64_i32 v[7:8], null, v6, s4, 0
	v_ashrrev_i32_e32 v6, 31, v5
	v_lshlrev_b64 v[0:1], 1, v[0:1]
	v_mad_i64_i32 v[9:10], null, v2, s4, 0
	v_add_co_u32 v74, vcc_lo, s20, v3
	s_delay_alu instid0(VALU_DEP_4) | instskip(SKIP_3) | instid1(VALU_DEP_4)
	v_lshlrev_b64 v[2:3], 1, v[5:6]
	v_add_co_ci_u32_e32 v75, vcc_lo, s21, v4, vcc_lo
	v_add_co_u32 v76, vcc_lo, s20, v0
	v_add_co_ci_u32_e32 v77, vcc_lo, s21, v1, vcc_lo
	v_add_co_u32 v78, vcc_lo, s18, v2
	v_lshlrev_b64 v[24:25], 1, v[7:8]
	v_lshlrev_b64 v[26:27], 1, v[9:10]
	v_lshl_add_u32 v72, v47, 3, 0xa00
	v_lshl_add_u32 v73, v48, 3, 0x400
	v_add_co_ci_u32_e32 v79, vcc_lo, s19, v3, vcc_lo
	s_add_i32 s13, s16, -8
	s_lshl_b64 s[4:5], s[4:5], 4
	s_mov_b32 s14, 0
	s_branch .LBB282_21
.LBB282_19:                             ;   in Loop: Header=BB282_21 Depth=1
	v_add_co_u32 v0, vcc_lo, v76, v52
	v_add_co_ci_u32_e32 v1, vcc_lo, 0, v77, vcc_lo
	v_add_co_u32 v123, vcc_lo, v74, v52
	v_add_co_ci_u32_e32 v124, vcc_lo, 0, v75, vcc_lo
	flat_load_u16 v0, v[0:1] offset:24
	flat_load_u16 v1, v[123:124] offset:24
	s_waitcnt vmcnt(1) lgkmcnt(1)
	v_mul_f16_e32 v0, v46, v0
	s_waitcnt vmcnt(0) lgkmcnt(0)
	v_mul_f16_e32 v1, v46, v1
.LBB282_20:                             ;   in Loop: Header=BB282_21 Depth=1
	v_pk_add_f16 v16, v16, v37
	v_pk_add_f16 v22, v22, v36
	;; [unrolled: 1-line block ×30, first 2 shown]
	ds_load_2addr_b64 v[29:32], v69 offset0:48 offset1:56
	ds_load_2addr_b64 v[33:36], v50 offset1:32
	ds_load_2addr_b64 v[37:40], v50 offset0:64 offset1:96
	v_pk_add_f16 v84, v120, v43
	v_pk_add_f16 v85, v122, v42
	;; [unrolled: 1-line block ×4, first 2 shown]
	ds_load_2addr_b64 v[41:44], v69 offset1:8
	v_pk_add_f16 v8, v8, v66
	v_pk_add_f16 v53, v95, v53
	;; [unrolled: 1-line block ×12, first 2 shown]
	s_waitcnt lgkmcnt(3)
	v_pk_max_f16 v31, v31, v31
	s_waitcnt lgkmcnt(2)
	v_pk_max_f16 v33, v33, v33
	v_pk_max_f16 v35, v35, v35
	s_waitcnt lgkmcnt(1)
	v_pk_max_f16 v37, v37, v37
	v_pk_add_f16 v15, v15, v53
	v_pk_add_f16 v53, v7, v64
	;; [unrolled: 1-line block ×3, first 2 shown]
	v_pk_min_f16 v6, v31, v33
	v_pk_min_f16 v7, v31, v35
	;; [unrolled: 1-line block ×3, first 2 shown]
	ds_load_2addr_b64 v[2:5], v69 offset0:16 offset1:24
	s_waitcnt lgkmcnt(1)
	v_pk_max_f16 v9, v41, v41
	v_pk_max_f16 v39, v39, v39
	v_pk_add_f16 v14, v112, v14
	v_pk_add_f16 v18, v113, v18
	;; [unrolled: 1-line block ×7, first 2 shown]
	v_pk_min_f16 v6, v9, v33
	v_pk_min_f16 v7, v9, v35
	;; [unrolled: 1-line block ×4, first 2 shown]
	v_pk_add_f16 v61, v98, v61
	v_pk_add_f16 v14, v6, v14
	;; [unrolled: 1-line block ×5, first 2 shown]
	ds_load_2addr_b64 v[6:9], v69 offset0:32 offset1:40
	v_pk_max_f16 v43, v43, v43
	v_pk_add_f16 v17, v17, v59
	v_pk_add_f16 v19, v19, v62
	;; [unrolled: 1-line block ×3, first 2 shown]
	s_waitcnt lgkmcnt(1)
	v_pk_max_f16 v2, v2, v2
	v_pk_min_f16 v59, v43, v33
	v_pk_min_f16 v61, v43, v35
	;; [unrolled: 1-line block ×4, first 2 shown]
	v_pk_max_f16 v4, v4, v4
	v_pk_add_f16 v51, v99, v51
	v_pk_add_f16 v45, v103, v45
	;; [unrolled: 1-line block ×4, first 2 shown]
	v_pk_min_f16 v43, v2, v33
	v_pk_add_f16 v10, v121, v10
	v_pk_add_f16 v56, v106, v56
	;; [unrolled: 1-line block ×5, first 2 shown]
	v_pk_min_f16 v43, v4, v35
	s_waitcnt lgkmcnt(0)
	v_pk_max_f16 v6, v6, v6
	v_pk_add_f16 v63, v59, v67
	v_pk_min_f16 v59, v2, v35
	v_pk_min_f16 v65, v2, v37
	;; [unrolled: 1-line block ×3, first 2 shown]
	v_pk_add_f16 v83, v43, v45
	v_pk_min_f16 v43, v6, v33
	v_pk_add_f16 v55, v105, v55
	v_pk_add_f16 v62, v62, v82
	;; [unrolled: 1-line block ×5, first 2 shown]
	v_pk_min_f16 v11, v4, v33
	v_pk_min_f16 v59, v4, v37
	;; [unrolled: 1-line block ×4, first 2 shown]
	v_pk_max_f16 v8, v8, v8
	v_pk_add_f16 v85, v43, v56
	v_pk_min_f16 v43, v6, v37
	v_pk_max_f16 v29, v29, v29
	v_pk_add_f16 v11, v11, v86
	v_pk_add_f16 v84, v59, v87
	;; [unrolled: 1-line block ×4, first 2 shown]
	v_pk_min_f16 v45, v8, v33
	v_pk_min_f16 v55, v8, v35
	v_pk_add_f16 v87, v43, v54
	v_pk_min_f16 v43, v8, v37
	v_pk_min_f16 v8, v8, v39
	;; [unrolled: 1-line block ×5, first 2 shown]
	v_pk_max_f16 v32, v32, v32
	v_pk_max_f16 v88, v36, v36
	v_pk_add_f16 v8, v8, v19
	v_pk_add_f16 v19, v33, v21
	;; [unrolled: 1-line block ×4, first 2 shown]
	v_pk_max_f16 v51, v34, v34
	v_pk_min_f16 v31, v31, v39
	v_pk_max_f16 v38, v38, v38
	v_pk_min_f16 v34, v32, v88
	v_pk_add_f16 v13, v45, v13
	v_pk_min_f16 v33, v32, v51
	v_pk_add_f16 v89, v31, v58
	v_pk_min_f16 v31, v32, v38
	v_pk_max_f16 v35, v42, v42
	v_pk_add_f16 v45, v34, v12
	v_pk_max_f16 v12, v40, v40
	v_pk_add_f16 v59, v33, v41
	v_pk_add_f16 v37, v31, v16
	v_pk_min_f16 v16, v35, v51
	v_pk_min_f16 v31, v35, v88
	;; [unrolled: 1-line block ×4, first 2 shown]
	v_pk_max_f16 v35, v44, v44
	v_pk_min_f16 v6, v6, v39
	v_pk_add_f16 v67, v16, v14
	v_pk_add_f16 v58, v31, v18
	v_pk_max_f16 v3, v3, v3
	v_pk_min_f16 v14, v35, v51
	v_pk_min_f16 v16, v35, v88
	;; [unrolled: 1-line block ×3, first 2 shown]
	v_pk_add_f16 v6, v6, v57
	v_pk_add_f16 v17, v43, v17
	;; [unrolled: 1-line block ×5, first 2 shown]
	v_pk_min_f16 v14, v3, v51
	v_pk_min_f16 v16, v3, v88
	;; [unrolled: 1-line block ×4, first 2 shown]
	v_pk_max_f16 v5, v5, v5
	v_pk_add_f16 v44, v33, v20
	v_pk_add_f16 v36, v34, v22
	v_pk_min_f16 v20, v35, v12
	v_pk_add_f16 v56, v16, v10
	v_pk_add_f16 v34, v3, v2
	v_pk_min_f16 v2, v5, v51
	v_pk_min_f16 v3, v5, v88
	;; [unrolled: 1-line block ×4, first 2 shown]
	v_pk_max_f16 v7, v7, v7
	v_pk_add_f16 v15, v55, v15
	v_pk_add_f16 v35, v20, v64
	;; [unrolled: 1-line block ×5, first 2 shown]
	v_pk_min_f16 v2, v7, v51
	v_pk_min_f16 v3, v7, v88
	;; [unrolled: 1-line block ×4, first 2 shown]
	v_pk_max_f16 v7, v9, v9
	v_pk_min_f16 v29, v29, v39
	v_pk_add_f16 v63, v2, v85
	v_pk_add_f16 v54, v3, v86
	;; [unrolled: 1-line block ×4, first 2 shown]
	v_pk_min_f16 v2, v7, v51
	v_pk_min_f16 v3, v7, v88
	v_pk_min_f16 v4, v7, v38
	v_pk_min_f16 v5, v7, v12
	v_pk_max_f16 v6, v30, v30
	v_add_co_u32 v74, vcc_lo, v74, 16
	v_add_co_ci_u32_e32 v75, vcc_lo, 0, v75, vcc_lo
	v_pk_add_f16 v29, v29, v53
	v_pk_add_f16 v62, v2, v13
	;; [unrolled: 1-line block ×5, first 2 shown]
	v_pk_min_f16 v2, v6, v51
	v_pk_min_f16 v3, v6, v88
	;; [unrolled: 1-line block ×5, first 2 shown]
	v_add_co_u32 v76, vcc_lo, v76, 16
	v_add_co_ci_u32_e32 v77, vcc_lo, 0, v77, vcc_lo
	v_add_co_u32 v78, vcc_lo, v78, s4
	v_pk_add_f16 v65, v14, v81
	v_pk_add_f16 v42, v18, v82
	;; [unrolled: 1-line block ×8, first 2 shown]
	v_add_co_ci_u32_e32 v79, vcc_lo, s5, v79, vcc_lo
	s_add_i32 s14, s14, 8
	ds_store_b16 v70, v80
	ds_store_b16 v71, v0
	ds_store_b16 v71, v1 offset:512
	s_cmp_ge_i32 s14, s13
	s_waitcnt lgkmcnt(0)
	s_barrier
	buffer_gl0_inv
	s_cbranch_scc1 .LBB282_31
.LBB282_21:                             ; =>This Inner Loop Header: Depth=1
	v_mov_b32_e32 v80, 0
	s_and_b32 vcc_lo, exec_lo, s3
	s_cbranch_vccnz .LBB282_23
; %bb.22:                               ;   in Loop: Header=BB282_21 Depth=1
	v_add_co_u32 v0, vcc_lo, v78, v24
	v_add_co_ci_u32_e32 v1, vcc_lo, v79, v25, vcc_lo
	flat_load_u16 v0, v[0:1]
	s_waitcnt vmcnt(0) lgkmcnt(0)
	v_mul_f16_e32 v80, v46, v0
.LBB282_23:                             ;   in Loop: Header=BB282_21 Depth=1
	s_and_b32 vcc_lo, exec_lo, s3
	s_cbranch_vccnz .LBB282_25
; %bb.24:                               ;   in Loop: Header=BB282_21 Depth=1
	v_add_co_u32 v0, vcc_lo, v76, v52
	v_add_co_ci_u32_e32 v1, vcc_lo, 0, v77, vcc_lo
	v_add_co_u32 v2, vcc_lo, v74, v52
	v_add_co_ci_u32_e32 v3, vcc_lo, 0, v75, vcc_lo
	flat_load_u16 v0, v[0:1] offset:16
	flat_load_u16 v1, v[2:3] offset:16
	s_waitcnt vmcnt(1) lgkmcnt(1)
	v_mul_f16_e32 v81, v46, v0
	s_waitcnt vmcnt(0) lgkmcnt(0)
	v_mul_f16_e32 v82, v46, v1
	s_branch .LBB282_26
.LBB282_25:                             ;   in Loop: Header=BB282_21 Depth=1
	v_dual_mov_b32 v81, 0 :: v_dual_mov_b32 v82, 0
.LBB282_26:                             ;   in Loop: Header=BB282_21 Depth=1
	ds_load_2addr_b64 v[0:3], v72 offset0:48 offset1:56
	ds_load_2addr_b64 v[12:15], v73 offset0:64 offset1:96
	ds_load_2addr_b64 v[20:23], v73 offset1:32
	ds_load_2addr_b64 v[16:19], v72 offset1:8
	ds_load_2addr_b64 v[8:11], v72 offset0:16 offset1:24
	ds_load_2addr_b64 v[4:7], v72 offset0:32 offset1:40
	s_and_b32 vcc_lo, exec_lo, s3
	ds_store_b16 v68, v80
	ds_store_b16 v60, v81
	ds_store_b16 v60, v82 offset:512
	s_waitcnt lgkmcnt(0)
	s_barrier
	buffer_gl0_inv
	s_cbranch_vccnz .LBB282_28
; %bb.27:                               ;   in Loop: Header=BB282_21 Depth=1
	v_add_co_u32 v80, vcc_lo, v78, v26
	v_add_co_ci_u32_e32 v81, vcc_lo, v79, v27, vcc_lo
	flat_load_u16 v80, v[80:81]
	s_waitcnt vmcnt(0) lgkmcnt(0)
	v_mul_f16_e32 v80, v46, v80
	s_branch .LBB282_29
.LBB282_28:                             ;   in Loop: Header=BB282_21 Depth=1
	v_mov_b32_e32 v80, 0
.LBB282_29:                             ;   in Loop: Header=BB282_21 Depth=1
	v_pk_max_f16 v93, v2, v2
	v_pk_max_f16 v98, v20, v20
	;; [unrolled: 1-line block ×12, first 2 shown]
	v_pk_min_f16 v2, v93, v98
	v_pk_min_f16 v12, v93, v99
	;; [unrolled: 1-line block ×25, first 2 shown]
	v_pk_max_f16 v0, v3, v3
	v_pk_max_f16 v21, v21, v21
	;; [unrolled: 1-line block ×9, first 2 shown]
	v_pk_min_f16 v112, v3, v21
	v_pk_min_f16 v113, v3, v23
	;; [unrolled: 1-line block ×4, first 2 shown]
	v_pk_max_f16 v3, v9, v9
	v_pk_max_f16 v9, v11, v11
	;; [unrolled: 1-line block ×3, first 2 shown]
	v_pk_min_f16 v22, v22, v102
	v_pk_min_f16 v83, v83, v102
	;; [unrolled: 1-line block ×35, first 2 shown]
	s_and_b32 vcc_lo, exec_lo, s3
	s_cbranch_vccz .LBB282_19
; %bb.30:                               ;   in Loop: Header=BB282_21 Depth=1
	v_dual_mov_b32 v0, 0 :: v_dual_mov_b32 v1, 0
	s_branch .LBB282_20
.LBB282_31:
	s_load_b32 s5, s[0:1], 0x58
	v_dual_mov_b32 v48, 0 :: v_dual_add_nc_u32 v25, s11, v48
	ds_load_b64 v[0:1], v50 offset:1024
	ds_load_b64 v[2:3], v49 offset:2560
	v_add_nc_u32_e32 v22, s10, v47
	v_cmp_neq_f16_e64 s3, 0, v28
	v_mov_b32_e32 v20, 0
	s_delay_alu instid0(VALU_DEP_3) | instskip(NEXT) | instid1(VALU_DEP_3)
	v_ashrrev_i32_e32 v23, 31, v22
	s_and_b32 vcc_lo, exec_lo, s3
	s_delay_alu instid0(VALU_DEP_1) | instskip(SKIP_2) | instid1(VALU_DEP_1)
	v_lshlrev_b64 v[16:17], 1, v[22:23]
	s_waitcnt lgkmcnt(0)
	v_mad_i64_i32 v[4:5], null, v25, s5, 0
	v_lshlrev_b64 v[4:5], 1, v[4:5]
	s_delay_alu instid0(VALU_DEP_1) | instskip(NEXT) | instid1(VALU_DEP_1)
	v_add_co_u32 v68, s4, s8, v4
	v_add_co_ci_u32_e64 v69, s4, s9, v5, s4
	s_cbranch_vccz .LBB282_33
; %bb.32:
	s_delay_alu instid0(VALU_DEP_2) | instskip(NEXT) | instid1(VALU_DEP_2)
	v_add_co_u32 v4, vcc_lo, v68, v16
	v_add_co_ci_u32_e32 v5, vcc_lo, v69, v17, vcc_lo
	flat_load_u16 v4, v[4:5]
	s_waitcnt vmcnt(0) lgkmcnt(0)
	v_mul_f16_e32 v20, v28, v4
.LBB282_33:
	s_clause 0x1
	s_load_b32 s4, s[0:1], 0x70
	s_load_b64 s[10:11], s[0:1], 0x78
	v_pk_max_f16 v71, v0, v0
	v_pk_max_f16 v26, v2, v2
	;; [unrolled: 1-line block ×4, first 2 shown]
	ds_load_b64 v[23:24], v49 offset:3008
	ds_load_b64 v[18:19], v50 offset:1792
	ds_load_2addr_b64 v[0:3], v50 offset0:160 offset1:192
	v_pk_min_f16 v4, v26, v71
	v_add_nc_u32_e32 v5, 0x800, v49
	v_pk_min_f16 v21, v27, v70
	v_cndmask_b32_e64 v52, 0, 1, s3
	v_add_nc_u32_e32 v46, 8, v22
	v_pk_add_f16 v47, v4, v67
	ds_load_2addr_b64 v[12:15], v5 offset0:72 offset1:80
	ds_load_2addr_b64 v[8:11], v5 offset0:88 offset1:96
	;; [unrolled: 1-line block ×3, first 2 shown]
	v_cmp_ne_u32_e64 s0, 1, v52
	v_pk_add_f16 v21, v21, v47
	v_ashrrev_i32_e32 v47, 31, v46
	s_waitcnt lgkmcnt(0)
	v_mad_i64_i32 v[49:50], null, v25, s4, 0
	s_mul_i32 s1, s12, s11
	s_mul_hi_u32 s11, s12, s10
	s_mul_i32 s10, s12, s10
	s_add_i32 s11, s11, s1
	v_lshrrev_b32_e32 v52, 16, v21
	s_lshl_b64 s[10:11], s[10:11], 1
	s_delay_alu instid0(VALU_DEP_2) | instskip(SKIP_3) | instid1(VALU_DEP_2)
	v_lshlrev_b64 v[49:50], 1, v[49:50]
	s_add_u32 s1, s6, s10
	s_addc_u32 s6, s7, s11
	v_add_f16_e32 v21, v21, v52
	v_add_co_u32 v67, vcc_lo, s1, v49
	s_delay_alu instid0(VALU_DEP_3) | instskip(NEXT) | instid1(VALU_DEP_3)
	v_add_co_ci_u32_e32 v72, vcc_lo, s6, v50, vcc_lo
	v_add_f16_e32 v52, v21, v20
	s_delay_alu instid0(VALU_DEP_3) | instskip(SKIP_1) | instid1(VALU_DEP_4)
	v_add_co_u32 v49, vcc_lo, v67, v16
	v_lshlrev_b64 v[20:21], 1, v[46:47]
	v_add_co_ci_u32_e32 v50, vcc_lo, v72, v17, vcc_lo
	s_and_not1_b32 vcc_lo, exec_lo, s3
	global_store_b16 v[49:50], v52, off
	s_cbranch_vccnz .LBB282_35
; %bb.34:
	v_add_co_u32 v46, vcc_lo, v68, v20
	v_add_co_ci_u32_e32 v47, vcc_lo, v69, v21, vcc_lo
	flat_load_u16 v46, v[46:47]
	s_waitcnt vmcnt(0) lgkmcnt(0)
	v_mul_f16_e32 v48, v28, v46
.LBB282_35:
	v_pk_max_f16 v46, v12, v12
	v_pk_max_f16 v47, v13, v13
	v_add_co_u32 v73, vcc_lo, v67, v20
	v_add_co_ci_u32_e32 v74, vcc_lo, v72, v21, vcc_lo
	s_delay_alu instid0(VALU_DEP_4) | instskip(NEXT) | instid1(VALU_DEP_4)
	v_pk_min_f16 v12, v46, v71
	v_pk_min_f16 v13, v47, v70
	v_mov_b32_e32 v60, 0
	s_and_b32 vcc_lo, exec_lo, s0
	s_delay_alu instid0(VALU_DEP_3) | instskip(NEXT) | instid1(VALU_DEP_1)
	v_pk_add_f16 v12, v12, v66
	v_pk_add_f16 v49, v13, v12
	v_add_nc_u32_e32 v12, 16, v22
	s_delay_alu instid0(VALU_DEP_2) | instskip(NEXT) | instid1(VALU_DEP_2)
	v_lshrrev_b32_e32 v50, 16, v49
	v_ashrrev_i32_e32 v13, 31, v12
	s_delay_alu instid0(VALU_DEP_2) | instskip(NEXT) | instid1(VALU_DEP_2)
	v_add_f16_e32 v49, v49, v50
	v_lshlrev_b64 v[12:13], 1, v[12:13]
	v_mov_b32_e32 v50, 0
	s_delay_alu instid0(VALU_DEP_3)
	v_add_f16_e32 v48, v49, v48
	global_store_b16 v[73:74], v48, off
	s_cbranch_vccnz .LBB282_37
; %bb.36:
	v_add_co_u32 v48, vcc_lo, v68, v12
	v_add_co_ci_u32_e32 v49, vcc_lo, v69, v13, vcc_lo
	flat_load_u16 v48, v[48:49]
	s_waitcnt vmcnt(0) lgkmcnt(0)
	v_mul_f16_e32 v50, v28, v48
.LBB282_37:
	v_pk_max_f16 v48, v14, v14
	v_pk_max_f16 v49, v15, v15
	s_delay_alu instid0(VALU_DEP_2) | instskip(NEXT) | instid1(VALU_DEP_2)
	v_pk_min_f16 v14, v48, v71
	v_pk_min_f16 v15, v49, v70
	s_delay_alu instid0(VALU_DEP_2) | instskip(NEXT) | instid1(VALU_DEP_1)
	v_pk_add_f16 v14, v14, v65
	v_pk_add_f16 v52, v15, v14
	v_add_nc_u32_e32 v14, 24, v22
	s_delay_alu instid0(VALU_DEP_2) | instskip(NEXT) | instid1(VALU_DEP_2)
	v_lshrrev_b32_e32 v65, 16, v52
	v_ashrrev_i32_e32 v15, 31, v14
	s_delay_alu instid0(VALU_DEP_2) | instskip(SKIP_1) | instid1(VALU_DEP_3)
	v_add_f16_e32 v52, v52, v65
	v_add_co_u32 v65, vcc_lo, v67, v12
	v_lshlrev_b64 v[14:15], 1, v[14:15]
	v_add_co_ci_u32_e32 v66, vcc_lo, v72, v13, vcc_lo
	s_delay_alu instid0(VALU_DEP_4)
	v_add_f16_e32 v50, v52, v50
	s_and_b32 vcc_lo, exec_lo, s0
	global_store_b16 v[65:66], v50, off
	s_cbranch_vccnz .LBB282_39
; %bb.38:
	v_add_co_u32 v65, vcc_lo, v68, v14
	v_add_co_ci_u32_e32 v66, vcc_lo, v69, v15, vcc_lo
	flat_load_u16 v50, v[65:66]
	s_waitcnt vmcnt(0) lgkmcnt(0)
	v_mul_f16_e32 v60, v28, v50
.LBB282_39:
	v_pk_max_f16 v50, v8, v8
	v_pk_max_f16 v52, v9, v9
	v_add_co_u32 v73, vcc_lo, v67, v14
	v_add_co_ci_u32_e32 v74, vcc_lo, v72, v15, vcc_lo
	s_delay_alu instid0(VALU_DEP_4) | instskip(NEXT) | instid1(VALU_DEP_4)
	v_pk_min_f16 v8, v50, v71
	v_pk_min_f16 v9, v52, v70
	v_mov_b32_e32 v66, 0
	s_and_b32 vcc_lo, exec_lo, s0
	s_delay_alu instid0(VALU_DEP_3) | instskip(NEXT) | instid1(VALU_DEP_1)
	v_pk_add_f16 v8, v8, v64
	v_pk_add_f16 v64, v9, v8
	v_add_nc_u32_e32 v8, 32, v22
	s_delay_alu instid0(VALU_DEP_2) | instskip(NEXT) | instid1(VALU_DEP_1)
	v_lshrrev_b32_e32 v65, 16, v64
	v_add_f16_e32 v64, v64, v65
	v_mov_b32_e32 v65, 0
	s_delay_alu instid0(VALU_DEP_4) | instskip(NEXT) | instid1(VALU_DEP_3)
	v_ashrrev_i32_e32 v9, 31, v8
	v_add_f16_e32 v60, v64, v60
	s_delay_alu instid0(VALU_DEP_2)
	v_lshlrev_b64 v[8:9], 1, v[8:9]
	global_store_b16 v[73:74], v60, off
	s_cbranch_vccnz .LBB282_41
; %bb.40:
	v_add_co_u32 v64, vcc_lo, v68, v8
	v_add_co_ci_u32_e32 v65, vcc_lo, v69, v9, vcc_lo
	flat_load_u16 v60, v[64:65]
	s_waitcnt vmcnt(0) lgkmcnt(0)
	v_mul_f16_e32 v65, v28, v60
.LBB282_41:
	v_pk_max_f16 v60, v10, v10
	v_pk_max_f16 v64, v11, v11
	s_delay_alu instid0(VALU_DEP_2) | instskip(NEXT) | instid1(VALU_DEP_2)
	v_pk_min_f16 v10, v60, v71
	v_pk_min_f16 v11, v64, v70
	s_delay_alu instid0(VALU_DEP_2) | instskip(NEXT) | instid1(VALU_DEP_1)
	v_pk_add_f16 v10, v10, v63
	v_pk_add_f16 v63, v11, v10
	v_add_nc_u32_e32 v10, 40, v22
	s_delay_alu instid0(VALU_DEP_2) | instskip(NEXT) | instid1(VALU_DEP_2)
	v_lshrrev_b32_e32 v73, 16, v63
	v_ashrrev_i32_e32 v11, 31, v10
	s_delay_alu instid0(VALU_DEP_2) | instskip(SKIP_1) | instid1(VALU_DEP_3)
	v_add_f16_e32 v63, v63, v73
	v_add_co_u32 v73, vcc_lo, v67, v8
	v_lshlrev_b64 v[10:11], 1, v[10:11]
	v_add_co_ci_u32_e32 v74, vcc_lo, v72, v9, vcc_lo
	s_delay_alu instid0(VALU_DEP_4)
	v_add_f16_e32 v63, v63, v65
	s_and_b32 vcc_lo, exec_lo, s0
	global_store_b16 v[73:74], v63, off
	s_cbranch_vccnz .LBB282_43
; %bb.42:
	v_add_co_u32 v65, vcc_lo, v68, v10
	v_add_co_ci_u32_e32 v66, vcc_lo, v69, v11, vcc_lo
	flat_load_u16 v63, v[65:66]
	s_waitcnt vmcnt(0) lgkmcnt(0)
	v_mul_f16_e32 v66, v28, v63
.LBB282_43:
	v_pk_max_f16 v63, v4, v4
	v_pk_max_f16 v65, v5, v5
	v_add_co_u32 v75, vcc_lo, v67, v10
	v_add_co_ci_u32_e32 v76, vcc_lo, v72, v11, vcc_lo
	s_delay_alu instid0(VALU_DEP_4) | instskip(NEXT) | instid1(VALU_DEP_4)
	v_pk_min_f16 v4, v63, v71
	v_pk_min_f16 v5, v65, v70
	v_mov_b32_e32 v74, 0
	s_and_b32 vcc_lo, exec_lo, s0
	s_delay_alu instid0(VALU_DEP_3) | instskip(NEXT) | instid1(VALU_DEP_1)
	v_pk_add_f16 v4, v4, v62
	v_pk_add_f16 v62, v5, v4
	v_add_nc_u32_e32 v4, 48, v22
	s_delay_alu instid0(VALU_DEP_2) | instskip(NEXT) | instid1(VALU_DEP_1)
	v_lshrrev_b32_e32 v73, 16, v62
	v_add_f16_e32 v62, v62, v73
	v_mov_b32_e32 v73, 0
	s_delay_alu instid0(VALU_DEP_4) | instskip(NEXT) | instid1(VALU_DEP_3)
	v_ashrrev_i32_e32 v5, 31, v4
	v_add_f16_e32 v62, v62, v66
	s_delay_alu instid0(VALU_DEP_2)
	v_lshlrev_b64 v[4:5], 1, v[4:5]
	global_store_b16 v[75:76], v62, off
	s_cbranch_vccnz .LBB282_45
; %bb.44:
	v_add_co_u32 v74, vcc_lo, v68, v4
	v_add_co_ci_u32_e32 v75, vcc_lo, v69, v5, vcc_lo
	flat_load_u16 v62, v[74:75]
	s_waitcnt vmcnt(0) lgkmcnt(0)
	v_mul_f16_e32 v74, v28, v62
.LBB282_45:
	v_pk_max_f16 v62, v6, v6
	v_pk_max_f16 v66, v7, v7
	v_add_co_u32 v75, vcc_lo, v67, v4
	v_add_co_ci_u32_e32 v76, vcc_lo, v72, v5, vcc_lo
	s_delay_alu instid0(VALU_DEP_4) | instskip(NEXT) | instid1(VALU_DEP_4)
	v_pk_min_f16 v6, v62, v71
	v_pk_min_f16 v7, v66, v70
	s_and_b32 vcc_lo, exec_lo, s0
	s_delay_alu instid0(VALU_DEP_2) | instskip(NEXT) | instid1(VALU_DEP_1)
	v_pk_add_f16 v6, v6, v61
	v_pk_add_f16 v61, v7, v6
	v_add_nc_u32_e32 v6, 56, v22
	s_delay_alu instid0(VALU_DEP_2) | instskip(NEXT) | instid1(VALU_DEP_2)
	v_lshrrev_b32_e32 v22, 16, v61
	v_ashrrev_i32_e32 v7, 31, v6
	s_delay_alu instid0(VALU_DEP_2) | instskip(NEXT) | instid1(VALU_DEP_2)
	v_add_f16_e32 v22, v61, v22
	v_lshlrev_b64 v[6:7], 1, v[6:7]
	s_delay_alu instid0(VALU_DEP_2)
	v_add_f16_e32 v22, v22, v74
	global_store_b16 v[75:76], v22, off
	s_cbranch_vccnz .LBB282_47
; %bb.46:
	v_add_co_u32 v68, vcc_lo, v68, v6
	v_add_co_ci_u32_e32 v69, vcc_lo, v69, v7, vcc_lo
	flat_load_u16 v22, v[68:69]
	s_waitcnt vmcnt(0) lgkmcnt(0)
	v_mul_f16_e32 v73, v28, v22
.LBB282_47:
	v_pk_max_f16 v22, v23, v23
	v_pk_max_f16 v23, v24, v24
	v_add_nc_u32_e32 v68, 32, v25
	s_delay_alu instid0(VALU_DEP_3) | instskip(NEXT) | instid1(VALU_DEP_3)
	v_pk_min_f16 v24, v22, v71
	v_pk_min_f16 v61, v23, v70
	v_add_co_u32 v71, vcc_lo, v67, v6
	v_mov_b32_e32 v67, 0
	s_delay_alu instid0(VALU_DEP_4) | instskip(SKIP_2) | instid1(VALU_DEP_3)
	v_pk_add_f16 v24, v24, v59
	v_mad_i64_i32 v[69:70], null, v68, s5, 0
	v_add_co_ci_u32_e32 v72, vcc_lo, v72, v7, vcc_lo
	v_pk_add_f16 v24, v61, v24
	s_delay_alu instid0(VALU_DEP_3) | instskip(NEXT) | instid1(VALU_DEP_2)
	v_lshlrev_b64 v[69:70], 1, v[69:70]
	v_lshrrev_b32_e32 v59, 16, v24
	s_delay_alu instid0(VALU_DEP_1) | instskip(NEXT) | instid1(VALU_DEP_3)
	v_add_f16_e32 v61, v24, v59
	v_add_co_u32 v24, vcc_lo, s8, v69
	s_delay_alu instid0(VALU_DEP_4) | instskip(NEXT) | instid1(VALU_DEP_3)
	v_add_co_ci_u32_e32 v59, vcc_lo, s9, v70, vcc_lo
	v_add_f16_e32 v61, v61, v73
	v_mov_b32_e32 v69, 0
	s_and_b32 vcc_lo, exec_lo, s0
	global_store_b16 v[71:72], v61, off
	s_cbranch_vccnz .LBB282_49
; %bb.48:
	v_add_co_u32 v69, vcc_lo, v24, v16
	v_add_co_ci_u32_e32 v70, vcc_lo, v59, v17, vcc_lo
	flat_load_u16 v61, v[69:70]
	s_waitcnt vmcnt(0) lgkmcnt(0)
	v_mul_f16_e32 v69, v28, v61
.LBB282_49:
	v_pk_max_f16 v61, v0, v0
	v_pk_max_f16 v0, v1, v1
	v_mad_i64_i32 v[70:71], null, v68, s4, 0
	s_delay_alu instid0(VALU_DEP_3) | instskip(NEXT) | instid1(VALU_DEP_3)
	v_pk_min_f16 v1, v26, v61
	v_pk_min_f16 v72, v27, v0
	s_delay_alu instid0(VALU_DEP_3) | instskip(NEXT) | instid1(VALU_DEP_3)
	v_lshlrev_b64 v[70:71], 1, v[70:71]
	v_pk_add_f16 v1, v1, v58
	s_delay_alu instid0(VALU_DEP_1) | instskip(NEXT) | instid1(VALU_DEP_1)
	v_pk_add_f16 v1, v72, v1
	v_lshrrev_b32_e32 v58, 16, v1
	s_delay_alu instid0(VALU_DEP_1) | instskip(SKIP_2) | instid1(VALU_DEP_3)
	v_add_f16_e32 v68, v1, v58
	v_add_co_u32 v1, vcc_lo, s1, v70
	v_add_co_ci_u32_e32 v58, vcc_lo, s6, v71, vcc_lo
	v_add_f16_e32 v70, v68, v69
	s_delay_alu instid0(VALU_DEP_3) | instskip(NEXT) | instid1(VALU_DEP_3)
	v_add_co_u32 v68, vcc_lo, v1, v16
	v_add_co_ci_u32_e32 v69, vcc_lo, v58, v17, vcc_lo
	s_and_b32 vcc_lo, exec_lo, s0
	global_store_b16 v[68:69], v70, off
	s_cbranch_vccnz .LBB282_51
; %bb.50:
	v_add_co_u32 v67, vcc_lo, v24, v20
	v_add_co_ci_u32_e32 v68, vcc_lo, v59, v21, vcc_lo
	flat_load_u16 v67, v[67:68]
	s_waitcnt vmcnt(0) lgkmcnt(0)
	v_mul_f16_e32 v67, v28, v67
.LBB282_51:
	v_pk_min_f16 v68, v46, v61
	v_pk_min_f16 v69, v47, v0
	s_delay_alu instid0(VALU_DEP_2) | instskip(NEXT) | instid1(VALU_DEP_1)
	v_pk_add_f16 v57, v68, v57
	v_pk_add_f16 v57, v69, v57
	s_delay_alu instid0(VALU_DEP_1) | instskip(NEXT) | instid1(VALU_DEP_1)
	v_lshrrev_b32_e32 v68, 16, v57
	v_add_f16_e32 v57, v57, v68
	v_add_co_u32 v68, vcc_lo, v1, v20
	v_add_co_ci_u32_e32 v69, vcc_lo, v58, v21, vcc_lo
	s_delay_alu instid0(VALU_DEP_3)
	v_add_f16_e32 v70, v57, v67
	v_mov_b32_e32 v57, 0
	v_mov_b32_e32 v67, 0
	s_and_b32 vcc_lo, exec_lo, s0
	global_store_b16 v[68:69], v70, off
	s_cbranch_vccnz .LBB282_53
; %bb.52:
	v_add_co_u32 v67, vcc_lo, v24, v12
	v_add_co_ci_u32_e32 v68, vcc_lo, v59, v13, vcc_lo
	flat_load_u16 v67, v[67:68]
	s_waitcnt vmcnt(0) lgkmcnt(0)
	v_mul_f16_e32 v67, v28, v67
.LBB282_53:
	v_pk_min_f16 v68, v48, v61
	v_pk_min_f16 v69, v49, v0
	s_delay_alu instid0(VALU_DEP_2) | instskip(NEXT) | instid1(VALU_DEP_1)
	v_pk_add_f16 v56, v68, v56
	v_pk_add_f16 v56, v69, v56
	s_delay_alu instid0(VALU_DEP_1) | instskip(NEXT) | instid1(VALU_DEP_1)
	v_lshrrev_b32_e32 v68, 16, v56
	v_add_f16_e32 v56, v56, v68
	s_delay_alu instid0(VALU_DEP_1)
	v_add_f16_e32 v56, v56, v67
	v_add_co_u32 v67, vcc_lo, v1, v12
	v_add_co_ci_u32_e32 v68, vcc_lo, v58, v13, vcc_lo
	s_and_b32 vcc_lo, exec_lo, s0
	global_store_b16 v[67:68], v56, off
	s_cbranch_vccnz .LBB282_55
; %bb.54:
	v_add_co_u32 v56, vcc_lo, v24, v14
	v_add_co_ci_u32_e32 v57, vcc_lo, v59, v15, vcc_lo
	flat_load_u16 v56, v[56:57]
	s_waitcnt vmcnt(0) lgkmcnt(0)
	v_mul_f16_e32 v57, v28, v56
.LBB282_55:
	v_pk_min_f16 v56, v50, v61
	v_pk_min_f16 v67, v52, v0
	s_delay_alu instid0(VALU_DEP_2) | instskip(NEXT) | instid1(VALU_DEP_1)
	v_pk_add_f16 v55, v56, v55
	v_pk_add_f16 v55, v67, v55
	v_add_co_u32 v67, vcc_lo, v1, v14
	v_add_co_ci_u32_e32 v68, vcc_lo, v58, v15, vcc_lo
	s_delay_alu instid0(VALU_DEP_3) | instskip(SKIP_1) | instid1(VALU_DEP_1)
	v_lshrrev_b32_e32 v56, 16, v55
	s_and_b32 vcc_lo, exec_lo, s0
	v_add_f16_e32 v55, v55, v56
	v_mov_b32_e32 v56, 0
	s_delay_alu instid0(VALU_DEP_2)
	v_add_f16_e32 v57, v55, v57
	v_mov_b32_e32 v55, 0
	global_store_b16 v[67:68], v57, off
	s_cbranch_vccnz .LBB282_57
; %bb.56:
	v_add_co_u32 v56, vcc_lo, v24, v8
	v_add_co_ci_u32_e32 v57, vcc_lo, v59, v9, vcc_lo
	flat_load_u16 v56, v[56:57]
	s_waitcnt vmcnt(0) lgkmcnt(0)
	v_mul_f16_e32 v56, v28, v56
.LBB282_57:
	v_pk_min_f16 v57, v60, v61
	v_pk_min_f16 v67, v64, v0
	s_delay_alu instid0(VALU_DEP_2) | instskip(NEXT) | instid1(VALU_DEP_1)
	v_pk_add_f16 v54, v57, v54
	v_pk_add_f16 v54, v67, v54
	s_delay_alu instid0(VALU_DEP_1) | instskip(NEXT) | instid1(VALU_DEP_1)
	v_lshrrev_b32_e32 v57, 16, v54
	v_add_f16_e32 v54, v54, v57
	s_delay_alu instid0(VALU_DEP_1)
	v_add_f16_e32 v54, v54, v56
	v_add_co_u32 v56, vcc_lo, v1, v8
	v_add_co_ci_u32_e32 v57, vcc_lo, v58, v9, vcc_lo
	s_and_b32 vcc_lo, exec_lo, s0
	global_store_b16 v[56:57], v54, off
	s_cbranch_vccnz .LBB282_59
; %bb.58:
	v_add_co_u32 v54, vcc_lo, v24, v10
	v_add_co_ci_u32_e32 v55, vcc_lo, v59, v11, vcc_lo
	flat_load_u16 v54, v[54:55]
	s_waitcnt vmcnt(0) lgkmcnt(0)
	v_mul_f16_e32 v55, v28, v54
.LBB282_59:
	v_pk_min_f16 v54, v63, v61
	v_pk_min_f16 v56, v65, v0
	s_delay_alu instid0(VALU_DEP_2) | instskip(NEXT) | instid1(VALU_DEP_1)
	v_pk_add_f16 v53, v54, v53
	v_pk_add_f16 v53, v56, v53
	v_add_co_u32 v56, vcc_lo, v1, v10
	v_add_co_ci_u32_e32 v57, vcc_lo, v58, v11, vcc_lo
	s_delay_alu instid0(VALU_DEP_3) | instskip(SKIP_1) | instid1(VALU_DEP_1)
	v_lshrrev_b32_e32 v54, 16, v53
	s_and_b32 vcc_lo, exec_lo, s0
	v_add_f16_e32 v53, v53, v54
	v_mov_b32_e32 v54, 0
	s_delay_alu instid0(VALU_DEP_2)
	v_add_f16_e32 v55, v53, v55
	v_mov_b32_e32 v53, 0
	global_store_b16 v[56:57], v55, off
	s_cbranch_vccnz .LBB282_61
; %bb.60:
	v_add_co_u32 v54, vcc_lo, v24, v4
	v_add_co_ci_u32_e32 v55, vcc_lo, v59, v5, vcc_lo
	flat_load_u16 v54, v[54:55]
	s_waitcnt vmcnt(0) lgkmcnt(0)
	v_mul_f16_e32 v54, v28, v54
.LBB282_61:
	v_pk_min_f16 v55, v62, v61
	v_pk_min_f16 v56, v66, v0
	s_delay_alu instid0(VALU_DEP_2) | instskip(NEXT) | instid1(VALU_DEP_1)
	v_pk_add_f16 v51, v55, v51
	v_pk_add_f16 v51, v56, v51
	s_delay_alu instid0(VALU_DEP_1) | instskip(NEXT) | instid1(VALU_DEP_1)
	v_lshrrev_b32_e32 v55, 16, v51
	v_add_f16_e32 v51, v51, v55
	s_delay_alu instid0(VALU_DEP_1)
	v_add_f16_e32 v51, v51, v54
	v_add_co_u32 v54, vcc_lo, v1, v4
	v_add_co_ci_u32_e32 v55, vcc_lo, v58, v5, vcc_lo
	s_and_b32 vcc_lo, exec_lo, s0
	global_store_b16 v[54:55], v51, off
	s_cbranch_vccnz .LBB282_63
; %bb.62:
	v_add_co_u32 v53, vcc_lo, v24, v6
	v_add_co_ci_u32_e32 v54, vcc_lo, v59, v7, vcc_lo
	flat_load_u16 v24, v[53:54]
	s_waitcnt vmcnt(0) lgkmcnt(0)
	v_mul_f16_e32 v53, v28, v24
.LBB282_63:
	v_pk_min_f16 v24, v22, v61
	v_dual_mov_b32 v51, 0 :: v_dual_add_nc_u32 v54, 64, v25
	v_pk_min_f16 v0, v23, v0
	v_add_co_u32 v57, vcc_lo, v1, v6
	s_delay_alu instid0(VALU_DEP_4) | instskip(NEXT) | instid1(VALU_DEP_4)
	v_pk_add_f16 v24, v24, v45
	v_mad_i64_i32 v[55:56], null, v54, s5, 0
	v_add_co_ci_u32_e32 v58, vcc_lo, v58, v7, vcc_lo
	s_delay_alu instid0(VALU_DEP_3) | instskip(NEXT) | instid1(VALU_DEP_3)
	v_pk_add_f16 v0, v0, v24
	v_lshlrev_b64 v[55:56], 1, v[55:56]
	s_delay_alu instid0(VALU_DEP_2) | instskip(NEXT) | instid1(VALU_DEP_2)
	v_lshrrev_b32_e32 v24, 16, v0
	v_add_co_u32 v1, vcc_lo, s8, v55
	s_delay_alu instid0(VALU_DEP_2) | instskip(NEXT) | instid1(VALU_DEP_4)
	v_add_f16_e32 v0, v0, v24
	v_add_co_ci_u32_e32 v24, vcc_lo, s9, v56, vcc_lo
	s_and_b32 vcc_lo, exec_lo, s0
	s_delay_alu instid0(VALU_DEP_2)
	v_add_f16_e32 v0, v0, v53
	v_mov_b32_e32 v53, 0
	global_store_b16 v[57:58], v0, off
	s_cbranch_vccnz .LBB282_65
; %bb.64:
	v_add_co_u32 v55, vcc_lo, v1, v16
	v_add_co_ci_u32_e32 v56, vcc_lo, v24, v17, vcc_lo
	flat_load_u16 v0, v[55:56]
	s_waitcnt vmcnt(0) lgkmcnt(0)
	v_mul_f16_e32 v53, v28, v0
.LBB282_65:
	v_pk_max_f16 v45, v2, v2
	v_pk_max_f16 v0, v3, v3
	s_delay_alu instid0(VALU_DEP_2) | instskip(NEXT) | instid1(VALU_DEP_2)
	v_pk_min_f16 v2, v26, v45
	v_pk_min_f16 v55, v27, v0
	s_delay_alu instid0(VALU_DEP_2) | instskip(SKIP_1) | instid1(VALU_DEP_2)
	v_pk_add_f16 v44, v2, v44
	v_mad_i64_i32 v[2:3], null, v54, s4, 0
	v_pk_add_f16 v44, v55, v44
	s_delay_alu instid0(VALU_DEP_2) | instskip(NEXT) | instid1(VALU_DEP_2)
	v_lshlrev_b64 v[2:3], 1, v[2:3]
	v_lshrrev_b32_e32 v54, 16, v44
	s_delay_alu instid0(VALU_DEP_2) | instskip(NEXT) | instid1(VALU_DEP_2)
	v_add_co_u32 v2, vcc_lo, s1, v2
	v_add_f16_e32 v44, v44, v54
	s_delay_alu instid0(VALU_DEP_4) | instskip(NEXT) | instid1(VALU_DEP_2)
	v_add_co_ci_u32_e32 v3, vcc_lo, s6, v3, vcc_lo
	v_add_f16_e32 v44, v44, v53
	s_delay_alu instid0(VALU_DEP_4) | instskip(NEXT) | instid1(VALU_DEP_3)
	v_add_co_u32 v53, vcc_lo, v2, v16
	v_add_co_ci_u32_e32 v54, vcc_lo, v3, v17, vcc_lo
	s_and_b32 vcc_lo, exec_lo, s0
	global_store_b16 v[53:54], v44, off
	s_cbranch_vccnz .LBB282_67
; %bb.66:
	v_add_co_u32 v53, vcc_lo, v1, v20
	v_add_co_ci_u32_e32 v54, vcc_lo, v24, v21, vcc_lo
	flat_load_u16 v44, v[53:54]
	s_waitcnt vmcnt(0) lgkmcnt(0)
	v_mul_f16_e32 v51, v28, v44
.LBB282_67:
	v_pk_min_f16 v44, v46, v45
	v_pk_min_f16 v53, v47, v0
	s_delay_alu instid0(VALU_DEP_2) | instskip(NEXT) | instid1(VALU_DEP_1)
	v_pk_add_f16 v43, v44, v43
	v_pk_add_f16 v43, v53, v43
	v_add_co_u32 v53, vcc_lo, v2, v20
	v_add_co_ci_u32_e32 v54, vcc_lo, v3, v21, vcc_lo
	s_delay_alu instid0(VALU_DEP_3) | instskip(SKIP_1) | instid1(VALU_DEP_1)
	v_lshrrev_b32_e32 v44, 16, v43
	s_and_b32 vcc_lo, exec_lo, s0
	v_add_f16_e32 v43, v43, v44
	v_mov_b32_e32 v44, 0
	s_delay_alu instid0(VALU_DEP_2)
	v_add_f16_e32 v51, v43, v51
	v_mov_b32_e32 v43, 0
	global_store_b16 v[53:54], v51, off
	s_cbranch_vccnz .LBB282_69
; %bb.68:
	v_add_co_u32 v53, vcc_lo, v1, v12
	v_add_co_ci_u32_e32 v54, vcc_lo, v24, v13, vcc_lo
	flat_load_u16 v44, v[53:54]
	s_waitcnt vmcnt(0) lgkmcnt(0)
	v_mul_f16_e32 v44, v28, v44
.LBB282_69:
	v_pk_min_f16 v51, v48, v45
	v_pk_min_f16 v53, v49, v0
	s_delay_alu instid0(VALU_DEP_2) | instskip(NEXT) | instid1(VALU_DEP_1)
	v_pk_add_f16 v42, v51, v42
	v_pk_add_f16 v42, v53, v42
	v_add_co_u32 v53, vcc_lo, v2, v12
	v_add_co_ci_u32_e32 v54, vcc_lo, v3, v13, vcc_lo
	s_delay_alu instid0(VALU_DEP_3) | instskip(SKIP_1) | instid1(VALU_DEP_1)
	v_lshrrev_b32_e32 v51, 16, v42
	s_and_b32 vcc_lo, exec_lo, s0
	v_add_f16_e32 v42, v42, v51
	s_delay_alu instid0(VALU_DEP_1)
	v_add_f16_e32 v42, v42, v44
	global_store_b16 v[53:54], v42, off
	s_cbranch_vccnz .LBB282_71
; %bb.70:
	v_add_co_u32 v42, vcc_lo, v1, v14
	v_add_co_ci_u32_e32 v43, vcc_lo, v24, v15, vcc_lo
	flat_load_u16 v42, v[42:43]
	s_waitcnt vmcnt(0) lgkmcnt(0)
	v_mul_f16_e32 v43, v28, v42
.LBB282_71:
	v_pk_min_f16 v42, v50, v45
	v_pk_min_f16 v44, v52, v0
	v_add_co_u32 v53, vcc_lo, v2, v14
	v_add_co_ci_u32_e32 v54, vcc_lo, v3, v15, vcc_lo
	s_delay_alu instid0(VALU_DEP_4) | instskip(SKIP_1) | instid1(VALU_DEP_1)
	v_pk_add_f16 v41, v42, v41
	s_and_b32 vcc_lo, exec_lo, s0
	v_pk_add_f16 v41, v44, v41
	s_delay_alu instid0(VALU_DEP_1) | instskip(NEXT) | instid1(VALU_DEP_1)
	v_lshrrev_b32_e32 v42, 16, v41
	v_add_f16_e32 v41, v41, v42
	v_mov_b32_e32 v42, 0
	s_delay_alu instid0(VALU_DEP_2)
	v_add_f16_e32 v43, v41, v43
	v_mov_b32_e32 v41, 0
	global_store_b16 v[53:54], v43, off
	s_cbranch_vccnz .LBB282_73
; %bb.72:
	v_add_co_u32 v42, vcc_lo, v1, v8
	v_add_co_ci_u32_e32 v43, vcc_lo, v24, v9, vcc_lo
	flat_load_u16 v42, v[42:43]
	s_waitcnt vmcnt(0) lgkmcnt(0)
	v_mul_f16_e32 v42, v28, v42
.LBB282_73:
	v_pk_min_f16 v43, v60, v45
	v_pk_min_f16 v44, v64, v0
	s_delay_alu instid0(VALU_DEP_2) | instskip(NEXT) | instid1(VALU_DEP_1)
	v_pk_add_f16 v40, v43, v40
	v_pk_add_f16 v40, v44, v40
	s_delay_alu instid0(VALU_DEP_1) | instskip(NEXT) | instid1(VALU_DEP_1)
	v_lshrrev_b32_e32 v43, 16, v40
	v_add_f16_e32 v40, v40, v43
	s_delay_alu instid0(VALU_DEP_1)
	v_add_f16_e32 v40, v40, v42
	v_add_co_u32 v42, vcc_lo, v2, v8
	v_add_co_ci_u32_e32 v43, vcc_lo, v3, v9, vcc_lo
	s_and_b32 vcc_lo, exec_lo, s0
	global_store_b16 v[42:43], v40, off
	s_cbranch_vccnz .LBB282_75
; %bb.74:
	v_add_co_u32 v40, vcc_lo, v1, v10
	v_add_co_ci_u32_e32 v41, vcc_lo, v24, v11, vcc_lo
	flat_load_u16 v40, v[40:41]
	s_waitcnt vmcnt(0) lgkmcnt(0)
	v_mul_f16_e32 v41, v28, v40
.LBB282_75:
	v_pk_min_f16 v40, v63, v45
	v_pk_min_f16 v42, v65, v0
	s_delay_alu instid0(VALU_DEP_2) | instskip(NEXT) | instid1(VALU_DEP_1)
	v_pk_add_f16 v39, v40, v39
	v_pk_add_f16 v39, v42, v39
	v_add_co_u32 v42, vcc_lo, v2, v10
	v_add_co_ci_u32_e32 v43, vcc_lo, v3, v11, vcc_lo
	s_delay_alu instid0(VALU_DEP_3) | instskip(SKIP_1) | instid1(VALU_DEP_1)
	v_lshrrev_b32_e32 v40, 16, v39
	s_and_b32 vcc_lo, exec_lo, s0
	v_add_f16_e32 v39, v39, v40
	v_mov_b32_e32 v40, 0
	s_delay_alu instid0(VALU_DEP_2)
	v_add_f16_e32 v41, v39, v41
	v_mov_b32_e32 v39, 0
	global_store_b16 v[42:43], v41, off
	s_cbranch_vccnz .LBB282_77
; %bb.76:
	v_add_co_u32 v40, vcc_lo, v1, v4
	v_add_co_ci_u32_e32 v41, vcc_lo, v24, v5, vcc_lo
	flat_load_u16 v40, v[40:41]
	s_waitcnt vmcnt(0) lgkmcnt(0)
	v_mul_f16_e32 v40, v28, v40
.LBB282_77:
	v_pk_min_f16 v41, v62, v45
	v_pk_min_f16 v42, v66, v0
	s_delay_alu instid0(VALU_DEP_2) | instskip(NEXT) | instid1(VALU_DEP_1)
	v_pk_add_f16 v38, v41, v38
	v_pk_add_f16 v38, v42, v38
	s_delay_alu instid0(VALU_DEP_1) | instskip(NEXT) | instid1(VALU_DEP_1)
	v_lshrrev_b32_e32 v41, 16, v38
	v_add_f16_e32 v38, v38, v41
	s_delay_alu instid0(VALU_DEP_1)
	v_add_f16_e32 v38, v38, v40
	v_add_co_u32 v40, vcc_lo, v2, v4
	v_add_co_ci_u32_e32 v41, vcc_lo, v3, v5, vcc_lo
	s_and_b32 vcc_lo, exec_lo, s0
	global_store_b16 v[40:41], v38, off
	s_cbranch_vccnz .LBB282_79
; %bb.78:
	v_add_co_u32 v38, vcc_lo, v1, v6
	v_add_co_ci_u32_e32 v39, vcc_lo, v24, v7, vcc_lo
	flat_load_u16 v1, v[38:39]
	s_waitcnt vmcnt(0) lgkmcnt(0)
	v_mul_f16_e32 v39, v28, v1
.LBB282_79:
	v_pk_min_f16 v1, v22, v45
	v_pk_min_f16 v24, v23, v0
	v_add_nc_u32_e32 v25, 0x60, v25
	v_add_co_u32 v2, vcc_lo, v2, v6
	s_delay_alu instid0(VALU_DEP_4) | instskip(SKIP_1) | instid1(VALU_DEP_2)
	v_pk_add_f16 v37, v1, v37
	v_add_co_ci_u32_e32 v3, vcc_lo, v3, v7, vcc_lo
	v_pk_add_f16 v24, v24, v37
	s_delay_alu instid0(VALU_DEP_1) | instskip(NEXT) | instid1(VALU_DEP_1)
	v_lshrrev_b32_e32 v37, 16, v24
	v_add_f16_e32 v24, v24, v37
	v_mov_b32_e32 v37, 0
	s_delay_alu instid0(VALU_DEP_2) | instskip(SKIP_4) | instid1(VALU_DEP_1)
	v_add_f16_e32 v38, v24, v39
	v_mov_b32_e32 v24, 0
	v_mad_i64_i32 v[0:1], null, v25, s5, 0
	global_store_b16 v[2:3], v38, off
	v_lshlrev_b64 v[0:1], 1, v[0:1]
	v_add_co_u32 v0, vcc_lo, s8, v0
	s_delay_alu instid0(VALU_DEP_2)
	v_add_co_ci_u32_e32 v1, vcc_lo, s9, v1, vcc_lo
	s_and_b32 vcc_lo, exec_lo, s0
	s_cbranch_vccnz .LBB282_81
; %bb.80:
	s_delay_alu instid0(VALU_DEP_2) | instskip(NEXT) | instid1(VALU_DEP_2)
	v_add_co_u32 v2, vcc_lo, v0, v16
	v_add_co_ci_u32_e32 v3, vcc_lo, v1, v17, vcc_lo
	flat_load_u16 v2, v[2:3]
	s_waitcnt vmcnt(0) lgkmcnt(0)
	v_mul_f16_e32 v37, v28, v2
.LBB282_81:
	v_pk_max_f16 v2, v18, v18
	v_pk_max_f16 v3, v19, v19
	s_delay_alu instid0(VALU_DEP_2) | instskip(NEXT) | instid1(VALU_DEP_2)
	v_pk_min_f16 v18, v26, v2
	v_pk_min_f16 v26, v27, v3
	s_delay_alu instid0(VALU_DEP_2) | instskip(SKIP_1) | instid1(VALU_DEP_2)
	v_pk_add_f16 v27, v18, v36
	v_mad_i64_i32 v[18:19], null, v25, s4, 0
	v_pk_add_f16 v25, v26, v27
	s_delay_alu instid0(VALU_DEP_2) | instskip(NEXT) | instid1(VALU_DEP_2)
	v_lshlrev_b64 v[18:19], 1, v[18:19]
	v_lshrrev_b32_e32 v26, 16, v25
	s_delay_alu instid0(VALU_DEP_2) | instskip(NEXT) | instid1(VALU_DEP_2)
	v_add_co_u32 v18, vcc_lo, s1, v18
	v_add_f16_e32 v25, v25, v26
	s_delay_alu instid0(VALU_DEP_4) | instskip(NEXT) | instid1(VALU_DEP_3)
	v_add_co_ci_u32_e32 v19, vcc_lo, s6, v19, vcc_lo
	v_add_co_u32 v16, vcc_lo, v18, v16
	s_delay_alu instid0(VALU_DEP_3) | instskip(NEXT) | instid1(VALU_DEP_3)
	v_add_f16_e32 v25, v25, v37
	v_add_co_ci_u32_e32 v17, vcc_lo, v19, v17, vcc_lo
	s_and_b32 vcc_lo, exec_lo, s0
	global_store_b16 v[16:17], v25, off
	s_cbranch_vccnz .LBB282_83
; %bb.82:
	v_add_co_u32 v16, vcc_lo, v0, v20
	v_add_co_ci_u32_e32 v17, vcc_lo, v1, v21, vcc_lo
	flat_load_u16 v16, v[16:17]
	s_waitcnt vmcnt(0) lgkmcnt(0)
	v_mul_f16_e32 v24, v28, v16
.LBB282_83:
	v_pk_min_f16 v16, v46, v2
	v_pk_min_f16 v17, v47, v3
	v_add_co_u32 v20, vcc_lo, v18, v20
	v_add_co_ci_u32_e32 v21, vcc_lo, v19, v21, vcc_lo
	s_delay_alu instid0(VALU_DEP_4) | instskip(SKIP_1) | instid1(VALU_DEP_1)
	v_pk_add_f16 v16, v16, v35
	s_and_b32 vcc_lo, exec_lo, s0
	v_pk_add_f16 v16, v17, v16
	s_delay_alu instid0(VALU_DEP_1) | instskip(NEXT) | instid1(VALU_DEP_1)
	v_lshrrev_b32_e32 v17, 16, v16
	v_add_f16_e32 v16, v16, v17
	v_mov_b32_e32 v17, 0
	s_delay_alu instid0(VALU_DEP_2)
	v_add_f16_e32 v24, v16, v24
	v_mov_b32_e32 v16, 0
	global_store_b16 v[20:21], v24, off
	s_cbranch_vccnz .LBB282_85
; %bb.84:
	v_add_co_u32 v20, vcc_lo, v0, v12
	v_add_co_ci_u32_e32 v21, vcc_lo, v1, v13, vcc_lo
	flat_load_u16 v17, v[20:21]
	s_waitcnt vmcnt(0) lgkmcnt(0)
	v_mul_f16_e32 v17, v28, v17
.LBB282_85:
	v_pk_min_f16 v20, v48, v2
	v_pk_min_f16 v21, v49, v3
	v_add_co_u32 v12, vcc_lo, v18, v12
	v_add_co_ci_u32_e32 v13, vcc_lo, v19, v13, vcc_lo
	s_delay_alu instid0(VALU_DEP_4) | instskip(SKIP_1) | instid1(VALU_DEP_1)
	v_pk_add_f16 v20, v20, v34
	s_and_b32 vcc_lo, exec_lo, s0
	v_pk_add_f16 v20, v21, v20
	s_delay_alu instid0(VALU_DEP_1) | instskip(NEXT) | instid1(VALU_DEP_1)
	v_lshrrev_b32_e32 v21, 16, v20
	v_add_f16_e32 v20, v20, v21
	s_delay_alu instid0(VALU_DEP_1)
	v_add_f16_e32 v17, v20, v17
	global_store_b16 v[12:13], v17, off
	s_cbranch_vccnz .LBB282_87
; %bb.86:
	v_add_co_u32 v12, vcc_lo, v0, v14
	v_add_co_ci_u32_e32 v13, vcc_lo, v1, v15, vcc_lo
	flat_load_u16 v12, v[12:13]
	s_waitcnt vmcnt(0) lgkmcnt(0)
	v_mul_f16_e32 v16, v28, v12
.LBB282_87:
	v_pk_min_f16 v12, v50, v2
	v_pk_min_f16 v13, v52, v3
	v_add_co_u32 v14, vcc_lo, v18, v14
	v_add_co_ci_u32_e32 v15, vcc_lo, v19, v15, vcc_lo
	s_delay_alu instid0(VALU_DEP_4) | instskip(SKIP_1) | instid1(VALU_DEP_1)
	v_pk_add_f16 v12, v12, v33
	s_and_b32 vcc_lo, exec_lo, s0
	v_pk_add_f16 v12, v13, v12
	s_delay_alu instid0(VALU_DEP_1) | instskip(NEXT) | instid1(VALU_DEP_1)
	v_lshrrev_b32_e32 v13, 16, v12
	v_add_f16_e32 v12, v12, v13
	v_mov_b32_e32 v13, 0
	s_delay_alu instid0(VALU_DEP_2)
	v_add_f16_e32 v16, v12, v16
	v_mov_b32_e32 v12, 0
	global_store_b16 v[14:15], v16, off
	s_cbranch_vccnz .LBB282_89
; %bb.88:
	v_add_co_u32 v13, vcc_lo, v0, v8
	v_add_co_ci_u32_e32 v14, vcc_lo, v1, v9, vcc_lo
	flat_load_u16 v13, v[13:14]
	s_waitcnt vmcnt(0) lgkmcnt(0)
	v_mul_f16_e32 v13, v28, v13
.LBB282_89:
	v_pk_min_f16 v14, v60, v2
	v_pk_min_f16 v15, v64, v3
	v_add_co_u32 v8, vcc_lo, v18, v8
	v_add_co_ci_u32_e32 v9, vcc_lo, v19, v9, vcc_lo
	s_delay_alu instid0(VALU_DEP_4) | instskip(SKIP_1) | instid1(VALU_DEP_1)
	v_pk_add_f16 v14, v14, v31
	s_and_b32 vcc_lo, exec_lo, s0
	v_pk_add_f16 v14, v15, v14
	s_delay_alu instid0(VALU_DEP_1) | instskip(NEXT) | instid1(VALU_DEP_1)
	v_lshrrev_b32_e32 v15, 16, v14
	v_add_f16_e32 v14, v14, v15
	s_delay_alu instid0(VALU_DEP_1)
	v_add_f16_e32 v13, v14, v13
	global_store_b16 v[8:9], v13, off
	s_cbranch_vccnz .LBB282_91
; %bb.90:
	v_add_co_u32 v8, vcc_lo, v0, v10
	v_add_co_ci_u32_e32 v9, vcc_lo, v1, v11, vcc_lo
	flat_load_u16 v8, v[8:9]
	s_waitcnt vmcnt(0) lgkmcnt(0)
	v_mul_f16_e32 v12, v28, v8
.LBB282_91:
	v_pk_min_f16 v8, v63, v2
	v_pk_min_f16 v9, v65, v3
	;; [unrolled: 1-line block ×3, first 2 shown]
	s_delay_alu instid0(VALU_DEP_3) | instskip(NEXT) | instid1(VALU_DEP_2)
	v_pk_add_f16 v8, v8, v30
	v_pk_add_f16 v13, v13, v32
	s_delay_alu instid0(VALU_DEP_2) | instskip(SKIP_1) | instid1(VALU_DEP_2)
	v_pk_add_f16 v8, v9, v8
	v_pk_min_f16 v9, v66, v3
	v_lshrrev_b32_e32 v14, 16, v8
	s_delay_alu instid0(VALU_DEP_2) | instskip(SKIP_2) | instid1(VALU_DEP_4)
	v_pk_add_f16 v13, v9, v13
	v_add_co_u32 v9, vcc_lo, v18, v10
	v_add_co_ci_u32_e32 v10, vcc_lo, v19, v11, vcc_lo
	v_add_f16_e32 v8, v8, v14
	s_delay_alu instid0(VALU_DEP_4) | instskip(SKIP_1) | instid1(VALU_DEP_2)
	v_lshrrev_b32_e32 v11, 16, v13
	s_mov_b32 vcc_lo, s2
	v_add_f16_e32 v12, v8, v12
	s_delay_alu instid0(VALU_DEP_2)
	v_add_f16_e32 v8, v13, v11
	global_store_b16 v[9:10], v12, off
	s_cbranch_vccz .LBB282_94
; %bb.92:
	v_add_co_u32 v9, vcc_lo, v18, v4
	v_add_f16_e32 v11, 0, v8
	v_add_co_ci_u32_e32 v10, vcc_lo, v19, v5, vcc_lo
	s_mov_b32 s0, 0
	global_store_b16 v[9:10], v11, off
	s_cbranch_execz .LBB282_95
; %bb.93:
	v_mov_b32_e32 v0, s0
	s_branch .LBB282_96
.LBB282_94:
	s_mov_b32 s0, -1
.LBB282_95:
	v_add_co_u32 v9, vcc_lo, v0, v4
	v_add_co_ci_u32_e32 v10, vcc_lo, v1, v5, vcc_lo
	v_add_co_u32 v4, vcc_lo, v18, v4
	v_add_co_ci_u32_e32 v5, vcc_lo, v19, v5, vcc_lo
	flat_load_u16 v9, v[9:10]
	v_add_co_u32 v0, vcc_lo, v0, v6
	v_add_co_ci_u32_e32 v1, vcc_lo, v1, v7, vcc_lo
	s_waitcnt vmcnt(0) lgkmcnt(0)
	v_fmac_f16_e32 v8, v28, v9
	global_store_b16 v[4:5], v8, off
	flat_load_u16 v0, v[0:1]
	s_waitcnt vmcnt(0) lgkmcnt(0)
	v_mul_f16_e32 v0, v28, v0
.LBB282_96:
	v_pk_min_f16 v1, v22, v2
	v_pk_min_f16 v2, v23, v3
	s_delay_alu instid0(VALU_DEP_2) | instskip(NEXT) | instid1(VALU_DEP_1)
	v_pk_add_f16 v1, v1, v29
	v_pk_add_f16 v1, v2, v1
	s_delay_alu instid0(VALU_DEP_1) | instskip(NEXT) | instid1(VALU_DEP_1)
	v_lshrrev_b32_e32 v2, 16, v1
	v_add_f16_e32 v1, v1, v2
	s_delay_alu instid0(VALU_DEP_1)
	v_add_f16_e32 v2, v1, v0
	v_add_co_u32 v0, vcc_lo, v18, v6
	v_add_co_ci_u32_e32 v1, vcc_lo, v19, v7, vcc_lo
	global_store_b16 v[0:1], v2, off
	s_nop 0
	s_sendmsg sendmsg(MSG_DEALLOC_VGPRS)
	s_endpgm
	.section	.rodata,"a",@progbits
	.p2align	6, 0x0
	.amdhsa_kernel _ZN12_GLOBAL__N_120geam_min_plus_kernelIDF16_Dv2_DF16_S1_Li8ELi32ELi64ELi128ELi4ELi64ELi4ELi4ELi64ELc78ELc78ELb0ELb0ELb0EPKDF16_S2_DF16_EEviiiT16_PT17_ilS6_ilS4_S6_ilPT18_ili26rocblas_geam_ex_operation_
		.amdhsa_group_segment_fixed_size 3072
		.amdhsa_private_segment_fixed_size 0
		.amdhsa_kernarg_size 136
		.amdhsa_user_sgpr_count 14
		.amdhsa_user_sgpr_dispatch_ptr 0
		.amdhsa_user_sgpr_queue_ptr 0
		.amdhsa_user_sgpr_kernarg_segment_ptr 1
		.amdhsa_user_sgpr_dispatch_id 0
		.amdhsa_user_sgpr_private_segment_size 0
		.amdhsa_wavefront_size32 1
		.amdhsa_uses_dynamic_stack 0
		.amdhsa_enable_private_segment 0
		.amdhsa_system_sgpr_workgroup_id_x 1
		.amdhsa_system_sgpr_workgroup_id_y 0
		.amdhsa_system_sgpr_workgroup_id_z 1
		.amdhsa_system_sgpr_workgroup_info 0
		.amdhsa_system_vgpr_workitem_id 1
		.amdhsa_next_free_vgpr 125
		.amdhsa_next_free_sgpr 24
		.amdhsa_reserve_vcc 1
		.amdhsa_float_round_mode_32 0
		.amdhsa_float_round_mode_16_64 0
		.amdhsa_float_denorm_mode_32 3
		.amdhsa_float_denorm_mode_16_64 3
		.amdhsa_dx10_clamp 1
		.amdhsa_ieee_mode 1
		.amdhsa_fp16_overflow 0
		.amdhsa_workgroup_processor_mode 1
		.amdhsa_memory_ordered 1
		.amdhsa_forward_progress 0
		.amdhsa_shared_vgpr_count 0
		.amdhsa_exception_fp_ieee_invalid_op 0
		.amdhsa_exception_fp_denorm_src 0
		.amdhsa_exception_fp_ieee_div_zero 0
		.amdhsa_exception_fp_ieee_overflow 0
		.amdhsa_exception_fp_ieee_underflow 0
		.amdhsa_exception_fp_ieee_inexact 0
		.amdhsa_exception_int_div_zero 0
	.end_amdhsa_kernel
	.section	.text._ZN12_GLOBAL__N_120geam_min_plus_kernelIDF16_Dv2_DF16_S1_Li8ELi32ELi64ELi128ELi4ELi64ELi4ELi4ELi64ELc78ELc78ELb0ELb0ELb0EPKDF16_S2_DF16_EEviiiT16_PT17_ilS6_ilS4_S6_ilPT18_ili26rocblas_geam_ex_operation_,"axG",@progbits,_ZN12_GLOBAL__N_120geam_min_plus_kernelIDF16_Dv2_DF16_S1_Li8ELi32ELi64ELi128ELi4ELi64ELi4ELi4ELi64ELc78ELc78ELb0ELb0ELb0EPKDF16_S2_DF16_EEviiiT16_PT17_ilS6_ilS4_S6_ilPT18_ili26rocblas_geam_ex_operation_,comdat
.Lfunc_end282:
	.size	_ZN12_GLOBAL__N_120geam_min_plus_kernelIDF16_Dv2_DF16_S1_Li8ELi32ELi64ELi128ELi4ELi64ELi4ELi4ELi64ELc78ELc78ELb0ELb0ELb0EPKDF16_S2_DF16_EEviiiT16_PT17_ilS6_ilS4_S6_ilPT18_ili26rocblas_geam_ex_operation_, .Lfunc_end282-_ZN12_GLOBAL__N_120geam_min_plus_kernelIDF16_Dv2_DF16_S1_Li8ELi32ELi64ELi128ELi4ELi64ELi4ELi4ELi64ELc78ELc78ELb0ELb0ELb0EPKDF16_S2_DF16_EEviiiT16_PT17_ilS6_ilS4_S6_ilPT18_ili26rocblas_geam_ex_operation_
                                        ; -- End function
	.section	.AMDGPU.csdata,"",@progbits
; Kernel info:
; codeLenInByte = 10180
; NumSgprs: 26
; NumVgprs: 125
; ScratchSize: 0
; MemoryBound: 0
; FloatMode: 240
; IeeeMode: 1
; LDSByteSize: 3072 bytes/workgroup (compile time only)
; SGPRBlocks: 3
; VGPRBlocks: 15
; NumSGPRsForWavesPerEU: 26
; NumVGPRsForWavesPerEU: 125
; Occupancy: 10
; WaveLimiterHint : 0
; COMPUTE_PGM_RSRC2:SCRATCH_EN: 0
; COMPUTE_PGM_RSRC2:USER_SGPR: 14
; COMPUTE_PGM_RSRC2:TRAP_HANDLER: 0
; COMPUTE_PGM_RSRC2:TGID_X_EN: 1
; COMPUTE_PGM_RSRC2:TGID_Y_EN: 0
; COMPUTE_PGM_RSRC2:TGID_Z_EN: 1
; COMPUTE_PGM_RSRC2:TIDIG_COMP_CNT: 1
	.section	.text._ZN12_GLOBAL__N_120geam_min_plus_kernelIDF16_Dv2_DF16_S1_Li8ELi32ELi64ELi128ELi4ELi64ELi4ELi4ELi64ELc78ELc78ELb1ELb0ELb0EDF16_KDF16_DF16_EEviiiT16_PT17_ilS5_ilS3_S5_ilPT18_ili26rocblas_geam_ex_operation_,"axG",@progbits,_ZN12_GLOBAL__N_120geam_min_plus_kernelIDF16_Dv2_DF16_S1_Li8ELi32ELi64ELi128ELi4ELi64ELi4ELi4ELi64ELc78ELc78ELb1ELb0ELb0EDF16_KDF16_DF16_EEviiiT16_PT17_ilS5_ilS3_S5_ilPT18_ili26rocblas_geam_ex_operation_,comdat
	.globl	_ZN12_GLOBAL__N_120geam_min_plus_kernelIDF16_Dv2_DF16_S1_Li8ELi32ELi64ELi128ELi4ELi64ELi4ELi4ELi64ELc78ELc78ELb1ELb0ELb0EDF16_KDF16_DF16_EEviiiT16_PT17_ilS5_ilS3_S5_ilPT18_ili26rocblas_geam_ex_operation_ ; -- Begin function _ZN12_GLOBAL__N_120geam_min_plus_kernelIDF16_Dv2_DF16_S1_Li8ELi32ELi64ELi128ELi4ELi64ELi4ELi4ELi64ELc78ELc78ELb1ELb0ELb0EDF16_KDF16_DF16_EEviiiT16_PT17_ilS5_ilS3_S5_ilPT18_ili26rocblas_geam_ex_operation_
	.p2align	8
	.type	_ZN12_GLOBAL__N_120geam_min_plus_kernelIDF16_Dv2_DF16_S1_Li8ELi32ELi64ELi128ELi4ELi64ELi4ELi4ELi64ELc78ELc78ELb1ELb0ELb0EDF16_KDF16_DF16_EEviiiT16_PT17_ilS5_ilS3_S5_ilPT18_ili26rocblas_geam_ex_operation_,@function
_ZN12_GLOBAL__N_120geam_min_plus_kernelIDF16_Dv2_DF16_S1_Li8ELi32ELi64ELi128ELi4ELi64ELi4ELi4ELi64ELc78ELc78ELb1ELb0ELb0EDF16_KDF16_DF16_EEviiiT16_PT17_ilS5_ilS3_S5_ilPT18_ili26rocblas_geam_ex_operation_: ; @_ZN12_GLOBAL__N_120geam_min_plus_kernelIDF16_Dv2_DF16_S1_Li8ELi32ELi64ELi128ELi4ELi64ELi4ELi4ELi64ELc78ELc78ELb1ELb0ELb0EDF16_KDF16_DF16_EEviiiT16_PT17_ilS5_ilS3_S5_ilPT18_ili26rocblas_geam_ex_operation_
; %bb.0:
	s_clause 0x1
	s_load_b64 s[8:9], s[0:1], 0x8
	s_load_b128 s[4:7], s[0:1], 0x20
	s_waitcnt lgkmcnt(0)
	v_cmp_eq_f16_e64 s2, s9, 0
	s_delay_alu instid0(VALU_DEP_1)
	s_and_b32 vcc_lo, exec_lo, s2
	s_cbranch_vccnz .LBB283_3
; %bb.1:
	s_load_b64 s[10:11], s[0:1], 0x10
	s_mul_i32 s3, s15, s5
	s_mul_hi_u32 s5, s15, s4
	s_mul_i32 s4, s15, s4
	s_add_i32 s5, s5, s3
	s_delay_alu instid0(SALU_CYCLE_1)
	s_lshl_b64 s[4:5], s[4:5], 1
	s_waitcnt lgkmcnt(0)
	s_add_u32 s10, s10, s4
	s_addc_u32 s11, s11, s5
	s_and_not1_b32 vcc_lo, exec_lo, s2
	s_cbranch_vccnz .LBB283_4
.LBB283_2:
	s_mov_b32 s19, 0
	s_mov_b64 s[12:13], 0
	s_cbranch_execz .LBB283_5
	s_branch .LBB283_6
.LBB283_3:
	s_mov_b64 s[10:11], 0
	s_and_not1_b32 vcc_lo, exec_lo, s2
	s_cbranch_vccz .LBB283_2
.LBB283_4:
	s_mov_b32 s19, -1
                                        ; implicit-def: $sgpr12_sgpr13
.LBB283_5:
	s_load_b64 s[2:3], s[0:1], 0x38
	s_mov_b32 s19, 0
	s_waitcnt lgkmcnt(0)
	s_mul_i32 s3, s15, s3
	s_mul_hi_u32 s4, s15, s2
	s_mul_i32 s2, s15, s2
	s_add_i32 s3, s4, s3
	s_delay_alu instid0(SALU_CYCLE_1) | instskip(NEXT) | instid1(SALU_CYCLE_1)
	s_lshl_b64 s[2:3], s[2:3], 1
	s_add_u32 s12, s6, s2
	s_addc_u32 s13, s7, s3
.LBB283_6:
	s_clause 0x1
	s_load_b32 s18, s[0:1], 0x40
	s_load_b128 s[4:7], s[0:1], 0x58
	s_waitcnt lgkmcnt(0)
	v_cmp_eq_f16_e64 s2, s18, 0
	s_delay_alu instid0(VALU_DEP_1) | instskip(NEXT) | instid1(SALU_CYCLE_1)
	s_and_b32 s2, exec_lo, s2
	s_mov_b32 vcc_lo, s2
	s_cbranch_vccnz .LBB283_8
; %bb.7:
	s_load_b64 s[16:17], s[0:1], 0x48
	s_mul_i32 s3, s15, s5
	s_mul_hi_u32 s5, s15, s4
	s_delay_alu instid0(SALU_CYCLE_1) | instskip(SKIP_3) | instid1(SALU_CYCLE_1)
	s_add_i32 s3, s5, s3
	s_mul_i32 s5, s19, s4
	s_mul_i32 s4, s15, s4
	s_add_i32 s5, s3, s5
	s_lshl_b64 s[4:5], s[4:5], 1
	s_waitcnt lgkmcnt(0)
	s_add_u32 s4, s16, s4
	s_addc_u32 s5, s17, s5
	s_branch .LBB283_9
.LBB283_8:
	s_mov_b64 s[4:5], 0
.LBB283_9:
	s_clause 0x2
	s_load_b32 s3, s[0:1], 0x0
	s_load_b32 s16, s[0:1], 0x18
	;; [unrolled: 1-line block ×3, first 2 shown]
	v_bfe_u32 v8, v0, 10, 10
	v_and_b32_e32 v7, 0x3ff, v0
	s_delay_alu instid0(VALU_DEP_2) | instskip(NEXT) | instid1(VALU_DEP_2)
	v_lshlrev_b32_e32 v6, 3, v8
	v_and_b32_e32 v0, 3, v7
	s_delay_alu instid0(VALU_DEP_1) | instskip(SKIP_2) | instid1(SALU_CYCLE_1)
	v_lshlrev_b32_e32 v10, 1, v0
	s_waitcnt lgkmcnt(0)
	s_add_i32 s3, s3, -1
	s_ashr_i32 s17, s3, 31
	s_delay_alu instid0(SALU_CYCLE_1) | instskip(NEXT) | instid1(SALU_CYCLE_1)
	s_lshr_b32 s17, s17, 26
	s_add_i32 s3, s3, s17
	s_delay_alu instid0(SALU_CYCLE_1) | instskip(NEXT) | instid1(SALU_CYCLE_1)
	s_ashr_i32 s3, s3, 6
	s_add_i32 s17, s3, 1
	s_not_b32 s3, s3
	v_cvt_f32_u32_e32 v1, s17
	s_delay_alu instid0(VALU_DEP_1) | instskip(SKIP_2) | instid1(VALU_DEP_1)
	v_rcp_iflag_f32_e32 v1, v1
	s_waitcnt_depctr 0xfff
	v_mul_f32_e32 v1, 0x4f7ffffe, v1
	v_cvt_u32_f32_e32 v1, v1
	s_delay_alu instid0(VALU_DEP_1) | instskip(SKIP_1) | instid1(VALU_DEP_2)
	v_readfirstlane_b32 s20, v1
	v_add_nc_u32_e32 v1, v6, v7
	s_mul_i32 s3, s3, s20
	s_delay_alu instid0(VALU_DEP_1)
	v_lshrrev_b32_e32 v15, 2, v1
	s_mul_hi_u32 s3, s20, s3
	v_lshrrev_b32_e32 v16, 6, v1
	s_add_i32 s20, s20, s3
	v_and_b32_e32 v9, 63, v1
	s_mul_hi_u32 s3, s14, s20
	s_delay_alu instid0(VALU_DEP_2) | instskip(SKIP_3) | instid1(SALU_CYCLE_1)
	v_mad_i64_i32 v[0:1], null, s16, v16, 0
	s_mul_i32 s20, s3, s17
	s_add_i32 s21, s3, 1
	s_sub_i32 s20, s14, s20
	s_sub_i32 s22, s20, s17
	s_cmp_ge_u32 s20, s17
	s_delay_alu instid0(VALU_DEP_1)
	v_lshlrev_b64 v[0:1], 1, v[0:1]
	s_cselect_b32 s3, s21, s3
	s_cselect_b32 s20, s22, s20
	s_add_i32 s21, s3, 1
	s_cmp_ge_u32 s20, s17
	s_cselect_b32 s3, s21, s3
	v_add_co_u32 v13, vcc_lo, s10, v0
	s_lshl_b32 s20, s3, 7
	s_mul_i32 s17, s3, s17
	v_add_nc_u32_e32 v3, s20, v15
	s_sub_i32 s3, s14, s17
	v_add_co_u32 v17, s14, s12, v10
	s_lshl_b32 s3, s3, 6
	s_delay_alu instid0(VALU_DEP_2) | instskip(SKIP_4) | instid1(VALU_DEP_3)
	v_mad_i64_i32 v[4:5], null, v3, s9, 0
	v_or_b32_e32 v2, s3, v9
	v_add_nc_u32_e32 v3, 64, v3
	v_add_co_ci_u32_e64 v18, null, s13, 0, s14
	v_add_co_ci_u32_e32 v14, vcc_lo, s11, v1, vcc_lo
	v_mad_i64_i32 v[11:12], null, v3, s9, 0
	v_ashrrev_i32_e32 v3, 31, v2
	v_lshlrev_b64 v[4:5], 1, v[4:5]
	s_cmp_lt_i32 s8, 9
	s_delay_alu instid0(VALU_DEP_2) | instskip(NEXT) | instid1(VALU_DEP_4)
	v_lshlrev_b64 v[2:3], 1, v[2:3]
	v_lshlrev_b64 v[0:1], 1, v[11:12]
	s_delay_alu instid0(VALU_DEP_3) | instskip(NEXT) | instid1(VALU_DEP_4)
	v_add_co_u32 v11, vcc_lo, v17, v4
	v_add_co_ci_u32_e32 v12, vcc_lo, v18, v5, vcc_lo
	s_delay_alu instid0(VALU_DEP_4)
	v_add_co_u32 v13, vcc_lo, v13, v2
	v_add_co_ci_u32_e32 v14, vcc_lo, v14, v3, vcc_lo
	v_add_co_u32 v17, vcc_lo, v17, v0
	v_add_co_ci_u32_e32 v18, vcc_lo, v18, v1, vcc_lo
	flat_load_u16 v19, v[11:12]
	flat_load_u16 v13, v[13:14]
	s_clause 0x2
	flat_load_u16 v20, v[17:18]
	flat_load_u16 v50, v[17:18] offset:8
	flat_load_u16 v41, v[11:12] offset:8
	v_add_nc_u32_e32 v14, 4, v16
	s_delay_alu instid0(VALU_DEP_1) | instskip(SKIP_2) | instid1(VALU_DEP_2)
	v_mad_i64_i32 v[11:12], null, s16, v14, 0
	v_lshlrev_b32_e32 v14, 3, v9
	v_lshlrev_b32_e32 v9, 3, v7
	v_lshl_add_u32 v14, v16, 1, v14
	s_delay_alu instid0(VALU_DEP_4) | instskip(NEXT) | instid1(VALU_DEP_1)
	v_lshlrev_b64 v[11:12], 1, v[11:12]
	v_add_co_u32 v11, vcc_lo, s10, v11
	s_delay_alu instid0(VALU_DEP_2) | instskip(NEXT) | instid1(VALU_DEP_2)
	v_add_co_ci_u32_e32 v12, vcc_lo, s11, v12, vcc_lo
	v_add_co_u32 v11, vcc_lo, v11, v2
	s_delay_alu instid0(VALU_DEP_2)
	v_add_co_ci_u32_e32 v12, vcc_lo, v12, v3, vcc_lo
	flat_load_u16 v12, v[11:12]
	v_lshl_or_b32 v11, v15, 3, v10
	v_add_nc_u32_e32 v15, 0x800, v9
	s_waitcnt vmcnt(5) lgkmcnt(5)
	ds_store_b16 v11, v19
	s_waitcnt vmcnt(4) lgkmcnt(5)
	ds_store_b16 v14, v13 offset:2048
	s_waitcnt vmcnt(3) lgkmcnt(5)
	ds_store_b16 v11, v20 offset:512
	s_waitcnt vmcnt(0) lgkmcnt(0)
	s_barrier
	buffer_gl0_inv
	ds_load_2addr_b64 v[17:20], v6 offset1:32
	ds_load_2addr_b64 v[21:24], v15 offset0:48 offset1:56
	ds_load_2addr_b64 v[25:28], v6 offset0:64 offset1:96
	ds_load_2addr_b64 v[29:32], v15 offset1:8
	ds_load_2addr_b64 v[33:36], v15 offset0:16 offset1:24
	ds_load_2addr_b64 v[37:40], v15 offset0:32 offset1:40
	ds_store_b16 v11, v41 offset:1024
	ds_store_b16 v14, v12 offset:2560
	;; [unrolled: 1-line block ×3, first 2 shown]
	s_waitcnt lgkmcnt(8)
	v_pk_max_f16 v13, v17, v17
	s_waitcnt lgkmcnt(7)
	v_pk_max_f16 v15, v23, v23
	v_pk_max_f16 v17, v19, v19
	s_waitcnt lgkmcnt(6)
	v_pk_max_f16 v19, v25, v25
	s_waitcnt lgkmcnt(5)
	v_pk_max_f16 v23, v29, v29
	v_pk_max_f16 v25, v27, v27
	v_pk_max_f16 v27, v31, v31
	s_waitcnt lgkmcnt(4)
	v_pk_max_f16 v29, v33, v33
	v_pk_max_f16 v31, v35, v35
	s_waitcnt lgkmcnt(3)
	v_pk_max_f16 v33, v37, v37
	v_pk_max_f16 v35, v39, v39
	v_pk_max_f16 v21, v21, v21
	v_pk_max_f16 v18, v18, v18
	v_pk_max_f16 v24, v24, v24
	v_pk_max_f16 v20, v20, v20
	v_pk_max_f16 v26, v26, v26
	v_pk_max_f16 v30, v30, v30
	v_pk_max_f16 v28, v28, v28
	v_pk_max_f16 v32, v32, v32
	v_pk_max_f16 v34, v34, v34
	v_pk_max_f16 v36, v36, v36
	v_pk_max_f16 v37, v38, v38
	v_pk_max_f16 v38, v40, v40
	v_pk_max_f16 v22, v22, v22
	v_pk_min_f16 v39, v15, v13
	v_pk_min_f16 v40, v15, v17
	;; [unrolled: 1-line block ×64, first 2 shown]
	v_pk_add_f16 v26, v39, 0
	v_pk_add_f16 v28, v40, 0
	;; [unrolled: 1-line block ×64, first 2 shown]
	s_waitcnt lgkmcnt(0)
	s_barrier
	buffer_gl0_inv
	s_cbranch_scc1 .LBB283_12
; %bb.10:
	v_add_nc_u32_e32 v18, 8, v16
	v_add_nc_u32_e32 v19, 12, v16
	v_add_co_u32 v16, vcc_lo, s10, v2
	v_add_co_ci_u32_e32 v17, vcc_lo, s11, v3, vcc_lo
	s_delay_alu instid0(VALU_DEP_4) | instskip(NEXT) | instid1(VALU_DEP_4)
	v_mad_i64_i32 v[2:3], null, v18, s16, 0
	v_mad_i64_i32 v[22:23], null, v19, s16, 0
	v_add_co_u32 v20, vcc_lo, s12, v0
	v_add_co_ci_u32_e32 v21, vcc_lo, s13, v1, vcc_lo
	v_add_co_u32 v4, vcc_lo, s12, v4
	v_lshlrev_b64 v[0:1], 1, v[2:3]
	v_lshlrev_b64 v[2:3], 1, v[22:23]
	v_or_b32_e32 v12, 0x800, v14
	v_add_nc_u32_e32 v13, 0x800, v9
	v_add_nc_u32_e32 v14, 0xa00, v14
	;; [unrolled: 1-line block ×3, first 2 shown]
	v_lshl_add_u32 v18, v7, 3, 0xa00
	v_add_nc_u32_e32 v19, 0x400, v6
	v_add_co_ci_u32_e32 v5, vcc_lo, s13, v5, vcc_lo
	s_ashr_i32 s17, s16, 31
	s_add_i32 s10, s8, -8
	s_lshl_b64 s[8:9], s[16:17], 4
	s_mov_b32 s11, 0
.LBB283_11:                             ; =>This Inner Loop Header: Depth=1
	v_add_co_u32 v22, vcc_lo, v16, v0
	v_add_co_ci_u32_e32 v23, vcc_lo, v17, v1, vcc_lo
	s_add_i32 s11, s11, 8
	s_delay_alu instid0(SALU_CYCLE_1)
	s_cmp_ge_i32 s11, s10
	flat_load_u16 v24, v[22:23]
	v_add_co_u32 v22, vcc_lo, v4, v10
	v_add_co_ci_u32_e32 v23, vcc_lo, 0, v5, vcc_lo
	v_add_co_u32 v78, vcc_lo, v20, v10
	v_add_co_ci_u32_e32 v79, vcc_lo, 0, v21, vcc_lo
	flat_load_u16 v52, v[22:23] offset:16
	flat_load_u16 v54, v[78:79] offset:16
	ds_load_2addr_b64 v[62:65], v18 offset0:48 offset1:56
	ds_load_2addr_b64 v[66:69], v19 offset0:64 offset1:96
	ds_load_2addr_b64 v[70:73], v19 offset1:32
	ds_load_2addr_b64 v[74:77], v18 offset1:8
	s_waitcnt lgkmcnt(3)
	v_pk_max_f16 v57, v64, v64
	s_waitcnt lgkmcnt(2)
	v_pk_max_f16 v66, v66, v66
	;; [unrolled: 2-line block ×3, first 2 shown]
	v_pk_max_f16 v70, v72, v72
	v_pk_max_f16 v68, v68, v68
	s_delay_alu instid0(VALU_DEP_3) | instskip(NEXT) | instid1(VALU_DEP_1)
	v_pk_min_f16 v50, v57, v59
	v_pk_add_f16 v64, v50, v49
	s_delay_alu instid0(VALU_DEP_4) | instskip(NEXT) | instid1(VALU_DEP_1)
	v_pk_min_f16 v49, v57, v70
	v_pk_add_f16 v41, v49, v41
	v_pk_min_f16 v49, v57, v66
	s_delay_alu instid0(VALU_DEP_1) | instskip(SKIP_2) | instid1(VALU_DEP_1)
	v_pk_add_f16 v72, v49, v33
	s_waitcnt lgkmcnt(0)
	v_pk_max_f16 v33, v74, v74
	v_pk_min_f16 v49, v33, v59
	s_delay_alu instid0(VALU_DEP_1) | instskip(SKIP_1) | instid1(VALU_DEP_1)
	v_pk_add_f16 v56, v49, v56
	v_pk_min_f16 v49, v33, v70
	v_pk_add_f16 v74, v49, v48
	v_pk_min_f16 v48, v33, v66
	v_pk_min_f16 v33, v33, v68
	s_delay_alu instid0(VALU_DEP_2) | instskip(NEXT) | instid1(VALU_DEP_2)
	v_pk_add_f16 v40, v48, v40
	v_pk_add_f16 v80, v33, v32
	v_pk_max_f16 v32, v76, v76
	s_delay_alu instid0(VALU_DEP_1) | instskip(NEXT) | instid1(VALU_DEP_1)
	v_pk_min_f16 v33, v32, v59
	v_pk_add_f16 v58, v33, v58
	v_pk_min_f16 v33, v32, v70
	s_delay_alu instid0(VALU_DEP_1) | instskip(SKIP_3) | instid1(VALU_DEP_2)
	v_pk_add_f16 v76, v33, v47
	ds_load_2addr_b64 v[47:50], v18 offset0:16 offset1:24
	v_pk_min_f16 v33, v32, v66
	v_pk_min_f16 v32, v32, v68
	v_pk_add_f16 v39, v33, v39
	s_delay_alu instid0(VALU_DEP_2) | instskip(SKIP_4) | instid1(VALU_DEP_3)
	v_pk_add_f16 v81, v32, v31
	s_waitcnt lgkmcnt(0)
	v_pk_max_f16 v31, v47, v47
	v_pk_max_f16 v48, v48, v48
	;; [unrolled: 1-line block ×3, first 2 shown]
	v_pk_min_f16 v32, v31, v59
	s_delay_alu instid0(VALU_DEP_1) | instskip(SKIP_1) | instid1(VALU_DEP_1)
	v_pk_add_f16 v47, v32, v61
	v_pk_min_f16 v32, v31, v70
	v_pk_add_f16 v46, v32, v46
	v_pk_min_f16 v32, v31, v66
	v_pk_min_f16 v31, v31, v68
	s_delay_alu instid0(VALU_DEP_2) | instskip(NEXT) | instid1(VALU_DEP_2)
	v_pk_add_f16 v38, v32, v38
	v_pk_add_f16 v61, v31, v30
	v_pk_max_f16 v30, v49, v49
	s_delay_alu instid0(VALU_DEP_1) | instskip(NEXT) | instid1(VALU_DEP_1)
	v_pk_min_f16 v31, v30, v59
	v_pk_add_f16 v49, v31, v60
	v_pk_min_f16 v31, v30, v70
	s_delay_alu instid0(VALU_DEP_1) | instskip(SKIP_2) | instid1(VALU_DEP_2)
	v_pk_add_f16 v45, v31, v45
	v_pk_min_f16 v31, v30, v66
	v_pk_min_f16 v30, v30, v68
	v_pk_add_f16 v37, v31, v37
	s_delay_alu instid0(VALU_DEP_2)
	v_pk_add_f16 v28, v30, v28
	ds_load_2addr_b64 v[30:33], v18 offset0:32 offset1:40
	s_waitcnt vmcnt(2)
	ds_store_b16 v12, v24
	s_waitcnt vmcnt(1)
	ds_store_b16 v11, v52
	s_waitcnt vmcnt(0)
	ds_store_b16 v11, v54 offset:512
	s_waitcnt lgkmcnt(3)
	v_pk_max_f16 v30, v30, v30
	v_add_co_u32 v24, vcc_lo, v16, v2
	s_waitcnt lgkmcnt(0)
	s_barrier
	s_delay_alu instid0(VALU_DEP_2) | instskip(SKIP_3) | instid1(VALU_DEP_1)
	v_pk_min_f16 v60, v30, v59
	buffer_gl0_inv
	v_pk_add_f16 v55, v60, v55
	v_pk_min_f16 v60, v30, v70
	v_pk_add_f16 v43, v60, v43
	v_pk_min_f16 v60, v30, v66
	v_pk_min_f16 v30, v30, v68
	s_delay_alu instid0(VALU_DEP_2) | instskip(NEXT) | instid1(VALU_DEP_2)
	v_pk_add_f16 v35, v60, v35
	v_pk_add_f16 v27, v30, v27
	v_pk_max_f16 v30, v32, v32
	s_delay_alu instid0(VALU_DEP_1) | instskip(NEXT) | instid1(VALU_DEP_1)
	v_pk_min_f16 v32, v30, v59
	v_pk_add_f16 v32, v32, v51
	v_pk_min_f16 v51, v30, v70
	s_delay_alu instid0(VALU_DEP_1) | instskip(SKIP_2) | instid1(VALU_DEP_2)
	v_pk_add_f16 v42, v51, v42
	v_pk_min_f16 v51, v30, v66
	v_pk_min_f16 v30, v30, v68
	v_pk_add_f16 v34, v51, v34
	s_delay_alu instid0(VALU_DEP_2) | instskip(SKIP_1) | instid1(VALU_DEP_1)
	v_pk_add_f16 v26, v30, v26
	v_pk_max_f16 v30, v62, v62
	v_pk_min_f16 v51, v30, v59
	v_pk_max_f16 v59, v73, v73
	s_delay_alu instid0(VALU_DEP_2) | instskip(SKIP_1) | instid1(VALU_DEP_1)
	v_pk_add_f16 v51, v51, v53
	v_pk_min_f16 v53, v30, v70
	v_pk_add_f16 v44, v53, v44
	v_pk_min_f16 v53, v30, v66
	v_pk_min_f16 v30, v30, v68
	s_delay_alu instid0(VALU_DEP_2) | instskip(NEXT) | instid1(VALU_DEP_2)
	v_pk_add_f16 v36, v53, v36
	v_pk_add_f16 v29, v30, v29
	v_pk_min_f16 v30, v57, v68
	v_pk_max_f16 v53, v71, v71
	s_delay_alu instid0(VALU_DEP_2) | instskip(SKIP_1) | instid1(VALU_DEP_1)
	v_pk_add_f16 v25, v30, v25
	v_pk_max_f16 v30, v65, v65
	v_pk_min_f16 v57, v30, v53
	v_pk_min_f16 v60, v30, v59
	s_delay_alu instid0(VALU_DEP_2) | instskip(NEXT) | instid1(VALU_DEP_2)
	v_pk_add_f16 v57, v57, v64
	v_pk_add_f16 v41, v60, v41
	v_pk_max_f16 v60, v67, v67
	v_pk_max_f16 v64, v75, v75
	;; [unrolled: 1-line block ×3, first 2 shown]
	s_delay_alu instid0(VALU_DEP_3) | instskip(NEXT) | instid1(VALU_DEP_3)
	v_pk_min_f16 v62, v30, v60
	v_pk_min_f16 v66, v64, v60
	;; [unrolled: 1-line block ×3, first 2 shown]
	s_delay_alu instid0(VALU_DEP_4) | instskip(NEXT) | instid1(VALU_DEP_4)
	v_pk_min_f16 v68, v67, v53
	v_pk_add_f16 v62, v62, v72
	s_delay_alu instid0(VALU_DEP_4)
	v_pk_add_f16 v40, v66, v40
	v_pk_max_f16 v66, v69, v69
	v_pk_min_f16 v69, v67, v60
	v_pk_add_f16 v56, v65, v56
	v_pk_min_f16 v65, v64, v59
	v_pk_add_f16 v58, v68, v58
	;; [unrolled: 2-line block ×3, first 2 shown]
	v_pk_min_f16 v69, v48, v53
	v_pk_min_f16 v64, v64, v66
	;; [unrolled: 1-line block ×3, first 2 shown]
	v_pk_add_f16 v65, v65, v74
	v_pk_add_f16 v68, v68, v76
	;; [unrolled: 1-line block ×3, first 2 shown]
	v_pk_min_f16 v69, v48, v59
	v_pk_add_f16 v64, v64, v80
	v_pk_add_f16 v67, v67, v81
	s_delay_alu instid0(VALU_DEP_3) | instskip(SKIP_2) | instid1(VALU_DEP_2)
	v_pk_add_f16 v46, v69, v46
	v_pk_min_f16 v69, v48, v60
	v_pk_min_f16 v48, v48, v66
	v_pk_add_f16 v38, v69, v38
	s_delay_alu instid0(VALU_DEP_2) | instskip(SKIP_1) | instid1(VALU_DEP_1)
	v_pk_add_f16 v48, v48, v61
	v_pk_min_f16 v61, v50, v53
	v_pk_add_f16 v49, v61, v49
	v_pk_min_f16 v61, v50, v59
	s_delay_alu instid0(VALU_DEP_1) | instskip(SKIP_1) | instid1(VALU_DEP_1)
	v_pk_add_f16 v45, v61, v45
	v_pk_min_f16 v61, v50, v60
	v_pk_add_f16 v61, v61, v37
	v_pk_min_f16 v37, v50, v66
	s_delay_alu instid0(VALU_DEP_1) | instskip(SKIP_1) | instid1(VALU_DEP_1)
	v_pk_add_f16 v50, v37, v28
	v_pk_max_f16 v28, v31, v31
	v_pk_min_f16 v31, v28, v53
	s_delay_alu instid0(VALU_DEP_1) | instskip(SKIP_1) | instid1(VALU_DEP_1)
	v_pk_add_f16 v55, v31, v55
	v_pk_min_f16 v31, v28, v59
	v_pk_add_f16 v69, v31, v43
	v_pk_min_f16 v31, v28, v60
	v_pk_min_f16 v28, v28, v66
	s_delay_alu instid0(VALU_DEP_2) | instskip(NEXT) | instid1(VALU_DEP_2)
	v_pk_add_f16 v70, v31, v35
	v_pk_add_f16 v71, v28, v27
	v_pk_max_f16 v27, v33, v33
	s_delay_alu instid0(VALU_DEP_1) | instskip(NEXT) | instid1(VALU_DEP_1)
	v_pk_min_f16 v28, v27, v53
	v_pk_add_f16 v72, v28, v32
	v_pk_min_f16 v28, v27, v59
	s_delay_alu instid0(VALU_DEP_1) | instskip(SKIP_2) | instid1(VALU_DEP_2)
	v_pk_add_f16 v73, v28, v42
	v_pk_min_f16 v28, v27, v60
	v_pk_min_f16 v27, v27, v66
	v_pk_add_f16 v74, v28, v34
	s_delay_alu instid0(VALU_DEP_2) | instskip(SKIP_1) | instid1(VALU_DEP_1)
	v_pk_add_f16 v75, v27, v26
	v_pk_max_f16 v26, v63, v63
	v_pk_min_f16 v27, v26, v53
	s_delay_alu instid0(VALU_DEP_1) | instskip(SKIP_1) | instid1(VALU_DEP_1)
	v_pk_add_f16 v53, v27, v51
	v_pk_min_f16 v27, v26, v59
	v_pk_add_f16 v59, v27, v44
	v_pk_min_f16 v27, v26, v60
	v_pk_min_f16 v26, v26, v66
	s_delay_alu instid0(VALU_DEP_2) | instskip(NEXT) | instid1(VALU_DEP_2)
	v_pk_add_f16 v60, v27, v36
	v_pk_add_f16 v63, v26, v29
	v_pk_min_f16 v26, v30, v66
	s_delay_alu instid0(VALU_DEP_1)
	v_pk_add_f16 v66, v26, v25
	v_add_co_ci_u32_e32 v25, vcc_lo, v17, v3, vcc_lo
	flat_load_u16 v54, v[24:25]
	flat_load_u16 v76, v[22:23] offset:24
	flat_load_u16 v77, v[78:79] offset:24
	ds_load_2addr_b64 v[22:25], v13 offset0:48 offset1:56
	ds_load_2addr_b64 v[26:29], v6 offset0:64 offset1:96
	ds_load_2addr_b64 v[30:33], v6 offset1:32
	v_add_co_u32 v20, vcc_lo, v20, 16
	v_add_co_ci_u32_e32 v21, vcc_lo, 0, v21, vcc_lo
	v_add_co_u32 v4, vcc_lo, v4, 16
	v_add_co_ci_u32_e32 v5, vcc_lo, 0, v5, vcc_lo
	;; [unrolled: 2-line block ×3, first 2 shown]
	s_waitcnt lgkmcnt(2)
	v_pk_max_f16 v24, v24, v24
	s_waitcnt lgkmcnt(1)
	v_pk_max_f16 v26, v26, v26
	;; [unrolled: 2-line block ×3, first 2 shown]
	v_pk_max_f16 v32, v32, v32
	v_pk_max_f16 v28, v28, v28
	;; [unrolled: 1-line block ×4, first 2 shown]
	v_pk_min_f16 v34, v24, v30
	v_pk_max_f16 v23, v23, v23
	s_delay_alu instid0(VALU_DEP_2) | instskip(SKIP_1) | instid1(VALU_DEP_1)
	v_pk_add_f16 v57, v34, v57
	v_pk_min_f16 v34, v24, v32
	v_pk_add_f16 v78, v34, v41
	v_pk_min_f16 v34, v24, v26
	v_pk_min_f16 v24, v24, v28
	s_delay_alu instid0(VALU_DEP_2)
	v_pk_add_f16 v62, v34, v62
	ds_load_2addr_b64 v[34:37], v13 offset1:8
	v_pk_add_f16 v24, v24, v66
	v_pk_max_f16 v66, v27, v27
	s_waitcnt lgkmcnt(0)
	v_pk_max_f16 v34, v34, v34
	v_pk_max_f16 v36, v36, v36
	s_delay_alu instid0(VALU_DEP_2) | instskip(NEXT) | instid1(VALU_DEP_1)
	v_pk_min_f16 v41, v34, v30
	v_pk_add_f16 v56, v41, v56
	v_pk_min_f16 v41, v34, v32
	s_delay_alu instid0(VALU_DEP_1) | instskip(SKIP_2) | instid1(VALU_DEP_2)
	v_pk_add_f16 v65, v41, v65
	v_pk_min_f16 v41, v34, v26
	v_pk_min_f16 v34, v34, v28
	v_pk_add_f16 v40, v41, v40
	v_pk_min_f16 v41, v36, v30
	s_delay_alu instid0(VALU_DEP_3) | instskip(NEXT) | instid1(VALU_DEP_2)
	v_pk_add_f16 v34, v34, v64
	v_pk_add_f16 v58, v41, v58
	v_pk_min_f16 v41, v36, v32
	s_delay_alu instid0(VALU_DEP_1) | instskip(SKIP_2) | instid1(VALU_DEP_2)
	v_pk_add_f16 v64, v41, v68
	v_pk_min_f16 v41, v36, v26
	v_pk_min_f16 v36, v36, v28
	v_pk_add_f16 v39, v41, v39
	ds_load_2addr_b64 v[41:44], v13 offset0:16 offset1:24
	v_pk_add_f16 v36, v36, v67
	s_waitcnt lgkmcnt(0)
	v_pk_max_f16 v41, v41, v41
	s_delay_alu instid0(VALU_DEP_1) | instskip(NEXT) | instid1(VALU_DEP_1)
	v_pk_min_f16 v51, v41, v30
	v_pk_add_f16 v67, v51, v47
	v_pk_min_f16 v47, v41, v32
	s_delay_alu instid0(VALU_DEP_1) | instskip(SKIP_2) | instid1(VALU_DEP_2)
	v_pk_add_f16 v46, v47, v46
	v_pk_min_f16 v47, v41, v26
	v_pk_min_f16 v41, v41, v28
	v_pk_add_f16 v38, v47, v38
	s_delay_alu instid0(VALU_DEP_2) | instskip(SKIP_1) | instid1(VALU_DEP_1)
	v_pk_add_f16 v68, v41, v48
	v_pk_max_f16 v41, v43, v43
	v_pk_min_f16 v47, v41, v32
	v_pk_min_f16 v43, v41, v30
	s_delay_alu instid0(VALU_DEP_2) | instskip(SKIP_2) | instid1(VALU_DEP_4)
	v_pk_add_f16 v45, v47, v45
	v_pk_min_f16 v47, v41, v26
	v_pk_min_f16 v41, v41, v28
	v_pk_add_f16 v43, v43, v49
	s_delay_alu instid0(VALU_DEP_3) | instskip(NEXT) | instid1(VALU_DEP_3)
	v_pk_add_f16 v79, v47, v61
	v_pk_add_f16 v80, v41, v50
	ds_load_2addr_b64 v[49:52], v13 offset0:32 offset1:40
	s_waitcnt vmcnt(2)
	ds_store_b16 v14, v54
	s_waitcnt vmcnt(1)
	ds_store_b16 v15, v76
	s_waitcnt vmcnt(0)
	ds_store_b16 v15, v77 offset:512
	s_waitcnt lgkmcnt(3)
	v_pk_max_f16 v41, v49, v49
	s_waitcnt lgkmcnt(0)
	s_barrier
	buffer_gl0_inv
	v_pk_min_f16 v47, v41, v30
	s_delay_alu instid0(VALU_DEP_1) | instskip(SKIP_1) | instid1(VALU_DEP_1)
	v_pk_add_f16 v55, v47, v55
	v_pk_min_f16 v47, v41, v32
	v_pk_add_f16 v69, v47, v69
	v_pk_min_f16 v47, v41, v26
	v_pk_min_f16 v41, v41, v28
	s_delay_alu instid0(VALU_DEP_2) | instskip(NEXT) | instid1(VALU_DEP_2)
	v_pk_add_f16 v70, v47, v70
	v_pk_add_f16 v71, v41, v71
	v_pk_max_f16 v41, v51, v51
	s_delay_alu instid0(VALU_DEP_1) | instskip(SKIP_1) | instid1(VALU_DEP_2)
	v_pk_min_f16 v47, v41, v30
	v_pk_min_f16 v30, v22, v30
	v_pk_add_f16 v51, v47, v72
	v_pk_min_f16 v47, v41, v32
	s_delay_alu instid0(VALU_DEP_3) | instskip(SKIP_1) | instid1(VALU_DEP_3)
	v_pk_add_f16 v53, v30, v53
	v_pk_min_f16 v30, v22, v32
	v_pk_add_f16 v72, v47, v73
	v_pk_min_f16 v47, v41, v26
	v_pk_min_f16 v26, v22, v26
	;; [unrolled: 1-line block ×4, first 2 shown]
	v_pk_add_f16 v59, v30, v59
	v_pk_add_f16 v73, v47, v74
	s_delay_alu instid0(VALU_DEP_4) | instskip(SKIP_3) | instid1(VALU_DEP_3)
	v_pk_add_f16 v22, v22, v63
	v_pk_max_f16 v63, v31, v31
	v_pk_add_f16 v74, v41, v75
	v_pk_add_f16 v75, v26, v60
	v_pk_min_f16 v26, v25, v63
	s_delay_alu instid0(VALU_DEP_1) | instskip(SKIP_1) | instid1(VALU_DEP_1)
	v_pk_add_f16 v49, v26, v57
	v_pk_max_f16 v57, v33, v33
	v_pk_min_f16 v26, v25, v57
	s_delay_alu instid0(VALU_DEP_1) | instskip(SKIP_1) | instid1(VALU_DEP_1)
	v_pk_add_f16 v41, v26, v78
	v_pk_min_f16 v26, v25, v66
	v_pk_add_f16 v33, v26, v62
	v_pk_max_f16 v26, v35, v35
	v_pk_max_f16 v62, v29, v29
	s_delay_alu instid0(VALU_DEP_2) | instskip(NEXT) | instid1(VALU_DEP_1)
	v_pk_min_f16 v27, v26, v63
	v_pk_add_f16 v56, v27, v56
	v_pk_min_f16 v27, v26, v57
	s_delay_alu instid0(VALU_DEP_1) | instskip(SKIP_2) | instid1(VALU_DEP_2)
	v_pk_add_f16 v48, v27, v65
	v_pk_min_f16 v27, v26, v66
	v_pk_min_f16 v26, v26, v62
	v_pk_add_f16 v40, v27, v40
	s_delay_alu instid0(VALU_DEP_2) | instskip(SKIP_1) | instid1(VALU_DEP_1)
	v_pk_add_f16 v32, v26, v34
	v_pk_max_f16 v26, v37, v37
	v_pk_min_f16 v27, v26, v63
	s_delay_alu instid0(VALU_DEP_1) | instskip(SKIP_1) | instid1(VALU_DEP_1)
	v_pk_add_f16 v58, v27, v58
	v_pk_min_f16 v27, v26, v57
	v_pk_add_f16 v47, v27, v64
	v_pk_min_f16 v27, v26, v66
	v_pk_min_f16 v26, v26, v62
	s_delay_alu instid0(VALU_DEP_2) | instskip(NEXT) | instid1(VALU_DEP_2)
	v_pk_add_f16 v39, v27, v39
	v_pk_add_f16 v31, v26, v36
	v_pk_max_f16 v26, v42, v42
	s_delay_alu instid0(VALU_DEP_1) | instskip(NEXT) | instid1(VALU_DEP_1)
	v_pk_min_f16 v27, v26, v63
	v_pk_add_f16 v61, v27, v67
	v_pk_min_f16 v27, v26, v57
	s_delay_alu instid0(VALU_DEP_1) | instskip(SKIP_2) | instid1(VALU_DEP_2)
	v_pk_add_f16 v46, v27, v46
	v_pk_min_f16 v27, v26, v66
	v_pk_min_f16 v26, v26, v62
	v_pk_add_f16 v38, v27, v38
	s_delay_alu instid0(VALU_DEP_2) | instskip(SKIP_1) | instid1(VALU_DEP_1)
	v_pk_add_f16 v30, v26, v68
	v_pk_max_f16 v26, v44, v44
	v_pk_min_f16 v27, v26, v63
	s_delay_alu instid0(VALU_DEP_1) | instskip(SKIP_1) | instid1(VALU_DEP_1)
	v_pk_add_f16 v60, v27, v43
	v_pk_min_f16 v27, v26, v57
	v_pk_add_f16 v45, v27, v45
	v_pk_min_f16 v27, v26, v66
	v_pk_min_f16 v26, v26, v62
	s_delay_alu instid0(VALU_DEP_2) | instskip(NEXT) | instid1(VALU_DEP_2)
	v_pk_add_f16 v37, v27, v79
	v_pk_add_f16 v28, v26, v80
	v_pk_max_f16 v26, v50, v50
	s_delay_alu instid0(VALU_DEP_1) | instskip(NEXT) | instid1(VALU_DEP_1)
	v_pk_min_f16 v27, v26, v63
	v_pk_add_f16 v55, v27, v55
	v_pk_min_f16 v27, v26, v57
	s_delay_alu instid0(VALU_DEP_1) | instskip(SKIP_2) | instid1(VALU_DEP_2)
	v_pk_add_f16 v43, v27, v69
	v_pk_min_f16 v27, v26, v66
	v_pk_min_f16 v26, v26, v62
	v_pk_add_f16 v35, v27, v70
	s_delay_alu instid0(VALU_DEP_2) | instskip(SKIP_1) | instid1(VALU_DEP_1)
	v_pk_add_f16 v27, v26, v71
	v_pk_max_f16 v26, v52, v52
	v_pk_min_f16 v29, v26, v63
	s_delay_alu instid0(VALU_DEP_1) | instskip(SKIP_1) | instid1(VALU_DEP_1)
	v_pk_add_f16 v51, v29, v51
	v_pk_min_f16 v29, v26, v57
	v_pk_add_f16 v42, v29, v72
	v_pk_min_f16 v29, v26, v66
	v_pk_min_f16 v26, v26, v62
	s_delay_alu instid0(VALU_DEP_2) | instskip(SKIP_1) | instid1(VALU_DEP_3)
	v_pk_add_f16 v34, v29, v73
	v_pk_min_f16 v29, v23, v63
	v_pk_add_f16 v26, v26, v74
	s_delay_alu instid0(VALU_DEP_2) | instskip(SKIP_1) | instid1(VALU_DEP_1)
	v_pk_add_f16 v53, v29, v53
	v_pk_min_f16 v29, v23, v57
	v_pk_add_f16 v44, v29, v59
	v_pk_min_f16 v29, v23, v66
	v_pk_min_f16 v23, v23, v62
	s_delay_alu instid0(VALU_DEP_2) | instskip(NEXT) | instid1(VALU_DEP_2)
	v_pk_add_f16 v36, v29, v75
	v_pk_add_f16 v29, v23, v22
	v_pk_min_f16 v22, v25, v62
	s_delay_alu instid0(VALU_DEP_1)
	v_pk_add_f16 v25, v22, v24
	s_cbranch_scc0 .LBB283_11
.LBB283_12:
	s_load_b32 s8, s[0:1], 0x50
	v_dual_mov_b32 v59, 0 :: v_dual_add_nc_u32 v50, s20, v8
	ds_load_b64 v[0:1], v6 offset:1024
	ds_load_b64 v[2:3], v9 offset:2560
	v_add_nc_u32_e32 v22, s3, v7
	v_cmp_neq_f16_e64 s9, s18, 0
	v_mov_b32_e32 v20, 0
	s_delay_alu instid0(VALU_DEP_3) | instskip(NEXT) | instid1(VALU_DEP_3)
	v_ashrrev_i32_e32 v23, 31, v22
	s_and_b32 vcc_lo, exec_lo, s9
	s_delay_alu instid0(VALU_DEP_1) | instskip(SKIP_2) | instid1(VALU_DEP_1)
	v_lshlrev_b64 v[16:17], 1, v[22:23]
	s_waitcnt lgkmcnt(0)
	v_mad_i64_i32 v[4:5], null, v50, s8, 0
	v_lshlrev_b64 v[4:5], 1, v[4:5]
	s_delay_alu instid0(VALU_DEP_1) | instskip(NEXT) | instid1(VALU_DEP_1)
	v_add_co_u32 v66, s3, s4, v4
	v_add_co_ci_u32_e64 v67, s3, s5, v5, s3
	s_cbranch_vccz .LBB283_14
; %bb.13:
	s_delay_alu instid0(VALU_DEP_2) | instskip(NEXT) | instid1(VALU_DEP_2)
	v_add_co_u32 v4, vcc_lo, v66, v16
	v_add_co_ci_u32_e32 v5, vcc_lo, v67, v17, vcc_lo
	flat_load_u16 v4, v[4:5]
	s_waitcnt vmcnt(0) lgkmcnt(0)
	v_mul_f16_e32 v20, s18, v4
.LBB283_14:
	s_clause 0x1
	s_load_b64 s[10:11], s[0:1], 0x70
	s_load_b32 s1, s[0:1], 0x68
	v_pk_max_f16 v69, v0, v0
	v_pk_max_f16 v52, v2, v2
	;; [unrolled: 1-line block ×4, first 2 shown]
	v_add_nc_u32_e32 v4, 0x800, v9
	ds_load_b64 v[23:24], v9 offset:3008
	ds_load_b64 v[18:19], v6 offset:1792
	v_pk_min_f16 v0, v52, v69
	v_pk_min_f16 v5, v54, v68
	s_delay_alu instid0(VALU_DEP_2)
	v_pk_add_f16 v7, v0, v56
	ds_load_2addr_b64 v[0:3], v6 offset0:160 offset1:192
	ds_load_2addr_b64 v[12:15], v4 offset0:72 offset1:80
	;; [unrolled: 1-line block ×3, first 2 shown]
	v_add_nc_u32_e32 v56, 8, v22
	v_pk_add_f16 v21, v5, v7
	ds_load_2addr_b64 v[4:7], v4 offset0:104 offset1:112
	s_waitcnt lgkmcnt(0)
	s_mul_i32 s0, s15, s11
	v_mad_i64_i32 v[62:63], null, v50, s1, 0
	s_mul_hi_u32 s3, s15, s10
	s_mul_i32 s11, s19, s10
	s_add_i32 s0, s3, s0
	s_mul_i32 s10, s15, s10
	s_add_i32 s11, s0, s11
	v_lshrrev_b32_e32 v64, 16, v21
	s_delay_alu instid0(VALU_DEP_2)
	v_lshlrev_b64 v[62:63], 1, v[62:63]
	s_lshl_b64 s[10:11], s[10:11], 1
	v_ashrrev_i32_e32 v57, 31, v56
	s_add_u32 s3, s6, s10
	s_addc_u32 s6, s7, s11
	v_add_f16_e32 v21, v21, v64
	v_add_co_u32 v70, vcc_lo, s3, v62
	v_cndmask_b32_e64 v64, 0, 1, s9
	v_add_co_ci_u32_e32 v71, vcc_lo, s6, v63, vcc_lo
	s_delay_alu instid0(VALU_DEP_3)
	v_add_co_u32 v62, vcc_lo, v70, v16
	v_add_f16_e32 v65, v21, v20
	v_lshlrev_b64 v[20:21], 1, v[56:57]
	v_cmp_ne_u32_e64 s0, 1, v64
	v_add_co_ci_u32_e32 v63, vcc_lo, v71, v17, vcc_lo
	s_and_not1_b32 vcc_lo, exec_lo, s9
	global_store_b16 v[62:63], v65, off
	s_cbranch_vccnz .LBB283_16
; %bb.15:
	v_add_co_u32 v56, vcc_lo, v66, v20
	v_add_co_ci_u32_e32 v57, vcc_lo, v67, v21, vcc_lo
	flat_load_u16 v56, v[56:57]
	s_waitcnt vmcnt(0) lgkmcnt(0)
	v_mul_f16_e32 v59, s18, v56
.LBB283_16:
	v_pk_max_f16 v56, v12, v12
	v_pk_max_f16 v57, v13, v13
	v_add_co_u32 v64, vcc_lo, v70, v20
	v_add_co_ci_u32_e32 v65, vcc_lo, v71, v21, vcc_lo
	s_delay_alu instid0(VALU_DEP_4) | instskip(NEXT) | instid1(VALU_DEP_4)
	v_pk_min_f16 v12, v56, v69
	v_pk_min_f16 v13, v57, v68
	s_and_b32 vcc_lo, exec_lo, s0
	v_mov_b32_e32 v63, 0
	s_delay_alu instid0(VALU_DEP_3) | instskip(NEXT) | instid1(VALU_DEP_1)
	v_pk_add_f16 v12, v12, v58
	v_pk_add_f16 v58, v13, v12
	v_add_nc_u32_e32 v12, 16, v22
	s_delay_alu instid0(VALU_DEP_2) | instskip(NEXT) | instid1(VALU_DEP_2)
	v_lshrrev_b32_e32 v62, 16, v58
	v_ashrrev_i32_e32 v13, 31, v12
	s_delay_alu instid0(VALU_DEP_2) | instskip(NEXT) | instid1(VALU_DEP_2)
	v_add_f16_e32 v58, v58, v62
	v_lshlrev_b64 v[12:13], 1, v[12:13]
	v_mov_b32_e32 v62, 0
	s_delay_alu instid0(VALU_DEP_3)
	v_add_f16_e32 v58, v58, v59
	global_store_b16 v[64:65], v58, off
	s_cbranch_vccnz .LBB283_18
; %bb.17:
	v_add_co_u32 v58, vcc_lo, v66, v12
	v_add_co_ci_u32_e32 v59, vcc_lo, v67, v13, vcc_lo
	flat_load_u16 v58, v[58:59]
	s_waitcnt vmcnt(0) lgkmcnt(0)
	v_mul_f16_e32 v62, s18, v58
.LBB283_18:
	v_pk_max_f16 v58, v14, v14
	v_pk_max_f16 v59, v15, v15
	s_delay_alu instid0(VALU_DEP_2) | instskip(NEXT) | instid1(VALU_DEP_2)
	v_pk_min_f16 v14, v58, v69
	v_pk_min_f16 v15, v59, v68
	s_delay_alu instid0(VALU_DEP_2) | instskip(NEXT) | instid1(VALU_DEP_1)
	v_pk_add_f16 v14, v14, v61
	v_pk_add_f16 v61, v15, v14
	v_add_nc_u32_e32 v14, 24, v22
	s_delay_alu instid0(VALU_DEP_2) | instskip(NEXT) | instid1(VALU_DEP_2)
	v_lshrrev_b32_e32 v64, 16, v61
	v_ashrrev_i32_e32 v15, 31, v14
	s_delay_alu instid0(VALU_DEP_2) | instskip(SKIP_1) | instid1(VALU_DEP_3)
	v_add_f16_e32 v61, v61, v64
	v_add_co_u32 v64, vcc_lo, v70, v12
	v_lshlrev_b64 v[14:15], 1, v[14:15]
	v_add_co_ci_u32_e32 v65, vcc_lo, v71, v13, vcc_lo
	s_delay_alu instid0(VALU_DEP_4)
	v_add_f16_e32 v61, v61, v62
	s_and_b32 vcc_lo, exec_lo, s0
	global_store_b16 v[64:65], v61, off
	s_cbranch_vccnz .LBB283_20
; %bb.19:
	v_add_co_u32 v61, vcc_lo, v66, v14
	v_add_co_ci_u32_e32 v62, vcc_lo, v67, v15, vcc_lo
	flat_load_u16 v61, v[61:62]
	s_waitcnt vmcnt(0) lgkmcnt(0)
	v_mul_f16_e32 v63, s18, v61
.LBB283_20:
	v_pk_max_f16 v61, v8, v8
	v_pk_max_f16 v62, v9, v9
	v_add_co_u32 v72, vcc_lo, v70, v14
	v_add_co_ci_u32_e32 v73, vcc_lo, v71, v15, vcc_lo
	s_delay_alu instid0(VALU_DEP_4) | instskip(NEXT) | instid1(VALU_DEP_4)
	v_pk_min_f16 v8, v61, v69
	v_pk_min_f16 v9, v62, v68
	s_and_b32 vcc_lo, exec_lo, s0
	v_mov_b32_e32 v65, 0
	s_delay_alu instid0(VALU_DEP_3) | instskip(NEXT) | instid1(VALU_DEP_1)
	v_pk_add_f16 v8, v8, v60
	v_pk_add_f16 v60, v9, v8
	v_add_nc_u32_e32 v8, 32, v22
	s_delay_alu instid0(VALU_DEP_2) | instskip(NEXT) | instid1(VALU_DEP_2)
	v_lshrrev_b32_e32 v64, 16, v60
	v_ashrrev_i32_e32 v9, 31, v8
	s_delay_alu instid0(VALU_DEP_2) | instskip(NEXT) | instid1(VALU_DEP_2)
	v_add_f16_e32 v60, v60, v64
	v_lshlrev_b64 v[8:9], 1, v[8:9]
	v_mov_b32_e32 v64, 0
	s_delay_alu instid0(VALU_DEP_3)
	v_add_f16_e32 v60, v60, v63
	global_store_b16 v[72:73], v60, off
	s_cbranch_vccnz .LBB283_22
; %bb.21:
	v_add_co_u32 v63, vcc_lo, v66, v8
	v_add_co_ci_u32_e32 v64, vcc_lo, v67, v9, vcc_lo
	flat_load_u16 v60, v[63:64]
	s_waitcnt vmcnt(0) lgkmcnt(0)
	v_mul_f16_e32 v64, s18, v60
.LBB283_22:
	v_pk_max_f16 v60, v10, v10
	v_pk_max_f16 v63, v11, v11
	s_delay_alu instid0(VALU_DEP_2) | instskip(NEXT) | instid1(VALU_DEP_2)
	v_pk_min_f16 v10, v60, v69
	v_pk_min_f16 v11, v63, v68
	s_delay_alu instid0(VALU_DEP_2) | instskip(NEXT) | instid1(VALU_DEP_1)
	v_pk_add_f16 v10, v10, v55
	v_pk_add_f16 v55, v11, v10
	v_add_nc_u32_e32 v10, 40, v22
	s_delay_alu instid0(VALU_DEP_2) | instskip(NEXT) | instid1(VALU_DEP_2)
	v_lshrrev_b32_e32 v72, 16, v55
	v_ashrrev_i32_e32 v11, 31, v10
	s_delay_alu instid0(VALU_DEP_2) | instskip(SKIP_1) | instid1(VALU_DEP_3)
	v_add_f16_e32 v55, v55, v72
	v_add_co_u32 v72, vcc_lo, v70, v8
	v_lshlrev_b64 v[10:11], 1, v[10:11]
	v_add_co_ci_u32_e32 v73, vcc_lo, v71, v9, vcc_lo
	s_delay_alu instid0(VALU_DEP_4)
	v_add_f16_e32 v55, v55, v64
	s_and_b32 vcc_lo, exec_lo, s0
	global_store_b16 v[72:73], v55, off
	s_cbranch_vccnz .LBB283_24
; %bb.23:
	v_add_co_u32 v64, vcc_lo, v66, v10
	v_add_co_ci_u32_e32 v65, vcc_lo, v67, v11, vcc_lo
	flat_load_u16 v55, v[64:65]
	s_waitcnt vmcnt(0) lgkmcnt(0)
	v_mul_f16_e32 v65, s18, v55
.LBB283_24:
	v_pk_max_f16 v55, v4, v4
	v_pk_max_f16 v64, v5, v5
	v_add_co_u32 v74, vcc_lo, v70, v10
	v_add_co_ci_u32_e32 v75, vcc_lo, v71, v11, vcc_lo
	s_delay_alu instid0(VALU_DEP_4) | instskip(NEXT) | instid1(VALU_DEP_4)
	v_pk_min_f16 v4, v55, v69
	v_pk_min_f16 v5, v64, v68
	s_and_b32 vcc_lo, exec_lo, s0
	v_mov_b32_e32 v73, 0
	s_delay_alu instid0(VALU_DEP_3) | instskip(NEXT) | instid1(VALU_DEP_1)
	v_pk_add_f16 v4, v4, v51
	v_pk_add_f16 v51, v5, v4
	v_add_nc_u32_e32 v4, 48, v22
	s_delay_alu instid0(VALU_DEP_2) | instskip(NEXT) | instid1(VALU_DEP_2)
	v_lshrrev_b32_e32 v72, 16, v51
	v_ashrrev_i32_e32 v5, 31, v4
	s_delay_alu instid0(VALU_DEP_2) | instskip(NEXT) | instid1(VALU_DEP_2)
	v_add_f16_e32 v51, v51, v72
	v_lshlrev_b64 v[4:5], 1, v[4:5]
	v_mov_b32_e32 v72, 0
	s_delay_alu instid0(VALU_DEP_3)
	v_add_f16_e32 v51, v51, v65
	global_store_b16 v[74:75], v51, off
	s_cbranch_vccnz .LBB283_26
; %bb.25:
	v_add_co_u32 v73, vcc_lo, v66, v4
	v_add_co_ci_u32_e32 v74, vcc_lo, v67, v5, vcc_lo
	flat_load_u16 v51, v[73:74]
	s_waitcnt vmcnt(0) lgkmcnt(0)
	v_mul_f16_e32 v73, s18, v51
.LBB283_26:
	v_pk_max_f16 v51, v6, v6
	v_pk_max_f16 v65, v7, v7
	v_add_co_u32 v74, vcc_lo, v70, v4
	v_add_co_ci_u32_e32 v75, vcc_lo, v71, v5, vcc_lo
	s_delay_alu instid0(VALU_DEP_4) | instskip(NEXT) | instid1(VALU_DEP_4)
	v_pk_min_f16 v6, v51, v69
	v_pk_min_f16 v7, v65, v68
	s_and_b32 vcc_lo, exec_lo, s0
	s_delay_alu instid0(VALU_DEP_2) | instskip(NEXT) | instid1(VALU_DEP_1)
	v_pk_add_f16 v6, v6, v53
	v_pk_add_f16 v53, v7, v6
	v_add_nc_u32_e32 v6, 56, v22
	s_delay_alu instid0(VALU_DEP_2) | instskip(NEXT) | instid1(VALU_DEP_2)
	v_lshrrev_b32_e32 v22, 16, v53
	v_ashrrev_i32_e32 v7, 31, v6
	s_delay_alu instid0(VALU_DEP_2) | instskip(NEXT) | instid1(VALU_DEP_2)
	v_add_f16_e32 v22, v53, v22
	v_lshlrev_b64 v[6:7], 1, v[6:7]
	s_delay_alu instid0(VALU_DEP_2)
	v_add_f16_e32 v22, v22, v73
	global_store_b16 v[74:75], v22, off
	s_cbranch_vccnz .LBB283_28
; %bb.27:
	v_add_co_u32 v66, vcc_lo, v66, v6
	v_add_co_ci_u32_e32 v67, vcc_lo, v67, v7, vcc_lo
	flat_load_u16 v22, v[66:67]
	s_waitcnt vmcnt(0) lgkmcnt(0)
	v_mul_f16_e32 v72, s18, v22
.LBB283_28:
	v_pk_max_f16 v22, v23, v23
	v_pk_max_f16 v23, v24, v24
	v_dual_mov_b32 v66, 0 :: v_dual_add_nc_u32 v67, 32, v50
	v_add_co_u32 v70, vcc_lo, v70, v6
	s_delay_alu instid0(VALU_DEP_4) | instskip(NEXT) | instid1(VALU_DEP_4)
	v_pk_min_f16 v24, v22, v69
	v_pk_min_f16 v53, v23, v68
	s_delay_alu instid0(VALU_DEP_4) | instskip(SKIP_1) | instid1(VALU_DEP_4)
	v_mad_i64_i32 v[68:69], null, v67, s8, 0
	v_add_co_ci_u32_e32 v71, vcc_lo, v71, v7, vcc_lo
	v_pk_add_f16 v24, v24, v49
	s_delay_alu instid0(VALU_DEP_3) | instskip(NEXT) | instid1(VALU_DEP_2)
	v_lshlrev_b64 v[68:69], 1, v[68:69]
	v_pk_add_f16 v24, v53, v24
	s_delay_alu instid0(VALU_DEP_1) | instskip(NEXT) | instid1(VALU_DEP_1)
	v_lshrrev_b32_e32 v49, 16, v24
	v_add_f16_e32 v53, v24, v49
	s_delay_alu instid0(VALU_DEP_4) | instskip(SKIP_1) | instid1(VALU_DEP_3)
	v_add_co_u32 v24, vcc_lo, s4, v68
	v_add_co_ci_u32_e32 v49, vcc_lo, s5, v69, vcc_lo
	v_add_f16_e32 v53, v53, v72
	v_mov_b32_e32 v68, 0
	s_and_b32 vcc_lo, exec_lo, s0
	global_store_b16 v[70:71], v53, off
	s_cbranch_vccnz .LBB283_30
; %bb.29:
	v_add_co_u32 v68, vcc_lo, v24, v16
	v_add_co_ci_u32_e32 v69, vcc_lo, v49, v17, vcc_lo
	flat_load_u16 v53, v[68:69]
	s_waitcnt vmcnt(0) lgkmcnt(0)
	v_mul_f16_e32 v68, s18, v53
.LBB283_30:
	v_pk_max_f16 v53, v0, v0
	v_pk_max_f16 v0, v1, v1
	v_mad_i64_i32 v[69:70], null, v67, s1, 0
	s_delay_alu instid0(VALU_DEP_3) | instskip(NEXT) | instid1(VALU_DEP_3)
	v_pk_min_f16 v1, v52, v53
	v_pk_min_f16 v71, v54, v0
	s_delay_alu instid0(VALU_DEP_3) | instskip(NEXT) | instid1(VALU_DEP_3)
	v_lshlrev_b64 v[69:70], 1, v[69:70]
	v_pk_add_f16 v1, v1, v48
	s_delay_alu instid0(VALU_DEP_1) | instskip(NEXT) | instid1(VALU_DEP_1)
	v_pk_add_f16 v1, v71, v1
	v_lshrrev_b32_e32 v48, 16, v1
	s_delay_alu instid0(VALU_DEP_1) | instskip(SKIP_2) | instid1(VALU_DEP_3)
	v_add_f16_e32 v67, v1, v48
	v_add_co_u32 v1, vcc_lo, s3, v69
	v_add_co_ci_u32_e32 v48, vcc_lo, s6, v70, vcc_lo
	v_add_f16_e32 v69, v67, v68
	s_delay_alu instid0(VALU_DEP_3) | instskip(NEXT) | instid1(VALU_DEP_3)
	v_add_co_u32 v67, vcc_lo, v1, v16
	v_add_co_ci_u32_e32 v68, vcc_lo, v48, v17, vcc_lo
	s_and_b32 vcc_lo, exec_lo, s0
	global_store_b16 v[67:68], v69, off
	s_cbranch_vccnz .LBB283_32
; %bb.31:
	v_add_co_u32 v66, vcc_lo, v24, v20
	v_add_co_ci_u32_e32 v67, vcc_lo, v49, v21, vcc_lo
	flat_load_u16 v66, v[66:67]
	s_waitcnt vmcnt(0) lgkmcnt(0)
	v_mul_f16_e32 v66, s18, v66
.LBB283_32:
	v_pk_min_f16 v67, v56, v53
	v_pk_min_f16 v68, v57, v0
	s_delay_alu instid0(VALU_DEP_2) | instskip(NEXT) | instid1(VALU_DEP_1)
	v_pk_add_f16 v47, v67, v47
	v_pk_add_f16 v47, v68, v47
	s_delay_alu instid0(VALU_DEP_1) | instskip(NEXT) | instid1(VALU_DEP_1)
	v_lshrrev_b32_e32 v67, 16, v47
	v_add_f16_e32 v47, v47, v67
	v_add_co_u32 v67, vcc_lo, v1, v20
	v_add_co_ci_u32_e32 v68, vcc_lo, v48, v21, vcc_lo
	s_delay_alu instid0(VALU_DEP_3)
	v_add_f16_e32 v69, v47, v66
	v_dual_mov_b32 v47, 0 :: v_dual_mov_b32 v66, 0
	s_and_b32 vcc_lo, exec_lo, s0
	global_store_b16 v[67:68], v69, off
	s_cbranch_vccnz .LBB283_34
; %bb.33:
	v_add_co_u32 v66, vcc_lo, v24, v12
	v_add_co_ci_u32_e32 v67, vcc_lo, v49, v13, vcc_lo
	flat_load_u16 v66, v[66:67]
	s_waitcnt vmcnt(0) lgkmcnt(0)
	v_mul_f16_e32 v66, s18, v66
.LBB283_34:
	v_pk_min_f16 v67, v58, v53
	v_pk_min_f16 v68, v59, v0
	s_delay_alu instid0(VALU_DEP_2) | instskip(NEXT) | instid1(VALU_DEP_1)
	v_pk_add_f16 v46, v67, v46
	v_pk_add_f16 v46, v68, v46
	s_delay_alu instid0(VALU_DEP_1) | instskip(NEXT) | instid1(VALU_DEP_1)
	v_lshrrev_b32_e32 v67, 16, v46
	v_add_f16_e32 v46, v46, v67
	s_delay_alu instid0(VALU_DEP_1)
	v_add_f16_e32 v46, v46, v66
	v_add_co_u32 v66, vcc_lo, v1, v12
	v_add_co_ci_u32_e32 v67, vcc_lo, v48, v13, vcc_lo
	s_and_b32 vcc_lo, exec_lo, s0
	global_store_b16 v[66:67], v46, off
	s_cbranch_vccnz .LBB283_36
; %bb.35:
	v_add_co_u32 v46, vcc_lo, v24, v14
	v_add_co_ci_u32_e32 v47, vcc_lo, v49, v15, vcc_lo
	flat_load_u16 v46, v[46:47]
	s_waitcnt vmcnt(0) lgkmcnt(0)
	v_mul_f16_e32 v47, s18, v46
.LBB283_36:
	v_pk_min_f16 v46, v61, v53
	v_pk_min_f16 v66, v62, v0
	s_delay_alu instid0(VALU_DEP_2) | instskip(NEXT) | instid1(VALU_DEP_1)
	v_pk_add_f16 v45, v46, v45
	v_pk_add_f16 v45, v66, v45
	v_add_co_u32 v66, vcc_lo, v1, v14
	v_add_co_ci_u32_e32 v67, vcc_lo, v48, v15, vcc_lo
	s_delay_alu instid0(VALU_DEP_3) | instskip(SKIP_1) | instid1(VALU_DEP_1)
	v_lshrrev_b32_e32 v46, 16, v45
	s_and_b32 vcc_lo, exec_lo, s0
	v_add_f16_e32 v45, v45, v46
	v_mov_b32_e32 v46, 0
	s_delay_alu instid0(VALU_DEP_2)
	v_add_f16_e32 v47, v45, v47
	v_mov_b32_e32 v45, 0
	global_store_b16 v[66:67], v47, off
	s_cbranch_vccnz .LBB283_38
; %bb.37:
	v_add_co_u32 v46, vcc_lo, v24, v8
	v_add_co_ci_u32_e32 v47, vcc_lo, v49, v9, vcc_lo
	flat_load_u16 v46, v[46:47]
	s_waitcnt vmcnt(0) lgkmcnt(0)
	v_mul_f16_e32 v46, s18, v46
.LBB283_38:
	v_pk_min_f16 v47, v60, v53
	v_pk_min_f16 v66, v63, v0
	s_delay_alu instid0(VALU_DEP_2) | instskip(NEXT) | instid1(VALU_DEP_1)
	v_pk_add_f16 v43, v47, v43
	v_pk_add_f16 v43, v66, v43
	s_delay_alu instid0(VALU_DEP_1) | instskip(NEXT) | instid1(VALU_DEP_1)
	v_lshrrev_b32_e32 v47, 16, v43
	v_add_f16_e32 v43, v43, v47
	s_delay_alu instid0(VALU_DEP_1)
	v_add_f16_e32 v43, v43, v46
	v_add_co_u32 v46, vcc_lo, v1, v8
	v_add_co_ci_u32_e32 v47, vcc_lo, v48, v9, vcc_lo
	s_and_b32 vcc_lo, exec_lo, s0
	global_store_b16 v[46:47], v43, off
	s_cbranch_vccnz .LBB283_40
; %bb.39:
	v_add_co_u32 v45, vcc_lo, v24, v10
	v_add_co_ci_u32_e32 v46, vcc_lo, v49, v11, vcc_lo
	flat_load_u16 v43, v[45:46]
	s_waitcnt vmcnt(0) lgkmcnt(0)
	v_mul_f16_e32 v45, s18, v43
.LBB283_40:
	v_pk_min_f16 v43, v55, v53
	v_pk_min_f16 v46, v64, v0
	s_delay_alu instid0(VALU_DEP_2) | instskip(NEXT) | instid1(VALU_DEP_1)
	v_pk_add_f16 v42, v43, v42
	v_pk_add_f16 v42, v46, v42
	v_add_co_u32 v46, vcc_lo, v1, v10
	v_add_co_ci_u32_e32 v47, vcc_lo, v48, v11, vcc_lo
	s_delay_alu instid0(VALU_DEP_3) | instskip(SKIP_1) | instid1(VALU_DEP_1)
	v_lshrrev_b32_e32 v43, 16, v42
	s_and_b32 vcc_lo, exec_lo, s0
	v_add_f16_e32 v42, v42, v43
	v_mov_b32_e32 v43, 0
	s_delay_alu instid0(VALU_DEP_2)
	v_add_f16_e32 v45, v42, v45
	v_mov_b32_e32 v42, 0
	global_store_b16 v[46:47], v45, off
	s_cbranch_vccnz .LBB283_42
; %bb.41:
	v_add_co_u32 v45, vcc_lo, v24, v4
	v_add_co_ci_u32_e32 v46, vcc_lo, v49, v5, vcc_lo
	flat_load_u16 v43, v[45:46]
	s_waitcnt vmcnt(0) lgkmcnt(0)
	v_mul_f16_e32 v43, s18, v43
.LBB283_42:
	v_pk_min_f16 v45, v51, v53
	v_pk_min_f16 v46, v65, v0
	s_delay_alu instid0(VALU_DEP_2) | instskip(NEXT) | instid1(VALU_DEP_1)
	v_pk_add_f16 v44, v45, v44
	v_pk_add_f16 v44, v46, v44
	s_delay_alu instid0(VALU_DEP_1) | instskip(NEXT) | instid1(VALU_DEP_1)
	v_lshrrev_b32_e32 v45, 16, v44
	v_add_f16_e32 v44, v44, v45
	s_delay_alu instid0(VALU_DEP_1)
	v_add_f16_e32 v45, v44, v43
	v_add_co_u32 v43, vcc_lo, v1, v4
	v_add_co_ci_u32_e32 v44, vcc_lo, v48, v5, vcc_lo
	s_and_b32 vcc_lo, exec_lo, s0
	global_store_b16 v[43:44], v45, off
	s_cbranch_vccnz .LBB283_44
; %bb.43:
	v_add_co_u32 v42, vcc_lo, v24, v6
	v_add_co_ci_u32_e32 v43, vcc_lo, v49, v7, vcc_lo
	flat_load_u16 v24, v[42:43]
	s_waitcnt vmcnt(0) lgkmcnt(0)
	v_mul_f16_e32 v42, s18, v24
.LBB283_44:
	v_pk_min_f16 v24, v22, v53
	v_pk_min_f16 v0, v23, v0
	v_add_nc_u32_e32 v43, 64, v50
	v_add_co_u32 v46, vcc_lo, v1, v6
	s_delay_alu instid0(VALU_DEP_4) | instskip(SKIP_1) | instid1(VALU_DEP_2)
	v_pk_add_f16 v24, v24, v41
	v_add_co_ci_u32_e32 v47, vcc_lo, v48, v7, vcc_lo
	v_pk_add_f16 v0, v0, v24
	s_delay_alu instid0(VALU_DEP_1) | instskip(NEXT) | instid1(VALU_DEP_1)
	v_lshrrev_b32_e32 v24, 16, v0
	v_add_f16_e32 v0, v0, v24
	s_delay_alu instid0(VALU_DEP_1) | instskip(SKIP_4) | instid1(VALU_DEP_1)
	v_add_f16_e32 v0, v0, v42
	v_mov_b32_e32 v42, 0
	v_mad_i64_i32 v[44:45], null, v43, s8, 0
	global_store_b16 v[46:47], v0, off
	v_lshlrev_b64 v[44:45], 1, v[44:45]
	v_add_co_u32 v1, vcc_lo, s4, v44
	s_delay_alu instid0(VALU_DEP_2)
	v_add_co_ci_u32_e32 v24, vcc_lo, s5, v45, vcc_lo
	v_mov_b32_e32 v44, 0
	s_and_b32 vcc_lo, exec_lo, s0
	s_cbranch_vccnz .LBB283_46
; %bb.45:
	v_add_co_u32 v44, vcc_lo, v1, v16
	v_add_co_ci_u32_e32 v45, vcc_lo, v24, v17, vcc_lo
	flat_load_u16 v0, v[44:45]
	s_waitcnt vmcnt(0) lgkmcnt(0)
	v_mul_f16_e32 v44, s18, v0
.LBB283_46:
	v_pk_max_f16 v41, v2, v2
	v_pk_max_f16 v0, v3, v3
	s_delay_alu instid0(VALU_DEP_2) | instskip(NEXT) | instid1(VALU_DEP_2)
	v_pk_min_f16 v2, v52, v41
	v_pk_min_f16 v45, v54, v0
	s_delay_alu instid0(VALU_DEP_2) | instskip(SKIP_1) | instid1(VALU_DEP_2)
	v_pk_add_f16 v40, v2, v40
	v_mad_i64_i32 v[2:3], null, v43, s1, 0
	v_pk_add_f16 v40, v45, v40
	s_delay_alu instid0(VALU_DEP_2) | instskip(NEXT) | instid1(VALU_DEP_2)
	v_lshlrev_b64 v[2:3], 1, v[2:3]
	v_lshrrev_b32_e32 v43, 16, v40
	s_delay_alu instid0(VALU_DEP_2) | instskip(NEXT) | instid1(VALU_DEP_2)
	v_add_co_u32 v2, vcc_lo, s3, v2
	v_add_f16_e32 v40, v40, v43
	s_delay_alu instid0(VALU_DEP_4) | instskip(NEXT) | instid1(VALU_DEP_3)
	v_add_co_ci_u32_e32 v3, vcc_lo, s6, v3, vcc_lo
	v_add_co_u32 v43, vcc_lo, v2, v16
	s_delay_alu instid0(VALU_DEP_3) | instskip(NEXT) | instid1(VALU_DEP_3)
	v_add_f16_e32 v40, v40, v44
	v_add_co_ci_u32_e32 v44, vcc_lo, v3, v17, vcc_lo
	s_and_b32 vcc_lo, exec_lo, s0
	global_store_b16 v[43:44], v40, off
	s_cbranch_vccnz .LBB283_48
; %bb.47:
	v_add_co_u32 v42, vcc_lo, v1, v20
	v_add_co_ci_u32_e32 v43, vcc_lo, v24, v21, vcc_lo
	flat_load_u16 v40, v[42:43]
	s_waitcnt vmcnt(0) lgkmcnt(0)
	v_mul_f16_e32 v42, s18, v40
.LBB283_48:
	v_pk_min_f16 v40, v56, v41
	v_pk_min_f16 v43, v57, v0
	s_delay_alu instid0(VALU_DEP_2) | instskip(NEXT) | instid1(VALU_DEP_1)
	v_pk_add_f16 v39, v40, v39
	v_pk_add_f16 v39, v43, v39
	v_add_co_u32 v43, vcc_lo, v2, v20
	v_add_co_ci_u32_e32 v44, vcc_lo, v3, v21, vcc_lo
	s_delay_alu instid0(VALU_DEP_3) | instskip(SKIP_1) | instid1(VALU_DEP_1)
	v_lshrrev_b32_e32 v40, 16, v39
	s_and_b32 vcc_lo, exec_lo, s0
	v_add_f16_e32 v39, v39, v40
	v_mov_b32_e32 v40, 0
	s_delay_alu instid0(VALU_DEP_2)
	v_add_f16_e32 v42, v39, v42
	v_mov_b32_e32 v39, 0
	global_store_b16 v[43:44], v42, off
	s_cbranch_vccnz .LBB283_50
; %bb.49:
	v_add_co_u32 v42, vcc_lo, v1, v12
	v_add_co_ci_u32_e32 v43, vcc_lo, v24, v13, vcc_lo
	flat_load_u16 v40, v[42:43]
	s_waitcnt vmcnt(0) lgkmcnt(0)
	v_mul_f16_e32 v40, s18, v40
.LBB283_50:
	v_pk_min_f16 v42, v58, v41
	v_pk_min_f16 v43, v59, v0
	s_delay_alu instid0(VALU_DEP_2) | instskip(NEXT) | instid1(VALU_DEP_1)
	v_pk_add_f16 v38, v42, v38
	v_pk_add_f16 v38, v43, v38
	s_delay_alu instid0(VALU_DEP_1) | instskip(NEXT) | instid1(VALU_DEP_1)
	v_lshrrev_b32_e32 v42, 16, v38
	v_add_f16_e32 v38, v38, v42
	v_add_co_u32 v42, vcc_lo, v2, v12
	v_add_co_ci_u32_e32 v43, vcc_lo, v3, v13, vcc_lo
	s_delay_alu instid0(VALU_DEP_3)
	v_add_f16_e32 v38, v38, v40
	s_and_b32 vcc_lo, exec_lo, s0
	global_store_b16 v[42:43], v38, off
	s_cbranch_vccnz .LBB283_52
; %bb.51:
	v_add_co_u32 v38, vcc_lo, v1, v14
	v_add_co_ci_u32_e32 v39, vcc_lo, v24, v15, vcc_lo
	flat_load_u16 v38, v[38:39]
	s_waitcnt vmcnt(0) lgkmcnt(0)
	v_mul_f16_e32 v39, s18, v38
.LBB283_52:
	v_pk_min_f16 v38, v61, v41
	v_pk_min_f16 v40, v62, v0
	v_add_co_u32 v42, vcc_lo, v2, v14
	v_add_co_ci_u32_e32 v43, vcc_lo, v3, v15, vcc_lo
	s_delay_alu instid0(VALU_DEP_4) | instskip(SKIP_1) | instid1(VALU_DEP_1)
	v_pk_add_f16 v37, v38, v37
	s_and_b32 vcc_lo, exec_lo, s0
	v_pk_add_f16 v37, v40, v37
	s_delay_alu instid0(VALU_DEP_1) | instskip(NEXT) | instid1(VALU_DEP_1)
	v_lshrrev_b32_e32 v38, 16, v37
	v_add_f16_e32 v37, v37, v38
	v_mov_b32_e32 v38, 0
	s_delay_alu instid0(VALU_DEP_2)
	v_add_f16_e32 v39, v37, v39
	v_mov_b32_e32 v37, 0
	global_store_b16 v[42:43], v39, off
	s_cbranch_vccnz .LBB283_54
; %bb.53:
	v_add_co_u32 v38, vcc_lo, v1, v8
	v_add_co_ci_u32_e32 v39, vcc_lo, v24, v9, vcc_lo
	flat_load_u16 v38, v[38:39]
	s_waitcnt vmcnt(0) lgkmcnt(0)
	v_mul_f16_e32 v38, s18, v38
.LBB283_54:
	v_pk_min_f16 v39, v60, v41
	v_pk_min_f16 v40, v63, v0
	s_delay_alu instid0(VALU_DEP_2) | instskip(NEXT) | instid1(VALU_DEP_1)
	v_pk_add_f16 v35, v39, v35
	v_pk_add_f16 v35, v40, v35
	s_delay_alu instid0(VALU_DEP_1) | instskip(NEXT) | instid1(VALU_DEP_1)
	v_lshrrev_b32_e32 v39, 16, v35
	v_add_f16_e32 v35, v35, v39
	s_delay_alu instid0(VALU_DEP_1)
	v_add_f16_e32 v35, v35, v38
	v_add_co_u32 v38, vcc_lo, v2, v8
	v_add_co_ci_u32_e32 v39, vcc_lo, v3, v9, vcc_lo
	s_and_b32 vcc_lo, exec_lo, s0
	global_store_b16 v[38:39], v35, off
	s_cbranch_vccnz .LBB283_56
; %bb.55:
	v_add_co_u32 v37, vcc_lo, v1, v10
	v_add_co_ci_u32_e32 v38, vcc_lo, v24, v11, vcc_lo
	flat_load_u16 v35, v[37:38]
	s_waitcnt vmcnt(0) lgkmcnt(0)
	v_mul_f16_e32 v37, s18, v35
.LBB283_56:
	v_pk_min_f16 v35, v55, v41
	v_pk_min_f16 v38, v64, v0
	s_delay_alu instid0(VALU_DEP_2) | instskip(NEXT) | instid1(VALU_DEP_1)
	v_pk_add_f16 v34, v35, v34
	v_pk_add_f16 v34, v38, v34
	v_add_co_u32 v38, vcc_lo, v2, v10
	v_add_co_ci_u32_e32 v39, vcc_lo, v3, v11, vcc_lo
	s_delay_alu instid0(VALU_DEP_3) | instskip(SKIP_1) | instid1(VALU_DEP_1)
	v_lshrrev_b32_e32 v35, 16, v34
	s_and_b32 vcc_lo, exec_lo, s0
	v_add_f16_e32 v34, v34, v35
	v_mov_b32_e32 v35, 0
	s_delay_alu instid0(VALU_DEP_2)
	v_add_f16_e32 v37, v34, v37
	v_mov_b32_e32 v34, 0
	global_store_b16 v[38:39], v37, off
	s_cbranch_vccnz .LBB283_58
; %bb.57:
	v_add_co_u32 v37, vcc_lo, v1, v4
	v_add_co_ci_u32_e32 v38, vcc_lo, v24, v5, vcc_lo
	flat_load_u16 v35, v[37:38]
	s_waitcnt vmcnt(0) lgkmcnt(0)
	v_mul_f16_e32 v35, s18, v35
.LBB283_58:
	v_pk_min_f16 v37, v51, v41
	v_pk_min_f16 v38, v65, v0
	s_delay_alu instid0(VALU_DEP_2) | instskip(NEXT) | instid1(VALU_DEP_1)
	v_pk_add_f16 v36, v37, v36
	v_pk_add_f16 v36, v38, v36
	s_delay_alu instid0(VALU_DEP_1) | instskip(NEXT) | instid1(VALU_DEP_1)
	v_lshrrev_b32_e32 v37, 16, v36
	v_add_f16_e32 v36, v36, v37
	s_delay_alu instid0(VALU_DEP_1)
	v_add_f16_e32 v37, v36, v35
	v_add_co_u32 v35, vcc_lo, v2, v4
	v_add_co_ci_u32_e32 v36, vcc_lo, v3, v5, vcc_lo
	s_and_b32 vcc_lo, exec_lo, s0
	global_store_b16 v[35:36], v37, off
	s_cbranch_vccnz .LBB283_60
; %bb.59:
	v_add_co_u32 v34, vcc_lo, v1, v6
	v_add_co_ci_u32_e32 v35, vcc_lo, v24, v7, vcc_lo
	flat_load_u16 v1, v[34:35]
	s_waitcnt vmcnt(0) lgkmcnt(0)
	v_mul_f16_e32 v34, s18, v1
.LBB283_60:
	v_pk_min_f16 v1, v22, v41
	v_pk_min_f16 v24, v23, v0
	v_add_nc_u32_e32 v35, 0x60, v50
	v_add_co_u32 v2, vcc_lo, v2, v6
	s_delay_alu instid0(VALU_DEP_4) | instskip(SKIP_1) | instid1(VALU_DEP_2)
	v_pk_add_f16 v33, v1, v33
	v_add_co_ci_u32_e32 v3, vcc_lo, v3, v7, vcc_lo
	v_pk_add_f16 v24, v24, v33
	s_delay_alu instid0(VALU_DEP_1) | instskip(NEXT) | instid1(VALU_DEP_1)
	v_lshrrev_b32_e32 v33, 16, v24
	v_add_f16_e32 v24, v24, v33
	v_mov_b32_e32 v33, 0
	s_delay_alu instid0(VALU_DEP_2) | instskip(SKIP_4) | instid1(VALU_DEP_1)
	v_add_f16_e32 v34, v24, v34
	v_mov_b32_e32 v24, 0
	v_mad_i64_i32 v[0:1], null, v35, s8, 0
	global_store_b16 v[2:3], v34, off
	v_lshlrev_b64 v[0:1], 1, v[0:1]
	v_add_co_u32 v0, vcc_lo, s4, v0
	s_delay_alu instid0(VALU_DEP_2)
	v_add_co_ci_u32_e32 v1, vcc_lo, s5, v1, vcc_lo
	s_and_b32 vcc_lo, exec_lo, s0
	s_cbranch_vccnz .LBB283_62
; %bb.61:
	s_delay_alu instid0(VALU_DEP_2) | instskip(NEXT) | instid1(VALU_DEP_2)
	v_add_co_u32 v2, vcc_lo, v0, v16
	v_add_co_ci_u32_e32 v3, vcc_lo, v1, v17, vcc_lo
	flat_load_u16 v2, v[2:3]
	s_waitcnt vmcnt(0) lgkmcnt(0)
	v_mul_f16_e32 v33, s18, v2
.LBB283_62:
	v_pk_max_f16 v2, v18, v18
	v_pk_max_f16 v3, v19, v19
	s_delay_alu instid0(VALU_DEP_2) | instskip(NEXT) | instid1(VALU_DEP_2)
	v_pk_min_f16 v18, v52, v2
	v_pk_min_f16 v34, v54, v3
	s_delay_alu instid0(VALU_DEP_2) | instskip(SKIP_1) | instid1(VALU_DEP_2)
	v_pk_add_f16 v32, v18, v32
	v_mad_i64_i32 v[18:19], null, v35, s1, 0
	v_pk_add_f16 v32, v34, v32
	s_delay_alu instid0(VALU_DEP_2) | instskip(NEXT) | instid1(VALU_DEP_2)
	v_lshlrev_b64 v[18:19], 1, v[18:19]
	v_lshrrev_b32_e32 v34, 16, v32
	s_delay_alu instid0(VALU_DEP_2) | instskip(NEXT) | instid1(VALU_DEP_2)
	v_add_co_u32 v18, vcc_lo, s3, v18
	v_add_f16_e32 v32, v32, v34
	s_delay_alu instid0(VALU_DEP_4) | instskip(NEXT) | instid1(VALU_DEP_3)
	v_add_co_ci_u32_e32 v19, vcc_lo, s6, v19, vcc_lo
	v_add_co_u32 v16, vcc_lo, v18, v16
	s_delay_alu instid0(VALU_DEP_3) | instskip(NEXT) | instid1(VALU_DEP_3)
	v_add_f16_e32 v32, v32, v33
	v_add_co_ci_u32_e32 v17, vcc_lo, v19, v17, vcc_lo
	s_and_b32 vcc_lo, exec_lo, s0
	global_store_b16 v[16:17], v32, off
	s_cbranch_vccnz .LBB283_64
; %bb.63:
	v_add_co_u32 v16, vcc_lo, v0, v20
	v_add_co_ci_u32_e32 v17, vcc_lo, v1, v21, vcc_lo
	flat_load_u16 v16, v[16:17]
	s_waitcnt vmcnt(0) lgkmcnt(0)
	v_mul_f16_e32 v24, s18, v16
.LBB283_64:
	v_pk_min_f16 v16, v56, v2
	v_pk_min_f16 v17, v57, v3
	v_add_co_u32 v20, vcc_lo, v18, v20
	v_add_co_ci_u32_e32 v21, vcc_lo, v19, v21, vcc_lo
	s_delay_alu instid0(VALU_DEP_4) | instskip(SKIP_1) | instid1(VALU_DEP_1)
	v_pk_add_f16 v16, v16, v31
	s_and_b32 vcc_lo, exec_lo, s0
	v_pk_add_f16 v16, v17, v16
	s_delay_alu instid0(VALU_DEP_1) | instskip(NEXT) | instid1(VALU_DEP_1)
	v_lshrrev_b32_e32 v17, 16, v16
	v_add_f16_e32 v16, v16, v17
	v_mov_b32_e32 v17, 0
	s_delay_alu instid0(VALU_DEP_2)
	v_add_f16_e32 v24, v16, v24
	v_mov_b32_e32 v16, 0
	global_store_b16 v[20:21], v24, off
	s_cbranch_vccnz .LBB283_66
; %bb.65:
	v_add_co_u32 v20, vcc_lo, v0, v12
	v_add_co_ci_u32_e32 v21, vcc_lo, v1, v13, vcc_lo
	flat_load_u16 v17, v[20:21]
	s_waitcnt vmcnt(0) lgkmcnt(0)
	v_mul_f16_e32 v17, s18, v17
.LBB283_66:
	v_pk_min_f16 v20, v58, v2
	v_pk_min_f16 v21, v59, v3
	v_add_co_u32 v12, vcc_lo, v18, v12
	v_add_co_ci_u32_e32 v13, vcc_lo, v19, v13, vcc_lo
	s_delay_alu instid0(VALU_DEP_4) | instskip(SKIP_1) | instid1(VALU_DEP_1)
	v_pk_add_f16 v20, v20, v30
	s_and_b32 vcc_lo, exec_lo, s0
	v_pk_add_f16 v20, v21, v20
	s_delay_alu instid0(VALU_DEP_1) | instskip(NEXT) | instid1(VALU_DEP_1)
	v_lshrrev_b32_e32 v21, 16, v20
	v_add_f16_e32 v20, v20, v21
	s_delay_alu instid0(VALU_DEP_1)
	v_add_f16_e32 v17, v20, v17
	global_store_b16 v[12:13], v17, off
	s_cbranch_vccnz .LBB283_68
; %bb.67:
	v_add_co_u32 v12, vcc_lo, v0, v14
	v_add_co_ci_u32_e32 v13, vcc_lo, v1, v15, vcc_lo
	flat_load_u16 v12, v[12:13]
	s_waitcnt vmcnt(0) lgkmcnt(0)
	v_mul_f16_e32 v16, s18, v12
.LBB283_68:
	v_pk_min_f16 v12, v61, v2
	v_pk_min_f16 v13, v62, v3
	v_add_co_u32 v14, vcc_lo, v18, v14
	v_add_co_ci_u32_e32 v15, vcc_lo, v19, v15, vcc_lo
	s_delay_alu instid0(VALU_DEP_4) | instskip(SKIP_1) | instid1(VALU_DEP_1)
	v_pk_add_f16 v12, v12, v28
	s_and_b32 vcc_lo, exec_lo, s0
	v_pk_add_f16 v12, v13, v12
	s_delay_alu instid0(VALU_DEP_1) | instskip(NEXT) | instid1(VALU_DEP_1)
	v_lshrrev_b32_e32 v13, 16, v12
	v_add_f16_e32 v12, v12, v13
	v_mov_b32_e32 v13, 0
	s_delay_alu instid0(VALU_DEP_2)
	v_add_f16_e32 v16, v12, v16
	v_mov_b32_e32 v12, 0
	global_store_b16 v[14:15], v16, off
	s_cbranch_vccnz .LBB283_70
; %bb.69:
	v_add_co_u32 v13, vcc_lo, v0, v8
	v_add_co_ci_u32_e32 v14, vcc_lo, v1, v9, vcc_lo
	flat_load_u16 v13, v[13:14]
	s_waitcnt vmcnt(0) lgkmcnt(0)
	v_mul_f16_e32 v13, s18, v13
.LBB283_70:
	v_pk_min_f16 v14, v60, v2
	v_pk_min_f16 v15, v63, v3
	v_add_co_u32 v8, vcc_lo, v18, v8
	v_add_co_ci_u32_e32 v9, vcc_lo, v19, v9, vcc_lo
	s_delay_alu instid0(VALU_DEP_4) | instskip(SKIP_1) | instid1(VALU_DEP_1)
	v_pk_add_f16 v14, v14, v27
	s_and_b32 vcc_lo, exec_lo, s0
	v_pk_add_f16 v14, v15, v14
	s_delay_alu instid0(VALU_DEP_1) | instskip(NEXT) | instid1(VALU_DEP_1)
	v_lshrrev_b32_e32 v15, 16, v14
	v_add_f16_e32 v14, v14, v15
	s_delay_alu instid0(VALU_DEP_1)
	v_add_f16_e32 v13, v14, v13
	global_store_b16 v[8:9], v13, off
	s_cbranch_vccnz .LBB283_72
; %bb.71:
	v_add_co_u32 v8, vcc_lo, v0, v10
	v_add_co_ci_u32_e32 v9, vcc_lo, v1, v11, vcc_lo
	flat_load_u16 v8, v[8:9]
	s_waitcnt vmcnt(0) lgkmcnt(0)
	v_mul_f16_e32 v12, s18, v8
.LBB283_72:
	v_pk_min_f16 v8, v55, v2
	v_pk_min_f16 v9, v64, v3
	;; [unrolled: 1-line block ×3, first 2 shown]
	s_delay_alu instid0(VALU_DEP_3) | instskip(NEXT) | instid1(VALU_DEP_2)
	v_pk_add_f16 v8, v8, v26
	v_pk_add_f16 v13, v13, v29
	s_delay_alu instid0(VALU_DEP_2) | instskip(SKIP_1) | instid1(VALU_DEP_2)
	v_pk_add_f16 v8, v9, v8
	v_pk_min_f16 v9, v65, v3
	v_lshrrev_b32_e32 v14, 16, v8
	s_delay_alu instid0(VALU_DEP_2) | instskip(SKIP_2) | instid1(VALU_DEP_4)
	v_pk_add_f16 v13, v9, v13
	v_add_co_u32 v9, vcc_lo, v18, v10
	v_add_co_ci_u32_e32 v10, vcc_lo, v19, v11, vcc_lo
	v_add_f16_e32 v8, v8, v14
	s_delay_alu instid0(VALU_DEP_4) | instskip(SKIP_1) | instid1(VALU_DEP_2)
	v_lshrrev_b32_e32 v11, 16, v13
	s_mov_b32 vcc_lo, s2
	v_add_f16_e32 v12, v8, v12
	s_delay_alu instid0(VALU_DEP_2)
	v_add_f16_e32 v8, v13, v11
	global_store_b16 v[9:10], v12, off
	s_cbranch_vccz .LBB283_75
; %bb.73:
	v_add_co_u32 v9, vcc_lo, v18, v4
	v_add_f16_e32 v11, 0, v8
	v_add_co_ci_u32_e32 v10, vcc_lo, v19, v5, vcc_lo
	s_mov_b32 s0, 0
	global_store_b16 v[9:10], v11, off
	s_cbranch_execz .LBB283_76
; %bb.74:
	v_mov_b32_e32 v0, s0
	s_branch .LBB283_77
.LBB283_75:
	s_mov_b32 s0, -1
.LBB283_76:
	v_add_co_u32 v9, vcc_lo, v0, v4
	v_add_co_ci_u32_e32 v10, vcc_lo, v1, v5, vcc_lo
	v_add_co_u32 v4, vcc_lo, v18, v4
	v_add_co_ci_u32_e32 v5, vcc_lo, v19, v5, vcc_lo
	flat_load_u16 v9, v[9:10]
	v_add_co_u32 v0, vcc_lo, v0, v6
	v_add_co_ci_u32_e32 v1, vcc_lo, v1, v7, vcc_lo
	s_waitcnt vmcnt(0) lgkmcnt(0)
	v_fmac_f16_e32 v8, s18, v9
	global_store_b16 v[4:5], v8, off
	flat_load_u16 v0, v[0:1]
	s_waitcnt vmcnt(0) lgkmcnt(0)
	v_mul_f16_e32 v0, s18, v0
.LBB283_77:
	v_pk_min_f16 v1, v22, v2
	v_pk_min_f16 v2, v23, v3
	s_delay_alu instid0(VALU_DEP_2) | instskip(NEXT) | instid1(VALU_DEP_1)
	v_pk_add_f16 v1, v1, v25
	v_pk_add_f16 v1, v2, v1
	s_delay_alu instid0(VALU_DEP_1) | instskip(NEXT) | instid1(VALU_DEP_1)
	v_lshrrev_b32_e32 v2, 16, v1
	v_add_f16_e32 v1, v1, v2
	s_delay_alu instid0(VALU_DEP_1)
	v_add_f16_e32 v2, v1, v0
	v_add_co_u32 v0, vcc_lo, v18, v6
	v_add_co_ci_u32_e32 v1, vcc_lo, v19, v7, vcc_lo
	global_store_b16 v[0:1], v2, off
	s_nop 0
	s_sendmsg sendmsg(MSG_DEALLOC_VGPRS)
	s_endpgm
	.section	.rodata,"a",@progbits
	.p2align	6, 0x0
	.amdhsa_kernel _ZN12_GLOBAL__N_120geam_min_plus_kernelIDF16_Dv2_DF16_S1_Li8ELi32ELi64ELi128ELi4ELi64ELi4ELi4ELi64ELc78ELc78ELb1ELb0ELb0EDF16_KDF16_DF16_EEviiiT16_PT17_ilS5_ilS3_S5_ilPT18_ili26rocblas_geam_ex_operation_
		.amdhsa_group_segment_fixed_size 3072
		.amdhsa_private_segment_fixed_size 0
		.amdhsa_kernarg_size 128
		.amdhsa_user_sgpr_count 14
		.amdhsa_user_sgpr_dispatch_ptr 0
		.amdhsa_user_sgpr_queue_ptr 0
		.amdhsa_user_sgpr_kernarg_segment_ptr 1
		.amdhsa_user_sgpr_dispatch_id 0
		.amdhsa_user_sgpr_private_segment_size 0
		.amdhsa_wavefront_size32 1
		.amdhsa_uses_dynamic_stack 0
		.amdhsa_enable_private_segment 0
		.amdhsa_system_sgpr_workgroup_id_x 1
		.amdhsa_system_sgpr_workgroup_id_y 0
		.amdhsa_system_sgpr_workgroup_id_z 1
		.amdhsa_system_sgpr_workgroup_info 0
		.amdhsa_system_vgpr_workitem_id 1
		.amdhsa_next_free_vgpr 91
		.amdhsa_next_free_sgpr 23
		.amdhsa_reserve_vcc 1
		.amdhsa_float_round_mode_32 0
		.amdhsa_float_round_mode_16_64 0
		.amdhsa_float_denorm_mode_32 3
		.amdhsa_float_denorm_mode_16_64 3
		.amdhsa_dx10_clamp 1
		.amdhsa_ieee_mode 1
		.amdhsa_fp16_overflow 0
		.amdhsa_workgroup_processor_mode 1
		.amdhsa_memory_ordered 1
		.amdhsa_forward_progress 0
		.amdhsa_shared_vgpr_count 0
		.amdhsa_exception_fp_ieee_invalid_op 0
		.amdhsa_exception_fp_denorm_src 0
		.amdhsa_exception_fp_ieee_div_zero 0
		.amdhsa_exception_fp_ieee_overflow 0
		.amdhsa_exception_fp_ieee_underflow 0
		.amdhsa_exception_fp_ieee_inexact 0
		.amdhsa_exception_int_div_zero 0
	.end_amdhsa_kernel
	.section	.text._ZN12_GLOBAL__N_120geam_min_plus_kernelIDF16_Dv2_DF16_S1_Li8ELi32ELi64ELi128ELi4ELi64ELi4ELi4ELi64ELc78ELc78ELb1ELb0ELb0EDF16_KDF16_DF16_EEviiiT16_PT17_ilS5_ilS3_S5_ilPT18_ili26rocblas_geam_ex_operation_,"axG",@progbits,_ZN12_GLOBAL__N_120geam_min_plus_kernelIDF16_Dv2_DF16_S1_Li8ELi32ELi64ELi128ELi4ELi64ELi4ELi4ELi64ELc78ELc78ELb1ELb0ELb0EDF16_KDF16_DF16_EEviiiT16_PT17_ilS5_ilS3_S5_ilPT18_ili26rocblas_geam_ex_operation_,comdat
.Lfunc_end283:
	.size	_ZN12_GLOBAL__N_120geam_min_plus_kernelIDF16_Dv2_DF16_S1_Li8ELi32ELi64ELi128ELi4ELi64ELi4ELi4ELi64ELc78ELc78ELb1ELb0ELb0EDF16_KDF16_DF16_EEviiiT16_PT17_ilS5_ilS3_S5_ilPT18_ili26rocblas_geam_ex_operation_, .Lfunc_end283-_ZN12_GLOBAL__N_120geam_min_plus_kernelIDF16_Dv2_DF16_S1_Li8ELi32ELi64ELi128ELi4ELi64ELi4ELi4ELi64ELc78ELc78ELb1ELb0ELb0EDF16_KDF16_DF16_EEviiiT16_PT17_ilS5_ilS3_S5_ilPT18_ili26rocblas_geam_ex_operation_
                                        ; -- End function
	.section	.AMDGPU.csdata,"",@progbits
; Kernel info:
; codeLenInByte = 10072
; NumSgprs: 25
; NumVgprs: 91
; ScratchSize: 0
; MemoryBound: 0
; FloatMode: 240
; IeeeMode: 1
; LDSByteSize: 3072 bytes/workgroup (compile time only)
; SGPRBlocks: 3
; VGPRBlocks: 11
; NumSGPRsForWavesPerEU: 25
; NumVGPRsForWavesPerEU: 91
; Occupancy: 16
; WaveLimiterHint : 0
; COMPUTE_PGM_RSRC2:SCRATCH_EN: 0
; COMPUTE_PGM_RSRC2:USER_SGPR: 14
; COMPUTE_PGM_RSRC2:TRAP_HANDLER: 0
; COMPUTE_PGM_RSRC2:TGID_X_EN: 1
; COMPUTE_PGM_RSRC2:TGID_Y_EN: 0
; COMPUTE_PGM_RSRC2:TGID_Z_EN: 1
; COMPUTE_PGM_RSRC2:TIDIG_COMP_CNT: 1
	.section	.text._ZN12_GLOBAL__N_120geam_min_plus_kernelIDF16_Dv2_DF16_S1_Li8ELi32ELi64ELi128ELi4ELi64ELi4ELi4ELi64ELc78ELc78ELb0ELb0ELb0EDF16_KDF16_DF16_EEviiiT16_PT17_ilS5_ilS3_S5_ilPT18_ili26rocblas_geam_ex_operation_,"axG",@progbits,_ZN12_GLOBAL__N_120geam_min_plus_kernelIDF16_Dv2_DF16_S1_Li8ELi32ELi64ELi128ELi4ELi64ELi4ELi4ELi64ELc78ELc78ELb0ELb0ELb0EDF16_KDF16_DF16_EEviiiT16_PT17_ilS5_ilS3_S5_ilPT18_ili26rocblas_geam_ex_operation_,comdat
	.globl	_ZN12_GLOBAL__N_120geam_min_plus_kernelIDF16_Dv2_DF16_S1_Li8ELi32ELi64ELi128ELi4ELi64ELi4ELi4ELi64ELc78ELc78ELb0ELb0ELb0EDF16_KDF16_DF16_EEviiiT16_PT17_ilS5_ilS3_S5_ilPT18_ili26rocblas_geam_ex_operation_ ; -- Begin function _ZN12_GLOBAL__N_120geam_min_plus_kernelIDF16_Dv2_DF16_S1_Li8ELi32ELi64ELi128ELi4ELi64ELi4ELi4ELi64ELc78ELc78ELb0ELb0ELb0EDF16_KDF16_DF16_EEviiiT16_PT17_ilS5_ilS3_S5_ilPT18_ili26rocblas_geam_ex_operation_
	.p2align	8
	.type	_ZN12_GLOBAL__N_120geam_min_plus_kernelIDF16_Dv2_DF16_S1_Li8ELi32ELi64ELi128ELi4ELi64ELi4ELi4ELi64ELc78ELc78ELb0ELb0ELb0EDF16_KDF16_DF16_EEviiiT16_PT17_ilS5_ilS3_S5_ilPT18_ili26rocblas_geam_ex_operation_,@function
_ZN12_GLOBAL__N_120geam_min_plus_kernelIDF16_Dv2_DF16_S1_Li8ELi32ELi64ELi128ELi4ELi64ELi4ELi4ELi64ELc78ELc78ELb0ELb0ELb0EDF16_KDF16_DF16_EEviiiT16_PT17_ilS5_ilS3_S5_ilPT18_ili26rocblas_geam_ex_operation_: ; @_ZN12_GLOBAL__N_120geam_min_plus_kernelIDF16_Dv2_DF16_S1_Li8ELi32ELi64ELi128ELi4ELi64ELi4ELi4ELi64ELc78ELc78ELb0ELb0ELb0EDF16_KDF16_DF16_EEviiiT16_PT17_ilS5_ilS3_S5_ilPT18_ili26rocblas_geam_ex_operation_
; %bb.0:
	s_clause 0x1
	s_load_b64 s[8:9], s[0:1], 0x8
	s_load_b128 s[4:7], s[0:1], 0x20
	s_waitcnt lgkmcnt(0)
	v_cmp_eq_f16_e64 s2, s9, 0
	s_delay_alu instid0(VALU_DEP_1)
	s_and_b32 vcc_lo, exec_lo, s2
	s_cbranch_vccnz .LBB284_3
; %bb.1:
	s_load_b64 s[10:11], s[0:1], 0x10
	s_mul_i32 s3, s15, s5
	s_mul_hi_u32 s5, s15, s4
	s_mul_i32 s4, s15, s4
	s_add_i32 s5, s5, s3
	s_delay_alu instid0(SALU_CYCLE_1)
	s_lshl_b64 s[4:5], s[4:5], 1
	s_waitcnt lgkmcnt(0)
	s_add_u32 s10, s10, s4
	s_addc_u32 s11, s11, s5
	s_and_not1_b32 vcc_lo, exec_lo, s2
	s_cbranch_vccnz .LBB284_4
.LBB284_2:
	s_mov_b32 s19, 0
	s_mov_b64 s[12:13], 0
	s_cbranch_execz .LBB284_5
	s_branch .LBB284_6
.LBB284_3:
	s_mov_b64 s[10:11], 0
	s_and_not1_b32 vcc_lo, exec_lo, s2
	s_cbranch_vccz .LBB284_2
.LBB284_4:
	s_mov_b32 s19, -1
                                        ; implicit-def: $sgpr12_sgpr13
.LBB284_5:
	s_load_b64 s[2:3], s[0:1], 0x38
	s_mov_b32 s19, 0
	s_waitcnt lgkmcnt(0)
	s_mul_i32 s3, s15, s3
	s_mul_hi_u32 s4, s15, s2
	s_mul_i32 s2, s15, s2
	s_add_i32 s3, s4, s3
	s_delay_alu instid0(SALU_CYCLE_1) | instskip(NEXT) | instid1(SALU_CYCLE_1)
	s_lshl_b64 s[2:3], s[2:3], 1
	s_add_u32 s12, s6, s2
	s_addc_u32 s13, s7, s3
.LBB284_6:
	s_clause 0x1
	s_load_b32 s18, s[0:1], 0x40
	s_load_b128 s[4:7], s[0:1], 0x58
	v_cmp_neq_f16_e64 s21, s9, 0
	s_waitcnt lgkmcnt(0)
	v_cmp_eq_f16_e64 s2, s18, 0
	s_delay_alu instid0(VALU_DEP_1) | instskip(NEXT) | instid1(SALU_CYCLE_1)
	s_and_b32 s2, exec_lo, s2
	s_mov_b32 vcc_lo, s2
	s_cbranch_vccnz .LBB284_8
; %bb.7:
	s_load_b64 s[16:17], s[0:1], 0x48
	s_mul_i32 s3, s15, s5
	s_mul_hi_u32 s5, s15, s4
	s_delay_alu instid0(SALU_CYCLE_1) | instskip(SKIP_3) | instid1(SALU_CYCLE_1)
	s_add_i32 s3, s5, s3
	s_mul_i32 s5, s19, s4
	s_mul_i32 s4, s15, s4
	s_add_i32 s5, s3, s5
	s_lshl_b64 s[4:5], s[4:5], 1
	s_waitcnt lgkmcnt(0)
	s_add_u32 s4, s16, s4
	s_addc_u32 s5, s17, s5
	s_branch .LBB284_9
.LBB284_8:
	s_mov_b64 s[4:5], 0
.LBB284_9:
	s_clause 0x1
	s_load_b32 s3, s[0:1], 0x0
	s_load_b32 s16, s[0:1], 0x18
	v_and_b32_e32 v45, 0x3ff, v0
	v_bfe_u32 v46, v0, 10, 10
	s_delay_alu instid0(VALU_DEP_1) | instskip(NEXT) | instid1(VALU_DEP_1)
	v_lshl_add_u32 v4, v46, 3, v45
	v_and_b32_e32 v3, 63, v4
	v_lshrrev_b32_e32 v2, 6, v4
	s_waitcnt lgkmcnt(0)
	s_add_i32 s3, s3, -1
	s_delay_alu instid0(SALU_CYCLE_1) | instskip(NEXT) | instid1(SALU_CYCLE_1)
	s_ashr_i32 s17, s3, 31
	s_lshr_b32 s17, s17, 26
	s_delay_alu instid0(SALU_CYCLE_1) | instskip(NEXT) | instid1(SALU_CYCLE_1)
	s_add_i32 s3, s3, s17
	s_ashr_i32 s3, s3, 6
	s_delay_alu instid0(SALU_CYCLE_1) | instskip(SKIP_2) | instid1(VALU_DEP_1)
	s_add_i32 s20, s3, 1
	s_not_b32 s3, s3
	v_cvt_f32_u32_e32 v1, s20
	v_rcp_iflag_f32_e32 v1, v1
	s_waitcnt_depctr 0xfff
	v_mul_f32_e32 v1, 0x4f7ffffe, v1
	s_delay_alu instid0(VALU_DEP_1) | instskip(NEXT) | instid1(VALU_DEP_1)
	v_cvt_u32_f32_e32 v1, v1
	v_readfirstlane_b32 s17, v1
	v_cndmask_b32_e64 v1, 0, 1, s21
	s_delay_alu instid0(VALU_DEP_2) | instskip(NEXT) | instid1(SALU_CYCLE_1)
	s_mul_i32 s3, s3, s17
	s_mul_hi_u32 s3, s17, s3
	s_delay_alu instid0(SALU_CYCLE_1) | instskip(NEXT) | instid1(SALU_CYCLE_1)
	s_add_i32 s17, s17, s3
	s_mul_hi_u32 s3, s14, s17
	s_ashr_i32 s17, s16, 31
	s_mul_i32 s22, s3, s20
	s_add_i32 s23, s3, 1
	s_sub_i32 s22, s14, s22
	s_delay_alu instid0(SALU_CYCLE_1)
	s_sub_i32 s24, s22, s20
	s_cmp_ge_u32 s22, s20
	s_cselect_b32 s3, s23, s3
	s_cselect_b32 s22, s24, s22
	s_add_i32 s23, s3, 1
	s_cmp_ge_u32 s22, s20
	s_cselect_b32 s24, s23, s3
	s_and_not1_b32 vcc_lo, exec_lo, s21
	s_mul_i32 s22, s24, s20
	s_delay_alu instid0(SALU_CYCLE_1) | instskip(NEXT) | instid1(SALU_CYCLE_1)
	s_sub_i32 s3, s14, s22
	s_lshl_b32 s20, s3, 6
	v_cmp_ne_u32_e64 s3, 1, v1
	v_or_b32_e32 v0, s20, v3
	s_delay_alu instid0(VALU_DEP_1)
	v_ashrrev_i32_e32 v1, 31, v0
	s_cbranch_vccnz .LBB284_11
; %bb.10:
	v_mad_i64_i32 v[5:6], null, s16, v2, 0
	s_delay_alu instid0(VALU_DEP_2) | instskip(NEXT) | instid1(VALU_DEP_2)
	v_lshlrev_b64 v[7:8], 1, v[0:1]
	v_lshlrev_b64 v[5:6], 1, v[5:6]
	s_delay_alu instid0(VALU_DEP_1) | instskip(NEXT) | instid1(VALU_DEP_2)
	v_add_co_u32 v5, vcc_lo, s10, v5
	v_add_co_ci_u32_e32 v6, vcc_lo, s11, v6, vcc_lo
	s_delay_alu instid0(VALU_DEP_2) | instskip(NEXT) | instid1(VALU_DEP_2)
	v_add_co_u32 v5, vcc_lo, v5, v7
	v_add_co_ci_u32_e32 v6, vcc_lo, v6, v8, vcc_lo
	flat_load_u16 v5, v[5:6]
	s_waitcnt vmcnt(0) lgkmcnt(0)
	v_mul_f16_e32 v8, s9, v5
	s_branch .LBB284_12
.LBB284_11:
	v_mov_b32_e32 v8, 0
.LBB284_12:
	s_load_b32 s23, s[0:1], 0x30
	v_lshrrev_b32_e32 v9, 2, v4
	s_lshl_b32 s21, s24, 7
	v_and_b32_e32 v5, 3, v45
	s_and_b32 vcc_lo, exec_lo, s3
	s_delay_alu instid0(VALU_DEP_2) | instskip(NEXT) | instid1(VALU_DEP_2)
	v_add_nc_u32_e32 v4, s21, v9
	v_lshlrev_b32_e32 v50, 1, v5
	s_delay_alu instid0(VALU_DEP_2)
	v_add_nc_u32_e32 v5, 64, v4
	s_cbranch_vccnz .LBB284_16
; %bb.13:
	s_waitcnt lgkmcnt(0)
	v_mad_i64_i32 v[6:7], null, v4, s23, 0
	s_delay_alu instid0(VALU_DEP_2) | instskip(SKIP_1) | instid1(VALU_DEP_1)
	v_mad_i64_i32 v[10:11], null, v5, s23, 0
	v_add_co_u32 v12, s24, s12, v50
	v_add_co_ci_u32_e64 v13, null, s13, 0, s24
	s_delay_alu instid0(VALU_DEP_4) | instskip(NEXT) | instid1(VALU_DEP_4)
	v_lshlrev_b64 v[6:7], 1, v[6:7]
	v_lshlrev_b64 v[10:11], 1, v[10:11]
	s_delay_alu instid0(VALU_DEP_2) | instskip(NEXT) | instid1(VALU_DEP_3)
	v_add_co_u32 v6, vcc_lo, v12, v6
	v_add_co_ci_u32_e32 v7, vcc_lo, v13, v7, vcc_lo
	s_delay_alu instid0(VALU_DEP_3) | instskip(NEXT) | instid1(VALU_DEP_4)
	v_add_co_u32 v10, vcc_lo, v12, v10
	v_add_co_ci_u32_e32 v11, vcc_lo, v13, v11, vcc_lo
	s_clause 0x1
	flat_load_u16 v6, v[6:7]
	flat_load_u16 v7, v[10:11]
	s_waitcnt vmcnt(1) lgkmcnt(1)
	v_mul_f16_e32 v10, s9, v6
	s_waitcnt vmcnt(0) lgkmcnt(0)
	v_mul_f16_e32 v11, s9, v7
	s_and_b32 vcc_lo, exec_lo, s3
	s_cbranch_vccnz .LBB284_17
.LBB284_14:
	v_add_nc_u32_e32 v12, 4, v2
	v_lshlrev_b64 v[0:1], 1, v[0:1]
	s_delay_alu instid0(VALU_DEP_2) | instskip(NEXT) | instid1(VALU_DEP_1)
	v_mad_i64_i32 v[6:7], null, s16, v12, 0
	v_lshlrev_b64 v[6:7], 1, v[6:7]
	s_delay_alu instid0(VALU_DEP_1) | instskip(NEXT) | instid1(VALU_DEP_2)
	v_add_co_u32 v6, vcc_lo, s10, v6
	v_add_co_ci_u32_e32 v7, vcc_lo, s11, v7, vcc_lo
	s_delay_alu instid0(VALU_DEP_2) | instskip(NEXT) | instid1(VALU_DEP_2)
	v_add_co_u32 v0, vcc_lo, v6, v0
	v_add_co_ci_u32_e32 v1, vcc_lo, v7, v1, vcc_lo
	flat_load_u16 v0, v[0:1]
	s_waitcnt vmcnt(0) lgkmcnt(0)
	v_mul_f16_e32 v0, s9, v0
	s_and_b32 vcc_lo, exec_lo, s3
	s_cbranch_vccnz .LBB284_18
.LBB284_15:
	s_waitcnt lgkmcnt(0)
	v_mad_i64_i32 v[6:7], null, v4, s23, 0
	v_mad_i64_i32 v[12:13], null, v5, s23, 0
	v_add_co_u32 v1, s24, s12, v50
	s_delay_alu instid0(VALU_DEP_1) | instskip(NEXT) | instid1(VALU_DEP_4)
	v_add_co_ci_u32_e64 v14, null, s13, 0, s24
	v_lshlrev_b64 v[6:7], 1, v[6:7]
	s_delay_alu instid0(VALU_DEP_4) | instskip(NEXT) | instid1(VALU_DEP_2)
	v_lshlrev_b64 v[12:13], 1, v[12:13]
	v_add_co_u32 v6, vcc_lo, v1, v6
	s_delay_alu instid0(VALU_DEP_3) | instskip(NEXT) | instid1(VALU_DEP_3)
	v_add_co_ci_u32_e32 v7, vcc_lo, v14, v7, vcc_lo
	v_add_co_u32 v12, vcc_lo, v1, v12
	s_delay_alu instid0(VALU_DEP_4)
	v_add_co_ci_u32_e32 v13, vcc_lo, v14, v13, vcc_lo
	s_clause 0x1
	flat_load_u16 v1, v[6:7] offset:8
	flat_load_u16 v7, v[12:13] offset:8
	s_waitcnt vmcnt(1) lgkmcnt(1)
	v_mul_f16_e32 v6, s9, v1
	s_waitcnt vmcnt(0) lgkmcnt(0)
	v_mul_f16_e32 v7, s9, v7
	s_branch .LBB284_19
.LBB284_16:
	v_dual_mov_b32 v10, 0 :: v_dual_mov_b32 v11, 0
	s_and_b32 vcc_lo, exec_lo, s3
	s_cbranch_vccz .LBB284_14
.LBB284_17:
	v_mov_b32_e32 v0, 0
	s_and_b32 vcc_lo, exec_lo, s3
	s_cbranch_vccz .LBB284_15
.LBB284_18:
	v_dual_mov_b32 v6, 0 :: v_dual_mov_b32 v7, 0
.LBB284_19:
	v_lshlrev_b32_e32 v1, 3, v3
	v_lshlrev_b32_e32 v48, 3, v45
	v_lshl_or_b32 v58, v9, 3, v50
	v_lshlrev_b32_e32 v47, 3, v46
	s_cmp_lt_i32 s8, 9
	v_lshl_add_u32 v1, v2, 1, v1
	v_add_nc_u32_e32 v28, 0x800, v48
	ds_store_b16 v58, v10
	ds_store_b16 v1, v8 offset:2048
	ds_store_b16 v58, v11 offset:512
	s_waitcnt lgkmcnt(0)
	s_barrier
	buffer_gl0_inv
	ds_load_2addr_b64 v[8:11], v47 offset1:32
	ds_load_2addr_b64 v[12:15], v28 offset0:48 offset1:56
	ds_load_2addr_b64 v[16:19], v47 offset0:64 offset1:96
	ds_load_2addr_b64 v[20:23], v28 offset1:8
	ds_load_2addr_b64 v[24:27], v28 offset0:16 offset1:24
	ds_load_2addr_b64 v[28:31], v28 offset0:32 offset1:40
	ds_store_b16 v58, v6 offset:1024
	ds_store_b16 v1, v0 offset:2560
	;; [unrolled: 1-line block ×3, first 2 shown]
	s_waitcnt lgkmcnt(0)
	s_barrier
	buffer_gl0_inv
	v_pk_max_f16 v10, v10, v10
	v_pk_max_f16 v8, v8, v8
	;; [unrolled: 1-line block ×8, first 2 shown]
	v_pk_min_f16 v36, v20, v10
	v_pk_max_f16 v14, v14, v14
	v_pk_min_f16 v42, v24, v10
	v_pk_min_f16 v43, v24, v16
	v_pk_max_f16 v18, v18, v18
	v_pk_add_f16 v40, v36, 0
	v_pk_min_f16 v36, v22, v16
	v_pk_add_f16 v51, v42, 0
	v_pk_min_f16 v42, v26, v10
	v_pk_min_f16 v32, v14, v8
	v_pk_add_f16 v52, v43, 0
	v_pk_add_f16 v41, v36, 0
	v_pk_min_f16 v36, v24, v8
	v_pk_min_f16 v43, v26, v16
	v_pk_add_f16 v59, v42, 0
	v_pk_min_f16 v42, v28, v10
	v_pk_max_f16 v30, v30, v30
	v_pk_add_f16 v49, v36, 0
	v_pk_min_f16 v36, v26, v8
	v_pk_max_f16 v12, v12, v12
	v_pk_max_f16 v9, v9, v9
	;; [unrolled: 1-line block ×3, first 2 shown]
	v_pk_min_f16 v33, v14, v10
	v_pk_add_f16 v53, v36, 0
	v_pk_min_f16 v36, v28, v8
	v_pk_min_f16 v34, v14, v16
	;; [unrolled: 1-line block ×5, first 2 shown]
	v_pk_add_f16 v61, v36, 0
	v_pk_min_f16 v36, v28, v16
	v_pk_min_f16 v38, v22, v8
	v_pk_min_f16 v39, v22, v10
	v_pk_add_f16 v32, v32, 0
	v_pk_min_f16 v22, v22, v18
	v_pk_min_f16 v24, v24, v18
	;; [unrolled: 1-line block ×3, first 2 shown]
	v_pk_add_f16 v60, v43, 0
	v_pk_min_f16 v28, v28, v18
	v_pk_add_f16 v66, v42, 0
	v_pk_min_f16 v42, v30, v8
	v_pk_min_f16 v43, v30, v10
	v_pk_add_f16 v67, v36, 0
	v_pk_min_f16 v36, v30, v16
	v_pk_min_f16 v30, v30, v18
	;; [unrolled: 1-line block ×6, first 2 shown]
	v_pk_max_f16 v11, v11, v11
	v_pk_min_f16 v14, v14, v18
	v_pk_min_f16 v18, v15, v9
	v_pk_add_f16 v33, v33, 0
	v_pk_add_f16 v71, v30, 0
	v_pk_max_f16 v17, v17, v17
	v_pk_min_f16 v30, v15, v11
	v_pk_max_f16 v21, v21, v21
	v_pk_add_f16 v57, v18, v32
	v_pk_max_f16 v18, v19, v19
	v_pk_add_f16 v35, v35, 0
	v_pk_add_f16 v20, v20, 0
	;; [unrolled: 1-line block ×3, first 2 shown]
	v_pk_min_f16 v19, v21, v9
	v_pk_min_f16 v30, v21, v11
	;; [unrolled: 1-line block ×4, first 2 shown]
	v_pk_max_f16 v23, v23, v23
	v_pk_add_f16 v34, v34, 0
	v_pk_add_f16 v38, v38, 0
	;; [unrolled: 1-line block ×5, first 2 shown]
	v_pk_min_f16 v36, v15, v17
	v_pk_add_f16 v65, v19, v35
	v_pk_add_f16 v35, v21, v20
	v_pk_min_f16 v19, v23, v9
	v_pk_min_f16 v20, v23, v11
	;; [unrolled: 1-line block ×4, first 2 shown]
	v_pk_max_f16 v25, v25, v25
	v_pk_add_f16 v24, v24, 0
	v_pk_add_f16 v68, v42, 0
	;; [unrolled: 1-line block ×7, first 2 shown]
	v_pk_min_f16 v19, v25, v9
	v_pk_min_f16 v20, v25, v11
	;; [unrolled: 1-line block ×4, first 2 shown]
	v_pk_max_f16 v23, v27, v27
	v_pk_add_f16 v37, v37, 0
	v_pk_add_f16 v26, v26, 0
	;; [unrolled: 1-line block ×6, first 2 shown]
	v_pk_min_f16 v19, v23, v9
	v_pk_min_f16 v20, v23, v11
	;; [unrolled: 1-line block ×4, first 2 shown]
	v_pk_max_f16 v23, v29, v29
	v_pk_add_f16 v28, v28, 0
	v_pk_add_f16 v69, v43, 0
	;; [unrolled: 1-line block ×8, first 2 shown]
	v_pk_min_f16 v19, v23, v9
	v_pk_min_f16 v20, v23, v11
	;; [unrolled: 1-line block ×4, first 2 shown]
	v_pk_max_f16 v23, v31, v31
	v_pk_max_f16 v13, v13, v13
	v_pk_add_f16 v8, v8, 0
	v_pk_add_f16 v10, v10, 0
	;; [unrolled: 1-line block ×9, first 2 shown]
	v_pk_min_f16 v19, v23, v9
	v_pk_min_f16 v20, v23, v11
	;; [unrolled: 1-line block ×9, first 2 shown]
	v_pk_add_f16 v60, v19, v68
	v_pk_add_f16 v51, v20, v69
	v_pk_add_f16 v38, v21, v70
	v_pk_add_f16 v29, v22, v71
	v_pk_add_f16 v59, v9, v8
	v_pk_add_f16 v49, v11, v10
	v_pk_add_f16 v37, v17, v16
	v_pk_add_f16 v31, v13, v12
	v_pk_add_f16 v28, v15, v14
	s_cbranch_scc1 .LBB284_33
; %bb.20:
	v_mad_i64_i32 v[6:7], null, s23, v5, 0
	v_lshl_or_b32 v5, s14, 6, v3
	s_lshl_b32 s14, s22, 6
	v_or_b32_e32 v66, 0x800, v1
	v_add_nc_u32_e32 v68, 0xa00, v1
	v_mad_i64_i32 v[0:1], null, s23, v4, 0
	v_lshlrev_b64 v[3:4], 1, v[6:7]
	v_add_nc_u32_e32 v6, 8, v2
	v_subrev_nc_u32_e32 v5, s14, v5
	v_add_nc_u32_e32 v2, 12, v2
	v_add_nc_u32_e32 v67, 0x800, v48
	;; [unrolled: 1-line block ×3, first 2 shown]
	v_mad_i64_i32 v[7:8], null, v6, s16, 0
	v_ashrrev_i32_e32 v6, 31, v5
	v_lshlrev_b64 v[0:1], 1, v[0:1]
	v_mad_i64_i32 v[9:10], null, v2, s16, 0
	v_add_co_u32 v72, vcc_lo, s12, v3
	s_delay_alu instid0(VALU_DEP_4) | instskip(SKIP_3) | instid1(VALU_DEP_4)
	v_lshlrev_b64 v[2:3], 1, v[5:6]
	v_add_co_ci_u32_e32 v73, vcc_lo, s13, v4, vcc_lo
	v_add_co_u32 v74, vcc_lo, s12, v0
	v_add_co_ci_u32_e32 v75, vcc_lo, s13, v1, vcc_lo
	v_add_co_u32 v76, vcc_lo, s10, v2
	v_lshlrev_b64 v[24:25], 1, v[7:8]
	v_lshlrev_b64 v[26:27], 1, v[9:10]
	v_lshl_add_u32 v70, v45, 3, 0xa00
	v_lshl_add_u32 v71, v46, 3, 0x400
	v_add_co_ci_u32_e32 v77, vcc_lo, s11, v3, vcc_lo
	s_add_i32 s8, s8, -8
	s_lshl_b64 s[10:11], s[16:17], 4
	s_mov_b32 s12, 0
	s_branch .LBB284_23
.LBB284_21:                             ;   in Loop: Header=BB284_23 Depth=1
	v_add_co_u32 v0, vcc_lo, v74, v50
	v_add_co_ci_u32_e32 v1, vcc_lo, 0, v75, vcc_lo
	v_add_co_u32 v121, vcc_lo, v72, v50
	v_add_co_ci_u32_e32 v122, vcc_lo, 0, v73, vcc_lo
	flat_load_u16 v0, v[0:1] offset:24
	flat_load_u16 v1, v[121:122] offset:24
	s_waitcnt vmcnt(1) lgkmcnt(1)
	v_mul_f16_e32 v0, s9, v0
	s_waitcnt vmcnt(0) lgkmcnt(0)
	v_mul_f16_e32 v1, s9, v1
.LBB284_22:                             ;   in Loop: Header=BB284_23 Depth=1
	v_pk_add_f16 v16, v16, v36
	v_pk_add_f16 v22, v22, v35
	;; [unrolled: 1-line block ×30, first 2 shown]
	ds_load_2addr_b64 v[28:31], v67 offset0:48 offset1:56
	ds_load_2addr_b64 v[32:35], v47 offset1:32
	ds_load_2addr_b64 v[36:39], v47 offset0:64 offset1:96
	v_pk_add_f16 v82, v118, v42
	v_pk_add_f16 v83, v120, v41
	;; [unrolled: 1-line block ×4, first 2 shown]
	ds_load_2addr_b64 v[40:43], v67 offset1:8
	v_pk_add_f16 v8, v8, v64
	v_pk_add_f16 v51, v93, v51
	;; [unrolled: 1-line block ×12, first 2 shown]
	s_waitcnt lgkmcnt(3)
	v_pk_max_f16 v30, v30, v30
	s_waitcnt lgkmcnt(2)
	v_pk_max_f16 v32, v32, v32
	v_pk_max_f16 v34, v34, v34
	s_waitcnt lgkmcnt(1)
	v_pk_max_f16 v36, v36, v36
	v_pk_add_f16 v15, v15, v51
	v_pk_add_f16 v51, v7, v62
	;; [unrolled: 1-line block ×3, first 2 shown]
	v_pk_min_f16 v6, v30, v32
	v_pk_min_f16 v7, v30, v34
	;; [unrolled: 1-line block ×3, first 2 shown]
	ds_load_2addr_b64 v[2:5], v67 offset0:16 offset1:24
	s_waitcnt lgkmcnt(1)
	v_pk_max_f16 v9, v40, v40
	v_pk_max_f16 v38, v38, v38
	v_pk_add_f16 v14, v110, v14
	v_pk_add_f16 v18, v111, v18
	;; [unrolled: 1-line block ×7, first 2 shown]
	v_pk_min_f16 v6, v9, v32
	v_pk_min_f16 v7, v9, v34
	;; [unrolled: 1-line block ×4, first 2 shown]
	v_pk_add_f16 v59, v96, v59
	v_pk_add_f16 v14, v6, v14
	;; [unrolled: 1-line block ×5, first 2 shown]
	ds_load_2addr_b64 v[6:9], v67 offset0:32 offset1:40
	v_pk_max_f16 v42, v42, v42
	v_pk_add_f16 v17, v17, v57
	v_pk_add_f16 v19, v19, v60
	;; [unrolled: 1-line block ×3, first 2 shown]
	s_waitcnt lgkmcnt(1)
	v_pk_max_f16 v2, v2, v2
	v_pk_min_f16 v57, v42, v32
	v_pk_min_f16 v59, v42, v34
	;; [unrolled: 1-line block ×4, first 2 shown]
	v_pk_max_f16 v4, v4, v4
	v_pk_add_f16 v49, v97, v49
	v_pk_add_f16 v44, v101, v44
	;; [unrolled: 1-line block ×4, first 2 shown]
	v_pk_min_f16 v42, v2, v32
	v_pk_add_f16 v10, v119, v10
	v_pk_add_f16 v54, v104, v54
	;; [unrolled: 1-line block ×5, first 2 shown]
	v_pk_min_f16 v42, v4, v34
	s_waitcnt lgkmcnt(0)
	v_pk_max_f16 v6, v6, v6
	v_pk_add_f16 v61, v57, v65
	v_pk_min_f16 v57, v2, v34
	v_pk_min_f16 v63, v2, v36
	;; [unrolled: 1-line block ×3, first 2 shown]
	v_pk_add_f16 v81, v42, v44
	v_pk_min_f16 v42, v6, v32
	v_pk_add_f16 v53, v103, v53
	v_pk_add_f16 v60, v60, v80
	;; [unrolled: 1-line block ×5, first 2 shown]
	v_pk_min_f16 v11, v4, v32
	v_pk_min_f16 v57, v4, v36
	;; [unrolled: 1-line block ×4, first 2 shown]
	v_pk_max_f16 v8, v8, v8
	v_pk_add_f16 v83, v42, v54
	v_pk_min_f16 v42, v6, v36
	v_pk_max_f16 v28, v28, v28
	v_pk_add_f16 v11, v11, v84
	v_pk_add_f16 v82, v57, v85
	;; [unrolled: 1-line block ×4, first 2 shown]
	v_pk_min_f16 v44, v8, v32
	v_pk_min_f16 v53, v8, v34
	v_pk_add_f16 v85, v42, v52
	v_pk_min_f16 v42, v8, v36
	v_pk_min_f16 v8, v8, v38
	;; [unrolled: 1-line block ×5, first 2 shown]
	v_pk_max_f16 v31, v31, v31
	v_pk_max_f16 v86, v35, v35
	v_pk_add_f16 v8, v8, v19
	v_pk_add_f16 v19, v32, v21
	;; [unrolled: 1-line block ×4, first 2 shown]
	v_pk_max_f16 v49, v33, v33
	v_pk_min_f16 v30, v30, v38
	v_pk_max_f16 v37, v37, v37
	v_pk_min_f16 v33, v31, v86
	v_pk_add_f16 v13, v44, v13
	v_pk_min_f16 v32, v31, v49
	v_pk_add_f16 v87, v30, v56
	v_pk_min_f16 v30, v31, v37
	v_pk_max_f16 v34, v41, v41
	v_pk_add_f16 v44, v33, v12
	v_pk_max_f16 v12, v39, v39
	v_pk_add_f16 v57, v32, v40
	v_pk_add_f16 v36, v30, v16
	v_pk_min_f16 v16, v34, v49
	v_pk_min_f16 v30, v34, v86
	;; [unrolled: 1-line block ×4, first 2 shown]
	v_pk_max_f16 v34, v43, v43
	v_pk_min_f16 v6, v6, v38
	v_pk_add_f16 v65, v16, v14
	v_pk_add_f16 v56, v30, v18
	v_pk_max_f16 v3, v3, v3
	v_pk_min_f16 v14, v34, v49
	v_pk_min_f16 v16, v34, v86
	;; [unrolled: 1-line block ×3, first 2 shown]
	v_pk_add_f16 v6, v6, v55
	v_pk_add_f16 v17, v42, v17
	;; [unrolled: 1-line block ×5, first 2 shown]
	v_pk_min_f16 v14, v3, v49
	v_pk_min_f16 v16, v3, v86
	;; [unrolled: 1-line block ×4, first 2 shown]
	v_pk_max_f16 v5, v5, v5
	v_pk_add_f16 v43, v32, v20
	v_pk_add_f16 v35, v33, v22
	v_pk_min_f16 v20, v34, v12
	v_pk_add_f16 v54, v16, v10
	v_pk_add_f16 v33, v3, v2
	v_pk_min_f16 v2, v5, v49
	v_pk_min_f16 v3, v5, v86
	;; [unrolled: 1-line block ×4, first 2 shown]
	v_pk_max_f16 v7, v7, v7
	v_pk_add_f16 v15, v53, v15
	v_pk_add_f16 v34, v20, v62
	v_pk_add_f16 v62, v2, v11
	v_pk_add_f16 v53, v3, v81
	v_pk_add_f16 v32, v5, v4
	v_pk_min_f16 v2, v7, v49
	v_pk_min_f16 v3, v7, v86
	;; [unrolled: 1-line block ×4, first 2 shown]
	v_pk_max_f16 v7, v9, v9
	v_pk_min_f16 v28, v28, v38
	v_pk_add_f16 v61, v2, v83
	v_pk_add_f16 v52, v3, v84
	;; [unrolled: 1-line block ×4, first 2 shown]
	v_pk_min_f16 v2, v7, v49
	v_pk_min_f16 v3, v7, v86
	;; [unrolled: 1-line block ×4, first 2 shown]
	v_pk_max_f16 v6, v29, v29
	v_add_co_u32 v72, vcc_lo, v72, 16
	v_add_co_ci_u32_e32 v73, vcc_lo, 0, v73, vcc_lo
	v_pk_add_f16 v28, v28, v51
	v_pk_add_f16 v60, v2, v13
	;; [unrolled: 1-line block ×5, first 2 shown]
	v_pk_min_f16 v2, v6, v49
	v_pk_min_f16 v3, v6, v86
	;; [unrolled: 1-line block ×5, first 2 shown]
	v_add_co_u32 v74, vcc_lo, v74, 16
	v_add_co_ci_u32_e32 v75, vcc_lo, 0, v75, vcc_lo
	v_add_co_u32 v76, vcc_lo, v76, s10
	v_pk_add_f16 v63, v14, v79
	v_pk_add_f16 v41, v18, v80
	;; [unrolled: 1-line block ×8, first 2 shown]
	v_add_co_ci_u32_e32 v77, vcc_lo, s11, v77, vcc_lo
	s_add_i32 s12, s12, 8
	ds_store_b16 v68, v78
	ds_store_b16 v69, v0
	ds_store_b16 v69, v1 offset:512
	s_cmp_ge_i32 s12, s8
	s_waitcnt lgkmcnt(0)
	s_barrier
	buffer_gl0_inv
	s_cbranch_scc1 .LBB284_33
.LBB284_23:                             ; =>This Inner Loop Header: Depth=1
	v_mov_b32_e32 v78, 0
	s_and_b32 vcc_lo, exec_lo, s3
	s_cbranch_vccnz .LBB284_25
; %bb.24:                               ;   in Loop: Header=BB284_23 Depth=1
	v_add_co_u32 v0, vcc_lo, v76, v24
	v_add_co_ci_u32_e32 v1, vcc_lo, v77, v25, vcc_lo
	flat_load_u16 v0, v[0:1]
	s_waitcnt vmcnt(0) lgkmcnt(0)
	v_mul_f16_e32 v78, s9, v0
.LBB284_25:                             ;   in Loop: Header=BB284_23 Depth=1
	s_and_b32 vcc_lo, exec_lo, s3
	s_cbranch_vccnz .LBB284_27
; %bb.26:                               ;   in Loop: Header=BB284_23 Depth=1
	v_add_co_u32 v0, vcc_lo, v74, v50
	v_add_co_ci_u32_e32 v1, vcc_lo, 0, v75, vcc_lo
	v_add_co_u32 v2, vcc_lo, v72, v50
	v_add_co_ci_u32_e32 v3, vcc_lo, 0, v73, vcc_lo
	flat_load_u16 v0, v[0:1] offset:16
	flat_load_u16 v1, v[2:3] offset:16
	s_waitcnt vmcnt(1) lgkmcnt(1)
	v_mul_f16_e32 v79, s9, v0
	s_waitcnt vmcnt(0) lgkmcnt(0)
	v_mul_f16_e32 v80, s9, v1
	s_branch .LBB284_28
.LBB284_27:                             ;   in Loop: Header=BB284_23 Depth=1
	v_dual_mov_b32 v79, 0 :: v_dual_mov_b32 v80, 0
.LBB284_28:                             ;   in Loop: Header=BB284_23 Depth=1
	ds_load_2addr_b64 v[0:3], v70 offset0:48 offset1:56
	ds_load_2addr_b64 v[12:15], v71 offset0:64 offset1:96
	ds_load_2addr_b64 v[20:23], v71 offset1:32
	ds_load_2addr_b64 v[16:19], v70 offset1:8
	ds_load_2addr_b64 v[8:11], v70 offset0:16 offset1:24
	ds_load_2addr_b64 v[4:7], v70 offset0:32 offset1:40
	s_and_b32 vcc_lo, exec_lo, s3
	ds_store_b16 v66, v78
	ds_store_b16 v58, v79
	ds_store_b16 v58, v80 offset:512
	s_waitcnt lgkmcnt(0)
	s_barrier
	buffer_gl0_inv
	s_cbranch_vccnz .LBB284_30
; %bb.29:                               ;   in Loop: Header=BB284_23 Depth=1
	v_add_co_u32 v78, vcc_lo, v76, v26
	v_add_co_ci_u32_e32 v79, vcc_lo, v77, v27, vcc_lo
	flat_load_u16 v78, v[78:79]
	s_waitcnt vmcnt(0) lgkmcnt(0)
	v_mul_f16_e32 v78, s9, v78
	s_branch .LBB284_31
.LBB284_30:                             ;   in Loop: Header=BB284_23 Depth=1
	v_mov_b32_e32 v78, 0
.LBB284_31:                             ;   in Loop: Header=BB284_23 Depth=1
	v_pk_max_f16 v91, v2, v2
	v_pk_max_f16 v96, v20, v20
	;; [unrolled: 1-line block ×12, first 2 shown]
	v_pk_min_f16 v2, v91, v96
	v_pk_min_f16 v12, v91, v97
	;; [unrolled: 1-line block ×25, first 2 shown]
	v_pk_max_f16 v0, v3, v3
	v_pk_max_f16 v21, v21, v21
	;; [unrolled: 1-line block ×9, first 2 shown]
	v_pk_min_f16 v110, v3, v21
	v_pk_min_f16 v111, v3, v23
	;; [unrolled: 1-line block ×4, first 2 shown]
	v_pk_max_f16 v3, v9, v9
	v_pk_max_f16 v9, v11, v11
	;; [unrolled: 1-line block ×3, first 2 shown]
	v_pk_min_f16 v22, v22, v100
	v_pk_min_f16 v81, v81, v100
	;; [unrolled: 1-line block ×35, first 2 shown]
	s_and_b32 vcc_lo, exec_lo, s3
	s_cbranch_vccz .LBB284_21
; %bb.32:                               ;   in Loop: Header=BB284_23 Depth=1
	v_dual_mov_b32 v0, 0 :: v_dual_mov_b32 v1, 0
	s_branch .LBB284_22
.LBB284_33:
	s_load_b32 s8, s[0:1], 0x50
	v_dual_mov_b32 v50, 0 :: v_dual_add_nc_u32 v25, s21, v46
	ds_load_b64 v[0:1], v47 offset:1024
	ds_load_b64 v[2:3], v48 offset:2560
	v_add_nc_u32_e32 v22, s20, v45
	v_cmp_neq_f16_e64 s9, s18, 0
	v_mov_b32_e32 v20, 0
	s_delay_alu instid0(VALU_DEP_3) | instskip(NEXT) | instid1(VALU_DEP_3)
	v_ashrrev_i32_e32 v23, 31, v22
	s_and_b32 vcc_lo, exec_lo, s9
	s_delay_alu instid0(VALU_DEP_1) | instskip(SKIP_2) | instid1(VALU_DEP_1)
	v_lshlrev_b64 v[16:17], 1, v[22:23]
	s_waitcnt lgkmcnt(0)
	v_mad_i64_i32 v[4:5], null, v25, s8, 0
	v_lshlrev_b64 v[4:5], 1, v[4:5]
	s_delay_alu instid0(VALU_DEP_1) | instskip(NEXT) | instid1(VALU_DEP_1)
	v_add_co_u32 v66, s3, s4, v4
	v_add_co_ci_u32_e64 v67, s3, s5, v5, s3
	s_cbranch_vccz .LBB284_35
; %bb.34:
	s_delay_alu instid0(VALU_DEP_2) | instskip(NEXT) | instid1(VALU_DEP_2)
	v_add_co_u32 v4, vcc_lo, v66, v16
	v_add_co_ci_u32_e32 v5, vcc_lo, v67, v17, vcc_lo
	flat_load_u16 v4, v[4:5]
	s_waitcnt vmcnt(0) lgkmcnt(0)
	v_mul_f16_e32 v20, s18, v4
.LBB284_35:
	s_clause 0x1
	s_load_b64 s[10:11], s[0:1], 0x70
	s_load_b32 s1, s[0:1], 0x68
	v_pk_max_f16 v69, v0, v0
	v_pk_max_f16 v26, v2, v2
	;; [unrolled: 1-line block ×4, first 2 shown]
	ds_load_b64 v[23:24], v48 offset:3008
	ds_load_b64 v[18:19], v47 offset:1792
	v_add_nc_u32_e32 v4, 0x800, v48
	v_pk_min_f16 v0, v26, v69
	v_add_nc_u32_e32 v45, 8, v22
	v_pk_min_f16 v5, v27, v68
	s_delay_alu instid0(VALU_DEP_3)
	v_pk_add_f16 v6, v0, v65
	ds_load_2addr_b64 v[0:3], v47 offset0:160 offset1:192
	ds_load_2addr_b64 v[12:15], v4 offset0:72 offset1:80
	;; [unrolled: 1-line block ×3, first 2 shown]
	v_pk_add_f16 v21, v5, v6
	ds_load_2addr_b64 v[4:7], v4 offset0:104 offset1:112
	s_waitcnt lgkmcnt(0)
	s_mul_i32 s0, s15, s11
	v_mad_i64_i32 v[46:47], null, v25, s1, 0
	s_mul_hi_u32 s3, s15, s10
	s_mul_i32 s11, s19, s10
	s_add_i32 s0, s3, s0
	s_mul_i32 s10, s15, s10
	s_add_i32 s11, s0, s11
	v_lshrrev_b32_e32 v58, 16, v21
	s_delay_alu instid0(VALU_DEP_2)
	v_lshlrev_b64 v[47:48], 1, v[46:47]
	s_lshl_b64 s[10:11], s[10:11], 1
	v_ashrrev_i32_e32 v46, 31, v45
	s_add_u32 s3, s6, s10
	s_addc_u32 s6, s7, s11
	v_add_f16_e32 v21, v21, v58
	v_add_co_u32 v70, vcc_lo, s3, v47
	v_cndmask_b32_e64 v58, 0, 1, s9
	v_add_co_ci_u32_e32 v71, vcc_lo, s6, v48, vcc_lo
	s_delay_alu instid0(VALU_DEP_3)
	v_add_co_u32 v47, vcc_lo, v70, v16
	v_add_f16_e32 v65, v21, v20
	v_lshlrev_b64 v[20:21], 1, v[45:46]
	v_cmp_ne_u32_e64 s0, 1, v58
	v_add_co_ci_u32_e32 v48, vcc_lo, v71, v17, vcc_lo
	s_and_not1_b32 vcc_lo, exec_lo, s9
	global_store_b16 v[47:48], v65, off
	s_cbranch_vccnz .LBB284_37
; %bb.36:
	v_add_co_u32 v45, vcc_lo, v66, v20
	v_add_co_ci_u32_e32 v46, vcc_lo, v67, v21, vcc_lo
	flat_load_u16 v45, v[45:46]
	s_waitcnt vmcnt(0) lgkmcnt(0)
	v_mul_f16_e32 v50, s18, v45
.LBB284_37:
	v_pk_max_f16 v45, v12, v12
	v_pk_max_f16 v46, v13, v13
	s_delay_alu instid0(VALU_DEP_2) | instskip(NEXT) | instid1(VALU_DEP_2)
	v_pk_min_f16 v12, v45, v69
	v_pk_min_f16 v13, v46, v68
	s_delay_alu instid0(VALU_DEP_2) | instskip(SKIP_1) | instid1(VALU_DEP_2)
	v_pk_add_f16 v12, v12, v64
	v_mov_b32_e32 v64, 0
	v_pk_add_f16 v47, v13, v12
	v_add_nc_u32_e32 v12, 16, v22
	s_delay_alu instid0(VALU_DEP_2) | instskip(NEXT) | instid1(VALU_DEP_2)
	v_lshrrev_b32_e32 v48, 16, v47
	v_ashrrev_i32_e32 v13, 31, v12
	s_delay_alu instid0(VALU_DEP_2) | instskip(SKIP_1) | instid1(VALU_DEP_3)
	v_add_f16_e32 v58, v47, v48
	v_add_co_u32 v47, vcc_lo, v70, v20
	v_lshlrev_b64 v[12:13], 1, v[12:13]
	v_add_co_ci_u32_e32 v48, vcc_lo, v71, v21, vcc_lo
	s_delay_alu instid0(VALU_DEP_4)
	v_add_f16_e32 v58, v58, v50
	v_mov_b32_e32 v50, 0
	s_and_b32 vcc_lo, exec_lo, s0
	global_store_b16 v[47:48], v58, off
	s_cbranch_vccnz .LBB284_39
; %bb.38:
	v_add_co_u32 v47, vcc_lo, v66, v12
	v_add_co_ci_u32_e32 v48, vcc_lo, v67, v13, vcc_lo
	flat_load_u16 v47, v[47:48]
	s_waitcnt vmcnt(0) lgkmcnt(0)
	v_mul_f16_e32 v50, s18, v47
.LBB284_39:
	v_pk_max_f16 v47, v14, v14
	v_pk_max_f16 v48, v15, v15
	v_add_co_u32 v72, vcc_lo, v70, v12
	v_add_co_ci_u32_e32 v73, vcc_lo, v71, v13, vcc_lo
	s_delay_alu instid0(VALU_DEP_4) | instskip(NEXT) | instid1(VALU_DEP_4)
	v_pk_min_f16 v14, v47, v69
	v_pk_min_f16 v15, v48, v68
	s_and_b32 vcc_lo, exec_lo, s0
	s_delay_alu instid0(VALU_DEP_2) | instskip(NEXT) | instid1(VALU_DEP_1)
	v_pk_add_f16 v14, v14, v63
	v_pk_add_f16 v58, v15, v14
	v_add_nc_u32_e32 v14, 24, v22
	s_delay_alu instid0(VALU_DEP_2) | instskip(NEXT) | instid1(VALU_DEP_2)
	v_lshrrev_b32_e32 v63, 16, v58
	v_ashrrev_i32_e32 v15, 31, v14
	s_delay_alu instid0(VALU_DEP_2) | instskip(NEXT) | instid1(VALU_DEP_2)
	v_add_f16_e32 v58, v58, v63
	v_lshlrev_b64 v[14:15], 1, v[14:15]
	s_delay_alu instid0(VALU_DEP_2)
	v_add_f16_e32 v50, v58, v50
	global_store_b16 v[72:73], v50, off
	s_cbranch_vccnz .LBB284_41
; %bb.40:
	v_add_co_u32 v63, vcc_lo, v66, v14
	v_add_co_ci_u32_e32 v64, vcc_lo, v67, v15, vcc_lo
	flat_load_u16 v50, v[63:64]
	s_waitcnt vmcnt(0) lgkmcnt(0)
	v_mul_f16_e32 v64, s18, v50
.LBB284_41:
	v_pk_max_f16 v50, v8, v8
	v_pk_max_f16 v58, v9, v9
	v_mov_b32_e32 v65, 0
	s_delay_alu instid0(VALU_DEP_3) | instskip(NEXT) | instid1(VALU_DEP_3)
	v_pk_min_f16 v8, v50, v69
	v_pk_min_f16 v9, v58, v68
	s_delay_alu instid0(VALU_DEP_2) | instskip(NEXT) | instid1(VALU_DEP_1)
	v_pk_add_f16 v8, v8, v62
	v_pk_add_f16 v62, v9, v8
	v_add_nc_u32_e32 v8, 32, v22
	s_delay_alu instid0(VALU_DEP_2) | instskip(NEXT) | instid1(VALU_DEP_2)
	v_lshrrev_b32_e32 v63, 16, v62
	v_ashrrev_i32_e32 v9, 31, v8
	s_delay_alu instid0(VALU_DEP_2) | instskip(SKIP_1) | instid1(VALU_DEP_3)
	v_add_f16_e32 v72, v62, v63
	v_add_co_u32 v62, vcc_lo, v70, v14
	v_lshlrev_b64 v[8:9], 1, v[8:9]
	v_add_co_ci_u32_e32 v63, vcc_lo, v71, v15, vcc_lo
	s_delay_alu instid0(VALU_DEP_4)
	v_add_f16_e32 v72, v72, v64
	v_mov_b32_e32 v64, 0
	s_and_b32 vcc_lo, exec_lo, s0
	global_store_b16 v[62:63], v72, off
	s_cbranch_vccnz .LBB284_43
; %bb.42:
	v_add_co_u32 v62, vcc_lo, v66, v8
	v_add_co_ci_u32_e32 v63, vcc_lo, v67, v9, vcc_lo
	flat_load_u16 v62, v[62:63]
	s_waitcnt vmcnt(0) lgkmcnt(0)
	v_mul_f16_e32 v64, s18, v62
.LBB284_43:
	v_pk_max_f16 v62, v10, v10
	v_pk_max_f16 v63, v11, v11
	s_delay_alu instid0(VALU_DEP_2) | instskip(NEXT) | instid1(VALU_DEP_2)
	v_pk_min_f16 v10, v62, v69
	v_pk_min_f16 v11, v63, v68
	s_delay_alu instid0(VALU_DEP_2) | instskip(NEXT) | instid1(VALU_DEP_1)
	v_pk_add_f16 v10, v10, v61
	v_pk_add_f16 v61, v11, v10
	v_add_nc_u32_e32 v10, 40, v22
	s_delay_alu instid0(VALU_DEP_2) | instskip(NEXT) | instid1(VALU_DEP_2)
	v_lshrrev_b32_e32 v72, 16, v61
	v_ashrrev_i32_e32 v11, 31, v10
	s_delay_alu instid0(VALU_DEP_2) | instskip(SKIP_1) | instid1(VALU_DEP_3)
	v_add_f16_e32 v61, v61, v72
	v_add_co_u32 v72, vcc_lo, v70, v8
	v_lshlrev_b64 v[10:11], 1, v[10:11]
	v_add_co_ci_u32_e32 v73, vcc_lo, v71, v9, vcc_lo
	s_delay_alu instid0(VALU_DEP_4)
	v_add_f16_e32 v61, v61, v64
	s_and_b32 vcc_lo, exec_lo, s0
	global_store_b16 v[72:73], v61, off
	s_cbranch_vccnz .LBB284_45
; %bb.44:
	v_add_co_u32 v64, vcc_lo, v66, v10
	v_add_co_ci_u32_e32 v65, vcc_lo, v67, v11, vcc_lo
	flat_load_u16 v61, v[64:65]
	s_waitcnt vmcnt(0) lgkmcnt(0)
	v_mul_f16_e32 v65, s18, v61
.LBB284_45:
	v_pk_max_f16 v61, v4, v4
	v_pk_max_f16 v64, v5, v5
	v_add_co_u32 v74, vcc_lo, v70, v10
	v_add_co_ci_u32_e32 v75, vcc_lo, v71, v11, vcc_lo
	s_delay_alu instid0(VALU_DEP_4) | instskip(NEXT) | instid1(VALU_DEP_4)
	v_pk_min_f16 v4, v61, v69
	v_pk_min_f16 v5, v64, v68
	s_and_b32 vcc_lo, exec_lo, s0
	v_mov_b32_e32 v73, 0
	s_delay_alu instid0(VALU_DEP_3) | instskip(NEXT) | instid1(VALU_DEP_1)
	v_pk_add_f16 v4, v4, v60
	v_pk_add_f16 v60, v5, v4
	v_add_nc_u32_e32 v4, 48, v22
	s_delay_alu instid0(VALU_DEP_2) | instskip(NEXT) | instid1(VALU_DEP_2)
	v_lshrrev_b32_e32 v72, 16, v60
	v_ashrrev_i32_e32 v5, 31, v4
	s_delay_alu instid0(VALU_DEP_2) | instskip(NEXT) | instid1(VALU_DEP_2)
	v_add_f16_e32 v60, v60, v72
	v_lshlrev_b64 v[4:5], 1, v[4:5]
	v_mov_b32_e32 v72, 0
	s_delay_alu instid0(VALU_DEP_3)
	v_add_f16_e32 v60, v60, v65
	global_store_b16 v[74:75], v60, off
	s_cbranch_vccnz .LBB284_47
; %bb.46:
	v_add_co_u32 v73, vcc_lo, v66, v4
	v_add_co_ci_u32_e32 v74, vcc_lo, v67, v5, vcc_lo
	flat_load_u16 v60, v[73:74]
	s_waitcnt vmcnt(0) lgkmcnt(0)
	v_mul_f16_e32 v73, s18, v60
.LBB284_47:
	v_pk_max_f16 v60, v6, v6
	v_pk_max_f16 v65, v7, v7
	v_add_co_u32 v74, vcc_lo, v70, v4
	v_add_co_ci_u32_e32 v75, vcc_lo, v71, v5, vcc_lo
	s_delay_alu instid0(VALU_DEP_4) | instskip(NEXT) | instid1(VALU_DEP_4)
	v_pk_min_f16 v6, v60, v69
	v_pk_min_f16 v7, v65, v68
	s_and_b32 vcc_lo, exec_lo, s0
	s_delay_alu instid0(VALU_DEP_2) | instskip(NEXT) | instid1(VALU_DEP_1)
	v_pk_add_f16 v6, v6, v59
	v_pk_add_f16 v59, v7, v6
	v_add_nc_u32_e32 v6, 56, v22
	s_delay_alu instid0(VALU_DEP_2) | instskip(NEXT) | instid1(VALU_DEP_2)
	v_lshrrev_b32_e32 v22, 16, v59
	v_ashrrev_i32_e32 v7, 31, v6
	s_delay_alu instid0(VALU_DEP_2) | instskip(NEXT) | instid1(VALU_DEP_2)
	v_add_f16_e32 v22, v59, v22
	v_lshlrev_b64 v[6:7], 1, v[6:7]
	s_delay_alu instid0(VALU_DEP_2)
	v_add_f16_e32 v22, v22, v73
	global_store_b16 v[74:75], v22, off
	s_cbranch_vccnz .LBB284_49
; %bb.48:
	v_add_co_u32 v66, vcc_lo, v66, v6
	v_add_co_ci_u32_e32 v67, vcc_lo, v67, v7, vcc_lo
	flat_load_u16 v22, v[66:67]
	s_waitcnt vmcnt(0) lgkmcnt(0)
	v_mul_f16_e32 v72, s18, v22
.LBB284_49:
	v_pk_max_f16 v22, v23, v23
	v_pk_max_f16 v23, v24, v24
	v_dual_mov_b32 v66, 0 :: v_dual_add_nc_u32 v67, 32, v25
	v_add_co_u32 v70, vcc_lo, v70, v6
	s_delay_alu instid0(VALU_DEP_4) | instskip(NEXT) | instid1(VALU_DEP_4)
	v_pk_min_f16 v24, v22, v69
	v_pk_min_f16 v59, v23, v68
	s_delay_alu instid0(VALU_DEP_4) | instskip(SKIP_1) | instid1(VALU_DEP_4)
	v_mad_i64_i32 v[68:69], null, v67, s8, 0
	v_add_co_ci_u32_e32 v71, vcc_lo, v71, v7, vcc_lo
	v_pk_add_f16 v24, v24, v57
	s_delay_alu instid0(VALU_DEP_3) | instskip(NEXT) | instid1(VALU_DEP_2)
	v_lshlrev_b64 v[68:69], 1, v[68:69]
	v_pk_add_f16 v24, v59, v24
	s_delay_alu instid0(VALU_DEP_1) | instskip(NEXT) | instid1(VALU_DEP_1)
	v_lshrrev_b32_e32 v57, 16, v24
	v_add_f16_e32 v59, v24, v57
	s_delay_alu instid0(VALU_DEP_4) | instskip(SKIP_1) | instid1(VALU_DEP_3)
	v_add_co_u32 v24, vcc_lo, s4, v68
	v_add_co_ci_u32_e32 v57, vcc_lo, s5, v69, vcc_lo
	v_add_f16_e32 v59, v59, v72
	v_mov_b32_e32 v68, 0
	s_and_b32 vcc_lo, exec_lo, s0
	global_store_b16 v[70:71], v59, off
	s_cbranch_vccnz .LBB284_51
; %bb.50:
	v_add_co_u32 v68, vcc_lo, v24, v16
	v_add_co_ci_u32_e32 v69, vcc_lo, v57, v17, vcc_lo
	flat_load_u16 v59, v[68:69]
	s_waitcnt vmcnt(0) lgkmcnt(0)
	v_mul_f16_e32 v68, s18, v59
.LBB284_51:
	v_pk_max_f16 v59, v0, v0
	v_pk_max_f16 v0, v1, v1
	v_mad_i64_i32 v[69:70], null, v67, s1, 0
	s_delay_alu instid0(VALU_DEP_3) | instskip(NEXT) | instid1(VALU_DEP_3)
	v_pk_min_f16 v1, v26, v59
	v_pk_min_f16 v71, v27, v0
	s_delay_alu instid0(VALU_DEP_3) | instskip(NEXT) | instid1(VALU_DEP_3)
	v_lshlrev_b64 v[69:70], 1, v[69:70]
	v_pk_add_f16 v1, v1, v56
	s_delay_alu instid0(VALU_DEP_1) | instskip(NEXT) | instid1(VALU_DEP_1)
	v_pk_add_f16 v1, v71, v1
	v_lshrrev_b32_e32 v56, 16, v1
	s_delay_alu instid0(VALU_DEP_1) | instskip(SKIP_2) | instid1(VALU_DEP_3)
	v_add_f16_e32 v67, v1, v56
	v_add_co_u32 v1, vcc_lo, s3, v69
	v_add_co_ci_u32_e32 v56, vcc_lo, s6, v70, vcc_lo
	v_add_f16_e32 v69, v67, v68
	s_delay_alu instid0(VALU_DEP_3) | instskip(NEXT) | instid1(VALU_DEP_3)
	v_add_co_u32 v67, vcc_lo, v1, v16
	v_add_co_ci_u32_e32 v68, vcc_lo, v56, v17, vcc_lo
	s_and_b32 vcc_lo, exec_lo, s0
	global_store_b16 v[67:68], v69, off
	s_cbranch_vccnz .LBB284_53
; %bb.52:
	v_add_co_u32 v66, vcc_lo, v24, v20
	v_add_co_ci_u32_e32 v67, vcc_lo, v57, v21, vcc_lo
	flat_load_u16 v66, v[66:67]
	s_waitcnt vmcnt(0) lgkmcnt(0)
	v_mul_f16_e32 v66, s18, v66
.LBB284_53:
	v_pk_min_f16 v67, v45, v59
	v_pk_min_f16 v68, v46, v0
	s_delay_alu instid0(VALU_DEP_2) | instskip(NEXT) | instid1(VALU_DEP_1)
	v_pk_add_f16 v55, v67, v55
	v_pk_add_f16 v55, v68, v55
	s_delay_alu instid0(VALU_DEP_1) | instskip(NEXT) | instid1(VALU_DEP_1)
	v_lshrrev_b32_e32 v67, 16, v55
	v_add_f16_e32 v55, v55, v67
	v_add_co_u32 v67, vcc_lo, v1, v20
	v_add_co_ci_u32_e32 v68, vcc_lo, v56, v21, vcc_lo
	s_delay_alu instid0(VALU_DEP_3)
	v_add_f16_e32 v69, v55, v66
	v_dual_mov_b32 v55, 0 :: v_dual_mov_b32 v66, 0
	s_and_b32 vcc_lo, exec_lo, s0
	global_store_b16 v[67:68], v69, off
	s_cbranch_vccnz .LBB284_55
; %bb.54:
	v_add_co_u32 v66, vcc_lo, v24, v12
	v_add_co_ci_u32_e32 v67, vcc_lo, v57, v13, vcc_lo
	flat_load_u16 v66, v[66:67]
	s_waitcnt vmcnt(0) lgkmcnt(0)
	v_mul_f16_e32 v66, s18, v66
.LBB284_55:
	v_pk_min_f16 v67, v47, v59
	v_pk_min_f16 v68, v48, v0
	s_delay_alu instid0(VALU_DEP_2) | instskip(NEXT) | instid1(VALU_DEP_1)
	v_pk_add_f16 v54, v67, v54
	v_pk_add_f16 v54, v68, v54
	s_delay_alu instid0(VALU_DEP_1) | instskip(NEXT) | instid1(VALU_DEP_1)
	v_lshrrev_b32_e32 v67, 16, v54
	v_add_f16_e32 v54, v54, v67
	s_delay_alu instid0(VALU_DEP_1)
	v_add_f16_e32 v54, v54, v66
	v_add_co_u32 v66, vcc_lo, v1, v12
	v_add_co_ci_u32_e32 v67, vcc_lo, v56, v13, vcc_lo
	s_and_b32 vcc_lo, exec_lo, s0
	global_store_b16 v[66:67], v54, off
	s_cbranch_vccnz .LBB284_57
; %bb.56:
	v_add_co_u32 v54, vcc_lo, v24, v14
	v_add_co_ci_u32_e32 v55, vcc_lo, v57, v15, vcc_lo
	flat_load_u16 v54, v[54:55]
	s_waitcnt vmcnt(0) lgkmcnt(0)
	v_mul_f16_e32 v55, s18, v54
.LBB284_57:
	v_pk_min_f16 v54, v50, v59
	v_pk_min_f16 v66, v58, v0
	s_delay_alu instid0(VALU_DEP_2) | instskip(NEXT) | instid1(VALU_DEP_1)
	v_pk_add_f16 v53, v54, v53
	v_pk_add_f16 v53, v66, v53
	v_add_co_u32 v66, vcc_lo, v1, v14
	v_add_co_ci_u32_e32 v67, vcc_lo, v56, v15, vcc_lo
	s_delay_alu instid0(VALU_DEP_3) | instskip(SKIP_1) | instid1(VALU_DEP_1)
	v_lshrrev_b32_e32 v54, 16, v53
	s_and_b32 vcc_lo, exec_lo, s0
	v_add_f16_e32 v53, v53, v54
	v_mov_b32_e32 v54, 0
	s_delay_alu instid0(VALU_DEP_2)
	v_add_f16_e32 v55, v53, v55
	v_mov_b32_e32 v53, 0
	global_store_b16 v[66:67], v55, off
	s_cbranch_vccnz .LBB284_59
; %bb.58:
	v_add_co_u32 v54, vcc_lo, v24, v8
	v_add_co_ci_u32_e32 v55, vcc_lo, v57, v9, vcc_lo
	flat_load_u16 v54, v[54:55]
	s_waitcnt vmcnt(0) lgkmcnt(0)
	v_mul_f16_e32 v54, s18, v54
.LBB284_59:
	v_pk_min_f16 v55, v62, v59
	v_pk_min_f16 v66, v63, v0
	s_delay_alu instid0(VALU_DEP_2) | instskip(NEXT) | instid1(VALU_DEP_1)
	v_pk_add_f16 v52, v55, v52
	v_pk_add_f16 v52, v66, v52
	s_delay_alu instid0(VALU_DEP_1) | instskip(NEXT) | instid1(VALU_DEP_1)
	v_lshrrev_b32_e32 v55, 16, v52
	v_add_f16_e32 v52, v52, v55
	s_delay_alu instid0(VALU_DEP_1)
	v_add_f16_e32 v52, v52, v54
	v_add_co_u32 v54, vcc_lo, v1, v8
	v_add_co_ci_u32_e32 v55, vcc_lo, v56, v9, vcc_lo
	s_and_b32 vcc_lo, exec_lo, s0
	global_store_b16 v[54:55], v52, off
	s_cbranch_vccnz .LBB284_61
; %bb.60:
	v_add_co_u32 v52, vcc_lo, v24, v10
	v_add_co_ci_u32_e32 v53, vcc_lo, v57, v11, vcc_lo
	flat_load_u16 v52, v[52:53]
	s_waitcnt vmcnt(0) lgkmcnt(0)
	v_mul_f16_e32 v53, s18, v52
.LBB284_61:
	v_pk_min_f16 v52, v61, v59
	v_pk_min_f16 v54, v64, v0
	s_delay_alu instid0(VALU_DEP_2) | instskip(NEXT) | instid1(VALU_DEP_1)
	v_pk_add_f16 v51, v52, v51
	v_pk_add_f16 v51, v54, v51
	v_add_co_u32 v54, vcc_lo, v1, v10
	v_add_co_ci_u32_e32 v55, vcc_lo, v56, v11, vcc_lo
	s_delay_alu instid0(VALU_DEP_3) | instskip(SKIP_1) | instid1(VALU_DEP_1)
	v_lshrrev_b32_e32 v52, 16, v51
	s_and_b32 vcc_lo, exec_lo, s0
	v_add_f16_e32 v51, v51, v52
	v_mov_b32_e32 v52, 0
	s_delay_alu instid0(VALU_DEP_2)
	v_add_f16_e32 v53, v51, v53
	v_mov_b32_e32 v51, 0
	global_store_b16 v[54:55], v53, off
	s_cbranch_vccnz .LBB284_63
; %bb.62:
	v_add_co_u32 v52, vcc_lo, v24, v4
	v_add_co_ci_u32_e32 v53, vcc_lo, v57, v5, vcc_lo
	flat_load_u16 v52, v[52:53]
	s_waitcnt vmcnt(0) lgkmcnt(0)
	v_mul_f16_e32 v52, s18, v52
.LBB284_63:
	v_pk_min_f16 v53, v60, v59
	v_pk_min_f16 v54, v65, v0
	s_delay_alu instid0(VALU_DEP_2) | instskip(NEXT) | instid1(VALU_DEP_1)
	v_pk_add_f16 v49, v53, v49
	v_pk_add_f16 v49, v54, v49
	s_delay_alu instid0(VALU_DEP_1) | instskip(NEXT) | instid1(VALU_DEP_1)
	v_lshrrev_b32_e32 v53, 16, v49
	v_add_f16_e32 v49, v49, v53
	s_delay_alu instid0(VALU_DEP_1)
	v_add_f16_e32 v49, v49, v52
	v_add_co_u32 v52, vcc_lo, v1, v4
	v_add_co_ci_u32_e32 v53, vcc_lo, v56, v5, vcc_lo
	s_and_b32 vcc_lo, exec_lo, s0
	global_store_b16 v[52:53], v49, off
	s_cbranch_vccnz .LBB284_65
; %bb.64:
	v_add_co_u32 v51, vcc_lo, v24, v6
	v_add_co_ci_u32_e32 v52, vcc_lo, v57, v7, vcc_lo
	flat_load_u16 v24, v[51:52]
	s_waitcnt vmcnt(0) lgkmcnt(0)
	v_mul_f16_e32 v51, s18, v24
.LBB284_65:
	v_pk_min_f16 v24, v22, v59
	v_dual_mov_b32 v49, 0 :: v_dual_add_nc_u32 v52, 64, v25
	v_pk_min_f16 v0, v23, v0
	v_add_co_u32 v55, vcc_lo, v1, v6
	s_delay_alu instid0(VALU_DEP_4) | instskip(NEXT) | instid1(VALU_DEP_4)
	v_pk_add_f16 v24, v24, v44
	v_mad_i64_i32 v[53:54], null, v52, s8, 0
	v_add_co_ci_u32_e32 v56, vcc_lo, v56, v7, vcc_lo
	s_delay_alu instid0(VALU_DEP_3) | instskip(NEXT) | instid1(VALU_DEP_3)
	v_pk_add_f16 v0, v0, v24
	v_lshlrev_b64 v[53:54], 1, v[53:54]
	s_delay_alu instid0(VALU_DEP_2) | instskip(NEXT) | instid1(VALU_DEP_2)
	v_lshrrev_b32_e32 v24, 16, v0
	v_add_co_u32 v1, vcc_lo, s4, v53
	s_delay_alu instid0(VALU_DEP_2) | instskip(NEXT) | instid1(VALU_DEP_4)
	v_add_f16_e32 v0, v0, v24
	v_add_co_ci_u32_e32 v24, vcc_lo, s5, v54, vcc_lo
	s_and_b32 vcc_lo, exec_lo, s0
	s_delay_alu instid0(VALU_DEP_2)
	v_add_f16_e32 v0, v0, v51
	v_mov_b32_e32 v51, 0
	global_store_b16 v[55:56], v0, off
	s_cbranch_vccnz .LBB284_67
; %bb.66:
	v_add_co_u32 v53, vcc_lo, v1, v16
	v_add_co_ci_u32_e32 v54, vcc_lo, v24, v17, vcc_lo
	flat_load_u16 v0, v[53:54]
	s_waitcnt vmcnt(0) lgkmcnt(0)
	v_mul_f16_e32 v51, s18, v0
.LBB284_67:
	v_pk_max_f16 v44, v2, v2
	v_pk_max_f16 v0, v3, v3
	s_delay_alu instid0(VALU_DEP_2) | instskip(NEXT) | instid1(VALU_DEP_2)
	v_pk_min_f16 v2, v26, v44
	v_pk_min_f16 v53, v27, v0
	s_delay_alu instid0(VALU_DEP_2) | instskip(SKIP_1) | instid1(VALU_DEP_2)
	v_pk_add_f16 v43, v2, v43
	v_mad_i64_i32 v[2:3], null, v52, s1, 0
	v_pk_add_f16 v43, v53, v43
	s_delay_alu instid0(VALU_DEP_2) | instskip(NEXT) | instid1(VALU_DEP_2)
	v_lshlrev_b64 v[2:3], 1, v[2:3]
	v_lshrrev_b32_e32 v52, 16, v43
	s_delay_alu instid0(VALU_DEP_2) | instskip(NEXT) | instid1(VALU_DEP_2)
	v_add_co_u32 v2, vcc_lo, s3, v2
	v_add_f16_e32 v43, v43, v52
	s_delay_alu instid0(VALU_DEP_4) | instskip(NEXT) | instid1(VALU_DEP_2)
	v_add_co_ci_u32_e32 v3, vcc_lo, s6, v3, vcc_lo
	v_add_f16_e32 v43, v43, v51
	s_delay_alu instid0(VALU_DEP_4) | instskip(NEXT) | instid1(VALU_DEP_3)
	v_add_co_u32 v51, vcc_lo, v2, v16
	v_add_co_ci_u32_e32 v52, vcc_lo, v3, v17, vcc_lo
	s_and_b32 vcc_lo, exec_lo, s0
	global_store_b16 v[51:52], v43, off
	s_cbranch_vccnz .LBB284_69
; %bb.68:
	v_add_co_u32 v51, vcc_lo, v1, v20
	v_add_co_ci_u32_e32 v52, vcc_lo, v24, v21, vcc_lo
	flat_load_u16 v43, v[51:52]
	s_waitcnt vmcnt(0) lgkmcnt(0)
	v_mul_f16_e32 v49, s18, v43
.LBB284_69:
	v_pk_min_f16 v43, v45, v44
	v_pk_min_f16 v51, v46, v0
	s_delay_alu instid0(VALU_DEP_2) | instskip(NEXT) | instid1(VALU_DEP_1)
	v_pk_add_f16 v42, v43, v42
	v_pk_add_f16 v42, v51, v42
	v_add_co_u32 v51, vcc_lo, v2, v20
	v_add_co_ci_u32_e32 v52, vcc_lo, v3, v21, vcc_lo
	s_delay_alu instid0(VALU_DEP_3) | instskip(SKIP_1) | instid1(VALU_DEP_1)
	v_lshrrev_b32_e32 v43, 16, v42
	s_and_b32 vcc_lo, exec_lo, s0
	v_add_f16_e32 v42, v42, v43
	v_mov_b32_e32 v43, 0
	s_delay_alu instid0(VALU_DEP_2)
	v_add_f16_e32 v49, v42, v49
	v_mov_b32_e32 v42, 0
	global_store_b16 v[51:52], v49, off
	s_cbranch_vccnz .LBB284_71
; %bb.70:
	v_add_co_u32 v51, vcc_lo, v1, v12
	v_add_co_ci_u32_e32 v52, vcc_lo, v24, v13, vcc_lo
	flat_load_u16 v43, v[51:52]
	s_waitcnt vmcnt(0) lgkmcnt(0)
	v_mul_f16_e32 v43, s18, v43
.LBB284_71:
	v_pk_min_f16 v49, v47, v44
	v_pk_min_f16 v51, v48, v0
	s_delay_alu instid0(VALU_DEP_2) | instskip(NEXT) | instid1(VALU_DEP_1)
	v_pk_add_f16 v41, v49, v41
	v_pk_add_f16 v41, v51, v41
	v_add_co_u32 v51, vcc_lo, v2, v12
	v_add_co_ci_u32_e32 v52, vcc_lo, v3, v13, vcc_lo
	s_delay_alu instid0(VALU_DEP_3) | instskip(SKIP_1) | instid1(VALU_DEP_1)
	v_lshrrev_b32_e32 v49, 16, v41
	s_and_b32 vcc_lo, exec_lo, s0
	v_add_f16_e32 v41, v41, v49
	s_delay_alu instid0(VALU_DEP_1)
	v_add_f16_e32 v41, v41, v43
	global_store_b16 v[51:52], v41, off
	s_cbranch_vccnz .LBB284_73
; %bb.72:
	v_add_co_u32 v41, vcc_lo, v1, v14
	v_add_co_ci_u32_e32 v42, vcc_lo, v24, v15, vcc_lo
	flat_load_u16 v41, v[41:42]
	s_waitcnt vmcnt(0) lgkmcnt(0)
	v_mul_f16_e32 v42, s18, v41
.LBB284_73:
	v_pk_min_f16 v41, v50, v44
	v_pk_min_f16 v43, v58, v0
	v_add_co_u32 v51, vcc_lo, v2, v14
	v_add_co_ci_u32_e32 v52, vcc_lo, v3, v15, vcc_lo
	s_delay_alu instid0(VALU_DEP_4) | instskip(SKIP_1) | instid1(VALU_DEP_1)
	v_pk_add_f16 v40, v41, v40
	s_and_b32 vcc_lo, exec_lo, s0
	v_pk_add_f16 v40, v43, v40
	s_delay_alu instid0(VALU_DEP_1) | instskip(NEXT) | instid1(VALU_DEP_1)
	v_lshrrev_b32_e32 v41, 16, v40
	v_add_f16_e32 v40, v40, v41
	v_mov_b32_e32 v41, 0
	s_delay_alu instid0(VALU_DEP_2)
	v_add_f16_e32 v42, v40, v42
	v_mov_b32_e32 v40, 0
	global_store_b16 v[51:52], v42, off
	s_cbranch_vccnz .LBB284_75
; %bb.74:
	v_add_co_u32 v41, vcc_lo, v1, v8
	v_add_co_ci_u32_e32 v42, vcc_lo, v24, v9, vcc_lo
	flat_load_u16 v41, v[41:42]
	s_waitcnt vmcnt(0) lgkmcnt(0)
	v_mul_f16_e32 v41, s18, v41
.LBB284_75:
	v_pk_min_f16 v42, v62, v44
	v_pk_min_f16 v43, v63, v0
	s_delay_alu instid0(VALU_DEP_2) | instskip(NEXT) | instid1(VALU_DEP_1)
	v_pk_add_f16 v39, v42, v39
	v_pk_add_f16 v39, v43, v39
	s_delay_alu instid0(VALU_DEP_1) | instskip(NEXT) | instid1(VALU_DEP_1)
	v_lshrrev_b32_e32 v42, 16, v39
	v_add_f16_e32 v39, v39, v42
	s_delay_alu instid0(VALU_DEP_1)
	v_add_f16_e32 v39, v39, v41
	v_add_co_u32 v41, vcc_lo, v2, v8
	v_add_co_ci_u32_e32 v42, vcc_lo, v3, v9, vcc_lo
	s_and_b32 vcc_lo, exec_lo, s0
	global_store_b16 v[41:42], v39, off
	s_cbranch_vccnz .LBB284_77
; %bb.76:
	v_add_co_u32 v39, vcc_lo, v1, v10
	v_add_co_ci_u32_e32 v40, vcc_lo, v24, v11, vcc_lo
	flat_load_u16 v39, v[39:40]
	s_waitcnt vmcnt(0) lgkmcnt(0)
	v_mul_f16_e32 v40, s18, v39
.LBB284_77:
	v_pk_min_f16 v39, v61, v44
	v_pk_min_f16 v41, v64, v0
	s_delay_alu instid0(VALU_DEP_2) | instskip(NEXT) | instid1(VALU_DEP_1)
	v_pk_add_f16 v38, v39, v38
	v_pk_add_f16 v38, v41, v38
	v_add_co_u32 v41, vcc_lo, v2, v10
	v_add_co_ci_u32_e32 v42, vcc_lo, v3, v11, vcc_lo
	s_delay_alu instid0(VALU_DEP_3) | instskip(SKIP_1) | instid1(VALU_DEP_1)
	v_lshrrev_b32_e32 v39, 16, v38
	s_and_b32 vcc_lo, exec_lo, s0
	v_add_f16_e32 v38, v38, v39
	v_mov_b32_e32 v39, 0
	s_delay_alu instid0(VALU_DEP_2)
	v_add_f16_e32 v40, v38, v40
	v_mov_b32_e32 v38, 0
	global_store_b16 v[41:42], v40, off
	s_cbranch_vccnz .LBB284_79
; %bb.78:
	v_add_co_u32 v39, vcc_lo, v1, v4
	v_add_co_ci_u32_e32 v40, vcc_lo, v24, v5, vcc_lo
	flat_load_u16 v39, v[39:40]
	s_waitcnt vmcnt(0) lgkmcnt(0)
	v_mul_f16_e32 v39, s18, v39
.LBB284_79:
	v_pk_min_f16 v40, v60, v44
	v_pk_min_f16 v41, v65, v0
	s_delay_alu instid0(VALU_DEP_2) | instskip(NEXT) | instid1(VALU_DEP_1)
	v_pk_add_f16 v37, v40, v37
	v_pk_add_f16 v37, v41, v37
	s_delay_alu instid0(VALU_DEP_1) | instskip(NEXT) | instid1(VALU_DEP_1)
	v_lshrrev_b32_e32 v40, 16, v37
	v_add_f16_e32 v37, v37, v40
	s_delay_alu instid0(VALU_DEP_1)
	v_add_f16_e32 v37, v37, v39
	v_add_co_u32 v39, vcc_lo, v2, v4
	v_add_co_ci_u32_e32 v40, vcc_lo, v3, v5, vcc_lo
	s_and_b32 vcc_lo, exec_lo, s0
	global_store_b16 v[39:40], v37, off
	s_cbranch_vccnz .LBB284_81
; %bb.80:
	v_add_co_u32 v37, vcc_lo, v1, v6
	v_add_co_ci_u32_e32 v38, vcc_lo, v24, v7, vcc_lo
	flat_load_u16 v1, v[37:38]
	s_waitcnt vmcnt(0) lgkmcnt(0)
	v_mul_f16_e32 v38, s18, v1
.LBB284_81:
	v_pk_min_f16 v1, v22, v44
	v_pk_min_f16 v24, v23, v0
	v_add_nc_u32_e32 v25, 0x60, v25
	v_add_co_u32 v2, vcc_lo, v2, v6
	s_delay_alu instid0(VALU_DEP_4) | instskip(SKIP_1) | instid1(VALU_DEP_2)
	v_pk_add_f16 v36, v1, v36
	v_add_co_ci_u32_e32 v3, vcc_lo, v3, v7, vcc_lo
	v_pk_add_f16 v24, v24, v36
	s_delay_alu instid0(VALU_DEP_1) | instskip(NEXT) | instid1(VALU_DEP_1)
	v_lshrrev_b32_e32 v36, 16, v24
	v_add_f16_e32 v24, v24, v36
	v_mov_b32_e32 v36, 0
	s_delay_alu instid0(VALU_DEP_2) | instskip(SKIP_4) | instid1(VALU_DEP_1)
	v_add_f16_e32 v37, v24, v38
	v_mov_b32_e32 v24, 0
	v_mad_i64_i32 v[0:1], null, v25, s8, 0
	global_store_b16 v[2:3], v37, off
	v_lshlrev_b64 v[0:1], 1, v[0:1]
	v_add_co_u32 v0, vcc_lo, s4, v0
	s_delay_alu instid0(VALU_DEP_2)
	v_add_co_ci_u32_e32 v1, vcc_lo, s5, v1, vcc_lo
	s_and_b32 vcc_lo, exec_lo, s0
	s_cbranch_vccnz .LBB284_83
; %bb.82:
	s_delay_alu instid0(VALU_DEP_2) | instskip(NEXT) | instid1(VALU_DEP_2)
	v_add_co_u32 v2, vcc_lo, v0, v16
	v_add_co_ci_u32_e32 v3, vcc_lo, v1, v17, vcc_lo
	flat_load_u16 v2, v[2:3]
	s_waitcnt vmcnt(0) lgkmcnt(0)
	v_mul_f16_e32 v36, s18, v2
.LBB284_83:
	v_pk_max_f16 v2, v18, v18
	v_pk_max_f16 v3, v19, v19
	s_delay_alu instid0(VALU_DEP_2) | instskip(NEXT) | instid1(VALU_DEP_2)
	v_pk_min_f16 v18, v26, v2
	v_pk_min_f16 v26, v27, v3
	s_delay_alu instid0(VALU_DEP_2) | instskip(SKIP_1) | instid1(VALU_DEP_2)
	v_pk_add_f16 v27, v18, v35
	v_mad_i64_i32 v[18:19], null, v25, s1, 0
	v_pk_add_f16 v25, v26, v27
	s_delay_alu instid0(VALU_DEP_2) | instskip(NEXT) | instid1(VALU_DEP_2)
	v_lshlrev_b64 v[18:19], 1, v[18:19]
	v_lshrrev_b32_e32 v26, 16, v25
	s_delay_alu instid0(VALU_DEP_2) | instskip(NEXT) | instid1(VALU_DEP_2)
	v_add_co_u32 v18, vcc_lo, s3, v18
	v_add_f16_e32 v25, v25, v26
	s_delay_alu instid0(VALU_DEP_4) | instskip(NEXT) | instid1(VALU_DEP_3)
	v_add_co_ci_u32_e32 v19, vcc_lo, s6, v19, vcc_lo
	v_add_co_u32 v16, vcc_lo, v18, v16
	s_delay_alu instid0(VALU_DEP_3) | instskip(NEXT) | instid1(VALU_DEP_3)
	v_add_f16_e32 v25, v25, v36
	v_add_co_ci_u32_e32 v17, vcc_lo, v19, v17, vcc_lo
	s_and_b32 vcc_lo, exec_lo, s0
	global_store_b16 v[16:17], v25, off
	s_cbranch_vccnz .LBB284_85
; %bb.84:
	v_add_co_u32 v16, vcc_lo, v0, v20
	v_add_co_ci_u32_e32 v17, vcc_lo, v1, v21, vcc_lo
	flat_load_u16 v16, v[16:17]
	s_waitcnt vmcnt(0) lgkmcnt(0)
	v_mul_f16_e32 v24, s18, v16
.LBB284_85:
	v_pk_min_f16 v16, v45, v2
	v_pk_min_f16 v17, v46, v3
	v_add_co_u32 v20, vcc_lo, v18, v20
	v_add_co_ci_u32_e32 v21, vcc_lo, v19, v21, vcc_lo
	s_delay_alu instid0(VALU_DEP_4) | instskip(SKIP_1) | instid1(VALU_DEP_1)
	v_pk_add_f16 v16, v16, v34
	s_and_b32 vcc_lo, exec_lo, s0
	v_pk_add_f16 v16, v17, v16
	s_delay_alu instid0(VALU_DEP_1) | instskip(NEXT) | instid1(VALU_DEP_1)
	v_lshrrev_b32_e32 v17, 16, v16
	v_add_f16_e32 v16, v16, v17
	v_mov_b32_e32 v17, 0
	s_delay_alu instid0(VALU_DEP_2)
	v_add_f16_e32 v24, v16, v24
	v_mov_b32_e32 v16, 0
	global_store_b16 v[20:21], v24, off
	s_cbranch_vccnz .LBB284_87
; %bb.86:
	v_add_co_u32 v20, vcc_lo, v0, v12
	v_add_co_ci_u32_e32 v21, vcc_lo, v1, v13, vcc_lo
	flat_load_u16 v17, v[20:21]
	s_waitcnt vmcnt(0) lgkmcnt(0)
	v_mul_f16_e32 v17, s18, v17
.LBB284_87:
	v_pk_min_f16 v20, v47, v2
	v_pk_min_f16 v21, v48, v3
	v_add_co_u32 v12, vcc_lo, v18, v12
	v_add_co_ci_u32_e32 v13, vcc_lo, v19, v13, vcc_lo
	s_delay_alu instid0(VALU_DEP_4) | instskip(SKIP_1) | instid1(VALU_DEP_1)
	v_pk_add_f16 v20, v20, v33
	s_and_b32 vcc_lo, exec_lo, s0
	v_pk_add_f16 v20, v21, v20
	s_delay_alu instid0(VALU_DEP_1) | instskip(NEXT) | instid1(VALU_DEP_1)
	v_lshrrev_b32_e32 v21, 16, v20
	v_add_f16_e32 v20, v20, v21
	s_delay_alu instid0(VALU_DEP_1)
	v_add_f16_e32 v17, v20, v17
	global_store_b16 v[12:13], v17, off
	s_cbranch_vccnz .LBB284_89
; %bb.88:
	v_add_co_u32 v12, vcc_lo, v0, v14
	v_add_co_ci_u32_e32 v13, vcc_lo, v1, v15, vcc_lo
	flat_load_u16 v12, v[12:13]
	s_waitcnt vmcnt(0) lgkmcnt(0)
	v_mul_f16_e32 v16, s18, v12
.LBB284_89:
	v_pk_min_f16 v12, v50, v2
	v_pk_min_f16 v13, v58, v3
	v_add_co_u32 v14, vcc_lo, v18, v14
	v_add_co_ci_u32_e32 v15, vcc_lo, v19, v15, vcc_lo
	s_delay_alu instid0(VALU_DEP_4) | instskip(SKIP_1) | instid1(VALU_DEP_1)
	v_pk_add_f16 v12, v12, v32
	s_and_b32 vcc_lo, exec_lo, s0
	v_pk_add_f16 v12, v13, v12
	s_delay_alu instid0(VALU_DEP_1) | instskip(NEXT) | instid1(VALU_DEP_1)
	v_lshrrev_b32_e32 v13, 16, v12
	v_add_f16_e32 v12, v12, v13
	v_mov_b32_e32 v13, 0
	s_delay_alu instid0(VALU_DEP_2)
	v_add_f16_e32 v16, v12, v16
	v_mov_b32_e32 v12, 0
	global_store_b16 v[14:15], v16, off
	s_cbranch_vccnz .LBB284_91
; %bb.90:
	v_add_co_u32 v13, vcc_lo, v0, v8
	v_add_co_ci_u32_e32 v14, vcc_lo, v1, v9, vcc_lo
	flat_load_u16 v13, v[13:14]
	s_waitcnt vmcnt(0) lgkmcnt(0)
	v_mul_f16_e32 v13, s18, v13
.LBB284_91:
	v_pk_min_f16 v14, v62, v2
	v_pk_min_f16 v15, v63, v3
	v_add_co_u32 v8, vcc_lo, v18, v8
	v_add_co_ci_u32_e32 v9, vcc_lo, v19, v9, vcc_lo
	s_delay_alu instid0(VALU_DEP_4) | instskip(SKIP_1) | instid1(VALU_DEP_1)
	v_pk_add_f16 v14, v14, v30
	s_and_b32 vcc_lo, exec_lo, s0
	v_pk_add_f16 v14, v15, v14
	s_delay_alu instid0(VALU_DEP_1) | instskip(NEXT) | instid1(VALU_DEP_1)
	v_lshrrev_b32_e32 v15, 16, v14
	v_add_f16_e32 v14, v14, v15
	s_delay_alu instid0(VALU_DEP_1)
	v_add_f16_e32 v13, v14, v13
	global_store_b16 v[8:9], v13, off
	s_cbranch_vccnz .LBB284_93
; %bb.92:
	v_add_co_u32 v8, vcc_lo, v0, v10
	v_add_co_ci_u32_e32 v9, vcc_lo, v1, v11, vcc_lo
	flat_load_u16 v8, v[8:9]
	s_waitcnt vmcnt(0) lgkmcnt(0)
	v_mul_f16_e32 v12, s18, v8
.LBB284_93:
	v_pk_min_f16 v8, v61, v2
	v_pk_min_f16 v9, v64, v3
	;; [unrolled: 1-line block ×3, first 2 shown]
	s_delay_alu instid0(VALU_DEP_3) | instskip(NEXT) | instid1(VALU_DEP_2)
	v_pk_add_f16 v8, v8, v29
	v_pk_add_f16 v13, v13, v31
	s_delay_alu instid0(VALU_DEP_2) | instskip(SKIP_1) | instid1(VALU_DEP_2)
	v_pk_add_f16 v8, v9, v8
	v_pk_min_f16 v9, v65, v3
	v_lshrrev_b32_e32 v14, 16, v8
	s_delay_alu instid0(VALU_DEP_2) | instskip(SKIP_2) | instid1(VALU_DEP_4)
	v_pk_add_f16 v13, v9, v13
	v_add_co_u32 v9, vcc_lo, v18, v10
	v_add_co_ci_u32_e32 v10, vcc_lo, v19, v11, vcc_lo
	v_add_f16_e32 v8, v8, v14
	s_delay_alu instid0(VALU_DEP_4) | instskip(SKIP_1) | instid1(VALU_DEP_2)
	v_lshrrev_b32_e32 v11, 16, v13
	s_mov_b32 vcc_lo, s2
	v_add_f16_e32 v12, v8, v12
	s_delay_alu instid0(VALU_DEP_2)
	v_add_f16_e32 v8, v13, v11
	global_store_b16 v[9:10], v12, off
	s_cbranch_vccz .LBB284_96
; %bb.94:
	v_add_co_u32 v9, vcc_lo, v18, v4
	v_add_f16_e32 v11, 0, v8
	v_add_co_ci_u32_e32 v10, vcc_lo, v19, v5, vcc_lo
	s_mov_b32 s0, 0
	global_store_b16 v[9:10], v11, off
	s_cbranch_execz .LBB284_97
; %bb.95:
	v_mov_b32_e32 v0, s0
	s_branch .LBB284_98
.LBB284_96:
	s_mov_b32 s0, -1
.LBB284_97:
	v_add_co_u32 v9, vcc_lo, v0, v4
	v_add_co_ci_u32_e32 v10, vcc_lo, v1, v5, vcc_lo
	v_add_co_u32 v4, vcc_lo, v18, v4
	v_add_co_ci_u32_e32 v5, vcc_lo, v19, v5, vcc_lo
	flat_load_u16 v9, v[9:10]
	v_add_co_u32 v0, vcc_lo, v0, v6
	v_add_co_ci_u32_e32 v1, vcc_lo, v1, v7, vcc_lo
	s_waitcnt vmcnt(0) lgkmcnt(0)
	v_fmac_f16_e32 v8, s18, v9
	global_store_b16 v[4:5], v8, off
	flat_load_u16 v0, v[0:1]
	s_waitcnt vmcnt(0) lgkmcnt(0)
	v_mul_f16_e32 v0, s18, v0
.LBB284_98:
	v_pk_min_f16 v1, v22, v2
	v_pk_min_f16 v2, v23, v3
	s_delay_alu instid0(VALU_DEP_2) | instskip(NEXT) | instid1(VALU_DEP_1)
	v_pk_add_f16 v1, v1, v28
	v_pk_add_f16 v1, v2, v1
	s_delay_alu instid0(VALU_DEP_1) | instskip(NEXT) | instid1(VALU_DEP_1)
	v_lshrrev_b32_e32 v2, 16, v1
	v_add_f16_e32 v1, v1, v2
	s_delay_alu instid0(VALU_DEP_1)
	v_add_f16_e32 v2, v1, v0
	v_add_co_u32 v0, vcc_lo, v18, v6
	v_add_co_ci_u32_e32 v1, vcc_lo, v19, v7, vcc_lo
	global_store_b16 v[0:1], v2, off
	s_nop 0
	s_sendmsg sendmsg(MSG_DEALLOC_VGPRS)
	s_endpgm
	.section	.rodata,"a",@progbits
	.p2align	6, 0x0
	.amdhsa_kernel _ZN12_GLOBAL__N_120geam_min_plus_kernelIDF16_Dv2_DF16_S1_Li8ELi32ELi64ELi128ELi4ELi64ELi4ELi4ELi64ELc78ELc78ELb0ELb0ELb0EDF16_KDF16_DF16_EEviiiT16_PT17_ilS5_ilS3_S5_ilPT18_ili26rocblas_geam_ex_operation_
		.amdhsa_group_segment_fixed_size 3072
		.amdhsa_private_segment_fixed_size 0
		.amdhsa_kernarg_size 128
		.amdhsa_user_sgpr_count 14
		.amdhsa_user_sgpr_dispatch_ptr 0
		.amdhsa_user_sgpr_queue_ptr 0
		.amdhsa_user_sgpr_kernarg_segment_ptr 1
		.amdhsa_user_sgpr_dispatch_id 0
		.amdhsa_user_sgpr_private_segment_size 0
		.amdhsa_wavefront_size32 1
		.amdhsa_uses_dynamic_stack 0
		.amdhsa_enable_private_segment 0
		.amdhsa_system_sgpr_workgroup_id_x 1
		.amdhsa_system_sgpr_workgroup_id_y 0
		.amdhsa_system_sgpr_workgroup_id_z 1
		.amdhsa_system_sgpr_workgroup_info 0
		.amdhsa_system_vgpr_workitem_id 1
		.amdhsa_next_free_vgpr 123
		.amdhsa_next_free_sgpr 25
		.amdhsa_reserve_vcc 1
		.amdhsa_float_round_mode_32 0
		.amdhsa_float_round_mode_16_64 0
		.amdhsa_float_denorm_mode_32 3
		.amdhsa_float_denorm_mode_16_64 3
		.amdhsa_dx10_clamp 1
		.amdhsa_ieee_mode 1
		.amdhsa_fp16_overflow 0
		.amdhsa_workgroup_processor_mode 1
		.amdhsa_memory_ordered 1
		.amdhsa_forward_progress 0
		.amdhsa_shared_vgpr_count 0
		.amdhsa_exception_fp_ieee_invalid_op 0
		.amdhsa_exception_fp_denorm_src 0
		.amdhsa_exception_fp_ieee_div_zero 0
		.amdhsa_exception_fp_ieee_overflow 0
		.amdhsa_exception_fp_ieee_underflow 0
		.amdhsa_exception_fp_ieee_inexact 0
		.amdhsa_exception_int_div_zero 0
	.end_amdhsa_kernel
	.section	.text._ZN12_GLOBAL__N_120geam_min_plus_kernelIDF16_Dv2_DF16_S1_Li8ELi32ELi64ELi128ELi4ELi64ELi4ELi4ELi64ELc78ELc78ELb0ELb0ELb0EDF16_KDF16_DF16_EEviiiT16_PT17_ilS5_ilS3_S5_ilPT18_ili26rocblas_geam_ex_operation_,"axG",@progbits,_ZN12_GLOBAL__N_120geam_min_plus_kernelIDF16_Dv2_DF16_S1_Li8ELi32ELi64ELi128ELi4ELi64ELi4ELi4ELi64ELc78ELc78ELb0ELb0ELb0EDF16_KDF16_DF16_EEviiiT16_PT17_ilS5_ilS3_S5_ilPT18_ili26rocblas_geam_ex_operation_,comdat
.Lfunc_end284:
	.size	_ZN12_GLOBAL__N_120geam_min_plus_kernelIDF16_Dv2_DF16_S1_Li8ELi32ELi64ELi128ELi4ELi64ELi4ELi4ELi64ELc78ELc78ELb0ELb0ELb0EDF16_KDF16_DF16_EEviiiT16_PT17_ilS5_ilS3_S5_ilPT18_ili26rocblas_geam_ex_operation_, .Lfunc_end284-_ZN12_GLOBAL__N_120geam_min_plus_kernelIDF16_Dv2_DF16_S1_Li8ELi32ELi64ELi128ELi4ELi64ELi4ELi4ELi64ELc78ELc78ELb0ELb0ELb0EDF16_KDF16_DF16_EEviiiT16_PT17_ilS5_ilS3_S5_ilPT18_ili26rocblas_geam_ex_operation_
                                        ; -- End function
	.section	.AMDGPU.csdata,"",@progbits
; Kernel info:
; codeLenInByte = 10188
; NumSgprs: 27
; NumVgprs: 123
; ScratchSize: 0
; MemoryBound: 0
; FloatMode: 240
; IeeeMode: 1
; LDSByteSize: 3072 bytes/workgroup (compile time only)
; SGPRBlocks: 3
; VGPRBlocks: 15
; NumSGPRsForWavesPerEU: 27
; NumVGPRsForWavesPerEU: 123
; Occupancy: 10
; WaveLimiterHint : 0
; COMPUTE_PGM_RSRC2:SCRATCH_EN: 0
; COMPUTE_PGM_RSRC2:USER_SGPR: 14
; COMPUTE_PGM_RSRC2:TRAP_HANDLER: 0
; COMPUTE_PGM_RSRC2:TGID_X_EN: 1
; COMPUTE_PGM_RSRC2:TGID_Y_EN: 0
; COMPUTE_PGM_RSRC2:TGID_Z_EN: 1
; COMPUTE_PGM_RSRC2:TIDIG_COMP_CNT: 1
	.section	.text._ZN12_GLOBAL__N_120geam_min_plus_kernelIDF16_Dv2_DF16_S1_Li8ELi32ELi64ELi128ELi4ELi64ELi4ELi4ELi64ELc78ELc78ELb0ELb1ELb0EPKDF16_S2_DF16_EEviiiT16_PT17_ilS6_ilS4_S6_ilPT18_ili26rocblas_geam_ex_operation_,"axG",@progbits,_ZN12_GLOBAL__N_120geam_min_plus_kernelIDF16_Dv2_DF16_S1_Li8ELi32ELi64ELi128ELi4ELi64ELi4ELi4ELi64ELc78ELc78ELb0ELb1ELb0EPKDF16_S2_DF16_EEviiiT16_PT17_ilS6_ilS4_S6_ilPT18_ili26rocblas_geam_ex_operation_,comdat
	.globl	_ZN12_GLOBAL__N_120geam_min_plus_kernelIDF16_Dv2_DF16_S1_Li8ELi32ELi64ELi128ELi4ELi64ELi4ELi4ELi64ELc78ELc78ELb0ELb1ELb0EPKDF16_S2_DF16_EEviiiT16_PT17_ilS6_ilS4_S6_ilPT18_ili26rocblas_geam_ex_operation_ ; -- Begin function _ZN12_GLOBAL__N_120geam_min_plus_kernelIDF16_Dv2_DF16_S1_Li8ELi32ELi64ELi128ELi4ELi64ELi4ELi4ELi64ELc78ELc78ELb0ELb1ELb0EPKDF16_S2_DF16_EEviiiT16_PT17_ilS6_ilS4_S6_ilPT18_ili26rocblas_geam_ex_operation_
	.p2align	8
	.type	_ZN12_GLOBAL__N_120geam_min_plus_kernelIDF16_Dv2_DF16_S1_Li8ELi32ELi64ELi128ELi4ELi64ELi4ELi4ELi64ELc78ELc78ELb0ELb1ELb0EPKDF16_S2_DF16_EEviiiT16_PT17_ilS6_ilS4_S6_ilPT18_ili26rocblas_geam_ex_operation_,@function
_ZN12_GLOBAL__N_120geam_min_plus_kernelIDF16_Dv2_DF16_S1_Li8ELi32ELi64ELi128ELi4ELi64ELi4ELi4ELi64ELc78ELc78ELb0ELb1ELb0EPKDF16_S2_DF16_EEviiiT16_PT17_ilS6_ilS4_S6_ilPT18_ili26rocblas_geam_ex_operation_: ; @_ZN12_GLOBAL__N_120geam_min_plus_kernelIDF16_Dv2_DF16_S1_Li8ELi32ELi64ELi128ELi4ELi64ELi4ELi4ELi64ELc78ELc78ELb0ELb1ELb0EPKDF16_S2_DF16_EEviiiT16_PT17_ilS6_ilS4_S6_ilPT18_ili26rocblas_geam_ex_operation_
; %bb.0:
	s_clause 0x1
	s_load_b128 s[16:19], s[0:1], 0x10
	s_load_b128 s[4:7], s[0:1], 0x40
	s_mov_b32 s12, s15
	s_mov_b32 s13, 0
	v_mov_b32_e32 v1, 0
	s_lshl_b64 s[2:3], s[12:13], 1
	s_load_b128 s[8:11], s[0:1], 0x28
	s_mov_b64 s[20:21], 0
	s_mov_b64 s[22:23], 0
	s_waitcnt lgkmcnt(0)
	s_add_u32 s16, s16, s2
	s_addc_u32 s17, s17, s3
	s_add_u32 s2, s6, s2
	global_load_u16 v34, v1, s[16:17]
	s_addc_u32 s3, s7, s3
	global_load_u16 v42, v1, s[2:3]
	s_load_b64 s[16:17], s[0:1], 0x50
	s_waitcnt vmcnt(1)
	v_cmp_eq_f16_e32 vcc_lo, 0, v34
	v_cmp_neq_f16_e64 s3, 0, v34
	s_cbranch_vccnz .LBB285_2
; %bb.1:
	s_mul_i32 s2, s12, s9
	s_mul_hi_u32 s6, s12, s8
	s_delay_alu instid0(SALU_CYCLE_1) | instskip(SKIP_1) | instid1(SALU_CYCLE_1)
	s_add_i32 s7, s6, s2
	s_mul_i32 s6, s12, s8
	s_lshl_b64 s[6:7], s[6:7], 1
	s_delay_alu instid0(SALU_CYCLE_1)
	s_add_u32 s22, s18, s6
	s_addc_u32 s23, s19, s7
.LBB285_2:
	s_delay_alu instid0(VALU_DEP_1)
	s_and_not1_b32 vcc_lo, exec_lo, s3
	s_cbranch_vccnz .LBB285_4
; %bb.3:
	s_mul_i32 s2, s12, s5
	s_mul_hi_u32 s5, s12, s4
	s_mul_i32 s4, s12, s4
	s_add_i32 s5, s5, s2
	s_delay_alu instid0(SALU_CYCLE_1) | instskip(NEXT) | instid1(SALU_CYCLE_1)
	s_lshl_b64 s[4:5], s[4:5], 1
	s_add_u32 s20, s10, s4
	s_addc_u32 s21, s11, s5
.LBB285_4:
	s_load_b128 s[4:7], s[0:1], 0x60
	s_waitcnt vmcnt(0)
	v_cmp_eq_f16_e32 vcc_lo, 0, v42
	v_cmp_neq_f16_e64 s2, 0, v42
	s_cbranch_vccnz .LBB285_6
; %bb.5:
	s_waitcnt lgkmcnt(0)
	s_mul_i32 s5, s12, s5
	s_mul_hi_u32 s8, s12, s4
	s_mul_i32 s4, s12, s4
	s_add_i32 s5, s8, s5
	s_delay_alu instid0(SALU_CYCLE_1) | instskip(NEXT) | instid1(SALU_CYCLE_1)
	s_lshl_b64 s[4:5], s[4:5], 1
	s_add_u32 s10, s16, s4
	s_addc_u32 s11, s17, s5
	s_branch .LBB285_7
.LBB285_6:
	s_mov_b64 s[10:11], 0
.LBB285_7:
	s_waitcnt lgkmcnt(0)
	s_clause 0x1
	s_load_b128 s[16:19], s[0:1], 0x0
	s_load_b32 s8, s[0:1], 0x20
	v_dual_mov_b32 v9, 0 :: v_dual_and_b32 v32, 0x3ff, v0
	v_bfe_u32 v33, v0, 10, 10
	v_mov_b32_e32 v8, 0
	s_delay_alu instid0(VALU_DEP_2) | instskip(NEXT) | instid1(VALU_DEP_1)
	v_lshl_add_u32 v2, v33, 3, v32
	v_and_b32_e32 v7, 63, v2
	v_lshrrev_b32_e32 v35, 6, v2
	s_waitcnt lgkmcnt(0)
	s_add_i32 s4, s16, -1
	s_ashr_i32 s9, s8, 31
	s_ashr_i32 s5, s4, 31
	s_delay_alu instid0(SALU_CYCLE_1) | instskip(NEXT) | instid1(SALU_CYCLE_1)
	s_lshr_b32 s5, s5, 26
	s_add_i32 s4, s4, s5
	s_delay_alu instid0(SALU_CYCLE_1) | instskip(NEXT) | instid1(SALU_CYCLE_1)
	s_ashr_i32 s4, s4, 6
	s_add_i32 s13, s4, 1
	s_not_b32 s4, s4
	v_cvt_f32_u32_e32 v1, s13
	s_delay_alu instid0(VALU_DEP_1) | instskip(SKIP_2) | instid1(VALU_DEP_1)
	v_rcp_iflag_f32_e32 v1, v1
	s_waitcnt_depctr 0xfff
	v_mul_f32_e32 v1, 0x4f7ffffe, v1
	v_cvt_u32_f32_e32 v1, v1
	s_delay_alu instid0(VALU_DEP_1) | instskip(NEXT) | instid1(VALU_DEP_1)
	v_readfirstlane_b32 s5, v1
	s_mul_i32 s4, s4, s5
	s_delay_alu instid0(SALU_CYCLE_1) | instskip(NEXT) | instid1(SALU_CYCLE_1)
	s_mul_hi_u32 s4, s5, s4
	s_add_i32 s5, s5, s4
	s_delay_alu instid0(SALU_CYCLE_1) | instskip(NEXT) | instid1(SALU_CYCLE_1)
	s_mul_hi_u32 s4, s14, s5
	s_mul_i32 s5, s4, s13
	s_add_i32 s15, s4, 1
	s_sub_i32 s5, s14, s5
	s_delay_alu instid0(SALU_CYCLE_1)
	s_sub_i32 s19, s5, s13
	s_cmp_ge_u32 s5, s13
	s_cselect_b32 s4, s15, s4
	s_cselect_b32 s5, s19, s5
	s_add_i32 s15, s4, 1
	s_cmp_ge_u32 s5, s13
	s_cselect_b32 s5, s15, s4
	s_delay_alu instid0(SALU_CYCLE_1) | instskip(NEXT) | instid1(SALU_CYCLE_1)
	s_mul_i32 s4, s5, s13
	s_sub_i32 s4, s14, s4
	s_delay_alu instid0(SALU_CYCLE_1) | instskip(SKIP_2) | instid1(VALU_DEP_1)
	s_lshl_b32 s13, s4, 6
	v_cmp_gt_i32_e64 s4, s18, v35
	v_or_b32_e32 v0, s13, v7
	v_cmp_gt_i32_e32 vcc_lo, s16, v0
	v_ashrrev_i32_e32 v1, 31, v0
	s_delay_alu instid0(VALU_DEP_4) | instskip(NEXT) | instid1(SALU_CYCLE_1)
	s_and_b32 s4, s4, vcc_lo
	s_and_b32 s4, s3, s4
	s_delay_alu instid0(SALU_CYCLE_1)
	s_and_saveexec_b32 s14, s4
	s_cbranch_execz .LBB285_9
; %bb.8:
	v_mad_i64_i32 v[3:4], null, s8, v35, 0
	v_lshlrev_b64 v[5:6], 1, v[0:1]
	s_delay_alu instid0(VALU_DEP_2) | instskip(NEXT) | instid1(VALU_DEP_1)
	v_lshlrev_b64 v[3:4], 1, v[3:4]
	v_add_co_u32 v3, s4, s22, v3
	s_delay_alu instid0(VALU_DEP_1) | instskip(NEXT) | instid1(VALU_DEP_2)
	v_add_co_ci_u32_e64 v4, s4, s23, v4, s4
	v_add_co_u32 v3, s4, v3, v5
	s_delay_alu instid0(VALU_DEP_1)
	v_add_co_ci_u32_e64 v4, s4, v4, v6, s4
	flat_load_u16 v3, v[3:4]
	s_waitcnt vmcnt(0) lgkmcnt(0)
	v_mul_f16_e32 v9, v34, v3
.LBB285_9:
	s_or_b32 exec_lo, exec_lo, s14
	v_and_b32_e32 v36, 3, v32
	s_add_i32 s15, s18, -1
	v_lshrrev_b32_e32 v10, 2, v2
	s_load_b32 s26, s[0:1], 0x38
	s_lshl_b32 s14, s5, 7
	v_min_i32_e32 v3, s15, v36
	s_xor_b32 s24, s3, -1
	v_add_nc_u32_e32 v2, s14, v10
	v_cmp_le_i32_e64 s4, s18, v36
	s_delay_alu instid0(VALU_DEP_3) | instskip(NEXT) | instid1(VALU_DEP_3)
	v_ashrrev_i32_e32 v4, 31, v3
	v_cmp_le_i32_e64 s5, s17, v2
	s_delay_alu instid0(VALU_DEP_2) | instskip(NEXT) | instid1(VALU_DEP_2)
	v_lshlrev_b64 v[3:4], 1, v[3:4]
	s_or_b32 s19, s5, s24
	s_delay_alu instid0(VALU_DEP_1) | instskip(NEXT) | instid1(VALU_DEP_1)
	v_add_co_u32 v5, s5, s20, v3
	v_add_co_ci_u32_e64 v6, s5, s21, v4, s5
	s_or_b32 s5, s4, s19
	s_delay_alu instid0(SALU_CYCLE_1) | instskip(NEXT) | instid1(SALU_CYCLE_1)
	s_xor_b32 s5, s5, -1
	s_and_saveexec_b32 s25, s5
	s_cbranch_execz .LBB285_11
; %bb.10:
	s_waitcnt lgkmcnt(0)
	v_mad_i64_i32 v[3:4], null, v2, s26, 0
	s_delay_alu instid0(VALU_DEP_1) | instskip(NEXT) | instid1(VALU_DEP_1)
	v_lshlrev_b64 v[3:4], 1, v[3:4]
	v_add_co_u32 v3, s5, v5, v3
	s_delay_alu instid0(VALU_DEP_1)
	v_add_co_ci_u32_e64 v4, s5, v6, v4, s5
	flat_load_u16 v3, v[3:4]
	s_waitcnt vmcnt(0) lgkmcnt(0)
	v_mul_f16_e32 v8, v34, v3
.LBB285_11:
	s_or_b32 exec_lo, exec_lo, s25
	v_dual_mov_b32 v4, 0 :: v_dual_add_nc_u32 v3, 64, v2
	v_mov_b32_e32 v11, 0
	s_delay_alu instid0(VALU_DEP_2) | instskip(NEXT) | instid1(VALU_DEP_1)
	v_cmp_le_i32_e64 s5, s17, v3
	s_or_b32 s24, s5, s24
	s_delay_alu instid0(SALU_CYCLE_1) | instskip(NEXT) | instid1(SALU_CYCLE_1)
	s_or_b32 s4, s4, s24
	s_xor_b32 s4, s4, -1
	s_delay_alu instid0(SALU_CYCLE_1)
	s_and_saveexec_b32 s5, s4
	s_cbranch_execz .LBB285_13
; %bb.12:
	s_waitcnt lgkmcnt(0)
	v_mad_i64_i32 v[11:12], null, v3, s26, 0
	s_delay_alu instid0(VALU_DEP_1) | instskip(NEXT) | instid1(VALU_DEP_1)
	v_lshlrev_b64 v[11:12], 1, v[11:12]
	v_add_co_u32 v5, s4, v5, v11
	s_delay_alu instid0(VALU_DEP_1)
	v_add_co_ci_u32_e64 v6, s4, v6, v12, s4
	flat_load_u16 v5, v[5:6]
	s_waitcnt vmcnt(0) lgkmcnt(0)
	v_mul_f16_e32 v11, v34, v5
.LBB285_13:
	s_or_b32 exec_lo, exec_lo, s5
	v_add_nc_u32_e32 v5, 4, v35
	s_delay_alu instid0(VALU_DEP_1) | instskip(NEXT) | instid1(VALU_DEP_1)
	v_cmp_gt_i32_e64 s4, s18, v5
	s_and_b32 s4, vcc_lo, s4
	s_delay_alu instid0(SALU_CYCLE_1) | instskip(NEXT) | instid1(SALU_CYCLE_1)
	s_and_b32 s4, s3, s4
	s_and_saveexec_b32 s5, s4
	s_cbranch_execz .LBB285_15
; %bb.14:
	v_mad_u64_u32 v[12:13], null, s8, v5, 0
	s_delay_alu instid0(VALU_DEP_1) | instskip(NEXT) | instid1(VALU_DEP_1)
	v_mov_b32_e32 v4, v13
	v_mad_u64_u32 v[13:14], null, s9, v5, v[4:5]
	s_delay_alu instid0(VALU_DEP_1) | instskip(SKIP_1) | instid1(VALU_DEP_2)
	v_lshlrev_b64 v[4:5], 1, v[12:13]
	v_lshlrev_b64 v[12:13], 1, v[0:1]
	v_add_co_u32 v4, s4, s22, v4
	s_delay_alu instid0(VALU_DEP_1) | instskip(NEXT) | instid1(VALU_DEP_2)
	v_add_co_ci_u32_e64 v5, s4, s23, v5, s4
	v_add_co_u32 v4, s4, v4, v12
	s_delay_alu instid0(VALU_DEP_1)
	v_add_co_ci_u32_e64 v5, s4, v5, v13, s4
	flat_load_u16 v4, v[4:5]
	s_waitcnt vmcnt(0) lgkmcnt(0)
	v_mul_f16_e32 v4, v34, v4
.LBB285_15:
	s_or_b32 exec_lo, exec_lo, s5
	v_or_b32_e32 v14, 4, v36
	s_delay_alu instid0(VALU_DEP_1) | instskip(SKIP_1) | instid1(VALU_DEP_2)
	v_min_i32_e32 v5, s15, v14
	v_cmp_le_i32_e64 s4, s18, v14
	v_ashrrev_i32_e32 v6, 31, v5
	s_delay_alu instid0(VALU_DEP_1) | instskip(SKIP_1) | instid1(VALU_DEP_2)
	v_lshlrev_b64 v[12:13], 1, v[5:6]
	v_dual_mov_b32 v5, 0 :: v_dual_mov_b32 v6, 0
	v_add_co_u32 v12, s5, s20, v12
	s_delay_alu instid0(VALU_DEP_1) | instskip(SKIP_1) | instid1(SALU_CYCLE_1)
	v_add_co_ci_u32_e64 v13, s5, s21, v13, s5
	s_or_b32 s5, s4, s19
	s_xor_b32 s5, s5, -1
	s_delay_alu instid0(SALU_CYCLE_1)
	s_and_saveexec_b32 s25, s5
	s_cbranch_execz .LBB285_17
; %bb.16:
	s_waitcnt lgkmcnt(0)
	v_mad_i64_i32 v[14:15], null, v2, s26, 0
	s_delay_alu instid0(VALU_DEP_1) | instskip(NEXT) | instid1(VALU_DEP_1)
	v_lshlrev_b64 v[14:15], 1, v[14:15]
	v_add_co_u32 v14, s5, v12, v14
	s_delay_alu instid0(VALU_DEP_1)
	v_add_co_ci_u32_e64 v15, s5, v13, v15, s5
	flat_load_u16 v6, v[14:15]
	s_waitcnt vmcnt(0) lgkmcnt(0)
	v_mul_f16_e32 v6, v34, v6
.LBB285_17:
	s_or_b32 exec_lo, exec_lo, s25
	s_or_b32 s4, s4, s24
	s_delay_alu instid0(SALU_CYCLE_1) | instskip(NEXT) | instid1(SALU_CYCLE_1)
	s_xor_b32 s4, s4, -1
	s_and_saveexec_b32 s5, s4
	s_cbranch_execz .LBB285_19
; %bb.18:
	s_waitcnt lgkmcnt(0)
	v_mad_i64_i32 v[14:15], null, v3, s26, 0
	s_delay_alu instid0(VALU_DEP_1) | instskip(NEXT) | instid1(VALU_DEP_1)
	v_lshlrev_b64 v[14:15], 1, v[14:15]
	v_add_co_u32 v12, s4, v12, v14
	s_delay_alu instid0(VALU_DEP_1)
	v_add_co_ci_u32_e64 v13, s4, v13, v15, s4
	flat_load_u16 v5, v[12:13]
	s_waitcnt vmcnt(0) lgkmcnt(0)
	v_mul_f16_e32 v5, v34, v5
.LBB285_19:
	s_or_b32 exec_lo, exec_lo, s5
	v_lshlrev_b32_e32 v12, 1, v36
	v_lshlrev_b32_e32 v7, 3, v7
	;; [unrolled: 1-line block ×4, first 2 shown]
	s_mov_b32 s25, 0
	v_lshl_or_b32 v39, v10, 3, v12
	v_lshl_add_u32 v7, v35, 1, v7
	v_add_nc_u32_e32 v28, 0x800, v38
	s_cmp_lt_i32 s18, 9
	ds_store_b16 v39, v8
	ds_store_b16 v7, v9 offset:2048
	ds_store_b16 v39, v11 offset:512
	s_waitcnt lgkmcnt(0)
	s_barrier
	buffer_gl0_inv
	ds_load_2addr_b64 v[8:11], v37 offset1:32
	ds_load_2addr_b64 v[12:15], v28 offset0:48 offset1:56
	ds_load_2addr_b64 v[16:19], v37 offset0:64 offset1:96
	ds_load_2addr_b64 v[20:23], v28 offset1:8
	ds_load_2addr_b64 v[24:27], v28 offset0:16 offset1:24
	s_waitcnt lgkmcnt(4)
	v_pk_max_f16 v8, v8, v8
	s_waitcnt lgkmcnt(3)
	v_pk_max_f16 v14, v14, v14
	v_pk_max_f16 v10, v10, v10
	s_waitcnt lgkmcnt(2)
	v_pk_max_f16 v16, v16, v16
	s_waitcnt lgkmcnt(0)
	v_pk_max_f16 v24, v24, v24
	v_pk_max_f16 v26, v26, v26
	v_pk_min_f16 v29, v14, v8
	v_pk_min_f16 v30, v14, v10
	;; [unrolled: 1-line block ×5, first 2 shown]
	v_pk_add_f16 v45, v29, 0
	v_pk_add_f16 v46, v30, 0
	;; [unrolled: 1-line block ×3, first 2 shown]
	ds_load_2addr_b64 v[28:31], v28 offset0:32 offset1:40
	v_pk_add_f16 v53, v50, 0
	v_pk_min_f16 v50, v26, v8
	v_pk_add_f16 v54, v51, 0
	v_pk_min_f16 v51, v26, v10
	v_pk_max_f16 v20, v20, v20
	v_pk_max_f16 v18, v18, v18
	v_pk_add_f16 v60, v50, 0
	v_pk_max_f16 v22, v22, v22
	v_pk_add_f16 v61, v51, 0
	v_pk_max_f16 v12, v12, v12
	v_pk_max_f16 v9, v9, v9
	;; [unrolled: 1-line block ×3, first 2 shown]
	v_pk_min_f16 v40, v20, v8
	v_pk_min_f16 v41, v20, v10
	;; [unrolled: 1-line block ×7, first 2 shown]
	s_waitcnt lgkmcnt(0)
	v_pk_max_f16 v28, v28, v28
	v_pk_max_f16 v30, v30, v30
	v_pk_min_f16 v22, v22, v18
	v_pk_min_f16 v52, v24, v16
	;; [unrolled: 1-line block ×8, first 2 shown]
	v_pk_add_f16 v62, v50, 0
	v_pk_min_f16 v50, v28, v16
	v_pk_min_f16 v28, v28, v18
	v_pk_add_f16 v63, v51, 0
	v_pk_min_f16 v51, v30, v8
	v_pk_min_f16 v8, v12, v8
	;; [unrolled: 3-line block ×3, first 2 shown]
	v_pk_min_f16 v10, v12, v10
	v_pk_min_f16 v16, v12, v16
	;; [unrolled: 1-line block ×3, first 2 shown]
	v_pk_max_f16 v11, v11, v11
	v_pk_min_f16 v14, v14, v18
	v_pk_min_f16 v18, v15, v9
	v_pk_add_f16 v77, v50, 0
	v_pk_max_f16 v17, v17, v17
	v_pk_min_f16 v50, v15, v11
	v_pk_max_f16 v21, v21, v21
	v_pk_add_f16 v69, v45, v18
	v_pk_max_f16 v18, v19, v19
	v_pk_add_f16 v40, v40, 0
	v_pk_add_f16 v20, v20, 0
	v_pk_add_f16 v59, v46, v50
	v_pk_min_f16 v19, v21, v9
	v_pk_min_f16 v45, v21, v11
	v_pk_min_f16 v46, v21, v17
	v_pk_min_f16 v21, v21, v18
	v_pk_max_f16 v23, v23, v23
	v_pk_add_f16 v44, v44, 0
	v_pk_add_f16 v48, v48, 0
	v_pk_add_f16 v49, v49, 0
	v_pk_add_f16 v22, v22, 0
	v_pk_add_f16 v74, v40, v19
	v_pk_add_f16 v50, v20, v21
	v_pk_min_f16 v19, v23, v9
	v_pk_min_f16 v20, v23, v11
	v_pk_min_f16 v21, v23, v17
	v_pk_min_f16 v23, v23, v18
	v_pk_max_f16 v25, v25, v25
	v_pk_add_f16 v52, v52, 0
	v_pk_add_f16 v24, v24, 0
	v_pk_add_f16 v73, v44, v19
	;; [unrolled: 11-line block ×3, first 2 shown]
	v_pk_add_f16 v76, v56, 0
	v_pk_min_f16 v51, v15, v17
	v_pk_add_f16 v72, v53, v19
	v_pk_add_f16 v65, v54, v20
	;; [unrolled: 1-line block ×4, first 2 shown]
	v_pk_min_f16 v19, v23, v9
	v_pk_min_f16 v20, v23, v11
	;; [unrolled: 1-line block ×4, first 2 shown]
	v_pk_max_f16 v23, v29, v29
	v_pk_add_f16 v43, v43, 0
	v_pk_add_f16 v28, v28, 0
	;; [unrolled: 1-line block ×7, first 2 shown]
	v_pk_min_f16 v19, v23, v9
	v_pk_min_f16 v20, v23, v11
	;; [unrolled: 1-line block ×4, first 2 shown]
	v_pk_max_f16 v23, v31, v31
	v_pk_max_f16 v13, v13, v13
	v_pk_add_f16 v41, v41, 0
	v_pk_add_f16 v30, v30, 0
	;; [unrolled: 1-line block ×12, first 2 shown]
	v_pk_min_f16 v19, v23, v9
	v_pk_min_f16 v20, v23, v11
	;; [unrolled: 1-line block ×9, first 2 shown]
	v_pk_add_f16 v68, v41, v45
	v_pk_add_f16 v41, v75, v19
	;; [unrolled: 1-line block ×10, first 2 shown]
	ds_store_b16 v39, v6 offset:1024
	ds_store_b16 v7, v4 offset:2560
	;; [unrolled: 1-line block ×3, first 2 shown]
	s_waitcnt lgkmcnt(0)
	s_barrier
	buffer_gl0_inv
	s_cbranch_scc1 .LBB285_34
; %bb.20:
	v_add_nc_u32_e32 v4, v37, v32
	v_or_b32_e32 v60, 0x800, v7
	v_add_nc_u32_e32 v75, 0xa00, v7
	v_lshlrev_b64 v[0:1], 1, v[0:1]
	v_add_nc_u32_e32 v67, 0x800, v38
	v_lshrrev_b32_e32 v4, 6, v4
	v_add_nc_u32_e32 v76, 0x400, v39
	v_lshl_add_u32 v77, v32, 3, 0xa00
	v_add_nc_u32_e32 v80, 0x400, v37
	v_add_co_u32 v78, s4, s22, v0
	v_add_nc_u32_e32 v8, 12, v4
	v_add_nc_u32_e32 v10, 8, v4
	v_mad_i64_i32 v[4:5], null, v2, s26, 0
	v_add_co_ci_u32_e64 v79, s4, s23, v1, s4
	s_delay_alu instid0(VALU_DEP_4) | instskip(NEXT) | instid1(VALU_DEP_4)
	v_mad_i64_i32 v[6:7], null, v8, s8, 0
	v_mad_i64_i32 v[8:9], null, v10, s8, 0
	;; [unrolled: 1-line block ×3, first 2 shown]
	v_lshlrev_b64 v[28:29], 1, v[4:5]
	s_add_i32 s22, s18, -8
	s_delay_alu instid0(VALU_DEP_4) | instskip(SKIP_1) | instid1(VALU_DEP_4)
	v_lshlrev_b64 v[24:25], 1, v[6:7]
	s_lshl_b64 s[8:9], s[8:9], 4
	v_lshlrev_b64 v[26:27], 1, v[8:9]
	s_delay_alu instid0(VALU_DEP_4)
	v_lshlrev_b64 v[30:31], 1, v[10:11]
	s_branch .LBB285_22
.LBB285_21:                             ;   in Loop: Header=BB285_22 Depth=1
	s_or_b32 exec_lo, exec_lo, s5
	v_pk_add_f16 v16, v51, v16
	v_pk_add_f16 v22, v50, v22
	;; [unrolled: 1-line block ×30, first 2 shown]
	ds_load_2addr_b64 v[43:46], v67 offset0:48 offset1:56
	ds_load_2addr_b64 v[47:50], v37 offset1:32
	ds_load_2addr_b64 v[51:54], v37 offset0:64 offset1:96
	v_pk_add_f16 v86, v57, v123
	v_pk_add_f16 v87, v56, v125
	;; [unrolled: 1-line block ×4, first 2 shown]
	ds_load_2addr_b64 v[55:58], v67 offset1:8
	v_pk_add_f16 v40, v40, v102
	v_pk_add_f16 v41, v41, v98
	;; [unrolled: 1-line block ×12, first 2 shown]
	s_waitcnt lgkmcnt(3)
	v_pk_max_f16 v40, v45, v45
	s_waitcnt lgkmcnt(2)
	v_pk_max_f16 v45, v47, v47
	v_pk_max_f16 v47, v49, v49
	s_waitcnt lgkmcnt(1)
	v_pk_max_f16 v49, v51, v51
	v_pk_add_f16 v41, v41, v7
	v_pk_add_f16 v19, v61, v19
	;; [unrolled: 1-line block ×4, first 2 shown]
	v_pk_min_f16 v4, v40, v45
	v_pk_min_f16 v5, v40, v47
	;; [unrolled: 1-line block ×3, first 2 shown]
	ds_load_2addr_b64 v[0:3], v67 offset0:16 offset1:24
	s_waitcnt lgkmcnt(1)
	v_pk_max_f16 v7, v55, v55
	v_pk_max_f16 v53, v53, v53
	v_pk_add_f16 v14, v14, v115
	v_pk_add_f16 v18, v18, v116
	;; [unrolled: 1-line block ×7, first 2 shown]
	v_pk_min_f16 v4, v7, v45
	v_pk_min_f16 v5, v7, v47
	;; [unrolled: 1-line block ×4, first 2 shown]
	v_pk_add_f16 v62, v62, v99
	v_pk_add_f16 v14, v14, v4
	;; [unrolled: 1-line block ×5, first 2 shown]
	ds_load_2addr_b64 v[4:7], v67 offset0:32 offset1:40
	v_pk_max_f16 v57, v57, v57
	v_pk_add_f16 v8, v8, v119
	v_pk_add_f16 v11, v62, v11
	;; [unrolled: 1-line block ×4, first 2 shown]
	v_pk_min_f16 v62, v57, v45
	v_pk_min_f16 v68, v57, v47
	;; [unrolled: 1-line block ×4, first 2 shown]
	s_waitcnt lgkmcnt(1)
	v_pk_max_f16 v0, v0, v0
	v_pk_add_f16 v21, v70, v21
	v_pk_add_f16 v8, v8, v62
	;; [unrolled: 1-line block ×5, first 2 shown]
	v_pk_min_f16 v57, v0, v45
	v_pk_min_f16 v68, v0, v47
	;; [unrolled: 1-line block ×4, first 2 shown]
	v_pk_max_f16 v2, v2, v2
	v_pk_add_f16 v59, v59, v106
	v_pk_add_f16 v72, v86, v57
	s_waitcnt lgkmcnt(0)
	v_pk_max_f16 v4, v4, v4
	v_pk_add_f16 v0, v9, v0
	v_pk_min_f16 v9, v2, v45
	v_pk_min_f16 v57, v2, v47
	v_pk_add_f16 v10, v10, v124
	v_pk_add_f16 v65, v65, v109
	;; [unrolled: 1-line block ×5, first 2 shown]
	v_pk_min_f16 v57, v4, v45
	v_pk_add_f16 v10, v10, v68
	v_pk_min_f16 v68, v2, v49
	v_pk_min_f16 v2, v2, v53
	v_pk_min_f16 v59, v4, v47
	v_pk_max_f16 v6, v6, v6
	v_pk_add_f16 v86, v65, v57
	v_pk_min_f16 v57, v4, v49
	v_pk_max_f16 v43, v43, v43
	v_pk_add_f16 v84, v87, v69
	v_pk_add_f16 v85, v88, v68
	;; [unrolled: 1-line block ×4, first 2 shown]
	v_pk_min_f16 v59, v6, v45
	v_pk_min_f16 v64, v6, v47
	v_pk_add_f16 v88, v63, v57
	v_pk_min_f16 v57, v6, v49
	v_pk_min_f16 v6, v6, v53
	;; [unrolled: 1-line block ×5, first 2 shown]
	v_pk_max_f16 v90, v50, v50
	v_pk_add_f16 v6, v15, v6
	v_pk_add_f16 v15, v17, v45
	;; [unrolled: 1-line block ×4, first 2 shown]
	v_pk_min_f16 v21, v43, v53
	v_pk_max_f16 v43, v46, v46
	v_pk_max_f16 v89, v48, v48
	v_pk_min_f16 v40, v40, v53
	v_pk_max_f16 v52, v52, v52
	v_pk_add_f16 v41, v41, v59
	v_pk_min_f16 v46, v43, v90
	v_pk_min_f16 v45, v43, v89
	v_pk_add_f16 v91, v61, v40
	v_pk_min_f16 v40, v43, v52
	v_pk_max_f16 v47, v56, v56
	v_pk_add_f16 v59, v12, v46
	v_pk_max_f16 v12, v54, v54
	v_pk_add_f16 v21, v51, v21
	v_pk_add_f16 v69, v55, v45
	;; [unrolled: 1-line block ×3, first 2 shown]
	v_pk_min_f16 v16, v47, v89
	v_pk_min_f16 v40, v47, v90
	;; [unrolled: 1-line block ×4, first 2 shown]
	v_pk_max_f16 v47, v58, v58
	v_pk_min_f16 v4, v4, v53
	v_pk_add_f16 v74, v14, v16
	v_pk_max_f16 v1, v1, v1
	v_pk_max_f16 v3, v3, v3
	v_pk_min_f16 v14, v47, v89
	v_pk_min_f16 v16, v47, v90
	v_pk_add_f16 v4, v66, v4
	v_pk_add_f16 v58, v20, v45
	v_pk_min_f16 v20, v47, v12
	v_pk_add_f16 v73, v8, v14
	v_pk_add_f16 v66, v62, v16
	v_pk_min_f16 v8, v1, v89
	v_pk_min_f16 v14, v1, v90
	;; [unrolled: 1-line block ×4, first 2 shown]
	v_pk_max_f16 v5, v5, v5
	v_pk_add_f16 v72, v72, v8
	v_pk_min_f16 v8, v3, v52
	v_pk_add_f16 v11, v11, v64
	v_pk_add_f16 v48, v0, v1
	v_pk_min_f16 v0, v3, v89
	v_pk_min_f16 v1, v3, v90
	;; [unrolled: 1-line block ×3, first 2 shown]
	v_pk_add_f16 v68, v18, v40
	v_pk_min_f16 v18, v47, v52
	v_pk_add_f16 v49, v71, v20
	v_pk_add_f16 v71, v9, v0
	;; [unrolled: 1-line block ×4, first 2 shown]
	v_pk_min_f16 v0, v5, v89
	v_pk_min_f16 v1, v5, v90
	v_pk_min_f16 v2, v5, v52
	v_pk_min_f16 v3, v5, v12
	v_pk_max_f16 v5, v7, v7
	v_pk_add_f16 v13, v13, v57
	v_pk_add_f16 v50, v22, v46
	v_pk_add_f16 v57, v70, v18
	v_pk_add_f16 v70, v86, v0
	v_pk_add_f16 v63, v87, v1
	v_pk_add_f16 v54, v88, v2
	v_pk_add_f16 v46, v4, v3
	v_pk_min_f16 v0, v5, v89
	v_pk_min_f16 v1, v5, v90
	;; [unrolled: 1-line block ×4, first 2 shown]
	v_pk_max_f16 v4, v44, v44
	v_pk_add_f16 v41, v41, v0
	v_pk_add_f16 v62, v11, v1
	;; [unrolled: 1-line block ×4, first 2 shown]
	v_pk_min_f16 v0, v4, v89
	v_pk_min_f16 v1, v4, v90
	;; [unrolled: 1-line block ×5, first 2 shown]
	v_add_co_u32 v78, s4, v78, s8
	v_pk_add_f16 v65, v10, v14
	v_pk_add_f16 v56, v84, v16
	;; [unrolled: 1-line block ×8, first 2 shown]
	v_add_co_ci_u32_e64 v79, s4, s9, v79, s4
	s_add_i32 s25, s25, 8
	ds_store_b16 v75, v81
	ds_store_b16 v76, v83
	ds_store_b16 v76, v82 offset:512
	s_cmp_ge_i32 s25, s22
	s_waitcnt lgkmcnt(0)
	s_barrier
	buffer_gl0_inv
	s_cbranch_scc1 .LBB285_34
.LBB285_22:                             ; =>This Inner Loop Header: Depth=1
	v_dual_mov_b32 v84, 0 :: v_dual_add_nc_u32 v83, s25, v35
	s_delay_alu instid0(VALU_DEP_1) | instskip(NEXT) | instid1(VALU_DEP_1)
	v_dual_mov_b32 v85, 0 :: v_dual_add_nc_u32 v0, 8, v83
	v_cmp_gt_i32_e64 s4, s18, v0
	s_delay_alu instid0(VALU_DEP_1) | instskip(NEXT) | instid1(SALU_CYCLE_1)
	s_and_b32 s4, vcc_lo, s4
	s_and_b32 s4, s3, s4
	s_delay_alu instid0(SALU_CYCLE_1)
	s_and_saveexec_b32 s5, s4
	s_cbranch_execz .LBB285_24
; %bb.23:                               ;   in Loop: Header=BB285_22 Depth=1
	v_add_co_u32 v0, s4, v78, v26
	s_delay_alu instid0(VALU_DEP_1)
	v_add_co_ci_u32_e64 v1, s4, v79, v27, s4
	flat_load_u16 v0, v[0:1]
	s_waitcnt vmcnt(0) lgkmcnt(0)
	v_mul_f16_e32 v85, v34, v0
.LBB285_24:                             ;   in Loop: Header=BB285_22 Depth=1
	s_or_b32 exec_lo, exec_lo, s5
	v_add_nc_u32_e32 v82, s25, v36
	s_delay_alu instid0(VALU_DEP_1) | instskip(NEXT) | instid1(VALU_DEP_1)
	v_add_nc_u32_e32 v2, 8, v82
	v_min_i32_e32 v0, s15, v2
	v_cmp_le_i32_e64 s4, s18, v2
	s_delay_alu instid0(VALU_DEP_2) | instskip(NEXT) | instid1(VALU_DEP_1)
	v_ashrrev_i32_e32 v1, 31, v0
	v_lshlrev_b64 v[0:1], 1, v[0:1]
	s_delay_alu instid0(VALU_DEP_1) | instskip(NEXT) | instid1(VALU_DEP_1)
	v_add_co_u32 v0, s5, s20, v0
	v_add_co_ci_u32_e64 v1, s5, s21, v1, s5
	s_or_b32 s5, s19, s4
	s_delay_alu instid0(SALU_CYCLE_1) | instskip(NEXT) | instid1(SALU_CYCLE_1)
	s_xor_b32 s5, s5, -1
	s_and_saveexec_b32 s23, s5
	s_cbranch_execz .LBB285_26
; %bb.25:                               ;   in Loop: Header=BB285_22 Depth=1
	v_add_co_u32 v2, s5, v0, v28
	s_delay_alu instid0(VALU_DEP_1)
	v_add_co_ci_u32_e64 v3, s5, v1, v29, s5
	flat_load_u16 v2, v[2:3]
	s_waitcnt vmcnt(0) lgkmcnt(0)
	v_mul_f16_e32 v84, v34, v2
.LBB285_26:                             ;   in Loop: Header=BB285_22 Depth=1
	s_or_b32 exec_lo, exec_lo, s23
	v_dual_mov_b32 v81, 0 :: v_dual_mov_b32 v86, 0
	s_or_b32 s4, s24, s4
	s_delay_alu instid0(SALU_CYCLE_1) | instskip(NEXT) | instid1(SALU_CYCLE_1)
	s_xor_b32 s4, s4, -1
	s_and_saveexec_b32 s5, s4
	s_cbranch_execz .LBB285_28
; %bb.27:                               ;   in Loop: Header=BB285_22 Depth=1
	v_add_co_u32 v0, s4, v0, v30
	s_delay_alu instid0(VALU_DEP_1)
	v_add_co_ci_u32_e64 v1, s4, v1, v31, s4
	flat_load_u16 v0, v[0:1]
	s_waitcnt vmcnt(0) lgkmcnt(0)
	v_mul_f16_e32 v86, v34, v0
.LBB285_28:                             ;   in Loop: Header=BB285_22 Depth=1
	s_or_b32 exec_lo, exec_lo, s5
	ds_load_2addr_b64 v[0:3], v77 offset0:48 offset1:56
	ds_load_2addr_b64 v[12:15], v80 offset0:64 offset1:96
	ds_load_2addr_b64 v[20:23], v80 offset1:32
	ds_load_2addr_b64 v[16:19], v77 offset1:8
	ds_load_2addr_b64 v[8:11], v77 offset0:16 offset1:24
	ds_load_2addr_b64 v[4:7], v77 offset0:32 offset1:40
	v_add_nc_u32_e32 v83, 12, v83
	ds_store_b16 v60, v85
	ds_store_b16 v39, v84
	ds_store_b16 v39, v86 offset:512
	s_waitcnt lgkmcnt(0)
	s_barrier
	buffer_gl0_inv
	v_cmp_gt_i32_e64 s4, s18, v83
	s_delay_alu instid0(VALU_DEP_1) | instskip(NEXT) | instid1(SALU_CYCLE_1)
	s_and_b32 s4, vcc_lo, s4
	s_and_b32 s4, s3, s4
	s_delay_alu instid0(SALU_CYCLE_1)
	s_and_saveexec_b32 s5, s4
	s_cbranch_execz .LBB285_30
; %bb.29:                               ;   in Loop: Header=BB285_22 Depth=1
	v_add_co_u32 v83, s4, v78, v24
	s_delay_alu instid0(VALU_DEP_1)
	v_add_co_ci_u32_e64 v84, s4, v79, v25, s4
	flat_load_u16 v81, v[83:84]
	s_waitcnt vmcnt(0) lgkmcnt(0)
	v_mul_f16_e32 v81, v34, v81
.LBB285_30:                             ;   in Loop: Header=BB285_22 Depth=1
	s_or_b32 exec_lo, exec_lo, s5
	v_add_nc_u32_e32 v86, 12, v82
	s_delay_alu instid0(VALU_DEP_1) | instskip(NEXT) | instid1(VALU_DEP_1)
	v_min_i32_e32 v82, s15, v86
	v_ashrrev_i32_e32 v83, 31, v82
	s_delay_alu instid0(VALU_DEP_1) | instskip(SKIP_3) | instid1(VALU_DEP_4)
	v_lshlrev_b64 v[84:85], 1, v[82:83]
	v_mov_b32_e32 v83, 0
	v_cmp_le_i32_e64 s4, s18, v86
	v_mov_b32_e32 v82, 0
	v_add_co_u32 v84, s5, s20, v84
	s_delay_alu instid0(VALU_DEP_1) | instskip(NEXT) | instid1(VALU_DEP_4)
	v_add_co_ci_u32_e64 v85, s5, s21, v85, s5
	s_or_b32 s5, s19, s4
	s_delay_alu instid0(SALU_CYCLE_1) | instskip(NEXT) | instid1(SALU_CYCLE_1)
	s_xor_b32 s5, s5, -1
	s_and_saveexec_b32 s23, s5
	s_cbranch_execz .LBB285_32
; %bb.31:                               ;   in Loop: Header=BB285_22 Depth=1
	v_add_co_u32 v86, s5, v84, v28
	s_delay_alu instid0(VALU_DEP_1)
	v_add_co_ci_u32_e64 v87, s5, v85, v29, s5
	flat_load_u16 v83, v[86:87]
	s_waitcnt vmcnt(0) lgkmcnt(0)
	v_mul_f16_e32 v83, v34, v83
.LBB285_32:                             ;   in Loop: Header=BB285_22 Depth=1
	s_or_b32 exec_lo, exec_lo, s23
	v_pk_max_f16 v106, v2, v2
	v_pk_max_f16 v102, v20, v20
	v_pk_max_f16 v103, v22, v22
	v_pk_max_f16 v104, v12, v12
	v_pk_max_f16 v22, v16, v16
	v_pk_max_f16 v107, v14, v14
	v_pk_max_f16 v88, v18, v18
	v_pk_max_f16 v91, v8, v8
	v_pk_max_f16 v94, v10, v10
	v_pk_max_f16 v97, v4, v4
	v_pk_max_f16 v101, v6, v6
	v_pk_max_f16 v0, v0, v0
	v_pk_min_f16 v2, v106, v102
	v_pk_min_f16 v12, v106, v103
	;; [unrolled: 1-line block ×25, first 2 shown]
	v_pk_max_f16 v126, v3, v3
	v_pk_max_f16 v21, v21, v21
	;; [unrolled: 1-line block ×9, first 2 shown]
	v_pk_min_f16 v115, v0, v21
	v_pk_min_f16 v116, v0, v127
	;; [unrolled: 1-line block ×4, first 2 shown]
	v_pk_max_f16 v0, v9, v9
	v_pk_min_f16 v119, v3, v21
	v_pk_min_f16 v120, v3, v127
	;; [unrolled: 1-line block ×4, first 2 shown]
	v_pk_max_f16 v3, v11, v11
	v_pk_max_f16 v1, v1, v1
	v_pk_min_f16 v22, v22, v107
	v_pk_min_f16 v88, v88, v107
	;; [unrolled: 1-line block ×31, first 2 shown]
	s_or_b32 s4, s24, s4
	s_delay_alu instid0(SALU_CYCLE_1) | instskip(NEXT) | instid1(SALU_CYCLE_1)
	s_xor_b32 s4, s4, -1
	s_and_saveexec_b32 s5, s4
	s_cbranch_execz .LBB285_21
; %bb.33:                               ;   in Loop: Header=BB285_22 Depth=1
	v_add_co_u32 v84, s4, v84, v30
	s_delay_alu instid0(VALU_DEP_1)
	v_add_co_ci_u32_e64 v85, s4, v85, v31, s4
	flat_load_u16 v82, v[84:85]
	s_waitcnt vmcnt(0) lgkmcnt(0)
	v_mul_f16_e32 v82, v34, v82
	s_branch .LBB285_21
.LBB285_34:
	s_clause 0x2
	s_load_b64 s[4:5], s[0:1], 0x78
	s_load_b32 s15, s[0:1], 0x58
	s_load_b32 s9, s[0:1], 0x70
	v_add_nc_u32_e32 v67, s14, v33
	v_add_nc_u32_e32 v8, 0x800, v38
	ds_load_2addr_b64 v[0:3], v37 offset0:192 offset1:224
	ds_load_2addr_b64 v[20:23], v37 offset0:128 offset1:160
	v_add_nc_u32_e32 v24, s13, v32
	ds_load_2addr_b64 v[4:7], v8 offset0:112 offset1:120
	ds_load_2addr_b64 v[16:19], v8 offset0:64 offset1:72
	;; [unrolled: 1-line block ×4, first 2 shown]
	v_cmp_gt_i32_e64 s8, s17, v67
	v_cndmask_b32_e64 v60, 0, 1, s2
	s_waitcnt lgkmcnt(0)
	s_mul_i32 s1, s12, s5
	v_mad_i64_i32 v[25:26], null, v67, s15, 0
	v_mad_i64_i32 v[27:28], null, v67, s9, 0
	s_mul_hi_u32 s3, s12, s4
	s_mul_i32 s0, s12, s4
	s_add_i32 s1, s3, s1
	s_delay_alu instid0(SALU_CYCLE_1) | instskip(NEXT) | instid1(VALU_DEP_2)
	s_lshl_b64 s[4:5], s[0:1], 1
	v_lshlrev_b64 v[25:26], 1, v[25:26]
	s_delay_alu instid0(VALU_DEP_2) | instskip(SKIP_3) | instid1(VALU_DEP_3)
	v_lshlrev_b64 v[27:28], 1, v[27:28]
	s_add_u32 s12, s6, s4
	v_cmp_gt_i32_e64 s0, s16, v24
	s_addc_u32 s13, s7, s5
	v_add_co_u32 v77, vcc_lo, s10, v25
	v_add_co_ci_u32_e32 v78, vcc_lo, s11, v26, vcc_lo
	v_add_co_u32 v75, vcc_lo, s12, v27
	v_add_co_ci_u32_e32 v76, vcc_lo, s13, v28, vcc_lo
	v_ashrrev_i32_e32 v25, 31, v24
	s_and_b32 s3, s0, s8
	s_delay_alu instid0(SALU_CYCLE_1)
	s_and_saveexec_b32 s1, s3
	s_cbranch_execz .LBB285_39
; %bb.35:
	s_delay_alu instid0(VALU_DEP_1)
	v_lshlrev_b64 v[26:27], 1, v[24:25]
	s_and_not1_b32 vcc_lo, exec_lo, s2
	s_cbranch_vccnz .LBB285_37
; %bb.36:
	s_delay_alu instid0(VALU_DEP_1) | instskip(NEXT) | instid1(VALU_DEP_2)
	v_add_co_u32 v28, vcc_lo, v77, v26
	v_add_co_ci_u32_e32 v29, vcc_lo, v78, v27, vcc_lo
	flat_load_u16 v28, v[28:29]
	s_waitcnt vmcnt(0) lgkmcnt(0)
	v_mul_f16_e32 v28, v42, v28
	s_branch .LBB285_38
.LBB285_37:
	v_mov_b32_e32 v28, 0
.LBB285_38:
	v_pk_max_f16 v29, v20, v20
	v_pk_max_f16 v30, v16, v16
	;; [unrolled: 1-line block ×4, first 2 shown]
	v_add_co_u32 v26, vcc_lo, v75, v26
	s_delay_alu instid0(VALU_DEP_4) | instskip(SKIP_1) | instid1(VALU_DEP_4)
	v_pk_min_f16 v29, v30, v29
	v_add_co_ci_u32_e32 v27, vcc_lo, v76, v27, vcc_lo
	v_pk_min_f16 v30, v32, v31
	s_delay_alu instid0(VALU_DEP_3) | instskip(NEXT) | instid1(VALU_DEP_1)
	v_pk_add_f16 v29, v74, v29
	v_pk_add_f16 v29, v29, v30
	s_delay_alu instid0(VALU_DEP_1) | instskip(NEXT) | instid1(VALU_DEP_1)
	v_lshrrev_b32_e32 v30, 16, v29
	v_add_f16_e32 v29, v29, v30
	s_delay_alu instid0(VALU_DEP_1)
	v_add_f16_e32 v28, v29, v28
	global_store_b16 v[26:27], v28, off
.LBB285_39:
	s_or_b32 exec_lo, exec_lo, s1
	v_add_nc_u32_e32 v26, 8, v24
	s_delay_alu instid0(VALU_DEP_1) | instskip(SKIP_1) | instid1(VALU_DEP_2)
	v_cmp_gt_i32_e64 s1, s16, v26
	v_ashrrev_i32_e32 v27, 31, v26
	s_and_b32 s3, s1, s8
	s_delay_alu instid0(SALU_CYCLE_1)
	s_and_saveexec_b32 s2, s3
	s_cbranch_execz .LBB285_44
; %bb.40:
	v_cmp_ne_u32_e32 vcc_lo, 1, v60
	v_lshlrev_b64 v[28:29], 1, v[26:27]
	s_cbranch_vccnz .LBB285_42
; %bb.41:
	s_delay_alu instid0(VALU_DEP_1) | instskip(NEXT) | instid1(VALU_DEP_2)
	v_add_co_u32 v30, vcc_lo, v77, v28
	v_add_co_ci_u32_e32 v31, vcc_lo, v78, v29, vcc_lo
	flat_load_u16 v30, v[30:31]
	s_waitcnt vmcnt(0) lgkmcnt(0)
	v_mul_f16_e32 v30, v42, v30
	s_branch .LBB285_43
.LBB285_42:
	v_mov_b32_e32 v30, 0
.LBB285_43:
	v_pk_max_f16 v31, v20, v20
	v_pk_max_f16 v32, v18, v18
	v_pk_max_f16 v33, v21, v21
	v_pk_max_f16 v34, v19, v19
	v_add_co_u32 v28, vcc_lo, v75, v28
	s_delay_alu instid0(VALU_DEP_4) | instskip(SKIP_1) | instid1(VALU_DEP_4)
	v_pk_min_f16 v31, v32, v31
	v_add_co_ci_u32_e32 v29, vcc_lo, v76, v29, vcc_lo
	v_pk_min_f16 v32, v34, v33
	s_delay_alu instid0(VALU_DEP_3) | instskip(NEXT) | instid1(VALU_DEP_1)
	v_pk_add_f16 v31, v73, v31
	v_pk_add_f16 v31, v31, v32
	s_delay_alu instid0(VALU_DEP_1) | instskip(NEXT) | instid1(VALU_DEP_1)
	v_lshrrev_b32_e32 v32, 16, v31
	v_add_f16_e32 v31, v31, v32
	s_delay_alu instid0(VALU_DEP_1)
	v_add_f16_e32 v30, v31, v30
	global_store_b16 v[28:29], v30, off
.LBB285_44:
	s_or_b32 exec_lo, exec_lo, s2
	v_add_nc_u32_e32 v28, 16, v24
	s_delay_alu instid0(VALU_DEP_1) | instskip(SKIP_1) | instid1(VALU_DEP_2)
	v_cmp_gt_i32_e64 s2, s16, v28
	v_ashrrev_i32_e32 v29, 31, v28
	s_and_b32 s4, s2, s8
	s_delay_alu instid0(SALU_CYCLE_1)
	s_and_saveexec_b32 s3, s4
	s_cbranch_execz .LBB285_49
; %bb.45:
	v_cmp_ne_u32_e32 vcc_lo, 1, v60
	v_lshlrev_b64 v[30:31], 1, v[28:29]
	s_cbranch_vccnz .LBB285_47
; %bb.46:
	s_delay_alu instid0(VALU_DEP_1) | instskip(NEXT) | instid1(VALU_DEP_2)
	v_add_co_u32 v32, vcc_lo, v77, v30
	v_add_co_ci_u32_e32 v33, vcc_lo, v78, v31, vcc_lo
	flat_load_u16 v32, v[32:33]
	s_waitcnt vmcnt(0) lgkmcnt(0)
	v_mul_f16_e32 v32, v42, v32
	s_branch .LBB285_48
.LBB285_47:
	v_mov_b32_e32 v32, 0
.LBB285_48:
	v_pk_max_f16 v33, v20, v20
	v_pk_max_f16 v34, v12, v12
	v_pk_max_f16 v35, v21, v21
	v_pk_max_f16 v36, v13, v13
	v_add_co_u32 v30, vcc_lo, v75, v30
	s_delay_alu instid0(VALU_DEP_4) | instskip(SKIP_1) | instid1(VALU_DEP_4)
	v_pk_min_f16 v33, v34, v33
	v_add_co_ci_u32_e32 v31, vcc_lo, v76, v31, vcc_lo
	v_pk_min_f16 v34, v36, v35
	s_delay_alu instid0(VALU_DEP_3) | instskip(NEXT) | instid1(VALU_DEP_1)
	v_pk_add_f16 v33, v72, v33
	v_pk_add_f16 v33, v33, v34
	s_delay_alu instid0(VALU_DEP_1) | instskip(NEXT) | instid1(VALU_DEP_1)
	v_lshrrev_b32_e32 v34, 16, v33
	v_add_f16_e32 v33, v33, v34
	s_delay_alu instid0(VALU_DEP_1)
	v_add_f16_e32 v32, v33, v32
	global_store_b16 v[30:31], v32, off
.LBB285_49:
	;; [unrolled: 43-line block ×6, first 2 shown]
	s_or_b32 exec_lo, exec_lo, s7
	v_add_nc_u32_e32 v38, 56, v24
	s_delay_alu instid0(VALU_DEP_1) | instskip(SKIP_1) | instid1(VALU_DEP_2)
	v_cmp_gt_i32_e64 s7, s16, v38
	v_ashrrev_i32_e32 v39, 31, v38
	s_and_b32 s14, s7, s8
	s_delay_alu instid0(SALU_CYCLE_1)
	s_and_saveexec_b32 s8, s14
	s_cbranch_execz .LBB285_74
; %bb.70:
	v_cmp_ne_u32_e32 vcc_lo, 1, v60
	v_lshlrev_b64 v[40:41], 1, v[38:39]
	s_cbranch_vccnz .LBB285_72
; %bb.71:
	s_delay_alu instid0(VALU_DEP_1) | instskip(NEXT) | instid1(VALU_DEP_2)
	v_add_co_u32 v70, vcc_lo, v77, v40
	v_add_co_ci_u32_e32 v71, vcc_lo, v78, v41, vcc_lo
	flat_load_u16 v70, v[70:71]
	s_waitcnt vmcnt(0) lgkmcnt(0)
	v_mul_f16_e32 v70, v42, v70
	s_branch .LBB285_73
.LBB285_72:
	v_mov_b32_e32 v70, 0
.LBB285_73:
	v_pk_max_f16 v20, v20, v20
	v_pk_max_f16 v71, v6, v6
	;; [unrolled: 1-line block ×4, first 2 shown]
	s_delay_alu instid0(VALU_DEP_3) | instskip(NEXT) | instid1(VALU_DEP_2)
	v_pk_min_f16 v20, v71, v20
	v_pk_min_f16 v21, v72, v21
	s_delay_alu instid0(VALU_DEP_2) | instskip(NEXT) | instid1(VALU_DEP_1)
	v_pk_add_f16 v20, v69, v20
	v_pk_add_f16 v20, v20, v21
	s_delay_alu instid0(VALU_DEP_1) | instskip(NEXT) | instid1(VALU_DEP_1)
	v_lshrrev_b32_e32 v21, 16, v20
	v_add_f16_e32 v20, v20, v21
	s_delay_alu instid0(VALU_DEP_1)
	v_add_f16_e32 v69, v20, v70
	v_add_co_u32 v20, vcc_lo, v75, v40
	v_add_co_ci_u32_e32 v21, vcc_lo, v76, v41, vcc_lo
	global_store_b16 v[20:21], v69, off
.LBB285_74:
	s_or_b32 exec_lo, exec_lo, s8
	v_add_nc_u32_e32 v69, 32, v67
	s_delay_alu instid0(VALU_DEP_1) | instskip(SKIP_2) | instid1(VALU_DEP_3)
	v_mad_i64_i32 v[20:21], null, v69, s15, 0
	v_mad_i64_i32 v[40:41], null, v69, s9, 0
	v_cmp_gt_i32_e64 s8, s17, v69
	v_lshlrev_b64 v[20:21], 1, v[20:21]
	s_delay_alu instid0(VALU_DEP_2) | instskip(NEXT) | instid1(VALU_DEP_3)
	s_and_b32 s16, s0, s8
	v_lshlrev_b64 v[40:41], 1, v[40:41]
	s_delay_alu instid0(VALU_DEP_2) | instskip(NEXT) | instid1(VALU_DEP_3)
	v_add_co_u32 v69, vcc_lo, s10, v20
	v_add_co_ci_u32_e32 v70, vcc_lo, s11, v21, vcc_lo
	s_delay_alu instid0(VALU_DEP_3) | instskip(NEXT) | instid1(VALU_DEP_4)
	v_add_co_u32 v40, vcc_lo, s12, v40
	v_add_co_ci_u32_e32 v41, vcc_lo, s13, v41, vcc_lo
	s_and_saveexec_b32 s14, s16
	s_cbranch_execnz .LBB285_82
; %bb.75:
	s_or_b32 exec_lo, exec_lo, s14
	s_and_b32 s16, s1, s8
	s_delay_alu instid0(SALU_CYCLE_1)
	s_and_saveexec_b32 s14, s16
	s_cbranch_execnz .LBB285_86
.LBB285_76:
	s_or_b32 exec_lo, exec_lo, s14
	s_and_b32 s16, s2, s8
	s_delay_alu instid0(SALU_CYCLE_1)
	s_and_saveexec_b32 s14, s16
	s_cbranch_execnz .LBB285_90
.LBB285_77:
	s_or_b32 exec_lo, exec_lo, s14
	s_and_b32 s16, s3, s8
	s_delay_alu instid0(SALU_CYCLE_1)
	s_and_saveexec_b32 s14, s16
	s_cbranch_execnz .LBB285_94
.LBB285_78:
	s_or_b32 exec_lo, exec_lo, s14
	s_and_b32 s16, s4, s8
	s_delay_alu instid0(SALU_CYCLE_1)
	s_and_saveexec_b32 s14, s16
	s_cbranch_execnz .LBB285_98
.LBB285_79:
	s_or_b32 exec_lo, exec_lo, s14
	s_and_b32 s16, s5, s8
	s_delay_alu instid0(SALU_CYCLE_1)
	s_and_saveexec_b32 s14, s16
	s_cbranch_execnz .LBB285_102
.LBB285_80:
	s_or_b32 exec_lo, exec_lo, s14
	s_and_b32 s16, s6, s8
	s_delay_alu instid0(SALU_CYCLE_1)
	s_and_saveexec_b32 s14, s16
	s_cbranch_execnz .LBB285_106
.LBB285_81:
	s_or_b32 exec_lo, exec_lo, s14
	s_and_b32 s14, s7, s8
	s_delay_alu instid0(SALU_CYCLE_1)
	s_and_saveexec_b32 s8, s14
	s_cbranch_execnz .LBB285_110
	s_branch .LBB285_114
.LBB285_82:
	v_cmp_ne_u32_e32 vcc_lo, 1, v60
	v_lshlrev_b64 v[20:21], 1, v[24:25]
	s_cbranch_vccnz .LBB285_84
; %bb.83:
	s_delay_alu instid0(VALU_DEP_1) | instskip(NEXT) | instid1(VALU_DEP_2)
	v_add_co_u32 v71, vcc_lo, v69, v20
	v_add_co_ci_u32_e32 v72, vcc_lo, v70, v21, vcc_lo
	flat_load_u16 v71, v[71:72]
	s_waitcnt vmcnt(0) lgkmcnt(0)
	v_mul_f16_e32 v71, v42, v71
	s_branch .LBB285_85
.LBB285_84:
	v_mov_b32_e32 v71, 0
.LBB285_85:
	v_pk_max_f16 v72, v22, v22
	v_pk_max_f16 v73, v16, v16
	;; [unrolled: 1-line block ×4, first 2 shown]
	v_add_co_u32 v20, vcc_lo, v40, v20
	s_delay_alu instid0(VALU_DEP_4) | instskip(SKIP_1) | instid1(VALU_DEP_4)
	v_pk_min_f16 v72, v73, v72
	v_add_co_ci_u32_e32 v21, vcc_lo, v41, v21, vcc_lo
	v_pk_min_f16 v73, v75, v74
	s_delay_alu instid0(VALU_DEP_3) | instskip(NEXT) | instid1(VALU_DEP_1)
	v_pk_add_f16 v68, v68, v72
	v_pk_add_f16 v68, v68, v73
	s_delay_alu instid0(VALU_DEP_1) | instskip(NEXT) | instid1(VALU_DEP_1)
	v_lshrrev_b32_e32 v72, 16, v68
	v_add_f16_e32 v68, v68, v72
	s_delay_alu instid0(VALU_DEP_1) | instskip(SKIP_3) | instid1(SALU_CYCLE_1)
	v_add_f16_e32 v68, v68, v71
	global_store_b16 v[20:21], v68, off
	s_or_b32 exec_lo, exec_lo, s14
	s_and_b32 s16, s1, s8
	s_and_saveexec_b32 s14, s16
	s_cbranch_execz .LBB285_76
.LBB285_86:
	v_cmp_ne_u32_e32 vcc_lo, 1, v60
	v_lshlrev_b64 v[20:21], 1, v[26:27]
	s_cbranch_vccnz .LBB285_88
; %bb.87:
	s_delay_alu instid0(VALU_DEP_1) | instskip(NEXT) | instid1(VALU_DEP_2)
	v_add_co_u32 v71, vcc_lo, v69, v20
	v_add_co_ci_u32_e32 v72, vcc_lo, v70, v21, vcc_lo
	flat_load_u16 v68, v[71:72]
	s_waitcnt vmcnt(0) lgkmcnt(0)
	v_mul_f16_e32 v68, v42, v68
	s_branch .LBB285_89
.LBB285_88:
	v_mov_b32_e32 v68, 0
.LBB285_89:
	v_pk_max_f16 v71, v22, v22
	v_pk_max_f16 v72, v18, v18
	;; [unrolled: 1-line block ×4, first 2 shown]
	v_add_co_u32 v20, vcc_lo, v40, v20
	s_delay_alu instid0(VALU_DEP_4) | instskip(SKIP_1) | instid1(VALU_DEP_4)
	v_pk_min_f16 v71, v72, v71
	v_add_co_ci_u32_e32 v21, vcc_lo, v41, v21, vcc_lo
	v_pk_min_f16 v72, v74, v73
	s_delay_alu instid0(VALU_DEP_3) | instskip(NEXT) | instid1(VALU_DEP_1)
	v_pk_add_f16 v66, v66, v71
	v_pk_add_f16 v66, v66, v72
	s_delay_alu instid0(VALU_DEP_1) | instskip(NEXT) | instid1(VALU_DEP_1)
	v_lshrrev_b32_e32 v71, 16, v66
	v_add_f16_e32 v66, v66, v71
	s_delay_alu instid0(VALU_DEP_1) | instskip(SKIP_3) | instid1(SALU_CYCLE_1)
	v_add_f16_e32 v66, v66, v68
	global_store_b16 v[20:21], v66, off
	s_or_b32 exec_lo, exec_lo, s14
	s_and_b32 s16, s2, s8
	s_and_saveexec_b32 s14, s16
	s_cbranch_execz .LBB285_77
.LBB285_90:
	v_cmp_ne_u32_e32 vcc_lo, 1, v60
	v_lshlrev_b64 v[20:21], 1, v[28:29]
	s_cbranch_vccnz .LBB285_92
; %bb.91:
	s_delay_alu instid0(VALU_DEP_1) | instskip(NEXT) | instid1(VALU_DEP_2)
	v_add_co_u32 v71, vcc_lo, v69, v20
	v_add_co_ci_u32_e32 v72, vcc_lo, v70, v21, vcc_lo
	flat_load_u16 v66, v[71:72]
	s_waitcnt vmcnt(0) lgkmcnt(0)
	v_mul_f16_e32 v66, v42, v66
	s_branch .LBB285_93
.LBB285_92:
	v_mov_b32_e32 v66, 0
.LBB285_93:
	v_pk_max_f16 v68, v22, v22
	v_pk_max_f16 v71, v12, v12
	;; [unrolled: 1-line block ×4, first 2 shown]
	v_add_co_u32 v20, vcc_lo, v40, v20
	s_delay_alu instid0(VALU_DEP_4) | instskip(SKIP_1) | instid1(VALU_DEP_4)
	v_pk_min_f16 v68, v71, v68
	v_add_co_ci_u32_e32 v21, vcc_lo, v41, v21, vcc_lo
	v_pk_min_f16 v71, v73, v72
	s_delay_alu instid0(VALU_DEP_3) | instskip(NEXT) | instid1(VALU_DEP_1)
	v_pk_add_f16 v65, v65, v68
	v_pk_add_f16 v65, v65, v71
	s_delay_alu instid0(VALU_DEP_1) | instskip(NEXT) | instid1(VALU_DEP_1)
	v_lshrrev_b32_e32 v68, 16, v65
	v_add_f16_e32 v65, v65, v68
	s_delay_alu instid0(VALU_DEP_1) | instskip(SKIP_3) | instid1(SALU_CYCLE_1)
	v_add_f16_e32 v65, v65, v66
	global_store_b16 v[20:21], v65, off
	s_or_b32 exec_lo, exec_lo, s14
	s_and_b32 s16, s3, s8
	s_and_saveexec_b32 s14, s16
	s_cbranch_execz .LBB285_78
.LBB285_94:
	v_cmp_ne_u32_e32 vcc_lo, 1, v60
	v_lshlrev_b64 v[20:21], 1, v[30:31]
	s_cbranch_vccnz .LBB285_96
; %bb.95:
	s_delay_alu instid0(VALU_DEP_1) | instskip(NEXT) | instid1(VALU_DEP_2)
	v_add_co_u32 v65, vcc_lo, v69, v20
	v_add_co_ci_u32_e32 v66, vcc_lo, v70, v21, vcc_lo
	flat_load_u16 v65, v[65:66]
	s_waitcnt vmcnt(0) lgkmcnt(0)
	v_mul_f16_e32 v65, v42, v65
	s_branch .LBB285_97
.LBB285_96:
	v_mov_b32_e32 v65, 0
.LBB285_97:
	v_pk_max_f16 v66, v22, v22
	v_pk_max_f16 v68, v14, v14
	;; [unrolled: 1-line block ×4, first 2 shown]
	v_add_co_u32 v20, vcc_lo, v40, v20
	s_delay_alu instid0(VALU_DEP_4) | instskip(SKIP_1) | instid1(VALU_DEP_4)
	v_pk_min_f16 v66, v68, v66
	v_add_co_ci_u32_e32 v21, vcc_lo, v41, v21, vcc_lo
	v_pk_min_f16 v68, v72, v71
	s_delay_alu instid0(VALU_DEP_3) | instskip(NEXT) | instid1(VALU_DEP_1)
	v_pk_add_f16 v64, v64, v66
	v_pk_add_f16 v64, v64, v68
	s_delay_alu instid0(VALU_DEP_1) | instskip(NEXT) | instid1(VALU_DEP_1)
	v_lshrrev_b32_e32 v66, 16, v64
	v_add_f16_e32 v64, v64, v66
	s_delay_alu instid0(VALU_DEP_1) | instskip(SKIP_3) | instid1(SALU_CYCLE_1)
	v_add_f16_e32 v64, v64, v65
	global_store_b16 v[20:21], v64, off
	s_or_b32 exec_lo, exec_lo, s14
	s_and_b32 s16, s4, s8
	s_and_saveexec_b32 s14, s16
	s_cbranch_execz .LBB285_79
.LBB285_98:
	v_cmp_ne_u32_e32 vcc_lo, 1, v60
	v_lshlrev_b64 v[20:21], 1, v[32:33]
	s_cbranch_vccnz .LBB285_100
; %bb.99:
	s_delay_alu instid0(VALU_DEP_1) | instskip(NEXT) | instid1(VALU_DEP_2)
	v_add_co_u32 v64, vcc_lo, v69, v20
	v_add_co_ci_u32_e32 v65, vcc_lo, v70, v21, vcc_lo
	flat_load_u16 v64, v[64:65]
	s_waitcnt vmcnt(0) lgkmcnt(0)
	v_mul_f16_e32 v64, v42, v64
	s_branch .LBB285_101
.LBB285_100:
	v_mov_b32_e32 v64, 0
.LBB285_101:
	v_pk_max_f16 v65, v22, v22
	v_pk_max_f16 v66, v8, v8
	;; [unrolled: 1-line block ×4, first 2 shown]
	v_add_co_u32 v20, vcc_lo, v40, v20
	s_delay_alu instid0(VALU_DEP_4) | instskip(SKIP_1) | instid1(VALU_DEP_4)
	v_pk_min_f16 v65, v66, v65
	v_add_co_ci_u32_e32 v21, vcc_lo, v41, v21, vcc_lo
	v_pk_min_f16 v66, v71, v68
	s_delay_alu instid0(VALU_DEP_3) | instskip(NEXT) | instid1(VALU_DEP_1)
	v_pk_add_f16 v63, v63, v65
	v_pk_add_f16 v63, v63, v66
	s_delay_alu instid0(VALU_DEP_1) | instskip(NEXT) | instid1(VALU_DEP_1)
	v_lshrrev_b32_e32 v65, 16, v63
	v_add_f16_e32 v63, v63, v65
	s_delay_alu instid0(VALU_DEP_1) | instskip(SKIP_3) | instid1(SALU_CYCLE_1)
	v_add_f16_e32 v63, v63, v64
	global_store_b16 v[20:21], v63, off
	s_or_b32 exec_lo, exec_lo, s14
	s_and_b32 s16, s5, s8
	s_and_saveexec_b32 s14, s16
	s_cbranch_execz .LBB285_80
.LBB285_102:
	v_cmp_ne_u32_e32 vcc_lo, 1, v60
	v_lshlrev_b64 v[20:21], 1, v[34:35]
	s_cbranch_vccnz .LBB285_104
; %bb.103:
	s_delay_alu instid0(VALU_DEP_1) | instskip(NEXT) | instid1(VALU_DEP_2)
	v_add_co_u32 v63, vcc_lo, v69, v20
	v_add_co_ci_u32_e32 v64, vcc_lo, v70, v21, vcc_lo
	flat_load_u16 v63, v[63:64]
	s_waitcnt vmcnt(0) lgkmcnt(0)
	v_mul_f16_e32 v63, v42, v63
	s_branch .LBB285_105
.LBB285_104:
	v_mov_b32_e32 v63, 0
.LBB285_105:
	v_pk_max_f16 v64, v22, v22
	v_pk_max_f16 v65, v10, v10
	;; [unrolled: 1-line block ×4, first 2 shown]
	v_add_co_u32 v20, vcc_lo, v40, v20
	s_delay_alu instid0(VALU_DEP_4) | instskip(SKIP_1) | instid1(VALU_DEP_4)
	v_pk_min_f16 v64, v65, v64
	v_add_co_ci_u32_e32 v21, vcc_lo, v41, v21, vcc_lo
	v_pk_min_f16 v65, v68, v66
	s_delay_alu instid0(VALU_DEP_3) | instskip(NEXT) | instid1(VALU_DEP_1)
	v_pk_add_f16 v62, v62, v64
	v_pk_add_f16 v62, v62, v65
	s_delay_alu instid0(VALU_DEP_1) | instskip(NEXT) | instid1(VALU_DEP_1)
	v_lshrrev_b32_e32 v64, 16, v62
	v_add_f16_e32 v62, v62, v64
	s_delay_alu instid0(VALU_DEP_1) | instskip(SKIP_3) | instid1(SALU_CYCLE_1)
	v_add_f16_e32 v62, v62, v63
	global_store_b16 v[20:21], v62, off
	s_or_b32 exec_lo, exec_lo, s14
	s_and_b32 s16, s6, s8
	s_and_saveexec_b32 s14, s16
	s_cbranch_execz .LBB285_81
.LBB285_106:
	v_cmp_ne_u32_e32 vcc_lo, 1, v60
	v_lshlrev_b64 v[20:21], 1, v[36:37]
	s_cbranch_vccnz .LBB285_108
; %bb.107:
	s_delay_alu instid0(VALU_DEP_1) | instskip(NEXT) | instid1(VALU_DEP_2)
	v_add_co_u32 v62, vcc_lo, v69, v20
	v_add_co_ci_u32_e32 v63, vcc_lo, v70, v21, vcc_lo
	flat_load_u16 v62, v[62:63]
	s_waitcnt vmcnt(0) lgkmcnt(0)
	v_mul_f16_e32 v62, v42, v62
	s_branch .LBB285_109
.LBB285_108:
	v_mov_b32_e32 v62, 0
.LBB285_109:
	v_pk_max_f16 v63, v22, v22
	v_pk_max_f16 v64, v4, v4
	v_pk_max_f16 v65, v23, v23
	v_pk_max_f16 v66, v5, v5
	v_add_co_u32 v20, vcc_lo, v40, v20
	s_delay_alu instid0(VALU_DEP_4) | instskip(SKIP_1) | instid1(VALU_DEP_4)
	v_pk_min_f16 v63, v64, v63
	v_add_co_ci_u32_e32 v21, vcc_lo, v41, v21, vcc_lo
	v_pk_min_f16 v64, v66, v65
	s_delay_alu instid0(VALU_DEP_3) | instskip(NEXT) | instid1(VALU_DEP_1)
	v_pk_add_f16 v61, v61, v63
	v_pk_add_f16 v61, v61, v64
	s_delay_alu instid0(VALU_DEP_1) | instskip(NEXT) | instid1(VALU_DEP_1)
	v_lshrrev_b32_e32 v63, 16, v61
	v_add_f16_e32 v61, v61, v63
	s_delay_alu instid0(VALU_DEP_1) | instskip(SKIP_3) | instid1(SALU_CYCLE_1)
	v_add_f16_e32 v61, v61, v62
	global_store_b16 v[20:21], v61, off
	s_or_b32 exec_lo, exec_lo, s14
	s_and_b32 s14, s7, s8
	s_and_saveexec_b32 s8, s14
	s_cbranch_execz .LBB285_114
.LBB285_110:
	v_cmp_ne_u32_e32 vcc_lo, 1, v60
	v_lshlrev_b64 v[20:21], 1, v[38:39]
	s_cbranch_vccnz .LBB285_112
; %bb.111:
	s_delay_alu instid0(VALU_DEP_1) | instskip(NEXT) | instid1(VALU_DEP_2)
	v_add_co_u32 v61, vcc_lo, v69, v20
	v_add_co_ci_u32_e32 v62, vcc_lo, v70, v21, vcc_lo
	flat_load_u16 v61, v[61:62]
	s_waitcnt vmcnt(0) lgkmcnt(0)
	v_mul_f16_e32 v61, v42, v61
	s_branch .LBB285_113
.LBB285_112:
	v_mov_b32_e32 v61, 0
.LBB285_113:
	v_pk_max_f16 v22, v22, v22
	v_pk_max_f16 v62, v6, v6
	;; [unrolled: 1-line block ×4, first 2 shown]
	v_add_co_u32 v20, vcc_lo, v40, v20
	s_delay_alu instid0(VALU_DEP_4) | instskip(SKIP_1) | instid1(VALU_DEP_4)
	v_pk_min_f16 v22, v62, v22
	v_add_co_ci_u32_e32 v21, vcc_lo, v41, v21, vcc_lo
	v_pk_min_f16 v23, v63, v23
	s_delay_alu instid0(VALU_DEP_3) | instskip(NEXT) | instid1(VALU_DEP_1)
	v_pk_add_f16 v22, v59, v22
	v_pk_add_f16 v22, v22, v23
	s_delay_alu instid0(VALU_DEP_1) | instskip(NEXT) | instid1(VALU_DEP_1)
	v_lshrrev_b32_e32 v23, 16, v22
	v_add_f16_e32 v22, v22, v23
	s_delay_alu instid0(VALU_DEP_1)
	v_add_f16_e32 v22, v22, v61
	global_store_b16 v[20:21], v22, off
.LBB285_114:
	s_or_b32 exec_lo, exec_lo, s8
	v_add_nc_u32_e32 v40, 64, v67
	s_delay_alu instid0(VALU_DEP_1) | instskip(SKIP_2) | instid1(VALU_DEP_3)
	v_mad_i64_i32 v[20:21], null, v40, s15, 0
	v_mad_i64_i32 v[22:23], null, v40, s9, 0
	v_cmp_gt_i32_e64 s8, s17, v40
	v_lshlrev_b64 v[20:21], 1, v[20:21]
	s_delay_alu instid0(VALU_DEP_2) | instskip(NEXT) | instid1(VALU_DEP_3)
	s_and_b32 s16, s0, s8
	v_lshlrev_b64 v[22:23], 1, v[22:23]
	s_delay_alu instid0(VALU_DEP_2) | instskip(NEXT) | instid1(VALU_DEP_3)
	v_add_co_u32 v40, vcc_lo, s10, v20
	v_add_co_ci_u32_e32 v41, vcc_lo, s11, v21, vcc_lo
	s_delay_alu instid0(VALU_DEP_3) | instskip(NEXT) | instid1(VALU_DEP_4)
	v_add_co_u32 v22, vcc_lo, s12, v22
	v_add_co_ci_u32_e32 v23, vcc_lo, s13, v23, vcc_lo
	s_and_saveexec_b32 s14, s16
	s_cbranch_execnz .LBB285_122
; %bb.115:
	s_or_b32 exec_lo, exec_lo, s14
	s_and_b32 s16, s1, s8
	s_delay_alu instid0(SALU_CYCLE_1)
	s_and_saveexec_b32 s14, s16
	s_cbranch_execnz .LBB285_126
.LBB285_116:
	s_or_b32 exec_lo, exec_lo, s14
	s_and_b32 s16, s2, s8
	s_delay_alu instid0(SALU_CYCLE_1)
	s_and_saveexec_b32 s14, s16
	s_cbranch_execnz .LBB285_130
.LBB285_117:
	s_or_b32 exec_lo, exec_lo, s14
	s_and_b32 s16, s3, s8
	s_delay_alu instid0(SALU_CYCLE_1)
	s_and_saveexec_b32 s14, s16
	s_cbranch_execnz .LBB285_134
.LBB285_118:
	s_or_b32 exec_lo, exec_lo, s14
	s_and_b32 s16, s4, s8
	s_delay_alu instid0(SALU_CYCLE_1)
	s_and_saveexec_b32 s14, s16
	s_cbranch_execnz .LBB285_138
.LBB285_119:
	s_or_b32 exec_lo, exec_lo, s14
	s_and_b32 s16, s5, s8
	s_delay_alu instid0(SALU_CYCLE_1)
	s_and_saveexec_b32 s14, s16
	s_cbranch_execnz .LBB285_142
.LBB285_120:
	s_or_b32 exec_lo, exec_lo, s14
	s_and_b32 s16, s6, s8
	s_delay_alu instid0(SALU_CYCLE_1)
	s_and_saveexec_b32 s14, s16
	s_cbranch_execnz .LBB285_146
.LBB285_121:
	s_or_b32 exec_lo, exec_lo, s14
	s_and_b32 s14, s7, s8
	s_delay_alu instid0(SALU_CYCLE_1)
	s_and_saveexec_b32 s8, s14
	s_cbranch_execnz .LBB285_150
	s_branch .LBB285_154
.LBB285_122:
	v_cmp_ne_u32_e32 vcc_lo, 1, v60
	v_lshlrev_b64 v[20:21], 1, v[24:25]
	s_cbranch_vccnz .LBB285_124
; %bb.123:
	s_delay_alu instid0(VALU_DEP_1) | instskip(NEXT) | instid1(VALU_DEP_2)
	v_add_co_u32 v61, vcc_lo, v40, v20
	v_add_co_ci_u32_e32 v62, vcc_lo, v41, v21, vcc_lo
	flat_load_u16 v59, v[61:62]
	s_waitcnt vmcnt(0) lgkmcnt(0)
	v_mul_f16_e32 v59, v42, v59
	s_branch .LBB285_125
.LBB285_124:
	v_mov_b32_e32 v59, 0
.LBB285_125:
	v_pk_max_f16 v61, v0, v0
	v_pk_max_f16 v62, v16, v16
	;; [unrolled: 1-line block ×4, first 2 shown]
	v_add_co_u32 v20, vcc_lo, v22, v20
	s_delay_alu instid0(VALU_DEP_4) | instskip(SKIP_1) | instid1(VALU_DEP_4)
	v_pk_min_f16 v61, v62, v61
	v_add_co_ci_u32_e32 v21, vcc_lo, v23, v21, vcc_lo
	v_pk_min_f16 v62, v64, v63
	s_delay_alu instid0(VALU_DEP_3) | instskip(NEXT) | instid1(VALU_DEP_1)
	v_pk_add_f16 v58, v58, v61
	v_pk_add_f16 v58, v58, v62
	s_delay_alu instid0(VALU_DEP_1) | instskip(NEXT) | instid1(VALU_DEP_1)
	v_lshrrev_b32_e32 v61, 16, v58
	v_add_f16_e32 v58, v58, v61
	s_delay_alu instid0(VALU_DEP_1) | instskip(SKIP_3) | instid1(SALU_CYCLE_1)
	v_add_f16_e32 v58, v58, v59
	global_store_b16 v[20:21], v58, off
	s_or_b32 exec_lo, exec_lo, s14
	s_and_b32 s16, s1, s8
	s_and_saveexec_b32 s14, s16
	s_cbranch_execz .LBB285_116
.LBB285_126:
	v_cmp_ne_u32_e32 vcc_lo, 1, v60
	v_lshlrev_b64 v[20:21], 1, v[26:27]
	s_cbranch_vccnz .LBB285_128
; %bb.127:
	s_delay_alu instid0(VALU_DEP_1) | instskip(NEXT) | instid1(VALU_DEP_2)
	v_add_co_u32 v58, vcc_lo, v40, v20
	v_add_co_ci_u32_e32 v59, vcc_lo, v41, v21, vcc_lo
	flat_load_u16 v58, v[58:59]
	s_waitcnt vmcnt(0) lgkmcnt(0)
	v_mul_f16_e32 v58, v42, v58
	s_branch .LBB285_129
.LBB285_128:
	v_mov_b32_e32 v58, 0
.LBB285_129:
	v_pk_max_f16 v59, v0, v0
	v_pk_max_f16 v61, v18, v18
	;; [unrolled: 1-line block ×4, first 2 shown]
	v_add_co_u32 v20, vcc_lo, v22, v20
	s_delay_alu instid0(VALU_DEP_4) | instskip(SKIP_1) | instid1(VALU_DEP_4)
	v_pk_min_f16 v59, v61, v59
	v_add_co_ci_u32_e32 v21, vcc_lo, v23, v21, vcc_lo
	v_pk_min_f16 v61, v63, v62
	s_delay_alu instid0(VALU_DEP_3) | instskip(NEXT) | instid1(VALU_DEP_1)
	v_pk_add_f16 v57, v57, v59
	v_pk_add_f16 v57, v57, v61
	s_delay_alu instid0(VALU_DEP_1) | instskip(NEXT) | instid1(VALU_DEP_1)
	v_lshrrev_b32_e32 v59, 16, v57
	v_add_f16_e32 v57, v57, v59
	s_delay_alu instid0(VALU_DEP_1) | instskip(SKIP_3) | instid1(SALU_CYCLE_1)
	v_add_f16_e32 v57, v57, v58
	global_store_b16 v[20:21], v57, off
	s_or_b32 exec_lo, exec_lo, s14
	s_and_b32 s16, s2, s8
	s_and_saveexec_b32 s14, s16
	s_cbranch_execz .LBB285_117
.LBB285_130:
	v_cmp_ne_u32_e32 vcc_lo, 1, v60
	v_lshlrev_b64 v[20:21], 1, v[28:29]
	s_cbranch_vccnz .LBB285_132
; %bb.131:
	s_delay_alu instid0(VALU_DEP_1) | instskip(NEXT) | instid1(VALU_DEP_2)
	v_add_co_u32 v57, vcc_lo, v40, v20
	v_add_co_ci_u32_e32 v58, vcc_lo, v41, v21, vcc_lo
	flat_load_u16 v57, v[57:58]
	s_waitcnt vmcnt(0) lgkmcnt(0)
	v_mul_f16_e32 v57, v42, v57
	s_branch .LBB285_133
.LBB285_132:
	v_mov_b32_e32 v57, 0
.LBB285_133:
	v_pk_max_f16 v58, v0, v0
	v_pk_max_f16 v59, v12, v12
	;; [unrolled: 1-line block ×4, first 2 shown]
	v_add_co_u32 v20, vcc_lo, v22, v20
	s_delay_alu instid0(VALU_DEP_4) | instskip(SKIP_1) | instid1(VALU_DEP_4)
	v_pk_min_f16 v58, v59, v58
	v_add_co_ci_u32_e32 v21, vcc_lo, v23, v21, vcc_lo
	v_pk_min_f16 v59, v62, v61
	s_delay_alu instid0(VALU_DEP_3) | instskip(NEXT) | instid1(VALU_DEP_1)
	v_pk_add_f16 v56, v56, v58
	v_pk_add_f16 v56, v56, v59
	s_delay_alu instid0(VALU_DEP_1) | instskip(NEXT) | instid1(VALU_DEP_1)
	v_lshrrev_b32_e32 v58, 16, v56
	v_add_f16_e32 v56, v56, v58
	s_delay_alu instid0(VALU_DEP_1) | instskip(SKIP_3) | instid1(SALU_CYCLE_1)
	v_add_f16_e32 v56, v56, v57
	global_store_b16 v[20:21], v56, off
	s_or_b32 exec_lo, exec_lo, s14
	s_and_b32 s16, s3, s8
	s_and_saveexec_b32 s14, s16
	s_cbranch_execz .LBB285_118
.LBB285_134:
	v_cmp_ne_u32_e32 vcc_lo, 1, v60
	v_lshlrev_b64 v[20:21], 1, v[30:31]
	s_cbranch_vccnz .LBB285_136
; %bb.135:
	s_delay_alu instid0(VALU_DEP_1) | instskip(NEXT) | instid1(VALU_DEP_2)
	v_add_co_u32 v56, vcc_lo, v40, v20
	v_add_co_ci_u32_e32 v57, vcc_lo, v41, v21, vcc_lo
	flat_load_u16 v56, v[56:57]
	s_waitcnt vmcnt(0) lgkmcnt(0)
	v_mul_f16_e32 v56, v42, v56
	s_branch .LBB285_137
.LBB285_136:
	v_mov_b32_e32 v56, 0
.LBB285_137:
	v_pk_max_f16 v57, v0, v0
	v_pk_max_f16 v58, v14, v14
	;; [unrolled: 1-line block ×4, first 2 shown]
	v_add_co_u32 v20, vcc_lo, v22, v20
	s_delay_alu instid0(VALU_DEP_4) | instskip(SKIP_1) | instid1(VALU_DEP_4)
	v_pk_min_f16 v57, v58, v57
	v_add_co_ci_u32_e32 v21, vcc_lo, v23, v21, vcc_lo
	v_pk_min_f16 v58, v61, v59
	s_delay_alu instid0(VALU_DEP_3) | instskip(NEXT) | instid1(VALU_DEP_1)
	v_pk_add_f16 v55, v55, v57
	v_pk_add_f16 v55, v55, v58
	s_delay_alu instid0(VALU_DEP_1) | instskip(NEXT) | instid1(VALU_DEP_1)
	v_lshrrev_b32_e32 v57, 16, v55
	v_add_f16_e32 v55, v55, v57
	s_delay_alu instid0(VALU_DEP_1) | instskip(SKIP_3) | instid1(SALU_CYCLE_1)
	v_add_f16_e32 v55, v55, v56
	global_store_b16 v[20:21], v55, off
	s_or_b32 exec_lo, exec_lo, s14
	s_and_b32 s16, s4, s8
	s_and_saveexec_b32 s14, s16
	s_cbranch_execz .LBB285_119
.LBB285_138:
	v_cmp_ne_u32_e32 vcc_lo, 1, v60
	v_lshlrev_b64 v[20:21], 1, v[32:33]
	s_cbranch_vccnz .LBB285_140
; %bb.139:
	s_delay_alu instid0(VALU_DEP_1) | instskip(NEXT) | instid1(VALU_DEP_2)
	v_add_co_u32 v55, vcc_lo, v40, v20
	v_add_co_ci_u32_e32 v56, vcc_lo, v41, v21, vcc_lo
	flat_load_u16 v55, v[55:56]
	s_waitcnt vmcnt(0) lgkmcnt(0)
	v_mul_f16_e32 v55, v42, v55
	s_branch .LBB285_141
.LBB285_140:
	v_mov_b32_e32 v55, 0
.LBB285_141:
	v_pk_max_f16 v56, v0, v0
	v_pk_max_f16 v57, v8, v8
	;; [unrolled: 1-line block ×4, first 2 shown]
	v_add_co_u32 v20, vcc_lo, v22, v20
	s_delay_alu instid0(VALU_DEP_4) | instskip(SKIP_1) | instid1(VALU_DEP_4)
	v_pk_min_f16 v56, v57, v56
	v_add_co_ci_u32_e32 v21, vcc_lo, v23, v21, vcc_lo
	v_pk_min_f16 v57, v59, v58
	s_delay_alu instid0(VALU_DEP_3) | instskip(NEXT) | instid1(VALU_DEP_1)
	v_pk_add_f16 v54, v54, v56
	v_pk_add_f16 v54, v54, v57
	s_delay_alu instid0(VALU_DEP_1) | instskip(NEXT) | instid1(VALU_DEP_1)
	v_lshrrev_b32_e32 v56, 16, v54
	v_add_f16_e32 v54, v54, v56
	s_delay_alu instid0(VALU_DEP_1) | instskip(SKIP_3) | instid1(SALU_CYCLE_1)
	v_add_f16_e32 v54, v54, v55
	global_store_b16 v[20:21], v54, off
	s_or_b32 exec_lo, exec_lo, s14
	s_and_b32 s16, s5, s8
	s_and_saveexec_b32 s14, s16
	s_cbranch_execz .LBB285_120
.LBB285_142:
	v_cmp_ne_u32_e32 vcc_lo, 1, v60
	v_lshlrev_b64 v[20:21], 1, v[34:35]
	s_cbranch_vccnz .LBB285_144
; %bb.143:
	s_delay_alu instid0(VALU_DEP_1) | instskip(NEXT) | instid1(VALU_DEP_2)
	v_add_co_u32 v54, vcc_lo, v40, v20
	v_add_co_ci_u32_e32 v55, vcc_lo, v41, v21, vcc_lo
	flat_load_u16 v54, v[54:55]
	s_waitcnt vmcnt(0) lgkmcnt(0)
	v_mul_f16_e32 v54, v42, v54
	s_branch .LBB285_145
.LBB285_144:
	v_mov_b32_e32 v54, 0
.LBB285_145:
	v_pk_max_f16 v55, v0, v0
	v_pk_max_f16 v56, v10, v10
	;; [unrolled: 1-line block ×4, first 2 shown]
	v_add_co_u32 v20, vcc_lo, v22, v20
	s_delay_alu instid0(VALU_DEP_4) | instskip(SKIP_1) | instid1(VALU_DEP_4)
	v_pk_min_f16 v55, v56, v55
	v_add_co_ci_u32_e32 v21, vcc_lo, v23, v21, vcc_lo
	v_pk_min_f16 v56, v58, v57
	s_delay_alu instid0(VALU_DEP_3) | instskip(NEXT) | instid1(VALU_DEP_1)
	v_pk_add_f16 v53, v53, v55
	v_pk_add_f16 v53, v53, v56
	s_delay_alu instid0(VALU_DEP_1) | instskip(NEXT) | instid1(VALU_DEP_1)
	v_lshrrev_b32_e32 v55, 16, v53
	v_add_f16_e32 v53, v53, v55
	s_delay_alu instid0(VALU_DEP_1) | instskip(SKIP_3) | instid1(SALU_CYCLE_1)
	v_add_f16_e32 v53, v53, v54
	global_store_b16 v[20:21], v53, off
	s_or_b32 exec_lo, exec_lo, s14
	s_and_b32 s16, s6, s8
	s_and_saveexec_b32 s14, s16
	s_cbranch_execz .LBB285_121
.LBB285_146:
	v_cmp_ne_u32_e32 vcc_lo, 1, v60
	v_lshlrev_b64 v[20:21], 1, v[36:37]
	s_cbranch_vccnz .LBB285_148
; %bb.147:
	s_delay_alu instid0(VALU_DEP_1) | instskip(NEXT) | instid1(VALU_DEP_2)
	v_add_co_u32 v53, vcc_lo, v40, v20
	v_add_co_ci_u32_e32 v54, vcc_lo, v41, v21, vcc_lo
	flat_load_u16 v53, v[53:54]
	s_waitcnt vmcnt(0) lgkmcnt(0)
	v_mul_f16_e32 v53, v42, v53
	s_branch .LBB285_149
.LBB285_148:
	v_mov_b32_e32 v53, 0
.LBB285_149:
	v_pk_max_f16 v54, v0, v0
	v_pk_max_f16 v55, v4, v4
	;; [unrolled: 1-line block ×4, first 2 shown]
	v_add_co_u32 v20, vcc_lo, v22, v20
	s_delay_alu instid0(VALU_DEP_4) | instskip(SKIP_1) | instid1(VALU_DEP_4)
	v_pk_min_f16 v54, v55, v54
	v_add_co_ci_u32_e32 v21, vcc_lo, v23, v21, vcc_lo
	v_pk_min_f16 v55, v57, v56
	s_delay_alu instid0(VALU_DEP_3) | instskip(NEXT) | instid1(VALU_DEP_1)
	v_pk_add_f16 v52, v52, v54
	v_pk_add_f16 v52, v52, v55
	s_delay_alu instid0(VALU_DEP_1) | instskip(NEXT) | instid1(VALU_DEP_1)
	v_lshrrev_b32_e32 v54, 16, v52
	v_add_f16_e32 v52, v52, v54
	s_delay_alu instid0(VALU_DEP_1) | instskip(SKIP_3) | instid1(SALU_CYCLE_1)
	v_add_f16_e32 v52, v52, v53
	global_store_b16 v[20:21], v52, off
	s_or_b32 exec_lo, exec_lo, s14
	s_and_b32 s14, s7, s8
	s_and_saveexec_b32 s8, s14
	s_cbranch_execz .LBB285_154
.LBB285_150:
	v_cmp_ne_u32_e32 vcc_lo, 1, v60
	v_lshlrev_b64 v[20:21], 1, v[38:39]
	s_cbranch_vccnz .LBB285_152
; %bb.151:
	s_delay_alu instid0(VALU_DEP_1) | instskip(NEXT) | instid1(VALU_DEP_2)
	v_add_co_u32 v40, vcc_lo, v40, v20
	v_add_co_ci_u32_e32 v41, vcc_lo, v41, v21, vcc_lo
	flat_load_u16 v40, v[40:41]
	s_waitcnt vmcnt(0) lgkmcnt(0)
	v_mul_f16_e32 v40, v42, v40
	s_branch .LBB285_153
.LBB285_152:
	v_mov_b32_e32 v40, 0
.LBB285_153:
	v_pk_max_f16 v0, v0, v0
	v_pk_max_f16 v41, v6, v6
	;; [unrolled: 1-line block ×4, first 2 shown]
	s_delay_alu instid0(VALU_DEP_3) | instskip(NEXT) | instid1(VALU_DEP_2)
	v_pk_min_f16 v0, v41, v0
	v_pk_min_f16 v1, v52, v1
	s_delay_alu instid0(VALU_DEP_2) | instskip(NEXT) | instid1(VALU_DEP_1)
	v_pk_add_f16 v0, v51, v0
	v_pk_add_f16 v0, v0, v1
	s_delay_alu instid0(VALU_DEP_1) | instskip(NEXT) | instid1(VALU_DEP_1)
	v_lshrrev_b32_e32 v1, 16, v0
	v_add_f16_e32 v0, v0, v1
	s_delay_alu instid0(VALU_DEP_1)
	v_add_f16_e32 v40, v0, v40
	v_add_co_u32 v0, vcc_lo, v22, v20
	v_add_co_ci_u32_e32 v1, vcc_lo, v23, v21, vcc_lo
	global_store_b16 v[0:1], v40, off
.LBB285_154:
	s_or_b32 exec_lo, exec_lo, s8
	v_add_nc_u32_e32 v22, 0x60, v67
	s_delay_alu instid0(VALU_DEP_1) | instskip(SKIP_2) | instid1(VALU_DEP_3)
	v_mad_i64_i32 v[0:1], null, v22, s15, 0
	v_mad_i64_i32 v[20:21], null, v22, s9, 0
	v_cmp_gt_i32_e64 s8, s17, v22
	v_lshlrev_b64 v[0:1], 1, v[0:1]
	s_delay_alu instid0(VALU_DEP_2) | instskip(NEXT) | instid1(VALU_DEP_3)
	s_and_b32 s9, s0, s8
	v_lshlrev_b64 v[20:21], 1, v[20:21]
	s_delay_alu instid0(VALU_DEP_2) | instskip(NEXT) | instid1(VALU_DEP_3)
	v_add_co_u32 v22, vcc_lo, s10, v0
	v_add_co_ci_u32_e32 v23, vcc_lo, s11, v1, vcc_lo
	s_delay_alu instid0(VALU_DEP_3) | instskip(NEXT) | instid1(VALU_DEP_4)
	v_add_co_u32 v20, vcc_lo, s12, v20
	v_add_co_ci_u32_e32 v21, vcc_lo, s13, v21, vcc_lo
	s_and_saveexec_b32 s0, s9
	s_cbranch_execnz .LBB285_163
; %bb.155:
	s_or_b32 exec_lo, exec_lo, s0
	s_and_b32 s1, s1, s8
	s_delay_alu instid0(SALU_CYCLE_1)
	s_and_saveexec_b32 s0, s1
	s_cbranch_execnz .LBB285_167
.LBB285_156:
	s_or_b32 exec_lo, exec_lo, s0
	s_and_b32 s1, s2, s8
	s_delay_alu instid0(SALU_CYCLE_1)
	s_and_saveexec_b32 s0, s1
	s_cbranch_execnz .LBB285_171
.LBB285_157:
	s_or_b32 exec_lo, exec_lo, s0
	s_and_b32 s1, s3, s8
	s_delay_alu instid0(SALU_CYCLE_1)
	s_and_saveexec_b32 s0, s1
	s_cbranch_execnz .LBB285_175
.LBB285_158:
	s_or_b32 exec_lo, exec_lo, s0
	s_and_b32 s1, s4, s8
	s_delay_alu instid0(SALU_CYCLE_1)
	s_and_saveexec_b32 s0, s1
	s_cbranch_execnz .LBB285_179
.LBB285_159:
	s_or_b32 exec_lo, exec_lo, s0
	s_and_b32 s1, s5, s8
	s_delay_alu instid0(SALU_CYCLE_1)
	s_and_saveexec_b32 s0, s1
	s_cbranch_execnz .LBB285_183
.LBB285_160:
	s_or_b32 exec_lo, exec_lo, s0
	s_and_b32 s1, s6, s8
	s_delay_alu instid0(SALU_CYCLE_1)
	s_and_saveexec_b32 s0, s1
	s_cbranch_execnz .LBB285_187
.LBB285_161:
	s_or_b32 exec_lo, exec_lo, s0
	s_and_b32 s0, s7, s8
	s_delay_alu instid0(SALU_CYCLE_1)
	s_and_saveexec_b32 s1, s0
	s_cbranch_execnz .LBB285_191
.LBB285_162:
	s_nop 0
	s_sendmsg sendmsg(MSG_DEALLOC_VGPRS)
	s_endpgm
.LBB285_163:
	v_cmp_ne_u32_e32 vcc_lo, 1, v60
	v_lshlrev_b64 v[0:1], 1, v[24:25]
	s_cbranch_vccnz .LBB285_165
; %bb.164:
	s_delay_alu instid0(VALU_DEP_1) | instskip(NEXT) | instid1(VALU_DEP_2)
	v_add_co_u32 v24, vcc_lo, v22, v0
	v_add_co_ci_u32_e32 v25, vcc_lo, v23, v1, vcc_lo
	flat_load_u16 v24, v[24:25]
	s_waitcnt vmcnt(0) lgkmcnt(0)
	v_mul_f16_e32 v24, v42, v24
	s_branch .LBB285_166
.LBB285_165:
	v_mov_b32_e32 v24, 0
.LBB285_166:
	v_pk_max_f16 v25, v2, v2
	v_pk_max_f16 v16, v16, v16
	;; [unrolled: 1-line block ×4, first 2 shown]
	v_add_co_u32 v0, vcc_lo, v20, v0
	s_delay_alu instid0(VALU_DEP_4) | instskip(SKIP_1) | instid1(VALU_DEP_4)
	v_pk_min_f16 v16, v16, v25
	v_add_co_ci_u32_e32 v1, vcc_lo, v21, v1, vcc_lo
	v_pk_min_f16 v17, v17, v40
	s_delay_alu instid0(VALU_DEP_3) | instskip(NEXT) | instid1(VALU_DEP_1)
	v_pk_add_f16 v16, v50, v16
	v_pk_add_f16 v16, v16, v17
	s_delay_alu instid0(VALU_DEP_1) | instskip(NEXT) | instid1(VALU_DEP_1)
	v_lshrrev_b32_e32 v17, 16, v16
	v_add_f16_e32 v16, v16, v17
	s_delay_alu instid0(VALU_DEP_1) | instskip(SKIP_3) | instid1(SALU_CYCLE_1)
	v_add_f16_e32 v16, v16, v24
	global_store_b16 v[0:1], v16, off
	s_or_b32 exec_lo, exec_lo, s0
	s_and_b32 s1, s1, s8
	s_and_saveexec_b32 s0, s1
	s_cbranch_execz .LBB285_156
.LBB285_167:
	v_cmp_ne_u32_e32 vcc_lo, 1, v60
	v_lshlrev_b64 v[0:1], 1, v[26:27]
	s_cbranch_vccnz .LBB285_169
; %bb.168:
	s_delay_alu instid0(VALU_DEP_1) | instskip(NEXT) | instid1(VALU_DEP_2)
	v_add_co_u32 v16, vcc_lo, v22, v0
	v_add_co_ci_u32_e32 v17, vcc_lo, v23, v1, vcc_lo
	flat_load_u16 v16, v[16:17]
	s_waitcnt vmcnt(0) lgkmcnt(0)
	v_mul_f16_e32 v16, v42, v16
	s_branch .LBB285_170
.LBB285_169:
	v_mov_b32_e32 v16, 0
.LBB285_170:
	v_pk_max_f16 v17, v2, v2
	v_pk_max_f16 v18, v18, v18
	;; [unrolled: 1-line block ×4, first 2 shown]
	v_add_co_u32 v0, vcc_lo, v20, v0
	s_delay_alu instid0(VALU_DEP_4) | instskip(SKIP_1) | instid1(VALU_DEP_4)
	v_pk_min_f16 v17, v18, v17
	v_add_co_ci_u32_e32 v1, vcc_lo, v21, v1, vcc_lo
	v_pk_min_f16 v18, v19, v24
	s_delay_alu instid0(VALU_DEP_3) | instskip(NEXT) | instid1(VALU_DEP_1)
	v_pk_add_f16 v17, v49, v17
	v_pk_add_f16 v17, v17, v18
	s_delay_alu instid0(VALU_DEP_1) | instskip(NEXT) | instid1(VALU_DEP_1)
	v_lshrrev_b32_e32 v18, 16, v17
	v_add_f16_e32 v17, v17, v18
	s_delay_alu instid0(VALU_DEP_1) | instskip(SKIP_3) | instid1(SALU_CYCLE_1)
	v_add_f16_e32 v16, v17, v16
	global_store_b16 v[0:1], v16, off
	s_or_b32 exec_lo, exec_lo, s0
	s_and_b32 s1, s2, s8
	s_and_saveexec_b32 s0, s1
	s_cbranch_execz .LBB285_157
.LBB285_171:
	v_cmp_ne_u32_e32 vcc_lo, 1, v60
	v_lshlrev_b64 v[0:1], 1, v[28:29]
	s_cbranch_vccnz .LBB285_173
; %bb.172:
	s_delay_alu instid0(VALU_DEP_1) | instskip(NEXT) | instid1(VALU_DEP_2)
	v_add_co_u32 v16, vcc_lo, v22, v0
	v_add_co_ci_u32_e32 v17, vcc_lo, v23, v1, vcc_lo
	flat_load_u16 v16, v[16:17]
	s_waitcnt vmcnt(0) lgkmcnt(0)
	v_mul_f16_e32 v16, v42, v16
	s_branch .LBB285_174
.LBB285_173:
	v_mov_b32_e32 v16, 0
.LBB285_174:
	v_pk_max_f16 v17, v2, v2
	v_pk_max_f16 v12, v12, v12
	;; [unrolled: 1-line block ×4, first 2 shown]
	v_add_co_u32 v0, vcc_lo, v20, v0
	s_delay_alu instid0(VALU_DEP_4) | instskip(SKIP_1) | instid1(VALU_DEP_4)
	v_pk_min_f16 v12, v12, v17
	v_add_co_ci_u32_e32 v1, vcc_lo, v21, v1, vcc_lo
	v_pk_min_f16 v13, v13, v18
	s_delay_alu instid0(VALU_DEP_3) | instskip(NEXT) | instid1(VALU_DEP_1)
	v_pk_add_f16 v12, v48, v12
	v_pk_add_f16 v12, v12, v13
	s_delay_alu instid0(VALU_DEP_1) | instskip(NEXT) | instid1(VALU_DEP_1)
	v_lshrrev_b32_e32 v13, 16, v12
	v_add_f16_e32 v12, v12, v13
	s_delay_alu instid0(VALU_DEP_1) | instskip(SKIP_3) | instid1(SALU_CYCLE_1)
	v_add_f16_e32 v12, v12, v16
	global_store_b16 v[0:1], v12, off
	s_or_b32 exec_lo, exec_lo, s0
	s_and_b32 s1, s3, s8
	s_and_saveexec_b32 s0, s1
	s_cbranch_execz .LBB285_158
.LBB285_175:
	v_cmp_ne_u32_e32 vcc_lo, 1, v60
	v_lshlrev_b64 v[0:1], 1, v[30:31]
	s_cbranch_vccnz .LBB285_177
; %bb.176:
	s_delay_alu instid0(VALU_DEP_1) | instskip(NEXT) | instid1(VALU_DEP_2)
	v_add_co_u32 v12, vcc_lo, v22, v0
	v_add_co_ci_u32_e32 v13, vcc_lo, v23, v1, vcc_lo
	flat_load_u16 v12, v[12:13]
	s_waitcnt vmcnt(0) lgkmcnt(0)
	v_mul_f16_e32 v12, v42, v12
	s_branch .LBB285_178
.LBB285_177:
	v_mov_b32_e32 v12, 0
.LBB285_178:
	v_pk_max_f16 v13, v2, v2
	v_pk_max_f16 v14, v14, v14
	;; [unrolled: 1-line block ×4, first 2 shown]
	v_add_co_u32 v0, vcc_lo, v20, v0
	s_delay_alu instid0(VALU_DEP_4) | instskip(SKIP_1) | instid1(VALU_DEP_4)
	v_pk_min_f16 v13, v14, v13
	v_add_co_ci_u32_e32 v1, vcc_lo, v21, v1, vcc_lo
	v_pk_min_f16 v14, v15, v16
	s_delay_alu instid0(VALU_DEP_3) | instskip(NEXT) | instid1(VALU_DEP_1)
	v_pk_add_f16 v13, v47, v13
	v_pk_add_f16 v13, v13, v14
	s_delay_alu instid0(VALU_DEP_1) | instskip(NEXT) | instid1(VALU_DEP_1)
	v_lshrrev_b32_e32 v14, 16, v13
	v_add_f16_e32 v13, v13, v14
	s_delay_alu instid0(VALU_DEP_1) | instskip(SKIP_3) | instid1(SALU_CYCLE_1)
	v_add_f16_e32 v12, v13, v12
	global_store_b16 v[0:1], v12, off
	s_or_b32 exec_lo, exec_lo, s0
	s_and_b32 s1, s4, s8
	s_and_saveexec_b32 s0, s1
	s_cbranch_execz .LBB285_159
.LBB285_179:
	v_cmp_ne_u32_e32 vcc_lo, 1, v60
	v_lshlrev_b64 v[0:1], 1, v[32:33]
	s_cbranch_vccnz .LBB285_181
; %bb.180:
	s_delay_alu instid0(VALU_DEP_1) | instskip(NEXT) | instid1(VALU_DEP_2)
	v_add_co_u32 v12, vcc_lo, v22, v0
	v_add_co_ci_u32_e32 v13, vcc_lo, v23, v1, vcc_lo
	flat_load_u16 v12, v[12:13]
	s_waitcnt vmcnt(0) lgkmcnt(0)
	v_mul_f16_e32 v12, v42, v12
	s_branch .LBB285_182
.LBB285_181:
	v_mov_b32_e32 v12, 0
.LBB285_182:
	v_pk_max_f16 v13, v2, v2
	v_pk_max_f16 v8, v8, v8
	;; [unrolled: 1-line block ×4, first 2 shown]
	v_add_co_u32 v0, vcc_lo, v20, v0
	s_delay_alu instid0(VALU_DEP_4) | instskip(SKIP_1) | instid1(VALU_DEP_4)
	v_pk_min_f16 v8, v8, v13
	v_add_co_ci_u32_e32 v1, vcc_lo, v21, v1, vcc_lo
	v_pk_min_f16 v9, v9, v14
	s_delay_alu instid0(VALU_DEP_3) | instskip(NEXT) | instid1(VALU_DEP_1)
	v_pk_add_f16 v8, v46, v8
	v_pk_add_f16 v8, v8, v9
	s_delay_alu instid0(VALU_DEP_1) | instskip(NEXT) | instid1(VALU_DEP_1)
	v_lshrrev_b32_e32 v9, 16, v8
	v_add_f16_e32 v8, v8, v9
	s_delay_alu instid0(VALU_DEP_1) | instskip(SKIP_3) | instid1(SALU_CYCLE_1)
	v_add_f16_e32 v8, v8, v12
	global_store_b16 v[0:1], v8, off
	s_or_b32 exec_lo, exec_lo, s0
	s_and_b32 s1, s5, s8
	s_and_saveexec_b32 s0, s1
	s_cbranch_execz .LBB285_160
.LBB285_183:
	v_cmp_ne_u32_e32 vcc_lo, 1, v60
	v_lshlrev_b64 v[0:1], 1, v[34:35]
	s_cbranch_vccnz .LBB285_185
; %bb.184:
	s_delay_alu instid0(VALU_DEP_1) | instskip(NEXT) | instid1(VALU_DEP_2)
	v_add_co_u32 v8, vcc_lo, v22, v0
	v_add_co_ci_u32_e32 v9, vcc_lo, v23, v1, vcc_lo
	flat_load_u16 v8, v[8:9]
	s_waitcnt vmcnt(0) lgkmcnt(0)
	v_mul_f16_e32 v8, v42, v8
	s_branch .LBB285_186
.LBB285_185:
	v_mov_b32_e32 v8, 0
.LBB285_186:
	v_pk_max_f16 v9, v2, v2
	v_pk_max_f16 v10, v10, v10
	;; [unrolled: 1-line block ×4, first 2 shown]
	v_add_co_u32 v0, vcc_lo, v20, v0
	s_delay_alu instid0(VALU_DEP_4) | instskip(SKIP_1) | instid1(VALU_DEP_4)
	v_pk_min_f16 v9, v10, v9
	v_add_co_ci_u32_e32 v1, vcc_lo, v21, v1, vcc_lo
	v_pk_min_f16 v10, v11, v12
	s_delay_alu instid0(VALU_DEP_3) | instskip(NEXT) | instid1(VALU_DEP_1)
	v_pk_add_f16 v9, v45, v9
	v_pk_add_f16 v9, v9, v10
	s_delay_alu instid0(VALU_DEP_1) | instskip(NEXT) | instid1(VALU_DEP_1)
	v_lshrrev_b32_e32 v10, 16, v9
	v_add_f16_e32 v9, v9, v10
	s_delay_alu instid0(VALU_DEP_1) | instskip(SKIP_3) | instid1(SALU_CYCLE_1)
	v_add_f16_e32 v8, v9, v8
	global_store_b16 v[0:1], v8, off
	s_or_b32 exec_lo, exec_lo, s0
	s_and_b32 s1, s6, s8
	s_and_saveexec_b32 s0, s1
	s_cbranch_execz .LBB285_161
.LBB285_187:
	v_cmp_ne_u32_e32 vcc_lo, 1, v60
	v_lshlrev_b64 v[0:1], 1, v[36:37]
	s_cbranch_vccnz .LBB285_189
; %bb.188:
	s_delay_alu instid0(VALU_DEP_1) | instskip(NEXT) | instid1(VALU_DEP_2)
	v_add_co_u32 v8, vcc_lo, v22, v0
	v_add_co_ci_u32_e32 v9, vcc_lo, v23, v1, vcc_lo
	flat_load_u16 v8, v[8:9]
	s_waitcnt vmcnt(0) lgkmcnt(0)
	v_mul_f16_e32 v8, v42, v8
	s_branch .LBB285_190
.LBB285_189:
	v_mov_b32_e32 v8, 0
.LBB285_190:
	v_pk_max_f16 v9, v2, v2
	v_pk_max_f16 v4, v4, v4
	;; [unrolled: 1-line block ×4, first 2 shown]
	v_add_co_u32 v0, vcc_lo, v20, v0
	s_delay_alu instid0(VALU_DEP_4) | instskip(SKIP_1) | instid1(VALU_DEP_4)
	v_pk_min_f16 v4, v4, v9
	v_add_co_ci_u32_e32 v1, vcc_lo, v21, v1, vcc_lo
	v_pk_min_f16 v5, v5, v10
	s_delay_alu instid0(VALU_DEP_3) | instskip(NEXT) | instid1(VALU_DEP_1)
	v_pk_add_f16 v4, v44, v4
	v_pk_add_f16 v4, v4, v5
	s_delay_alu instid0(VALU_DEP_1) | instskip(NEXT) | instid1(VALU_DEP_1)
	v_lshrrev_b32_e32 v5, 16, v4
	v_add_f16_e32 v4, v4, v5
	s_delay_alu instid0(VALU_DEP_1) | instskip(SKIP_3) | instid1(SALU_CYCLE_1)
	v_add_f16_e32 v4, v4, v8
	global_store_b16 v[0:1], v4, off
	s_or_b32 exec_lo, exec_lo, s0
	s_and_b32 s0, s7, s8
	s_and_saveexec_b32 s1, s0
	s_cbranch_execz .LBB285_162
.LBB285_191:
	v_cmp_ne_u32_e32 vcc_lo, 1, v60
	v_lshlrev_b64 v[0:1], 1, v[38:39]
	s_cbranch_vccnz .LBB285_193
; %bb.192:
	s_delay_alu instid0(VALU_DEP_1) | instskip(NEXT) | instid1(VALU_DEP_2)
	v_add_co_u32 v4, vcc_lo, v22, v0
	v_add_co_ci_u32_e32 v5, vcc_lo, v23, v1, vcc_lo
	flat_load_u16 v4, v[4:5]
	s_waitcnt vmcnt(0) lgkmcnt(0)
	v_mul_f16_e32 v4, v42, v4
	s_branch .LBB285_194
.LBB285_193:
	v_mov_b32_e32 v4, 0
.LBB285_194:
	v_pk_max_f16 v2, v2, v2
	v_pk_max_f16 v5, v6, v6
	;; [unrolled: 1-line block ×4, first 2 shown]
	v_add_co_u32 v0, vcc_lo, v20, v0
	s_delay_alu instid0(VALU_DEP_4) | instskip(SKIP_1) | instid1(VALU_DEP_4)
	v_pk_min_f16 v2, v5, v2
	v_add_co_ci_u32_e32 v1, vcc_lo, v21, v1, vcc_lo
	v_pk_min_f16 v3, v6, v3
	s_delay_alu instid0(VALU_DEP_3) | instskip(NEXT) | instid1(VALU_DEP_1)
	v_pk_add_f16 v2, v43, v2
	v_pk_add_f16 v2, v2, v3
	s_delay_alu instid0(VALU_DEP_1) | instskip(NEXT) | instid1(VALU_DEP_1)
	v_lshrrev_b32_e32 v3, 16, v2
	v_add_f16_e32 v2, v2, v3
	s_delay_alu instid0(VALU_DEP_1)
	v_add_f16_e32 v2, v2, v4
	global_store_b16 v[0:1], v2, off
	s_nop 0
	s_sendmsg sendmsg(MSG_DEALLOC_VGPRS)
	s_endpgm
	.section	.rodata,"a",@progbits
	.p2align	6, 0x0
	.amdhsa_kernel _ZN12_GLOBAL__N_120geam_min_plus_kernelIDF16_Dv2_DF16_S1_Li8ELi32ELi64ELi128ELi4ELi64ELi4ELi4ELi64ELc78ELc78ELb0ELb1ELb0EPKDF16_S2_DF16_EEviiiT16_PT17_ilS6_ilS4_S6_ilPT18_ili26rocblas_geam_ex_operation_
		.amdhsa_group_segment_fixed_size 3072
		.amdhsa_private_segment_fixed_size 0
		.amdhsa_kernarg_size 136
		.amdhsa_user_sgpr_count 14
		.amdhsa_user_sgpr_dispatch_ptr 0
		.amdhsa_user_sgpr_queue_ptr 0
		.amdhsa_user_sgpr_kernarg_segment_ptr 1
		.amdhsa_user_sgpr_dispatch_id 0
		.amdhsa_user_sgpr_private_segment_size 0
		.amdhsa_wavefront_size32 1
		.amdhsa_uses_dynamic_stack 0
		.amdhsa_enable_private_segment 0
		.amdhsa_system_sgpr_workgroup_id_x 1
		.amdhsa_system_sgpr_workgroup_id_y 0
		.amdhsa_system_sgpr_workgroup_id_z 1
		.amdhsa_system_sgpr_workgroup_info 0
		.amdhsa_system_vgpr_workitem_id 1
		.amdhsa_next_free_vgpr 130
		.amdhsa_next_free_sgpr 27
		.amdhsa_reserve_vcc 1
		.amdhsa_float_round_mode_32 0
		.amdhsa_float_round_mode_16_64 0
		.amdhsa_float_denorm_mode_32 3
		.amdhsa_float_denorm_mode_16_64 3
		.amdhsa_dx10_clamp 1
		.amdhsa_ieee_mode 1
		.amdhsa_fp16_overflow 0
		.amdhsa_workgroup_processor_mode 1
		.amdhsa_memory_ordered 1
		.amdhsa_forward_progress 0
		.amdhsa_shared_vgpr_count 0
		.amdhsa_exception_fp_ieee_invalid_op 0
		.amdhsa_exception_fp_denorm_src 0
		.amdhsa_exception_fp_ieee_div_zero 0
		.amdhsa_exception_fp_ieee_overflow 0
		.amdhsa_exception_fp_ieee_underflow 0
		.amdhsa_exception_fp_ieee_inexact 0
		.amdhsa_exception_int_div_zero 0
	.end_amdhsa_kernel
	.section	.text._ZN12_GLOBAL__N_120geam_min_plus_kernelIDF16_Dv2_DF16_S1_Li8ELi32ELi64ELi128ELi4ELi64ELi4ELi4ELi64ELc78ELc78ELb0ELb1ELb0EPKDF16_S2_DF16_EEviiiT16_PT17_ilS6_ilS4_S6_ilPT18_ili26rocblas_geam_ex_operation_,"axG",@progbits,_ZN12_GLOBAL__N_120geam_min_plus_kernelIDF16_Dv2_DF16_S1_Li8ELi32ELi64ELi128ELi4ELi64ELi4ELi4ELi64ELc78ELc78ELb0ELb1ELb0EPKDF16_S2_DF16_EEviiiT16_PT17_ilS6_ilS4_S6_ilPT18_ili26rocblas_geam_ex_operation_,comdat
.Lfunc_end285:
	.size	_ZN12_GLOBAL__N_120geam_min_plus_kernelIDF16_Dv2_DF16_S1_Li8ELi32ELi64ELi128ELi4ELi64ELi4ELi4ELi64ELc78ELc78ELb0ELb1ELb0EPKDF16_S2_DF16_EEviiiT16_PT17_ilS6_ilS4_S6_ilPT18_ili26rocblas_geam_ex_operation_, .Lfunc_end285-_ZN12_GLOBAL__N_120geam_min_plus_kernelIDF16_Dv2_DF16_S1_Li8ELi32ELi64ELi128ELi4ELi64ELi4ELi4ELi64ELc78ELc78ELb0ELb1ELb0EPKDF16_S2_DF16_EEviiiT16_PT17_ilS6_ilS4_S6_ilPT18_ili26rocblas_geam_ex_operation_
                                        ; -- End function
	.section	.AMDGPU.csdata,"",@progbits
; Kernel info:
; codeLenInByte = 13088
; NumSgprs: 29
; NumVgprs: 130
; ScratchSize: 0
; MemoryBound: 0
; FloatMode: 240
; IeeeMode: 1
; LDSByteSize: 3072 bytes/workgroup (compile time only)
; SGPRBlocks: 3
; VGPRBlocks: 16
; NumSGPRsForWavesPerEU: 29
; NumVGPRsForWavesPerEU: 130
; Occupancy: 10
; WaveLimiterHint : 0
; COMPUTE_PGM_RSRC2:SCRATCH_EN: 0
; COMPUTE_PGM_RSRC2:USER_SGPR: 14
; COMPUTE_PGM_RSRC2:TRAP_HANDLER: 0
; COMPUTE_PGM_RSRC2:TGID_X_EN: 1
; COMPUTE_PGM_RSRC2:TGID_Y_EN: 0
; COMPUTE_PGM_RSRC2:TGID_Z_EN: 1
; COMPUTE_PGM_RSRC2:TIDIG_COMP_CNT: 1
	.section	.text._ZN12_GLOBAL__N_120geam_min_plus_kernelIDF16_Dv2_DF16_S1_Li8ELi32ELi64ELi128ELi4ELi64ELi4ELi4ELi64ELc78ELc78ELb1ELb1ELb0EDF16_KDF16_DF16_EEviiiT16_PT17_ilS5_ilS3_S5_ilPT18_ili26rocblas_geam_ex_operation_,"axG",@progbits,_ZN12_GLOBAL__N_120geam_min_plus_kernelIDF16_Dv2_DF16_S1_Li8ELi32ELi64ELi128ELi4ELi64ELi4ELi4ELi64ELc78ELc78ELb1ELb1ELb0EDF16_KDF16_DF16_EEviiiT16_PT17_ilS5_ilS3_S5_ilPT18_ili26rocblas_geam_ex_operation_,comdat
	.globl	_ZN12_GLOBAL__N_120geam_min_plus_kernelIDF16_Dv2_DF16_S1_Li8ELi32ELi64ELi128ELi4ELi64ELi4ELi4ELi64ELc78ELc78ELb1ELb1ELb0EDF16_KDF16_DF16_EEviiiT16_PT17_ilS5_ilS3_S5_ilPT18_ili26rocblas_geam_ex_operation_ ; -- Begin function _ZN12_GLOBAL__N_120geam_min_plus_kernelIDF16_Dv2_DF16_S1_Li8ELi32ELi64ELi128ELi4ELi64ELi4ELi4ELi64ELc78ELc78ELb1ELb1ELb0EDF16_KDF16_DF16_EEviiiT16_PT17_ilS5_ilS3_S5_ilPT18_ili26rocblas_geam_ex_operation_
	.p2align	8
	.type	_ZN12_GLOBAL__N_120geam_min_plus_kernelIDF16_Dv2_DF16_S1_Li8ELi32ELi64ELi128ELi4ELi64ELi4ELi4ELi64ELc78ELc78ELb1ELb1ELb0EDF16_KDF16_DF16_EEviiiT16_PT17_ilS5_ilS3_S5_ilPT18_ili26rocblas_geam_ex_operation_,@function
_ZN12_GLOBAL__N_120geam_min_plus_kernelIDF16_Dv2_DF16_S1_Li8ELi32ELi64ELi128ELi4ELi64ELi4ELi4ELi64ELc78ELc78ELb1ELb1ELb0EDF16_KDF16_DF16_EEviiiT16_PT17_ilS5_ilS3_S5_ilPT18_ili26rocblas_geam_ex_operation_: ; @_ZN12_GLOBAL__N_120geam_min_plus_kernelIDF16_Dv2_DF16_S1_Li8ELi32ELi64ELi128ELi4ELi64ELi4ELi4ELi64ELc78ELc78ELb1ELb1ELb0EDF16_KDF16_DF16_EEviiiT16_PT17_ilS5_ilS3_S5_ilPT18_ili26rocblas_geam_ex_operation_
; %bb.0:
	s_clause 0x1
	s_load_b128 s[16:19], s[0:1], 0x0
	s_load_b128 s[4:7], s[0:1], 0x20
	s_waitcnt lgkmcnt(0)
	v_cmp_eq_f16_e64 s2, s19, 0
	s_delay_alu instid0(VALU_DEP_1)
	s_and_b32 vcc_lo, exec_lo, s2
	s_cbranch_vccnz .LBB286_3
; %bb.1:
	s_load_b64 s[8:9], s[0:1], 0x10
	s_mul_i32 s3, s15, s5
	s_mul_hi_u32 s5, s15, s4
	s_mul_i32 s4, s15, s4
	s_add_i32 s5, s5, s3
	s_delay_alu instid0(SALU_CYCLE_1)
	s_lshl_b64 s[4:5], s[4:5], 1
	s_waitcnt lgkmcnt(0)
	s_add_u32 s8, s8, s4
	s_addc_u32 s9, s9, s5
	s_and_not1_b32 vcc_lo, exec_lo, s2
	s_cbranch_vccnz .LBB286_4
.LBB286_2:
	s_mov_b32 s23, 0
	s_mov_b64 s[12:13], 0
	s_cbranch_execz .LBB286_5
	s_branch .LBB286_6
.LBB286_3:
	s_mov_b64 s[8:9], 0
	s_and_not1_b32 vcc_lo, exec_lo, s2
	s_cbranch_vccz .LBB286_2
.LBB286_4:
	s_mov_b32 s23, -1
                                        ; implicit-def: $sgpr12_sgpr13
.LBB286_5:
	s_load_b64 s[2:3], s[0:1], 0x38
	s_mov_b32 s23, 0
	s_waitcnt lgkmcnt(0)
	s_mul_i32 s3, s15, s3
	s_mul_hi_u32 s4, s15, s2
	s_mul_i32 s2, s15, s2
	s_add_i32 s3, s4, s3
	s_delay_alu instid0(SALU_CYCLE_1) | instskip(NEXT) | instid1(SALU_CYCLE_1)
	s_lshl_b64 s[2:3], s[2:3], 1
	s_add_u32 s12, s6, s2
	s_addc_u32 s13, s7, s3
.LBB286_6:
	s_clause 0x1
	s_load_b32 s19, s[0:1], 0x40
	s_load_b128 s[4:7], s[0:1], 0x58
	s_waitcnt lgkmcnt(0)
	v_cmp_eq_f16_e64 s2, s19, 0
	v_cmp_neq_f16_e64 s22, s19, 0
	s_delay_alu instid0(VALU_DEP_2)
	s_and_b32 vcc_lo, exec_lo, s2
	s_cbranch_vccnz .LBB286_8
; %bb.7:
	s_load_b64 s[2:3], s[0:1], 0x48
	s_mul_i32 s5, s15, s5
	s_mul_hi_u32 s10, s15, s4
	s_delay_alu instid0(SALU_CYCLE_1) | instskip(SKIP_3) | instid1(SALU_CYCLE_1)
	s_add_i32 s5, s10, s5
	s_mul_i32 s10, s23, s4
	s_mul_i32 s4, s15, s4
	s_add_i32 s5, s5, s10
	s_lshl_b64 s[4:5], s[4:5], 1
	s_waitcnt lgkmcnt(0)
	s_add_u32 s10, s2, s4
	s_addc_u32 s11, s3, s5
	s_branch .LBB286_9
.LBB286_8:
	s_mov_b64 s[10:11], 0
.LBB286_9:
	s_add_i32 s2, s16, -1
	s_load_b32 s20, s[0:1], 0x18
	s_ashr_i32 s3, s2, 31
	v_dual_mov_b32 v9, 0 :: v_dual_and_b32 v28, 0x3ff, v0
	s_lshr_b32 s3, s3, 26
	v_bfe_u32 v29, v0, 10, 10
	s_add_i32 s2, s2, s3
	v_mov_b32_e32 v8, 0
	s_ashr_i32 s2, s2, 6
	s_delay_alu instid0(SALU_CYCLE_1) | instskip(SKIP_3) | instid1(VALU_DEP_2)
	s_add_i32 s3, s2, 1
	s_not_b32 s2, s2
	v_cvt_f32_u32_e32 v1, s3
	v_lshl_add_u32 v2, v29, 3, v28
	v_rcp_iflag_f32_e32 v1, v1
	s_delay_alu instid0(VALU_DEP_1) | instskip(SKIP_3) | instid1(VALU_DEP_1)
	v_and_b32_e32 v7, 63, v2
	v_lshrrev_b32_e32 v30, 6, v2
	s_waitcnt lgkmcnt(0)
	s_ashr_i32 s21, s20, 31
	v_cmp_gt_i32_e32 vcc_lo, s18, v30
	s_waitcnt_depctr 0xfff
	v_mul_f32_e32 v1, 0x4f7ffffe, v1
	s_delay_alu instid0(VALU_DEP_1) | instskip(NEXT) | instid1(VALU_DEP_1)
	v_cvt_u32_f32_e32 v1, v1
	v_readfirstlane_b32 s4, v1
	s_delay_alu instid0(VALU_DEP_1) | instskip(NEXT) | instid1(SALU_CYCLE_1)
	s_mul_i32 s2, s2, s4
	s_mul_hi_u32 s2, s4, s2
	s_delay_alu instid0(SALU_CYCLE_1) | instskip(NEXT) | instid1(SALU_CYCLE_1)
	s_add_i32 s4, s4, s2
	s_mul_hi_u32 s2, s14, s4
	s_delay_alu instid0(SALU_CYCLE_1) | instskip(SKIP_2) | instid1(SALU_CYCLE_1)
	s_mul_i32 s4, s2, s3
	s_add_i32 s5, s2, 1
	s_sub_i32 s4, s14, s4
	s_sub_i32 s24, s4, s3
	s_cmp_ge_u32 s4, s3
	s_cselect_b32 s2, s5, s2
	s_cselect_b32 s4, s24, s4
	s_add_i32 s5, s2, 1
	s_cmp_ge_u32 s4, s3
	s_cselect_b32 s4, s5, s2
	s_delay_alu instid0(SALU_CYCLE_1) | instskip(NEXT) | instid1(SALU_CYCLE_1)
	s_mul_i32 s2, s4, s3
	s_sub_i32 s2, s14, s2
	s_delay_alu instid0(SALU_CYCLE_1) | instskip(NEXT) | instid1(SALU_CYCLE_1)
	s_lshl_b32 s5, s2, 6
	v_or_b32_e32 v0, s5, v7
	s_delay_alu instid0(VALU_DEP_1) | instskip(SKIP_2) | instid1(VALU_DEP_3)
	v_cmp_gt_i32_e64 s2, s16, v0
	v_cmp_le_i32_e64 s3, s16, v0
	v_ashrrev_i32_e32 v1, 31, v0
	s_and_b32 s14, vcc_lo, s2
	s_delay_alu instid0(SALU_CYCLE_1)
	s_and_saveexec_b32 s2, s14
	s_cbranch_execz .LBB286_11
; %bb.10:
	v_mad_i64_i32 v[3:4], null, s20, v30, 0
	v_lshlrev_b64 v[5:6], 1, v[0:1]
	s_delay_alu instid0(VALU_DEP_2) | instskip(NEXT) | instid1(VALU_DEP_1)
	v_lshlrev_b64 v[3:4], 1, v[3:4]
	v_add_co_u32 v3, vcc_lo, s8, v3
	s_delay_alu instid0(VALU_DEP_2) | instskip(NEXT) | instid1(VALU_DEP_2)
	v_add_co_ci_u32_e32 v4, vcc_lo, s9, v4, vcc_lo
	v_add_co_u32 v3, vcc_lo, v3, v5
	s_delay_alu instid0(VALU_DEP_2)
	v_add_co_ci_u32_e32 v4, vcc_lo, v4, v6, vcc_lo
	flat_load_u16 v9, v[3:4]
.LBB286_11:
	s_or_b32 exec_lo, exec_lo, s2
	s_load_b32 s26, s[0:1], 0x30
	v_lshrrev_b32_e32 v10, 2, v2
	v_and_b32_e32 v31, 3, v28
	s_lshl_b32 s14, s4, 7
	s_delay_alu instid0(VALU_DEP_2) | instid1(SALU_CYCLE_1)
	v_add_nc_u32_e32 v2, s14, v10
	s_delay_alu instid0(VALU_DEP_2) | instskip(SKIP_1) | instid1(VALU_DEP_3)
	v_lshlrev_b32_e32 v32, 1, v31
	v_cmp_le_i32_e64 s4, s18, v31
	v_cmp_le_i32_e32 vcc_lo, s17, v2
	s_delay_alu instid0(VALU_DEP_3) | instskip(NEXT) | instid1(VALU_DEP_1)
	v_add_co_u32 v11, s2, s12, v32
	v_add_co_ci_u32_e64 v12, null, s13, 0, s2
	s_delay_alu instid0(VALU_DEP_4) | instskip(NEXT) | instid1(SALU_CYCLE_1)
	s_or_b32 s2, s4, vcc_lo
	s_xor_b32 s2, s2, -1
	s_delay_alu instid0(SALU_CYCLE_1)
	s_and_saveexec_b32 s24, s2
	s_cbranch_execz .LBB286_13
; %bb.12:
	s_waitcnt lgkmcnt(0)
	v_mad_i64_i32 v[3:4], null, v2, s26, 0
	s_delay_alu instid0(VALU_DEP_1) | instskip(NEXT) | instid1(VALU_DEP_1)
	v_lshlrev_b64 v[3:4], 1, v[3:4]
	v_add_co_u32 v3, s2, v11, v3
	s_delay_alu instid0(VALU_DEP_1)
	v_add_co_ci_u32_e64 v4, s2, v12, v4, s2
	flat_load_u16 v8, v[3:4]
.LBB286_13:
	s_or_b32 exec_lo, exec_lo, s24
	v_dual_mov_b32 v4, 0 :: v_dual_add_nc_u32 v3, 64, v2
	v_mov_b32_e32 v13, 0
	s_delay_alu instid0(VALU_DEP_2) | instskip(NEXT) | instid1(VALU_DEP_1)
	v_cmp_le_i32_e64 s2, s17, v3
	s_or_b32 s4, s4, s2
	s_delay_alu instid0(SALU_CYCLE_1) | instskip(NEXT) | instid1(SALU_CYCLE_1)
	s_xor_b32 s4, s4, -1
	s_and_saveexec_b32 s24, s4
	s_cbranch_execz .LBB286_15
; %bb.14:
	s_waitcnt lgkmcnt(0)
	v_mad_i64_i32 v[5:6], null, v3, s26, 0
	s_delay_alu instid0(VALU_DEP_1) | instskip(NEXT) | instid1(VALU_DEP_1)
	v_lshlrev_b64 v[5:6], 1, v[5:6]
	v_add_co_u32 v5, s4, v11, v5
	s_delay_alu instid0(VALU_DEP_1)
	v_add_co_ci_u32_e64 v6, s4, v12, v6, s4
	flat_load_u16 v13, v[5:6]
.LBB286_15:
	s_or_b32 exec_lo, exec_lo, s24
	v_add_nc_u32_e32 v5, 4, v30
	s_xor_b32 s24, s3, -1
	s_delay_alu instid0(VALU_DEP_1) | instskip(NEXT) | instid1(VALU_DEP_1)
	v_cmp_gt_i32_e64 s4, s18, v5
	s_and_b32 s3, s24, s4
	s_delay_alu instid0(SALU_CYCLE_1)
	s_and_saveexec_b32 s4, s3
	s_cbranch_execz .LBB286_17
; %bb.16:
	v_mad_u64_u32 v[14:15], null, s20, v5, 0
	s_delay_alu instid0(VALU_DEP_1) | instskip(NEXT) | instid1(VALU_DEP_1)
	v_mov_b32_e32 v4, v15
	v_mad_u64_u32 v[15:16], null, s21, v5, v[4:5]
	s_delay_alu instid0(VALU_DEP_1) | instskip(SKIP_1) | instid1(VALU_DEP_2)
	v_lshlrev_b64 v[4:5], 1, v[14:15]
	v_lshlrev_b64 v[14:15], 1, v[0:1]
	v_add_co_u32 v4, s3, s8, v4
	s_delay_alu instid0(VALU_DEP_1) | instskip(NEXT) | instid1(VALU_DEP_2)
	v_add_co_ci_u32_e64 v5, s3, s9, v5, s3
	v_add_co_u32 v4, s3, v4, v14
	s_delay_alu instid0(VALU_DEP_1)
	v_add_co_ci_u32_e64 v5, s3, v5, v15, s3
	flat_load_u16 v4, v[4:5]
.LBB286_17:
	s_or_b32 exec_lo, exec_lo, s4
	v_or_b32_e32 v5, 4, v31
	v_mov_b32_e32 v6, 0
	s_delay_alu instid0(VALU_DEP_2) | instskip(SKIP_1) | instid1(VALU_DEP_2)
	v_cmp_le_i32_e64 s3, s18, v5
	v_mov_b32_e32 v5, 0
	s_or_b32 s4, s3, vcc_lo
	s_delay_alu instid0(SALU_CYCLE_1) | instskip(NEXT) | instid1(SALU_CYCLE_1)
	s_xor_b32 s4, s4, -1
	s_and_saveexec_b32 s25, s4
	s_cbranch_execz .LBB286_19
; %bb.18:
	s_waitcnt lgkmcnt(0)
	v_mad_i64_i32 v[14:15], null, v2, s26, 0
	s_delay_alu instid0(VALU_DEP_1) | instskip(NEXT) | instid1(VALU_DEP_1)
	v_lshlrev_b64 v[14:15], 1, v[14:15]
	v_add_co_u32 v14, s4, v11, v14
	s_delay_alu instid0(VALU_DEP_1)
	v_add_co_ci_u32_e64 v15, s4, v12, v15, s4
	flat_load_u16 v6, v[14:15] offset:8
.LBB286_19:
	s_or_b32 exec_lo, exec_lo, s25
	s_or_b32 s3, s3, s2
	s_delay_alu instid0(SALU_CYCLE_1) | instskip(NEXT) | instid1(SALU_CYCLE_1)
	s_xor_b32 s3, s3, -1
	s_and_saveexec_b32 s4, s3
	s_cbranch_execz .LBB286_21
; %bb.20:
	s_waitcnt lgkmcnt(0)
	v_mad_i64_i32 v[14:15], null, v3, s26, 0
	s_delay_alu instid0(VALU_DEP_1) | instskip(NEXT) | instid1(VALU_DEP_1)
	v_lshlrev_b64 v[14:15], 1, v[14:15]
	v_add_co_u32 v11, s3, v11, v14
	s_delay_alu instid0(VALU_DEP_1)
	v_add_co_ci_u32_e64 v12, s3, v12, v15, s3
	flat_load_u16 v5, v[11:12] offset:8
.LBB286_21:
	s_or_b32 exec_lo, exec_lo, s4
	v_lshlrev_b32_e32 v7, 3, v7
	v_lshlrev_b32_e32 v34, 3, v28
	v_lshl_or_b32 v35, v10, 3, v32
	v_lshlrev_b32_e32 v33, 3, v29
	s_mov_b32 s25, 0
	v_lshl_add_u32 v7, v30, 1, v7
	v_add_nc_u32_e32 v36, 0x800, v34
	s_waitcnt vmcnt(0) lgkmcnt(0)
	ds_store_b16 v35, v8
	s_cmp_lt_i32 s18, 9
	ds_store_b16 v7, v9 offset:2048
	ds_store_b16 v35, v13 offset:512
	s_waitcnt lgkmcnt(0)
	s_barrier
	buffer_gl0_inv
	ds_load_2addr_b64 v[8:11], v33 offset1:32
	ds_load_2addr_b64 v[12:15], v36 offset0:48 offset1:56
	ds_load_2addr_b64 v[16:19], v33 offset0:64 offset1:96
	ds_load_2addr_b64 v[20:23], v36 offset1:8
	ds_load_2addr_b64 v[24:27], v36 offset0:16 offset1:24
	ds_load_2addr_b64 v[37:40], v36 offset0:32 offset1:40
	ds_store_b16 v35, v6 offset:1024
	ds_store_b16 v7, v4 offset:2560
	;; [unrolled: 1-line block ×3, first 2 shown]
	s_waitcnt lgkmcnt(0)
	s_barrier
	buffer_gl0_inv
	v_pk_max_f16 v8, v8, v8
	v_pk_max_f16 v10, v10, v10
	;; [unrolled: 1-line block ×8, first 2 shown]
	v_pk_min_f16 v49, v24, v8
	v_pk_min_f16 v50, v24, v10
	v_pk_max_f16 v20, v20, v20
	v_pk_max_f16 v22, v22, v22
	v_pk_min_f16 v36, v14, v8
	v_pk_add_f16 v52, v49, 0
	v_pk_min_f16 v49, v26, v8
	v_pk_add_f16 v53, v50, 0
	v_pk_min_f16 v50, v26, v10
	v_pk_max_f16 v39, v39, v39
	v_pk_max_f16 v12, v12, v12
	v_pk_add_f16 v59, v49, 0
	v_pk_min_f16 v49, v37, v8
	v_pk_add_f16 v60, v50, 0
	v_pk_min_f16 v50, v37, v10
	v_pk_max_f16 v9, v9, v9
	v_pk_max_f16 v15, v15, v15
	v_pk_add_f16 v61, v49, 0
	v_pk_min_f16 v49, v37, v16
	v_pk_min_f16 v37, v37, v18
	;; [unrolled: 1-line block ×9, first 2 shown]
	v_pk_add_f16 v36, v36, 0
	v_pk_min_f16 v47, v22, v10
	v_pk_min_f16 v48, v22, v16
	;; [unrolled: 1-line block ×7, first 2 shown]
	v_pk_add_f16 v62, v50, 0
	v_pk_min_f16 v50, v39, v8
	v_pk_min_f16 v55, v39, v10
	v_pk_add_f16 v70, v37, 0
	v_pk_min_f16 v37, v39, v16
	v_pk_min_f16 v39, v39, v18
	;; [unrolled: 1-line block ×6, first 2 shown]
	v_pk_max_f16 v11, v11, v11
	v_pk_min_f16 v14, v14, v18
	v_pk_min_f16 v18, v15, v9
	v_pk_add_f16 v41, v41, 0
	v_pk_add_f16 v73, v37, 0
	v_pk_max_f16 v17, v17, v17
	v_pk_min_f16 v37, v15, v11
	v_pk_max_f16 v21, v21, v21
	v_pk_add_f16 v68, v36, v18
	v_pk_max_f16 v18, v19, v19
	v_pk_add_f16 v43, v43, 0
	v_pk_add_f16 v20, v20, 0
	;; [unrolled: 1-line block ×3, first 2 shown]
	v_pk_min_f16 v19, v21, v9
	v_pk_min_f16 v36, v21, v11
	;; [unrolled: 1-line block ×4, first 2 shown]
	v_pk_max_f16 v23, v23, v23
	v_pk_add_f16 v46, v46, 0
	v_pk_add_f16 v47, v47, 0
	;; [unrolled: 1-line block ×7, first 2 shown]
	v_pk_min_f16 v19, v23, v9
	v_pk_min_f16 v20, v23, v11
	;; [unrolled: 1-line block ×4, first 2 shown]
	v_pk_max_f16 v25, v25, v25
	v_pk_add_f16 v42, v42, 0
	v_pk_add_f16 v51, v51, 0
	;; [unrolled: 1-line block ×4, first 2 shown]
	v_pk_min_f16 v39, v15, v17
	v_pk_add_f16 v41, v46, v19
	v_pk_add_f16 v65, v47, v20
	;; [unrolled: 1-line block ×4, first 2 shown]
	v_pk_min_f16 v19, v25, v9
	v_pk_min_f16 v20, v25, v11
	v_pk_min_f16 v21, v25, v17
	v_pk_min_f16 v22, v25, v18
	v_pk_max_f16 v23, v27, v27
	v_pk_add_f16 v45, v45, 0
	v_pk_add_f16 v54, v54, 0
	v_pk_add_f16 v26, v26, 0
	v_pk_add_f16 v71, v50, 0
	v_pk_add_f16 v72, v55, 0
	v_pk_add_f16 v50, v42, v39
	v_pk_add_f16 v39, v52, v19
	v_pk_add_f16 v64, v53, v20
	v_pk_add_f16 v55, v51, v21
	v_pk_add_f16 v47, v24, v22
	v_pk_min_f16 v19, v23, v9
	v_pk_min_f16 v20, v23, v11
	;; [unrolled: 1-line block ×4, first 2 shown]
	v_pk_max_f16 v23, v38, v38
	v_pk_add_f16 v44, v44, 0
	v_pk_add_f16 v57, v45, v37
	v_pk_add_f16 v37, v59, v19
	v_pk_add_f16 v63, v60, v20
	v_pk_add_f16 v54, v54, v21
	v_pk_add_f16 v46, v26, v22
	v_pk_min_f16 v19, v23, v9
	v_pk_min_f16 v20, v23, v11
	;; [unrolled: 1-line block ×4, first 2 shown]
	v_pk_max_f16 v23, v40, v40
	v_pk_max_f16 v13, v13, v13
	v_pk_add_f16 v8, v8, 0
	v_pk_add_f16 v10, v10, 0
	;; [unrolled: 1-line block ×10, first 2 shown]
	v_pk_min_f16 v19, v23, v9
	v_pk_min_f16 v20, v23, v11
	;; [unrolled: 1-line block ×9, first 2 shown]
	v_pk_add_f16 v38, v71, v19
	v_pk_add_f16 v61, v72, v20
	;; [unrolled: 1-line block ×9, first 2 shown]
	s_cbranch_scc1 .LBB286_36
; %bb.22:
	v_add_nc_u32_e32 v6, v33, v28
	v_lshlrev_b64 v[0:1], 1, v[0:1]
	v_mad_i64_i32 v[4:5], null, s26, v2, 0
	v_or_b32_e32 v59, 0x800, v7
	s_delay_alu instid0(VALU_DEP_4) | instskip(SKIP_2) | instid1(VALU_DEP_1)
	v_lshrrev_b32_e32 v2, 6, v6
	v_add_nc_u32_e32 v70, 0xa00, v7
	v_add_co_u32 v72, s3, s8, v0
	v_add_co_ci_u32_e64 v73, s3, s9, v1, s3
	v_mad_i64_i32 v[0:1], null, s26, v3, 0
	v_add_nc_u32_e32 v6, 12, v2
	v_add_nc_u32_e32 v8, 8, v2
	v_lshlrev_b64 v[2:3], 1, v[4:5]
	v_add_nc_u32_e32 v66, 0x800, v34
	v_add_nc_u32_e32 v71, 0x400, v35
	v_mad_i64_i32 v[4:5], null, v6, s20, 0
	v_mad_i64_i32 v[6:7], null, v8, s20, 0
	v_lshlrev_b64 v[0:1], 1, v[0:1]
	v_add_co_u32 v76, s3, s12, v2
	s_delay_alu instid0(VALU_DEP_1) | instskip(SKIP_1) | instid1(VALU_DEP_4)
	v_add_co_ci_u32_e64 v77, s3, s13, v3, s3
	v_lshlrev_b64 v[24:25], 1, v[4:5]
	v_add_co_u32 v78, s3, s12, v0
	v_lshlrev_b64 v[26:27], 1, v[6:7]
	v_lshl_add_u32 v74, v28, 3, 0xa00
	v_add_nc_u32_e32 v75, 0x400, v33
	v_add_co_ci_u32_e64 v79, s3, s13, v1, s3
	s_add_i32 s12, s18, -8
	s_lshl_b64 s[8:9], s[20:21], 4
	s_branch .LBB286_24
.LBB286_23:                             ;   in Loop: Header=BB286_24 Depth=1
	s_or_b32 exec_lo, exec_lo, s4
	v_pk_add_f16 v8, v41, v8
	v_pk_add_f16 v41, v65, v82
	;; [unrolled: 1-line block ×26, first 2 shown]
	ds_load_2addr_b64 v[37:40], v66 offset0:48 offset1:56
	ds_load_2addr_b64 v[41:44], v33 offset1:32
	v_pk_add_f16 v9, v47, v9
	ds_load_2addr_b64 v[45:48], v33 offset0:64 offset1:96
	v_pk_add_f16 v6, v62, v6
	v_pk_add_f16 v62, v52, v96
	;; [unrolled: 1-line block ×5, first 2 shown]
	ds_load_2addr_b64 v[49:52], v66 offset1:8
	v_pk_add_f16 v53, v53, v92
	v_pk_add_f16 v60, v60, v99
	;; [unrolled: 1-line block ×10, first 2 shown]
	s_waitcnt lgkmcnt(3)
	v_pk_max_f16 v39, v39, v39
	s_waitcnt lgkmcnt(2)
	v_pk_max_f16 v41, v41, v41
	v_pk_max_f16 v43, v43, v43
	s_waitcnt lgkmcnt(1)
	v_pk_max_f16 v45, v45, v45
	v_pk_add_f16 v53, v53, v3
	v_pk_add_f16 v57, v57, v5
	;; [unrolled: 1-line block ×6, first 2 shown]
	v_pk_min_f16 v5, v39, v41
	v_pk_min_f16 v6, v39, v43
	;; [unrolled: 1-line block ×3, first 2 shown]
	ds_load_2addr_b64 v[1:4], v66 offset0:16 offset1:24
	s_waitcnt lgkmcnt(1)
	v_pk_max_f16 v8, v49, v49
	v_pk_max_f16 v47, v47, v47
	v_pk_add_f16 v14, v14, v112
	v_pk_add_f16 v18, v18, v113
	;; [unrolled: 1-line block ×7, first 2 shown]
	v_pk_min_f16 v5, v8, v41
	v_pk_min_f16 v6, v8, v43
	;; [unrolled: 1-line block ×4, first 2 shown]
	v_pk_add_f16 v61, v61, v95
	v_pk_add_f16 v14, v14, v5
	;; [unrolled: 1-line block ×5, first 2 shown]
	ds_load_2addr_b64 v[5:8], v66 offset0:32 offset1:40
	s_waitcnt lgkmcnt(1)
	v_pk_max_f16 v1, v1, v1
	v_pk_add_f16 v10, v10, v121
	v_pk_add_f16 v23, v65, v23
	v_pk_max_f16 v51, v51, v51
	v_pk_max_f16 v3, v3, v3
	v_pk_min_f16 v65, v1, v43
	v_pk_add_f16 v36, v36, v91
	v_pk_add_f16 v55, v55, v103
	;; [unrolled: 1-line block ×5, first 2 shown]
	v_pk_min_f16 v61, v51, v41
	v_pk_min_f16 v62, v51, v43
	;; [unrolled: 1-line block ×5, first 2 shown]
	v_pk_add_f16 v10, v10, v65
	v_pk_min_f16 v65, v3, v43
	v_pk_add_f16 v56, v56, v105
	s_waitcnt lgkmcnt(0)
	v_pk_max_f16 v5, v5, v5
	v_pk_add_f16 v36, v36, v106
	v_pk_add_f16 v61, v82, v61
	;; [unrolled: 1-line block ×5, first 2 shown]
	v_pk_min_f16 v9, v3, v41
	v_pk_min_f16 v67, v3, v45
	;; [unrolled: 1-line block ×3, first 2 shown]
	v_pk_add_f16 v83, v55, v65
	v_pk_min_f16 v55, v5, v41
	v_pk_add_f16 v17, v63, v17
	v_pk_min_f16 v63, v51, v45
	;; [unrolled: 2-line block ×3, first 2 shown]
	v_pk_max_f16 v7, v7, v7
	v_pk_add_f16 v36, v36, v55
	v_pk_min_f16 v55, v5, v45
	v_pk_max_f16 v37, v37, v37
	v_pk_add_f16 v63, v84, v63
	v_pk_add_f16 v84, v89, v56
	v_pk_min_f16 v56, v7, v41
	v_pk_min_f16 v65, v7, v43
	v_pk_add_f16 v53, v53, v55
	v_pk_min_f16 v55, v7, v45
	v_pk_min_f16 v7, v7, v47
	;; [unrolled: 1-line block ×6, first 2 shown]
	v_pk_add_f16 v7, v17, v7
	v_pk_add_f16 v17, v19, v41
	v_pk_add_f16 v19, v21, v43
	v_pk_max_f16 v40, v40, v40
	v_pk_max_f16 v43, v44, v44
	v_pk_add_f16 v51, v85, v51
	v_pk_add_f16 v21, v23, v45
	v_pk_min_f16 v23, v37, v47
	v_pk_max_f16 v42, v42, v42
	v_pk_min_f16 v37, v39, v47
	v_pk_max_f16 v85, v46, v46
	v_pk_min_f16 v41, v40, v43
	v_pk_add_f16 v64, v86, v64
	v_pk_add_f16 v23, v58, v23
	v_pk_min_f16 v39, v40, v42
	v_pk_add_f16 v86, v60, v37
	v_pk_min_f16 v37, v40, v85
	v_pk_max_f16 v44, v50, v50
	v_pk_add_f16 v58, v12, v41
	v_pk_max_f16 v12, v48, v48
	v_pk_add_f16 v54, v54, v104
	v_pk_add_f16 v68, v49, v39
	;; [unrolled: 1-line block ×3, first 2 shown]
	v_pk_min_f16 v16, v44, v42
	v_pk_min_f16 v37, v44, v43
	;; [unrolled: 1-line block ×4, first 2 shown]
	v_pk_max_f16 v44, v52, v52
	v_pk_add_f16 v54, v54, v67
	v_pk_add_f16 v69, v14, v16
	;; [unrolled: 1-line block ×3, first 2 shown]
	v_pk_max_f16 v2, v2, v2
	v_pk_min_f16 v14, v44, v42
	v_pk_min_f16 v16, v44, v43
	;; [unrolled: 1-line block ×4, first 2 shown]
	v_pk_add_f16 v11, v11, v56
	v_pk_add_f16 v13, v13, v65
	;; [unrolled: 1-line block ×6, first 2 shown]
	v_pk_min_f16 v14, v2, v42
	v_pk_min_f16 v16, v2, v43
	;; [unrolled: 1-line block ×4, first 2 shown]
	v_pk_max_f16 v4, v4, v4
	v_pk_add_f16 v9, v88, v9
	v_pk_add_f16 v5, v57, v5
	;; [unrolled: 1-line block ×6, first 2 shown]
	v_pk_min_f16 v1, v4, v42
	v_pk_min_f16 v2, v4, v43
	;; [unrolled: 1-line block ×4, first 2 shown]
	v_pk_max_f16 v6, v6, v6
	v_pk_add_f16 v37, v9, v1
	v_pk_add_f16 v63, v83, v2
	;; [unrolled: 1-line block ×4, first 2 shown]
	v_pk_min_f16 v1, v6, v42
	v_pk_min_f16 v2, v6, v43
	;; [unrolled: 1-line block ×4, first 2 shown]
	v_pk_max_f16 v6, v8, v8
	v_pk_add_f16 v36, v36, v1
	v_pk_add_f16 v62, v84, v2
	;; [unrolled: 1-line block ×4, first 2 shown]
	v_pk_min_f16 v1, v6, v42
	v_pk_min_f16 v2, v6, v43
	;; [unrolled: 1-line block ×4, first 2 shown]
	v_pk_max_f16 v5, v38, v38
	v_add_co_u32 v76, s3, v76, 16
	s_delay_alu instid0(VALU_DEP_1)
	v_add_co_ci_u32_e64 v77, s3, 0, v77, s3
	v_pk_min_f16 v20, v44, v12
	v_pk_add_f16 v38, v11, v1
	v_pk_add_f16 v61, v13, v2
	;; [unrolled: 1-line block ×4, first 2 shown]
	v_pk_min_f16 v1, v5, v42
	v_pk_min_f16 v2, v5, v43
	;; [unrolled: 1-line block ×5, first 2 shown]
	v_add_co_u32 v78, s3, v78, 16
	s_delay_alu instid0(VALU_DEP_1)
	v_add_co_ci_u32_e64 v79, s3, 0, v79, s3
	v_add_co_u32 v72, s3, v72, s8
	v_pk_add_f16 v48, v51, v20
	v_pk_add_f16 v55, v82, v18
	;; [unrolled: 1-line block ×8, first 2 shown]
	v_add_co_ci_u32_e64 v73, s3, s9, v73, s3
	s_add_i32 s25, s25, 8
	s_waitcnt vmcnt(0)
	ds_store_b16 v70, v81
	ds_store_b16 v71, v80
	ds_store_b16 v71, v0 offset:512
	s_cmp_ge_i32 s25, s12
	s_waitcnt lgkmcnt(0)
	s_barrier
	buffer_gl0_inv
	s_cbranch_scc1 .LBB286_36
.LBB286_24:                             ; =>This Inner Loop Header: Depth=1
	v_dual_mov_b32 v81, 0 :: v_dual_add_nc_u32 v80, s25, v30
	s_delay_alu instid0(VALU_DEP_1) | instskip(NEXT) | instid1(VALU_DEP_1)
	v_add_nc_u32_e32 v0, 8, v80
	v_cmp_gt_i32_e64 s3, s18, v0
	s_delay_alu instid0(VALU_DEP_1) | instskip(NEXT) | instid1(SALU_CYCLE_1)
	s_and_b32 s3, s24, s3
	s_and_saveexec_b32 s4, s3
	s_cbranch_execz .LBB286_26
; %bb.25:                               ;   in Loop: Header=BB286_24 Depth=1
	v_add_co_u32 v0, s3, v72, v26
	s_delay_alu instid0(VALU_DEP_1)
	v_add_co_ci_u32_e64 v1, s3, v73, v27, s3
	flat_load_u16 v81, v[0:1]
.LBB286_26:                             ;   in Loop: Header=BB286_24 Depth=1
	s_or_b32 exec_lo, exec_lo, s4
	v_dual_mov_b32 v83, 0 :: v_dual_add_nc_u32 v82, s25, v31
	v_mov_b32_e32 v84, 0
	s_delay_alu instid0(VALU_DEP_2) | instskip(NEXT) | instid1(VALU_DEP_1)
	v_add_nc_u32_e32 v0, 8, v82
	v_cmp_le_i32_e64 s3, s18, v0
	s_delay_alu instid0(VALU_DEP_1) | instskip(NEXT) | instid1(SALU_CYCLE_1)
	s_or_b32 s4, vcc_lo, s3
	s_xor_b32 s4, s4, -1
	s_delay_alu instid0(SALU_CYCLE_1)
	s_and_saveexec_b32 s13, s4
	s_cbranch_execz .LBB286_28
; %bb.27:                               ;   in Loop: Header=BB286_24 Depth=1
	v_add_co_u32 v0, s4, v76, v32
	s_delay_alu instid0(VALU_DEP_1)
	v_add_co_ci_u32_e64 v1, s4, 0, v77, s4
	flat_load_u16 v84, v[0:1] offset:16
.LBB286_28:                             ;   in Loop: Header=BB286_24 Depth=1
	s_or_b32 exec_lo, exec_lo, s13
	s_or_b32 s3, s2, s3
	s_delay_alu instid0(SALU_CYCLE_1) | instskip(NEXT) | instid1(SALU_CYCLE_1)
	s_xor_b32 s3, s3, -1
	s_and_saveexec_b32 s4, s3
	s_cbranch_execz .LBB286_30
; %bb.29:                               ;   in Loop: Header=BB286_24 Depth=1
	v_add_co_u32 v0, s3, v78, v32
	s_delay_alu instid0(VALU_DEP_1)
	v_add_co_ci_u32_e64 v1, s3, 0, v79, s3
	flat_load_u16 v83, v[0:1] offset:16
.LBB286_30:                             ;   in Loop: Header=BB286_24 Depth=1
	s_or_b32 exec_lo, exec_lo, s4
	ds_load_2addr_b64 v[0:3], v74 offset0:48 offset1:56
	ds_load_2addr_b64 v[12:15], v75 offset0:64 offset1:96
	ds_load_2addr_b64 v[20:23], v75 offset1:32
	ds_load_2addr_b64 v[16:19], v74 offset1:8
	ds_load_2addr_b64 v[8:11], v74 offset0:16 offset1:24
	ds_load_2addr_b64 v[4:7], v74 offset0:32 offset1:40
	v_add_nc_u32_e32 v80, 12, v80
	s_waitcnt vmcnt(0) lgkmcnt(6)
	ds_store_b16 v59, v81
	ds_store_b16 v35, v84
	ds_store_b16 v35, v83 offset:512
	v_mov_b32_e32 v81, 0
	s_waitcnt lgkmcnt(0)
	s_barrier
	v_cmp_gt_i32_e64 s3, s18, v80
	v_mov_b32_e32 v80, 0
	buffer_gl0_inv
	s_and_b32 s3, s24, s3
	s_delay_alu instid0(SALU_CYCLE_1)
	s_and_saveexec_b32 s4, s3
	s_cbranch_execz .LBB286_32
; %bb.31:                               ;   in Loop: Header=BB286_24 Depth=1
	v_add_co_u32 v83, s3, v72, v24
	s_delay_alu instid0(VALU_DEP_1)
	v_add_co_ci_u32_e64 v84, s3, v73, v25, s3
	flat_load_u16 v81, v[83:84]
.LBB286_32:                             ;   in Loop: Header=BB286_24 Depth=1
	s_or_b32 exec_lo, exec_lo, s4
	v_add_nc_u32_e32 v82, 12, v82
	s_delay_alu instid0(VALU_DEP_1) | instskip(NEXT) | instid1(VALU_DEP_1)
	v_cmp_le_i32_e64 s3, s18, v82
	s_or_b32 s4, vcc_lo, s3
	s_delay_alu instid0(SALU_CYCLE_1) | instskip(NEXT) | instid1(SALU_CYCLE_1)
	s_xor_b32 s4, s4, -1
	s_and_saveexec_b32 s13, s4
	s_cbranch_execz .LBB286_34
; %bb.33:                               ;   in Loop: Header=BB286_24 Depth=1
	v_add_co_u32 v82, s4, v76, v32
	s_delay_alu instid0(VALU_DEP_1)
	v_add_co_ci_u32_e64 v83, s4, 0, v77, s4
	flat_load_u16 v80, v[82:83] offset:24
.LBB286_34:                             ;   in Loop: Header=BB286_24 Depth=1
	s_or_b32 exec_lo, exec_lo, s13
	v_pk_max_f16 v102, v2, v2
	v_pk_max_f16 v98, v20, v20
	;; [unrolled: 1-line block ×12, first 2 shown]
	v_pk_min_f16 v2, v102, v98
	v_pk_min_f16 v12, v102, v99
	;; [unrolled: 1-line block ×25, first 2 shown]
	v_pk_max_f16 v0, v3, v3
	v_pk_max_f16 v21, v21, v21
	;; [unrolled: 1-line block ×9, first 2 shown]
	v_pk_min_f16 v112, v3, v21
	v_pk_min_f16 v113, v3, v23
	;; [unrolled: 1-line block ×4, first 2 shown]
	v_pk_max_f16 v3, v9, v9
	v_pk_max_f16 v7, v7, v7
	v_pk_max_f16 v1, v1, v1
	v_pk_min_f16 v22, v22, v103
	v_pk_min_f16 v84, v84, v103
	;; [unrolled: 1-line block ×35, first 2 shown]
	v_mov_b32_e32 v0, 0
	s_or_b32 s3, s2, s3
	s_delay_alu instid0(SALU_CYCLE_1) | instskip(NEXT) | instid1(SALU_CYCLE_1)
	s_xor_b32 s3, s3, -1
	s_and_saveexec_b32 s4, s3
	s_cbranch_execz .LBB286_23
; %bb.35:                               ;   in Loop: Header=BB286_24 Depth=1
	v_add_co_u32 v123, s3, v78, v32
	s_delay_alu instid0(VALU_DEP_1)
	v_add_co_ci_u32_e64 v124, s3, 0, v79, s3
	flat_load_u16 v0, v[123:124] offset:24
	s_branch .LBB286_23
.LBB286_36:
	s_clause 0x2
	s_load_b64 s[2:3], s[0:1], 0x70
	s_load_b32 s12, s[0:1], 0x50
	s_load_b32 s9, s[0:1], 0x68
	v_add_nc_u32_e32 v66, s14, v29
	v_add_nc_u32_e32 v8, 0x800, v34
	ds_load_2addr_b64 v[0:3], v33 offset0:192 offset1:224
	ds_load_2addr_b64 v[20:23], v33 offset0:128 offset1:160
	v_add_nc_u32_e32 v24, s5, v28
	ds_load_2addr_b64 v[4:7], v8 offset0:112 offset1:120
	ds_load_2addr_b64 v[16:19], v8 offset0:64 offset1:72
	ds_load_2addr_b64 v[12:15], v8 offset0:80 offset1:88
	ds_load_2addr_b64 v[8:11], v8 offset0:96 offset1:104
	v_cmp_gt_i32_e64 s8, s17, v66
	v_cndmask_b32_e64 v59, 0, 1, s22
	s_waitcnt lgkmcnt(0)
	s_mul_i32 s0, s15, s3
	v_mad_i64_i32 v[25:26], null, v66, s12, 0
	v_mad_i64_i32 v[27:28], null, v66, s9, 0
	s_mul_hi_u32 s1, s15, s2
	s_mul_i32 s3, s23, s2
	s_add_i32 s1, s1, s0
	s_mul_i32 s0, s15, s2
	s_delay_alu instid0(VALU_DEP_2) | instskip(SKIP_1) | instid1(VALU_DEP_2)
	v_lshlrev_b64 v[25:26], 1, v[25:26]
	s_add_i32 s1, s1, s3
	v_lshlrev_b64 v[27:28], 1, v[27:28]
	s_lshl_b64 s[0:1], s[0:1], 1
	s_delay_alu instid0(SALU_CYCLE_1) | instskip(NEXT) | instid1(VALU_DEP_2)
	s_add_u32 s13, s6, s0
	v_add_co_u32 v72, vcc_lo, s10, v25
	v_add_co_ci_u32_e32 v73, vcc_lo, s11, v26, vcc_lo
	s_addc_u32 s14, s7, s1
	v_add_co_u32 v70, vcc_lo, s13, v27
	v_cmp_gt_i32_e64 s0, s16, v24
	v_add_co_ci_u32_e32 v71, vcc_lo, s14, v28, vcc_lo
	v_ashrrev_i32_e32 v25, 31, v24
	s_delay_alu instid0(VALU_DEP_3) | instskip(NEXT) | instid1(SALU_CYCLE_1)
	s_and_b32 s2, s0, s8
	s_and_saveexec_b32 s1, s2
	s_cbranch_execz .LBB286_41
; %bb.37:
	s_delay_alu instid0(VALU_DEP_1)
	v_lshlrev_b64 v[26:27], 1, v[24:25]
	s_and_not1_b32 vcc_lo, exec_lo, s22
	s_cbranch_vccnz .LBB286_39
; %bb.38:
	s_delay_alu instid0(VALU_DEP_1) | instskip(NEXT) | instid1(VALU_DEP_2)
	v_add_co_u32 v28, vcc_lo, v72, v26
	v_add_co_ci_u32_e32 v29, vcc_lo, v73, v27, vcc_lo
	flat_load_u16 v28, v[28:29]
	s_waitcnt vmcnt(0) lgkmcnt(0)
	v_mul_f16_e32 v28, s19, v28
	s_branch .LBB286_40
.LBB286_39:
	v_mov_b32_e32 v28, 0
.LBB286_40:
	v_pk_max_f16 v29, v20, v20
	v_pk_max_f16 v30, v16, v16
	;; [unrolled: 1-line block ×4, first 2 shown]
	v_add_co_u32 v26, vcc_lo, v70, v26
	s_delay_alu instid0(VALU_DEP_4) | instskip(SKIP_1) | instid1(VALU_DEP_4)
	v_pk_min_f16 v29, v30, v29
	v_add_co_ci_u32_e32 v27, vcc_lo, v71, v27, vcc_lo
	v_pk_min_f16 v30, v32, v31
	s_delay_alu instid0(VALU_DEP_3) | instskip(NEXT) | instid1(VALU_DEP_1)
	v_pk_add_f16 v29, v69, v29
	v_pk_add_f16 v29, v29, v30
	s_delay_alu instid0(VALU_DEP_1) | instskip(NEXT) | instid1(VALU_DEP_1)
	v_lshrrev_b32_e32 v30, 16, v29
	v_add_f16_e32 v29, v29, v30
	s_delay_alu instid0(VALU_DEP_1)
	v_add_f16_e32 v28, v29, v28
	global_store_b16 v[26:27], v28, off
.LBB286_41:
	s_or_b32 exec_lo, exec_lo, s1
	v_add_nc_u32_e32 v26, 8, v24
	s_delay_alu instid0(VALU_DEP_1) | instskip(SKIP_1) | instid1(VALU_DEP_2)
	v_cmp_gt_i32_e64 s1, s16, v26
	v_ashrrev_i32_e32 v27, 31, v26
	s_and_b32 s3, s1, s8
	s_delay_alu instid0(SALU_CYCLE_1)
	s_and_saveexec_b32 s2, s3
	s_cbranch_execz .LBB286_46
; %bb.42:
	v_cmp_ne_u32_e32 vcc_lo, 1, v59
	v_lshlrev_b64 v[28:29], 1, v[26:27]
	s_cbranch_vccnz .LBB286_44
; %bb.43:
	s_delay_alu instid0(VALU_DEP_1) | instskip(NEXT) | instid1(VALU_DEP_2)
	v_add_co_u32 v30, vcc_lo, v72, v28
	v_add_co_ci_u32_e32 v31, vcc_lo, v73, v29, vcc_lo
	flat_load_u16 v30, v[30:31]
	s_waitcnt vmcnt(0) lgkmcnt(0)
	v_mul_f16_e32 v30, s19, v30
	s_branch .LBB286_45
.LBB286_44:
	v_mov_b32_e32 v30, 0
.LBB286_45:
	v_pk_max_f16 v31, v20, v20
	v_pk_max_f16 v32, v18, v18
	v_pk_max_f16 v33, v21, v21
	v_pk_max_f16 v34, v19, v19
	v_add_co_u32 v28, vcc_lo, v70, v28
	s_delay_alu instid0(VALU_DEP_4) | instskip(SKIP_1) | instid1(VALU_DEP_4)
	v_pk_min_f16 v31, v32, v31
	v_add_co_ci_u32_e32 v29, vcc_lo, v71, v29, vcc_lo
	v_pk_min_f16 v32, v34, v33
	s_delay_alu instid0(VALU_DEP_3) | instskip(NEXT) | instid1(VALU_DEP_1)
	v_pk_add_f16 v31, v41, v31
	v_pk_add_f16 v31, v31, v32
	s_delay_alu instid0(VALU_DEP_1) | instskip(NEXT) | instid1(VALU_DEP_1)
	v_lshrrev_b32_e32 v32, 16, v31
	v_add_f16_e32 v31, v31, v32
	s_delay_alu instid0(VALU_DEP_1)
	v_add_f16_e32 v30, v31, v30
	global_store_b16 v[28:29], v30, off
.LBB286_46:
	s_or_b32 exec_lo, exec_lo, s2
	v_add_nc_u32_e32 v28, 16, v24
	s_delay_alu instid0(VALU_DEP_1) | instskip(SKIP_1) | instid1(VALU_DEP_2)
	v_cmp_gt_i32_e64 s2, s16, v28
	v_ashrrev_i32_e32 v29, 31, v28
	s_and_b32 s4, s2, s8
	s_delay_alu instid0(SALU_CYCLE_1)
	s_and_saveexec_b32 s3, s4
	s_cbranch_execz .LBB286_51
; %bb.47:
	v_cmp_ne_u32_e32 vcc_lo, 1, v59
	v_lshlrev_b64 v[30:31], 1, v[28:29]
	s_cbranch_vccnz .LBB286_49
; %bb.48:
	s_delay_alu instid0(VALU_DEP_1) | instskip(NEXT) | instid1(VALU_DEP_2)
	v_add_co_u32 v32, vcc_lo, v72, v30
	v_add_co_ci_u32_e32 v33, vcc_lo, v73, v31, vcc_lo
	flat_load_u16 v32, v[32:33]
	s_waitcnt vmcnt(0) lgkmcnt(0)
	v_mul_f16_e32 v32, s19, v32
	s_branch .LBB286_50
.LBB286_49:
	v_mov_b32_e32 v32, 0
.LBB286_50:
	v_pk_max_f16 v33, v20, v20
	v_pk_max_f16 v34, v12, v12
	v_pk_max_f16 v35, v21, v21
	v_pk_max_f16 v41, v13, v13
	v_add_co_u32 v30, vcc_lo, v70, v30
	s_delay_alu instid0(VALU_DEP_4) | instskip(SKIP_1) | instid1(VALU_DEP_4)
	v_pk_min_f16 v33, v34, v33
	v_add_co_ci_u32_e32 v31, vcc_lo, v71, v31, vcc_lo
	v_pk_min_f16 v34, v41, v35
	s_delay_alu instid0(VALU_DEP_3) | instskip(NEXT) | instid1(VALU_DEP_1)
	v_pk_add_f16 v33, v39, v33
	v_pk_add_f16 v33, v33, v34
	s_delay_alu instid0(VALU_DEP_1) | instskip(NEXT) | instid1(VALU_DEP_1)
	v_lshrrev_b32_e32 v34, 16, v33
	v_add_f16_e32 v33, v33, v34
	s_delay_alu instid0(VALU_DEP_1)
	v_add_f16_e32 v32, v33, v32
	global_store_b16 v[30:31], v32, off
.LBB286_51:
	;; [unrolled: 43-line block ×6, first 2 shown]
	s_or_b32 exec_lo, exec_lo, s7
	v_add_nc_u32_e32 v38, 56, v24
	s_delay_alu instid0(VALU_DEP_1) | instskip(SKIP_1) | instid1(VALU_DEP_2)
	v_cmp_gt_i32_e64 s7, s16, v38
	v_ashrrev_i32_e32 v39, 31, v38
	s_and_b32 s15, s7, s8
	s_delay_alu instid0(SALU_CYCLE_1)
	s_and_saveexec_b32 s8, s15
	s_cbranch_execz .LBB286_76
; %bb.72:
	v_cmp_ne_u32_e32 vcc_lo, 1, v59
	v_lshlrev_b64 v[40:41], 1, v[38:39]
	s_cbranch_vccnz .LBB286_74
; %bb.73:
	s_delay_alu instid0(VALU_DEP_1) | instskip(NEXT) | instid1(VALU_DEP_2)
	v_add_co_u32 v72, vcc_lo, v72, v40
	v_add_co_ci_u32_e32 v73, vcc_lo, v73, v41, vcc_lo
	flat_load_u16 v69, v[72:73]
	s_waitcnt vmcnt(0) lgkmcnt(0)
	v_mul_f16_e32 v69, s19, v69
	s_branch .LBB286_75
.LBB286_74:
	v_mov_b32_e32 v69, 0
.LBB286_75:
	v_pk_max_f16 v20, v20, v20
	v_pk_max_f16 v72, v6, v6
	;; [unrolled: 1-line block ×4, first 2 shown]
	s_delay_alu instid0(VALU_DEP_3) | instskip(NEXT) | instid1(VALU_DEP_2)
	v_pk_min_f16 v20, v72, v20
	v_pk_min_f16 v21, v73, v21
	s_delay_alu instid0(VALU_DEP_2) | instskip(NEXT) | instid1(VALU_DEP_1)
	v_pk_add_f16 v20, v68, v20
	v_pk_add_f16 v20, v20, v21
	s_delay_alu instid0(VALU_DEP_1) | instskip(NEXT) | instid1(VALU_DEP_1)
	v_lshrrev_b32_e32 v21, 16, v20
	v_add_f16_e32 v20, v20, v21
	s_delay_alu instid0(VALU_DEP_1)
	v_add_f16_e32 v68, v20, v69
	v_add_co_u32 v20, vcc_lo, v70, v40
	v_add_co_ci_u32_e32 v21, vcc_lo, v71, v41, vcc_lo
	global_store_b16 v[20:21], v68, off
.LBB286_76:
	s_or_b32 exec_lo, exec_lo, s8
	v_add_nc_u32_e32 v68, 32, v66
	s_delay_alu instid0(VALU_DEP_1) | instskip(SKIP_2) | instid1(VALU_DEP_3)
	v_mad_i64_i32 v[20:21], null, v68, s12, 0
	v_mad_i64_i32 v[40:41], null, v68, s9, 0
	v_cmp_gt_i32_e64 s8, s17, v68
	v_lshlrev_b64 v[20:21], 1, v[20:21]
	s_delay_alu instid0(VALU_DEP_2) | instskip(NEXT) | instid1(VALU_DEP_3)
	s_and_b32 s16, s0, s8
	v_lshlrev_b64 v[40:41], 1, v[40:41]
	s_delay_alu instid0(VALU_DEP_2) | instskip(NEXT) | instid1(VALU_DEP_3)
	v_add_co_u32 v68, vcc_lo, s10, v20
	v_add_co_ci_u32_e32 v69, vcc_lo, s11, v21, vcc_lo
	s_delay_alu instid0(VALU_DEP_3) | instskip(NEXT) | instid1(VALU_DEP_4)
	v_add_co_u32 v40, vcc_lo, s13, v40
	v_add_co_ci_u32_e32 v41, vcc_lo, s14, v41, vcc_lo
	s_and_saveexec_b32 s15, s16
	s_cbranch_execnz .LBB286_84
; %bb.77:
	s_or_b32 exec_lo, exec_lo, s15
	s_and_b32 s16, s1, s8
	s_delay_alu instid0(SALU_CYCLE_1)
	s_and_saveexec_b32 s15, s16
	s_cbranch_execnz .LBB286_88
.LBB286_78:
	s_or_b32 exec_lo, exec_lo, s15
	s_and_b32 s16, s2, s8
	s_delay_alu instid0(SALU_CYCLE_1)
	s_and_saveexec_b32 s15, s16
	s_cbranch_execnz .LBB286_92
.LBB286_79:
	s_or_b32 exec_lo, exec_lo, s15
	s_and_b32 s16, s3, s8
	s_delay_alu instid0(SALU_CYCLE_1)
	s_and_saveexec_b32 s15, s16
	s_cbranch_execnz .LBB286_96
.LBB286_80:
	s_or_b32 exec_lo, exec_lo, s15
	s_and_b32 s16, s4, s8
	s_delay_alu instid0(SALU_CYCLE_1)
	s_and_saveexec_b32 s15, s16
	s_cbranch_execnz .LBB286_100
.LBB286_81:
	s_or_b32 exec_lo, exec_lo, s15
	s_and_b32 s16, s5, s8
	s_delay_alu instid0(SALU_CYCLE_1)
	s_and_saveexec_b32 s15, s16
	s_cbranch_execnz .LBB286_104
.LBB286_82:
	s_or_b32 exec_lo, exec_lo, s15
	s_and_b32 s16, s6, s8
	s_delay_alu instid0(SALU_CYCLE_1)
	s_and_saveexec_b32 s15, s16
	s_cbranch_execnz .LBB286_108
.LBB286_83:
	s_or_b32 exec_lo, exec_lo, s15
	s_and_b32 s15, s7, s8
	s_delay_alu instid0(SALU_CYCLE_1)
	s_and_saveexec_b32 s8, s15
	s_cbranch_execnz .LBB286_112
	s_branch .LBB286_116
.LBB286_84:
	v_cmp_ne_u32_e32 vcc_lo, 1, v59
	v_lshlrev_b64 v[20:21], 1, v[24:25]
	s_cbranch_vccnz .LBB286_86
; %bb.85:
	s_delay_alu instid0(VALU_DEP_1) | instskip(NEXT) | instid1(VALU_DEP_2)
	v_add_co_u32 v70, vcc_lo, v68, v20
	v_add_co_ci_u32_e32 v71, vcc_lo, v69, v21, vcc_lo
	flat_load_u16 v70, v[70:71]
	s_waitcnt vmcnt(0) lgkmcnt(0)
	v_mul_f16_e32 v70, s19, v70
	s_branch .LBB286_87
.LBB286_86:
	v_mov_b32_e32 v70, 0
.LBB286_87:
	v_pk_max_f16 v71, v22, v22
	v_pk_max_f16 v72, v16, v16
	;; [unrolled: 1-line block ×4, first 2 shown]
	v_add_co_u32 v20, vcc_lo, v40, v20
	s_delay_alu instid0(VALU_DEP_4) | instskip(SKIP_1) | instid1(VALU_DEP_4)
	v_pk_min_f16 v71, v72, v71
	v_add_co_ci_u32_e32 v21, vcc_lo, v41, v21, vcc_lo
	v_pk_min_f16 v72, v74, v73
	s_delay_alu instid0(VALU_DEP_3) | instskip(NEXT) | instid1(VALU_DEP_1)
	v_pk_add_f16 v67, v67, v71
	v_pk_add_f16 v67, v67, v72
	s_delay_alu instid0(VALU_DEP_1) | instskip(NEXT) | instid1(VALU_DEP_1)
	v_lshrrev_b32_e32 v71, 16, v67
	v_add_f16_e32 v67, v67, v71
	s_delay_alu instid0(VALU_DEP_1) | instskip(SKIP_3) | instid1(SALU_CYCLE_1)
	v_add_f16_e32 v67, v67, v70
	global_store_b16 v[20:21], v67, off
	s_or_b32 exec_lo, exec_lo, s15
	s_and_b32 s16, s1, s8
	s_and_saveexec_b32 s15, s16
	s_cbranch_execz .LBB286_78
.LBB286_88:
	v_cmp_ne_u32_e32 vcc_lo, 1, v59
	v_lshlrev_b64 v[20:21], 1, v[26:27]
	s_cbranch_vccnz .LBB286_90
; %bb.89:
	s_delay_alu instid0(VALU_DEP_1) | instskip(NEXT) | instid1(VALU_DEP_2)
	v_add_co_u32 v70, vcc_lo, v68, v20
	v_add_co_ci_u32_e32 v71, vcc_lo, v69, v21, vcc_lo
	flat_load_u16 v67, v[70:71]
	s_waitcnt vmcnt(0) lgkmcnt(0)
	v_mul_f16_e32 v67, s19, v67
	s_branch .LBB286_91
.LBB286_90:
	v_mov_b32_e32 v67, 0
.LBB286_91:
	v_pk_max_f16 v70, v22, v22
	v_pk_max_f16 v71, v18, v18
	v_pk_max_f16 v72, v23, v23
	v_pk_max_f16 v73, v19, v19
	v_add_co_u32 v20, vcc_lo, v40, v20
	s_delay_alu instid0(VALU_DEP_4) | instskip(SKIP_1) | instid1(VALU_DEP_4)
	v_pk_min_f16 v70, v71, v70
	v_add_co_ci_u32_e32 v21, vcc_lo, v41, v21, vcc_lo
	v_pk_min_f16 v71, v73, v72
	s_delay_alu instid0(VALU_DEP_3) | instskip(NEXT) | instid1(VALU_DEP_1)
	v_pk_add_f16 v65, v65, v70
	v_pk_add_f16 v65, v65, v71
	s_delay_alu instid0(VALU_DEP_1) | instskip(NEXT) | instid1(VALU_DEP_1)
	v_lshrrev_b32_e32 v70, 16, v65
	v_add_f16_e32 v65, v65, v70
	s_delay_alu instid0(VALU_DEP_1) | instskip(SKIP_3) | instid1(SALU_CYCLE_1)
	v_add_f16_e32 v65, v65, v67
	global_store_b16 v[20:21], v65, off
	s_or_b32 exec_lo, exec_lo, s15
	s_and_b32 s16, s2, s8
	s_and_saveexec_b32 s15, s16
	s_cbranch_execz .LBB286_79
.LBB286_92:
	v_cmp_ne_u32_e32 vcc_lo, 1, v59
	v_lshlrev_b64 v[20:21], 1, v[28:29]
	s_cbranch_vccnz .LBB286_94
; %bb.93:
	s_delay_alu instid0(VALU_DEP_1) | instskip(NEXT) | instid1(VALU_DEP_2)
	v_add_co_u32 v70, vcc_lo, v68, v20
	v_add_co_ci_u32_e32 v71, vcc_lo, v69, v21, vcc_lo
	flat_load_u16 v65, v[70:71]
	s_waitcnt vmcnt(0) lgkmcnt(0)
	v_mul_f16_e32 v65, s19, v65
	s_branch .LBB286_95
.LBB286_94:
	v_mov_b32_e32 v65, 0
.LBB286_95:
	v_pk_max_f16 v67, v22, v22
	v_pk_max_f16 v70, v12, v12
	;; [unrolled: 1-line block ×4, first 2 shown]
	v_add_co_u32 v20, vcc_lo, v40, v20
	s_delay_alu instid0(VALU_DEP_4) | instskip(SKIP_1) | instid1(VALU_DEP_4)
	v_pk_min_f16 v67, v70, v67
	v_add_co_ci_u32_e32 v21, vcc_lo, v41, v21, vcc_lo
	v_pk_min_f16 v70, v72, v71
	s_delay_alu instid0(VALU_DEP_3) | instskip(NEXT) | instid1(VALU_DEP_1)
	v_pk_add_f16 v64, v64, v67
	v_pk_add_f16 v64, v64, v70
	s_delay_alu instid0(VALU_DEP_1) | instskip(NEXT) | instid1(VALU_DEP_1)
	v_lshrrev_b32_e32 v67, 16, v64
	v_add_f16_e32 v64, v64, v67
	s_delay_alu instid0(VALU_DEP_1) | instskip(SKIP_3) | instid1(SALU_CYCLE_1)
	v_add_f16_e32 v64, v64, v65
	global_store_b16 v[20:21], v64, off
	s_or_b32 exec_lo, exec_lo, s15
	s_and_b32 s16, s3, s8
	s_and_saveexec_b32 s15, s16
	s_cbranch_execz .LBB286_80
.LBB286_96:
	v_cmp_ne_u32_e32 vcc_lo, 1, v59
	v_lshlrev_b64 v[20:21], 1, v[30:31]
	s_cbranch_vccnz .LBB286_98
; %bb.97:
	s_delay_alu instid0(VALU_DEP_1) | instskip(NEXT) | instid1(VALU_DEP_2)
	v_add_co_u32 v64, vcc_lo, v68, v20
	v_add_co_ci_u32_e32 v65, vcc_lo, v69, v21, vcc_lo
	flat_load_u16 v64, v[64:65]
	s_waitcnt vmcnt(0) lgkmcnt(0)
	v_mul_f16_e32 v64, s19, v64
	s_branch .LBB286_99
.LBB286_98:
	v_mov_b32_e32 v64, 0
.LBB286_99:
	v_pk_max_f16 v65, v22, v22
	v_pk_max_f16 v67, v14, v14
	;; [unrolled: 1-line block ×4, first 2 shown]
	v_add_co_u32 v20, vcc_lo, v40, v20
	s_delay_alu instid0(VALU_DEP_4) | instskip(SKIP_1) | instid1(VALU_DEP_4)
	v_pk_min_f16 v65, v67, v65
	v_add_co_ci_u32_e32 v21, vcc_lo, v41, v21, vcc_lo
	v_pk_min_f16 v67, v71, v70
	s_delay_alu instid0(VALU_DEP_3) | instskip(NEXT) | instid1(VALU_DEP_1)
	v_pk_add_f16 v63, v63, v65
	v_pk_add_f16 v63, v63, v67
	s_delay_alu instid0(VALU_DEP_1) | instskip(NEXT) | instid1(VALU_DEP_1)
	v_lshrrev_b32_e32 v65, 16, v63
	v_add_f16_e32 v63, v63, v65
	s_delay_alu instid0(VALU_DEP_1) | instskip(SKIP_3) | instid1(SALU_CYCLE_1)
	v_add_f16_e32 v63, v63, v64
	global_store_b16 v[20:21], v63, off
	s_or_b32 exec_lo, exec_lo, s15
	s_and_b32 s16, s4, s8
	s_and_saveexec_b32 s15, s16
	s_cbranch_execz .LBB286_81
.LBB286_100:
	v_cmp_ne_u32_e32 vcc_lo, 1, v59
	v_lshlrev_b64 v[20:21], 1, v[32:33]
	s_cbranch_vccnz .LBB286_102
; %bb.101:
	s_delay_alu instid0(VALU_DEP_1) | instskip(NEXT) | instid1(VALU_DEP_2)
	v_add_co_u32 v63, vcc_lo, v68, v20
	v_add_co_ci_u32_e32 v64, vcc_lo, v69, v21, vcc_lo
	flat_load_u16 v63, v[63:64]
	s_waitcnt vmcnt(0) lgkmcnt(0)
	v_mul_f16_e32 v63, s19, v63
	s_branch .LBB286_103
.LBB286_102:
	v_mov_b32_e32 v63, 0
.LBB286_103:
	v_pk_max_f16 v64, v22, v22
	v_pk_max_f16 v65, v8, v8
	;; [unrolled: 1-line block ×4, first 2 shown]
	v_add_co_u32 v20, vcc_lo, v40, v20
	s_delay_alu instid0(VALU_DEP_4) | instskip(SKIP_1) | instid1(VALU_DEP_4)
	v_pk_min_f16 v64, v65, v64
	v_add_co_ci_u32_e32 v21, vcc_lo, v41, v21, vcc_lo
	v_pk_min_f16 v65, v70, v67
	s_delay_alu instid0(VALU_DEP_3) | instskip(NEXT) | instid1(VALU_DEP_1)
	v_pk_add_f16 v62, v62, v64
	v_pk_add_f16 v62, v62, v65
	s_delay_alu instid0(VALU_DEP_1) | instskip(NEXT) | instid1(VALU_DEP_1)
	v_lshrrev_b32_e32 v64, 16, v62
	v_add_f16_e32 v62, v62, v64
	s_delay_alu instid0(VALU_DEP_1) | instskip(SKIP_3) | instid1(SALU_CYCLE_1)
	v_add_f16_e32 v62, v62, v63
	global_store_b16 v[20:21], v62, off
	s_or_b32 exec_lo, exec_lo, s15
	s_and_b32 s16, s5, s8
	s_and_saveexec_b32 s15, s16
	s_cbranch_execz .LBB286_82
.LBB286_104:
	v_cmp_ne_u32_e32 vcc_lo, 1, v59
	v_lshlrev_b64 v[20:21], 1, v[34:35]
	s_cbranch_vccnz .LBB286_106
; %bb.105:
	s_delay_alu instid0(VALU_DEP_1) | instskip(NEXT) | instid1(VALU_DEP_2)
	v_add_co_u32 v62, vcc_lo, v68, v20
	v_add_co_ci_u32_e32 v63, vcc_lo, v69, v21, vcc_lo
	flat_load_u16 v62, v[62:63]
	s_waitcnt vmcnt(0) lgkmcnt(0)
	v_mul_f16_e32 v62, s19, v62
	s_branch .LBB286_107
.LBB286_106:
	v_mov_b32_e32 v62, 0
.LBB286_107:
	v_pk_max_f16 v63, v22, v22
	v_pk_max_f16 v64, v10, v10
	;; [unrolled: 1-line block ×4, first 2 shown]
	v_add_co_u32 v20, vcc_lo, v40, v20
	s_delay_alu instid0(VALU_DEP_4) | instskip(SKIP_1) | instid1(VALU_DEP_4)
	v_pk_min_f16 v63, v64, v63
	v_add_co_ci_u32_e32 v21, vcc_lo, v41, v21, vcc_lo
	v_pk_min_f16 v64, v67, v65
	s_delay_alu instid0(VALU_DEP_3) | instskip(NEXT) | instid1(VALU_DEP_1)
	v_pk_add_f16 v61, v61, v63
	v_pk_add_f16 v61, v61, v64
	s_delay_alu instid0(VALU_DEP_1) | instskip(NEXT) | instid1(VALU_DEP_1)
	v_lshrrev_b32_e32 v63, 16, v61
	v_add_f16_e32 v61, v61, v63
	s_delay_alu instid0(VALU_DEP_1) | instskip(SKIP_3) | instid1(SALU_CYCLE_1)
	v_add_f16_e32 v61, v61, v62
	global_store_b16 v[20:21], v61, off
	s_or_b32 exec_lo, exec_lo, s15
	s_and_b32 s16, s6, s8
	s_and_saveexec_b32 s15, s16
	s_cbranch_execz .LBB286_83
.LBB286_108:
	v_cmp_ne_u32_e32 vcc_lo, 1, v59
	v_lshlrev_b64 v[20:21], 1, v[36:37]
	s_cbranch_vccnz .LBB286_110
; %bb.109:
	s_delay_alu instid0(VALU_DEP_1) | instskip(NEXT) | instid1(VALU_DEP_2)
	v_add_co_u32 v61, vcc_lo, v68, v20
	v_add_co_ci_u32_e32 v62, vcc_lo, v69, v21, vcc_lo
	flat_load_u16 v61, v[61:62]
	s_waitcnt vmcnt(0) lgkmcnt(0)
	v_mul_f16_e32 v61, s19, v61
	s_branch .LBB286_111
.LBB286_110:
	v_mov_b32_e32 v61, 0
.LBB286_111:
	v_pk_max_f16 v62, v22, v22
	v_pk_max_f16 v63, v4, v4
	;; [unrolled: 1-line block ×4, first 2 shown]
	v_add_co_u32 v20, vcc_lo, v40, v20
	s_delay_alu instid0(VALU_DEP_4) | instskip(SKIP_1) | instid1(VALU_DEP_4)
	v_pk_min_f16 v62, v63, v62
	v_add_co_ci_u32_e32 v21, vcc_lo, v41, v21, vcc_lo
	v_pk_min_f16 v63, v65, v64
	s_delay_alu instid0(VALU_DEP_3) | instskip(NEXT) | instid1(VALU_DEP_1)
	v_pk_add_f16 v60, v60, v62
	v_pk_add_f16 v60, v60, v63
	s_delay_alu instid0(VALU_DEP_1) | instskip(NEXT) | instid1(VALU_DEP_1)
	v_lshrrev_b32_e32 v62, 16, v60
	v_add_f16_e32 v60, v60, v62
	s_delay_alu instid0(VALU_DEP_1) | instskip(SKIP_3) | instid1(SALU_CYCLE_1)
	v_add_f16_e32 v60, v60, v61
	global_store_b16 v[20:21], v60, off
	s_or_b32 exec_lo, exec_lo, s15
	s_and_b32 s15, s7, s8
	s_and_saveexec_b32 s8, s15
	s_cbranch_execz .LBB286_116
.LBB286_112:
	v_cmp_ne_u32_e32 vcc_lo, 1, v59
	v_lshlrev_b64 v[20:21], 1, v[38:39]
	s_cbranch_vccnz .LBB286_114
; %bb.113:
	s_delay_alu instid0(VALU_DEP_1) | instskip(NEXT) | instid1(VALU_DEP_2)
	v_add_co_u32 v60, vcc_lo, v68, v20
	v_add_co_ci_u32_e32 v61, vcc_lo, v69, v21, vcc_lo
	flat_load_u16 v60, v[60:61]
	s_waitcnt vmcnt(0) lgkmcnt(0)
	v_mul_f16_e32 v60, s19, v60
	s_branch .LBB286_115
.LBB286_114:
	v_mov_b32_e32 v60, 0
.LBB286_115:
	v_pk_max_f16 v22, v22, v22
	v_pk_max_f16 v61, v6, v6
	;; [unrolled: 1-line block ×4, first 2 shown]
	v_add_co_u32 v20, vcc_lo, v40, v20
	s_delay_alu instid0(VALU_DEP_4) | instskip(SKIP_1) | instid1(VALU_DEP_4)
	v_pk_min_f16 v22, v61, v22
	v_add_co_ci_u32_e32 v21, vcc_lo, v41, v21, vcc_lo
	v_pk_min_f16 v23, v62, v23
	s_delay_alu instid0(VALU_DEP_3) | instskip(NEXT) | instid1(VALU_DEP_1)
	v_pk_add_f16 v22, v58, v22
	v_pk_add_f16 v22, v22, v23
	s_delay_alu instid0(VALU_DEP_1) | instskip(NEXT) | instid1(VALU_DEP_1)
	v_lshrrev_b32_e32 v23, 16, v22
	v_add_f16_e32 v22, v22, v23
	s_delay_alu instid0(VALU_DEP_1)
	v_add_f16_e32 v22, v22, v60
	global_store_b16 v[20:21], v22, off
.LBB286_116:
	s_or_b32 exec_lo, exec_lo, s8
	v_add_nc_u32_e32 v40, 64, v66
	s_delay_alu instid0(VALU_DEP_1) | instskip(SKIP_2) | instid1(VALU_DEP_3)
	v_mad_i64_i32 v[20:21], null, v40, s12, 0
	v_mad_i64_i32 v[22:23], null, v40, s9, 0
	v_cmp_gt_i32_e64 s8, s17, v40
	v_lshlrev_b64 v[20:21], 1, v[20:21]
	s_delay_alu instid0(VALU_DEP_2) | instskip(NEXT) | instid1(VALU_DEP_3)
	s_and_b32 s16, s0, s8
	v_lshlrev_b64 v[22:23], 1, v[22:23]
	s_delay_alu instid0(VALU_DEP_2) | instskip(NEXT) | instid1(VALU_DEP_3)
	v_add_co_u32 v40, vcc_lo, s10, v20
	v_add_co_ci_u32_e32 v41, vcc_lo, s11, v21, vcc_lo
	s_delay_alu instid0(VALU_DEP_3) | instskip(NEXT) | instid1(VALU_DEP_4)
	v_add_co_u32 v22, vcc_lo, s13, v22
	v_add_co_ci_u32_e32 v23, vcc_lo, s14, v23, vcc_lo
	s_and_saveexec_b32 s15, s16
	s_cbranch_execnz .LBB286_124
; %bb.117:
	s_or_b32 exec_lo, exec_lo, s15
	s_and_b32 s16, s1, s8
	s_delay_alu instid0(SALU_CYCLE_1)
	s_and_saveexec_b32 s15, s16
	s_cbranch_execnz .LBB286_128
.LBB286_118:
	s_or_b32 exec_lo, exec_lo, s15
	s_and_b32 s16, s2, s8
	s_delay_alu instid0(SALU_CYCLE_1)
	s_and_saveexec_b32 s15, s16
	s_cbranch_execnz .LBB286_132
.LBB286_119:
	s_or_b32 exec_lo, exec_lo, s15
	s_and_b32 s16, s3, s8
	s_delay_alu instid0(SALU_CYCLE_1)
	s_and_saveexec_b32 s15, s16
	s_cbranch_execnz .LBB286_136
.LBB286_120:
	s_or_b32 exec_lo, exec_lo, s15
	s_and_b32 s16, s4, s8
	s_delay_alu instid0(SALU_CYCLE_1)
	s_and_saveexec_b32 s15, s16
	s_cbranch_execnz .LBB286_140
.LBB286_121:
	s_or_b32 exec_lo, exec_lo, s15
	s_and_b32 s16, s5, s8
	s_delay_alu instid0(SALU_CYCLE_1)
	s_and_saveexec_b32 s15, s16
	s_cbranch_execnz .LBB286_144
.LBB286_122:
	s_or_b32 exec_lo, exec_lo, s15
	s_and_b32 s16, s6, s8
	s_delay_alu instid0(SALU_CYCLE_1)
	s_and_saveexec_b32 s15, s16
	s_cbranch_execnz .LBB286_148
.LBB286_123:
	s_or_b32 exec_lo, exec_lo, s15
	s_and_b32 s15, s7, s8
	s_delay_alu instid0(SALU_CYCLE_1)
	s_and_saveexec_b32 s8, s15
	s_cbranch_execnz .LBB286_152
	s_branch .LBB286_156
.LBB286_124:
	v_cmp_ne_u32_e32 vcc_lo, 1, v59
	v_lshlrev_b64 v[20:21], 1, v[24:25]
	s_cbranch_vccnz .LBB286_126
; %bb.125:
	s_delay_alu instid0(VALU_DEP_1) | instskip(NEXT) | instid1(VALU_DEP_2)
	v_add_co_u32 v60, vcc_lo, v40, v20
	v_add_co_ci_u32_e32 v61, vcc_lo, v41, v21, vcc_lo
	flat_load_u16 v58, v[60:61]
	s_waitcnt vmcnt(0) lgkmcnt(0)
	v_mul_f16_e32 v58, s19, v58
	s_branch .LBB286_127
.LBB286_126:
	v_mov_b32_e32 v58, 0
.LBB286_127:
	v_pk_max_f16 v60, v0, v0
	v_pk_max_f16 v61, v16, v16
	v_pk_max_f16 v62, v1, v1
	v_pk_max_f16 v63, v17, v17
	v_add_co_u32 v20, vcc_lo, v22, v20
	s_delay_alu instid0(VALU_DEP_4) | instskip(SKIP_1) | instid1(VALU_DEP_4)
	v_pk_min_f16 v60, v61, v60
	v_add_co_ci_u32_e32 v21, vcc_lo, v23, v21, vcc_lo
	v_pk_min_f16 v61, v63, v62
	s_delay_alu instid0(VALU_DEP_3) | instskip(NEXT) | instid1(VALU_DEP_1)
	v_pk_add_f16 v57, v57, v60
	v_pk_add_f16 v57, v57, v61
	s_delay_alu instid0(VALU_DEP_1) | instskip(NEXT) | instid1(VALU_DEP_1)
	v_lshrrev_b32_e32 v60, 16, v57
	v_add_f16_e32 v57, v57, v60
	s_delay_alu instid0(VALU_DEP_1) | instskip(SKIP_3) | instid1(SALU_CYCLE_1)
	v_add_f16_e32 v57, v57, v58
	global_store_b16 v[20:21], v57, off
	s_or_b32 exec_lo, exec_lo, s15
	s_and_b32 s16, s1, s8
	s_and_saveexec_b32 s15, s16
	s_cbranch_execz .LBB286_118
.LBB286_128:
	v_cmp_ne_u32_e32 vcc_lo, 1, v59
	v_lshlrev_b64 v[20:21], 1, v[26:27]
	s_cbranch_vccnz .LBB286_130
; %bb.129:
	s_delay_alu instid0(VALU_DEP_1) | instskip(NEXT) | instid1(VALU_DEP_2)
	v_add_co_u32 v57, vcc_lo, v40, v20
	v_add_co_ci_u32_e32 v58, vcc_lo, v41, v21, vcc_lo
	flat_load_u16 v57, v[57:58]
	s_waitcnt vmcnt(0) lgkmcnt(0)
	v_mul_f16_e32 v57, s19, v57
	s_branch .LBB286_131
.LBB286_130:
	v_mov_b32_e32 v57, 0
.LBB286_131:
	v_pk_max_f16 v58, v0, v0
	v_pk_max_f16 v60, v18, v18
	;; [unrolled: 1-line block ×4, first 2 shown]
	v_add_co_u32 v20, vcc_lo, v22, v20
	s_delay_alu instid0(VALU_DEP_4) | instskip(SKIP_1) | instid1(VALU_DEP_4)
	v_pk_min_f16 v58, v60, v58
	v_add_co_ci_u32_e32 v21, vcc_lo, v23, v21, vcc_lo
	v_pk_min_f16 v60, v62, v61
	s_delay_alu instid0(VALU_DEP_3) | instskip(NEXT) | instid1(VALU_DEP_1)
	v_pk_add_f16 v56, v56, v58
	v_pk_add_f16 v56, v56, v60
	s_delay_alu instid0(VALU_DEP_1) | instskip(NEXT) | instid1(VALU_DEP_1)
	v_lshrrev_b32_e32 v58, 16, v56
	v_add_f16_e32 v56, v56, v58
	s_delay_alu instid0(VALU_DEP_1) | instskip(SKIP_3) | instid1(SALU_CYCLE_1)
	v_add_f16_e32 v56, v56, v57
	global_store_b16 v[20:21], v56, off
	s_or_b32 exec_lo, exec_lo, s15
	s_and_b32 s16, s2, s8
	s_and_saveexec_b32 s15, s16
	s_cbranch_execz .LBB286_119
.LBB286_132:
	v_cmp_ne_u32_e32 vcc_lo, 1, v59
	v_lshlrev_b64 v[20:21], 1, v[28:29]
	s_cbranch_vccnz .LBB286_134
; %bb.133:
	s_delay_alu instid0(VALU_DEP_1) | instskip(NEXT) | instid1(VALU_DEP_2)
	v_add_co_u32 v56, vcc_lo, v40, v20
	v_add_co_ci_u32_e32 v57, vcc_lo, v41, v21, vcc_lo
	flat_load_u16 v56, v[56:57]
	s_waitcnt vmcnt(0) lgkmcnt(0)
	v_mul_f16_e32 v56, s19, v56
	s_branch .LBB286_135
.LBB286_134:
	v_mov_b32_e32 v56, 0
.LBB286_135:
	v_pk_max_f16 v57, v0, v0
	v_pk_max_f16 v58, v12, v12
	;; [unrolled: 1-line block ×4, first 2 shown]
	v_add_co_u32 v20, vcc_lo, v22, v20
	s_delay_alu instid0(VALU_DEP_4) | instskip(SKIP_1) | instid1(VALU_DEP_4)
	v_pk_min_f16 v57, v58, v57
	v_add_co_ci_u32_e32 v21, vcc_lo, v23, v21, vcc_lo
	v_pk_min_f16 v58, v61, v60
	s_delay_alu instid0(VALU_DEP_3) | instskip(NEXT) | instid1(VALU_DEP_1)
	v_pk_add_f16 v55, v55, v57
	v_pk_add_f16 v55, v55, v58
	s_delay_alu instid0(VALU_DEP_1) | instskip(NEXT) | instid1(VALU_DEP_1)
	v_lshrrev_b32_e32 v57, 16, v55
	v_add_f16_e32 v55, v55, v57
	s_delay_alu instid0(VALU_DEP_1) | instskip(SKIP_3) | instid1(SALU_CYCLE_1)
	v_add_f16_e32 v55, v55, v56
	global_store_b16 v[20:21], v55, off
	s_or_b32 exec_lo, exec_lo, s15
	s_and_b32 s16, s3, s8
	s_and_saveexec_b32 s15, s16
	s_cbranch_execz .LBB286_120
.LBB286_136:
	v_cmp_ne_u32_e32 vcc_lo, 1, v59
	v_lshlrev_b64 v[20:21], 1, v[30:31]
	s_cbranch_vccnz .LBB286_138
; %bb.137:
	s_delay_alu instid0(VALU_DEP_1) | instskip(NEXT) | instid1(VALU_DEP_2)
	v_add_co_u32 v55, vcc_lo, v40, v20
	v_add_co_ci_u32_e32 v56, vcc_lo, v41, v21, vcc_lo
	flat_load_u16 v55, v[55:56]
	s_waitcnt vmcnt(0) lgkmcnt(0)
	v_mul_f16_e32 v55, s19, v55
	s_branch .LBB286_139
.LBB286_138:
	v_mov_b32_e32 v55, 0
.LBB286_139:
	v_pk_max_f16 v56, v0, v0
	v_pk_max_f16 v57, v14, v14
	;; [unrolled: 1-line block ×4, first 2 shown]
	v_add_co_u32 v20, vcc_lo, v22, v20
	s_delay_alu instid0(VALU_DEP_4) | instskip(SKIP_1) | instid1(VALU_DEP_4)
	v_pk_min_f16 v56, v57, v56
	v_add_co_ci_u32_e32 v21, vcc_lo, v23, v21, vcc_lo
	v_pk_min_f16 v57, v60, v58
	s_delay_alu instid0(VALU_DEP_3) | instskip(NEXT) | instid1(VALU_DEP_1)
	v_pk_add_f16 v54, v54, v56
	v_pk_add_f16 v54, v54, v57
	s_delay_alu instid0(VALU_DEP_1) | instskip(NEXT) | instid1(VALU_DEP_1)
	v_lshrrev_b32_e32 v56, 16, v54
	v_add_f16_e32 v54, v54, v56
	s_delay_alu instid0(VALU_DEP_1) | instskip(SKIP_3) | instid1(SALU_CYCLE_1)
	v_add_f16_e32 v54, v54, v55
	global_store_b16 v[20:21], v54, off
	s_or_b32 exec_lo, exec_lo, s15
	s_and_b32 s16, s4, s8
	s_and_saveexec_b32 s15, s16
	s_cbranch_execz .LBB286_121
.LBB286_140:
	v_cmp_ne_u32_e32 vcc_lo, 1, v59
	v_lshlrev_b64 v[20:21], 1, v[32:33]
	s_cbranch_vccnz .LBB286_142
; %bb.141:
	s_delay_alu instid0(VALU_DEP_1) | instskip(NEXT) | instid1(VALU_DEP_2)
	v_add_co_u32 v54, vcc_lo, v40, v20
	v_add_co_ci_u32_e32 v55, vcc_lo, v41, v21, vcc_lo
	flat_load_u16 v54, v[54:55]
	s_waitcnt vmcnt(0) lgkmcnt(0)
	v_mul_f16_e32 v54, s19, v54
	s_branch .LBB286_143
.LBB286_142:
	v_mov_b32_e32 v54, 0
.LBB286_143:
	v_pk_max_f16 v55, v0, v0
	v_pk_max_f16 v56, v8, v8
	;; [unrolled: 1-line block ×4, first 2 shown]
	v_add_co_u32 v20, vcc_lo, v22, v20
	s_delay_alu instid0(VALU_DEP_4) | instskip(SKIP_1) | instid1(VALU_DEP_4)
	v_pk_min_f16 v55, v56, v55
	v_add_co_ci_u32_e32 v21, vcc_lo, v23, v21, vcc_lo
	v_pk_min_f16 v56, v58, v57
	s_delay_alu instid0(VALU_DEP_3) | instskip(NEXT) | instid1(VALU_DEP_1)
	v_pk_add_f16 v53, v53, v55
	v_pk_add_f16 v53, v53, v56
	s_delay_alu instid0(VALU_DEP_1) | instskip(NEXT) | instid1(VALU_DEP_1)
	v_lshrrev_b32_e32 v55, 16, v53
	v_add_f16_e32 v53, v53, v55
	s_delay_alu instid0(VALU_DEP_1) | instskip(SKIP_3) | instid1(SALU_CYCLE_1)
	v_add_f16_e32 v53, v53, v54
	global_store_b16 v[20:21], v53, off
	s_or_b32 exec_lo, exec_lo, s15
	s_and_b32 s16, s5, s8
	s_and_saveexec_b32 s15, s16
	s_cbranch_execz .LBB286_122
.LBB286_144:
	v_cmp_ne_u32_e32 vcc_lo, 1, v59
	v_lshlrev_b64 v[20:21], 1, v[34:35]
	s_cbranch_vccnz .LBB286_146
; %bb.145:
	s_delay_alu instid0(VALU_DEP_1) | instskip(NEXT) | instid1(VALU_DEP_2)
	v_add_co_u32 v53, vcc_lo, v40, v20
	v_add_co_ci_u32_e32 v54, vcc_lo, v41, v21, vcc_lo
	flat_load_u16 v53, v[53:54]
	s_waitcnt vmcnt(0) lgkmcnt(0)
	v_mul_f16_e32 v53, s19, v53
	s_branch .LBB286_147
.LBB286_146:
	v_mov_b32_e32 v53, 0
.LBB286_147:
	v_pk_max_f16 v54, v0, v0
	v_pk_max_f16 v55, v10, v10
	;; [unrolled: 1-line block ×4, first 2 shown]
	v_add_co_u32 v20, vcc_lo, v22, v20
	s_delay_alu instid0(VALU_DEP_4) | instskip(SKIP_1) | instid1(VALU_DEP_4)
	v_pk_min_f16 v54, v55, v54
	v_add_co_ci_u32_e32 v21, vcc_lo, v23, v21, vcc_lo
	v_pk_min_f16 v55, v57, v56
	s_delay_alu instid0(VALU_DEP_3) | instskip(NEXT) | instid1(VALU_DEP_1)
	v_pk_add_f16 v52, v52, v54
	v_pk_add_f16 v52, v52, v55
	s_delay_alu instid0(VALU_DEP_1) | instskip(NEXT) | instid1(VALU_DEP_1)
	v_lshrrev_b32_e32 v54, 16, v52
	v_add_f16_e32 v52, v52, v54
	s_delay_alu instid0(VALU_DEP_1) | instskip(SKIP_3) | instid1(SALU_CYCLE_1)
	v_add_f16_e32 v52, v52, v53
	global_store_b16 v[20:21], v52, off
	s_or_b32 exec_lo, exec_lo, s15
	s_and_b32 s16, s6, s8
	s_and_saveexec_b32 s15, s16
	s_cbranch_execz .LBB286_123
.LBB286_148:
	v_cmp_ne_u32_e32 vcc_lo, 1, v59
	v_lshlrev_b64 v[20:21], 1, v[36:37]
	s_cbranch_vccnz .LBB286_150
; %bb.149:
	s_delay_alu instid0(VALU_DEP_1) | instskip(NEXT) | instid1(VALU_DEP_2)
	v_add_co_u32 v52, vcc_lo, v40, v20
	v_add_co_ci_u32_e32 v53, vcc_lo, v41, v21, vcc_lo
	flat_load_u16 v52, v[52:53]
	s_waitcnt vmcnt(0) lgkmcnt(0)
	v_mul_f16_e32 v52, s19, v52
	s_branch .LBB286_151
.LBB286_150:
	v_mov_b32_e32 v52, 0
.LBB286_151:
	v_pk_max_f16 v53, v0, v0
	v_pk_max_f16 v54, v4, v4
	;; [unrolled: 1-line block ×4, first 2 shown]
	v_add_co_u32 v20, vcc_lo, v22, v20
	s_delay_alu instid0(VALU_DEP_4) | instskip(SKIP_1) | instid1(VALU_DEP_4)
	v_pk_min_f16 v53, v54, v53
	v_add_co_ci_u32_e32 v21, vcc_lo, v23, v21, vcc_lo
	v_pk_min_f16 v54, v56, v55
	s_delay_alu instid0(VALU_DEP_3) | instskip(NEXT) | instid1(VALU_DEP_1)
	v_pk_add_f16 v51, v51, v53
	v_pk_add_f16 v51, v51, v54
	s_delay_alu instid0(VALU_DEP_1) | instskip(NEXT) | instid1(VALU_DEP_1)
	v_lshrrev_b32_e32 v53, 16, v51
	v_add_f16_e32 v51, v51, v53
	s_delay_alu instid0(VALU_DEP_1) | instskip(SKIP_3) | instid1(SALU_CYCLE_1)
	v_add_f16_e32 v51, v51, v52
	global_store_b16 v[20:21], v51, off
	s_or_b32 exec_lo, exec_lo, s15
	s_and_b32 s15, s7, s8
	s_and_saveexec_b32 s8, s15
	s_cbranch_execz .LBB286_156
.LBB286_152:
	v_cmp_ne_u32_e32 vcc_lo, 1, v59
	v_lshlrev_b64 v[20:21], 1, v[38:39]
	s_cbranch_vccnz .LBB286_154
; %bb.153:
	s_delay_alu instid0(VALU_DEP_1) | instskip(NEXT) | instid1(VALU_DEP_2)
	v_add_co_u32 v40, vcc_lo, v40, v20
	v_add_co_ci_u32_e32 v41, vcc_lo, v41, v21, vcc_lo
	flat_load_u16 v40, v[40:41]
	s_waitcnt vmcnt(0) lgkmcnt(0)
	v_mul_f16_e32 v40, s19, v40
	s_branch .LBB286_155
.LBB286_154:
	v_mov_b32_e32 v40, 0
.LBB286_155:
	v_pk_max_f16 v0, v0, v0
	v_pk_max_f16 v41, v6, v6
	;; [unrolled: 1-line block ×4, first 2 shown]
	s_delay_alu instid0(VALU_DEP_3) | instskip(NEXT) | instid1(VALU_DEP_2)
	v_pk_min_f16 v0, v41, v0
	v_pk_min_f16 v1, v51, v1
	s_delay_alu instid0(VALU_DEP_2) | instskip(NEXT) | instid1(VALU_DEP_1)
	v_pk_add_f16 v0, v50, v0
	v_pk_add_f16 v0, v0, v1
	s_delay_alu instid0(VALU_DEP_1) | instskip(NEXT) | instid1(VALU_DEP_1)
	v_lshrrev_b32_e32 v1, 16, v0
	v_add_f16_e32 v0, v0, v1
	s_delay_alu instid0(VALU_DEP_1)
	v_add_f16_e32 v40, v0, v40
	v_add_co_u32 v0, vcc_lo, v22, v20
	v_add_co_ci_u32_e32 v1, vcc_lo, v23, v21, vcc_lo
	global_store_b16 v[0:1], v40, off
.LBB286_156:
	s_or_b32 exec_lo, exec_lo, s8
	v_add_nc_u32_e32 v22, 0x60, v66
	s_delay_alu instid0(VALU_DEP_1) | instskip(SKIP_2) | instid1(VALU_DEP_3)
	v_mad_i64_i32 v[0:1], null, v22, s12, 0
	v_mad_i64_i32 v[20:21], null, v22, s9, 0
	v_cmp_gt_i32_e64 s8, s17, v22
	v_lshlrev_b64 v[0:1], 1, v[0:1]
	s_delay_alu instid0(VALU_DEP_2) | instskip(NEXT) | instid1(VALU_DEP_3)
	s_and_b32 s9, s0, s8
	v_lshlrev_b64 v[20:21], 1, v[20:21]
	s_delay_alu instid0(VALU_DEP_2) | instskip(NEXT) | instid1(VALU_DEP_3)
	v_add_co_u32 v22, vcc_lo, s10, v0
	v_add_co_ci_u32_e32 v23, vcc_lo, s11, v1, vcc_lo
	s_delay_alu instid0(VALU_DEP_3) | instskip(NEXT) | instid1(VALU_DEP_4)
	v_add_co_u32 v20, vcc_lo, s13, v20
	v_add_co_ci_u32_e32 v21, vcc_lo, s14, v21, vcc_lo
	s_and_saveexec_b32 s0, s9
	s_cbranch_execnz .LBB286_165
; %bb.157:
	s_or_b32 exec_lo, exec_lo, s0
	s_and_b32 s1, s1, s8
	s_delay_alu instid0(SALU_CYCLE_1)
	s_and_saveexec_b32 s0, s1
	s_cbranch_execnz .LBB286_169
.LBB286_158:
	s_or_b32 exec_lo, exec_lo, s0
	s_and_b32 s1, s2, s8
	s_delay_alu instid0(SALU_CYCLE_1)
	s_and_saveexec_b32 s0, s1
	s_cbranch_execnz .LBB286_173
.LBB286_159:
	s_or_b32 exec_lo, exec_lo, s0
	s_and_b32 s1, s3, s8
	s_delay_alu instid0(SALU_CYCLE_1)
	s_and_saveexec_b32 s0, s1
	s_cbranch_execnz .LBB286_177
.LBB286_160:
	s_or_b32 exec_lo, exec_lo, s0
	s_and_b32 s1, s4, s8
	s_delay_alu instid0(SALU_CYCLE_1)
	s_and_saveexec_b32 s0, s1
	s_cbranch_execnz .LBB286_181
.LBB286_161:
	s_or_b32 exec_lo, exec_lo, s0
	s_and_b32 s1, s5, s8
	s_delay_alu instid0(SALU_CYCLE_1)
	s_and_saveexec_b32 s0, s1
	s_cbranch_execnz .LBB286_185
.LBB286_162:
	s_or_b32 exec_lo, exec_lo, s0
	s_and_b32 s1, s6, s8
	s_delay_alu instid0(SALU_CYCLE_1)
	s_and_saveexec_b32 s0, s1
	s_cbranch_execnz .LBB286_189
.LBB286_163:
	s_or_b32 exec_lo, exec_lo, s0
	s_and_b32 s0, s7, s8
	s_delay_alu instid0(SALU_CYCLE_1)
	s_and_saveexec_b32 s1, s0
	s_cbranch_execnz .LBB286_193
.LBB286_164:
	s_nop 0
	s_sendmsg sendmsg(MSG_DEALLOC_VGPRS)
	s_endpgm
.LBB286_165:
	v_cmp_ne_u32_e32 vcc_lo, 1, v59
	v_lshlrev_b64 v[0:1], 1, v[24:25]
	s_cbranch_vccnz .LBB286_167
; %bb.166:
	s_delay_alu instid0(VALU_DEP_1) | instskip(NEXT) | instid1(VALU_DEP_2)
	v_add_co_u32 v24, vcc_lo, v22, v0
	v_add_co_ci_u32_e32 v25, vcc_lo, v23, v1, vcc_lo
	flat_load_u16 v24, v[24:25]
	s_waitcnt vmcnt(0) lgkmcnt(0)
	v_mul_f16_e32 v24, s19, v24
	s_branch .LBB286_168
.LBB286_167:
	v_mov_b32_e32 v24, 0
.LBB286_168:
	v_pk_max_f16 v25, v2, v2
	v_pk_max_f16 v16, v16, v16
	v_pk_max_f16 v40, v3, v3
	v_pk_max_f16 v17, v17, v17
	v_add_co_u32 v0, vcc_lo, v20, v0
	s_delay_alu instid0(VALU_DEP_4) | instskip(SKIP_1) | instid1(VALU_DEP_4)
	v_pk_min_f16 v16, v16, v25
	v_add_co_ci_u32_e32 v1, vcc_lo, v21, v1, vcc_lo
	v_pk_min_f16 v17, v17, v40
	s_delay_alu instid0(VALU_DEP_3) | instskip(NEXT) | instid1(VALU_DEP_1)
	v_pk_add_f16 v16, v49, v16
	v_pk_add_f16 v16, v16, v17
	s_delay_alu instid0(VALU_DEP_1) | instskip(NEXT) | instid1(VALU_DEP_1)
	v_lshrrev_b32_e32 v17, 16, v16
	v_add_f16_e32 v16, v16, v17
	s_delay_alu instid0(VALU_DEP_1) | instskip(SKIP_3) | instid1(SALU_CYCLE_1)
	v_add_f16_e32 v16, v16, v24
	global_store_b16 v[0:1], v16, off
	s_or_b32 exec_lo, exec_lo, s0
	s_and_b32 s1, s1, s8
	s_and_saveexec_b32 s0, s1
	s_cbranch_execz .LBB286_158
.LBB286_169:
	v_cmp_ne_u32_e32 vcc_lo, 1, v59
	v_lshlrev_b64 v[0:1], 1, v[26:27]
	s_cbranch_vccnz .LBB286_171
; %bb.170:
	s_delay_alu instid0(VALU_DEP_1) | instskip(NEXT) | instid1(VALU_DEP_2)
	v_add_co_u32 v16, vcc_lo, v22, v0
	v_add_co_ci_u32_e32 v17, vcc_lo, v23, v1, vcc_lo
	flat_load_u16 v16, v[16:17]
	s_waitcnt vmcnt(0) lgkmcnt(0)
	v_mul_f16_e32 v16, s19, v16
	s_branch .LBB286_172
.LBB286_171:
	v_mov_b32_e32 v16, 0
.LBB286_172:
	v_pk_max_f16 v17, v2, v2
	v_pk_max_f16 v18, v18, v18
	;; [unrolled: 1-line block ×4, first 2 shown]
	v_add_co_u32 v0, vcc_lo, v20, v0
	s_delay_alu instid0(VALU_DEP_4) | instskip(SKIP_1) | instid1(VALU_DEP_4)
	v_pk_min_f16 v17, v18, v17
	v_add_co_ci_u32_e32 v1, vcc_lo, v21, v1, vcc_lo
	v_pk_min_f16 v18, v19, v24
	s_delay_alu instid0(VALU_DEP_3) | instskip(NEXT) | instid1(VALU_DEP_1)
	v_pk_add_f16 v17, v48, v17
	v_pk_add_f16 v17, v17, v18
	s_delay_alu instid0(VALU_DEP_1) | instskip(NEXT) | instid1(VALU_DEP_1)
	v_lshrrev_b32_e32 v18, 16, v17
	v_add_f16_e32 v17, v17, v18
	s_delay_alu instid0(VALU_DEP_1) | instskip(SKIP_3) | instid1(SALU_CYCLE_1)
	v_add_f16_e32 v16, v17, v16
	global_store_b16 v[0:1], v16, off
	s_or_b32 exec_lo, exec_lo, s0
	s_and_b32 s1, s2, s8
	s_and_saveexec_b32 s0, s1
	s_cbranch_execz .LBB286_159
.LBB286_173:
	v_cmp_ne_u32_e32 vcc_lo, 1, v59
	v_lshlrev_b64 v[0:1], 1, v[28:29]
	s_cbranch_vccnz .LBB286_175
; %bb.174:
	s_delay_alu instid0(VALU_DEP_1) | instskip(NEXT) | instid1(VALU_DEP_2)
	v_add_co_u32 v16, vcc_lo, v22, v0
	v_add_co_ci_u32_e32 v17, vcc_lo, v23, v1, vcc_lo
	flat_load_u16 v16, v[16:17]
	s_waitcnt vmcnt(0) lgkmcnt(0)
	v_mul_f16_e32 v16, s19, v16
	s_branch .LBB286_176
.LBB286_175:
	v_mov_b32_e32 v16, 0
.LBB286_176:
	v_pk_max_f16 v17, v2, v2
	v_pk_max_f16 v12, v12, v12
	;; [unrolled: 1-line block ×4, first 2 shown]
	v_add_co_u32 v0, vcc_lo, v20, v0
	s_delay_alu instid0(VALU_DEP_4) | instskip(SKIP_1) | instid1(VALU_DEP_4)
	v_pk_min_f16 v12, v12, v17
	v_add_co_ci_u32_e32 v1, vcc_lo, v21, v1, vcc_lo
	v_pk_min_f16 v13, v13, v18
	s_delay_alu instid0(VALU_DEP_3) | instskip(NEXT) | instid1(VALU_DEP_1)
	v_pk_add_f16 v12, v47, v12
	v_pk_add_f16 v12, v12, v13
	s_delay_alu instid0(VALU_DEP_1) | instskip(NEXT) | instid1(VALU_DEP_1)
	v_lshrrev_b32_e32 v13, 16, v12
	v_add_f16_e32 v12, v12, v13
	s_delay_alu instid0(VALU_DEP_1) | instskip(SKIP_3) | instid1(SALU_CYCLE_1)
	v_add_f16_e32 v12, v12, v16
	global_store_b16 v[0:1], v12, off
	s_or_b32 exec_lo, exec_lo, s0
	s_and_b32 s1, s3, s8
	s_and_saveexec_b32 s0, s1
	s_cbranch_execz .LBB286_160
.LBB286_177:
	v_cmp_ne_u32_e32 vcc_lo, 1, v59
	v_lshlrev_b64 v[0:1], 1, v[30:31]
	s_cbranch_vccnz .LBB286_179
; %bb.178:
	s_delay_alu instid0(VALU_DEP_1) | instskip(NEXT) | instid1(VALU_DEP_2)
	v_add_co_u32 v12, vcc_lo, v22, v0
	v_add_co_ci_u32_e32 v13, vcc_lo, v23, v1, vcc_lo
	flat_load_u16 v12, v[12:13]
	s_waitcnt vmcnt(0) lgkmcnt(0)
	v_mul_f16_e32 v12, s19, v12
	s_branch .LBB286_180
.LBB286_179:
	v_mov_b32_e32 v12, 0
.LBB286_180:
	v_pk_max_f16 v13, v2, v2
	v_pk_max_f16 v14, v14, v14
	;; [unrolled: 1-line block ×4, first 2 shown]
	v_add_co_u32 v0, vcc_lo, v20, v0
	s_delay_alu instid0(VALU_DEP_4) | instskip(SKIP_1) | instid1(VALU_DEP_4)
	v_pk_min_f16 v13, v14, v13
	v_add_co_ci_u32_e32 v1, vcc_lo, v21, v1, vcc_lo
	v_pk_min_f16 v14, v15, v16
	s_delay_alu instid0(VALU_DEP_3) | instskip(NEXT) | instid1(VALU_DEP_1)
	v_pk_add_f16 v13, v46, v13
	v_pk_add_f16 v13, v13, v14
	s_delay_alu instid0(VALU_DEP_1) | instskip(NEXT) | instid1(VALU_DEP_1)
	v_lshrrev_b32_e32 v14, 16, v13
	v_add_f16_e32 v13, v13, v14
	s_delay_alu instid0(VALU_DEP_1) | instskip(SKIP_3) | instid1(SALU_CYCLE_1)
	v_add_f16_e32 v12, v13, v12
	global_store_b16 v[0:1], v12, off
	s_or_b32 exec_lo, exec_lo, s0
	s_and_b32 s1, s4, s8
	s_and_saveexec_b32 s0, s1
	s_cbranch_execz .LBB286_161
.LBB286_181:
	v_cmp_ne_u32_e32 vcc_lo, 1, v59
	v_lshlrev_b64 v[0:1], 1, v[32:33]
	s_cbranch_vccnz .LBB286_183
; %bb.182:
	s_delay_alu instid0(VALU_DEP_1) | instskip(NEXT) | instid1(VALU_DEP_2)
	v_add_co_u32 v12, vcc_lo, v22, v0
	v_add_co_ci_u32_e32 v13, vcc_lo, v23, v1, vcc_lo
	flat_load_u16 v12, v[12:13]
	s_waitcnt vmcnt(0) lgkmcnt(0)
	v_mul_f16_e32 v12, s19, v12
	s_branch .LBB286_184
.LBB286_183:
	v_mov_b32_e32 v12, 0
.LBB286_184:
	v_pk_max_f16 v13, v2, v2
	v_pk_max_f16 v8, v8, v8
	;; [unrolled: 1-line block ×4, first 2 shown]
	v_add_co_u32 v0, vcc_lo, v20, v0
	s_delay_alu instid0(VALU_DEP_4) | instskip(SKIP_1) | instid1(VALU_DEP_4)
	v_pk_min_f16 v8, v8, v13
	v_add_co_ci_u32_e32 v1, vcc_lo, v21, v1, vcc_lo
	v_pk_min_f16 v9, v9, v14
	s_delay_alu instid0(VALU_DEP_3) | instskip(NEXT) | instid1(VALU_DEP_1)
	v_pk_add_f16 v8, v45, v8
	v_pk_add_f16 v8, v8, v9
	s_delay_alu instid0(VALU_DEP_1) | instskip(NEXT) | instid1(VALU_DEP_1)
	v_lshrrev_b32_e32 v9, 16, v8
	v_add_f16_e32 v8, v8, v9
	s_delay_alu instid0(VALU_DEP_1) | instskip(SKIP_3) | instid1(SALU_CYCLE_1)
	v_add_f16_e32 v8, v8, v12
	global_store_b16 v[0:1], v8, off
	s_or_b32 exec_lo, exec_lo, s0
	s_and_b32 s1, s5, s8
	s_and_saveexec_b32 s0, s1
	s_cbranch_execz .LBB286_162
.LBB286_185:
	v_cmp_ne_u32_e32 vcc_lo, 1, v59
	v_lshlrev_b64 v[0:1], 1, v[34:35]
	s_cbranch_vccnz .LBB286_187
; %bb.186:
	s_delay_alu instid0(VALU_DEP_1) | instskip(NEXT) | instid1(VALU_DEP_2)
	v_add_co_u32 v8, vcc_lo, v22, v0
	v_add_co_ci_u32_e32 v9, vcc_lo, v23, v1, vcc_lo
	flat_load_u16 v8, v[8:9]
	s_waitcnt vmcnt(0) lgkmcnt(0)
	v_mul_f16_e32 v8, s19, v8
	s_branch .LBB286_188
.LBB286_187:
	v_mov_b32_e32 v8, 0
.LBB286_188:
	v_pk_max_f16 v9, v2, v2
	v_pk_max_f16 v10, v10, v10
	;; [unrolled: 1-line block ×4, first 2 shown]
	v_add_co_u32 v0, vcc_lo, v20, v0
	s_delay_alu instid0(VALU_DEP_4) | instskip(SKIP_1) | instid1(VALU_DEP_4)
	v_pk_min_f16 v9, v10, v9
	v_add_co_ci_u32_e32 v1, vcc_lo, v21, v1, vcc_lo
	v_pk_min_f16 v10, v11, v12
	s_delay_alu instid0(VALU_DEP_3) | instskip(NEXT) | instid1(VALU_DEP_1)
	v_pk_add_f16 v9, v44, v9
	v_pk_add_f16 v9, v9, v10
	s_delay_alu instid0(VALU_DEP_1) | instskip(NEXT) | instid1(VALU_DEP_1)
	v_lshrrev_b32_e32 v10, 16, v9
	v_add_f16_e32 v9, v9, v10
	s_delay_alu instid0(VALU_DEP_1) | instskip(SKIP_3) | instid1(SALU_CYCLE_1)
	v_add_f16_e32 v8, v9, v8
	global_store_b16 v[0:1], v8, off
	s_or_b32 exec_lo, exec_lo, s0
	s_and_b32 s1, s6, s8
	s_and_saveexec_b32 s0, s1
	s_cbranch_execz .LBB286_163
.LBB286_189:
	v_cmp_ne_u32_e32 vcc_lo, 1, v59
	v_lshlrev_b64 v[0:1], 1, v[36:37]
	s_cbranch_vccnz .LBB286_191
; %bb.190:
	s_delay_alu instid0(VALU_DEP_1) | instskip(NEXT) | instid1(VALU_DEP_2)
	v_add_co_u32 v8, vcc_lo, v22, v0
	v_add_co_ci_u32_e32 v9, vcc_lo, v23, v1, vcc_lo
	flat_load_u16 v8, v[8:9]
	s_waitcnt vmcnt(0) lgkmcnt(0)
	v_mul_f16_e32 v8, s19, v8
	s_branch .LBB286_192
.LBB286_191:
	v_mov_b32_e32 v8, 0
.LBB286_192:
	v_pk_max_f16 v9, v2, v2
	v_pk_max_f16 v4, v4, v4
	;; [unrolled: 1-line block ×4, first 2 shown]
	v_add_co_u32 v0, vcc_lo, v20, v0
	s_delay_alu instid0(VALU_DEP_4) | instskip(SKIP_1) | instid1(VALU_DEP_4)
	v_pk_min_f16 v4, v4, v9
	v_add_co_ci_u32_e32 v1, vcc_lo, v21, v1, vcc_lo
	v_pk_min_f16 v5, v5, v10
	s_delay_alu instid0(VALU_DEP_3) | instskip(NEXT) | instid1(VALU_DEP_1)
	v_pk_add_f16 v4, v43, v4
	v_pk_add_f16 v4, v4, v5
	s_delay_alu instid0(VALU_DEP_1) | instskip(NEXT) | instid1(VALU_DEP_1)
	v_lshrrev_b32_e32 v5, 16, v4
	v_add_f16_e32 v4, v4, v5
	s_delay_alu instid0(VALU_DEP_1) | instskip(SKIP_3) | instid1(SALU_CYCLE_1)
	v_add_f16_e32 v4, v4, v8
	global_store_b16 v[0:1], v4, off
	s_or_b32 exec_lo, exec_lo, s0
	s_and_b32 s0, s7, s8
	s_and_saveexec_b32 s1, s0
	s_cbranch_execz .LBB286_164
.LBB286_193:
	v_cmp_ne_u32_e32 vcc_lo, 1, v59
	v_lshlrev_b64 v[0:1], 1, v[38:39]
	s_cbranch_vccnz .LBB286_195
; %bb.194:
	s_delay_alu instid0(VALU_DEP_1) | instskip(NEXT) | instid1(VALU_DEP_2)
	v_add_co_u32 v4, vcc_lo, v22, v0
	v_add_co_ci_u32_e32 v5, vcc_lo, v23, v1, vcc_lo
	flat_load_u16 v4, v[4:5]
	s_waitcnt vmcnt(0) lgkmcnt(0)
	v_mul_f16_e32 v4, s19, v4
	s_branch .LBB286_196
.LBB286_195:
	v_mov_b32_e32 v4, 0
.LBB286_196:
	v_pk_max_f16 v2, v2, v2
	v_pk_max_f16 v5, v6, v6
	;; [unrolled: 1-line block ×4, first 2 shown]
	v_add_co_u32 v0, vcc_lo, v20, v0
	s_delay_alu instid0(VALU_DEP_4) | instskip(SKIP_1) | instid1(VALU_DEP_4)
	v_pk_min_f16 v2, v5, v2
	v_add_co_ci_u32_e32 v1, vcc_lo, v21, v1, vcc_lo
	v_pk_min_f16 v3, v6, v3
	s_delay_alu instid0(VALU_DEP_3) | instskip(NEXT) | instid1(VALU_DEP_1)
	v_pk_add_f16 v2, v42, v2
	v_pk_add_f16 v2, v2, v3
	s_delay_alu instid0(VALU_DEP_1) | instskip(NEXT) | instid1(VALU_DEP_1)
	v_lshrrev_b32_e32 v3, 16, v2
	v_add_f16_e32 v2, v2, v3
	s_delay_alu instid0(VALU_DEP_1)
	v_add_f16_e32 v2, v2, v4
	global_store_b16 v[0:1], v2, off
	s_nop 0
	s_sendmsg sendmsg(MSG_DEALLOC_VGPRS)
	s_endpgm
	.section	.rodata,"a",@progbits
	.p2align	6, 0x0
	.amdhsa_kernel _ZN12_GLOBAL__N_120geam_min_plus_kernelIDF16_Dv2_DF16_S1_Li8ELi32ELi64ELi128ELi4ELi64ELi4ELi4ELi64ELc78ELc78ELb1ELb1ELb0EDF16_KDF16_DF16_EEviiiT16_PT17_ilS5_ilS3_S5_ilPT18_ili26rocblas_geam_ex_operation_
		.amdhsa_group_segment_fixed_size 3072
		.amdhsa_private_segment_fixed_size 0
		.amdhsa_kernarg_size 128
		.amdhsa_user_sgpr_count 14
		.amdhsa_user_sgpr_dispatch_ptr 0
		.amdhsa_user_sgpr_queue_ptr 0
		.amdhsa_user_sgpr_kernarg_segment_ptr 1
		.amdhsa_user_sgpr_dispatch_id 0
		.amdhsa_user_sgpr_private_segment_size 0
		.amdhsa_wavefront_size32 1
		.amdhsa_uses_dynamic_stack 0
		.amdhsa_enable_private_segment 0
		.amdhsa_system_sgpr_workgroup_id_x 1
		.amdhsa_system_sgpr_workgroup_id_y 0
		.amdhsa_system_sgpr_workgroup_id_z 1
		.amdhsa_system_sgpr_workgroup_info 0
		.amdhsa_system_vgpr_workitem_id 1
		.amdhsa_next_free_vgpr 125
		.amdhsa_next_free_sgpr 27
		.amdhsa_reserve_vcc 1
		.amdhsa_float_round_mode_32 0
		.amdhsa_float_round_mode_16_64 0
		.amdhsa_float_denorm_mode_32 3
		.amdhsa_float_denorm_mode_16_64 3
		.amdhsa_dx10_clamp 1
		.amdhsa_ieee_mode 1
		.amdhsa_fp16_overflow 0
		.amdhsa_workgroup_processor_mode 1
		.amdhsa_memory_ordered 1
		.amdhsa_forward_progress 0
		.amdhsa_shared_vgpr_count 0
		.amdhsa_exception_fp_ieee_invalid_op 0
		.amdhsa_exception_fp_denorm_src 0
		.amdhsa_exception_fp_ieee_div_zero 0
		.amdhsa_exception_fp_ieee_overflow 0
		.amdhsa_exception_fp_ieee_underflow 0
		.amdhsa_exception_fp_ieee_inexact 0
		.amdhsa_exception_int_div_zero 0
	.end_amdhsa_kernel
	.section	.text._ZN12_GLOBAL__N_120geam_min_plus_kernelIDF16_Dv2_DF16_S1_Li8ELi32ELi64ELi128ELi4ELi64ELi4ELi4ELi64ELc78ELc78ELb1ELb1ELb0EDF16_KDF16_DF16_EEviiiT16_PT17_ilS5_ilS3_S5_ilPT18_ili26rocblas_geam_ex_operation_,"axG",@progbits,_ZN12_GLOBAL__N_120geam_min_plus_kernelIDF16_Dv2_DF16_S1_Li8ELi32ELi64ELi128ELi4ELi64ELi4ELi4ELi64ELc78ELc78ELb1ELb1ELb0EDF16_KDF16_DF16_EEviiiT16_PT17_ilS5_ilS3_S5_ilPT18_ili26rocblas_geam_ex_operation_,comdat
.Lfunc_end286:
	.size	_ZN12_GLOBAL__N_120geam_min_plus_kernelIDF16_Dv2_DF16_S1_Li8ELi32ELi64ELi128ELi4ELi64ELi4ELi4ELi64ELc78ELc78ELb1ELb1ELb0EDF16_KDF16_DF16_EEviiiT16_PT17_ilS5_ilS3_S5_ilPT18_ili26rocblas_geam_ex_operation_, .Lfunc_end286-_ZN12_GLOBAL__N_120geam_min_plus_kernelIDF16_Dv2_DF16_S1_Li8ELi32ELi64ELi128ELi4ELi64ELi4ELi4ELi64ELc78ELc78ELb1ELb1ELb0EDF16_KDF16_DF16_EEviiiT16_PT17_ilS5_ilS3_S5_ilPT18_ili26rocblas_geam_ex_operation_
                                        ; -- End function
	.section	.AMDGPU.csdata,"",@progbits
; Kernel info:
; codeLenInByte = 12884
; NumSgprs: 29
; NumVgprs: 125
; ScratchSize: 0
; MemoryBound: 0
; FloatMode: 240
; IeeeMode: 1
; LDSByteSize: 3072 bytes/workgroup (compile time only)
; SGPRBlocks: 3
; VGPRBlocks: 15
; NumSGPRsForWavesPerEU: 29
; NumVGPRsForWavesPerEU: 125
; Occupancy: 10
; WaveLimiterHint : 0
; COMPUTE_PGM_RSRC2:SCRATCH_EN: 0
; COMPUTE_PGM_RSRC2:USER_SGPR: 14
; COMPUTE_PGM_RSRC2:TRAP_HANDLER: 0
; COMPUTE_PGM_RSRC2:TGID_X_EN: 1
; COMPUTE_PGM_RSRC2:TGID_Y_EN: 0
; COMPUTE_PGM_RSRC2:TGID_Z_EN: 1
; COMPUTE_PGM_RSRC2:TIDIG_COMP_CNT: 1
	.section	.text._ZN12_GLOBAL__N_120geam_min_plus_kernelIDF16_Dv2_DF16_S1_Li8ELi32ELi64ELi128ELi4ELi64ELi4ELi4ELi64ELc78ELc78ELb0ELb1ELb0EDF16_KDF16_DF16_EEviiiT16_PT17_ilS5_ilS3_S5_ilPT18_ili26rocblas_geam_ex_operation_,"axG",@progbits,_ZN12_GLOBAL__N_120geam_min_plus_kernelIDF16_Dv2_DF16_S1_Li8ELi32ELi64ELi128ELi4ELi64ELi4ELi4ELi64ELc78ELc78ELb0ELb1ELb0EDF16_KDF16_DF16_EEviiiT16_PT17_ilS5_ilS3_S5_ilPT18_ili26rocblas_geam_ex_operation_,comdat
	.globl	_ZN12_GLOBAL__N_120geam_min_plus_kernelIDF16_Dv2_DF16_S1_Li8ELi32ELi64ELi128ELi4ELi64ELi4ELi4ELi64ELc78ELc78ELb0ELb1ELb0EDF16_KDF16_DF16_EEviiiT16_PT17_ilS5_ilS3_S5_ilPT18_ili26rocblas_geam_ex_operation_ ; -- Begin function _ZN12_GLOBAL__N_120geam_min_plus_kernelIDF16_Dv2_DF16_S1_Li8ELi32ELi64ELi128ELi4ELi64ELi4ELi4ELi64ELc78ELc78ELb0ELb1ELb0EDF16_KDF16_DF16_EEviiiT16_PT17_ilS5_ilS3_S5_ilPT18_ili26rocblas_geam_ex_operation_
	.p2align	8
	.type	_ZN12_GLOBAL__N_120geam_min_plus_kernelIDF16_Dv2_DF16_S1_Li8ELi32ELi64ELi128ELi4ELi64ELi4ELi4ELi64ELc78ELc78ELb0ELb1ELb0EDF16_KDF16_DF16_EEviiiT16_PT17_ilS5_ilS3_S5_ilPT18_ili26rocblas_geam_ex_operation_,@function
_ZN12_GLOBAL__N_120geam_min_plus_kernelIDF16_Dv2_DF16_S1_Li8ELi32ELi64ELi128ELi4ELi64ELi4ELi4ELi64ELc78ELc78ELb0ELb1ELb0EDF16_KDF16_DF16_EEviiiT16_PT17_ilS5_ilS3_S5_ilPT18_ili26rocblas_geam_ex_operation_: ; @_ZN12_GLOBAL__N_120geam_min_plus_kernelIDF16_Dv2_DF16_S1_Li8ELi32ELi64ELi128ELi4ELi64ELi4ELi4ELi64ELc78ELc78ELb0ELb1ELb0EDF16_KDF16_DF16_EEviiiT16_PT17_ilS5_ilS3_S5_ilPT18_ili26rocblas_geam_ex_operation_
; %bb.0:
	s_clause 0x1
	s_load_b128 s[16:19], s[0:1], 0x0
	s_load_b128 s[4:7], s[0:1], 0x20
	s_waitcnt lgkmcnt(0)
	v_cmp_eq_f16_e64 s2, s19, 0
	v_cmp_neq_f16_e64 s23, s19, 0
	s_delay_alu instid0(VALU_DEP_2)
	s_and_b32 vcc_lo, exec_lo, s2
	s_cbranch_vccnz .LBB287_3
; %bb.1:
	s_load_b64 s[8:9], s[0:1], 0x10
	s_mul_i32 s3, s15, s5
	s_mul_hi_u32 s5, s15, s4
	s_mul_i32 s4, s15, s4
	s_add_i32 s5, s5, s3
	s_delay_alu instid0(SALU_CYCLE_1)
	s_lshl_b64 s[4:5], s[4:5], 1
	s_waitcnt lgkmcnt(0)
	s_add_u32 s12, s8, s4
	s_addc_u32 s13, s9, s5
	s_and_not1_b32 vcc_lo, exec_lo, s2
	s_cbranch_vccnz .LBB287_4
.LBB287_2:
	s_mov_b32 s22, 0
	s_mov_b64 s[8:9], 0
	s_cbranch_execz .LBB287_5
	s_branch .LBB287_6
.LBB287_3:
	s_mov_b64 s[12:13], 0
	s_and_not1_b32 vcc_lo, exec_lo, s2
	s_cbranch_vccz .LBB287_2
.LBB287_4:
	s_mov_b32 s22, -1
                                        ; implicit-def: $sgpr8_sgpr9
.LBB287_5:
	s_load_b64 s[2:3], s[0:1], 0x38
	s_mov_b32 s22, 0
	s_waitcnt lgkmcnt(0)
	s_mul_i32 s3, s15, s3
	s_mul_hi_u32 s4, s15, s2
	s_mul_i32 s2, s15, s2
	s_add_i32 s3, s4, s3
	s_delay_alu instid0(SALU_CYCLE_1) | instskip(NEXT) | instid1(SALU_CYCLE_1)
	s_lshl_b64 s[2:3], s[2:3], 1
	s_add_u32 s8, s6, s2
	s_addc_u32 s9, s7, s3
.LBB287_6:
	s_clause 0x1
	s_load_b32 s20, s[0:1], 0x40
	s_load_b128 s[4:7], s[0:1], 0x58
	s_waitcnt lgkmcnt(0)
	v_cmp_eq_f16_e64 s2, s20, 0
	v_cmp_neq_f16_e64 s21, s20, 0
	s_delay_alu instid0(VALU_DEP_2)
	s_and_b32 vcc_lo, exec_lo, s2
	s_cbranch_vccnz .LBB287_8
; %bb.7:
	s_load_b64 s[2:3], s[0:1], 0x48
	s_mul_i32 s5, s15, s5
	s_mul_hi_u32 s10, s15, s4
	s_delay_alu instid0(SALU_CYCLE_1) | instskip(SKIP_3) | instid1(SALU_CYCLE_1)
	s_add_i32 s5, s10, s5
	s_mul_i32 s10, s22, s4
	s_mul_i32 s4, s15, s4
	s_add_i32 s5, s5, s10
	s_lshl_b64 s[4:5], s[4:5], 1
	s_waitcnt lgkmcnt(0)
	s_add_u32 s10, s2, s4
	s_addc_u32 s11, s3, s5
	s_branch .LBB287_9
.LBB287_8:
	s_mov_b64 s[10:11], 0
.LBB287_9:
	s_add_i32 s2, s16, -1
	s_load_b32 s4, s[0:1], 0x18
	s_ashr_i32 s3, s2, 31
	v_dual_mov_b32 v9, 0 :: v_dual_and_b32 v32, 0x3ff, v0
	s_lshr_b32 s3, s3, 26
	v_bfe_u32 v33, v0, 10, 10
	s_add_i32 s2, s2, s3
	v_mov_b32_e32 v8, 0
	s_ashr_i32 s2, s2, 6
	s_delay_alu instid0(SALU_CYCLE_1) | instskip(SKIP_3) | instid1(VALU_DEP_2)
	s_add_i32 s24, s2, 1
	s_not_b32 s2, s2
	v_cvt_f32_u32_e32 v1, s24
	v_lshl_add_u32 v2, v33, 3, v32
	v_rcp_iflag_f32_e32 v1, v1
	s_delay_alu instid0(VALU_DEP_1)
	v_and_b32_e32 v7, 63, v2
	v_lshrrev_b32_e32 v34, 6, v2
	s_waitcnt lgkmcnt(0)
	s_ashr_i32 s5, s4, 31
	s_waitcnt_depctr 0xfff
	v_mul_f32_e32 v1, 0x4f7ffffe, v1
	s_delay_alu instid0(VALU_DEP_1) | instskip(NEXT) | instid1(VALU_DEP_1)
	v_cvt_u32_f32_e32 v1, v1
	v_readfirstlane_b32 s3, v1
	s_delay_alu instid0(VALU_DEP_1) | instskip(NEXT) | instid1(SALU_CYCLE_1)
	s_mul_i32 s2, s2, s3
	s_mul_hi_u32 s2, s3, s2
	s_delay_alu instid0(SALU_CYCLE_1) | instskip(NEXT) | instid1(SALU_CYCLE_1)
	s_add_i32 s3, s3, s2
	s_mul_hi_u32 s2, s14, s3
	s_delay_alu instid0(SALU_CYCLE_1) | instskip(SKIP_2) | instid1(SALU_CYCLE_1)
	s_mul_i32 s3, s2, s24
	s_add_i32 s25, s2, 1
	s_sub_i32 s3, s14, s3
	s_sub_i32 s26, s3, s24
	s_cmp_ge_u32 s3, s24
	s_cselect_b32 s2, s25, s2
	s_cselect_b32 s3, s26, s3
	s_add_i32 s25, s2, 1
	s_cmp_ge_u32 s3, s24
	s_cselect_b32 s3, s25, s2
	s_delay_alu instid0(SALU_CYCLE_1) | instskip(NEXT) | instid1(SALU_CYCLE_1)
	s_mul_i32 s2, s3, s24
	s_sub_i32 s2, s14, s2
	s_delay_alu instid0(SALU_CYCLE_1) | instskip(SKIP_2) | instid1(VALU_DEP_1)
	s_lshl_b32 s14, s2, 6
	v_cmp_gt_i32_e64 s2, s18, v34
	v_or_b32_e32 v0, s14, v7
	v_cmp_gt_i32_e32 vcc_lo, s16, v0
	v_ashrrev_i32_e32 v1, 31, v0
	s_delay_alu instid0(VALU_DEP_4) | instskip(NEXT) | instid1(SALU_CYCLE_1)
	s_and_b32 s2, s2, vcc_lo
	s_and_b32 s2, s23, s2
	s_delay_alu instid0(SALU_CYCLE_1)
	s_and_saveexec_b32 s24, s2
	s_cbranch_execz .LBB287_11
; %bb.10:
	v_mad_i64_i32 v[3:4], null, s4, v34, 0
	v_lshlrev_b64 v[5:6], 1, v[0:1]
	s_delay_alu instid0(VALU_DEP_2) | instskip(NEXT) | instid1(VALU_DEP_1)
	v_lshlrev_b64 v[3:4], 1, v[3:4]
	v_add_co_u32 v3, s2, s12, v3
	s_delay_alu instid0(VALU_DEP_1) | instskip(NEXT) | instid1(VALU_DEP_2)
	v_add_co_ci_u32_e64 v4, s2, s13, v4, s2
	v_add_co_u32 v3, s2, v3, v5
	s_delay_alu instid0(VALU_DEP_1)
	v_add_co_ci_u32_e64 v4, s2, v4, v6, s2
	flat_load_u16 v3, v[3:4]
	s_waitcnt vmcnt(0) lgkmcnt(0)
	v_mul_f16_e32 v9, s19, v3
.LBB287_11:
	s_or_b32 exec_lo, exec_lo, s24
	v_and_b32_e32 v35, 3, v32
	s_add_i32 s25, s18, -1
	v_lshrrev_b32_e32 v10, 2, v2
	s_load_b32 s29, s[0:1], 0x30
	s_lshl_b32 s24, s3, 7
	v_min_i32_e32 v3, s25, v35
	s_xor_b32 s27, s23, -1
	v_add_nc_u32_e32 v2, s24, v10
	v_cmp_le_i32_e64 s2, s18, v35
	s_delay_alu instid0(VALU_DEP_3) | instskip(NEXT) | instid1(VALU_DEP_3)
	v_ashrrev_i32_e32 v4, 31, v3
	v_cmp_le_i32_e64 s3, s17, v2
	s_delay_alu instid0(VALU_DEP_2) | instskip(NEXT) | instid1(VALU_DEP_2)
	v_lshlrev_b64 v[3:4], 1, v[3:4]
	s_or_b32 s26, s3, s27
	s_delay_alu instid0(VALU_DEP_1) | instskip(NEXT) | instid1(VALU_DEP_1)
	v_add_co_u32 v5, s3, s8, v3
	v_add_co_ci_u32_e64 v6, s3, s9, v4, s3
	s_or_b32 s3, s2, s26
	s_delay_alu instid0(SALU_CYCLE_1) | instskip(NEXT) | instid1(SALU_CYCLE_1)
	s_xor_b32 s3, s3, -1
	s_and_saveexec_b32 s28, s3
	s_cbranch_execz .LBB287_13
; %bb.12:
	s_waitcnt lgkmcnt(0)
	v_mad_i64_i32 v[3:4], null, v2, s29, 0
	s_delay_alu instid0(VALU_DEP_1) | instskip(NEXT) | instid1(VALU_DEP_1)
	v_lshlrev_b64 v[3:4], 1, v[3:4]
	v_add_co_u32 v3, s3, v5, v3
	s_delay_alu instid0(VALU_DEP_1)
	v_add_co_ci_u32_e64 v4, s3, v6, v4, s3
	flat_load_u16 v3, v[3:4]
	s_waitcnt vmcnt(0) lgkmcnt(0)
	v_mul_f16_e32 v8, s19, v3
.LBB287_13:
	s_or_b32 exec_lo, exec_lo, s28
	v_dual_mov_b32 v4, 0 :: v_dual_add_nc_u32 v3, 64, v2
	v_mov_b32_e32 v11, 0
	s_delay_alu instid0(VALU_DEP_2) | instskip(NEXT) | instid1(VALU_DEP_1)
	v_cmp_le_i32_e64 s3, s17, v3
	s_or_b32 s27, s3, s27
	s_delay_alu instid0(SALU_CYCLE_1) | instskip(NEXT) | instid1(SALU_CYCLE_1)
	s_or_b32 s2, s2, s27
	s_xor_b32 s2, s2, -1
	s_delay_alu instid0(SALU_CYCLE_1)
	s_and_saveexec_b32 s3, s2
	s_cbranch_execz .LBB287_15
; %bb.14:
	s_waitcnt lgkmcnt(0)
	v_mad_i64_i32 v[11:12], null, v3, s29, 0
	s_delay_alu instid0(VALU_DEP_1) | instskip(NEXT) | instid1(VALU_DEP_1)
	v_lshlrev_b64 v[11:12], 1, v[11:12]
	v_add_co_u32 v5, s2, v5, v11
	s_delay_alu instid0(VALU_DEP_1)
	v_add_co_ci_u32_e64 v6, s2, v6, v12, s2
	flat_load_u16 v5, v[5:6]
	s_waitcnt vmcnt(0) lgkmcnt(0)
	v_mul_f16_e32 v11, s19, v5
.LBB287_15:
	s_or_b32 exec_lo, exec_lo, s3
	v_add_nc_u32_e32 v5, 4, v34
	s_delay_alu instid0(VALU_DEP_1) | instskip(NEXT) | instid1(VALU_DEP_1)
	v_cmp_gt_i32_e64 s2, s18, v5
	s_and_b32 s2, vcc_lo, s2
	s_delay_alu instid0(SALU_CYCLE_1) | instskip(NEXT) | instid1(SALU_CYCLE_1)
	s_and_b32 s2, s23, s2
	s_and_saveexec_b32 s3, s2
	s_cbranch_execz .LBB287_17
; %bb.16:
	v_mad_u64_u32 v[12:13], null, s4, v5, 0
	s_delay_alu instid0(VALU_DEP_1) | instskip(NEXT) | instid1(VALU_DEP_1)
	v_mov_b32_e32 v4, v13
	v_mad_u64_u32 v[13:14], null, s5, v5, v[4:5]
	s_delay_alu instid0(VALU_DEP_1) | instskip(SKIP_1) | instid1(VALU_DEP_2)
	v_lshlrev_b64 v[4:5], 1, v[12:13]
	v_lshlrev_b64 v[12:13], 1, v[0:1]
	v_add_co_u32 v4, s2, s12, v4
	s_delay_alu instid0(VALU_DEP_1) | instskip(NEXT) | instid1(VALU_DEP_2)
	v_add_co_ci_u32_e64 v5, s2, s13, v5, s2
	v_add_co_u32 v4, s2, v4, v12
	s_delay_alu instid0(VALU_DEP_1)
	v_add_co_ci_u32_e64 v5, s2, v5, v13, s2
	flat_load_u16 v4, v[4:5]
	s_waitcnt vmcnt(0) lgkmcnt(0)
	v_mul_f16_e32 v4, s19, v4
.LBB287_17:
	s_or_b32 exec_lo, exec_lo, s3
	v_or_b32_e32 v14, 4, v35
	s_delay_alu instid0(VALU_DEP_1) | instskip(SKIP_1) | instid1(VALU_DEP_2)
	v_min_i32_e32 v5, s25, v14
	v_cmp_le_i32_e64 s2, s18, v14
	v_ashrrev_i32_e32 v6, 31, v5
	s_delay_alu instid0(VALU_DEP_1) | instskip(SKIP_1) | instid1(VALU_DEP_2)
	v_lshlrev_b64 v[12:13], 1, v[5:6]
	v_dual_mov_b32 v5, 0 :: v_dual_mov_b32 v6, 0
	v_add_co_u32 v12, s3, s8, v12
	s_delay_alu instid0(VALU_DEP_1) | instskip(SKIP_1) | instid1(SALU_CYCLE_1)
	v_add_co_ci_u32_e64 v13, s3, s9, v13, s3
	s_or_b32 s3, s2, s26
	s_xor_b32 s3, s3, -1
	s_delay_alu instid0(SALU_CYCLE_1)
	s_and_saveexec_b32 s28, s3
	s_cbranch_execz .LBB287_19
; %bb.18:
	s_waitcnt lgkmcnt(0)
	v_mad_i64_i32 v[14:15], null, v2, s29, 0
	s_delay_alu instid0(VALU_DEP_1) | instskip(NEXT) | instid1(VALU_DEP_1)
	v_lshlrev_b64 v[14:15], 1, v[14:15]
	v_add_co_u32 v14, s3, v12, v14
	s_delay_alu instid0(VALU_DEP_1)
	v_add_co_ci_u32_e64 v15, s3, v13, v15, s3
	flat_load_u16 v6, v[14:15]
	s_waitcnt vmcnt(0) lgkmcnt(0)
	v_mul_f16_e32 v6, s19, v6
.LBB287_19:
	s_or_b32 exec_lo, exec_lo, s28
	s_or_b32 s2, s2, s27
	s_delay_alu instid0(SALU_CYCLE_1) | instskip(NEXT) | instid1(SALU_CYCLE_1)
	s_xor_b32 s2, s2, -1
	s_and_saveexec_b32 s3, s2
	s_cbranch_execz .LBB287_21
; %bb.20:
	s_waitcnt lgkmcnt(0)
	v_mad_i64_i32 v[14:15], null, v3, s29, 0
	s_delay_alu instid0(VALU_DEP_1) | instskip(NEXT) | instid1(VALU_DEP_1)
	v_lshlrev_b64 v[14:15], 1, v[14:15]
	v_add_co_u32 v12, s2, v12, v14
	s_delay_alu instid0(VALU_DEP_1)
	v_add_co_ci_u32_e64 v13, s2, v13, v15, s2
	flat_load_u16 v5, v[12:13]
	s_waitcnt vmcnt(0) lgkmcnt(0)
	v_mul_f16_e32 v5, s19, v5
.LBB287_21:
	s_or_b32 exec_lo, exec_lo, s3
	v_lshlrev_b32_e32 v12, 1, v35
	v_lshlrev_b32_e32 v7, 3, v7
	;; [unrolled: 1-line block ×4, first 2 shown]
	s_mov_b32 s28, 0
	v_lshl_or_b32 v38, v10, 3, v12
	v_lshl_add_u32 v7, v34, 1, v7
	v_add_nc_u32_e32 v28, 0x800, v37
	s_cmp_lt_i32 s18, 9
	ds_store_b16 v38, v8
	ds_store_b16 v7, v9 offset:2048
	ds_store_b16 v38, v11 offset:512
	s_waitcnt lgkmcnt(0)
	s_barrier
	buffer_gl0_inv
	ds_load_2addr_b64 v[8:11], v36 offset1:32
	ds_load_2addr_b64 v[12:15], v28 offset0:48 offset1:56
	ds_load_2addr_b64 v[16:19], v36 offset0:64 offset1:96
	ds_load_2addr_b64 v[20:23], v28 offset1:8
	ds_load_2addr_b64 v[24:27], v28 offset0:16 offset1:24
	s_waitcnt lgkmcnt(4)
	v_pk_max_f16 v8, v8, v8
	s_waitcnt lgkmcnt(3)
	v_pk_max_f16 v14, v14, v14
	v_pk_max_f16 v10, v10, v10
	s_waitcnt lgkmcnt(2)
	v_pk_max_f16 v16, v16, v16
	s_waitcnt lgkmcnt(0)
	v_pk_max_f16 v24, v24, v24
	v_pk_max_f16 v26, v26, v26
	v_pk_min_f16 v29, v14, v8
	v_pk_min_f16 v30, v14, v10
	;; [unrolled: 1-line block ×5, first 2 shown]
	v_pk_add_f16 v43, v29, 0
	v_pk_add_f16 v44, v30, 0
	;; [unrolled: 1-line block ×3, first 2 shown]
	ds_load_2addr_b64 v[28:31], v28 offset0:32 offset1:40
	v_pk_add_f16 v51, v48, 0
	v_pk_min_f16 v48, v26, v8
	v_pk_min_f16 v50, v24, v16
	v_pk_add_f16 v52, v49, 0
	v_pk_min_f16 v49, v26, v10
	v_pk_max_f16 v20, v20, v20
	v_pk_add_f16 v54, v48, 0
	v_pk_max_f16 v18, v18, v18
	v_pk_max_f16 v22, v22, v22
	v_pk_add_f16 v53, v50, 0
	v_pk_min_f16 v50, v26, v16
	v_pk_add_f16 v59, v49, 0
	v_pk_max_f16 v12, v12, v12
	v_pk_max_f16 v9, v9, v9
	;; [unrolled: 1-line block ×3, first 2 shown]
	v_pk_min_f16 v39, v20, v8
	v_pk_min_f16 v40, v20, v10
	;; [unrolled: 1-line block ×4, first 2 shown]
	s_waitcnt lgkmcnt(0)
	v_pk_max_f16 v28, v28, v28
	v_pk_max_f16 v30, v30, v30
	v_pk_min_f16 v42, v22, v8
	v_pk_min_f16 v46, v22, v10
	v_pk_min_f16 v47, v22, v16
	v_pk_min_f16 v48, v28, v8
	v_pk_min_f16 v49, v28, v10
	v_pk_min_f16 v22, v22, v18
	v_pk_min_f16 v24, v24, v18
	v_pk_min_f16 v26, v26, v18
	v_pk_add_f16 v61, v48, 0
	v_pk_min_f16 v48, v28, v16
	v_pk_add_f16 v60, v50, 0
	v_pk_min_f16 v28, v28, v18
	;; [unrolled: 2-line block ×3, first 2 shown]
	v_pk_min_f16 v50, v30, v10
	v_pk_add_f16 v66, v48, 0
	v_pk_min_f16 v48, v30, v16
	v_pk_min_f16 v30, v30, v18
	;; [unrolled: 1-line block ×6, first 2 shown]
	v_pk_max_f16 v11, v11, v11
	v_pk_min_f16 v14, v14, v18
	v_pk_min_f16 v18, v15, v9
	v_pk_add_f16 v75, v48, 0
	v_pk_max_f16 v17, v17, v17
	v_pk_min_f16 v48, v15, v11
	v_pk_max_f16 v21, v21, v21
	v_pk_add_f16 v68, v43, v18
	v_pk_max_f16 v18, v19, v19
	v_pk_add_f16 v39, v39, 0
	v_pk_add_f16 v20, v20, 0
	;; [unrolled: 1-line block ×3, first 2 shown]
	v_pk_min_f16 v49, v15, v17
	v_pk_add_f16 v58, v44, v48
	v_pk_min_f16 v19, v21, v9
	v_pk_min_f16 v43, v21, v11
	;; [unrolled: 1-line block ×4, first 2 shown]
	v_pk_max_f16 v23, v23, v23
	v_pk_add_f16 v42, v42, 0
	v_pk_add_f16 v46, v46, 0
	;; [unrolled: 1-line block ×8, first 2 shown]
	v_pk_min_f16 v19, v23, v9
	v_pk_min_f16 v20, v23, v11
	v_pk_min_f16 v21, v23, v17
	v_pk_min_f16 v23, v23, v18
	v_pk_max_f16 v25, v25, v25
	v_pk_add_f16 v24, v24, 0
	v_pk_add_f16 v71, v42, v19
	v_pk_add_f16 v65, v46, v20
	v_pk_add_f16 v56, v47, v21
	v_pk_add_f16 v48, v22, v23
	v_pk_min_f16 v19, v25, v9
	v_pk_min_f16 v20, v25, v11
	v_pk_min_f16 v21, v25, v17
	v_pk_min_f16 v22, v25, v18
	v_pk_max_f16 v23, v27, v27
	v_pk_add_f16 v26, v26, 0
	v_pk_add_f16 v70, v51, v19
	v_pk_add_f16 v64, v52, v20
	v_pk_add_f16 v55, v53, v21
	v_pk_add_f16 v47, v24, v22
	;; [unrolled: 10-line block ×3, first 2 shown]
	v_pk_add_f16 v46, v26, v22
	v_pk_min_f16 v19, v23, v9
	v_pk_min_f16 v20, v23, v11
	;; [unrolled: 1-line block ×4, first 2 shown]
	v_pk_max_f16 v23, v31, v31
	v_pk_max_f16 v13, v13, v13
	v_pk_add_f16 v40, v40, 0
	v_pk_add_f16 v30, v30, 0
	;; [unrolled: 1-line block ×12, first 2 shown]
	v_pk_min_f16 v19, v23, v9
	v_pk_min_f16 v20, v23, v11
	;; [unrolled: 1-line block ×9, first 2 shown]
	v_pk_add_f16 v67, v40, v43
	v_pk_add_f16 v39, v73, v19
	;; [unrolled: 1-line block ×10, first 2 shown]
	ds_store_b16 v38, v6 offset:1024
	ds_store_b16 v7, v4 offset:2560
	;; [unrolled: 1-line block ×3, first 2 shown]
	s_waitcnt lgkmcnt(0)
	s_barrier
	buffer_gl0_inv
	s_cbranch_scc1 .LBB287_36
; %bb.22:
	v_add_nc_u32_e32 v4, v36, v32
	v_or_b32_e32 v59, 0x800, v7
	v_add_nc_u32_e32 v73, 0xa00, v7
	v_lshlrev_b64 v[0:1], 1, v[0:1]
	v_add_nc_u32_e32 v66, 0x800, v37
	v_lshrrev_b32_e32 v4, 6, v4
	v_add_nc_u32_e32 v74, 0x400, v38
	v_lshl_add_u32 v75, v32, 3, 0xa00
	v_add_nc_u32_e32 v78, 0x400, v36
	v_add_co_u32 v76, s2, s12, v0
	v_add_nc_u32_e32 v8, 12, v4
	v_add_nc_u32_e32 v10, 8, v4
	v_mad_i64_i32 v[4:5], null, v2, s29, 0
	v_add_co_ci_u32_e64 v77, s2, s13, v1, s2
	s_delay_alu instid0(VALU_DEP_4) | instskip(NEXT) | instid1(VALU_DEP_4)
	v_mad_i64_i32 v[6:7], null, v8, s4, 0
	v_mad_i64_i32 v[8:9], null, v10, s4, 0
	;; [unrolled: 1-line block ×3, first 2 shown]
	v_lshlrev_b64 v[28:29], 1, v[4:5]
	s_add_i32 s12, s18, -8
	s_delay_alu instid0(VALU_DEP_4) | instskip(SKIP_1) | instid1(VALU_DEP_4)
	v_lshlrev_b64 v[24:25], 1, v[6:7]
	s_lshl_b64 s[4:5], s[4:5], 4
	v_lshlrev_b64 v[26:27], 1, v[8:9]
	s_delay_alu instid0(VALU_DEP_4)
	v_lshlrev_b64 v[30:31], 1, v[10:11]
	s_branch .LBB287_24
.LBB287_23:                             ;   in Loop: Header=BB287_24 Depth=1
	s_or_b32 exec_lo, exec_lo, s3
	v_pk_add_f16 v16, v50, v16
	v_pk_add_f16 v22, v49, v22
	;; [unrolled: 1-line block ×26, first 2 shown]
	ds_load_2addr_b64 v[39:42], v66 offset0:48 offset1:56
	ds_load_2addr_b64 v[43:46], v36 offset1:32
	v_pk_add_f16 v9, v47, v9
	ds_load_2addr_b64 v[47:50], v36 offset0:64 offset1:96
	v_pk_add_f16 v18, v67, v18
	v_pk_add_f16 v56, v70, v87
	v_pk_add_f16 v6, v62, v6
	v_pk_add_f16 v62, v53, v94
	v_pk_add_f16 v67, v52, v98
	v_pk_add_f16 v70, v51, v102
	v_pk_add_f16 v86, v54, v105
	ds_load_2addr_b64 v[51:54], v66 offset1:8
	v_pk_add_f16 v61, v61, v97
	v_pk_add_f16 v60, v60, v101
	;; [unrolled: 1-line block ×8, first 2 shown]
	s_waitcnt lgkmcnt(3)
	v_pk_max_f16 v41, v41, v41
	s_waitcnt lgkmcnt(2)
	v_pk_max_f16 v43, v43, v43
	v_pk_max_f16 v45, v45, v45
	s_waitcnt lgkmcnt(1)
	v_pk_max_f16 v47, v47, v47
	v_pk_add_f16 v64, v64, v3
	v_pk_add_f16 v65, v65, v7
	;; [unrolled: 1-line block ×6, first 2 shown]
	v_pk_min_f16 v4, v41, v43
	v_pk_min_f16 v5, v41, v45
	;; [unrolled: 1-line block ×3, first 2 shown]
	ds_load_2addr_b64 v[0:3], v66 offset0:16 offset1:24
	s_waitcnt lgkmcnt(1)
	v_pk_max_f16 v7, v51, v51
	v_pk_max_f16 v49, v49, v49
	v_pk_add_f16 v14, v14, v113
	v_pk_add_f16 v18, v18, v114
	;; [unrolled: 1-line block ×7, first 2 shown]
	v_pk_min_f16 v4, v7, v43
	v_pk_min_f16 v5, v7, v45
	;; [unrolled: 1-line block ×4, first 2 shown]
	v_pk_max_f16 v53, v53, v53
	v_pk_add_f16 v14, v14, v4
	v_pk_add_f16 v18, v18, v5
	;; [unrolled: 1-line block ×4, first 2 shown]
	ds_load_2addr_b64 v[4:7], v66 offset0:32 offset1:40
	v_pk_add_f16 v8, v8, v117
	v_pk_add_f16 v13, v67, v13
	;; [unrolled: 1-line block ×3, first 2 shown]
	v_pk_min_f16 v67, v53, v43
	v_pk_min_f16 v68, v53, v45
	s_waitcnt lgkmcnt(1)
	v_pk_max_f16 v0, v0, v0
	v_pk_add_f16 v56, v56, v121
	v_pk_add_f16 v21, v70, v21
	;; [unrolled: 1-line block ×4, first 2 shown]
	v_pk_min_f16 v67, v0, v43
	v_pk_min_f16 v68, v0, v45
	;; [unrolled: 1-line block ×4, first 2 shown]
	v_pk_max_f16 v2, v2, v2
	v_pk_add_f16 v57, v57, v104
	v_pk_add_f16 v82, v56, v67
	;; [unrolled: 1-line block ×4, first 2 shown]
	v_pk_min_f16 v9, v2, v43
	v_pk_min_f16 v56, v2, v45
	s_waitcnt lgkmcnt(0)
	v_pk_max_f16 v4, v4, v4
	v_pk_add_f16 v17, v69, v17
	v_pk_min_f16 v69, v53, v47
	v_pk_add_f16 v9, v23, v9
	v_pk_add_f16 v23, v57, v56
	v_pk_min_f16 v56, v4, v43
	v_pk_add_f16 v58, v58, v106
	v_pk_min_f16 v53, v53, v49
	;; [unrolled: 2-line block ×3, first 2 shown]
	v_pk_min_f16 v2, v2, v49
	v_pk_min_f16 v57, v4, v45
	v_pk_max_f16 v6, v6, v6
	v_pk_add_f16 v84, v63, v56
	v_pk_min_f16 v56, v4, v47
	v_pk_max_f16 v39, v39, v39
	v_pk_add_f16 v55, v55, v88
	v_pk_add_f16 v53, v85, v53
	;; [unrolled: 1-line block ×5, first 2 shown]
	v_pk_min_f16 v57, v6, v43
	v_pk_min_f16 v58, v6, v45
	v_pk_add_f16 v86, v62, v56
	v_pk_min_f16 v56, v6, v47
	v_pk_min_f16 v6, v6, v49
	;; [unrolled: 1-line block ×5, first 2 shown]
	v_pk_max_f16 v42, v42, v42
	v_pk_max_f16 v88, v46, v46
	v_pk_add_f16 v6, v15, v6
	v_pk_add_f16 v15, v17, v43
	;; [unrolled: 1-line block ×4, first 2 shown]
	v_pk_min_f16 v21, v39, v49
	v_pk_max_f16 v43, v44, v44
	v_pk_min_f16 v39, v41, v49
	v_pk_max_f16 v89, v48, v48
	v_pk_min_f16 v44, v42, v88
	v_pk_add_f16 v10, v10, v122
	v_pk_add_f16 v11, v11, v58
	v_pk_min_f16 v41, v42, v43
	v_pk_add_f16 v90, v61, v39
	v_pk_min_f16 v39, v42, v89
	v_pk_max_f16 v45, v52, v52
	v_pk_add_f16 v58, v12, v44
	v_pk_max_f16 v12, v50, v50
	v_pk_add_f16 v10, v10, v68
	v_pk_add_f16 v68, v51, v41
	;; [unrolled: 1-line block ×3, first 2 shown]
	v_pk_min_f16 v16, v45, v43
	v_pk_min_f16 v39, v45, v88
	;; [unrolled: 1-line block ×4, first 2 shown]
	v_pk_max_f16 v45, v54, v54
	v_pk_add_f16 v55, v55, v123
	v_pk_add_f16 v72, v14, v16
	v_pk_max_f16 v1, v1, v1
	v_pk_add_f16 v87, v65, v57
	v_pk_min_f16 v14, v45, v43
	v_pk_min_f16 v16, v45, v88
	v_pk_add_f16 v55, v55, v71
	v_pk_max_f16 v3, v3, v3
	v_pk_min_f16 v4, v4, v49
	v_pk_add_f16 v71, v8, v14
	v_pk_add_f16 v65, v70, v16
	v_pk_min_f16 v8, v1, v43
	v_pk_min_f16 v14, v1, v88
	;; [unrolled: 1-line block ×4, first 2 shown]
	v_pk_add_f16 v67, v18, v39
	v_pk_min_f16 v18, v45, v89
	v_pk_add_f16 v70, v82, v8
	v_pk_min_f16 v8, v3, v89
	;; [unrolled: 2-line block ×3, first 2 shown]
	v_pk_min_f16 v1, v3, v88
	v_pk_min_f16 v3, v3, v12
	v_pk_max_f16 v5, v5, v5
	v_pk_add_f16 v4, v64, v4
	v_pk_add_f16 v13, v13, v56
	;; [unrolled: 1-line block ×3, first 2 shown]
	v_pk_min_f16 v20, v45, v12
	v_pk_add_f16 v56, v69, v18
	v_pk_add_f16 v69, v9, v0
	;; [unrolled: 1-line block ×4, first 2 shown]
	v_pk_min_f16 v0, v5, v43
	v_pk_min_f16 v1, v5, v88
	;; [unrolled: 1-line block ×4, first 2 shown]
	v_pk_max_f16 v5, v7, v7
	v_pk_add_f16 v48, v53, v20
	v_pk_add_f16 v41, v84, v0
	;; [unrolled: 1-line block ×5, first 2 shown]
	v_pk_min_f16 v0, v5, v43
	v_pk_min_f16 v1, v5, v88
	;; [unrolled: 1-line block ×4, first 2 shown]
	v_pk_max_f16 v4, v40, v40
	v_pk_add_f16 v21, v60, v21
	v_pk_add_f16 v49, v22, v44
	;; [unrolled: 1-line block ×6, first 2 shown]
	v_pk_min_f16 v0, v4, v43
	v_pk_min_f16 v1, v4, v88
	;; [unrolled: 1-line block ×5, first 2 shown]
	v_add_co_u32 v76, s2, v76, s4
	v_pk_add_f16 v64, v10, v14
	v_pk_add_f16 v55, v55, v16
	;; [unrolled: 1-line block ×8, first 2 shown]
	v_add_co_ci_u32_e64 v77, s2, s5, v77, s2
	s_add_i32 s28, s28, 8
	ds_store_b16 v73, v79
	ds_store_b16 v74, v81
	ds_store_b16 v74, v80 offset:512
	s_cmp_ge_i32 s28, s12
	s_waitcnt lgkmcnt(0)
	s_barrier
	buffer_gl0_inv
	s_cbranch_scc1 .LBB287_36
.LBB287_24:                             ; =>This Inner Loop Header: Depth=1
	v_dual_mov_b32 v82, 0 :: v_dual_add_nc_u32 v81, s28, v34
	s_delay_alu instid0(VALU_DEP_1) | instskip(NEXT) | instid1(VALU_DEP_1)
	v_dual_mov_b32 v83, 0 :: v_dual_add_nc_u32 v0, 8, v81
	v_cmp_gt_i32_e64 s2, s18, v0
	s_delay_alu instid0(VALU_DEP_1) | instskip(NEXT) | instid1(SALU_CYCLE_1)
	s_and_b32 s2, vcc_lo, s2
	s_and_b32 s2, s23, s2
	s_delay_alu instid0(SALU_CYCLE_1)
	s_and_saveexec_b32 s3, s2
	s_cbranch_execz .LBB287_26
; %bb.25:                               ;   in Loop: Header=BB287_24 Depth=1
	v_add_co_u32 v0, s2, v76, v26
	s_delay_alu instid0(VALU_DEP_1)
	v_add_co_ci_u32_e64 v1, s2, v77, v27, s2
	flat_load_u16 v0, v[0:1]
	s_waitcnt vmcnt(0) lgkmcnt(0)
	v_mul_f16_e32 v83, s19, v0
.LBB287_26:                             ;   in Loop: Header=BB287_24 Depth=1
	s_or_b32 exec_lo, exec_lo, s3
	v_add_nc_u32_e32 v80, s28, v35
	s_delay_alu instid0(VALU_DEP_1) | instskip(NEXT) | instid1(VALU_DEP_1)
	v_add_nc_u32_e32 v2, 8, v80
	v_min_i32_e32 v0, s25, v2
	v_cmp_le_i32_e64 s2, s18, v2
	s_delay_alu instid0(VALU_DEP_2) | instskip(NEXT) | instid1(VALU_DEP_1)
	v_ashrrev_i32_e32 v1, 31, v0
	v_lshlrev_b64 v[0:1], 1, v[0:1]
	s_delay_alu instid0(VALU_DEP_1) | instskip(NEXT) | instid1(VALU_DEP_1)
	v_add_co_u32 v0, s3, s8, v0
	v_add_co_ci_u32_e64 v1, s3, s9, v1, s3
	s_or_b32 s3, s26, s2
	s_delay_alu instid0(SALU_CYCLE_1) | instskip(NEXT) | instid1(SALU_CYCLE_1)
	s_xor_b32 s3, s3, -1
	s_and_saveexec_b32 s13, s3
	s_cbranch_execz .LBB287_28
; %bb.27:                               ;   in Loop: Header=BB287_24 Depth=1
	v_add_co_u32 v2, s3, v0, v28
	s_delay_alu instid0(VALU_DEP_1)
	v_add_co_ci_u32_e64 v3, s3, v1, v29, s3
	flat_load_u16 v2, v[2:3]
	s_waitcnt vmcnt(0) lgkmcnt(0)
	v_mul_f16_e32 v82, s19, v2
.LBB287_28:                             ;   in Loop: Header=BB287_24 Depth=1
	s_or_b32 exec_lo, exec_lo, s13
	v_dual_mov_b32 v79, 0 :: v_dual_mov_b32 v84, 0
	s_or_b32 s2, s27, s2
	s_delay_alu instid0(SALU_CYCLE_1) | instskip(NEXT) | instid1(SALU_CYCLE_1)
	s_xor_b32 s2, s2, -1
	s_and_saveexec_b32 s3, s2
	s_cbranch_execz .LBB287_30
; %bb.29:                               ;   in Loop: Header=BB287_24 Depth=1
	v_add_co_u32 v0, s2, v0, v30
	s_delay_alu instid0(VALU_DEP_1)
	v_add_co_ci_u32_e64 v1, s2, v1, v31, s2
	flat_load_u16 v0, v[0:1]
	s_waitcnt vmcnt(0) lgkmcnt(0)
	v_mul_f16_e32 v84, s19, v0
.LBB287_30:                             ;   in Loop: Header=BB287_24 Depth=1
	s_or_b32 exec_lo, exec_lo, s3
	ds_load_2addr_b64 v[0:3], v75 offset0:48 offset1:56
	ds_load_2addr_b64 v[12:15], v78 offset0:64 offset1:96
	ds_load_2addr_b64 v[20:23], v78 offset1:32
	ds_load_2addr_b64 v[16:19], v75 offset1:8
	ds_load_2addr_b64 v[8:11], v75 offset0:16 offset1:24
	ds_load_2addr_b64 v[4:7], v75 offset0:32 offset1:40
	v_add_nc_u32_e32 v81, 12, v81
	ds_store_b16 v59, v83
	ds_store_b16 v38, v82
	ds_store_b16 v38, v84 offset:512
	s_waitcnt lgkmcnt(0)
	s_barrier
	buffer_gl0_inv
	v_cmp_gt_i32_e64 s2, s18, v81
	s_delay_alu instid0(VALU_DEP_1) | instskip(NEXT) | instid1(SALU_CYCLE_1)
	s_and_b32 s2, vcc_lo, s2
	s_and_b32 s2, s23, s2
	s_delay_alu instid0(SALU_CYCLE_1)
	s_and_saveexec_b32 s3, s2
	s_cbranch_execz .LBB287_32
; %bb.31:                               ;   in Loop: Header=BB287_24 Depth=1
	v_add_co_u32 v81, s2, v76, v24
	s_delay_alu instid0(VALU_DEP_1)
	v_add_co_ci_u32_e64 v82, s2, v77, v25, s2
	flat_load_u16 v79, v[81:82]
	s_waitcnt vmcnt(0) lgkmcnt(0)
	v_mul_f16_e32 v79, s19, v79
.LBB287_32:                             ;   in Loop: Header=BB287_24 Depth=1
	s_or_b32 exec_lo, exec_lo, s3
	v_add_nc_u32_e32 v84, 12, v80
	s_delay_alu instid0(VALU_DEP_1) | instskip(NEXT) | instid1(VALU_DEP_1)
	v_min_i32_e32 v80, s25, v84
	v_ashrrev_i32_e32 v81, 31, v80
	s_delay_alu instid0(VALU_DEP_1) | instskip(SKIP_3) | instid1(VALU_DEP_4)
	v_lshlrev_b64 v[82:83], 1, v[80:81]
	v_mov_b32_e32 v81, 0
	v_cmp_le_i32_e64 s2, s18, v84
	v_mov_b32_e32 v80, 0
	v_add_co_u32 v82, s3, s8, v82
	s_delay_alu instid0(VALU_DEP_1) | instskip(NEXT) | instid1(VALU_DEP_4)
	v_add_co_ci_u32_e64 v83, s3, s9, v83, s3
	s_or_b32 s3, s26, s2
	s_delay_alu instid0(SALU_CYCLE_1) | instskip(NEXT) | instid1(SALU_CYCLE_1)
	s_xor_b32 s3, s3, -1
	s_and_saveexec_b32 s13, s3
	s_cbranch_execz .LBB287_34
; %bb.33:                               ;   in Loop: Header=BB287_24 Depth=1
	v_add_co_u32 v84, s3, v82, v28
	s_delay_alu instid0(VALU_DEP_1)
	v_add_co_ci_u32_e64 v85, s3, v83, v29, s3
	flat_load_u16 v81, v[84:85]
	s_waitcnt vmcnt(0) lgkmcnt(0)
	v_mul_f16_e32 v81, s19, v81
.LBB287_34:                             ;   in Loop: Header=BB287_24 Depth=1
	s_or_b32 exec_lo, exec_lo, s13
	v_pk_max_f16 v104, v2, v2
	v_pk_max_f16 v100, v20, v20
	;; [unrolled: 1-line block ×12, first 2 shown]
	v_pk_min_f16 v2, v104, v100
	v_pk_min_f16 v12, v104, v101
	;; [unrolled: 1-line block ×25, first 2 shown]
	v_pk_max_f16 v124, v3, v3
	v_pk_max_f16 v21, v21, v21
	;; [unrolled: 1-line block ×9, first 2 shown]
	v_pk_min_f16 v113, v0, v21
	v_pk_min_f16 v114, v0, v125
	;; [unrolled: 1-line block ×4, first 2 shown]
	v_pk_max_f16 v0, v9, v9
	v_pk_min_f16 v117, v3, v21
	v_pk_min_f16 v118, v3, v125
	;; [unrolled: 1-line block ×4, first 2 shown]
	v_pk_max_f16 v3, v11, v11
	v_pk_max_f16 v1, v1, v1
	v_pk_min_f16 v22, v22, v105
	v_pk_min_f16 v86, v86, v105
	;; [unrolled: 1-line block ×31, first 2 shown]
	s_or_b32 s2, s27, s2
	s_delay_alu instid0(SALU_CYCLE_1) | instskip(NEXT) | instid1(SALU_CYCLE_1)
	s_xor_b32 s2, s2, -1
	s_and_saveexec_b32 s3, s2
	s_cbranch_execz .LBB287_23
; %bb.35:                               ;   in Loop: Header=BB287_24 Depth=1
	v_add_co_u32 v82, s2, v82, v30
	s_delay_alu instid0(VALU_DEP_1)
	v_add_co_ci_u32_e64 v83, s2, v83, v31, s2
	flat_load_u16 v80, v[82:83]
	s_waitcnt vmcnt(0) lgkmcnt(0)
	v_mul_f16_e32 v80, s19, v80
	s_branch .LBB287_23
.LBB287_36:
	s_clause 0x2
	s_load_b64 s[2:3], s[0:1], 0x70
	s_load_b32 s12, s[0:1], 0x50
	s_load_b32 s9, s[0:1], 0x68
	v_add_nc_u32_e32 v66, s24, v33
	v_add_nc_u32_e32 v8, 0x800, v37
	ds_load_2addr_b64 v[0:3], v36 offset0:192 offset1:224
	ds_load_2addr_b64 v[20:23], v36 offset0:128 offset1:160
	v_add_nc_u32_e32 v24, s14, v32
	ds_load_2addr_b64 v[4:7], v8 offset0:112 offset1:120
	ds_load_2addr_b64 v[16:19], v8 offset0:64 offset1:72
	;; [unrolled: 1-line block ×4, first 2 shown]
	v_cmp_gt_i32_e64 s8, s17, v66
	v_cndmask_b32_e64 v59, 0, 1, s21
	s_waitcnt lgkmcnt(0)
	s_mul_i32 s0, s15, s3
	v_mad_i64_i32 v[25:26], null, v66, s12, 0
	v_mad_i64_i32 v[27:28], null, v66, s9, 0
	s_mul_hi_u32 s1, s15, s2
	s_mul_i32 s3, s22, s2
	s_add_i32 s1, s1, s0
	s_mul_i32 s0, s15, s2
	s_delay_alu instid0(VALU_DEP_2) | instskip(SKIP_1) | instid1(VALU_DEP_2)
	v_lshlrev_b64 v[25:26], 1, v[25:26]
	s_add_i32 s1, s1, s3
	v_lshlrev_b64 v[27:28], 1, v[27:28]
	s_lshl_b64 s[0:1], s[0:1], 1
	s_delay_alu instid0(SALU_CYCLE_1) | instskip(NEXT) | instid1(VALU_DEP_2)
	s_add_u32 s13, s6, s0
	v_add_co_u32 v75, vcc_lo, s10, v25
	v_add_co_ci_u32_e32 v76, vcc_lo, s11, v26, vcc_lo
	s_addc_u32 s14, s7, s1
	v_add_co_u32 v73, vcc_lo, s13, v27
	v_cmp_gt_i32_e64 s0, s16, v24
	v_add_co_ci_u32_e32 v74, vcc_lo, s14, v28, vcc_lo
	v_ashrrev_i32_e32 v25, 31, v24
	s_delay_alu instid0(VALU_DEP_3) | instskip(NEXT) | instid1(SALU_CYCLE_1)
	s_and_b32 s2, s0, s8
	s_and_saveexec_b32 s1, s2
	s_cbranch_execz .LBB287_41
; %bb.37:
	s_delay_alu instid0(VALU_DEP_1)
	v_lshlrev_b64 v[26:27], 1, v[24:25]
	s_and_not1_b32 vcc_lo, exec_lo, s21
	s_cbranch_vccnz .LBB287_39
; %bb.38:
	s_delay_alu instid0(VALU_DEP_1) | instskip(NEXT) | instid1(VALU_DEP_2)
	v_add_co_u32 v28, vcc_lo, v75, v26
	v_add_co_ci_u32_e32 v29, vcc_lo, v76, v27, vcc_lo
	flat_load_u16 v28, v[28:29]
	s_waitcnt vmcnt(0) lgkmcnt(0)
	v_mul_f16_e32 v28, s20, v28
	s_branch .LBB287_40
.LBB287_39:
	v_mov_b32_e32 v28, 0
.LBB287_40:
	v_pk_max_f16 v29, v20, v20
	v_pk_max_f16 v30, v16, v16
	;; [unrolled: 1-line block ×4, first 2 shown]
	v_add_co_u32 v26, vcc_lo, v73, v26
	s_delay_alu instid0(VALU_DEP_4) | instskip(SKIP_1) | instid1(VALU_DEP_4)
	v_pk_min_f16 v29, v30, v29
	v_add_co_ci_u32_e32 v27, vcc_lo, v74, v27, vcc_lo
	v_pk_min_f16 v30, v32, v31
	s_delay_alu instid0(VALU_DEP_3) | instskip(NEXT) | instid1(VALU_DEP_1)
	v_pk_add_f16 v29, v72, v29
	v_pk_add_f16 v29, v29, v30
	s_delay_alu instid0(VALU_DEP_1) | instskip(NEXT) | instid1(VALU_DEP_1)
	v_lshrrev_b32_e32 v30, 16, v29
	v_add_f16_e32 v29, v29, v30
	s_delay_alu instid0(VALU_DEP_1)
	v_add_f16_e32 v28, v29, v28
	global_store_b16 v[26:27], v28, off
.LBB287_41:
	s_or_b32 exec_lo, exec_lo, s1
	v_add_nc_u32_e32 v26, 8, v24
	s_delay_alu instid0(VALU_DEP_1) | instskip(SKIP_1) | instid1(VALU_DEP_2)
	v_cmp_gt_i32_e64 s1, s16, v26
	v_ashrrev_i32_e32 v27, 31, v26
	s_and_b32 s3, s1, s8
	s_delay_alu instid0(SALU_CYCLE_1)
	s_and_saveexec_b32 s2, s3
	s_cbranch_execz .LBB287_46
; %bb.42:
	v_cmp_ne_u32_e32 vcc_lo, 1, v59
	v_lshlrev_b64 v[28:29], 1, v[26:27]
	s_cbranch_vccnz .LBB287_44
; %bb.43:
	s_delay_alu instid0(VALU_DEP_1) | instskip(NEXT) | instid1(VALU_DEP_2)
	v_add_co_u32 v30, vcc_lo, v75, v28
	v_add_co_ci_u32_e32 v31, vcc_lo, v76, v29, vcc_lo
	flat_load_u16 v30, v[30:31]
	s_waitcnt vmcnt(0) lgkmcnt(0)
	v_mul_f16_e32 v30, s20, v30
	s_branch .LBB287_45
.LBB287_44:
	v_mov_b32_e32 v30, 0
.LBB287_45:
	v_pk_max_f16 v31, v20, v20
	v_pk_max_f16 v32, v18, v18
	v_pk_max_f16 v33, v21, v21
	v_pk_max_f16 v34, v19, v19
	v_add_co_u32 v28, vcc_lo, v73, v28
	s_delay_alu instid0(VALU_DEP_4) | instskip(SKIP_1) | instid1(VALU_DEP_4)
	v_pk_min_f16 v31, v32, v31
	v_add_co_ci_u32_e32 v29, vcc_lo, v74, v29, vcc_lo
	v_pk_min_f16 v32, v34, v33
	s_delay_alu instid0(VALU_DEP_3) | instskip(NEXT) | instid1(VALU_DEP_1)
	v_pk_add_f16 v31, v71, v31
	v_pk_add_f16 v31, v31, v32
	s_delay_alu instid0(VALU_DEP_1) | instskip(NEXT) | instid1(VALU_DEP_1)
	v_lshrrev_b32_e32 v32, 16, v31
	v_add_f16_e32 v31, v31, v32
	s_delay_alu instid0(VALU_DEP_1)
	v_add_f16_e32 v30, v31, v30
	global_store_b16 v[28:29], v30, off
.LBB287_46:
	s_or_b32 exec_lo, exec_lo, s2
	v_add_nc_u32_e32 v28, 16, v24
	s_delay_alu instid0(VALU_DEP_1) | instskip(SKIP_1) | instid1(VALU_DEP_2)
	v_cmp_gt_i32_e64 s2, s16, v28
	v_ashrrev_i32_e32 v29, 31, v28
	s_and_b32 s4, s2, s8
	s_delay_alu instid0(SALU_CYCLE_1)
	s_and_saveexec_b32 s3, s4
	s_cbranch_execz .LBB287_51
; %bb.47:
	v_cmp_ne_u32_e32 vcc_lo, 1, v59
	v_lshlrev_b64 v[30:31], 1, v[28:29]
	s_cbranch_vccnz .LBB287_49
; %bb.48:
	s_delay_alu instid0(VALU_DEP_1) | instskip(NEXT) | instid1(VALU_DEP_2)
	v_add_co_u32 v32, vcc_lo, v75, v30
	v_add_co_ci_u32_e32 v33, vcc_lo, v76, v31, vcc_lo
	flat_load_u16 v32, v[32:33]
	s_waitcnt vmcnt(0) lgkmcnt(0)
	v_mul_f16_e32 v32, s20, v32
	s_branch .LBB287_50
.LBB287_49:
	v_mov_b32_e32 v32, 0
.LBB287_50:
	v_pk_max_f16 v33, v20, v20
	v_pk_max_f16 v34, v12, v12
	v_pk_max_f16 v35, v21, v21
	v_pk_max_f16 v36, v13, v13
	v_add_co_u32 v30, vcc_lo, v73, v30
	s_delay_alu instid0(VALU_DEP_4) | instskip(SKIP_1) | instid1(VALU_DEP_4)
	v_pk_min_f16 v33, v34, v33
	v_add_co_ci_u32_e32 v31, vcc_lo, v74, v31, vcc_lo
	v_pk_min_f16 v34, v36, v35
	s_delay_alu instid0(VALU_DEP_3) | instskip(NEXT) | instid1(VALU_DEP_1)
	v_pk_add_f16 v33, v70, v33
	v_pk_add_f16 v33, v33, v34
	s_delay_alu instid0(VALU_DEP_1) | instskip(NEXT) | instid1(VALU_DEP_1)
	v_lshrrev_b32_e32 v34, 16, v33
	v_add_f16_e32 v33, v33, v34
	s_delay_alu instid0(VALU_DEP_1)
	v_add_f16_e32 v32, v33, v32
	global_store_b16 v[30:31], v32, off
.LBB287_51:
	;; [unrolled: 43-line block ×6, first 2 shown]
	s_or_b32 exec_lo, exec_lo, s7
	v_add_nc_u32_e32 v38, 56, v24
	s_delay_alu instid0(VALU_DEP_1) | instskip(SKIP_1) | instid1(VALU_DEP_2)
	v_cmp_gt_i32_e64 s7, s16, v38
	v_ashrrev_i32_e32 v39, 31, v38
	s_and_b32 s15, s7, s8
	s_delay_alu instid0(SALU_CYCLE_1)
	s_and_saveexec_b32 s8, s15
	s_cbranch_execz .LBB287_76
; %bb.72:
	v_cmp_ne_u32_e32 vcc_lo, 1, v59
	v_lshlrev_b64 v[40:41], 1, v[38:39]
	s_cbranch_vccnz .LBB287_74
; %bb.73:
	s_delay_alu instid0(VALU_DEP_1) | instskip(NEXT) | instid1(VALU_DEP_2)
	v_add_co_u32 v69, vcc_lo, v75, v40
	v_add_co_ci_u32_e32 v70, vcc_lo, v76, v41, vcc_lo
	flat_load_u16 v69, v[69:70]
	s_waitcnt vmcnt(0) lgkmcnt(0)
	v_mul_f16_e32 v69, s20, v69
	s_branch .LBB287_75
.LBB287_74:
	v_mov_b32_e32 v69, 0
.LBB287_75:
	v_pk_max_f16 v20, v20, v20
	v_pk_max_f16 v70, v6, v6
	;; [unrolled: 1-line block ×4, first 2 shown]
	s_delay_alu instid0(VALU_DEP_3) | instskip(NEXT) | instid1(VALU_DEP_2)
	v_pk_min_f16 v20, v70, v20
	v_pk_min_f16 v21, v71, v21
	s_delay_alu instid0(VALU_DEP_2) | instskip(NEXT) | instid1(VALU_DEP_1)
	v_pk_add_f16 v20, v68, v20
	v_pk_add_f16 v20, v20, v21
	s_delay_alu instid0(VALU_DEP_1) | instskip(NEXT) | instid1(VALU_DEP_1)
	v_lshrrev_b32_e32 v21, 16, v20
	v_add_f16_e32 v20, v20, v21
	s_delay_alu instid0(VALU_DEP_1)
	v_add_f16_e32 v68, v20, v69
	v_add_co_u32 v20, vcc_lo, v73, v40
	v_add_co_ci_u32_e32 v21, vcc_lo, v74, v41, vcc_lo
	global_store_b16 v[20:21], v68, off
.LBB287_76:
	s_or_b32 exec_lo, exec_lo, s8
	v_add_nc_u32_e32 v68, 32, v66
	s_delay_alu instid0(VALU_DEP_1) | instskip(SKIP_2) | instid1(VALU_DEP_3)
	v_mad_i64_i32 v[20:21], null, v68, s12, 0
	v_mad_i64_i32 v[40:41], null, v68, s9, 0
	v_cmp_gt_i32_e64 s8, s17, v68
	v_lshlrev_b64 v[20:21], 1, v[20:21]
	s_delay_alu instid0(VALU_DEP_2) | instskip(NEXT) | instid1(VALU_DEP_3)
	s_and_b32 s16, s0, s8
	v_lshlrev_b64 v[40:41], 1, v[40:41]
	s_delay_alu instid0(VALU_DEP_2) | instskip(NEXT) | instid1(VALU_DEP_3)
	v_add_co_u32 v68, vcc_lo, s10, v20
	v_add_co_ci_u32_e32 v69, vcc_lo, s11, v21, vcc_lo
	s_delay_alu instid0(VALU_DEP_3) | instskip(NEXT) | instid1(VALU_DEP_4)
	v_add_co_u32 v40, vcc_lo, s13, v40
	v_add_co_ci_u32_e32 v41, vcc_lo, s14, v41, vcc_lo
	s_and_saveexec_b32 s15, s16
	s_cbranch_execnz .LBB287_84
; %bb.77:
	s_or_b32 exec_lo, exec_lo, s15
	s_and_b32 s16, s1, s8
	s_delay_alu instid0(SALU_CYCLE_1)
	s_and_saveexec_b32 s15, s16
	s_cbranch_execnz .LBB287_88
.LBB287_78:
	s_or_b32 exec_lo, exec_lo, s15
	s_and_b32 s16, s2, s8
	s_delay_alu instid0(SALU_CYCLE_1)
	s_and_saveexec_b32 s15, s16
	s_cbranch_execnz .LBB287_92
.LBB287_79:
	s_or_b32 exec_lo, exec_lo, s15
	s_and_b32 s16, s3, s8
	s_delay_alu instid0(SALU_CYCLE_1)
	s_and_saveexec_b32 s15, s16
	s_cbranch_execnz .LBB287_96
.LBB287_80:
	s_or_b32 exec_lo, exec_lo, s15
	s_and_b32 s16, s4, s8
	s_delay_alu instid0(SALU_CYCLE_1)
	s_and_saveexec_b32 s15, s16
	s_cbranch_execnz .LBB287_100
.LBB287_81:
	s_or_b32 exec_lo, exec_lo, s15
	s_and_b32 s16, s5, s8
	s_delay_alu instid0(SALU_CYCLE_1)
	s_and_saveexec_b32 s15, s16
	s_cbranch_execnz .LBB287_104
.LBB287_82:
	s_or_b32 exec_lo, exec_lo, s15
	s_and_b32 s16, s6, s8
	s_delay_alu instid0(SALU_CYCLE_1)
	s_and_saveexec_b32 s15, s16
	s_cbranch_execnz .LBB287_108
.LBB287_83:
	s_or_b32 exec_lo, exec_lo, s15
	s_and_b32 s15, s7, s8
	s_delay_alu instid0(SALU_CYCLE_1)
	s_and_saveexec_b32 s8, s15
	s_cbranch_execnz .LBB287_112
	s_branch .LBB287_116
.LBB287_84:
	v_cmp_ne_u32_e32 vcc_lo, 1, v59
	v_lshlrev_b64 v[20:21], 1, v[24:25]
	s_cbranch_vccnz .LBB287_86
; %bb.85:
	s_delay_alu instid0(VALU_DEP_1) | instskip(NEXT) | instid1(VALU_DEP_2)
	v_add_co_u32 v70, vcc_lo, v68, v20
	v_add_co_ci_u32_e32 v71, vcc_lo, v69, v21, vcc_lo
	flat_load_u16 v70, v[70:71]
	s_waitcnt vmcnt(0) lgkmcnt(0)
	v_mul_f16_e32 v70, s20, v70
	s_branch .LBB287_87
.LBB287_86:
	v_mov_b32_e32 v70, 0
.LBB287_87:
	v_pk_max_f16 v71, v22, v22
	v_pk_max_f16 v72, v16, v16
	;; [unrolled: 1-line block ×4, first 2 shown]
	v_add_co_u32 v20, vcc_lo, v40, v20
	s_delay_alu instid0(VALU_DEP_4) | instskip(SKIP_1) | instid1(VALU_DEP_4)
	v_pk_min_f16 v71, v72, v71
	v_add_co_ci_u32_e32 v21, vcc_lo, v41, v21, vcc_lo
	v_pk_min_f16 v72, v74, v73
	s_delay_alu instid0(VALU_DEP_3) | instskip(NEXT) | instid1(VALU_DEP_1)
	v_pk_add_f16 v67, v67, v71
	v_pk_add_f16 v67, v67, v72
	s_delay_alu instid0(VALU_DEP_1) | instskip(NEXT) | instid1(VALU_DEP_1)
	v_lshrrev_b32_e32 v71, 16, v67
	v_add_f16_e32 v67, v67, v71
	s_delay_alu instid0(VALU_DEP_1) | instskip(SKIP_3) | instid1(SALU_CYCLE_1)
	v_add_f16_e32 v67, v67, v70
	global_store_b16 v[20:21], v67, off
	s_or_b32 exec_lo, exec_lo, s15
	s_and_b32 s16, s1, s8
	s_and_saveexec_b32 s15, s16
	s_cbranch_execz .LBB287_78
.LBB287_88:
	v_cmp_ne_u32_e32 vcc_lo, 1, v59
	v_lshlrev_b64 v[20:21], 1, v[26:27]
	s_cbranch_vccnz .LBB287_90
; %bb.89:
	s_delay_alu instid0(VALU_DEP_1) | instskip(NEXT) | instid1(VALU_DEP_2)
	v_add_co_u32 v70, vcc_lo, v68, v20
	v_add_co_ci_u32_e32 v71, vcc_lo, v69, v21, vcc_lo
	flat_load_u16 v67, v[70:71]
	s_waitcnt vmcnt(0) lgkmcnt(0)
	v_mul_f16_e32 v67, s20, v67
	s_branch .LBB287_91
.LBB287_90:
	v_mov_b32_e32 v67, 0
.LBB287_91:
	v_pk_max_f16 v70, v22, v22
	v_pk_max_f16 v71, v18, v18
	;; [unrolled: 1-line block ×4, first 2 shown]
	v_add_co_u32 v20, vcc_lo, v40, v20
	s_delay_alu instid0(VALU_DEP_4) | instskip(SKIP_1) | instid1(VALU_DEP_4)
	v_pk_min_f16 v70, v71, v70
	v_add_co_ci_u32_e32 v21, vcc_lo, v41, v21, vcc_lo
	v_pk_min_f16 v71, v73, v72
	s_delay_alu instid0(VALU_DEP_3) | instskip(NEXT) | instid1(VALU_DEP_1)
	v_pk_add_f16 v65, v65, v70
	v_pk_add_f16 v65, v65, v71
	s_delay_alu instid0(VALU_DEP_1) | instskip(NEXT) | instid1(VALU_DEP_1)
	v_lshrrev_b32_e32 v70, 16, v65
	v_add_f16_e32 v65, v65, v70
	s_delay_alu instid0(VALU_DEP_1) | instskip(SKIP_3) | instid1(SALU_CYCLE_1)
	v_add_f16_e32 v65, v65, v67
	global_store_b16 v[20:21], v65, off
	s_or_b32 exec_lo, exec_lo, s15
	s_and_b32 s16, s2, s8
	s_and_saveexec_b32 s15, s16
	s_cbranch_execz .LBB287_79
.LBB287_92:
	v_cmp_ne_u32_e32 vcc_lo, 1, v59
	v_lshlrev_b64 v[20:21], 1, v[28:29]
	s_cbranch_vccnz .LBB287_94
; %bb.93:
	s_delay_alu instid0(VALU_DEP_1) | instskip(NEXT) | instid1(VALU_DEP_2)
	v_add_co_u32 v70, vcc_lo, v68, v20
	v_add_co_ci_u32_e32 v71, vcc_lo, v69, v21, vcc_lo
	flat_load_u16 v65, v[70:71]
	s_waitcnt vmcnt(0) lgkmcnt(0)
	v_mul_f16_e32 v65, s20, v65
	s_branch .LBB287_95
.LBB287_94:
	v_mov_b32_e32 v65, 0
.LBB287_95:
	v_pk_max_f16 v67, v22, v22
	v_pk_max_f16 v70, v12, v12
	;; [unrolled: 1-line block ×4, first 2 shown]
	v_add_co_u32 v20, vcc_lo, v40, v20
	s_delay_alu instid0(VALU_DEP_4) | instskip(SKIP_1) | instid1(VALU_DEP_4)
	v_pk_min_f16 v67, v70, v67
	v_add_co_ci_u32_e32 v21, vcc_lo, v41, v21, vcc_lo
	v_pk_min_f16 v70, v72, v71
	s_delay_alu instid0(VALU_DEP_3) | instskip(NEXT) | instid1(VALU_DEP_1)
	v_pk_add_f16 v64, v64, v67
	v_pk_add_f16 v64, v64, v70
	s_delay_alu instid0(VALU_DEP_1) | instskip(NEXT) | instid1(VALU_DEP_1)
	v_lshrrev_b32_e32 v67, 16, v64
	v_add_f16_e32 v64, v64, v67
	s_delay_alu instid0(VALU_DEP_1) | instskip(SKIP_3) | instid1(SALU_CYCLE_1)
	v_add_f16_e32 v64, v64, v65
	global_store_b16 v[20:21], v64, off
	s_or_b32 exec_lo, exec_lo, s15
	s_and_b32 s16, s3, s8
	s_and_saveexec_b32 s15, s16
	s_cbranch_execz .LBB287_80
.LBB287_96:
	v_cmp_ne_u32_e32 vcc_lo, 1, v59
	v_lshlrev_b64 v[20:21], 1, v[30:31]
	s_cbranch_vccnz .LBB287_98
; %bb.97:
	s_delay_alu instid0(VALU_DEP_1) | instskip(NEXT) | instid1(VALU_DEP_2)
	v_add_co_u32 v64, vcc_lo, v68, v20
	v_add_co_ci_u32_e32 v65, vcc_lo, v69, v21, vcc_lo
	flat_load_u16 v64, v[64:65]
	s_waitcnt vmcnt(0) lgkmcnt(0)
	v_mul_f16_e32 v64, s20, v64
	s_branch .LBB287_99
.LBB287_98:
	v_mov_b32_e32 v64, 0
.LBB287_99:
	v_pk_max_f16 v65, v22, v22
	v_pk_max_f16 v67, v14, v14
	;; [unrolled: 1-line block ×4, first 2 shown]
	v_add_co_u32 v20, vcc_lo, v40, v20
	s_delay_alu instid0(VALU_DEP_4) | instskip(SKIP_1) | instid1(VALU_DEP_4)
	v_pk_min_f16 v65, v67, v65
	v_add_co_ci_u32_e32 v21, vcc_lo, v41, v21, vcc_lo
	v_pk_min_f16 v67, v71, v70
	s_delay_alu instid0(VALU_DEP_3) | instskip(NEXT) | instid1(VALU_DEP_1)
	v_pk_add_f16 v63, v63, v65
	v_pk_add_f16 v63, v63, v67
	s_delay_alu instid0(VALU_DEP_1) | instskip(NEXT) | instid1(VALU_DEP_1)
	v_lshrrev_b32_e32 v65, 16, v63
	v_add_f16_e32 v63, v63, v65
	s_delay_alu instid0(VALU_DEP_1) | instskip(SKIP_3) | instid1(SALU_CYCLE_1)
	v_add_f16_e32 v63, v63, v64
	global_store_b16 v[20:21], v63, off
	s_or_b32 exec_lo, exec_lo, s15
	s_and_b32 s16, s4, s8
	s_and_saveexec_b32 s15, s16
	s_cbranch_execz .LBB287_81
.LBB287_100:
	v_cmp_ne_u32_e32 vcc_lo, 1, v59
	v_lshlrev_b64 v[20:21], 1, v[32:33]
	s_cbranch_vccnz .LBB287_102
; %bb.101:
	s_delay_alu instid0(VALU_DEP_1) | instskip(NEXT) | instid1(VALU_DEP_2)
	v_add_co_u32 v63, vcc_lo, v68, v20
	v_add_co_ci_u32_e32 v64, vcc_lo, v69, v21, vcc_lo
	flat_load_u16 v63, v[63:64]
	s_waitcnt vmcnt(0) lgkmcnt(0)
	v_mul_f16_e32 v63, s20, v63
	s_branch .LBB287_103
.LBB287_102:
	v_mov_b32_e32 v63, 0
.LBB287_103:
	v_pk_max_f16 v64, v22, v22
	v_pk_max_f16 v65, v8, v8
	;; [unrolled: 1-line block ×4, first 2 shown]
	v_add_co_u32 v20, vcc_lo, v40, v20
	s_delay_alu instid0(VALU_DEP_4) | instskip(SKIP_1) | instid1(VALU_DEP_4)
	v_pk_min_f16 v64, v65, v64
	v_add_co_ci_u32_e32 v21, vcc_lo, v41, v21, vcc_lo
	v_pk_min_f16 v65, v70, v67
	s_delay_alu instid0(VALU_DEP_3) | instskip(NEXT) | instid1(VALU_DEP_1)
	v_pk_add_f16 v62, v62, v64
	v_pk_add_f16 v62, v62, v65
	s_delay_alu instid0(VALU_DEP_1) | instskip(NEXT) | instid1(VALU_DEP_1)
	v_lshrrev_b32_e32 v64, 16, v62
	v_add_f16_e32 v62, v62, v64
	s_delay_alu instid0(VALU_DEP_1) | instskip(SKIP_3) | instid1(SALU_CYCLE_1)
	v_add_f16_e32 v62, v62, v63
	global_store_b16 v[20:21], v62, off
	s_or_b32 exec_lo, exec_lo, s15
	s_and_b32 s16, s5, s8
	s_and_saveexec_b32 s15, s16
	s_cbranch_execz .LBB287_82
.LBB287_104:
	v_cmp_ne_u32_e32 vcc_lo, 1, v59
	v_lshlrev_b64 v[20:21], 1, v[34:35]
	s_cbranch_vccnz .LBB287_106
; %bb.105:
	s_delay_alu instid0(VALU_DEP_1) | instskip(NEXT) | instid1(VALU_DEP_2)
	v_add_co_u32 v62, vcc_lo, v68, v20
	v_add_co_ci_u32_e32 v63, vcc_lo, v69, v21, vcc_lo
	flat_load_u16 v62, v[62:63]
	s_waitcnt vmcnt(0) lgkmcnt(0)
	v_mul_f16_e32 v62, s20, v62
	s_branch .LBB287_107
.LBB287_106:
	v_mov_b32_e32 v62, 0
.LBB287_107:
	v_pk_max_f16 v63, v22, v22
	v_pk_max_f16 v64, v10, v10
	v_pk_max_f16 v65, v23, v23
	v_pk_max_f16 v67, v11, v11
	v_add_co_u32 v20, vcc_lo, v40, v20
	s_delay_alu instid0(VALU_DEP_4) | instskip(SKIP_1) | instid1(VALU_DEP_4)
	v_pk_min_f16 v63, v64, v63
	v_add_co_ci_u32_e32 v21, vcc_lo, v41, v21, vcc_lo
	v_pk_min_f16 v64, v67, v65
	s_delay_alu instid0(VALU_DEP_3) | instskip(NEXT) | instid1(VALU_DEP_1)
	v_pk_add_f16 v61, v61, v63
	v_pk_add_f16 v61, v61, v64
	s_delay_alu instid0(VALU_DEP_1) | instskip(NEXT) | instid1(VALU_DEP_1)
	v_lshrrev_b32_e32 v63, 16, v61
	v_add_f16_e32 v61, v61, v63
	s_delay_alu instid0(VALU_DEP_1) | instskip(SKIP_3) | instid1(SALU_CYCLE_1)
	v_add_f16_e32 v61, v61, v62
	global_store_b16 v[20:21], v61, off
	s_or_b32 exec_lo, exec_lo, s15
	s_and_b32 s16, s6, s8
	s_and_saveexec_b32 s15, s16
	s_cbranch_execz .LBB287_83
.LBB287_108:
	v_cmp_ne_u32_e32 vcc_lo, 1, v59
	v_lshlrev_b64 v[20:21], 1, v[36:37]
	s_cbranch_vccnz .LBB287_110
; %bb.109:
	s_delay_alu instid0(VALU_DEP_1) | instskip(NEXT) | instid1(VALU_DEP_2)
	v_add_co_u32 v61, vcc_lo, v68, v20
	v_add_co_ci_u32_e32 v62, vcc_lo, v69, v21, vcc_lo
	flat_load_u16 v61, v[61:62]
	s_waitcnt vmcnt(0) lgkmcnt(0)
	v_mul_f16_e32 v61, s20, v61
	s_branch .LBB287_111
.LBB287_110:
	v_mov_b32_e32 v61, 0
.LBB287_111:
	v_pk_max_f16 v62, v22, v22
	v_pk_max_f16 v63, v4, v4
	;; [unrolled: 1-line block ×4, first 2 shown]
	v_add_co_u32 v20, vcc_lo, v40, v20
	s_delay_alu instid0(VALU_DEP_4) | instskip(SKIP_1) | instid1(VALU_DEP_4)
	v_pk_min_f16 v62, v63, v62
	v_add_co_ci_u32_e32 v21, vcc_lo, v41, v21, vcc_lo
	v_pk_min_f16 v63, v65, v64
	s_delay_alu instid0(VALU_DEP_3) | instskip(NEXT) | instid1(VALU_DEP_1)
	v_pk_add_f16 v60, v60, v62
	v_pk_add_f16 v60, v60, v63
	s_delay_alu instid0(VALU_DEP_1) | instskip(NEXT) | instid1(VALU_DEP_1)
	v_lshrrev_b32_e32 v62, 16, v60
	v_add_f16_e32 v60, v60, v62
	s_delay_alu instid0(VALU_DEP_1) | instskip(SKIP_3) | instid1(SALU_CYCLE_1)
	v_add_f16_e32 v60, v60, v61
	global_store_b16 v[20:21], v60, off
	s_or_b32 exec_lo, exec_lo, s15
	s_and_b32 s15, s7, s8
	s_and_saveexec_b32 s8, s15
	s_cbranch_execz .LBB287_116
.LBB287_112:
	v_cmp_ne_u32_e32 vcc_lo, 1, v59
	v_lshlrev_b64 v[20:21], 1, v[38:39]
	s_cbranch_vccnz .LBB287_114
; %bb.113:
	s_delay_alu instid0(VALU_DEP_1) | instskip(NEXT) | instid1(VALU_DEP_2)
	v_add_co_u32 v60, vcc_lo, v68, v20
	v_add_co_ci_u32_e32 v61, vcc_lo, v69, v21, vcc_lo
	flat_load_u16 v60, v[60:61]
	s_waitcnt vmcnt(0) lgkmcnt(0)
	v_mul_f16_e32 v60, s20, v60
	s_branch .LBB287_115
.LBB287_114:
	v_mov_b32_e32 v60, 0
.LBB287_115:
	v_pk_max_f16 v22, v22, v22
	v_pk_max_f16 v61, v6, v6
	;; [unrolled: 1-line block ×4, first 2 shown]
	v_add_co_u32 v20, vcc_lo, v40, v20
	s_delay_alu instid0(VALU_DEP_4) | instskip(SKIP_1) | instid1(VALU_DEP_4)
	v_pk_min_f16 v22, v61, v22
	v_add_co_ci_u32_e32 v21, vcc_lo, v41, v21, vcc_lo
	v_pk_min_f16 v23, v62, v23
	s_delay_alu instid0(VALU_DEP_3) | instskip(NEXT) | instid1(VALU_DEP_1)
	v_pk_add_f16 v22, v58, v22
	v_pk_add_f16 v22, v22, v23
	s_delay_alu instid0(VALU_DEP_1) | instskip(NEXT) | instid1(VALU_DEP_1)
	v_lshrrev_b32_e32 v23, 16, v22
	v_add_f16_e32 v22, v22, v23
	s_delay_alu instid0(VALU_DEP_1)
	v_add_f16_e32 v22, v22, v60
	global_store_b16 v[20:21], v22, off
.LBB287_116:
	s_or_b32 exec_lo, exec_lo, s8
	v_add_nc_u32_e32 v40, 64, v66
	s_delay_alu instid0(VALU_DEP_1) | instskip(SKIP_2) | instid1(VALU_DEP_3)
	v_mad_i64_i32 v[20:21], null, v40, s12, 0
	v_mad_i64_i32 v[22:23], null, v40, s9, 0
	v_cmp_gt_i32_e64 s8, s17, v40
	v_lshlrev_b64 v[20:21], 1, v[20:21]
	s_delay_alu instid0(VALU_DEP_2) | instskip(NEXT) | instid1(VALU_DEP_3)
	s_and_b32 s16, s0, s8
	v_lshlrev_b64 v[22:23], 1, v[22:23]
	s_delay_alu instid0(VALU_DEP_2) | instskip(NEXT) | instid1(VALU_DEP_3)
	v_add_co_u32 v40, vcc_lo, s10, v20
	v_add_co_ci_u32_e32 v41, vcc_lo, s11, v21, vcc_lo
	s_delay_alu instid0(VALU_DEP_3) | instskip(NEXT) | instid1(VALU_DEP_4)
	v_add_co_u32 v22, vcc_lo, s13, v22
	v_add_co_ci_u32_e32 v23, vcc_lo, s14, v23, vcc_lo
	s_and_saveexec_b32 s15, s16
	s_cbranch_execnz .LBB287_124
; %bb.117:
	s_or_b32 exec_lo, exec_lo, s15
	s_and_b32 s16, s1, s8
	s_delay_alu instid0(SALU_CYCLE_1)
	s_and_saveexec_b32 s15, s16
	s_cbranch_execnz .LBB287_128
.LBB287_118:
	s_or_b32 exec_lo, exec_lo, s15
	s_and_b32 s16, s2, s8
	s_delay_alu instid0(SALU_CYCLE_1)
	s_and_saveexec_b32 s15, s16
	s_cbranch_execnz .LBB287_132
.LBB287_119:
	s_or_b32 exec_lo, exec_lo, s15
	s_and_b32 s16, s3, s8
	s_delay_alu instid0(SALU_CYCLE_1)
	s_and_saveexec_b32 s15, s16
	s_cbranch_execnz .LBB287_136
.LBB287_120:
	s_or_b32 exec_lo, exec_lo, s15
	s_and_b32 s16, s4, s8
	s_delay_alu instid0(SALU_CYCLE_1)
	s_and_saveexec_b32 s15, s16
	s_cbranch_execnz .LBB287_140
.LBB287_121:
	s_or_b32 exec_lo, exec_lo, s15
	s_and_b32 s16, s5, s8
	s_delay_alu instid0(SALU_CYCLE_1)
	s_and_saveexec_b32 s15, s16
	s_cbranch_execnz .LBB287_144
.LBB287_122:
	s_or_b32 exec_lo, exec_lo, s15
	s_and_b32 s16, s6, s8
	s_delay_alu instid0(SALU_CYCLE_1)
	s_and_saveexec_b32 s15, s16
	s_cbranch_execnz .LBB287_148
.LBB287_123:
	s_or_b32 exec_lo, exec_lo, s15
	s_and_b32 s15, s7, s8
	s_delay_alu instid0(SALU_CYCLE_1)
	s_and_saveexec_b32 s8, s15
	s_cbranch_execnz .LBB287_152
	s_branch .LBB287_156
.LBB287_124:
	v_cmp_ne_u32_e32 vcc_lo, 1, v59
	v_lshlrev_b64 v[20:21], 1, v[24:25]
	s_cbranch_vccnz .LBB287_126
; %bb.125:
	s_delay_alu instid0(VALU_DEP_1) | instskip(NEXT) | instid1(VALU_DEP_2)
	v_add_co_u32 v60, vcc_lo, v40, v20
	v_add_co_ci_u32_e32 v61, vcc_lo, v41, v21, vcc_lo
	flat_load_u16 v58, v[60:61]
	s_waitcnt vmcnt(0) lgkmcnt(0)
	v_mul_f16_e32 v58, s20, v58
	s_branch .LBB287_127
.LBB287_126:
	v_mov_b32_e32 v58, 0
.LBB287_127:
	v_pk_max_f16 v60, v0, v0
	v_pk_max_f16 v61, v16, v16
	v_pk_max_f16 v62, v1, v1
	v_pk_max_f16 v63, v17, v17
	v_add_co_u32 v20, vcc_lo, v22, v20
	s_delay_alu instid0(VALU_DEP_4) | instskip(SKIP_1) | instid1(VALU_DEP_4)
	v_pk_min_f16 v60, v61, v60
	v_add_co_ci_u32_e32 v21, vcc_lo, v23, v21, vcc_lo
	v_pk_min_f16 v61, v63, v62
	s_delay_alu instid0(VALU_DEP_3) | instskip(NEXT) | instid1(VALU_DEP_1)
	v_pk_add_f16 v57, v57, v60
	v_pk_add_f16 v57, v57, v61
	s_delay_alu instid0(VALU_DEP_1) | instskip(NEXT) | instid1(VALU_DEP_1)
	v_lshrrev_b32_e32 v60, 16, v57
	v_add_f16_e32 v57, v57, v60
	s_delay_alu instid0(VALU_DEP_1) | instskip(SKIP_3) | instid1(SALU_CYCLE_1)
	v_add_f16_e32 v57, v57, v58
	global_store_b16 v[20:21], v57, off
	s_or_b32 exec_lo, exec_lo, s15
	s_and_b32 s16, s1, s8
	s_and_saveexec_b32 s15, s16
	s_cbranch_execz .LBB287_118
.LBB287_128:
	v_cmp_ne_u32_e32 vcc_lo, 1, v59
	v_lshlrev_b64 v[20:21], 1, v[26:27]
	s_cbranch_vccnz .LBB287_130
; %bb.129:
	s_delay_alu instid0(VALU_DEP_1) | instskip(NEXT) | instid1(VALU_DEP_2)
	v_add_co_u32 v57, vcc_lo, v40, v20
	v_add_co_ci_u32_e32 v58, vcc_lo, v41, v21, vcc_lo
	flat_load_u16 v57, v[57:58]
	s_waitcnt vmcnt(0) lgkmcnt(0)
	v_mul_f16_e32 v57, s20, v57
	s_branch .LBB287_131
.LBB287_130:
	v_mov_b32_e32 v57, 0
.LBB287_131:
	v_pk_max_f16 v58, v0, v0
	v_pk_max_f16 v60, v18, v18
	;; [unrolled: 1-line block ×4, first 2 shown]
	v_add_co_u32 v20, vcc_lo, v22, v20
	s_delay_alu instid0(VALU_DEP_4) | instskip(SKIP_1) | instid1(VALU_DEP_4)
	v_pk_min_f16 v58, v60, v58
	v_add_co_ci_u32_e32 v21, vcc_lo, v23, v21, vcc_lo
	v_pk_min_f16 v60, v62, v61
	s_delay_alu instid0(VALU_DEP_3) | instskip(NEXT) | instid1(VALU_DEP_1)
	v_pk_add_f16 v56, v56, v58
	v_pk_add_f16 v56, v56, v60
	s_delay_alu instid0(VALU_DEP_1) | instskip(NEXT) | instid1(VALU_DEP_1)
	v_lshrrev_b32_e32 v58, 16, v56
	v_add_f16_e32 v56, v56, v58
	s_delay_alu instid0(VALU_DEP_1) | instskip(SKIP_3) | instid1(SALU_CYCLE_1)
	v_add_f16_e32 v56, v56, v57
	global_store_b16 v[20:21], v56, off
	s_or_b32 exec_lo, exec_lo, s15
	s_and_b32 s16, s2, s8
	s_and_saveexec_b32 s15, s16
	s_cbranch_execz .LBB287_119
.LBB287_132:
	v_cmp_ne_u32_e32 vcc_lo, 1, v59
	v_lshlrev_b64 v[20:21], 1, v[28:29]
	s_cbranch_vccnz .LBB287_134
; %bb.133:
	s_delay_alu instid0(VALU_DEP_1) | instskip(NEXT) | instid1(VALU_DEP_2)
	v_add_co_u32 v56, vcc_lo, v40, v20
	v_add_co_ci_u32_e32 v57, vcc_lo, v41, v21, vcc_lo
	flat_load_u16 v56, v[56:57]
	s_waitcnt vmcnt(0) lgkmcnt(0)
	v_mul_f16_e32 v56, s20, v56
	s_branch .LBB287_135
.LBB287_134:
	v_mov_b32_e32 v56, 0
.LBB287_135:
	v_pk_max_f16 v57, v0, v0
	v_pk_max_f16 v58, v12, v12
	;; [unrolled: 1-line block ×4, first 2 shown]
	v_add_co_u32 v20, vcc_lo, v22, v20
	s_delay_alu instid0(VALU_DEP_4) | instskip(SKIP_1) | instid1(VALU_DEP_4)
	v_pk_min_f16 v57, v58, v57
	v_add_co_ci_u32_e32 v21, vcc_lo, v23, v21, vcc_lo
	v_pk_min_f16 v58, v61, v60
	s_delay_alu instid0(VALU_DEP_3) | instskip(NEXT) | instid1(VALU_DEP_1)
	v_pk_add_f16 v55, v55, v57
	v_pk_add_f16 v55, v55, v58
	s_delay_alu instid0(VALU_DEP_1) | instskip(NEXT) | instid1(VALU_DEP_1)
	v_lshrrev_b32_e32 v57, 16, v55
	v_add_f16_e32 v55, v55, v57
	s_delay_alu instid0(VALU_DEP_1) | instskip(SKIP_3) | instid1(SALU_CYCLE_1)
	v_add_f16_e32 v55, v55, v56
	global_store_b16 v[20:21], v55, off
	s_or_b32 exec_lo, exec_lo, s15
	s_and_b32 s16, s3, s8
	s_and_saveexec_b32 s15, s16
	s_cbranch_execz .LBB287_120
.LBB287_136:
	v_cmp_ne_u32_e32 vcc_lo, 1, v59
	v_lshlrev_b64 v[20:21], 1, v[30:31]
	s_cbranch_vccnz .LBB287_138
; %bb.137:
	s_delay_alu instid0(VALU_DEP_1) | instskip(NEXT) | instid1(VALU_DEP_2)
	v_add_co_u32 v55, vcc_lo, v40, v20
	v_add_co_ci_u32_e32 v56, vcc_lo, v41, v21, vcc_lo
	flat_load_u16 v55, v[55:56]
	s_waitcnt vmcnt(0) lgkmcnt(0)
	v_mul_f16_e32 v55, s20, v55
	s_branch .LBB287_139
.LBB287_138:
	v_mov_b32_e32 v55, 0
.LBB287_139:
	v_pk_max_f16 v56, v0, v0
	v_pk_max_f16 v57, v14, v14
	;; [unrolled: 1-line block ×4, first 2 shown]
	v_add_co_u32 v20, vcc_lo, v22, v20
	s_delay_alu instid0(VALU_DEP_4) | instskip(SKIP_1) | instid1(VALU_DEP_4)
	v_pk_min_f16 v56, v57, v56
	v_add_co_ci_u32_e32 v21, vcc_lo, v23, v21, vcc_lo
	v_pk_min_f16 v57, v60, v58
	s_delay_alu instid0(VALU_DEP_3) | instskip(NEXT) | instid1(VALU_DEP_1)
	v_pk_add_f16 v54, v54, v56
	v_pk_add_f16 v54, v54, v57
	s_delay_alu instid0(VALU_DEP_1) | instskip(NEXT) | instid1(VALU_DEP_1)
	v_lshrrev_b32_e32 v56, 16, v54
	v_add_f16_e32 v54, v54, v56
	s_delay_alu instid0(VALU_DEP_1) | instskip(SKIP_3) | instid1(SALU_CYCLE_1)
	v_add_f16_e32 v54, v54, v55
	global_store_b16 v[20:21], v54, off
	s_or_b32 exec_lo, exec_lo, s15
	s_and_b32 s16, s4, s8
	s_and_saveexec_b32 s15, s16
	s_cbranch_execz .LBB287_121
.LBB287_140:
	v_cmp_ne_u32_e32 vcc_lo, 1, v59
	v_lshlrev_b64 v[20:21], 1, v[32:33]
	s_cbranch_vccnz .LBB287_142
; %bb.141:
	s_delay_alu instid0(VALU_DEP_1) | instskip(NEXT) | instid1(VALU_DEP_2)
	v_add_co_u32 v54, vcc_lo, v40, v20
	v_add_co_ci_u32_e32 v55, vcc_lo, v41, v21, vcc_lo
	flat_load_u16 v54, v[54:55]
	s_waitcnt vmcnt(0) lgkmcnt(0)
	v_mul_f16_e32 v54, s20, v54
	s_branch .LBB287_143
.LBB287_142:
	v_mov_b32_e32 v54, 0
.LBB287_143:
	v_pk_max_f16 v55, v0, v0
	v_pk_max_f16 v56, v8, v8
	;; [unrolled: 1-line block ×4, first 2 shown]
	v_add_co_u32 v20, vcc_lo, v22, v20
	s_delay_alu instid0(VALU_DEP_4) | instskip(SKIP_1) | instid1(VALU_DEP_4)
	v_pk_min_f16 v55, v56, v55
	v_add_co_ci_u32_e32 v21, vcc_lo, v23, v21, vcc_lo
	v_pk_min_f16 v56, v58, v57
	s_delay_alu instid0(VALU_DEP_3) | instskip(NEXT) | instid1(VALU_DEP_1)
	v_pk_add_f16 v53, v53, v55
	v_pk_add_f16 v53, v53, v56
	s_delay_alu instid0(VALU_DEP_1) | instskip(NEXT) | instid1(VALU_DEP_1)
	v_lshrrev_b32_e32 v55, 16, v53
	v_add_f16_e32 v53, v53, v55
	s_delay_alu instid0(VALU_DEP_1) | instskip(SKIP_3) | instid1(SALU_CYCLE_1)
	v_add_f16_e32 v53, v53, v54
	global_store_b16 v[20:21], v53, off
	s_or_b32 exec_lo, exec_lo, s15
	s_and_b32 s16, s5, s8
	s_and_saveexec_b32 s15, s16
	s_cbranch_execz .LBB287_122
.LBB287_144:
	v_cmp_ne_u32_e32 vcc_lo, 1, v59
	v_lshlrev_b64 v[20:21], 1, v[34:35]
	s_cbranch_vccnz .LBB287_146
; %bb.145:
	s_delay_alu instid0(VALU_DEP_1) | instskip(NEXT) | instid1(VALU_DEP_2)
	v_add_co_u32 v53, vcc_lo, v40, v20
	v_add_co_ci_u32_e32 v54, vcc_lo, v41, v21, vcc_lo
	flat_load_u16 v53, v[53:54]
	s_waitcnt vmcnt(0) lgkmcnt(0)
	v_mul_f16_e32 v53, s20, v53
	s_branch .LBB287_147
.LBB287_146:
	v_mov_b32_e32 v53, 0
.LBB287_147:
	v_pk_max_f16 v54, v0, v0
	v_pk_max_f16 v55, v10, v10
	;; [unrolled: 1-line block ×4, first 2 shown]
	v_add_co_u32 v20, vcc_lo, v22, v20
	s_delay_alu instid0(VALU_DEP_4) | instskip(SKIP_1) | instid1(VALU_DEP_4)
	v_pk_min_f16 v54, v55, v54
	v_add_co_ci_u32_e32 v21, vcc_lo, v23, v21, vcc_lo
	v_pk_min_f16 v55, v57, v56
	s_delay_alu instid0(VALU_DEP_3) | instskip(NEXT) | instid1(VALU_DEP_1)
	v_pk_add_f16 v52, v52, v54
	v_pk_add_f16 v52, v52, v55
	s_delay_alu instid0(VALU_DEP_1) | instskip(NEXT) | instid1(VALU_DEP_1)
	v_lshrrev_b32_e32 v54, 16, v52
	v_add_f16_e32 v52, v52, v54
	s_delay_alu instid0(VALU_DEP_1) | instskip(SKIP_3) | instid1(SALU_CYCLE_1)
	v_add_f16_e32 v52, v52, v53
	global_store_b16 v[20:21], v52, off
	s_or_b32 exec_lo, exec_lo, s15
	s_and_b32 s16, s6, s8
	s_and_saveexec_b32 s15, s16
	s_cbranch_execz .LBB287_123
.LBB287_148:
	v_cmp_ne_u32_e32 vcc_lo, 1, v59
	v_lshlrev_b64 v[20:21], 1, v[36:37]
	s_cbranch_vccnz .LBB287_150
; %bb.149:
	s_delay_alu instid0(VALU_DEP_1) | instskip(NEXT) | instid1(VALU_DEP_2)
	v_add_co_u32 v52, vcc_lo, v40, v20
	v_add_co_ci_u32_e32 v53, vcc_lo, v41, v21, vcc_lo
	flat_load_u16 v52, v[52:53]
	s_waitcnt vmcnt(0) lgkmcnt(0)
	v_mul_f16_e32 v52, s20, v52
	s_branch .LBB287_151
.LBB287_150:
	v_mov_b32_e32 v52, 0
.LBB287_151:
	v_pk_max_f16 v53, v0, v0
	v_pk_max_f16 v54, v4, v4
	;; [unrolled: 1-line block ×4, first 2 shown]
	v_add_co_u32 v20, vcc_lo, v22, v20
	s_delay_alu instid0(VALU_DEP_4) | instskip(SKIP_1) | instid1(VALU_DEP_4)
	v_pk_min_f16 v53, v54, v53
	v_add_co_ci_u32_e32 v21, vcc_lo, v23, v21, vcc_lo
	v_pk_min_f16 v54, v56, v55
	s_delay_alu instid0(VALU_DEP_3) | instskip(NEXT) | instid1(VALU_DEP_1)
	v_pk_add_f16 v51, v51, v53
	v_pk_add_f16 v51, v51, v54
	s_delay_alu instid0(VALU_DEP_1) | instskip(NEXT) | instid1(VALU_DEP_1)
	v_lshrrev_b32_e32 v53, 16, v51
	v_add_f16_e32 v51, v51, v53
	s_delay_alu instid0(VALU_DEP_1) | instskip(SKIP_3) | instid1(SALU_CYCLE_1)
	v_add_f16_e32 v51, v51, v52
	global_store_b16 v[20:21], v51, off
	s_or_b32 exec_lo, exec_lo, s15
	s_and_b32 s15, s7, s8
	s_and_saveexec_b32 s8, s15
	s_cbranch_execz .LBB287_156
.LBB287_152:
	v_cmp_ne_u32_e32 vcc_lo, 1, v59
	v_lshlrev_b64 v[20:21], 1, v[38:39]
	s_cbranch_vccnz .LBB287_154
; %bb.153:
	s_delay_alu instid0(VALU_DEP_1) | instskip(NEXT) | instid1(VALU_DEP_2)
	v_add_co_u32 v40, vcc_lo, v40, v20
	v_add_co_ci_u32_e32 v41, vcc_lo, v41, v21, vcc_lo
	flat_load_u16 v40, v[40:41]
	s_waitcnt vmcnt(0) lgkmcnt(0)
	v_mul_f16_e32 v40, s20, v40
	s_branch .LBB287_155
.LBB287_154:
	v_mov_b32_e32 v40, 0
.LBB287_155:
	v_pk_max_f16 v0, v0, v0
	v_pk_max_f16 v41, v6, v6
	;; [unrolled: 1-line block ×4, first 2 shown]
	s_delay_alu instid0(VALU_DEP_3) | instskip(NEXT) | instid1(VALU_DEP_2)
	v_pk_min_f16 v0, v41, v0
	v_pk_min_f16 v1, v51, v1
	s_delay_alu instid0(VALU_DEP_2) | instskip(NEXT) | instid1(VALU_DEP_1)
	v_pk_add_f16 v0, v50, v0
	v_pk_add_f16 v0, v0, v1
	s_delay_alu instid0(VALU_DEP_1) | instskip(NEXT) | instid1(VALU_DEP_1)
	v_lshrrev_b32_e32 v1, 16, v0
	v_add_f16_e32 v0, v0, v1
	s_delay_alu instid0(VALU_DEP_1)
	v_add_f16_e32 v40, v0, v40
	v_add_co_u32 v0, vcc_lo, v22, v20
	v_add_co_ci_u32_e32 v1, vcc_lo, v23, v21, vcc_lo
	global_store_b16 v[0:1], v40, off
.LBB287_156:
	s_or_b32 exec_lo, exec_lo, s8
	v_add_nc_u32_e32 v22, 0x60, v66
	s_delay_alu instid0(VALU_DEP_1) | instskip(SKIP_2) | instid1(VALU_DEP_3)
	v_mad_i64_i32 v[0:1], null, v22, s12, 0
	v_mad_i64_i32 v[20:21], null, v22, s9, 0
	v_cmp_gt_i32_e64 s8, s17, v22
	v_lshlrev_b64 v[0:1], 1, v[0:1]
	s_delay_alu instid0(VALU_DEP_2) | instskip(NEXT) | instid1(VALU_DEP_3)
	s_and_b32 s9, s0, s8
	v_lshlrev_b64 v[20:21], 1, v[20:21]
	s_delay_alu instid0(VALU_DEP_2) | instskip(NEXT) | instid1(VALU_DEP_3)
	v_add_co_u32 v22, vcc_lo, s10, v0
	v_add_co_ci_u32_e32 v23, vcc_lo, s11, v1, vcc_lo
	s_delay_alu instid0(VALU_DEP_3) | instskip(NEXT) | instid1(VALU_DEP_4)
	v_add_co_u32 v20, vcc_lo, s13, v20
	v_add_co_ci_u32_e32 v21, vcc_lo, s14, v21, vcc_lo
	s_and_saveexec_b32 s0, s9
	s_cbranch_execnz .LBB287_165
; %bb.157:
	s_or_b32 exec_lo, exec_lo, s0
	s_and_b32 s1, s1, s8
	s_delay_alu instid0(SALU_CYCLE_1)
	s_and_saveexec_b32 s0, s1
	s_cbranch_execnz .LBB287_169
.LBB287_158:
	s_or_b32 exec_lo, exec_lo, s0
	s_and_b32 s1, s2, s8
	s_delay_alu instid0(SALU_CYCLE_1)
	s_and_saveexec_b32 s0, s1
	s_cbranch_execnz .LBB287_173
.LBB287_159:
	s_or_b32 exec_lo, exec_lo, s0
	s_and_b32 s1, s3, s8
	s_delay_alu instid0(SALU_CYCLE_1)
	s_and_saveexec_b32 s0, s1
	s_cbranch_execnz .LBB287_177
.LBB287_160:
	s_or_b32 exec_lo, exec_lo, s0
	s_and_b32 s1, s4, s8
	s_delay_alu instid0(SALU_CYCLE_1)
	s_and_saveexec_b32 s0, s1
	s_cbranch_execnz .LBB287_181
.LBB287_161:
	s_or_b32 exec_lo, exec_lo, s0
	s_and_b32 s1, s5, s8
	s_delay_alu instid0(SALU_CYCLE_1)
	s_and_saveexec_b32 s0, s1
	s_cbranch_execnz .LBB287_185
.LBB287_162:
	s_or_b32 exec_lo, exec_lo, s0
	s_and_b32 s1, s6, s8
	s_delay_alu instid0(SALU_CYCLE_1)
	s_and_saveexec_b32 s0, s1
	s_cbranch_execnz .LBB287_189
.LBB287_163:
	s_or_b32 exec_lo, exec_lo, s0
	s_and_b32 s0, s7, s8
	s_delay_alu instid0(SALU_CYCLE_1)
	s_and_saveexec_b32 s1, s0
	s_cbranch_execnz .LBB287_193
.LBB287_164:
	s_nop 0
	s_sendmsg sendmsg(MSG_DEALLOC_VGPRS)
	s_endpgm
.LBB287_165:
	v_cmp_ne_u32_e32 vcc_lo, 1, v59
	v_lshlrev_b64 v[0:1], 1, v[24:25]
	s_cbranch_vccnz .LBB287_167
; %bb.166:
	s_delay_alu instid0(VALU_DEP_1) | instskip(NEXT) | instid1(VALU_DEP_2)
	v_add_co_u32 v24, vcc_lo, v22, v0
	v_add_co_ci_u32_e32 v25, vcc_lo, v23, v1, vcc_lo
	flat_load_u16 v24, v[24:25]
	s_waitcnt vmcnt(0) lgkmcnt(0)
	v_mul_f16_e32 v24, s20, v24
	s_branch .LBB287_168
.LBB287_167:
	v_mov_b32_e32 v24, 0
.LBB287_168:
	v_pk_max_f16 v25, v2, v2
	v_pk_max_f16 v16, v16, v16
	v_pk_max_f16 v40, v3, v3
	v_pk_max_f16 v17, v17, v17
	v_add_co_u32 v0, vcc_lo, v20, v0
	s_delay_alu instid0(VALU_DEP_4) | instskip(SKIP_1) | instid1(VALU_DEP_4)
	v_pk_min_f16 v16, v16, v25
	v_add_co_ci_u32_e32 v1, vcc_lo, v21, v1, vcc_lo
	v_pk_min_f16 v17, v17, v40
	s_delay_alu instid0(VALU_DEP_3) | instskip(NEXT) | instid1(VALU_DEP_1)
	v_pk_add_f16 v16, v49, v16
	v_pk_add_f16 v16, v16, v17
	s_delay_alu instid0(VALU_DEP_1) | instskip(NEXT) | instid1(VALU_DEP_1)
	v_lshrrev_b32_e32 v17, 16, v16
	v_add_f16_e32 v16, v16, v17
	s_delay_alu instid0(VALU_DEP_1) | instskip(SKIP_3) | instid1(SALU_CYCLE_1)
	v_add_f16_e32 v16, v16, v24
	global_store_b16 v[0:1], v16, off
	s_or_b32 exec_lo, exec_lo, s0
	s_and_b32 s1, s1, s8
	s_and_saveexec_b32 s0, s1
	s_cbranch_execz .LBB287_158
.LBB287_169:
	v_cmp_ne_u32_e32 vcc_lo, 1, v59
	v_lshlrev_b64 v[0:1], 1, v[26:27]
	s_cbranch_vccnz .LBB287_171
; %bb.170:
	s_delay_alu instid0(VALU_DEP_1) | instskip(NEXT) | instid1(VALU_DEP_2)
	v_add_co_u32 v16, vcc_lo, v22, v0
	v_add_co_ci_u32_e32 v17, vcc_lo, v23, v1, vcc_lo
	flat_load_u16 v16, v[16:17]
	s_waitcnt vmcnt(0) lgkmcnt(0)
	v_mul_f16_e32 v16, s20, v16
	s_branch .LBB287_172
.LBB287_171:
	v_mov_b32_e32 v16, 0
.LBB287_172:
	v_pk_max_f16 v17, v2, v2
	v_pk_max_f16 v18, v18, v18
	;; [unrolled: 1-line block ×4, first 2 shown]
	v_add_co_u32 v0, vcc_lo, v20, v0
	s_delay_alu instid0(VALU_DEP_4) | instskip(SKIP_1) | instid1(VALU_DEP_4)
	v_pk_min_f16 v17, v18, v17
	v_add_co_ci_u32_e32 v1, vcc_lo, v21, v1, vcc_lo
	v_pk_min_f16 v18, v19, v24
	s_delay_alu instid0(VALU_DEP_3) | instskip(NEXT) | instid1(VALU_DEP_1)
	v_pk_add_f16 v17, v48, v17
	v_pk_add_f16 v17, v17, v18
	s_delay_alu instid0(VALU_DEP_1) | instskip(NEXT) | instid1(VALU_DEP_1)
	v_lshrrev_b32_e32 v18, 16, v17
	v_add_f16_e32 v17, v17, v18
	s_delay_alu instid0(VALU_DEP_1) | instskip(SKIP_3) | instid1(SALU_CYCLE_1)
	v_add_f16_e32 v16, v17, v16
	global_store_b16 v[0:1], v16, off
	s_or_b32 exec_lo, exec_lo, s0
	s_and_b32 s1, s2, s8
	s_and_saveexec_b32 s0, s1
	s_cbranch_execz .LBB287_159
.LBB287_173:
	v_cmp_ne_u32_e32 vcc_lo, 1, v59
	v_lshlrev_b64 v[0:1], 1, v[28:29]
	s_cbranch_vccnz .LBB287_175
; %bb.174:
	s_delay_alu instid0(VALU_DEP_1) | instskip(NEXT) | instid1(VALU_DEP_2)
	v_add_co_u32 v16, vcc_lo, v22, v0
	v_add_co_ci_u32_e32 v17, vcc_lo, v23, v1, vcc_lo
	flat_load_u16 v16, v[16:17]
	s_waitcnt vmcnt(0) lgkmcnt(0)
	v_mul_f16_e32 v16, s20, v16
	s_branch .LBB287_176
.LBB287_175:
	v_mov_b32_e32 v16, 0
.LBB287_176:
	v_pk_max_f16 v17, v2, v2
	v_pk_max_f16 v12, v12, v12
	v_pk_max_f16 v18, v3, v3
	v_pk_max_f16 v13, v13, v13
	v_add_co_u32 v0, vcc_lo, v20, v0
	s_delay_alu instid0(VALU_DEP_4) | instskip(SKIP_1) | instid1(VALU_DEP_4)
	v_pk_min_f16 v12, v12, v17
	v_add_co_ci_u32_e32 v1, vcc_lo, v21, v1, vcc_lo
	v_pk_min_f16 v13, v13, v18
	s_delay_alu instid0(VALU_DEP_3) | instskip(NEXT) | instid1(VALU_DEP_1)
	v_pk_add_f16 v12, v47, v12
	v_pk_add_f16 v12, v12, v13
	s_delay_alu instid0(VALU_DEP_1) | instskip(NEXT) | instid1(VALU_DEP_1)
	v_lshrrev_b32_e32 v13, 16, v12
	v_add_f16_e32 v12, v12, v13
	s_delay_alu instid0(VALU_DEP_1) | instskip(SKIP_3) | instid1(SALU_CYCLE_1)
	v_add_f16_e32 v12, v12, v16
	global_store_b16 v[0:1], v12, off
	s_or_b32 exec_lo, exec_lo, s0
	s_and_b32 s1, s3, s8
	s_and_saveexec_b32 s0, s1
	s_cbranch_execz .LBB287_160
.LBB287_177:
	v_cmp_ne_u32_e32 vcc_lo, 1, v59
	v_lshlrev_b64 v[0:1], 1, v[30:31]
	s_cbranch_vccnz .LBB287_179
; %bb.178:
	s_delay_alu instid0(VALU_DEP_1) | instskip(NEXT) | instid1(VALU_DEP_2)
	v_add_co_u32 v12, vcc_lo, v22, v0
	v_add_co_ci_u32_e32 v13, vcc_lo, v23, v1, vcc_lo
	flat_load_u16 v12, v[12:13]
	s_waitcnt vmcnt(0) lgkmcnt(0)
	v_mul_f16_e32 v12, s20, v12
	s_branch .LBB287_180
.LBB287_179:
	v_mov_b32_e32 v12, 0
.LBB287_180:
	v_pk_max_f16 v13, v2, v2
	v_pk_max_f16 v14, v14, v14
	v_pk_max_f16 v16, v3, v3
	v_pk_max_f16 v15, v15, v15
	v_add_co_u32 v0, vcc_lo, v20, v0
	s_delay_alu instid0(VALU_DEP_4) | instskip(SKIP_1) | instid1(VALU_DEP_4)
	v_pk_min_f16 v13, v14, v13
	v_add_co_ci_u32_e32 v1, vcc_lo, v21, v1, vcc_lo
	v_pk_min_f16 v14, v15, v16
	s_delay_alu instid0(VALU_DEP_3) | instskip(NEXT) | instid1(VALU_DEP_1)
	v_pk_add_f16 v13, v46, v13
	v_pk_add_f16 v13, v13, v14
	s_delay_alu instid0(VALU_DEP_1) | instskip(NEXT) | instid1(VALU_DEP_1)
	v_lshrrev_b32_e32 v14, 16, v13
	v_add_f16_e32 v13, v13, v14
	s_delay_alu instid0(VALU_DEP_1) | instskip(SKIP_3) | instid1(SALU_CYCLE_1)
	v_add_f16_e32 v12, v13, v12
	global_store_b16 v[0:1], v12, off
	s_or_b32 exec_lo, exec_lo, s0
	s_and_b32 s1, s4, s8
	s_and_saveexec_b32 s0, s1
	s_cbranch_execz .LBB287_161
.LBB287_181:
	v_cmp_ne_u32_e32 vcc_lo, 1, v59
	v_lshlrev_b64 v[0:1], 1, v[32:33]
	s_cbranch_vccnz .LBB287_183
; %bb.182:
	s_delay_alu instid0(VALU_DEP_1) | instskip(NEXT) | instid1(VALU_DEP_2)
	v_add_co_u32 v12, vcc_lo, v22, v0
	v_add_co_ci_u32_e32 v13, vcc_lo, v23, v1, vcc_lo
	flat_load_u16 v12, v[12:13]
	s_waitcnt vmcnt(0) lgkmcnt(0)
	v_mul_f16_e32 v12, s20, v12
	s_branch .LBB287_184
.LBB287_183:
	v_mov_b32_e32 v12, 0
.LBB287_184:
	v_pk_max_f16 v13, v2, v2
	v_pk_max_f16 v8, v8, v8
	;; [unrolled: 1-line block ×4, first 2 shown]
	v_add_co_u32 v0, vcc_lo, v20, v0
	s_delay_alu instid0(VALU_DEP_4) | instskip(SKIP_1) | instid1(VALU_DEP_4)
	v_pk_min_f16 v8, v8, v13
	v_add_co_ci_u32_e32 v1, vcc_lo, v21, v1, vcc_lo
	v_pk_min_f16 v9, v9, v14
	s_delay_alu instid0(VALU_DEP_3) | instskip(NEXT) | instid1(VALU_DEP_1)
	v_pk_add_f16 v8, v45, v8
	v_pk_add_f16 v8, v8, v9
	s_delay_alu instid0(VALU_DEP_1) | instskip(NEXT) | instid1(VALU_DEP_1)
	v_lshrrev_b32_e32 v9, 16, v8
	v_add_f16_e32 v8, v8, v9
	s_delay_alu instid0(VALU_DEP_1) | instskip(SKIP_3) | instid1(SALU_CYCLE_1)
	v_add_f16_e32 v8, v8, v12
	global_store_b16 v[0:1], v8, off
	s_or_b32 exec_lo, exec_lo, s0
	s_and_b32 s1, s5, s8
	s_and_saveexec_b32 s0, s1
	s_cbranch_execz .LBB287_162
.LBB287_185:
	v_cmp_ne_u32_e32 vcc_lo, 1, v59
	v_lshlrev_b64 v[0:1], 1, v[34:35]
	s_cbranch_vccnz .LBB287_187
; %bb.186:
	s_delay_alu instid0(VALU_DEP_1) | instskip(NEXT) | instid1(VALU_DEP_2)
	v_add_co_u32 v8, vcc_lo, v22, v0
	v_add_co_ci_u32_e32 v9, vcc_lo, v23, v1, vcc_lo
	flat_load_u16 v8, v[8:9]
	s_waitcnt vmcnt(0) lgkmcnt(0)
	v_mul_f16_e32 v8, s20, v8
	s_branch .LBB287_188
.LBB287_187:
	v_mov_b32_e32 v8, 0
.LBB287_188:
	v_pk_max_f16 v9, v2, v2
	v_pk_max_f16 v10, v10, v10
	;; [unrolled: 1-line block ×4, first 2 shown]
	v_add_co_u32 v0, vcc_lo, v20, v0
	s_delay_alu instid0(VALU_DEP_4) | instskip(SKIP_1) | instid1(VALU_DEP_4)
	v_pk_min_f16 v9, v10, v9
	v_add_co_ci_u32_e32 v1, vcc_lo, v21, v1, vcc_lo
	v_pk_min_f16 v10, v11, v12
	s_delay_alu instid0(VALU_DEP_3) | instskip(NEXT) | instid1(VALU_DEP_1)
	v_pk_add_f16 v9, v44, v9
	v_pk_add_f16 v9, v9, v10
	s_delay_alu instid0(VALU_DEP_1) | instskip(NEXT) | instid1(VALU_DEP_1)
	v_lshrrev_b32_e32 v10, 16, v9
	v_add_f16_e32 v9, v9, v10
	s_delay_alu instid0(VALU_DEP_1) | instskip(SKIP_3) | instid1(SALU_CYCLE_1)
	v_add_f16_e32 v8, v9, v8
	global_store_b16 v[0:1], v8, off
	s_or_b32 exec_lo, exec_lo, s0
	s_and_b32 s1, s6, s8
	s_and_saveexec_b32 s0, s1
	s_cbranch_execz .LBB287_163
.LBB287_189:
	v_cmp_ne_u32_e32 vcc_lo, 1, v59
	v_lshlrev_b64 v[0:1], 1, v[36:37]
	s_cbranch_vccnz .LBB287_191
; %bb.190:
	s_delay_alu instid0(VALU_DEP_1) | instskip(NEXT) | instid1(VALU_DEP_2)
	v_add_co_u32 v8, vcc_lo, v22, v0
	v_add_co_ci_u32_e32 v9, vcc_lo, v23, v1, vcc_lo
	flat_load_u16 v8, v[8:9]
	s_waitcnt vmcnt(0) lgkmcnt(0)
	v_mul_f16_e32 v8, s20, v8
	s_branch .LBB287_192
.LBB287_191:
	v_mov_b32_e32 v8, 0
.LBB287_192:
	v_pk_max_f16 v9, v2, v2
	v_pk_max_f16 v4, v4, v4
	;; [unrolled: 1-line block ×4, first 2 shown]
	v_add_co_u32 v0, vcc_lo, v20, v0
	s_delay_alu instid0(VALU_DEP_4) | instskip(SKIP_1) | instid1(VALU_DEP_4)
	v_pk_min_f16 v4, v4, v9
	v_add_co_ci_u32_e32 v1, vcc_lo, v21, v1, vcc_lo
	v_pk_min_f16 v5, v5, v10
	s_delay_alu instid0(VALU_DEP_3) | instskip(NEXT) | instid1(VALU_DEP_1)
	v_pk_add_f16 v4, v43, v4
	v_pk_add_f16 v4, v4, v5
	s_delay_alu instid0(VALU_DEP_1) | instskip(NEXT) | instid1(VALU_DEP_1)
	v_lshrrev_b32_e32 v5, 16, v4
	v_add_f16_e32 v4, v4, v5
	s_delay_alu instid0(VALU_DEP_1) | instskip(SKIP_3) | instid1(SALU_CYCLE_1)
	v_add_f16_e32 v4, v4, v8
	global_store_b16 v[0:1], v4, off
	s_or_b32 exec_lo, exec_lo, s0
	s_and_b32 s0, s7, s8
	s_and_saveexec_b32 s1, s0
	s_cbranch_execz .LBB287_164
.LBB287_193:
	v_cmp_ne_u32_e32 vcc_lo, 1, v59
	v_lshlrev_b64 v[0:1], 1, v[38:39]
	s_cbranch_vccnz .LBB287_195
; %bb.194:
	s_delay_alu instid0(VALU_DEP_1) | instskip(NEXT) | instid1(VALU_DEP_2)
	v_add_co_u32 v4, vcc_lo, v22, v0
	v_add_co_ci_u32_e32 v5, vcc_lo, v23, v1, vcc_lo
	flat_load_u16 v4, v[4:5]
	s_waitcnt vmcnt(0) lgkmcnt(0)
	v_mul_f16_e32 v4, s20, v4
	s_branch .LBB287_196
.LBB287_195:
	v_mov_b32_e32 v4, 0
.LBB287_196:
	v_pk_max_f16 v2, v2, v2
	v_pk_max_f16 v5, v6, v6
	;; [unrolled: 1-line block ×4, first 2 shown]
	v_add_co_u32 v0, vcc_lo, v20, v0
	s_delay_alu instid0(VALU_DEP_4) | instskip(SKIP_1) | instid1(VALU_DEP_4)
	v_pk_min_f16 v2, v5, v2
	v_add_co_ci_u32_e32 v1, vcc_lo, v21, v1, vcc_lo
	v_pk_min_f16 v3, v6, v3
	s_delay_alu instid0(VALU_DEP_3) | instskip(NEXT) | instid1(VALU_DEP_1)
	v_pk_add_f16 v2, v42, v2
	v_pk_add_f16 v2, v2, v3
	s_delay_alu instid0(VALU_DEP_1) | instskip(NEXT) | instid1(VALU_DEP_1)
	v_lshrrev_b32_e32 v3, 16, v2
	v_add_f16_e32 v2, v2, v3
	s_delay_alu instid0(VALU_DEP_1)
	v_add_f16_e32 v2, v2, v4
	global_store_b16 v[0:1], v2, off
	s_nop 0
	s_sendmsg sendmsg(MSG_DEALLOC_VGPRS)
	s_endpgm
	.section	.rodata,"a",@progbits
	.p2align	6, 0x0
	.amdhsa_kernel _ZN12_GLOBAL__N_120geam_min_plus_kernelIDF16_Dv2_DF16_S1_Li8ELi32ELi64ELi128ELi4ELi64ELi4ELi4ELi64ELc78ELc78ELb0ELb1ELb0EDF16_KDF16_DF16_EEviiiT16_PT17_ilS5_ilS3_S5_ilPT18_ili26rocblas_geam_ex_operation_
		.amdhsa_group_segment_fixed_size 3072
		.amdhsa_private_segment_fixed_size 0
		.amdhsa_kernarg_size 128
		.amdhsa_user_sgpr_count 14
		.amdhsa_user_sgpr_dispatch_ptr 0
		.amdhsa_user_sgpr_queue_ptr 0
		.amdhsa_user_sgpr_kernarg_segment_ptr 1
		.amdhsa_user_sgpr_dispatch_id 0
		.amdhsa_user_sgpr_private_segment_size 0
		.amdhsa_wavefront_size32 1
		.amdhsa_uses_dynamic_stack 0
		.amdhsa_enable_private_segment 0
		.amdhsa_system_sgpr_workgroup_id_x 1
		.amdhsa_system_sgpr_workgroup_id_y 0
		.amdhsa_system_sgpr_workgroup_id_z 1
		.amdhsa_system_sgpr_workgroup_info 0
		.amdhsa_system_vgpr_workitem_id 1
		.amdhsa_next_free_vgpr 128
		.amdhsa_next_free_sgpr 30
		.amdhsa_reserve_vcc 1
		.amdhsa_float_round_mode_32 0
		.amdhsa_float_round_mode_16_64 0
		.amdhsa_float_denorm_mode_32 3
		.amdhsa_float_denorm_mode_16_64 3
		.amdhsa_dx10_clamp 1
		.amdhsa_ieee_mode 1
		.amdhsa_fp16_overflow 0
		.amdhsa_workgroup_processor_mode 1
		.amdhsa_memory_ordered 1
		.amdhsa_forward_progress 0
		.amdhsa_shared_vgpr_count 0
		.amdhsa_exception_fp_ieee_invalid_op 0
		.amdhsa_exception_fp_denorm_src 0
		.amdhsa_exception_fp_ieee_div_zero 0
		.amdhsa_exception_fp_ieee_overflow 0
		.amdhsa_exception_fp_ieee_underflow 0
		.amdhsa_exception_fp_ieee_inexact 0
		.amdhsa_exception_int_div_zero 0
	.end_amdhsa_kernel
	.section	.text._ZN12_GLOBAL__N_120geam_min_plus_kernelIDF16_Dv2_DF16_S1_Li8ELi32ELi64ELi128ELi4ELi64ELi4ELi4ELi64ELc78ELc78ELb0ELb1ELb0EDF16_KDF16_DF16_EEviiiT16_PT17_ilS5_ilS3_S5_ilPT18_ili26rocblas_geam_ex_operation_,"axG",@progbits,_ZN12_GLOBAL__N_120geam_min_plus_kernelIDF16_Dv2_DF16_S1_Li8ELi32ELi64ELi128ELi4ELi64ELi4ELi4ELi64ELc78ELc78ELb0ELb1ELb0EDF16_KDF16_DF16_EEviiiT16_PT17_ilS5_ilS3_S5_ilPT18_ili26rocblas_geam_ex_operation_,comdat
.Lfunc_end287:
	.size	_ZN12_GLOBAL__N_120geam_min_plus_kernelIDF16_Dv2_DF16_S1_Li8ELi32ELi64ELi128ELi4ELi64ELi4ELi4ELi64ELc78ELc78ELb0ELb1ELb0EDF16_KDF16_DF16_EEviiiT16_PT17_ilS5_ilS3_S5_ilPT18_ili26rocblas_geam_ex_operation_, .Lfunc_end287-_ZN12_GLOBAL__N_120geam_min_plus_kernelIDF16_Dv2_DF16_S1_Li8ELi32ELi64ELi128ELi4ELi64ELi4ELi4ELi64ELc78ELc78ELb0ELb1ELb0EDF16_KDF16_DF16_EEviiiT16_PT17_ilS5_ilS3_S5_ilPT18_ili26rocblas_geam_ex_operation_
                                        ; -- End function
	.section	.AMDGPU.csdata,"",@progbits
; Kernel info:
; codeLenInByte = 13100
; NumSgprs: 32
; NumVgprs: 128
; ScratchSize: 0
; MemoryBound: 0
; FloatMode: 240
; IeeeMode: 1
; LDSByteSize: 3072 bytes/workgroup (compile time only)
; SGPRBlocks: 3
; VGPRBlocks: 15
; NumSGPRsForWavesPerEU: 32
; NumVGPRsForWavesPerEU: 128
; Occupancy: 10
; WaveLimiterHint : 0
; COMPUTE_PGM_RSRC2:SCRATCH_EN: 0
; COMPUTE_PGM_RSRC2:USER_SGPR: 14
; COMPUTE_PGM_RSRC2:TRAP_HANDLER: 0
; COMPUTE_PGM_RSRC2:TGID_X_EN: 1
; COMPUTE_PGM_RSRC2:TGID_Y_EN: 0
; COMPUTE_PGM_RSRC2:TGID_Z_EN: 1
; COMPUTE_PGM_RSRC2:TIDIG_COMP_CNT: 1
	.section	.text._ZN12_GLOBAL__N_120geam_min_plus_kernelIDF16_Dv2_DF16_S1_Li8ELi32ELi64ELi128ELi4ELi4ELi64ELi4ELi64ELc84ELc78ELb0ELb0ELb0EPKDF16_S2_DF16_EEviiiT16_PT17_ilS6_ilS4_S6_ilPT18_ili26rocblas_geam_ex_operation_,"axG",@progbits,_ZN12_GLOBAL__N_120geam_min_plus_kernelIDF16_Dv2_DF16_S1_Li8ELi32ELi64ELi128ELi4ELi4ELi64ELi4ELi64ELc84ELc78ELb0ELb0ELb0EPKDF16_S2_DF16_EEviiiT16_PT17_ilS6_ilS4_S6_ilPT18_ili26rocblas_geam_ex_operation_,comdat
	.globl	_ZN12_GLOBAL__N_120geam_min_plus_kernelIDF16_Dv2_DF16_S1_Li8ELi32ELi64ELi128ELi4ELi4ELi64ELi4ELi64ELc84ELc78ELb0ELb0ELb0EPKDF16_S2_DF16_EEviiiT16_PT17_ilS6_ilS4_S6_ilPT18_ili26rocblas_geam_ex_operation_ ; -- Begin function _ZN12_GLOBAL__N_120geam_min_plus_kernelIDF16_Dv2_DF16_S1_Li8ELi32ELi64ELi128ELi4ELi4ELi64ELi4ELi64ELc84ELc78ELb0ELb0ELb0EPKDF16_S2_DF16_EEviiiT16_PT17_ilS6_ilS4_S6_ilPT18_ili26rocblas_geam_ex_operation_
	.p2align	8
	.type	_ZN12_GLOBAL__N_120geam_min_plus_kernelIDF16_Dv2_DF16_S1_Li8ELi32ELi64ELi128ELi4ELi4ELi64ELi4ELi64ELc84ELc78ELb0ELb0ELb0EPKDF16_S2_DF16_EEviiiT16_PT17_ilS6_ilS4_S6_ilPT18_ili26rocblas_geam_ex_operation_,@function
_ZN12_GLOBAL__N_120geam_min_plus_kernelIDF16_Dv2_DF16_S1_Li8ELi32ELi64ELi128ELi4ELi4ELi64ELi4ELi64ELc84ELc78ELb0ELb0ELb0EPKDF16_S2_DF16_EEviiiT16_PT17_ilS6_ilS4_S6_ilPT18_ili26rocblas_geam_ex_operation_: ; @_ZN12_GLOBAL__N_120geam_min_plus_kernelIDF16_Dv2_DF16_S1_Li8ELi32ELi64ELi128ELi4ELi4ELi64ELi4ELi64ELc84ELc78ELb0ELb0ELb0EPKDF16_S2_DF16_EEviiiT16_PT17_ilS6_ilS4_S6_ilPT18_ili26rocblas_geam_ex_operation_
; %bb.0:
	s_clause 0x1
	s_load_b128 s[8:11], s[0:1], 0x10
	s_load_b128 s[4:7], s[0:1], 0x28
	s_mov_b32 s12, s15
	s_mov_b32 s13, 0
	v_mov_b32_e32 v1, 0
	s_lshl_b64 s[2:3], s[12:13], 1
	s_mov_b64 s[20:21], 0
	s_waitcnt lgkmcnt(0)
	s_add_u32 s8, s8, s2
	s_addc_u32 s9, s9, s3
	global_load_u16 v43, v1, s[8:9]
	s_clause 0x1
	s_load_b128 s[16:19], s[0:1], 0x40
	s_load_b64 s[8:9], s[0:1], 0x50
	s_waitcnt lgkmcnt(0)
	s_add_u32 s22, s18, s2
	s_addc_u32 s23, s19, s3
	s_mov_b64 s[18:19], 0
	s_waitcnt vmcnt(0)
	v_cmp_eq_f16_e32 vcc_lo, 0, v43
	v_cmp_neq_f16_e64 s2, 0, v43
	s_cbranch_vccnz .LBB288_2
; %bb.1:
	s_mul_i32 s3, s12, s5
	s_mul_hi_u32 s5, s12, s4
	s_mul_i32 s4, s12, s4
	s_add_i32 s5, s5, s3
	s_delay_alu instid0(SALU_CYCLE_1) | instskip(NEXT) | instid1(SALU_CYCLE_1)
	s_lshl_b64 s[4:5], s[4:5], 1
	s_add_u32 s20, s10, s4
	s_addc_u32 s21, s11, s5
.LBB288_2:
	global_load_u16 v25, v1, s[22:23]
	v_cndmask_b32_e64 v1, 0, 1, s2
	s_and_not1_b32 vcc_lo, exec_lo, s2
	s_delay_alu instid0(VALU_DEP_1)
	v_cmp_ne_u32_e64 s3, 1, v1
	s_cbranch_vccnz .LBB288_4
; %bb.3:
	s_mul_i32 s2, s12, s17
	s_mul_hi_u32 s4, s12, s16
	s_delay_alu instid0(SALU_CYCLE_1) | instskip(SKIP_1) | instid1(SALU_CYCLE_1)
	s_add_i32 s5, s4, s2
	s_mul_i32 s4, s12, s16
	s_lshl_b64 s[4:5], s[4:5], 1
	s_delay_alu instid0(SALU_CYCLE_1)
	s_add_u32 s18, s6, s4
	s_addc_u32 s19, s7, s5
.LBB288_4:
	s_load_b128 s[4:7], s[0:1], 0x60
	s_waitcnt vmcnt(0)
	v_cmp_eq_f16_e32 vcc_lo, 0, v25
	s_and_b32 s2, exec_lo, vcc_lo
	s_delay_alu instid0(SALU_CYCLE_1)
	s_mov_b32 vcc_lo, s2
	s_cbranch_vccnz .LBB288_6
; %bb.5:
	s_waitcnt lgkmcnt(0)
	s_mul_i32 s5, s12, s5
	s_mul_hi_u32 s10, s12, s4
	s_mul_i32 s4, s12, s4
	s_add_i32 s5, s10, s5
	s_delay_alu instid0(SALU_CYCLE_1) | instskip(NEXT) | instid1(SALU_CYCLE_1)
	s_lshl_b64 s[4:5], s[4:5], 1
	s_add_u32 s8, s8, s4
	s_addc_u32 s9, s9, s5
	s_branch .LBB288_7
.LBB288_6:
	s_mov_b64 s[8:9], 0
.LBB288_7:
	s_waitcnt lgkmcnt(0)
	s_clause 0x1
	s_load_b32 s4, s[0:1], 0x0
	s_load_b32 s10, s[0:1], 0x20
	v_and_b32_e32 v24, 0x3ff, v0
	v_bfe_u32 v44, v0, 10, 10
	s_delay_alu instid0(VALU_DEP_1) | instskip(NEXT) | instid1(VALU_DEP_1)
	v_lshl_add_u32 v0, v44, 3, v24
	v_lshrrev_b32_e32 v6, 2, v0
	s_waitcnt lgkmcnt(0)
	s_add_i32 s4, s4, -1
	s_delay_alu instid0(SALU_CYCLE_1) | instskip(NEXT) | instid1(SALU_CYCLE_1)
	s_ashr_i32 s5, s4, 31
	s_lshr_b32 s5, s5, 26
	s_delay_alu instid0(SALU_CYCLE_1) | instskip(NEXT) | instid1(SALU_CYCLE_1)
	s_add_i32 s4, s4, s5
	s_ashr_i32 s4, s4, 6
	s_delay_alu instid0(SALU_CYCLE_1) | instskip(SKIP_2) | instid1(VALU_DEP_1)
	s_add_i32 s11, s4, 1
	s_not_b32 s4, s4
	v_cvt_f32_u32_e32 v1, s11
	v_rcp_iflag_f32_e32 v1, v1
	s_waitcnt_depctr 0xfff
	v_mul_f32_e32 v1, 0x4f7ffffe, v1
	s_delay_alu instid0(VALU_DEP_1) | instskip(NEXT) | instid1(VALU_DEP_1)
	v_cvt_u32_f32_e32 v1, v1
	v_readfirstlane_b32 s5, v1
	v_and_b32_e32 v1, 3, v24
	s_delay_alu instid0(VALU_DEP_2) | instskip(NEXT) | instid1(VALU_DEP_1)
	s_mul_i32 s4, s4, s5
	v_lshlrev_b32_e32 v47, 1, v1
	s_mul_hi_u32 s4, s5, s4
	s_delay_alu instid0(SALU_CYCLE_1) | instskip(NEXT) | instid1(SALU_CYCLE_1)
	s_add_i32 s5, s5, s4
	s_mul_hi_u32 s4, s14, s5
	s_delay_alu instid0(SALU_CYCLE_1) | instskip(SKIP_2) | instid1(SALU_CYCLE_1)
	s_mul_i32 s5, s4, s11
	s_add_i32 s13, s4, 1
	s_sub_i32 s5, s14, s5
	s_sub_i32 s15, s5, s11
	s_cmp_ge_u32 s5, s11
	s_cselect_b32 s4, s13, s4
	s_cselect_b32 s5, s15, s5
	s_add_i32 s13, s4, 1
	s_cmp_ge_u32 s5, s11
	s_cselect_b32 s5, s13, s4
	s_and_b32 vcc_lo, exec_lo, s3
	s_mul_i32 s4, s5, s11
	s_delay_alu instid0(SALU_CYCLE_1) | instskip(NEXT) | instid1(SALU_CYCLE_1)
	s_sub_i32 s4, s14, s4
	s_lshl_b32 s4, s4, 6
	s_delay_alu instid0(SALU_CYCLE_1)
	v_add_nc_u32_e32 v0, s4, v6
	s_cbranch_vccnz .LBB288_9
; %bb.8:
	s_delay_alu instid0(VALU_DEP_1) | instskip(NEXT) | instid1(VALU_DEP_1)
	v_mad_i64_i32 v[1:2], null, v0, s10, 0
	v_lshlrev_b64 v[1:2], 1, v[1:2]
	s_delay_alu instid0(VALU_DEP_1) | instskip(NEXT) | instid1(VALU_DEP_2)
	v_add_co_u32 v1, vcc_lo, s20, v1
	v_add_co_ci_u32_e32 v2, vcc_lo, s21, v2, vcc_lo
	s_delay_alu instid0(VALU_DEP_2) | instskip(NEXT) | instid1(VALU_DEP_2)
	v_add_co_u32 v1, vcc_lo, v1, v47
	v_add_co_ci_u32_e32 v2, vcc_lo, 0, v2, vcc_lo
	flat_load_u16 v1, v[1:2]
	s_waitcnt vmcnt(0) lgkmcnt(0)
	v_mul_f16_e32 v7, v43, v1
	s_branch .LBB288_10
.LBB288_9:
	v_mov_b32_e32 v7, 0
.LBB288_10:
	s_load_b32 s11, s[0:1], 0x38
	s_lshl_b32 s5, s5, 7
	s_and_b32 vcc_lo, exec_lo, s3
	v_add_nc_u32_e32 v1, s5, v6
	s_delay_alu instid0(VALU_DEP_1)
	v_add_nc_u32_e32 v2, 64, v1
	s_cbranch_vccnz .LBB288_14
; %bb.11:
	s_waitcnt lgkmcnt(0)
	v_mad_i64_i32 v[3:4], null, v1, s11, 0
	s_delay_alu instid0(VALU_DEP_2) | instskip(SKIP_1) | instid1(VALU_DEP_1)
	v_mad_i64_i32 v[8:9], null, v2, s11, 0
	v_add_co_u32 v5, s13, s18, v47
	v_add_co_ci_u32_e64 v10, null, s19, 0, s13
	s_delay_alu instid0(VALU_DEP_4) | instskip(NEXT) | instid1(VALU_DEP_4)
	v_lshlrev_b64 v[3:4], 1, v[3:4]
	v_lshlrev_b64 v[8:9], 1, v[8:9]
	s_delay_alu instid0(VALU_DEP_2) | instskip(NEXT) | instid1(VALU_DEP_3)
	v_add_co_u32 v3, vcc_lo, v5, v3
	v_add_co_ci_u32_e32 v4, vcc_lo, v10, v4, vcc_lo
	s_delay_alu instid0(VALU_DEP_3) | instskip(NEXT) | instid1(VALU_DEP_4)
	v_add_co_u32 v8, vcc_lo, v5, v8
	v_add_co_ci_u32_e32 v9, vcc_lo, v10, v9, vcc_lo
	s_clause 0x1
	flat_load_u16 v3, v[3:4]
	flat_load_u16 v4, v[8:9]
	s_waitcnt vmcnt(1) lgkmcnt(1)
	v_mul_f16_e32 v8, v43, v3
	s_waitcnt vmcnt(0) lgkmcnt(0)
	v_mul_f16_e32 v9, v43, v4
	s_and_b32 vcc_lo, exec_lo, s3
	s_cbranch_vccnz .LBB288_15
.LBB288_12:
	v_mad_i64_i32 v[3:4], null, v0, s10, 0
	s_delay_alu instid0(VALU_DEP_1) | instskip(NEXT) | instid1(VALU_DEP_1)
	v_lshlrev_b64 v[3:4], 1, v[3:4]
	v_add_co_u32 v3, vcc_lo, s20, v3
	s_delay_alu instid0(VALU_DEP_2) | instskip(NEXT) | instid1(VALU_DEP_2)
	v_add_co_ci_u32_e32 v4, vcc_lo, s21, v4, vcc_lo
	v_add_co_u32 v3, vcc_lo, v3, v47
	s_delay_alu instid0(VALU_DEP_2)
	v_add_co_ci_u32_e32 v4, vcc_lo, 0, v4, vcc_lo
	flat_load_u16 v3, v[3:4] offset:8
	s_waitcnt vmcnt(0) lgkmcnt(0)
	v_mul_f16_e32 v3, v43, v3
	s_and_b32 vcc_lo, exec_lo, s3
	s_cbranch_vccnz .LBB288_16
.LBB288_13:
	s_waitcnt lgkmcnt(0)
	v_mad_i64_i32 v[4:5], null, v1, s11, 0
	v_mad_i64_i32 v[10:11], null, v2, s11, 0
	v_add_co_u32 v12, s13, s18, v47
	s_delay_alu instid0(VALU_DEP_1) | instskip(NEXT) | instid1(VALU_DEP_4)
	v_add_co_ci_u32_e64 v13, null, s19, 0, s13
	v_lshlrev_b64 v[4:5], 1, v[4:5]
	s_delay_alu instid0(VALU_DEP_4) | instskip(NEXT) | instid1(VALU_DEP_2)
	v_lshlrev_b64 v[10:11], 1, v[10:11]
	v_add_co_u32 v4, vcc_lo, v12, v4
	s_delay_alu instid0(VALU_DEP_3) | instskip(NEXT) | instid1(VALU_DEP_3)
	v_add_co_ci_u32_e32 v5, vcc_lo, v13, v5, vcc_lo
	v_add_co_u32 v10, vcc_lo, v12, v10
	s_delay_alu instid0(VALU_DEP_4)
	v_add_co_ci_u32_e32 v11, vcc_lo, v13, v11, vcc_lo
	s_clause 0x1
	flat_load_u16 v4, v[4:5] offset:8
	flat_load_u16 v5, v[10:11] offset:8
	s_waitcnt vmcnt(1) lgkmcnt(1)
	v_mul_f16_e32 v4, v43, v4
	s_waitcnt vmcnt(0) lgkmcnt(0)
	v_mul_f16_e32 v5, v43, v5
	s_branch .LBB288_17
.LBB288_14:
	v_dual_mov_b32 v8, 0 :: v_dual_mov_b32 v9, 0
	s_and_b32 vcc_lo, exec_lo, s3
	s_cbranch_vccz .LBB288_12
.LBB288_15:
	v_mov_b32_e32 v3, 0
	s_and_b32 vcc_lo, exec_lo, s3
	s_cbranch_vccz .LBB288_13
.LBB288_16:
	v_dual_mov_b32 v4, 0 :: v_dual_mov_b32 v5, 0
.LBB288_17:
	v_lshlrev_b32_e32 v45, 3, v24
	v_lshl_or_b32 v56, v6, 3, v47
	v_lshlrev_b32_e32 v46, 3, v44
	s_load_b32 s13, s[0:1], 0x8
	ds_store_b16 v56, v8
	ds_store_b16 v56, v7 offset:2048
	ds_store_b16 v56, v9 offset:512
	v_add_nc_u32_e32 v22, 0x800, v45
	s_waitcnt lgkmcnt(0)
	s_barrier
	buffer_gl0_inv
	ds_load_2addr_b64 v[6:9], v46 offset1:32
	ds_load_2addr_b64 v[10:13], v22 offset0:48 offset1:56
	ds_load_2addr_b64 v[14:17], v46 offset0:64 offset1:96
	ds_load_2addr_b64 v[18:21], v22 offset1:8
	ds_load_2addr_b64 v[26:29], v22 offset0:16 offset1:24
	ds_load_2addr_b64 v[34:37], v22 offset0:32 offset1:40
	ds_store_b16 v56, v4 offset:1024
	ds_store_b16 v56, v3 offset:2560
	;; [unrolled: 1-line block ×3, first 2 shown]
	s_waitcnt lgkmcnt(0)
	s_barrier
	buffer_gl0_inv
	s_cmp_lt_i32 s13, 9
	v_pk_max_f16 v6, v6, v6
	v_pk_max_f16 v8, v8, v8
	;; [unrolled: 1-line block ×8, first 2 shown]
	v_pk_min_f16 v41, v26, v6
	v_pk_min_f16 v42, v26, v8
	v_pk_max_f16 v18, v18, v18
	v_pk_max_f16 v20, v20, v20
	v_pk_min_f16 v22, v12, v6
	v_pk_add_f16 v49, v41, 0
	v_pk_min_f16 v41, v28, v6
	v_pk_add_f16 v50, v42, 0
	v_pk_min_f16 v42, v28, v8
	v_pk_min_f16 v51, v28, v14
	v_pk_max_f16 v36, v36, v36
	v_pk_add_f16 v57, v41, 0
	v_pk_min_f16 v41, v34, v6
	v_pk_add_f16 v58, v42, 0
	v_pk_min_f16 v42, v34, v8
	v_pk_max_f16 v10, v10, v10
	v_pk_max_f16 v7, v7, v7
	v_pk_add_f16 v64, v41, 0
	v_pk_min_f16 v41, v34, v14
	v_pk_min_f16 v34, v34, v16
	v_pk_max_f16 v13, v13, v13
	v_pk_min_f16 v23, v12, v8
	v_pk_min_f16 v30, v12, v14
	;; [unrolled: 1-line block ×9, first 2 shown]
	v_pk_add_f16 v22, v22, 0
	v_pk_min_f16 v20, v20, v16
	v_pk_min_f16 v48, v26, v14
	;; [unrolled: 1-line block ×4, first 2 shown]
	v_pk_add_f16 v59, v51, 0
	v_pk_add_f16 v65, v42, 0
	v_pk_min_f16 v42, v36, v6
	v_pk_min_f16 v51, v36, v8
	v_pk_add_f16 v67, v34, 0
	v_pk_min_f16 v34, v36, v14
	v_pk_min_f16 v36, v36, v16
	;; [unrolled: 1-line block ×6, first 2 shown]
	v_pk_max_f16 v9, v9, v9
	v_pk_min_f16 v12, v12, v16
	v_pk_min_f16 v16, v13, v7
	v_pk_add_f16 v23, v23, 0
	v_pk_add_f16 v70, v34, 0
	v_pk_max_f16 v15, v15, v15
	v_pk_min_f16 v34, v13, v9
	v_pk_max_f16 v19, v19, v19
	v_pk_add_f16 v55, v16, v22
	v_pk_max_f16 v16, v17, v17
	v_pk_add_f16 v31, v31, 0
	v_pk_add_f16 v32, v32, 0
	;; [unrolled: 1-line block ×6, first 2 shown]
	v_pk_min_f16 v17, v19, v7
	v_pk_min_f16 v22, v19, v9
	v_pk_min_f16 v23, v19, v15
	v_pk_min_f16 v19, v19, v16
	v_pk_max_f16 v21, v21, v21
	v_pk_add_f16 v38, v38, 0
	v_pk_add_f16 v39, v39, 0
	;; [unrolled: 1-line block ×9, first 2 shown]
	v_pk_min_f16 v17, v21, v7
	v_pk_min_f16 v18, v21, v9
	;; [unrolled: 1-line block ×4, first 2 shown]
	v_pk_max_f16 v22, v27, v27
	v_pk_add_f16 v48, v48, 0
	v_pk_add_f16 v26, v26, 0
	;; [unrolled: 1-line block ×6, first 2 shown]
	v_pk_min_f16 v17, v22, v7
	v_pk_min_f16 v18, v22, v9
	;; [unrolled: 1-line block ×4, first 2 shown]
	v_pk_max_f16 v21, v29, v29
	v_pk_add_f16 v30, v30, 0
	v_pk_add_f16 v28, v28, 0
	;; [unrolled: 1-line block ×3, first 2 shown]
	v_pk_min_f16 v36, v13, v15
	v_pk_add_f16 v61, v17, v49
	v_pk_add_f16 v52, v18, v50
	;; [unrolled: 1-line block ×4, first 2 shown]
	v_pk_min_f16 v17, v21, v7
	v_pk_min_f16 v18, v21, v9
	;; [unrolled: 1-line block ×4, first 2 shown]
	v_pk_max_f16 v21, v35, v35
	v_pk_add_f16 v69, v51, 0
	v_pk_add_f16 v34, v36, v30
	;; [unrolled: 1-line block ×6, first 2 shown]
	v_pk_min_f16 v17, v21, v7
	v_pk_min_f16 v18, v21, v9
	v_pk_min_f16 v19, v21, v15
	v_pk_min_f16 v20, v21, v16
	v_pk_max_f16 v21, v37, v37
	v_pk_max_f16 v11, v11, v11
	v_pk_add_f16 v6, v6, 0
	v_pk_add_f16 v8, v8, 0
	;; [unrolled: 1-line block ×9, first 2 shown]
	v_pk_min_f16 v17, v21, v7
	v_pk_min_f16 v18, v21, v9
	;; [unrolled: 1-line block ×9, first 2 shown]
	v_pk_add_f16 v58, v17, v68
	v_pk_add_f16 v49, v18, v69
	;; [unrolled: 1-line block ×9, first 2 shown]
	s_cbranch_scc1 .LBB288_31
; %bb.18:
	v_mad_i64_i32 v[3:4], null, v0, s10, 0
	v_mad_i64_i32 v[5:6], null, s11, v2, 0
	v_mad_i64_i32 v[7:8], null, s11, v1, 0
	v_add_nc_u32_e32 v64, 0x800, v56
	v_add_nc_u32_e32 v65, 0x800, v45
	v_lshlrev_b64 v[2:3], 1, v[3:4]
	v_add_nc_u32_e32 v66, 0xa00, v56
	v_lshlrev_b64 v[0:1], 1, v[5:6]
	v_add_nc_u32_e32 v67, 0x400, v56
	v_lshl_add_u32 v70, v24, 3, 0xa00
	v_lshl_add_u32 v71, v44, 3, 0x400
	v_add_co_u32 v68, vcc_lo, s20, v2
	v_add_co_ci_u32_e32 v69, vcc_lo, s21, v3, vcc_lo
	v_lshlrev_b64 v[2:3], 1, v[7:8]
	v_add_co_u32 v72, vcc_lo, s18, v0
	v_add_co_ci_u32_e32 v73, vcc_lo, s19, v1, vcc_lo
	s_add_i32 s10, s13, -8
	s_delay_alu instid0(VALU_DEP_3) | instskip(NEXT) | instid1(VALU_DEP_4)
	v_add_co_u32 v74, vcc_lo, s18, v2
	v_add_co_ci_u32_e32 v75, vcc_lo, s19, v3, vcc_lo
	s_mov_b32 s11, 0
	s_branch .LBB288_21
.LBB288_19:                             ;   in Loop: Header=BB288_21 Depth=1
	v_add_co_u32 v0, vcc_lo, v74, v47
	v_add_co_ci_u32_e32 v1, vcc_lo, 0, v75, vcc_lo
	v_add_co_u32 v119, vcc_lo, v72, v47
	v_add_co_ci_u32_e32 v120, vcc_lo, 0, v73, vcc_lo
	flat_load_u16 v0, v[0:1] offset:24
	flat_load_u16 v1, v[119:120] offset:24
	s_waitcnt vmcnt(1) lgkmcnt(1)
	v_mul_f16_e32 v0, v43, v0
	s_waitcnt vmcnt(0) lgkmcnt(0)
	v_mul_f16_e32 v1, v43, v1
.LBB288_20:                             ;   in Loop: Header=BB288_21 Depth=1
	v_pk_add_f16 v16, v16, v34
	v_pk_add_f16 v22, v22, v33
	;; [unrolled: 1-line block ×30, first 2 shown]
	ds_load_2addr_b64 v[26:29], v65 offset0:48 offset1:56
	ds_load_2addr_b64 v[30:33], v46 offset1:32
	ds_load_2addr_b64 v[34:37], v46 offset0:64 offset1:96
	v_pk_add_f16 v80, v116, v40
	v_pk_add_f16 v81, v118, v39
	;; [unrolled: 1-line block ×4, first 2 shown]
	ds_load_2addr_b64 v[38:41], v65 offset1:8
	v_pk_add_f16 v8, v8, v62
	v_pk_add_f16 v49, v91, v49
	;; [unrolled: 1-line block ×12, first 2 shown]
	s_waitcnt lgkmcnt(3)
	v_pk_max_f16 v28, v28, v28
	s_waitcnt lgkmcnt(2)
	v_pk_max_f16 v30, v30, v30
	v_pk_max_f16 v32, v32, v32
	s_waitcnt lgkmcnt(1)
	v_pk_max_f16 v34, v34, v34
	v_pk_add_f16 v15, v15, v49
	v_pk_add_f16 v49, v7, v60
	;; [unrolled: 1-line block ×3, first 2 shown]
	v_pk_min_f16 v6, v28, v30
	v_pk_min_f16 v7, v28, v32
	;; [unrolled: 1-line block ×3, first 2 shown]
	ds_load_2addr_b64 v[2:5], v65 offset0:16 offset1:24
	s_waitcnt lgkmcnt(1)
	v_pk_max_f16 v9, v38, v38
	v_pk_max_f16 v36, v36, v36
	v_pk_add_f16 v14, v108, v14
	v_pk_add_f16 v18, v109, v18
	;; [unrolled: 1-line block ×7, first 2 shown]
	v_pk_min_f16 v6, v9, v30
	v_pk_min_f16 v7, v9, v32
	;; [unrolled: 1-line block ×4, first 2 shown]
	v_pk_add_f16 v57, v94, v57
	v_pk_add_f16 v14, v6, v14
	;; [unrolled: 1-line block ×5, first 2 shown]
	ds_load_2addr_b64 v[6:9], v65 offset0:32 offset1:40
	v_pk_max_f16 v40, v40, v40
	v_pk_add_f16 v17, v17, v55
	v_pk_add_f16 v19, v19, v58
	;; [unrolled: 1-line block ×3, first 2 shown]
	s_waitcnt lgkmcnt(1)
	v_pk_max_f16 v2, v2, v2
	v_pk_min_f16 v55, v40, v30
	v_pk_min_f16 v57, v40, v32
	;; [unrolled: 1-line block ×4, first 2 shown]
	v_pk_max_f16 v4, v4, v4
	v_pk_add_f16 v48, v95, v48
	v_pk_add_f16 v42, v99, v42
	;; [unrolled: 1-line block ×4, first 2 shown]
	v_pk_min_f16 v40, v2, v30
	v_pk_add_f16 v10, v117, v10
	v_pk_add_f16 v52, v102, v52
	;; [unrolled: 1-line block ×5, first 2 shown]
	v_pk_min_f16 v40, v4, v32
	s_waitcnt lgkmcnt(0)
	v_pk_max_f16 v6, v6, v6
	v_pk_add_f16 v59, v55, v63
	v_pk_min_f16 v55, v2, v32
	v_pk_min_f16 v61, v2, v34
	;; [unrolled: 1-line block ×3, first 2 shown]
	v_pk_add_f16 v79, v40, v42
	v_pk_min_f16 v40, v6, v30
	v_pk_add_f16 v51, v101, v51
	v_pk_add_f16 v58, v58, v78
	;; [unrolled: 1-line block ×5, first 2 shown]
	v_pk_min_f16 v11, v4, v30
	v_pk_min_f16 v55, v4, v34
	;; [unrolled: 1-line block ×4, first 2 shown]
	v_pk_max_f16 v8, v8, v8
	v_pk_add_f16 v81, v40, v52
	v_pk_min_f16 v40, v6, v34
	v_pk_max_f16 v26, v26, v26
	v_pk_add_f16 v11, v11, v82
	v_pk_add_f16 v80, v55, v83
	;; [unrolled: 1-line block ×4, first 2 shown]
	v_pk_min_f16 v42, v8, v30
	v_pk_min_f16 v51, v8, v32
	v_pk_add_f16 v83, v40, v50
	v_pk_min_f16 v40, v8, v34
	v_pk_min_f16 v8, v8, v36
	;; [unrolled: 1-line block ×5, first 2 shown]
	v_pk_max_f16 v29, v29, v29
	v_pk_max_f16 v84, v33, v33
	v_pk_add_f16 v8, v8, v19
	v_pk_add_f16 v19, v30, v21
	;; [unrolled: 1-line block ×4, first 2 shown]
	v_pk_max_f16 v48, v31, v31
	v_pk_min_f16 v28, v28, v36
	v_pk_max_f16 v35, v35, v35
	v_pk_min_f16 v31, v29, v84
	v_pk_add_f16 v13, v42, v13
	v_pk_min_f16 v30, v29, v48
	v_pk_add_f16 v85, v28, v54
	v_pk_min_f16 v28, v29, v35
	v_pk_max_f16 v32, v39, v39
	v_pk_add_f16 v42, v31, v12
	v_pk_max_f16 v12, v37, v37
	v_pk_add_f16 v55, v30, v38
	v_pk_add_f16 v34, v28, v16
	v_pk_min_f16 v16, v32, v48
	v_pk_min_f16 v28, v32, v84
	;; [unrolled: 1-line block ×4, first 2 shown]
	v_pk_max_f16 v32, v41, v41
	v_pk_min_f16 v6, v6, v36
	v_pk_add_f16 v63, v16, v14
	v_pk_add_f16 v54, v28, v18
	v_pk_max_f16 v3, v3, v3
	v_pk_min_f16 v14, v32, v48
	v_pk_min_f16 v16, v32, v84
	;; [unrolled: 1-line block ×3, first 2 shown]
	v_pk_add_f16 v6, v6, v53
	v_pk_add_f16 v17, v40, v17
	;; [unrolled: 1-line block ×5, first 2 shown]
	v_pk_min_f16 v14, v3, v48
	v_pk_min_f16 v16, v3, v84
	;; [unrolled: 1-line block ×4, first 2 shown]
	v_pk_max_f16 v5, v5, v5
	v_pk_add_f16 v41, v30, v20
	v_pk_add_f16 v33, v31, v22
	v_pk_min_f16 v20, v32, v12
	v_pk_add_f16 v52, v16, v10
	v_pk_add_f16 v31, v3, v2
	v_pk_min_f16 v2, v5, v48
	v_pk_min_f16 v3, v5, v84
	;; [unrolled: 1-line block ×4, first 2 shown]
	v_pk_max_f16 v7, v7, v7
	v_pk_add_f16 v15, v51, v15
	v_pk_add_f16 v32, v20, v60
	;; [unrolled: 1-line block ×5, first 2 shown]
	v_pk_min_f16 v2, v7, v48
	v_pk_min_f16 v3, v7, v84
	;; [unrolled: 1-line block ×4, first 2 shown]
	v_pk_max_f16 v7, v9, v9
	v_pk_min_f16 v26, v26, v36
	v_pk_add_f16 v59, v2, v81
	v_pk_add_f16 v50, v3, v82
	;; [unrolled: 1-line block ×4, first 2 shown]
	v_pk_min_f16 v2, v7, v48
	v_pk_min_f16 v3, v7, v84
	;; [unrolled: 1-line block ×4, first 2 shown]
	v_pk_max_f16 v6, v27, v27
	v_add_co_u32 v72, vcc_lo, v72, 16
	v_add_co_ci_u32_e32 v73, vcc_lo, 0, v73, vcc_lo
	v_pk_add_f16 v26, v26, v49
	v_pk_add_f16 v58, v2, v13
	;; [unrolled: 1-line block ×5, first 2 shown]
	v_pk_min_f16 v2, v6, v48
	v_pk_min_f16 v3, v6, v84
	;; [unrolled: 1-line block ×5, first 2 shown]
	v_add_co_u32 v74, vcc_lo, v74, 16
	v_add_co_ci_u32_e32 v75, vcc_lo, 0, v75, vcc_lo
	v_add_co_u32 v68, vcc_lo, v68, 16
	v_pk_add_f16 v61, v14, v77
	v_pk_add_f16 v39, v18, v78
	;; [unrolled: 1-line block ×8, first 2 shown]
	v_add_co_ci_u32_e32 v69, vcc_lo, 0, v69, vcc_lo
	s_add_i32 s11, s11, 8
	ds_store_b16 v66, v76
	ds_store_b16 v67, v0
	ds_store_b16 v67, v1 offset:512
	s_cmp_ge_i32 s11, s10
	s_waitcnt lgkmcnt(0)
	s_barrier
	buffer_gl0_inv
	s_cbranch_scc1 .LBB288_31
.LBB288_21:                             ; =>This Inner Loop Header: Depth=1
	v_mov_b32_e32 v76, 0
	s_and_b32 vcc_lo, exec_lo, s3
	s_cbranch_vccnz .LBB288_23
; %bb.22:                               ;   in Loop: Header=BB288_21 Depth=1
	v_add_co_u32 v0, vcc_lo, v68, v47
	v_add_co_ci_u32_e32 v1, vcc_lo, 0, v69, vcc_lo
	flat_load_u16 v0, v[0:1] offset:16
	s_waitcnt vmcnt(0) lgkmcnt(0)
	v_mul_f16_e32 v76, v43, v0
.LBB288_23:                             ;   in Loop: Header=BB288_21 Depth=1
	s_and_b32 vcc_lo, exec_lo, s3
	s_cbranch_vccnz .LBB288_25
; %bb.24:                               ;   in Loop: Header=BB288_21 Depth=1
	v_add_co_u32 v0, vcc_lo, v74, v47
	v_add_co_ci_u32_e32 v1, vcc_lo, 0, v75, vcc_lo
	v_add_co_u32 v2, vcc_lo, v72, v47
	v_add_co_ci_u32_e32 v3, vcc_lo, 0, v73, vcc_lo
	flat_load_u16 v0, v[0:1] offset:16
	flat_load_u16 v1, v[2:3] offset:16
	s_waitcnt vmcnt(1) lgkmcnt(1)
	v_mul_f16_e32 v77, v43, v0
	s_waitcnt vmcnt(0) lgkmcnt(0)
	v_mul_f16_e32 v78, v43, v1
	s_branch .LBB288_26
.LBB288_25:                             ;   in Loop: Header=BB288_21 Depth=1
	v_dual_mov_b32 v77, 0 :: v_dual_mov_b32 v78, 0
.LBB288_26:                             ;   in Loop: Header=BB288_21 Depth=1
	ds_load_2addr_b64 v[0:3], v70 offset0:48 offset1:56
	ds_load_2addr_b64 v[12:15], v71 offset0:64 offset1:96
	ds_load_2addr_b64 v[20:23], v71 offset1:32
	ds_load_2addr_b64 v[16:19], v70 offset1:8
	ds_load_2addr_b64 v[8:11], v70 offset0:16 offset1:24
	ds_load_2addr_b64 v[4:7], v70 offset0:32 offset1:40
	s_and_b32 vcc_lo, exec_lo, s3
	ds_store_b16 v64, v76
	ds_store_b16 v56, v77
	ds_store_b16 v56, v78 offset:512
	s_waitcnt lgkmcnt(0)
	s_barrier
	buffer_gl0_inv
	s_cbranch_vccnz .LBB288_28
; %bb.27:                               ;   in Loop: Header=BB288_21 Depth=1
	v_add_co_u32 v76, vcc_lo, v68, v47
	v_add_co_ci_u32_e32 v77, vcc_lo, 0, v69, vcc_lo
	flat_load_u16 v76, v[76:77] offset:24
	s_waitcnt vmcnt(0) lgkmcnt(0)
	v_mul_f16_e32 v76, v43, v76
	s_branch .LBB288_29
.LBB288_28:                             ;   in Loop: Header=BB288_21 Depth=1
	v_mov_b32_e32 v76, 0
.LBB288_29:                             ;   in Loop: Header=BB288_21 Depth=1
	v_pk_max_f16 v89, v2, v2
	v_pk_max_f16 v94, v20, v20
	;; [unrolled: 1-line block ×12, first 2 shown]
	v_pk_min_f16 v2, v89, v94
	v_pk_min_f16 v12, v89, v95
	;; [unrolled: 1-line block ×25, first 2 shown]
	v_pk_max_f16 v0, v3, v3
	v_pk_max_f16 v21, v21, v21
	;; [unrolled: 1-line block ×9, first 2 shown]
	v_pk_min_f16 v108, v3, v21
	v_pk_min_f16 v109, v3, v23
	;; [unrolled: 1-line block ×4, first 2 shown]
	v_pk_max_f16 v3, v9, v9
	v_pk_max_f16 v9, v11, v11
	;; [unrolled: 1-line block ×3, first 2 shown]
	v_pk_min_f16 v22, v22, v98
	v_pk_min_f16 v79, v79, v98
	;; [unrolled: 1-line block ×35, first 2 shown]
	s_and_b32 vcc_lo, exec_lo, s3
	s_cbranch_vccz .LBB288_19
; %bb.30:                               ;   in Loop: Header=BB288_21 Depth=1
	v_dual_mov_b32 v0, 0 :: v_dual_mov_b32 v1, 0
	s_branch .LBB288_20
.LBB288_31:
	s_load_b32 s10, s[0:1], 0x58
	v_dual_mov_b32 v56, 0 :: v_dual_add_nc_u32 v43, s5, v44
	ds_load_b64 v[0:1], v46 offset:1024
	ds_load_b64 v[2:3], v45 offset:2560
	v_add_nc_u32_e32 v22, s4, v24
	v_cmp_neq_f16_e64 s3, 0, v25
	v_mov_b32_e32 v20, 0
	s_delay_alu instid0(VALU_DEP_3) | instskip(NEXT) | instid1(VALU_DEP_3)
	v_ashrrev_i32_e32 v23, 31, v22
	s_and_b32 vcc_lo, exec_lo, s3
	s_delay_alu instid0(VALU_DEP_1) | instskip(SKIP_2) | instid1(VALU_DEP_1)
	v_lshlrev_b64 v[16:17], 1, v[22:23]
	s_waitcnt lgkmcnt(0)
	v_mad_i64_i32 v[4:5], null, v43, s10, 0
	v_lshlrev_b64 v[4:5], 1, v[4:5]
	s_delay_alu instid0(VALU_DEP_1) | instskip(NEXT) | instid1(VALU_DEP_1)
	v_add_co_u32 v67, s4, s8, v4
	v_add_co_ci_u32_e64 v68, s4, s9, v5, s4
	s_cbranch_vccz .LBB288_33
; %bb.32:
	s_delay_alu instid0(VALU_DEP_2) | instskip(NEXT) | instid1(VALU_DEP_2)
	v_add_co_u32 v4, vcc_lo, v67, v16
	v_add_co_ci_u32_e32 v5, vcc_lo, v68, v17, vcc_lo
	flat_load_u16 v4, v[4:5]
	s_waitcnt vmcnt(0) lgkmcnt(0)
	v_mul_f16_e32 v20, v25, v4
.LBB288_33:
	s_clause 0x1
	s_load_b32 s4, s[0:1], 0x70
	s_load_b64 s[14:15], s[0:1], 0x78
	v_pk_max_f16 v70, v0, v0
	v_pk_max_f16 v44, v2, v2
	;; [unrolled: 1-line block ×4, first 2 shown]
	ds_load_b64 v[23:24], v45 offset:3008
	ds_load_b64 v[18:19], v46 offset:1792
	ds_load_2addr_b64 v[0:3], v46 offset0:160 offset1:192
	v_pk_min_f16 v4, v44, v70
	v_add_nc_u32_e32 v5, 0x800, v45
	v_pk_min_f16 v21, v47, v69
	v_cndmask_b32_e64 v65, 0, 1, s3
	v_add_nc_u32_e32 v45, 8, v22
	v_pk_add_f16 v46, v4, v63
	ds_load_2addr_b64 v[12:15], v5 offset0:72 offset1:80
	ds_load_2addr_b64 v[8:11], v5 offset0:88 offset1:96
	ds_load_2addr_b64 v[4:7], v5 offset0:104 offset1:112
	v_cmp_ne_u32_e64 s0, 1, v65
	v_pk_add_f16 v21, v21, v46
	v_ashrrev_i32_e32 v46, 31, v45
	s_waitcnt lgkmcnt(0)
	v_mad_i64_i32 v[63:64], null, v43, s4, 0
	s_mul_i32 s1, s12, s15
	s_mul_hi_u32 s5, s12, s14
	s_mul_i32 s12, s12, s14
	s_add_i32 s13, s5, s1
	v_lshrrev_b32_e32 v65, 16, v21
	s_lshl_b64 s[12:13], s[12:13], 1
	s_delay_alu instid0(VALU_DEP_2) | instskip(SKIP_3) | instid1(VALU_DEP_2)
	v_lshlrev_b64 v[63:64], 1, v[63:64]
	s_add_u32 s1, s6, s12
	s_addc_u32 s5, s7, s13
	v_add_f16_e32 v21, v21, v65
	v_add_co_u32 v71, vcc_lo, s1, v63
	s_delay_alu instid0(VALU_DEP_3) | instskip(NEXT) | instid1(VALU_DEP_3)
	v_add_co_ci_u32_e32 v72, vcc_lo, s5, v64, vcc_lo
	v_add_f16_e32 v65, v21, v20
	s_delay_alu instid0(VALU_DEP_3) | instskip(SKIP_1) | instid1(VALU_DEP_4)
	v_add_co_u32 v63, vcc_lo, v71, v16
	v_lshlrev_b64 v[20:21], 1, v[45:46]
	v_add_co_ci_u32_e32 v64, vcc_lo, v72, v17, vcc_lo
	s_and_not1_b32 vcc_lo, exec_lo, s3
	global_store_b16 v[63:64], v65, off
	s_cbranch_vccnz .LBB288_35
; %bb.34:
	v_add_co_u32 v45, vcc_lo, v67, v20
	v_add_co_ci_u32_e32 v46, vcc_lo, v68, v21, vcc_lo
	flat_load_u16 v45, v[45:46]
	s_waitcnt vmcnt(0) lgkmcnt(0)
	v_mul_f16_e32 v56, v25, v45
.LBB288_35:
	v_pk_max_f16 v45, v12, v12
	v_pk_max_f16 v46, v13, v13
	v_add_co_u32 v65, vcc_lo, v71, v20
	v_add_co_ci_u32_e32 v66, vcc_lo, v72, v21, vcc_lo
	s_delay_alu instid0(VALU_DEP_4) | instskip(NEXT) | instid1(VALU_DEP_4)
	v_pk_min_f16 v12, v45, v70
	v_pk_min_f16 v13, v46, v69
	v_mov_b32_e32 v64, 0
	s_and_b32 vcc_lo, exec_lo, s0
	s_delay_alu instid0(VALU_DEP_3) | instskip(NEXT) | instid1(VALU_DEP_1)
	v_pk_add_f16 v12, v12, v62
	v_pk_add_f16 v62, v13, v12
	v_add_nc_u32_e32 v12, 16, v22
	s_delay_alu instid0(VALU_DEP_2) | instskip(NEXT) | instid1(VALU_DEP_1)
	v_lshrrev_b32_e32 v63, 16, v62
	v_add_f16_e32 v62, v62, v63
	v_mov_b32_e32 v63, 0
	s_delay_alu instid0(VALU_DEP_4) | instskip(NEXT) | instid1(VALU_DEP_3)
	v_ashrrev_i32_e32 v13, 31, v12
	v_add_f16_e32 v56, v62, v56
	s_delay_alu instid0(VALU_DEP_2)
	v_lshlrev_b64 v[12:13], 1, v[12:13]
	global_store_b16 v[65:66], v56, off
	s_cbranch_vccnz .LBB288_37
; %bb.36:
	v_add_co_u32 v62, vcc_lo, v67, v12
	v_add_co_ci_u32_e32 v63, vcc_lo, v68, v13, vcc_lo
	flat_load_u16 v56, v[62:63]
	s_waitcnt vmcnt(0) lgkmcnt(0)
	v_mul_f16_e32 v63, v25, v56
.LBB288_37:
	v_pk_max_f16 v56, v14, v14
	v_pk_max_f16 v62, v15, v15
	s_delay_alu instid0(VALU_DEP_2) | instskip(NEXT) | instid1(VALU_DEP_2)
	v_pk_min_f16 v14, v56, v70
	v_pk_min_f16 v15, v62, v69
	s_delay_alu instid0(VALU_DEP_2) | instskip(NEXT) | instid1(VALU_DEP_1)
	v_pk_add_f16 v14, v14, v61
	v_pk_add_f16 v61, v15, v14
	v_add_nc_u32_e32 v14, 24, v22
	s_delay_alu instid0(VALU_DEP_2) | instskip(NEXT) | instid1(VALU_DEP_2)
	v_lshrrev_b32_e32 v65, 16, v61
	v_ashrrev_i32_e32 v15, 31, v14
	s_delay_alu instid0(VALU_DEP_2) | instskip(SKIP_1) | instid1(VALU_DEP_3)
	v_add_f16_e32 v61, v61, v65
	v_add_co_u32 v65, vcc_lo, v71, v12
	v_lshlrev_b64 v[14:15], 1, v[14:15]
	v_add_co_ci_u32_e32 v66, vcc_lo, v72, v13, vcc_lo
	s_delay_alu instid0(VALU_DEP_4)
	v_add_f16_e32 v61, v61, v63
	s_and_b32 vcc_lo, exec_lo, s0
	global_store_b16 v[65:66], v61, off
	s_cbranch_vccnz .LBB288_39
; %bb.38:
	v_add_co_u32 v63, vcc_lo, v67, v14
	v_add_co_ci_u32_e32 v64, vcc_lo, v68, v15, vcc_lo
	flat_load_u16 v61, v[63:64]
	s_waitcnt vmcnt(0) lgkmcnt(0)
	v_mul_f16_e32 v64, v25, v61
.LBB288_39:
	v_pk_max_f16 v61, v8, v8
	v_pk_max_f16 v63, v9, v9
	v_add_co_u32 v73, vcc_lo, v71, v14
	v_add_co_ci_u32_e32 v74, vcc_lo, v72, v15, vcc_lo
	s_delay_alu instid0(VALU_DEP_4) | instskip(NEXT) | instid1(VALU_DEP_4)
	v_pk_min_f16 v8, v61, v70
	v_pk_min_f16 v9, v63, v69
	v_mov_b32_e32 v66, 0
	s_and_b32 vcc_lo, exec_lo, s0
	s_delay_alu instid0(VALU_DEP_3) | instskip(NEXT) | instid1(VALU_DEP_1)
	v_pk_add_f16 v8, v8, v60
	v_pk_add_f16 v60, v9, v8
	v_add_nc_u32_e32 v8, 32, v22
	s_delay_alu instid0(VALU_DEP_2) | instskip(NEXT) | instid1(VALU_DEP_1)
	v_lshrrev_b32_e32 v65, 16, v60
	v_add_f16_e32 v60, v60, v65
	v_mov_b32_e32 v65, 0
	s_delay_alu instid0(VALU_DEP_4) | instskip(NEXT) | instid1(VALU_DEP_3)
	v_ashrrev_i32_e32 v9, 31, v8
	v_add_f16_e32 v60, v60, v64
	s_delay_alu instid0(VALU_DEP_2)
	v_lshlrev_b64 v[8:9], 1, v[8:9]
	global_store_b16 v[73:74], v60, off
	s_cbranch_vccnz .LBB288_41
; %bb.40:
	v_add_co_u32 v64, vcc_lo, v67, v8
	v_add_co_ci_u32_e32 v65, vcc_lo, v68, v9, vcc_lo
	flat_load_u16 v60, v[64:65]
	s_waitcnt vmcnt(0) lgkmcnt(0)
	v_mul_f16_e32 v65, v25, v60
.LBB288_41:
	v_pk_max_f16 v60, v10, v10
	v_pk_max_f16 v64, v11, v11
	s_delay_alu instid0(VALU_DEP_2) | instskip(NEXT) | instid1(VALU_DEP_2)
	v_pk_min_f16 v10, v60, v70
	v_pk_min_f16 v11, v64, v69
	s_delay_alu instid0(VALU_DEP_2) | instskip(NEXT) | instid1(VALU_DEP_1)
	v_pk_add_f16 v10, v10, v59
	v_pk_add_f16 v59, v11, v10
	v_add_nc_u32_e32 v10, 40, v22
	s_delay_alu instid0(VALU_DEP_2) | instskip(NEXT) | instid1(VALU_DEP_2)
	v_lshrrev_b32_e32 v73, 16, v59
	v_ashrrev_i32_e32 v11, 31, v10
	s_delay_alu instid0(VALU_DEP_2) | instskip(SKIP_1) | instid1(VALU_DEP_3)
	v_add_f16_e32 v59, v59, v73
	v_add_co_u32 v73, vcc_lo, v71, v8
	v_lshlrev_b64 v[10:11], 1, v[10:11]
	v_add_co_ci_u32_e32 v74, vcc_lo, v72, v9, vcc_lo
	s_delay_alu instid0(VALU_DEP_4)
	v_add_f16_e32 v59, v59, v65
	s_and_b32 vcc_lo, exec_lo, s0
	global_store_b16 v[73:74], v59, off
	s_cbranch_vccnz .LBB288_43
; %bb.42:
	v_add_co_u32 v65, vcc_lo, v67, v10
	v_add_co_ci_u32_e32 v66, vcc_lo, v68, v11, vcc_lo
	flat_load_u16 v59, v[65:66]
	s_waitcnt vmcnt(0) lgkmcnt(0)
	v_mul_f16_e32 v66, v25, v59
.LBB288_43:
	v_pk_max_f16 v59, v4, v4
	v_pk_max_f16 v65, v5, v5
	v_add_co_u32 v75, vcc_lo, v71, v10
	v_add_co_ci_u32_e32 v76, vcc_lo, v72, v11, vcc_lo
	s_delay_alu instid0(VALU_DEP_4) | instskip(NEXT) | instid1(VALU_DEP_4)
	v_pk_min_f16 v4, v59, v70
	v_pk_min_f16 v5, v65, v69
	v_mov_b32_e32 v74, 0
	s_and_b32 vcc_lo, exec_lo, s0
	s_delay_alu instid0(VALU_DEP_3) | instskip(NEXT) | instid1(VALU_DEP_1)
	v_pk_add_f16 v4, v4, v58
	v_pk_add_f16 v58, v5, v4
	v_add_nc_u32_e32 v4, 48, v22
	s_delay_alu instid0(VALU_DEP_2) | instskip(NEXT) | instid1(VALU_DEP_1)
	v_lshrrev_b32_e32 v73, 16, v58
	v_add_f16_e32 v58, v58, v73
	v_mov_b32_e32 v73, 0
	s_delay_alu instid0(VALU_DEP_4) | instskip(NEXT) | instid1(VALU_DEP_3)
	v_ashrrev_i32_e32 v5, 31, v4
	v_add_f16_e32 v58, v58, v66
	s_delay_alu instid0(VALU_DEP_2)
	v_lshlrev_b64 v[4:5], 1, v[4:5]
	global_store_b16 v[75:76], v58, off
	s_cbranch_vccnz .LBB288_45
; %bb.44:
	v_add_co_u32 v74, vcc_lo, v67, v4
	v_add_co_ci_u32_e32 v75, vcc_lo, v68, v5, vcc_lo
	flat_load_u16 v58, v[74:75]
	s_waitcnt vmcnt(0) lgkmcnt(0)
	v_mul_f16_e32 v74, v25, v58
.LBB288_45:
	v_pk_max_f16 v58, v6, v6
	v_pk_max_f16 v66, v7, v7
	v_add_co_u32 v75, vcc_lo, v71, v4
	v_add_co_ci_u32_e32 v76, vcc_lo, v72, v5, vcc_lo
	s_delay_alu instid0(VALU_DEP_4) | instskip(NEXT) | instid1(VALU_DEP_4)
	v_pk_min_f16 v6, v58, v70
	v_pk_min_f16 v7, v66, v69
	s_and_b32 vcc_lo, exec_lo, s0
	s_delay_alu instid0(VALU_DEP_2) | instskip(NEXT) | instid1(VALU_DEP_1)
	v_pk_add_f16 v6, v6, v57
	v_pk_add_f16 v57, v7, v6
	v_add_nc_u32_e32 v6, 56, v22
	s_delay_alu instid0(VALU_DEP_2) | instskip(NEXT) | instid1(VALU_DEP_2)
	v_lshrrev_b32_e32 v22, 16, v57
	v_ashrrev_i32_e32 v7, 31, v6
	s_delay_alu instid0(VALU_DEP_2) | instskip(NEXT) | instid1(VALU_DEP_2)
	v_add_f16_e32 v22, v57, v22
	v_lshlrev_b64 v[6:7], 1, v[6:7]
	s_delay_alu instid0(VALU_DEP_2)
	v_add_f16_e32 v22, v22, v74
	global_store_b16 v[75:76], v22, off
	s_cbranch_vccnz .LBB288_47
; %bb.46:
	v_add_co_u32 v67, vcc_lo, v67, v6
	v_add_co_ci_u32_e32 v68, vcc_lo, v68, v7, vcc_lo
	flat_load_u16 v22, v[67:68]
	s_waitcnt vmcnt(0) lgkmcnt(0)
	v_mul_f16_e32 v73, v25, v22
.LBB288_47:
	v_pk_max_f16 v22, v23, v23
	v_pk_max_f16 v23, v24, v24
	v_dual_mov_b32 v67, 0 :: v_dual_add_nc_u32 v68, 32, v43
	v_add_co_u32 v71, vcc_lo, v71, v6
	s_delay_alu instid0(VALU_DEP_4) | instskip(NEXT) | instid1(VALU_DEP_4)
	v_pk_min_f16 v24, v22, v70
	v_pk_min_f16 v57, v23, v69
	s_delay_alu instid0(VALU_DEP_4) | instskip(SKIP_1) | instid1(VALU_DEP_4)
	v_mad_i64_i32 v[69:70], null, v68, s10, 0
	v_add_co_ci_u32_e32 v72, vcc_lo, v72, v7, vcc_lo
	v_pk_add_f16 v24, v24, v55
	s_delay_alu instid0(VALU_DEP_3) | instskip(NEXT) | instid1(VALU_DEP_2)
	v_lshlrev_b64 v[69:70], 1, v[69:70]
	v_pk_add_f16 v24, v57, v24
	s_delay_alu instid0(VALU_DEP_1) | instskip(NEXT) | instid1(VALU_DEP_1)
	v_lshrrev_b32_e32 v55, 16, v24
	v_add_f16_e32 v57, v24, v55
	s_delay_alu instid0(VALU_DEP_4) | instskip(SKIP_1) | instid1(VALU_DEP_3)
	v_add_co_u32 v24, vcc_lo, s8, v69
	v_add_co_ci_u32_e32 v55, vcc_lo, s9, v70, vcc_lo
	v_add_f16_e32 v57, v57, v73
	v_mov_b32_e32 v69, 0
	s_and_b32 vcc_lo, exec_lo, s0
	global_store_b16 v[71:72], v57, off
	s_cbranch_vccnz .LBB288_49
; %bb.48:
	v_add_co_u32 v69, vcc_lo, v24, v16
	v_add_co_ci_u32_e32 v70, vcc_lo, v55, v17, vcc_lo
	flat_load_u16 v57, v[69:70]
	s_waitcnt vmcnt(0) lgkmcnt(0)
	v_mul_f16_e32 v69, v25, v57
.LBB288_49:
	v_pk_max_f16 v57, v0, v0
	v_pk_max_f16 v0, v1, v1
	v_mad_i64_i32 v[70:71], null, v68, s4, 0
	s_delay_alu instid0(VALU_DEP_3) | instskip(NEXT) | instid1(VALU_DEP_3)
	v_pk_min_f16 v1, v44, v57
	v_pk_min_f16 v72, v47, v0
	s_delay_alu instid0(VALU_DEP_3) | instskip(NEXT) | instid1(VALU_DEP_3)
	v_lshlrev_b64 v[70:71], 1, v[70:71]
	v_pk_add_f16 v1, v1, v54
	s_delay_alu instid0(VALU_DEP_1) | instskip(NEXT) | instid1(VALU_DEP_1)
	v_pk_add_f16 v1, v72, v1
	v_lshrrev_b32_e32 v54, 16, v1
	s_delay_alu instid0(VALU_DEP_1) | instskip(SKIP_2) | instid1(VALU_DEP_3)
	v_add_f16_e32 v68, v1, v54
	v_add_co_u32 v1, vcc_lo, s1, v70
	v_add_co_ci_u32_e32 v54, vcc_lo, s5, v71, vcc_lo
	v_add_f16_e32 v70, v68, v69
	s_delay_alu instid0(VALU_DEP_3) | instskip(NEXT) | instid1(VALU_DEP_3)
	v_add_co_u32 v68, vcc_lo, v1, v16
	v_add_co_ci_u32_e32 v69, vcc_lo, v54, v17, vcc_lo
	s_and_b32 vcc_lo, exec_lo, s0
	global_store_b16 v[68:69], v70, off
	s_cbranch_vccnz .LBB288_51
; %bb.50:
	v_add_co_u32 v67, vcc_lo, v24, v20
	v_add_co_ci_u32_e32 v68, vcc_lo, v55, v21, vcc_lo
	flat_load_u16 v67, v[67:68]
	s_waitcnt vmcnt(0) lgkmcnt(0)
	v_mul_f16_e32 v67, v25, v67
.LBB288_51:
	v_pk_min_f16 v68, v45, v57
	v_pk_min_f16 v69, v46, v0
	s_delay_alu instid0(VALU_DEP_2) | instskip(NEXT) | instid1(VALU_DEP_1)
	v_pk_add_f16 v53, v68, v53
	v_pk_add_f16 v53, v69, v53
	s_delay_alu instid0(VALU_DEP_1) | instskip(NEXT) | instid1(VALU_DEP_1)
	v_lshrrev_b32_e32 v68, 16, v53
	v_add_f16_e32 v53, v53, v68
	v_add_co_u32 v68, vcc_lo, v1, v20
	v_add_co_ci_u32_e32 v69, vcc_lo, v54, v21, vcc_lo
	s_delay_alu instid0(VALU_DEP_3)
	v_add_f16_e32 v70, v53, v67
	v_mov_b32_e32 v53, 0
	v_mov_b32_e32 v67, 0
	s_and_b32 vcc_lo, exec_lo, s0
	global_store_b16 v[68:69], v70, off
	s_cbranch_vccnz .LBB288_53
; %bb.52:
	v_add_co_u32 v67, vcc_lo, v24, v12
	v_add_co_ci_u32_e32 v68, vcc_lo, v55, v13, vcc_lo
	flat_load_u16 v67, v[67:68]
	s_waitcnt vmcnt(0) lgkmcnt(0)
	v_mul_f16_e32 v67, v25, v67
.LBB288_53:
	v_pk_min_f16 v68, v56, v57
	v_pk_min_f16 v69, v62, v0
	s_delay_alu instid0(VALU_DEP_2) | instskip(NEXT) | instid1(VALU_DEP_1)
	v_pk_add_f16 v52, v68, v52
	v_pk_add_f16 v52, v69, v52
	s_delay_alu instid0(VALU_DEP_1) | instskip(NEXT) | instid1(VALU_DEP_1)
	v_lshrrev_b32_e32 v68, 16, v52
	v_add_f16_e32 v52, v52, v68
	s_delay_alu instid0(VALU_DEP_1)
	v_add_f16_e32 v52, v52, v67
	v_add_co_u32 v67, vcc_lo, v1, v12
	v_add_co_ci_u32_e32 v68, vcc_lo, v54, v13, vcc_lo
	s_and_b32 vcc_lo, exec_lo, s0
	global_store_b16 v[67:68], v52, off
	s_cbranch_vccnz .LBB288_55
; %bb.54:
	v_add_co_u32 v52, vcc_lo, v24, v14
	v_add_co_ci_u32_e32 v53, vcc_lo, v55, v15, vcc_lo
	flat_load_u16 v52, v[52:53]
	s_waitcnt vmcnt(0) lgkmcnt(0)
	v_mul_f16_e32 v53, v25, v52
.LBB288_55:
	v_pk_min_f16 v52, v61, v57
	v_pk_min_f16 v67, v63, v0
	s_delay_alu instid0(VALU_DEP_2) | instskip(NEXT) | instid1(VALU_DEP_1)
	v_pk_add_f16 v51, v52, v51
	v_pk_add_f16 v51, v67, v51
	v_add_co_u32 v67, vcc_lo, v1, v14
	v_add_co_ci_u32_e32 v68, vcc_lo, v54, v15, vcc_lo
	s_delay_alu instid0(VALU_DEP_3) | instskip(SKIP_1) | instid1(VALU_DEP_1)
	v_lshrrev_b32_e32 v52, 16, v51
	s_and_b32 vcc_lo, exec_lo, s0
	v_add_f16_e32 v51, v51, v52
	v_mov_b32_e32 v52, 0
	s_delay_alu instid0(VALU_DEP_2)
	v_add_f16_e32 v53, v51, v53
	v_mov_b32_e32 v51, 0
	global_store_b16 v[67:68], v53, off
	s_cbranch_vccnz .LBB288_57
; %bb.56:
	v_add_co_u32 v52, vcc_lo, v24, v8
	v_add_co_ci_u32_e32 v53, vcc_lo, v55, v9, vcc_lo
	flat_load_u16 v52, v[52:53]
	s_waitcnt vmcnt(0) lgkmcnt(0)
	v_mul_f16_e32 v52, v25, v52
.LBB288_57:
	v_pk_min_f16 v53, v60, v57
	v_pk_min_f16 v67, v64, v0
	s_delay_alu instid0(VALU_DEP_2) | instskip(NEXT) | instid1(VALU_DEP_1)
	v_pk_add_f16 v50, v53, v50
	v_pk_add_f16 v50, v67, v50
	s_delay_alu instid0(VALU_DEP_1) | instskip(NEXT) | instid1(VALU_DEP_1)
	v_lshrrev_b32_e32 v53, 16, v50
	v_add_f16_e32 v50, v50, v53
	s_delay_alu instid0(VALU_DEP_1)
	v_add_f16_e32 v50, v50, v52
	v_add_co_u32 v52, vcc_lo, v1, v8
	v_add_co_ci_u32_e32 v53, vcc_lo, v54, v9, vcc_lo
	s_and_b32 vcc_lo, exec_lo, s0
	global_store_b16 v[52:53], v50, off
	s_cbranch_vccnz .LBB288_59
; %bb.58:
	v_add_co_u32 v50, vcc_lo, v24, v10
	v_add_co_ci_u32_e32 v51, vcc_lo, v55, v11, vcc_lo
	flat_load_u16 v50, v[50:51]
	s_waitcnt vmcnt(0) lgkmcnt(0)
	v_mul_f16_e32 v51, v25, v50
.LBB288_59:
	v_pk_min_f16 v50, v59, v57
	v_pk_min_f16 v52, v65, v0
	s_delay_alu instid0(VALU_DEP_2) | instskip(NEXT) | instid1(VALU_DEP_1)
	v_pk_add_f16 v49, v50, v49
	v_pk_add_f16 v49, v52, v49
	v_add_co_u32 v52, vcc_lo, v1, v10
	v_add_co_ci_u32_e32 v53, vcc_lo, v54, v11, vcc_lo
	s_delay_alu instid0(VALU_DEP_3) | instskip(SKIP_1) | instid1(VALU_DEP_1)
	v_lshrrev_b32_e32 v50, 16, v49
	s_and_b32 vcc_lo, exec_lo, s0
	v_add_f16_e32 v49, v49, v50
	v_mov_b32_e32 v50, 0
	s_delay_alu instid0(VALU_DEP_2)
	v_add_f16_e32 v51, v49, v51
	v_mov_b32_e32 v49, 0
	global_store_b16 v[52:53], v51, off
	s_cbranch_vccnz .LBB288_61
; %bb.60:
	v_add_co_u32 v50, vcc_lo, v24, v4
	v_add_co_ci_u32_e32 v51, vcc_lo, v55, v5, vcc_lo
	flat_load_u16 v50, v[50:51]
	s_waitcnt vmcnt(0) lgkmcnt(0)
	v_mul_f16_e32 v50, v25, v50
.LBB288_61:
	v_pk_min_f16 v51, v58, v57
	v_pk_min_f16 v52, v66, v0
	s_delay_alu instid0(VALU_DEP_2) | instskip(NEXT) | instid1(VALU_DEP_1)
	v_pk_add_f16 v48, v51, v48
	v_pk_add_f16 v48, v52, v48
	s_delay_alu instid0(VALU_DEP_1) | instskip(NEXT) | instid1(VALU_DEP_1)
	v_lshrrev_b32_e32 v51, 16, v48
	v_add_f16_e32 v48, v48, v51
	s_delay_alu instid0(VALU_DEP_1)
	v_add_f16_e32 v48, v48, v50
	v_add_co_u32 v50, vcc_lo, v1, v4
	v_add_co_ci_u32_e32 v51, vcc_lo, v54, v5, vcc_lo
	s_and_b32 vcc_lo, exec_lo, s0
	global_store_b16 v[50:51], v48, off
	s_cbranch_vccnz .LBB288_63
; %bb.62:
	v_add_co_u32 v48, vcc_lo, v24, v6
	v_add_co_ci_u32_e32 v49, vcc_lo, v55, v7, vcc_lo
	flat_load_u16 v24, v[48:49]
	s_waitcnt vmcnt(0) lgkmcnt(0)
	v_mul_f16_e32 v49, v25, v24
.LBB288_63:
	v_pk_min_f16 v24, v22, v57
	v_pk_min_f16 v0, v23, v0
	v_add_nc_u32_e32 v50, 64, v43
	v_add_co_u32 v53, vcc_lo, v1, v6
	s_delay_alu instid0(VALU_DEP_4) | instskip(SKIP_2) | instid1(VALU_DEP_3)
	v_pk_add_f16 v24, v24, v42
	v_add_co_ci_u32_e32 v54, vcc_lo, v54, v7, vcc_lo
	v_mov_b32_e32 v48, 0
	v_pk_add_f16 v0, v0, v24
	s_delay_alu instid0(VALU_DEP_1) | instskip(NEXT) | instid1(VALU_DEP_1)
	v_lshrrev_b32_e32 v24, 16, v0
	v_add_f16_e32 v0, v0, v24
	s_delay_alu instid0(VALU_DEP_1) | instskip(SKIP_4) | instid1(VALU_DEP_1)
	v_add_f16_e32 v0, v0, v49
	v_mov_b32_e32 v49, 0
	v_mad_i64_i32 v[51:52], null, v50, s10, 0
	global_store_b16 v[53:54], v0, off
	v_lshlrev_b64 v[51:52], 1, v[51:52]
	v_add_co_u32 v1, vcc_lo, s8, v51
	s_delay_alu instid0(VALU_DEP_2)
	v_add_co_ci_u32_e32 v24, vcc_lo, s9, v52, vcc_lo
	s_and_b32 vcc_lo, exec_lo, s0
	s_cbranch_vccnz .LBB288_65
; %bb.64:
	s_delay_alu instid0(VALU_DEP_2) | instskip(NEXT) | instid1(VALU_DEP_2)
	v_add_co_u32 v51, vcc_lo, v1, v16
	v_add_co_ci_u32_e32 v52, vcc_lo, v24, v17, vcc_lo
	flat_load_u16 v0, v[51:52]
	s_waitcnt vmcnt(0) lgkmcnt(0)
	v_mul_f16_e32 v49, v25, v0
.LBB288_65:
	v_pk_max_f16 v42, v2, v2
	v_pk_max_f16 v0, v3, v3
	s_delay_alu instid0(VALU_DEP_2) | instskip(NEXT) | instid1(VALU_DEP_2)
	v_pk_min_f16 v2, v44, v42
	v_pk_min_f16 v51, v47, v0
	s_delay_alu instid0(VALU_DEP_2) | instskip(SKIP_1) | instid1(VALU_DEP_2)
	v_pk_add_f16 v41, v2, v41
	v_mad_i64_i32 v[2:3], null, v50, s4, 0
	v_pk_add_f16 v41, v51, v41
	s_delay_alu instid0(VALU_DEP_2) | instskip(NEXT) | instid1(VALU_DEP_2)
	v_lshlrev_b64 v[2:3], 1, v[2:3]
	v_lshrrev_b32_e32 v50, 16, v41
	s_delay_alu instid0(VALU_DEP_2) | instskip(NEXT) | instid1(VALU_DEP_2)
	v_add_co_u32 v2, vcc_lo, s1, v2
	v_add_f16_e32 v41, v41, v50
	s_delay_alu instid0(VALU_DEP_4) | instskip(NEXT) | instid1(VALU_DEP_2)
	v_add_co_ci_u32_e32 v3, vcc_lo, s5, v3, vcc_lo
	v_add_f16_e32 v41, v41, v49
	s_delay_alu instid0(VALU_DEP_4) | instskip(NEXT) | instid1(VALU_DEP_3)
	v_add_co_u32 v49, vcc_lo, v2, v16
	v_add_co_ci_u32_e32 v50, vcc_lo, v3, v17, vcc_lo
	s_and_b32 vcc_lo, exec_lo, s0
	global_store_b16 v[49:50], v41, off
	s_cbranch_vccnz .LBB288_67
; %bb.66:
	v_add_co_u32 v48, vcc_lo, v1, v20
	v_add_co_ci_u32_e32 v49, vcc_lo, v24, v21, vcc_lo
	flat_load_u16 v41, v[48:49]
	s_waitcnt vmcnt(0) lgkmcnt(0)
	v_mul_f16_e32 v48, v25, v41
.LBB288_67:
	v_pk_min_f16 v41, v45, v42
	v_pk_min_f16 v49, v46, v0
	s_delay_alu instid0(VALU_DEP_2) | instskip(NEXT) | instid1(VALU_DEP_1)
	v_pk_add_f16 v40, v41, v40
	v_pk_add_f16 v40, v49, v40
	v_add_co_u32 v49, vcc_lo, v2, v20
	v_add_co_ci_u32_e32 v50, vcc_lo, v3, v21, vcc_lo
	s_delay_alu instid0(VALU_DEP_3) | instskip(SKIP_1) | instid1(VALU_DEP_1)
	v_lshrrev_b32_e32 v41, 16, v40
	s_and_b32 vcc_lo, exec_lo, s0
	v_add_f16_e32 v40, v40, v41
	v_mov_b32_e32 v41, 0
	s_delay_alu instid0(VALU_DEP_2)
	v_add_f16_e32 v48, v40, v48
	v_mov_b32_e32 v40, 0
	global_store_b16 v[49:50], v48, off
	s_cbranch_vccnz .LBB288_69
; %bb.68:
	v_add_co_u32 v48, vcc_lo, v1, v12
	v_add_co_ci_u32_e32 v49, vcc_lo, v24, v13, vcc_lo
	flat_load_u16 v41, v[48:49]
	s_waitcnt vmcnt(0) lgkmcnt(0)
	v_mul_f16_e32 v41, v25, v41
.LBB288_69:
	v_pk_min_f16 v48, v56, v42
	v_pk_min_f16 v49, v62, v0
	s_delay_alu instid0(VALU_DEP_2) | instskip(NEXT) | instid1(VALU_DEP_1)
	v_pk_add_f16 v39, v48, v39
	v_pk_add_f16 v39, v49, v39
	s_delay_alu instid0(VALU_DEP_1) | instskip(NEXT) | instid1(VALU_DEP_1)
	v_lshrrev_b32_e32 v48, 16, v39
	v_add_f16_e32 v39, v39, v48
	v_add_co_u32 v48, vcc_lo, v2, v12
	v_add_co_ci_u32_e32 v49, vcc_lo, v3, v13, vcc_lo
	s_delay_alu instid0(VALU_DEP_3)
	v_add_f16_e32 v39, v39, v41
	s_and_b32 vcc_lo, exec_lo, s0
	global_store_b16 v[48:49], v39, off
	s_cbranch_vccnz .LBB288_71
; %bb.70:
	v_add_co_u32 v39, vcc_lo, v1, v14
	v_add_co_ci_u32_e32 v40, vcc_lo, v24, v15, vcc_lo
	flat_load_u16 v39, v[39:40]
	s_waitcnt vmcnt(0) lgkmcnt(0)
	v_mul_f16_e32 v40, v25, v39
.LBB288_71:
	v_pk_min_f16 v39, v61, v42
	v_pk_min_f16 v41, v63, v0
	v_add_co_u32 v48, vcc_lo, v2, v14
	v_add_co_ci_u32_e32 v49, vcc_lo, v3, v15, vcc_lo
	s_delay_alu instid0(VALU_DEP_4) | instskip(SKIP_1) | instid1(VALU_DEP_1)
	v_pk_add_f16 v38, v39, v38
	s_and_b32 vcc_lo, exec_lo, s0
	v_pk_add_f16 v38, v41, v38
	s_delay_alu instid0(VALU_DEP_1) | instskip(NEXT) | instid1(VALU_DEP_1)
	v_lshrrev_b32_e32 v39, 16, v38
	v_add_f16_e32 v38, v38, v39
	v_mov_b32_e32 v39, 0
	s_delay_alu instid0(VALU_DEP_2)
	v_add_f16_e32 v40, v38, v40
	v_mov_b32_e32 v38, 0
	global_store_b16 v[48:49], v40, off
	s_cbranch_vccnz .LBB288_73
; %bb.72:
	v_add_co_u32 v39, vcc_lo, v1, v8
	v_add_co_ci_u32_e32 v40, vcc_lo, v24, v9, vcc_lo
	flat_load_u16 v39, v[39:40]
	s_waitcnt vmcnt(0) lgkmcnt(0)
	v_mul_f16_e32 v39, v25, v39
.LBB288_73:
	v_pk_min_f16 v40, v60, v42
	v_pk_min_f16 v41, v64, v0
	s_delay_alu instid0(VALU_DEP_2) | instskip(NEXT) | instid1(VALU_DEP_1)
	v_pk_add_f16 v37, v40, v37
	v_pk_add_f16 v37, v41, v37
	s_delay_alu instid0(VALU_DEP_1) | instskip(NEXT) | instid1(VALU_DEP_1)
	v_lshrrev_b32_e32 v40, 16, v37
	v_add_f16_e32 v37, v37, v40
	s_delay_alu instid0(VALU_DEP_1)
	v_add_f16_e32 v37, v37, v39
	v_add_co_u32 v39, vcc_lo, v2, v8
	v_add_co_ci_u32_e32 v40, vcc_lo, v3, v9, vcc_lo
	s_and_b32 vcc_lo, exec_lo, s0
	global_store_b16 v[39:40], v37, off
	s_cbranch_vccnz .LBB288_75
; %bb.74:
	v_add_co_u32 v37, vcc_lo, v1, v10
	v_add_co_ci_u32_e32 v38, vcc_lo, v24, v11, vcc_lo
	flat_load_u16 v37, v[37:38]
	s_waitcnt vmcnt(0) lgkmcnt(0)
	v_mul_f16_e32 v38, v25, v37
.LBB288_75:
	v_pk_min_f16 v37, v59, v42
	v_pk_min_f16 v39, v65, v0
	s_delay_alu instid0(VALU_DEP_2) | instskip(NEXT) | instid1(VALU_DEP_1)
	v_pk_add_f16 v36, v37, v36
	v_pk_add_f16 v36, v39, v36
	v_add_co_u32 v39, vcc_lo, v2, v10
	v_add_co_ci_u32_e32 v40, vcc_lo, v3, v11, vcc_lo
	s_delay_alu instid0(VALU_DEP_3) | instskip(SKIP_1) | instid1(VALU_DEP_1)
	v_lshrrev_b32_e32 v37, 16, v36
	s_and_b32 vcc_lo, exec_lo, s0
	v_add_f16_e32 v36, v36, v37
	v_mov_b32_e32 v37, 0
	s_delay_alu instid0(VALU_DEP_2)
	v_add_f16_e32 v38, v36, v38
	v_mov_b32_e32 v36, 0
	global_store_b16 v[39:40], v38, off
	s_cbranch_vccnz .LBB288_77
; %bb.76:
	v_add_co_u32 v37, vcc_lo, v1, v4
	v_add_co_ci_u32_e32 v38, vcc_lo, v24, v5, vcc_lo
	flat_load_u16 v37, v[37:38]
	s_waitcnt vmcnt(0) lgkmcnt(0)
	v_mul_f16_e32 v37, v25, v37
.LBB288_77:
	v_pk_min_f16 v38, v58, v42
	v_pk_min_f16 v39, v66, v0
	s_delay_alu instid0(VALU_DEP_2) | instskip(NEXT) | instid1(VALU_DEP_1)
	v_pk_add_f16 v35, v38, v35
	v_pk_add_f16 v35, v39, v35
	s_delay_alu instid0(VALU_DEP_1) | instskip(NEXT) | instid1(VALU_DEP_1)
	v_lshrrev_b32_e32 v38, 16, v35
	v_add_f16_e32 v35, v35, v38
	s_delay_alu instid0(VALU_DEP_1)
	v_add_f16_e32 v35, v35, v37
	v_add_co_u32 v37, vcc_lo, v2, v4
	v_add_co_ci_u32_e32 v38, vcc_lo, v3, v5, vcc_lo
	s_and_b32 vcc_lo, exec_lo, s0
	global_store_b16 v[37:38], v35, off
	s_cbranch_vccnz .LBB288_79
; %bb.78:
	v_add_co_u32 v35, vcc_lo, v1, v6
	v_add_co_ci_u32_e32 v36, vcc_lo, v24, v7, vcc_lo
	flat_load_u16 v1, v[35:36]
	s_waitcnt vmcnt(0) lgkmcnt(0)
	v_mul_f16_e32 v36, v25, v1
.LBB288_79:
	v_pk_min_f16 v1, v22, v42
	v_pk_min_f16 v24, v23, v0
	v_add_nc_u32_e32 v35, 0x60, v43
	v_add_co_u32 v2, vcc_lo, v2, v6
	s_delay_alu instid0(VALU_DEP_4) | instskip(SKIP_1) | instid1(VALU_DEP_2)
	v_pk_add_f16 v34, v1, v34
	v_add_co_ci_u32_e32 v3, vcc_lo, v3, v7, vcc_lo
	v_pk_add_f16 v24, v24, v34
	s_delay_alu instid0(VALU_DEP_1) | instskip(NEXT) | instid1(VALU_DEP_1)
	v_lshrrev_b32_e32 v34, 16, v24
	v_add_f16_e32 v24, v24, v34
	v_mov_b32_e32 v34, 0
	s_delay_alu instid0(VALU_DEP_2) | instskip(SKIP_4) | instid1(VALU_DEP_1)
	v_add_f16_e32 v36, v24, v36
	v_mov_b32_e32 v24, 0
	v_mad_i64_i32 v[0:1], null, v35, s10, 0
	global_store_b16 v[2:3], v36, off
	v_lshlrev_b64 v[0:1], 1, v[0:1]
	v_add_co_u32 v0, vcc_lo, s8, v0
	s_delay_alu instid0(VALU_DEP_2)
	v_add_co_ci_u32_e32 v1, vcc_lo, s9, v1, vcc_lo
	s_and_b32 vcc_lo, exec_lo, s0
	s_cbranch_vccnz .LBB288_81
; %bb.80:
	s_delay_alu instid0(VALU_DEP_2) | instskip(NEXT) | instid1(VALU_DEP_2)
	v_add_co_u32 v2, vcc_lo, v0, v16
	v_add_co_ci_u32_e32 v3, vcc_lo, v1, v17, vcc_lo
	flat_load_u16 v2, v[2:3]
	s_waitcnt vmcnt(0) lgkmcnt(0)
	v_mul_f16_e32 v34, v25, v2
.LBB288_81:
	v_pk_max_f16 v2, v18, v18
	v_pk_max_f16 v3, v19, v19
	s_delay_alu instid0(VALU_DEP_2) | instskip(NEXT) | instid1(VALU_DEP_2)
	v_pk_min_f16 v18, v44, v2
	v_pk_min_f16 v36, v47, v3
	s_delay_alu instid0(VALU_DEP_2) | instskip(SKIP_1) | instid1(VALU_DEP_2)
	v_pk_add_f16 v33, v18, v33
	v_mad_i64_i32 v[18:19], null, v35, s4, 0
	v_pk_add_f16 v33, v36, v33
	s_delay_alu instid0(VALU_DEP_2) | instskip(NEXT) | instid1(VALU_DEP_2)
	v_lshlrev_b64 v[18:19], 1, v[18:19]
	v_lshrrev_b32_e32 v35, 16, v33
	s_delay_alu instid0(VALU_DEP_2) | instskip(NEXT) | instid1(VALU_DEP_2)
	v_add_co_u32 v18, vcc_lo, s1, v18
	v_add_f16_e32 v33, v33, v35
	s_delay_alu instid0(VALU_DEP_4) | instskip(NEXT) | instid1(VALU_DEP_3)
	v_add_co_ci_u32_e32 v19, vcc_lo, s5, v19, vcc_lo
	v_add_co_u32 v16, vcc_lo, v18, v16
	s_delay_alu instid0(VALU_DEP_3) | instskip(NEXT) | instid1(VALU_DEP_3)
	v_add_f16_e32 v33, v33, v34
	v_add_co_ci_u32_e32 v17, vcc_lo, v19, v17, vcc_lo
	s_and_b32 vcc_lo, exec_lo, s0
	global_store_b16 v[16:17], v33, off
	s_cbranch_vccnz .LBB288_83
; %bb.82:
	v_add_co_u32 v16, vcc_lo, v0, v20
	v_add_co_ci_u32_e32 v17, vcc_lo, v1, v21, vcc_lo
	flat_load_u16 v16, v[16:17]
	s_waitcnt vmcnt(0) lgkmcnt(0)
	v_mul_f16_e32 v24, v25, v16
.LBB288_83:
	v_pk_min_f16 v16, v45, v2
	v_pk_min_f16 v17, v46, v3
	v_add_co_u32 v20, vcc_lo, v18, v20
	v_add_co_ci_u32_e32 v21, vcc_lo, v19, v21, vcc_lo
	s_delay_alu instid0(VALU_DEP_4) | instskip(SKIP_1) | instid1(VALU_DEP_1)
	v_pk_add_f16 v16, v16, v32
	s_and_b32 vcc_lo, exec_lo, s0
	v_pk_add_f16 v16, v17, v16
	s_delay_alu instid0(VALU_DEP_1) | instskip(NEXT) | instid1(VALU_DEP_1)
	v_lshrrev_b32_e32 v17, 16, v16
	v_add_f16_e32 v16, v16, v17
	v_mov_b32_e32 v17, 0
	s_delay_alu instid0(VALU_DEP_2)
	v_add_f16_e32 v24, v16, v24
	v_mov_b32_e32 v16, 0
	global_store_b16 v[20:21], v24, off
	s_cbranch_vccnz .LBB288_85
; %bb.84:
	v_add_co_u32 v20, vcc_lo, v0, v12
	v_add_co_ci_u32_e32 v21, vcc_lo, v1, v13, vcc_lo
	flat_load_u16 v17, v[20:21]
	s_waitcnt vmcnt(0) lgkmcnt(0)
	v_mul_f16_e32 v17, v25, v17
.LBB288_85:
	v_pk_min_f16 v20, v56, v2
	v_pk_min_f16 v21, v62, v3
	v_add_co_u32 v12, vcc_lo, v18, v12
	v_add_co_ci_u32_e32 v13, vcc_lo, v19, v13, vcc_lo
	s_delay_alu instid0(VALU_DEP_4) | instskip(SKIP_1) | instid1(VALU_DEP_1)
	v_pk_add_f16 v20, v20, v31
	s_and_b32 vcc_lo, exec_lo, s0
	v_pk_add_f16 v20, v21, v20
	s_delay_alu instid0(VALU_DEP_1) | instskip(NEXT) | instid1(VALU_DEP_1)
	v_lshrrev_b32_e32 v21, 16, v20
	v_add_f16_e32 v20, v20, v21
	s_delay_alu instid0(VALU_DEP_1)
	v_add_f16_e32 v17, v20, v17
	global_store_b16 v[12:13], v17, off
	s_cbranch_vccnz .LBB288_87
; %bb.86:
	v_add_co_u32 v12, vcc_lo, v0, v14
	v_add_co_ci_u32_e32 v13, vcc_lo, v1, v15, vcc_lo
	flat_load_u16 v12, v[12:13]
	s_waitcnt vmcnt(0) lgkmcnt(0)
	v_mul_f16_e32 v16, v25, v12
.LBB288_87:
	v_pk_min_f16 v12, v61, v2
	v_pk_min_f16 v13, v63, v3
	v_add_co_u32 v14, vcc_lo, v18, v14
	v_add_co_ci_u32_e32 v15, vcc_lo, v19, v15, vcc_lo
	s_delay_alu instid0(VALU_DEP_4) | instskip(SKIP_1) | instid1(VALU_DEP_1)
	v_pk_add_f16 v12, v12, v30
	s_and_b32 vcc_lo, exec_lo, s0
	v_pk_add_f16 v12, v13, v12
	s_delay_alu instid0(VALU_DEP_1) | instskip(NEXT) | instid1(VALU_DEP_1)
	v_lshrrev_b32_e32 v13, 16, v12
	v_add_f16_e32 v12, v12, v13
	v_mov_b32_e32 v13, 0
	s_delay_alu instid0(VALU_DEP_2)
	v_add_f16_e32 v16, v12, v16
	v_mov_b32_e32 v12, 0
	global_store_b16 v[14:15], v16, off
	s_cbranch_vccnz .LBB288_89
; %bb.88:
	v_add_co_u32 v13, vcc_lo, v0, v8
	v_add_co_ci_u32_e32 v14, vcc_lo, v1, v9, vcc_lo
	flat_load_u16 v13, v[13:14]
	s_waitcnt vmcnt(0) lgkmcnt(0)
	v_mul_f16_e32 v13, v25, v13
.LBB288_89:
	v_pk_min_f16 v14, v60, v2
	v_pk_min_f16 v15, v64, v3
	v_add_co_u32 v8, vcc_lo, v18, v8
	v_add_co_ci_u32_e32 v9, vcc_lo, v19, v9, vcc_lo
	s_delay_alu instid0(VALU_DEP_4) | instskip(SKIP_1) | instid1(VALU_DEP_1)
	v_pk_add_f16 v14, v14, v28
	s_and_b32 vcc_lo, exec_lo, s0
	v_pk_add_f16 v14, v15, v14
	s_delay_alu instid0(VALU_DEP_1) | instskip(NEXT) | instid1(VALU_DEP_1)
	v_lshrrev_b32_e32 v15, 16, v14
	v_add_f16_e32 v14, v14, v15
	s_delay_alu instid0(VALU_DEP_1)
	v_add_f16_e32 v13, v14, v13
	global_store_b16 v[8:9], v13, off
	s_cbranch_vccnz .LBB288_91
; %bb.90:
	v_add_co_u32 v8, vcc_lo, v0, v10
	v_add_co_ci_u32_e32 v9, vcc_lo, v1, v11, vcc_lo
	flat_load_u16 v8, v[8:9]
	s_waitcnt vmcnt(0) lgkmcnt(0)
	v_mul_f16_e32 v12, v25, v8
.LBB288_91:
	v_pk_min_f16 v8, v59, v2
	v_pk_min_f16 v9, v65, v3
	v_pk_min_f16 v13, v58, v2
	s_delay_alu instid0(VALU_DEP_3) | instskip(NEXT) | instid1(VALU_DEP_2)
	v_pk_add_f16 v8, v8, v27
	v_pk_add_f16 v13, v13, v29
	s_delay_alu instid0(VALU_DEP_2) | instskip(SKIP_1) | instid1(VALU_DEP_2)
	v_pk_add_f16 v8, v9, v8
	v_pk_min_f16 v9, v66, v3
	v_lshrrev_b32_e32 v14, 16, v8
	s_delay_alu instid0(VALU_DEP_2) | instskip(SKIP_2) | instid1(VALU_DEP_4)
	v_pk_add_f16 v13, v9, v13
	v_add_co_u32 v9, vcc_lo, v18, v10
	v_add_co_ci_u32_e32 v10, vcc_lo, v19, v11, vcc_lo
	v_add_f16_e32 v8, v8, v14
	s_delay_alu instid0(VALU_DEP_4) | instskip(SKIP_1) | instid1(VALU_DEP_2)
	v_lshrrev_b32_e32 v11, 16, v13
	s_mov_b32 vcc_lo, s2
	v_add_f16_e32 v12, v8, v12
	s_delay_alu instid0(VALU_DEP_2)
	v_add_f16_e32 v8, v13, v11
	global_store_b16 v[9:10], v12, off
	s_cbranch_vccz .LBB288_94
; %bb.92:
	v_add_co_u32 v9, vcc_lo, v18, v4
	v_add_f16_e32 v11, 0, v8
	v_add_co_ci_u32_e32 v10, vcc_lo, v19, v5, vcc_lo
	s_mov_b32 s0, 0
	global_store_b16 v[9:10], v11, off
	s_cbranch_execz .LBB288_95
; %bb.93:
	v_mov_b32_e32 v0, s0
	s_branch .LBB288_96
.LBB288_94:
	s_mov_b32 s0, -1
.LBB288_95:
	v_add_co_u32 v9, vcc_lo, v0, v4
	v_add_co_ci_u32_e32 v10, vcc_lo, v1, v5, vcc_lo
	v_add_co_u32 v4, vcc_lo, v18, v4
	v_add_co_ci_u32_e32 v5, vcc_lo, v19, v5, vcc_lo
	flat_load_u16 v9, v[9:10]
	v_add_co_u32 v0, vcc_lo, v0, v6
	v_add_co_ci_u32_e32 v1, vcc_lo, v1, v7, vcc_lo
	s_waitcnt vmcnt(0) lgkmcnt(0)
	v_fmac_f16_e32 v8, v25, v9
	global_store_b16 v[4:5], v8, off
	flat_load_u16 v0, v[0:1]
	s_waitcnt vmcnt(0) lgkmcnt(0)
	v_mul_f16_e32 v0, v25, v0
.LBB288_96:
	v_pk_min_f16 v1, v22, v2
	v_pk_min_f16 v2, v23, v3
	s_delay_alu instid0(VALU_DEP_2) | instskip(NEXT) | instid1(VALU_DEP_1)
	v_pk_add_f16 v1, v1, v26
	v_pk_add_f16 v1, v2, v1
	s_delay_alu instid0(VALU_DEP_1) | instskip(NEXT) | instid1(VALU_DEP_1)
	v_lshrrev_b32_e32 v2, 16, v1
	v_add_f16_e32 v1, v1, v2
	s_delay_alu instid0(VALU_DEP_1)
	v_add_f16_e32 v2, v1, v0
	v_add_co_u32 v0, vcc_lo, v18, v6
	v_add_co_ci_u32_e32 v1, vcc_lo, v19, v7, vcc_lo
	global_store_b16 v[0:1], v2, off
	s_nop 0
	s_sendmsg sendmsg(MSG_DEALLOC_VGPRS)
	s_endpgm
	.section	.rodata,"a",@progbits
	.p2align	6, 0x0
	.amdhsa_kernel _ZN12_GLOBAL__N_120geam_min_plus_kernelIDF16_Dv2_DF16_S1_Li8ELi32ELi64ELi128ELi4ELi4ELi64ELi4ELi64ELc84ELc78ELb0ELb0ELb0EPKDF16_S2_DF16_EEviiiT16_PT17_ilS6_ilS4_S6_ilPT18_ili26rocblas_geam_ex_operation_
		.amdhsa_group_segment_fixed_size 3072
		.amdhsa_private_segment_fixed_size 0
		.amdhsa_kernarg_size 136
		.amdhsa_user_sgpr_count 14
		.amdhsa_user_sgpr_dispatch_ptr 0
		.amdhsa_user_sgpr_queue_ptr 0
		.amdhsa_user_sgpr_kernarg_segment_ptr 1
		.amdhsa_user_sgpr_dispatch_id 0
		.amdhsa_user_sgpr_private_segment_size 0
		.amdhsa_wavefront_size32 1
		.amdhsa_uses_dynamic_stack 0
		.amdhsa_enable_private_segment 0
		.amdhsa_system_sgpr_workgroup_id_x 1
		.amdhsa_system_sgpr_workgroup_id_y 0
		.amdhsa_system_sgpr_workgroup_id_z 1
		.amdhsa_system_sgpr_workgroup_info 0
		.amdhsa_system_vgpr_workitem_id 1
		.amdhsa_next_free_vgpr 121
		.amdhsa_next_free_sgpr 24
		.amdhsa_reserve_vcc 1
		.amdhsa_float_round_mode_32 0
		.amdhsa_float_round_mode_16_64 0
		.amdhsa_float_denorm_mode_32 3
		.amdhsa_float_denorm_mode_16_64 3
		.amdhsa_dx10_clamp 1
		.amdhsa_ieee_mode 1
		.amdhsa_fp16_overflow 0
		.amdhsa_workgroup_processor_mode 1
		.amdhsa_memory_ordered 1
		.amdhsa_forward_progress 0
		.amdhsa_shared_vgpr_count 0
		.amdhsa_exception_fp_ieee_invalid_op 0
		.amdhsa_exception_fp_denorm_src 0
		.amdhsa_exception_fp_ieee_div_zero 0
		.amdhsa_exception_fp_ieee_overflow 0
		.amdhsa_exception_fp_ieee_underflow 0
		.amdhsa_exception_fp_ieee_inexact 0
		.amdhsa_exception_int_div_zero 0
	.end_amdhsa_kernel
	.section	.text._ZN12_GLOBAL__N_120geam_min_plus_kernelIDF16_Dv2_DF16_S1_Li8ELi32ELi64ELi128ELi4ELi4ELi64ELi4ELi64ELc84ELc78ELb0ELb0ELb0EPKDF16_S2_DF16_EEviiiT16_PT17_ilS6_ilS4_S6_ilPT18_ili26rocblas_geam_ex_operation_,"axG",@progbits,_ZN12_GLOBAL__N_120geam_min_plus_kernelIDF16_Dv2_DF16_S1_Li8ELi32ELi64ELi128ELi4ELi4ELi64ELi4ELi64ELc84ELc78ELb0ELb0ELb0EPKDF16_S2_DF16_EEviiiT16_PT17_ilS6_ilS4_S6_ilPT18_ili26rocblas_geam_ex_operation_,comdat
.Lfunc_end288:
	.size	_ZN12_GLOBAL__N_120geam_min_plus_kernelIDF16_Dv2_DF16_S1_Li8ELi32ELi64ELi128ELi4ELi4ELi64ELi4ELi64ELc84ELc78ELb0ELb0ELb0EPKDF16_S2_DF16_EEviiiT16_PT17_ilS6_ilS4_S6_ilPT18_ili26rocblas_geam_ex_operation_, .Lfunc_end288-_ZN12_GLOBAL__N_120geam_min_plus_kernelIDF16_Dv2_DF16_S1_Li8ELi32ELi64ELi128ELi4ELi4ELi64ELi4ELi64ELc84ELc78ELb0ELb0ELb0EPKDF16_S2_DF16_EEviiiT16_PT17_ilS6_ilS4_S6_ilPT18_ili26rocblas_geam_ex_operation_
                                        ; -- End function
	.section	.AMDGPU.csdata,"",@progbits
; Kernel info:
; codeLenInByte = 10072
; NumSgprs: 26
; NumVgprs: 121
; ScratchSize: 0
; MemoryBound: 0
; FloatMode: 240
; IeeeMode: 1
; LDSByteSize: 3072 bytes/workgroup (compile time only)
; SGPRBlocks: 3
; VGPRBlocks: 15
; NumSGPRsForWavesPerEU: 26
; NumVGPRsForWavesPerEU: 121
; Occupancy: 10
; WaveLimiterHint : 0
; COMPUTE_PGM_RSRC2:SCRATCH_EN: 0
; COMPUTE_PGM_RSRC2:USER_SGPR: 14
; COMPUTE_PGM_RSRC2:TRAP_HANDLER: 0
; COMPUTE_PGM_RSRC2:TGID_X_EN: 1
; COMPUTE_PGM_RSRC2:TGID_Y_EN: 0
; COMPUTE_PGM_RSRC2:TGID_Z_EN: 1
; COMPUTE_PGM_RSRC2:TIDIG_COMP_CNT: 1
	.section	.text._ZN12_GLOBAL__N_120geam_min_plus_kernelIDF16_Dv2_DF16_S1_Li8ELi32ELi64ELi128ELi4ELi4ELi64ELi4ELi64ELc84ELc78ELb1ELb0ELb0EDF16_KDF16_DF16_EEviiiT16_PT17_ilS5_ilS3_S5_ilPT18_ili26rocblas_geam_ex_operation_,"axG",@progbits,_ZN12_GLOBAL__N_120geam_min_plus_kernelIDF16_Dv2_DF16_S1_Li8ELi32ELi64ELi128ELi4ELi4ELi64ELi4ELi64ELc84ELc78ELb1ELb0ELb0EDF16_KDF16_DF16_EEviiiT16_PT17_ilS5_ilS3_S5_ilPT18_ili26rocblas_geam_ex_operation_,comdat
	.globl	_ZN12_GLOBAL__N_120geam_min_plus_kernelIDF16_Dv2_DF16_S1_Li8ELi32ELi64ELi128ELi4ELi4ELi64ELi4ELi64ELc84ELc78ELb1ELb0ELb0EDF16_KDF16_DF16_EEviiiT16_PT17_ilS5_ilS3_S5_ilPT18_ili26rocblas_geam_ex_operation_ ; -- Begin function _ZN12_GLOBAL__N_120geam_min_plus_kernelIDF16_Dv2_DF16_S1_Li8ELi32ELi64ELi128ELi4ELi4ELi64ELi4ELi64ELc84ELc78ELb1ELb0ELb0EDF16_KDF16_DF16_EEviiiT16_PT17_ilS5_ilS3_S5_ilPT18_ili26rocblas_geam_ex_operation_
	.p2align	8
	.type	_ZN12_GLOBAL__N_120geam_min_plus_kernelIDF16_Dv2_DF16_S1_Li8ELi32ELi64ELi128ELi4ELi4ELi64ELi4ELi64ELc84ELc78ELb1ELb0ELb0EDF16_KDF16_DF16_EEviiiT16_PT17_ilS5_ilS3_S5_ilPT18_ili26rocblas_geam_ex_operation_,@function
_ZN12_GLOBAL__N_120geam_min_plus_kernelIDF16_Dv2_DF16_S1_Li8ELi32ELi64ELi128ELi4ELi4ELi64ELi4ELi64ELc84ELc78ELb1ELb0ELb0EDF16_KDF16_DF16_EEviiiT16_PT17_ilS5_ilS3_S5_ilPT18_ili26rocblas_geam_ex_operation_: ; @_ZN12_GLOBAL__N_120geam_min_plus_kernelIDF16_Dv2_DF16_S1_Li8ELi32ELi64ELi128ELi4ELi4ELi64ELi4ELi64ELc84ELc78ELb1ELb0ELb0EDF16_KDF16_DF16_EEviiiT16_PT17_ilS5_ilS3_S5_ilPT18_ili26rocblas_geam_ex_operation_
; %bb.0:
	s_clause 0x1
	s_load_b64 s[8:9], s[0:1], 0x8
	s_load_b128 s[4:7], s[0:1], 0x20
	s_waitcnt lgkmcnt(0)
	v_cmp_eq_f16_e64 s2, s9, 0
	s_delay_alu instid0(VALU_DEP_1)
	s_and_b32 vcc_lo, exec_lo, s2
	s_cbranch_vccnz .LBB289_3
; %bb.1:
	s_load_b64 s[10:11], s[0:1], 0x10
	s_mul_i32 s3, s15, s5
	s_mul_hi_u32 s5, s15, s4
	s_mul_i32 s4, s15, s4
	s_add_i32 s5, s5, s3
	s_delay_alu instid0(SALU_CYCLE_1)
	s_lshl_b64 s[4:5], s[4:5], 1
	s_waitcnt lgkmcnt(0)
	s_add_u32 s12, s10, s4
	s_addc_u32 s13, s11, s5
	s_and_not1_b32 vcc_lo, exec_lo, s2
	s_cbranch_vccnz .LBB289_4
.LBB289_2:
	s_mov_b32 s16, 0
	s_mov_b64 s[10:11], 0
	s_cbranch_execz .LBB289_5
	s_branch .LBB289_6
.LBB289_3:
	s_mov_b64 s[12:13], 0
	s_and_not1_b32 vcc_lo, exec_lo, s2
	s_cbranch_vccz .LBB289_2
.LBB289_4:
	s_mov_b32 s16, -1
                                        ; implicit-def: $sgpr10_sgpr11
.LBB289_5:
	s_load_b64 s[2:3], s[0:1], 0x38
	s_mov_b32 s16, 0
	s_waitcnt lgkmcnt(0)
	s_mul_i32 s3, s15, s3
	s_mul_hi_u32 s4, s15, s2
	s_mul_i32 s2, s15, s2
	s_add_i32 s3, s4, s3
	s_delay_alu instid0(SALU_CYCLE_1) | instskip(NEXT) | instid1(SALU_CYCLE_1)
	s_lshl_b64 s[2:3], s[2:3], 1
	s_add_u32 s10, s6, s2
	s_addc_u32 s11, s7, s3
.LBB289_6:
	s_clause 0x1
	s_load_b32 s9, s[0:1], 0x40
	s_load_b128 s[4:7], s[0:1], 0x58
	s_waitcnt lgkmcnt(0)
	v_cmp_eq_f16_e64 s2, s9, 0
	s_delay_alu instid0(VALU_DEP_1) | instskip(NEXT) | instid1(SALU_CYCLE_1)
	s_and_b32 s2, exec_lo, s2
	s_mov_b32 vcc_lo, s2
	s_cbranch_vccnz .LBB289_8
; %bb.7:
	s_load_b64 s[18:19], s[0:1], 0x48
	s_mul_i32 s3, s15, s5
	s_mul_hi_u32 s5, s15, s4
	s_delay_alu instid0(SALU_CYCLE_1) | instskip(SKIP_3) | instid1(SALU_CYCLE_1)
	s_add_i32 s3, s5, s3
	s_mul_i32 s5, s16, s4
	s_mul_i32 s4, s15, s4
	s_add_i32 s5, s3, s5
	s_lshl_b64 s[4:5], s[4:5], 1
	s_waitcnt lgkmcnt(0)
	s_add_u32 s4, s18, s4
	s_addc_u32 s5, s19, s5
	s_branch .LBB289_9
.LBB289_8:
	s_mov_b64 s[4:5], 0
.LBB289_9:
	s_clause 0x2
	s_load_b32 s3, s[0:1], 0x0
	s_load_b32 s17, s[0:1], 0x18
	s_load_b32 s18, s[0:1], 0x30
	v_bfe_u32 v6, v0, 10, 10
	v_and_b32_e32 v5, 0x3ff, v0
	s_delay_alu instid0(VALU_DEP_2) | instskip(NEXT) | instid1(VALU_DEP_2)
	v_lshlrev_b32_e32 v4, 3, v6
	v_and_b32_e32 v3, 3, v5
	s_delay_alu instid0(VALU_DEP_2) | instskip(NEXT) | instid1(VALU_DEP_2)
	v_add_nc_u32_e32 v0, v4, v5
	v_lshlrev_b32_e32 v8, 1, v3
	s_delay_alu instid0(VALU_DEP_2) | instskip(SKIP_2) | instid1(SALU_CYCLE_1)
	v_lshrrev_b32_e32 v17, 2, v0
	s_waitcnt lgkmcnt(0)
	s_add_i32 s3, s3, -1
	s_ashr_i32 s19, s3, 31
	s_delay_alu instid0(SALU_CYCLE_1) | instskip(NEXT) | instid1(SALU_CYCLE_1)
	s_lshr_b32 s19, s19, 26
	s_add_i32 s3, s3, s19
	s_delay_alu instid0(SALU_CYCLE_1) | instskip(NEXT) | instid1(SALU_CYCLE_1)
	s_ashr_i32 s3, s3, 6
	s_add_i32 s19, s3, 1
	s_not_b32 s3, s3
	v_cvt_f32_u32_e32 v1, s19
	s_delay_alu instid0(VALU_DEP_1) | instskip(SKIP_2) | instid1(VALU_DEP_1)
	v_rcp_iflag_f32_e32 v1, v1
	s_waitcnt_depctr 0xfff
	v_mul_f32_e32 v1, 0x4f7ffffe, v1
	v_cvt_u32_f32_e32 v1, v1
	s_delay_alu instid0(VALU_DEP_1) | instskip(NEXT) | instid1(VALU_DEP_1)
	v_readfirstlane_b32 s20, v1
	s_mul_i32 s3, s3, s20
	s_delay_alu instid0(SALU_CYCLE_1) | instskip(NEXT) | instid1(SALU_CYCLE_1)
	s_mul_hi_u32 s3, s20, s3
	s_add_i32 s20, s20, s3
	s_delay_alu instid0(SALU_CYCLE_1) | instskip(NEXT) | instid1(SALU_CYCLE_1)
	s_mul_hi_u32 s3, s14, s20
	s_mul_i32 s20, s3, s19
	s_add_i32 s21, s3, 1
	s_sub_i32 s20, s14, s20
	s_delay_alu instid0(SALU_CYCLE_1)
	s_sub_i32 s22, s20, s19
	s_cmp_ge_u32 s20, s19
	s_cselect_b32 s3, s21, s3
	s_cselect_b32 s20, s22, s20
	s_add_i32 s21, s3, 1
	s_cmp_ge_u32 s20, s19
	s_cselect_b32 s20, s21, s3
	s_delay_alu instid0(SALU_CYCLE_1) | instskip(NEXT) | instid1(SALU_CYCLE_1)
	s_mul_i32 s3, s20, s19
	s_sub_i32 s3, s14, s3
	s_lshl_b32 s14, s20, 7
	s_lshl_b32 s3, s3, 6
	v_add_nc_u32_e32 v7, s14, v17
	v_add_nc_u32_e32 v2, s3, v17
	s_cmp_lt_i32 s8, 9
	s_delay_alu instid0(VALU_DEP_2) | instskip(NEXT) | instid1(VALU_DEP_2)
	v_add_nc_u32_e32 v11, 64, v7
	v_mad_i64_i32 v[0:1], null, v2, s17, 0
	v_mad_i64_i32 v[2:3], null, v7, s18, 0
	s_delay_alu instid0(VALU_DEP_3) | instskip(SKIP_1) | instid1(VALU_DEP_4)
	v_mad_i64_i32 v[9:10], null, v11, s18, 0
	v_add_co_u32 v7, s17, s10, v8
	v_lshlrev_b64 v[11:12], 1, v[0:1]
	v_add_co_ci_u32_e64 v16, null, s11, 0, s17
	v_lshlrev_b64 v[0:1], 1, v[2:3]
	v_lshlrev_b64 v[2:3], 1, v[9:10]
	s_delay_alu instid0(VALU_DEP_4) | instskip(SKIP_1) | instid1(VALU_DEP_4)
	v_add_co_u32 v9, vcc_lo, s12, v11
	v_add_co_ci_u32_e32 v10, vcc_lo, s13, v12, vcc_lo
	v_add_co_u32 v11, vcc_lo, v7, v0
	v_add_co_ci_u32_e32 v12, vcc_lo, v16, v1, vcc_lo
	s_delay_alu instid0(VALU_DEP_4) | instskip(NEXT) | instid1(VALU_DEP_4)
	v_add_co_u32 v13, vcc_lo, v9, v8
	v_add_co_ci_u32_e32 v14, vcc_lo, 0, v10, vcc_lo
	v_add_co_u32 v15, vcc_lo, v7, v2
	v_add_co_ci_u32_e32 v16, vcc_lo, v16, v3, vcc_lo
	flat_load_u16 v18, v[11:12]
	flat_load_u16 v19, v[13:14]
	s_clause 0x2
	flat_load_u16 v20, v[15:16]
	flat_load_u16 v50, v[15:16] offset:8
	flat_load_u16 v36, v[11:12] offset:8
	;; [unrolled: 1-line block ×3, first 2 shown]
	v_lshlrev_b32_e32 v7, 3, v5
	v_lshl_or_b32 v11, v17, 3, v8
	s_waitcnt vmcnt(5) lgkmcnt(5)
	ds_store_b16 v11, v18
	s_waitcnt vmcnt(4) lgkmcnt(5)
	ds_store_b16 v11, v19 offset:2048
	s_waitcnt vmcnt(3) lgkmcnt(5)
	ds_store_b16 v11, v20 offset:512
	v_add_nc_u32_e32 v32, 0x800, v7
	s_waitcnt vmcnt(0) lgkmcnt(0)
	s_barrier
	buffer_gl0_inv
	ds_load_2addr_b64 v[12:15], v4 offset1:32
	ds_load_2addr_b64 v[16:19], v32 offset0:48 offset1:56
	ds_load_2addr_b64 v[20:23], v4 offset0:64 offset1:96
	ds_load_2addr_b64 v[24:27], v32 offset1:8
	ds_load_2addr_b64 v[28:31], v32 offset0:16 offset1:24
	ds_load_2addr_b64 v[32:35], v32 offset0:32 offset1:40
	ds_store_b16 v11, v36 offset:1024
	ds_store_b16 v11, v52 offset:2560
	;; [unrolled: 1-line block ×3, first 2 shown]
	s_waitcnt lgkmcnt(0)
	s_barrier
	buffer_gl0_inv
	v_pk_max_f16 v12, v12, v12
	v_pk_max_f16 v18, v18, v18
	;; [unrolled: 1-line block ×24, first 2 shown]
	v_pk_min_f16 v36, v18, v12
	v_pk_min_f16 v37, v18, v14
	;; [unrolled: 1-line block ×64, first 2 shown]
	v_pk_add_f16 v23, v36, 0
	v_pk_add_f16 v31, v37, 0
	;; [unrolled: 1-line block ×64, first 2 shown]
	s_cbranch_scc1 .LBB289_12
; %bb.10:
	v_add_co_u32 v2, vcc_lo, s10, v2
	v_add_co_ci_u32_e32 v3, vcc_lo, s11, v3, vcc_lo
	v_add_co_u32 v0, vcc_lo, s10, v0
	v_add_nc_u32_e32 v12, 0x800, v11
	v_add_nc_u32_e32 v13, 0x800, v7
	;; [unrolled: 1-line block ×4, first 2 shown]
	v_lshl_add_u32 v16, v5, 3, 0xa00
	v_lshl_add_u32 v17, v6, 3, 0x400
	v_add_co_ci_u32_e32 v1, vcc_lo, s11, v1, vcc_lo
	s_add_i32 s8, s8, -8
	s_mov_b32 s10, 0
.LBB289_11:                             ; =>This Inner Loop Header: Depth=1
	v_add_co_u32 v18, vcc_lo, v9, v8
	v_add_co_ci_u32_e32 v19, vcc_lo, 0, v10, vcc_lo
	v_add_co_u32 v52, vcc_lo, v0, v8
	v_add_co_ci_u32_e32 v53, vcc_lo, 0, v1, vcc_lo
	;; [unrolled: 2-line block ×3, first 2 shown]
	flat_load_u16 v59, v[18:19] offset:16
	flat_load_u16 v61, v[52:53] offset:16
	v_add_co_u32 v2, vcc_lo, v2, 16
	flat_load_u16 v75, v[56:57] offset:16
	ds_load_2addr_b64 v[21:24], v16 offset0:48 offset1:56
	ds_load_2addr_b64 v[63:66], v17 offset0:64 offset1:96
	ds_load_2addr_b64 v[67:70], v17 offset1:32
	ds_load_2addr_b64 v[71:74], v16 offset1:8
	v_add_co_ci_u32_e32 v3, vcc_lo, 0, v3, vcc_lo
	v_add_co_u32 v0, vcc_lo, v0, 16
	v_add_co_ci_u32_e32 v1, vcc_lo, 0, v1, vcc_lo
	v_add_co_u32 v9, vcc_lo, v9, 16
	v_add_co_ci_u32_e32 v10, vcc_lo, 0, v10, vcc_lo
	s_add_i32 s10, s10, 8
	s_delay_alu instid0(SALU_CYCLE_1)
	s_cmp_ge_i32 s10, s8
	s_waitcnt lgkmcnt(3)
	v_pk_max_f16 v23, v23, v23
	s_waitcnt lgkmcnt(2)
	v_pk_max_f16 v63, v63, v63
	;; [unrolled: 2-line block ×3, first 2 shown]
	v_pk_max_f16 v69, v69, v69
	v_pk_max_f16 v65, v65, v65
	;; [unrolled: 1-line block ×4, first 2 shown]
	v_pk_min_f16 v50, v23, v67
	v_pk_max_f16 v22, v22, v22
	s_delay_alu instid0(VALU_DEP_2) | instskip(SKIP_1) | instid1(VALU_DEP_1)
	v_pk_add_f16 v76, v50, v49
	v_pk_min_f16 v49, v23, v69
	v_pk_add_f16 v41, v49, v41
	v_pk_min_f16 v49, v23, v63
	v_pk_min_f16 v23, v23, v65
	s_delay_alu instid0(VALU_DEP_2) | instskip(SKIP_2) | instid1(VALU_DEP_3)
	v_pk_add_f16 v33, v49, v33
	s_waitcnt lgkmcnt(0)
	v_pk_max_f16 v49, v71, v71
	v_pk_add_f16 v23, v23, v25
	v_pk_max_f16 v25, v68, v68
	s_delay_alu instid0(VALU_DEP_3) | instskip(NEXT) | instid1(VALU_DEP_1)
	v_pk_min_f16 v50, v49, v67
	v_pk_add_f16 v20, v50, v20
	v_pk_min_f16 v50, v49, v69
	s_delay_alu instid0(VALU_DEP_1) | instskip(SKIP_1) | instid1(VALU_DEP_1)
	v_pk_add_f16 v71, v50, v48
	v_pk_min_f16 v48, v49, v63
	v_pk_add_f16 v40, v48, v40
	v_pk_min_f16 v48, v49, v65
	s_delay_alu instid0(VALU_DEP_1) | instskip(SKIP_1) | instid1(VALU_DEP_1)
	v_pk_add_f16 v77, v48, v32
	v_pk_max_f16 v32, v73, v73
	v_pk_min_f16 v48, v32, v67
	s_delay_alu instid0(VALU_DEP_1) | instskip(SKIP_1) | instid1(VALU_DEP_1)
	v_pk_add_f16 v58, v48, v58
	v_pk_min_f16 v48, v32, v69
	v_pk_add_f16 v73, v48, v47
	v_pk_min_f16 v47, v32, v63
	v_pk_min_f16 v32, v32, v65
	s_delay_alu instid0(VALU_DEP_2)
	v_pk_add_f16 v39, v47, v39
	ds_load_2addr_b64 v[47:50], v16 offset0:16 offset1:24
	v_pk_add_f16 v78, v32, v31
	s_waitcnt lgkmcnt(0)
	v_pk_max_f16 v31, v47, v47
	v_pk_max_f16 v48, v48, v48
	v_pk_max_f16 v50, v50, v50
	s_delay_alu instid0(VALU_DEP_3) | instskip(NEXT) | instid1(VALU_DEP_1)
	v_pk_min_f16 v32, v31, v67
	v_pk_add_f16 v47, v32, v60
	v_pk_min_f16 v32, v31, v69
	s_delay_alu instid0(VALU_DEP_1) | instskip(SKIP_2) | instid1(VALU_DEP_2)
	v_pk_add_f16 v46, v32, v46
	v_pk_min_f16 v32, v31, v63
	v_pk_min_f16 v31, v31, v65
	v_pk_add_f16 v38, v32, v38
	s_delay_alu instid0(VALU_DEP_2) | instskip(SKIP_1) | instid1(VALU_DEP_1)
	v_pk_add_f16 v60, v31, v30
	v_pk_max_f16 v30, v49, v49
	v_pk_min_f16 v31, v30, v67
	s_delay_alu instid0(VALU_DEP_1) | instskip(SKIP_1) | instid1(VALU_DEP_1)
	v_pk_add_f16 v49, v31, v62
	v_pk_min_f16 v31, v30, v69
	v_pk_add_f16 v45, v31, v45
	v_pk_min_f16 v31, v30, v63
	v_pk_min_f16 v30, v30, v65
	s_delay_alu instid0(VALU_DEP_2) | instskip(NEXT) | instid1(VALU_DEP_2)
	v_pk_add_f16 v37, v31, v37
	v_pk_add_f16 v62, v30, v29
	ds_load_2addr_b64 v[29:32], v16 offset0:32 offset1:40
	s_waitcnt vmcnt(2)
	ds_store_b16 v12, v59
	s_waitcnt vmcnt(1)
	ds_store_b16 v11, v61
	s_waitcnt vmcnt(0)
	ds_store_b16 v11, v75 offset:512
	s_waitcnt lgkmcnt(3)
	v_pk_max_f16 v29, v29, v29
	v_pk_max_f16 v30, v30, v30
	s_waitcnt lgkmcnt(0)
	s_barrier
	buffer_gl0_inv
	v_pk_min_f16 v79, v29, v67
	flat_load_u16 v59, v[18:19] offset:24
	flat_load_u16 v53, v[52:53] offset:24
	;; [unrolled: 1-line block ×3, first 2 shown]
	v_pk_add_f16 v55, v79, v55
	v_pk_min_f16 v79, v29, v69
	s_delay_alu instid0(VALU_DEP_1) | instskip(SKIP_2) | instid1(VALU_DEP_2)
	v_pk_add_f16 v43, v79, v43
	v_pk_min_f16 v79, v29, v63
	v_pk_min_f16 v29, v29, v65
	v_pk_add_f16 v35, v79, v35
	s_delay_alu instid0(VALU_DEP_2) | instskip(SKIP_1) | instid1(VALU_DEP_1)
	v_pk_add_f16 v27, v29, v27
	v_pk_max_f16 v29, v31, v31
	v_pk_min_f16 v31, v29, v67
	s_delay_alu instid0(VALU_DEP_1) | instskip(SKIP_1) | instid1(VALU_DEP_1)
	v_pk_add_f16 v31, v31, v51
	v_pk_min_f16 v51, v29, v69
	v_pk_add_f16 v42, v51, v42
	v_pk_min_f16 v51, v29, v63
	v_pk_min_f16 v29, v29, v65
	s_delay_alu instid0(VALU_DEP_2) | instskip(SKIP_1) | instid1(VALU_DEP_3)
	v_pk_add_f16 v34, v51, v34
	v_pk_min_f16 v51, v21, v69
	v_pk_add_f16 v26, v29, v26
	v_pk_min_f16 v29, v21, v67
	s_delay_alu instid0(VALU_DEP_3) | instskip(SKIP_2) | instid1(VALU_DEP_4)
	v_pk_add_f16 v44, v51, v44
	v_pk_min_f16 v51, v21, v63
	v_pk_min_f16 v21, v21, v65
	v_pk_add_f16 v29, v29, v54
	s_delay_alu instid0(VALU_DEP_3) | instskip(NEXT) | instid1(VALU_DEP_3)
	v_pk_add_f16 v36, v51, v36
	v_pk_add_f16 v21, v21, v28
	v_pk_min_f16 v28, v24, v25
	s_delay_alu instid0(VALU_DEP_1) | instskip(SKIP_1) | instid1(VALU_DEP_1)
	v_pk_add_f16 v51, v28, v76
	v_pk_max_f16 v28, v70, v70
	v_pk_min_f16 v54, v24, v28
	s_delay_alu instid0(VALU_DEP_1) | instskip(SKIP_1) | instid1(VALU_DEP_1)
	v_pk_add_f16 v41, v54, v41
	v_pk_max_f16 v54, v64, v64
	;; [unrolled: 4-line block ×3, first 2 shown]
	v_pk_min_f16 v64, v63, v25
	s_delay_alu instid0(VALU_DEP_1) | instskip(SKIP_1) | instid1(VALU_DEP_1)
	v_pk_add_f16 v64, v64, v20
	v_pk_min_f16 v20, v63, v28
	v_pk_add_f16 v65, v20, v71
	v_pk_min_f16 v20, v63, v54
	s_delay_alu instid0(VALU_DEP_1) | instskip(SKIP_2) | instid1(VALU_DEP_2)
	v_pk_add_f16 v40, v20, v40
	v_pk_max_f16 v20, v66, v66
	v_pk_max_f16 v66, v74, v74
	v_pk_min_f16 v63, v63, v20
	s_delay_alu instid0(VALU_DEP_2) | instskip(SKIP_1) | instid1(VALU_DEP_3)
	v_pk_min_f16 v68, v66, v54
	v_pk_min_f16 v67, v66, v25
	v_pk_add_f16 v63, v63, v77
	s_delay_alu instid0(VALU_DEP_3) | instskip(SKIP_1) | instid1(VALU_DEP_4)
	v_pk_add_f16 v39, v68, v39
	v_pk_min_f16 v68, v48, v25
	v_pk_add_f16 v58, v67, v58
	v_pk_min_f16 v67, v66, v28
	v_pk_min_f16 v66, v66, v20
	s_delay_alu instid0(VALU_DEP_4) | instskip(SKIP_1) | instid1(VALU_DEP_4)
	v_pk_add_f16 v47, v68, v47
	v_pk_min_f16 v68, v48, v28
	v_pk_add_f16 v67, v67, v73
	s_delay_alu instid0(VALU_DEP_4) | instskip(NEXT) | instid1(VALU_DEP_3)
	v_pk_add_f16 v66, v66, v78
	v_pk_add_f16 v46, v68, v46
	v_pk_min_f16 v68, v48, v54
	v_pk_min_f16 v48, v48, v20
	s_delay_alu instid0(VALU_DEP_2) | instskip(NEXT) | instid1(VALU_DEP_2)
	v_pk_add_f16 v38, v68, v38
	v_pk_add_f16 v48, v48, v60
	v_pk_min_f16 v60, v50, v25
	s_delay_alu instid0(VALU_DEP_1) | instskip(SKIP_1) | instid1(VALU_DEP_1)
	v_pk_add_f16 v49, v60, v49
	v_pk_min_f16 v60, v50, v28
	v_pk_add_f16 v45, v60, v45
	v_pk_min_f16 v60, v50, v54
	v_pk_min_f16 v50, v50, v20
	s_delay_alu instid0(VALU_DEP_2) | instskip(SKIP_1) | instid1(VALU_DEP_3)
	v_pk_add_f16 v37, v60, v37
	v_pk_min_f16 v60, v30, v25
	v_pk_add_f16 v50, v50, v62
	s_delay_alu instid0(VALU_DEP_2) | instskip(SKIP_1) | instid1(VALU_DEP_1)
	v_pk_add_f16 v55, v60, v55
	v_pk_min_f16 v60, v30, v28
	v_pk_add_f16 v60, v60, v43
	v_pk_min_f16 v43, v30, v54
	v_pk_min_f16 v30, v30, v20
	s_delay_alu instid0(VALU_DEP_2) | instskip(NEXT) | instid1(VALU_DEP_2)
	v_pk_add_f16 v35, v43, v35
	v_pk_add_f16 v30, v30, v27
	v_pk_max_f16 v27, v32, v32
	s_delay_alu instid0(VALU_DEP_1) | instskip(SKIP_1) | instid1(VALU_DEP_2)
	v_pk_min_f16 v32, v27, v25
	v_pk_min_f16 v25, v22, v25
	v_pk_add_f16 v62, v32, v31
	v_pk_min_f16 v31, v27, v28
	s_delay_alu instid0(VALU_DEP_3) | instskip(SKIP_1) | instid1(VALU_DEP_3)
	v_pk_add_f16 v71, v25, v29
	v_pk_min_f16 v25, v22, v28
	v_pk_add_f16 v68, v31, v42
	v_pk_min_f16 v31, v27, v54
	v_pk_min_f16 v27, v27, v20
	s_delay_alu instid0(VALU_DEP_4)
	v_pk_add_f16 v72, v25, v44
	v_pk_min_f16 v25, v22, v54
	v_pk_min_f16 v22, v22, v20
	;; [unrolled: 1-line block ×3, first 2 shown]
	v_pk_add_f16 v70, v27, v26
	v_pk_add_f16 v69, v31, v34
	;; [unrolled: 1-line block ×5, first 2 shown]
	ds_load_2addr_b64 v[18:21], v13 offset0:48 offset1:56
	ds_load_2addr_b64 v[22:25], v4 offset0:64 offset1:96
	ds_load_2addr_b64 v[26:29], v4 offset1:32
	s_waitcnt lgkmcnt(2)
	v_pk_max_f16 v20, v20, v20
	s_waitcnt lgkmcnt(1)
	v_pk_max_f16 v22, v22, v22
	;; [unrolled: 2-line block ×3, first 2 shown]
	v_pk_max_f16 v28, v28, v28
	v_pk_max_f16 v24, v24, v24
	;; [unrolled: 1-line block ×4, first 2 shown]
	v_pk_min_f16 v31, v20, v26
	v_pk_max_f16 v23, v23, v23
	v_pk_max_f16 v25, v25, v25
	;; [unrolled: 1-line block ×3, first 2 shown]
	s_delay_alu instid0(VALU_DEP_4) | instskip(SKIP_1) | instid1(VALU_DEP_1)
	v_pk_add_f16 v57, v31, v51
	v_pk_min_f16 v31, v20, v28
	v_pk_add_f16 v61, v31, v41
	v_pk_min_f16 v31, v20, v22
	v_pk_min_f16 v20, v20, v24
	s_delay_alu instid0(VALU_DEP_2) | instskip(SKIP_4) | instid1(VALU_DEP_2)
	v_pk_add_f16 v74, v31, v33
	ds_load_2addr_b64 v[31:34], v13 offset1:8
	s_waitcnt lgkmcnt(0)
	v_pk_max_f16 v31, v31, v31
	v_pk_max_f16 v33, v33, v33
	v_pk_min_f16 v41, v31, v26
	s_delay_alu instid0(VALU_DEP_1) | instskip(SKIP_1) | instid1(VALU_DEP_1)
	v_pk_add_f16 v64, v41, v64
	v_pk_min_f16 v41, v31, v28
	v_pk_add_f16 v65, v41, v65
	v_pk_min_f16 v41, v31, v22
	v_pk_min_f16 v31, v31, v24
	s_delay_alu instid0(VALU_DEP_2) | instskip(SKIP_1) | instid1(VALU_DEP_3)
	v_pk_add_f16 v40, v41, v40
	v_pk_min_f16 v41, v33, v26
	v_pk_add_f16 v31, v31, v63
	s_delay_alu instid0(VALU_DEP_2) | instskip(SKIP_1) | instid1(VALU_DEP_1)
	v_pk_add_f16 v58, v41, v58
	v_pk_min_f16 v41, v33, v28
	v_pk_add_f16 v63, v41, v67
	v_pk_min_f16 v41, v33, v22
	v_pk_min_f16 v33, v33, v24
	s_delay_alu instid0(VALU_DEP_2) | instskip(SKIP_4) | instid1(VALU_DEP_1)
	v_pk_add_f16 v39, v41, v39
	ds_load_2addr_b64 v[41:44], v13 offset0:16 offset1:24
	v_pk_add_f16 v66, v33, v66
	s_waitcnt lgkmcnt(0)
	v_pk_max_f16 v33, v41, v41
	v_pk_min_f16 v41, v33, v26
	s_delay_alu instid0(VALU_DEP_1) | instskip(SKIP_1) | instid1(VALU_DEP_1)
	v_pk_add_f16 v67, v41, v47
	v_pk_min_f16 v41, v33, v28
	v_pk_add_f16 v46, v41, v46
	v_pk_min_f16 v41, v33, v22
	v_pk_min_f16 v33, v33, v24
	s_delay_alu instid0(VALU_DEP_2) | instskip(NEXT) | instid1(VALU_DEP_2)
	v_pk_add_f16 v38, v41, v38
	v_pk_add_f16 v75, v33, v48
	v_pk_max_f16 v33, v43, v43
	s_delay_alu instid0(VALU_DEP_1) | instskip(NEXT) | instid1(VALU_DEP_1)
	v_pk_min_f16 v41, v33, v26
	v_pk_add_f16 v43, v41, v49
	v_pk_min_f16 v41, v33, v28
	s_delay_alu instid0(VALU_DEP_1) | instskip(SKIP_2) | instid1(VALU_DEP_2)
	v_pk_add_f16 v45, v41, v45
	v_pk_min_f16 v41, v33, v22
	v_pk_min_f16 v33, v33, v24
	v_pk_add_f16 v37, v41, v37
	s_delay_alu instid0(VALU_DEP_2)
	v_pk_add_f16 v76, v33, v50
	ds_load_2addr_b64 v[49:52], v13 offset0:32 offset1:40
	s_waitcnt vmcnt(2)
	ds_store_b16 v14, v59
	s_waitcnt vmcnt(1)
	ds_store_b16 v15, v53
	s_waitcnt vmcnt(0)
	ds_store_b16 v15, v56 offset:512
	s_waitcnt lgkmcnt(0)
	s_barrier
	buffer_gl0_inv
	v_pk_max_f16 v33, v49, v49
	s_delay_alu instid0(VALU_DEP_1) | instskip(NEXT) | instid1(VALU_DEP_1)
	v_pk_min_f16 v41, v33, v26
	v_pk_add_f16 v55, v41, v55
	v_pk_min_f16 v41, v33, v28
	s_delay_alu instid0(VALU_DEP_1) | instskip(SKIP_2) | instid1(VALU_DEP_2)
	v_pk_add_f16 v77, v41, v60
	v_pk_min_f16 v41, v33, v22
	v_pk_min_f16 v33, v33, v24
	v_pk_add_f16 v35, v41, v35
	s_delay_alu instid0(VALU_DEP_2) | instskip(SKIP_1) | instid1(VALU_DEP_1)
	v_pk_add_f16 v78, v33, v30
	v_pk_max_f16 v30, v51, v51
	v_pk_min_f16 v33, v30, v26
	v_pk_min_f16 v26, v18, v26
	s_delay_alu instid0(VALU_DEP_2) | instskip(SKIP_1) | instid1(VALU_DEP_3)
	v_pk_add_f16 v51, v33, v62
	v_pk_min_f16 v33, v30, v28
	v_pk_add_f16 v71, v26, v71
	v_pk_min_f16 v26, v18, v28
	s_delay_alu instid0(VALU_DEP_3)
	v_pk_add_f16 v68, v33, v68
	v_pk_min_f16 v33, v30, v22
	v_pk_min_f16 v22, v18, v22
	;; [unrolled: 1-line block ×4, first 2 shown]
	v_pk_add_f16 v24, v20, v73
	v_pk_add_f16 v28, v26, v72
	;; [unrolled: 1-line block ×3, first 2 shown]
	v_pk_max_f16 v36, v27, v27
	v_pk_max_f16 v26, v32, v32
	v_pk_add_f16 v69, v33, v69
	v_pk_add_f16 v70, v30, v70
	;; [unrolled: 1-line block ×3, first 2 shown]
	v_pk_min_f16 v20, v21, v36
	s_delay_alu instid0(VALU_DEP_1) | instskip(SKIP_1) | instid1(VALU_DEP_1)
	v_pk_add_f16 v49, v20, v57
	v_pk_max_f16 v57, v29, v29
	v_pk_min_f16 v20, v21, v57
	v_pk_min_f16 v27, v26, v57
	s_delay_alu instid0(VALU_DEP_2) | instskip(SKIP_1) | instid1(VALU_DEP_3)
	v_pk_add_f16 v41, v20, v61
	v_pk_min_f16 v20, v21, v23
	v_pk_add_f16 v48, v27, v65
	v_pk_min_f16 v27, v26, v23
	s_delay_alu instid0(VALU_DEP_3) | instskip(SKIP_2) | instid1(VALU_DEP_4)
	v_pk_add_f16 v33, v20, v74
	v_pk_min_f16 v20, v26, v36
	v_pk_min_f16 v26, v26, v25
	v_pk_add_f16 v40, v27, v40
	s_delay_alu instid0(VALU_DEP_3) | instskip(NEXT) | instid1(VALU_DEP_3)
	v_pk_add_f16 v20, v20, v64
	v_pk_add_f16 v32, v26, v31
	v_pk_max_f16 v26, v34, v34
	s_delay_alu instid0(VALU_DEP_1) | instskip(NEXT) | instid1(VALU_DEP_1)
	v_pk_min_f16 v27, v26, v36
	v_pk_add_f16 v58, v27, v58
	v_pk_min_f16 v27, v26, v57
	s_delay_alu instid0(VALU_DEP_1) | instskip(SKIP_2) | instid1(VALU_DEP_2)
	v_pk_add_f16 v47, v27, v63
	v_pk_min_f16 v27, v26, v23
	v_pk_min_f16 v26, v26, v25
	v_pk_add_f16 v39, v27, v39
	s_delay_alu instid0(VALU_DEP_2) | instskip(SKIP_1) | instid1(VALU_DEP_1)
	v_pk_add_f16 v31, v26, v66
	v_pk_max_f16 v26, v42, v42
	v_pk_min_f16 v27, v26, v36
	s_delay_alu instid0(VALU_DEP_1) | instskip(SKIP_1) | instid1(VALU_DEP_1)
	v_pk_add_f16 v60, v27, v67
	v_pk_min_f16 v27, v26, v57
	v_pk_add_f16 v46, v27, v46
	v_pk_min_f16 v27, v26, v23
	v_pk_min_f16 v26, v26, v25
	s_delay_alu instid0(VALU_DEP_2) | instskip(NEXT) | instid1(VALU_DEP_2)
	v_pk_add_f16 v38, v27, v38
	v_pk_add_f16 v30, v26, v75
	v_pk_max_f16 v26, v44, v44
	s_delay_alu instid0(VALU_DEP_1) | instskip(NEXT) | instid1(VALU_DEP_1)
	v_pk_min_f16 v27, v26, v36
	v_pk_add_f16 v62, v27, v43
	v_pk_min_f16 v27, v26, v57
	s_delay_alu instid0(VALU_DEP_1) | instskip(SKIP_2) | instid1(VALU_DEP_2)
	v_pk_add_f16 v45, v27, v45
	v_pk_min_f16 v27, v26, v23
	v_pk_min_f16 v26, v26, v25
	v_pk_add_f16 v37, v27, v37
	s_delay_alu instid0(VALU_DEP_2) | instskip(SKIP_1) | instid1(VALU_DEP_1)
	v_pk_add_f16 v29, v26, v76
	v_pk_max_f16 v26, v50, v50
	v_pk_min_f16 v27, v26, v36
	s_delay_alu instid0(VALU_DEP_1) | instskip(SKIP_1) | instid1(VALU_DEP_1)
	v_pk_add_f16 v55, v27, v55
	v_pk_min_f16 v27, v26, v57
	v_pk_add_f16 v43, v27, v77
	v_pk_min_f16 v27, v26, v23
	v_pk_min_f16 v26, v26, v25
	s_delay_alu instid0(VALU_DEP_2) | instskip(NEXT) | instid1(VALU_DEP_2)
	v_pk_add_f16 v35, v27, v35
	v_pk_add_f16 v27, v26, v78
	v_pk_max_f16 v26, v52, v52
	s_delay_alu instid0(VALU_DEP_1) | instskip(SKIP_1) | instid1(VALU_DEP_2)
	v_pk_min_f16 v34, v26, v36
	v_pk_min_f16 v36, v19, v36
	v_pk_add_f16 v51, v34, v51
	v_pk_min_f16 v34, v26, v57
	s_delay_alu instid0(VALU_DEP_3) | instskip(SKIP_1) | instid1(VALU_DEP_3)
	v_pk_add_f16 v54, v36, v71
	v_pk_min_f16 v36, v19, v57
	v_pk_add_f16 v42, v34, v68
	v_pk_min_f16 v34, v26, v23
	v_pk_min_f16 v23, v19, v23
	;; [unrolled: 1-line block ×4, first 2 shown]
	v_pk_add_f16 v44, v36, v28
	v_pk_add_f16 v34, v34, v69
	;; [unrolled: 1-line block ×4, first 2 shown]
	v_pk_min_f16 v18, v21, v25
	v_pk_add_f16 v26, v26, v70
	s_delay_alu instid0(VALU_DEP_2)
	v_pk_add_f16 v25, v18, v24
	s_cbranch_scc0 .LBB289_11
.LBB289_12:
	s_load_b32 s8, s[0:1], 0x50
	v_dual_mov_b32 v59, 0 :: v_dual_add_nc_u32 v50, s14, v6
	ds_load_b64 v[0:1], v4 offset:1024
	ds_load_b64 v[2:3], v7 offset:2560
	v_dual_mov_b32 v21, 0 :: v_dual_add_nc_u32 v22, s3, v5
	v_cmp_neq_f16_e64 s10, s9, 0
	s_delay_alu instid0(VALU_DEP_2) | instskip(NEXT) | instid1(VALU_DEP_2)
	v_ashrrev_i32_e32 v23, 31, v22
	s_and_b32 vcc_lo, exec_lo, s10
	s_delay_alu instid0(VALU_DEP_1) | instskip(SKIP_2) | instid1(VALU_DEP_1)
	v_lshlrev_b64 v[16:17], 1, v[22:23]
	s_waitcnt lgkmcnt(0)
	v_mad_i64_i32 v[8:9], null, v50, s8, 0
	v_lshlrev_b64 v[5:6], 1, v[8:9]
	s_delay_alu instid0(VALU_DEP_1) | instskip(NEXT) | instid1(VALU_DEP_1)
	v_add_co_u32 v66, s3, s4, v5
	v_add_co_ci_u32_e64 v67, s3, s5, v6, s3
	s_cbranch_vccz .LBB289_14
; %bb.13:
	s_delay_alu instid0(VALU_DEP_2) | instskip(NEXT) | instid1(VALU_DEP_2)
	v_add_co_u32 v5, vcc_lo, v66, v16
	v_add_co_ci_u32_e32 v6, vcc_lo, v67, v17, vcc_lo
	flat_load_u16 v5, v[5:6]
	s_waitcnt vmcnt(0) lgkmcnt(0)
	v_mul_f16_e32 v21, s9, v5
.LBB289_14:
	s_clause 0x1
	s_load_b64 s[12:13], s[0:1], 0x70
	s_load_b32 s1, s[0:1], 0x68
	v_pk_max_f16 v69, v0, v0
	v_pk_max_f16 v52, v2, v2
	;; [unrolled: 1-line block ×4, first 2 shown]
	ds_load_b64 v[23:24], v7 offset:3008
	ds_load_b64 v[18:19], v4 offset:1792
	v_add_nc_u32_e32 v5, 0x800, v7
	v_pk_min_f16 v0, v52, v69
	v_add_nc_u32_e32 v56, 8, v22
	v_pk_min_f16 v6, v53, v68
	s_delay_alu instid0(VALU_DEP_3)
	v_pk_add_f16 v7, v0, v20
	ds_load_2addr_b64 v[0:3], v4 offset0:160 offset1:192
	ds_load_2addr_b64 v[12:15], v5 offset0:72 offset1:80
	;; [unrolled: 1-line block ×3, first 2 shown]
	v_ashrrev_i32_e32 v57, 31, v56
	v_pk_add_f16 v20, v6, v7
	ds_load_2addr_b64 v[4:7], v5 offset0:104 offset1:112
	s_waitcnt lgkmcnt(0)
	s_mul_i32 s0, s15, s13
	v_mad_i64_i32 v[63:64], null, v50, s1, 0
	s_mul_hi_u32 s3, s15, s12
	s_mul_i32 s11, s16, s12
	s_add_i32 s0, s3, s0
	s_mul_i32 s12, s15, s12
	s_add_i32 s13, s0, s11
	v_lshrrev_b32_e32 v61, 16, v20
	s_delay_alu instid0(VALU_DEP_2) | instskip(SKIP_1) | instid1(SALU_CYCLE_1)
	v_lshlrev_b64 v[63:64], 1, v[63:64]
	s_lshl_b64 s[12:13], s[12:13], 1
	s_add_u32 s3, s6, s12
	s_addc_u32 s6, s7, s13
	v_add_f16_e32 v20, v20, v61
	s_delay_alu instid0(VALU_DEP_2) | instskip(SKIP_2) | instid1(VALU_DEP_3)
	v_add_co_u32 v70, vcc_lo, s3, v63
	v_cndmask_b32_e64 v61, 0, 1, s10
	v_add_co_ci_u32_e32 v71, vcc_lo, s6, v64, vcc_lo
	v_add_co_u32 v63, vcc_lo, v70, v16
	v_add_f16_e32 v65, v20, v21
	v_lshlrev_b64 v[20:21], 1, v[56:57]
	v_cmp_ne_u32_e64 s0, 1, v61
	v_add_co_ci_u32_e32 v64, vcc_lo, v71, v17, vcc_lo
	s_and_not1_b32 vcc_lo, exec_lo, s10
	global_store_b16 v[63:64], v65, off
	s_cbranch_vccnz .LBB289_16
; %bb.15:
	v_add_co_u32 v56, vcc_lo, v66, v20
	v_add_co_ci_u32_e32 v57, vcc_lo, v67, v21, vcc_lo
	flat_load_u16 v56, v[56:57]
	s_waitcnt vmcnt(0) lgkmcnt(0)
	v_mul_f16_e32 v59, s9, v56
.LBB289_16:
	v_pk_max_f16 v56, v12, v12
	v_pk_max_f16 v57, v13, v13
	v_add_co_u32 v64, vcc_lo, v70, v20
	v_add_co_ci_u32_e32 v65, vcc_lo, v71, v21, vcc_lo
	s_delay_alu instid0(VALU_DEP_4) | instskip(NEXT) | instid1(VALU_DEP_4)
	v_pk_min_f16 v12, v56, v69
	v_pk_min_f16 v13, v57, v68
	s_and_b32 vcc_lo, exec_lo, s0
	v_mov_b32_e32 v63, 0
	s_delay_alu instid0(VALU_DEP_3) | instskip(NEXT) | instid1(VALU_DEP_1)
	v_pk_add_f16 v12, v12, v58
	v_pk_add_f16 v58, v13, v12
	v_add_nc_u32_e32 v12, 16, v22
	s_delay_alu instid0(VALU_DEP_2) | instskip(NEXT) | instid1(VALU_DEP_2)
	v_lshrrev_b32_e32 v61, 16, v58
	v_ashrrev_i32_e32 v13, 31, v12
	s_delay_alu instid0(VALU_DEP_2) | instskip(NEXT) | instid1(VALU_DEP_2)
	v_add_f16_e32 v58, v58, v61
	v_lshlrev_b64 v[12:13], 1, v[12:13]
	v_mov_b32_e32 v61, 0
	s_delay_alu instid0(VALU_DEP_3)
	v_add_f16_e32 v58, v58, v59
	global_store_b16 v[64:65], v58, off
	s_cbranch_vccnz .LBB289_18
; %bb.17:
	v_add_co_u32 v58, vcc_lo, v66, v12
	v_add_co_ci_u32_e32 v59, vcc_lo, v67, v13, vcc_lo
	flat_load_u16 v58, v[58:59]
	s_waitcnt vmcnt(0) lgkmcnt(0)
	v_mul_f16_e32 v61, s9, v58
.LBB289_18:
	v_pk_max_f16 v58, v14, v14
	v_pk_max_f16 v59, v15, v15
	s_delay_alu instid0(VALU_DEP_2) | instskip(NEXT) | instid1(VALU_DEP_2)
	v_pk_min_f16 v14, v58, v69
	v_pk_min_f16 v15, v59, v68
	s_delay_alu instid0(VALU_DEP_2) | instskip(NEXT) | instid1(VALU_DEP_1)
	v_pk_add_f16 v14, v14, v60
	v_pk_add_f16 v60, v15, v14
	v_add_nc_u32_e32 v14, 24, v22
	s_delay_alu instid0(VALU_DEP_2) | instskip(NEXT) | instid1(VALU_DEP_2)
	v_lshrrev_b32_e32 v64, 16, v60
	v_ashrrev_i32_e32 v15, 31, v14
	s_delay_alu instid0(VALU_DEP_2) | instskip(SKIP_1) | instid1(VALU_DEP_3)
	v_add_f16_e32 v60, v60, v64
	v_add_co_u32 v64, vcc_lo, v70, v12
	v_lshlrev_b64 v[14:15], 1, v[14:15]
	v_add_co_ci_u32_e32 v65, vcc_lo, v71, v13, vcc_lo
	s_delay_alu instid0(VALU_DEP_4)
	v_add_f16_e32 v60, v60, v61
	s_and_b32 vcc_lo, exec_lo, s0
	global_store_b16 v[64:65], v60, off
	s_cbranch_vccnz .LBB289_20
; %bb.19:
	v_add_co_u32 v60, vcc_lo, v66, v14
	v_add_co_ci_u32_e32 v61, vcc_lo, v67, v15, vcc_lo
	flat_load_u16 v60, v[60:61]
	s_waitcnt vmcnt(0) lgkmcnt(0)
	v_mul_f16_e32 v63, s9, v60
.LBB289_20:
	v_pk_max_f16 v60, v8, v8
	v_pk_max_f16 v61, v9, v9
	v_add_co_u32 v72, vcc_lo, v70, v14
	v_add_co_ci_u32_e32 v73, vcc_lo, v71, v15, vcc_lo
	s_delay_alu instid0(VALU_DEP_4) | instskip(NEXT) | instid1(VALU_DEP_4)
	v_pk_min_f16 v8, v60, v69
	v_pk_min_f16 v9, v61, v68
	s_and_b32 vcc_lo, exec_lo, s0
	v_mov_b32_e32 v65, 0
	s_delay_alu instid0(VALU_DEP_3) | instskip(NEXT) | instid1(VALU_DEP_1)
	v_pk_add_f16 v8, v8, v62
	v_pk_add_f16 v62, v9, v8
	v_add_nc_u32_e32 v8, 32, v22
	s_delay_alu instid0(VALU_DEP_2) | instskip(NEXT) | instid1(VALU_DEP_2)
	v_lshrrev_b32_e32 v64, 16, v62
	v_ashrrev_i32_e32 v9, 31, v8
	s_delay_alu instid0(VALU_DEP_2) | instskip(NEXT) | instid1(VALU_DEP_2)
	v_add_f16_e32 v62, v62, v64
	v_lshlrev_b64 v[8:9], 1, v[8:9]
	v_mov_b32_e32 v64, 0
	s_delay_alu instid0(VALU_DEP_3)
	v_add_f16_e32 v62, v62, v63
	global_store_b16 v[72:73], v62, off
	s_cbranch_vccnz .LBB289_22
; %bb.21:
	v_add_co_u32 v62, vcc_lo, v66, v8
	v_add_co_ci_u32_e32 v63, vcc_lo, v67, v9, vcc_lo
	flat_load_u16 v62, v[62:63]
	s_waitcnt vmcnt(0) lgkmcnt(0)
	v_mul_f16_e32 v64, s9, v62
.LBB289_22:
	v_pk_max_f16 v62, v10, v10
	v_pk_max_f16 v63, v11, v11
	s_delay_alu instid0(VALU_DEP_2) | instskip(NEXT) | instid1(VALU_DEP_2)
	v_pk_min_f16 v10, v62, v69
	v_pk_min_f16 v11, v63, v68
	s_delay_alu instid0(VALU_DEP_2) | instskip(NEXT) | instid1(VALU_DEP_1)
	v_pk_add_f16 v10, v10, v55
	v_pk_add_f16 v55, v11, v10
	v_add_nc_u32_e32 v10, 40, v22
	s_delay_alu instid0(VALU_DEP_2) | instskip(NEXT) | instid1(VALU_DEP_2)
	v_lshrrev_b32_e32 v72, 16, v55
	v_ashrrev_i32_e32 v11, 31, v10
	s_delay_alu instid0(VALU_DEP_2) | instskip(SKIP_1) | instid1(VALU_DEP_3)
	v_add_f16_e32 v55, v55, v72
	v_add_co_u32 v72, vcc_lo, v70, v8
	v_lshlrev_b64 v[10:11], 1, v[10:11]
	v_add_co_ci_u32_e32 v73, vcc_lo, v71, v9, vcc_lo
	s_delay_alu instid0(VALU_DEP_4)
	v_add_f16_e32 v55, v55, v64
	s_and_b32 vcc_lo, exec_lo, s0
	global_store_b16 v[72:73], v55, off
	s_cbranch_vccnz .LBB289_24
; %bb.23:
	v_add_co_u32 v64, vcc_lo, v66, v10
	v_add_co_ci_u32_e32 v65, vcc_lo, v67, v11, vcc_lo
	flat_load_u16 v55, v[64:65]
	s_waitcnt vmcnt(0) lgkmcnt(0)
	v_mul_f16_e32 v65, s9, v55
.LBB289_24:
	v_pk_max_f16 v55, v4, v4
	v_pk_max_f16 v64, v5, v5
	v_add_co_u32 v74, vcc_lo, v70, v10
	v_add_co_ci_u32_e32 v75, vcc_lo, v71, v11, vcc_lo
	s_delay_alu instid0(VALU_DEP_4) | instskip(NEXT) | instid1(VALU_DEP_4)
	v_pk_min_f16 v4, v55, v69
	v_pk_min_f16 v5, v64, v68
	s_and_b32 vcc_lo, exec_lo, s0
	v_mov_b32_e32 v73, 0
	s_delay_alu instid0(VALU_DEP_3) | instskip(NEXT) | instid1(VALU_DEP_1)
	v_pk_add_f16 v4, v4, v51
	v_pk_add_f16 v51, v5, v4
	v_add_nc_u32_e32 v4, 48, v22
	s_delay_alu instid0(VALU_DEP_2) | instskip(NEXT) | instid1(VALU_DEP_2)
	v_lshrrev_b32_e32 v72, 16, v51
	v_ashrrev_i32_e32 v5, 31, v4
	s_delay_alu instid0(VALU_DEP_2) | instskip(NEXT) | instid1(VALU_DEP_2)
	v_add_f16_e32 v51, v51, v72
	v_lshlrev_b64 v[4:5], 1, v[4:5]
	v_mov_b32_e32 v72, 0
	s_delay_alu instid0(VALU_DEP_3)
	v_add_f16_e32 v51, v51, v65
	global_store_b16 v[74:75], v51, off
	s_cbranch_vccnz .LBB289_26
; %bb.25:
	v_add_co_u32 v73, vcc_lo, v66, v4
	v_add_co_ci_u32_e32 v74, vcc_lo, v67, v5, vcc_lo
	flat_load_u16 v51, v[73:74]
	s_waitcnt vmcnt(0) lgkmcnt(0)
	v_mul_f16_e32 v73, s9, v51
.LBB289_26:
	v_pk_max_f16 v51, v6, v6
	v_pk_max_f16 v65, v7, v7
	v_add_co_u32 v74, vcc_lo, v70, v4
	v_add_co_ci_u32_e32 v75, vcc_lo, v71, v5, vcc_lo
	s_delay_alu instid0(VALU_DEP_4) | instskip(NEXT) | instid1(VALU_DEP_4)
	v_pk_min_f16 v6, v51, v69
	v_pk_min_f16 v7, v65, v68
	s_and_b32 vcc_lo, exec_lo, s0
	s_delay_alu instid0(VALU_DEP_2) | instskip(NEXT) | instid1(VALU_DEP_1)
	v_pk_add_f16 v6, v6, v54
	v_pk_add_f16 v54, v7, v6
	v_add_nc_u32_e32 v6, 56, v22
	s_delay_alu instid0(VALU_DEP_2) | instskip(NEXT) | instid1(VALU_DEP_2)
	v_lshrrev_b32_e32 v22, 16, v54
	v_ashrrev_i32_e32 v7, 31, v6
	s_delay_alu instid0(VALU_DEP_2) | instskip(NEXT) | instid1(VALU_DEP_2)
	v_add_f16_e32 v22, v54, v22
	v_lshlrev_b64 v[6:7], 1, v[6:7]
	s_delay_alu instid0(VALU_DEP_2)
	v_add_f16_e32 v22, v22, v73
	global_store_b16 v[74:75], v22, off
	s_cbranch_vccnz .LBB289_28
; %bb.27:
	v_add_co_u32 v66, vcc_lo, v66, v6
	v_add_co_ci_u32_e32 v67, vcc_lo, v67, v7, vcc_lo
	flat_load_u16 v22, v[66:67]
	s_waitcnt vmcnt(0) lgkmcnt(0)
	v_mul_f16_e32 v72, s9, v22
.LBB289_28:
	v_pk_max_f16 v22, v23, v23
	v_pk_max_f16 v23, v24, v24
	v_dual_mov_b32 v66, 0 :: v_dual_add_nc_u32 v67, 32, v50
	v_add_co_u32 v70, vcc_lo, v70, v6
	s_delay_alu instid0(VALU_DEP_4) | instskip(NEXT) | instid1(VALU_DEP_4)
	v_pk_min_f16 v24, v22, v69
	v_pk_min_f16 v54, v23, v68
	s_delay_alu instid0(VALU_DEP_4) | instskip(SKIP_1) | instid1(VALU_DEP_4)
	v_mad_i64_i32 v[68:69], null, v67, s8, 0
	v_add_co_ci_u32_e32 v71, vcc_lo, v71, v7, vcc_lo
	v_pk_add_f16 v24, v24, v49
	s_delay_alu instid0(VALU_DEP_3) | instskip(NEXT) | instid1(VALU_DEP_2)
	v_lshlrev_b64 v[68:69], 1, v[68:69]
	v_pk_add_f16 v24, v54, v24
	s_delay_alu instid0(VALU_DEP_1) | instskip(NEXT) | instid1(VALU_DEP_1)
	v_lshrrev_b32_e32 v49, 16, v24
	v_add_f16_e32 v54, v24, v49
	s_delay_alu instid0(VALU_DEP_4) | instskip(SKIP_1) | instid1(VALU_DEP_3)
	v_add_co_u32 v24, vcc_lo, s4, v68
	v_add_co_ci_u32_e32 v49, vcc_lo, s5, v69, vcc_lo
	v_add_f16_e32 v54, v54, v72
	v_mov_b32_e32 v68, 0
	s_and_b32 vcc_lo, exec_lo, s0
	global_store_b16 v[70:71], v54, off
	s_cbranch_vccnz .LBB289_30
; %bb.29:
	v_add_co_u32 v68, vcc_lo, v24, v16
	v_add_co_ci_u32_e32 v69, vcc_lo, v49, v17, vcc_lo
	flat_load_u16 v54, v[68:69]
	s_waitcnt vmcnt(0) lgkmcnt(0)
	v_mul_f16_e32 v68, s9, v54
.LBB289_30:
	v_pk_max_f16 v54, v0, v0
	v_pk_max_f16 v0, v1, v1
	v_mad_i64_i32 v[69:70], null, v67, s1, 0
	s_delay_alu instid0(VALU_DEP_3) | instskip(NEXT) | instid1(VALU_DEP_3)
	v_pk_min_f16 v1, v52, v54
	v_pk_min_f16 v71, v53, v0
	s_delay_alu instid0(VALU_DEP_3) | instskip(NEXT) | instid1(VALU_DEP_3)
	v_lshlrev_b64 v[69:70], 1, v[69:70]
	v_pk_add_f16 v1, v1, v48
	s_delay_alu instid0(VALU_DEP_1) | instskip(NEXT) | instid1(VALU_DEP_1)
	v_pk_add_f16 v1, v71, v1
	v_lshrrev_b32_e32 v48, 16, v1
	s_delay_alu instid0(VALU_DEP_1) | instskip(SKIP_2) | instid1(VALU_DEP_3)
	v_add_f16_e32 v67, v1, v48
	v_add_co_u32 v1, vcc_lo, s3, v69
	v_add_co_ci_u32_e32 v48, vcc_lo, s6, v70, vcc_lo
	v_add_f16_e32 v69, v67, v68
	s_delay_alu instid0(VALU_DEP_3) | instskip(NEXT) | instid1(VALU_DEP_3)
	v_add_co_u32 v67, vcc_lo, v1, v16
	v_add_co_ci_u32_e32 v68, vcc_lo, v48, v17, vcc_lo
	s_and_b32 vcc_lo, exec_lo, s0
	global_store_b16 v[67:68], v69, off
	s_cbranch_vccnz .LBB289_32
; %bb.31:
	v_add_co_u32 v66, vcc_lo, v24, v20
	v_add_co_ci_u32_e32 v67, vcc_lo, v49, v21, vcc_lo
	flat_load_u16 v66, v[66:67]
	s_waitcnt vmcnt(0) lgkmcnt(0)
	v_mul_f16_e32 v66, s9, v66
.LBB289_32:
	v_pk_min_f16 v67, v56, v54
	v_pk_min_f16 v68, v57, v0
	s_delay_alu instid0(VALU_DEP_2) | instskip(NEXT) | instid1(VALU_DEP_1)
	v_pk_add_f16 v47, v67, v47
	v_pk_add_f16 v47, v68, v47
	s_delay_alu instid0(VALU_DEP_1) | instskip(NEXT) | instid1(VALU_DEP_1)
	v_lshrrev_b32_e32 v67, 16, v47
	v_add_f16_e32 v47, v47, v67
	v_add_co_u32 v67, vcc_lo, v1, v20
	v_add_co_ci_u32_e32 v68, vcc_lo, v48, v21, vcc_lo
	s_delay_alu instid0(VALU_DEP_3)
	v_add_f16_e32 v69, v47, v66
	v_dual_mov_b32 v47, 0 :: v_dual_mov_b32 v66, 0
	s_and_b32 vcc_lo, exec_lo, s0
	global_store_b16 v[67:68], v69, off
	s_cbranch_vccnz .LBB289_34
; %bb.33:
	v_add_co_u32 v66, vcc_lo, v24, v12
	v_add_co_ci_u32_e32 v67, vcc_lo, v49, v13, vcc_lo
	flat_load_u16 v66, v[66:67]
	s_waitcnt vmcnt(0) lgkmcnt(0)
	v_mul_f16_e32 v66, s9, v66
.LBB289_34:
	v_pk_min_f16 v67, v58, v54
	v_pk_min_f16 v68, v59, v0
	s_delay_alu instid0(VALU_DEP_2) | instskip(NEXT) | instid1(VALU_DEP_1)
	v_pk_add_f16 v46, v67, v46
	v_pk_add_f16 v46, v68, v46
	s_delay_alu instid0(VALU_DEP_1) | instskip(NEXT) | instid1(VALU_DEP_1)
	v_lshrrev_b32_e32 v67, 16, v46
	v_add_f16_e32 v46, v46, v67
	s_delay_alu instid0(VALU_DEP_1)
	v_add_f16_e32 v46, v46, v66
	v_add_co_u32 v66, vcc_lo, v1, v12
	v_add_co_ci_u32_e32 v67, vcc_lo, v48, v13, vcc_lo
	s_and_b32 vcc_lo, exec_lo, s0
	global_store_b16 v[66:67], v46, off
	s_cbranch_vccnz .LBB289_36
; %bb.35:
	v_add_co_u32 v46, vcc_lo, v24, v14
	v_add_co_ci_u32_e32 v47, vcc_lo, v49, v15, vcc_lo
	flat_load_u16 v46, v[46:47]
	s_waitcnt vmcnt(0) lgkmcnt(0)
	v_mul_f16_e32 v47, s9, v46
.LBB289_36:
	v_pk_min_f16 v46, v60, v54
	v_pk_min_f16 v66, v61, v0
	s_delay_alu instid0(VALU_DEP_2) | instskip(NEXT) | instid1(VALU_DEP_1)
	v_pk_add_f16 v45, v46, v45
	v_pk_add_f16 v45, v66, v45
	v_add_co_u32 v66, vcc_lo, v1, v14
	v_add_co_ci_u32_e32 v67, vcc_lo, v48, v15, vcc_lo
	s_delay_alu instid0(VALU_DEP_3) | instskip(SKIP_1) | instid1(VALU_DEP_1)
	v_lshrrev_b32_e32 v46, 16, v45
	s_and_b32 vcc_lo, exec_lo, s0
	v_add_f16_e32 v45, v45, v46
	v_mov_b32_e32 v46, 0
	s_delay_alu instid0(VALU_DEP_2)
	v_add_f16_e32 v47, v45, v47
	v_mov_b32_e32 v45, 0
	global_store_b16 v[66:67], v47, off
	s_cbranch_vccnz .LBB289_38
; %bb.37:
	v_add_co_u32 v46, vcc_lo, v24, v8
	v_add_co_ci_u32_e32 v47, vcc_lo, v49, v9, vcc_lo
	flat_load_u16 v46, v[46:47]
	s_waitcnt vmcnt(0) lgkmcnt(0)
	v_mul_f16_e32 v46, s9, v46
.LBB289_38:
	v_pk_min_f16 v47, v62, v54
	v_pk_min_f16 v66, v63, v0
	s_delay_alu instid0(VALU_DEP_2) | instskip(NEXT) | instid1(VALU_DEP_1)
	v_pk_add_f16 v43, v47, v43
	v_pk_add_f16 v43, v66, v43
	s_delay_alu instid0(VALU_DEP_1) | instskip(NEXT) | instid1(VALU_DEP_1)
	v_lshrrev_b32_e32 v47, 16, v43
	v_add_f16_e32 v43, v43, v47
	s_delay_alu instid0(VALU_DEP_1)
	v_add_f16_e32 v43, v43, v46
	v_add_co_u32 v46, vcc_lo, v1, v8
	v_add_co_ci_u32_e32 v47, vcc_lo, v48, v9, vcc_lo
	s_and_b32 vcc_lo, exec_lo, s0
	global_store_b16 v[46:47], v43, off
	s_cbranch_vccnz .LBB289_40
; %bb.39:
	v_add_co_u32 v45, vcc_lo, v24, v10
	v_add_co_ci_u32_e32 v46, vcc_lo, v49, v11, vcc_lo
	flat_load_u16 v43, v[45:46]
	s_waitcnt vmcnt(0) lgkmcnt(0)
	v_mul_f16_e32 v45, s9, v43
.LBB289_40:
	v_pk_min_f16 v43, v55, v54
	v_pk_min_f16 v46, v64, v0
	s_delay_alu instid0(VALU_DEP_2) | instskip(NEXT) | instid1(VALU_DEP_1)
	v_pk_add_f16 v42, v43, v42
	v_pk_add_f16 v42, v46, v42
	v_add_co_u32 v46, vcc_lo, v1, v10
	v_add_co_ci_u32_e32 v47, vcc_lo, v48, v11, vcc_lo
	s_delay_alu instid0(VALU_DEP_3) | instskip(SKIP_1) | instid1(VALU_DEP_1)
	v_lshrrev_b32_e32 v43, 16, v42
	s_and_b32 vcc_lo, exec_lo, s0
	v_add_f16_e32 v42, v42, v43
	v_mov_b32_e32 v43, 0
	s_delay_alu instid0(VALU_DEP_2)
	v_add_f16_e32 v45, v42, v45
	v_mov_b32_e32 v42, 0
	global_store_b16 v[46:47], v45, off
	s_cbranch_vccnz .LBB289_42
; %bb.41:
	v_add_co_u32 v45, vcc_lo, v24, v4
	v_add_co_ci_u32_e32 v46, vcc_lo, v49, v5, vcc_lo
	flat_load_u16 v43, v[45:46]
	s_waitcnt vmcnt(0) lgkmcnt(0)
	v_mul_f16_e32 v43, s9, v43
.LBB289_42:
	v_pk_min_f16 v45, v51, v54
	v_pk_min_f16 v46, v65, v0
	s_delay_alu instid0(VALU_DEP_2) | instskip(NEXT) | instid1(VALU_DEP_1)
	v_pk_add_f16 v44, v45, v44
	v_pk_add_f16 v44, v46, v44
	s_delay_alu instid0(VALU_DEP_1) | instskip(NEXT) | instid1(VALU_DEP_1)
	v_lshrrev_b32_e32 v45, 16, v44
	v_add_f16_e32 v44, v44, v45
	s_delay_alu instid0(VALU_DEP_1)
	v_add_f16_e32 v45, v44, v43
	v_add_co_u32 v43, vcc_lo, v1, v4
	v_add_co_ci_u32_e32 v44, vcc_lo, v48, v5, vcc_lo
	s_and_b32 vcc_lo, exec_lo, s0
	global_store_b16 v[43:44], v45, off
	s_cbranch_vccnz .LBB289_44
; %bb.43:
	v_add_co_u32 v42, vcc_lo, v24, v6
	v_add_co_ci_u32_e32 v43, vcc_lo, v49, v7, vcc_lo
	flat_load_u16 v24, v[42:43]
	s_waitcnt vmcnt(0) lgkmcnt(0)
	v_mul_f16_e32 v42, s9, v24
.LBB289_44:
	v_pk_min_f16 v24, v22, v54
	v_pk_min_f16 v0, v23, v0
	v_add_nc_u32_e32 v43, 64, v50
	v_add_co_u32 v46, vcc_lo, v1, v6
	s_delay_alu instid0(VALU_DEP_4) | instskip(SKIP_1) | instid1(VALU_DEP_2)
	v_pk_add_f16 v24, v24, v41
	v_add_co_ci_u32_e32 v47, vcc_lo, v48, v7, vcc_lo
	v_pk_add_f16 v0, v0, v24
	s_delay_alu instid0(VALU_DEP_1) | instskip(NEXT) | instid1(VALU_DEP_1)
	v_lshrrev_b32_e32 v24, 16, v0
	v_add_f16_e32 v0, v0, v24
	s_delay_alu instid0(VALU_DEP_1) | instskip(SKIP_4) | instid1(VALU_DEP_1)
	v_add_f16_e32 v0, v0, v42
	v_mov_b32_e32 v42, 0
	v_mad_i64_i32 v[44:45], null, v43, s8, 0
	global_store_b16 v[46:47], v0, off
	v_lshlrev_b64 v[44:45], 1, v[44:45]
	v_add_co_u32 v1, vcc_lo, s4, v44
	s_delay_alu instid0(VALU_DEP_2)
	v_add_co_ci_u32_e32 v24, vcc_lo, s5, v45, vcc_lo
	v_mov_b32_e32 v44, 0
	s_and_b32 vcc_lo, exec_lo, s0
	s_cbranch_vccnz .LBB289_46
; %bb.45:
	v_add_co_u32 v44, vcc_lo, v1, v16
	v_add_co_ci_u32_e32 v45, vcc_lo, v24, v17, vcc_lo
	flat_load_u16 v0, v[44:45]
	s_waitcnt vmcnt(0) lgkmcnt(0)
	v_mul_f16_e32 v44, s9, v0
.LBB289_46:
	v_pk_max_f16 v41, v2, v2
	v_pk_max_f16 v0, v3, v3
	s_delay_alu instid0(VALU_DEP_2) | instskip(NEXT) | instid1(VALU_DEP_2)
	v_pk_min_f16 v2, v52, v41
	v_pk_min_f16 v45, v53, v0
	s_delay_alu instid0(VALU_DEP_2) | instskip(SKIP_1) | instid1(VALU_DEP_2)
	v_pk_add_f16 v40, v2, v40
	v_mad_i64_i32 v[2:3], null, v43, s1, 0
	v_pk_add_f16 v40, v45, v40
	s_delay_alu instid0(VALU_DEP_2) | instskip(NEXT) | instid1(VALU_DEP_2)
	v_lshlrev_b64 v[2:3], 1, v[2:3]
	v_lshrrev_b32_e32 v43, 16, v40
	s_delay_alu instid0(VALU_DEP_2) | instskip(NEXT) | instid1(VALU_DEP_2)
	v_add_co_u32 v2, vcc_lo, s3, v2
	v_add_f16_e32 v40, v40, v43
	s_delay_alu instid0(VALU_DEP_4) | instskip(NEXT) | instid1(VALU_DEP_3)
	v_add_co_ci_u32_e32 v3, vcc_lo, s6, v3, vcc_lo
	v_add_co_u32 v43, vcc_lo, v2, v16
	s_delay_alu instid0(VALU_DEP_3) | instskip(NEXT) | instid1(VALU_DEP_3)
	v_add_f16_e32 v40, v40, v44
	v_add_co_ci_u32_e32 v44, vcc_lo, v3, v17, vcc_lo
	s_and_b32 vcc_lo, exec_lo, s0
	global_store_b16 v[43:44], v40, off
	s_cbranch_vccnz .LBB289_48
; %bb.47:
	v_add_co_u32 v42, vcc_lo, v1, v20
	v_add_co_ci_u32_e32 v43, vcc_lo, v24, v21, vcc_lo
	flat_load_u16 v40, v[42:43]
	s_waitcnt vmcnt(0) lgkmcnt(0)
	v_mul_f16_e32 v42, s9, v40
.LBB289_48:
	v_pk_min_f16 v40, v56, v41
	v_pk_min_f16 v43, v57, v0
	s_delay_alu instid0(VALU_DEP_2) | instskip(NEXT) | instid1(VALU_DEP_1)
	v_pk_add_f16 v39, v40, v39
	v_pk_add_f16 v39, v43, v39
	v_add_co_u32 v43, vcc_lo, v2, v20
	v_add_co_ci_u32_e32 v44, vcc_lo, v3, v21, vcc_lo
	s_delay_alu instid0(VALU_DEP_3) | instskip(SKIP_1) | instid1(VALU_DEP_1)
	v_lshrrev_b32_e32 v40, 16, v39
	s_and_b32 vcc_lo, exec_lo, s0
	v_add_f16_e32 v39, v39, v40
	v_mov_b32_e32 v40, 0
	s_delay_alu instid0(VALU_DEP_2)
	v_add_f16_e32 v42, v39, v42
	v_mov_b32_e32 v39, 0
	global_store_b16 v[43:44], v42, off
	s_cbranch_vccnz .LBB289_50
; %bb.49:
	v_add_co_u32 v42, vcc_lo, v1, v12
	v_add_co_ci_u32_e32 v43, vcc_lo, v24, v13, vcc_lo
	flat_load_u16 v40, v[42:43]
	s_waitcnt vmcnt(0) lgkmcnt(0)
	v_mul_f16_e32 v40, s9, v40
.LBB289_50:
	v_pk_min_f16 v42, v58, v41
	v_pk_min_f16 v43, v59, v0
	s_delay_alu instid0(VALU_DEP_2) | instskip(NEXT) | instid1(VALU_DEP_1)
	v_pk_add_f16 v38, v42, v38
	v_pk_add_f16 v38, v43, v38
	s_delay_alu instid0(VALU_DEP_1) | instskip(NEXT) | instid1(VALU_DEP_1)
	v_lshrrev_b32_e32 v42, 16, v38
	v_add_f16_e32 v38, v38, v42
	v_add_co_u32 v42, vcc_lo, v2, v12
	v_add_co_ci_u32_e32 v43, vcc_lo, v3, v13, vcc_lo
	s_delay_alu instid0(VALU_DEP_3)
	v_add_f16_e32 v38, v38, v40
	s_and_b32 vcc_lo, exec_lo, s0
	global_store_b16 v[42:43], v38, off
	s_cbranch_vccnz .LBB289_52
; %bb.51:
	v_add_co_u32 v38, vcc_lo, v1, v14
	v_add_co_ci_u32_e32 v39, vcc_lo, v24, v15, vcc_lo
	flat_load_u16 v38, v[38:39]
	s_waitcnt vmcnt(0) lgkmcnt(0)
	v_mul_f16_e32 v39, s9, v38
.LBB289_52:
	v_pk_min_f16 v38, v60, v41
	v_pk_min_f16 v40, v61, v0
	v_add_co_u32 v42, vcc_lo, v2, v14
	v_add_co_ci_u32_e32 v43, vcc_lo, v3, v15, vcc_lo
	s_delay_alu instid0(VALU_DEP_4) | instskip(SKIP_1) | instid1(VALU_DEP_1)
	v_pk_add_f16 v37, v38, v37
	s_and_b32 vcc_lo, exec_lo, s0
	v_pk_add_f16 v37, v40, v37
	s_delay_alu instid0(VALU_DEP_1) | instskip(NEXT) | instid1(VALU_DEP_1)
	v_lshrrev_b32_e32 v38, 16, v37
	v_add_f16_e32 v37, v37, v38
	v_mov_b32_e32 v38, 0
	s_delay_alu instid0(VALU_DEP_2)
	v_add_f16_e32 v39, v37, v39
	v_mov_b32_e32 v37, 0
	global_store_b16 v[42:43], v39, off
	s_cbranch_vccnz .LBB289_54
; %bb.53:
	v_add_co_u32 v38, vcc_lo, v1, v8
	v_add_co_ci_u32_e32 v39, vcc_lo, v24, v9, vcc_lo
	flat_load_u16 v38, v[38:39]
	s_waitcnt vmcnt(0) lgkmcnt(0)
	v_mul_f16_e32 v38, s9, v38
.LBB289_54:
	v_pk_min_f16 v39, v62, v41
	v_pk_min_f16 v40, v63, v0
	s_delay_alu instid0(VALU_DEP_2) | instskip(NEXT) | instid1(VALU_DEP_1)
	v_pk_add_f16 v35, v39, v35
	v_pk_add_f16 v35, v40, v35
	s_delay_alu instid0(VALU_DEP_1) | instskip(NEXT) | instid1(VALU_DEP_1)
	v_lshrrev_b32_e32 v39, 16, v35
	v_add_f16_e32 v35, v35, v39
	s_delay_alu instid0(VALU_DEP_1)
	v_add_f16_e32 v35, v35, v38
	v_add_co_u32 v38, vcc_lo, v2, v8
	v_add_co_ci_u32_e32 v39, vcc_lo, v3, v9, vcc_lo
	s_and_b32 vcc_lo, exec_lo, s0
	global_store_b16 v[38:39], v35, off
	s_cbranch_vccnz .LBB289_56
; %bb.55:
	v_add_co_u32 v37, vcc_lo, v1, v10
	v_add_co_ci_u32_e32 v38, vcc_lo, v24, v11, vcc_lo
	flat_load_u16 v35, v[37:38]
	s_waitcnt vmcnt(0) lgkmcnt(0)
	v_mul_f16_e32 v37, s9, v35
.LBB289_56:
	v_pk_min_f16 v35, v55, v41
	v_pk_min_f16 v38, v64, v0
	s_delay_alu instid0(VALU_DEP_2) | instskip(NEXT) | instid1(VALU_DEP_1)
	v_pk_add_f16 v34, v35, v34
	v_pk_add_f16 v34, v38, v34
	v_add_co_u32 v38, vcc_lo, v2, v10
	v_add_co_ci_u32_e32 v39, vcc_lo, v3, v11, vcc_lo
	s_delay_alu instid0(VALU_DEP_3) | instskip(SKIP_1) | instid1(VALU_DEP_1)
	v_lshrrev_b32_e32 v35, 16, v34
	s_and_b32 vcc_lo, exec_lo, s0
	v_add_f16_e32 v34, v34, v35
	v_mov_b32_e32 v35, 0
	s_delay_alu instid0(VALU_DEP_2)
	v_add_f16_e32 v37, v34, v37
	v_mov_b32_e32 v34, 0
	global_store_b16 v[38:39], v37, off
	s_cbranch_vccnz .LBB289_58
; %bb.57:
	v_add_co_u32 v37, vcc_lo, v1, v4
	v_add_co_ci_u32_e32 v38, vcc_lo, v24, v5, vcc_lo
	flat_load_u16 v35, v[37:38]
	s_waitcnt vmcnt(0) lgkmcnt(0)
	v_mul_f16_e32 v35, s9, v35
.LBB289_58:
	v_pk_min_f16 v37, v51, v41
	v_pk_min_f16 v38, v65, v0
	s_delay_alu instid0(VALU_DEP_2) | instskip(NEXT) | instid1(VALU_DEP_1)
	v_pk_add_f16 v36, v37, v36
	v_pk_add_f16 v36, v38, v36
	s_delay_alu instid0(VALU_DEP_1) | instskip(NEXT) | instid1(VALU_DEP_1)
	v_lshrrev_b32_e32 v37, 16, v36
	v_add_f16_e32 v36, v36, v37
	s_delay_alu instid0(VALU_DEP_1)
	v_add_f16_e32 v37, v36, v35
	v_add_co_u32 v35, vcc_lo, v2, v4
	v_add_co_ci_u32_e32 v36, vcc_lo, v3, v5, vcc_lo
	s_and_b32 vcc_lo, exec_lo, s0
	global_store_b16 v[35:36], v37, off
	s_cbranch_vccnz .LBB289_60
; %bb.59:
	v_add_co_u32 v34, vcc_lo, v1, v6
	v_add_co_ci_u32_e32 v35, vcc_lo, v24, v7, vcc_lo
	flat_load_u16 v1, v[34:35]
	s_waitcnt vmcnt(0) lgkmcnt(0)
	v_mul_f16_e32 v34, s9, v1
.LBB289_60:
	v_pk_min_f16 v1, v22, v41
	v_pk_min_f16 v24, v23, v0
	v_add_nc_u32_e32 v35, 0x60, v50
	v_add_co_u32 v2, vcc_lo, v2, v6
	s_delay_alu instid0(VALU_DEP_4) | instskip(SKIP_1) | instid1(VALU_DEP_2)
	v_pk_add_f16 v33, v1, v33
	v_add_co_ci_u32_e32 v3, vcc_lo, v3, v7, vcc_lo
	v_pk_add_f16 v24, v24, v33
	s_delay_alu instid0(VALU_DEP_1) | instskip(NEXT) | instid1(VALU_DEP_1)
	v_lshrrev_b32_e32 v33, 16, v24
	v_add_f16_e32 v24, v24, v33
	v_mov_b32_e32 v33, 0
	s_delay_alu instid0(VALU_DEP_2) | instskip(SKIP_4) | instid1(VALU_DEP_1)
	v_add_f16_e32 v34, v24, v34
	v_mov_b32_e32 v24, 0
	v_mad_i64_i32 v[0:1], null, v35, s8, 0
	global_store_b16 v[2:3], v34, off
	v_lshlrev_b64 v[0:1], 1, v[0:1]
	v_add_co_u32 v0, vcc_lo, s4, v0
	s_delay_alu instid0(VALU_DEP_2)
	v_add_co_ci_u32_e32 v1, vcc_lo, s5, v1, vcc_lo
	s_and_b32 vcc_lo, exec_lo, s0
	s_cbranch_vccnz .LBB289_62
; %bb.61:
	s_delay_alu instid0(VALU_DEP_2) | instskip(NEXT) | instid1(VALU_DEP_2)
	v_add_co_u32 v2, vcc_lo, v0, v16
	v_add_co_ci_u32_e32 v3, vcc_lo, v1, v17, vcc_lo
	flat_load_u16 v2, v[2:3]
	s_waitcnt vmcnt(0) lgkmcnt(0)
	v_mul_f16_e32 v33, s9, v2
.LBB289_62:
	v_pk_max_f16 v2, v18, v18
	v_pk_max_f16 v3, v19, v19
	s_delay_alu instid0(VALU_DEP_2) | instskip(NEXT) | instid1(VALU_DEP_2)
	v_pk_min_f16 v18, v52, v2
	v_pk_min_f16 v34, v53, v3
	s_delay_alu instid0(VALU_DEP_2) | instskip(SKIP_1) | instid1(VALU_DEP_2)
	v_pk_add_f16 v32, v18, v32
	v_mad_i64_i32 v[18:19], null, v35, s1, 0
	v_pk_add_f16 v32, v34, v32
	s_delay_alu instid0(VALU_DEP_2) | instskip(NEXT) | instid1(VALU_DEP_2)
	v_lshlrev_b64 v[18:19], 1, v[18:19]
	v_lshrrev_b32_e32 v34, 16, v32
	s_delay_alu instid0(VALU_DEP_2) | instskip(NEXT) | instid1(VALU_DEP_2)
	v_add_co_u32 v18, vcc_lo, s3, v18
	v_add_f16_e32 v32, v32, v34
	s_delay_alu instid0(VALU_DEP_4) | instskip(NEXT) | instid1(VALU_DEP_3)
	v_add_co_ci_u32_e32 v19, vcc_lo, s6, v19, vcc_lo
	v_add_co_u32 v16, vcc_lo, v18, v16
	s_delay_alu instid0(VALU_DEP_3) | instskip(NEXT) | instid1(VALU_DEP_3)
	v_add_f16_e32 v32, v32, v33
	v_add_co_ci_u32_e32 v17, vcc_lo, v19, v17, vcc_lo
	s_and_b32 vcc_lo, exec_lo, s0
	global_store_b16 v[16:17], v32, off
	s_cbranch_vccnz .LBB289_64
; %bb.63:
	v_add_co_u32 v16, vcc_lo, v0, v20
	v_add_co_ci_u32_e32 v17, vcc_lo, v1, v21, vcc_lo
	flat_load_u16 v16, v[16:17]
	s_waitcnt vmcnt(0) lgkmcnt(0)
	v_mul_f16_e32 v24, s9, v16
.LBB289_64:
	v_pk_min_f16 v16, v56, v2
	v_pk_min_f16 v17, v57, v3
	v_add_co_u32 v20, vcc_lo, v18, v20
	v_add_co_ci_u32_e32 v21, vcc_lo, v19, v21, vcc_lo
	s_delay_alu instid0(VALU_DEP_4) | instskip(SKIP_1) | instid1(VALU_DEP_1)
	v_pk_add_f16 v16, v16, v31
	s_and_b32 vcc_lo, exec_lo, s0
	v_pk_add_f16 v16, v17, v16
	s_delay_alu instid0(VALU_DEP_1) | instskip(NEXT) | instid1(VALU_DEP_1)
	v_lshrrev_b32_e32 v17, 16, v16
	v_add_f16_e32 v16, v16, v17
	v_mov_b32_e32 v17, 0
	s_delay_alu instid0(VALU_DEP_2)
	v_add_f16_e32 v24, v16, v24
	v_mov_b32_e32 v16, 0
	global_store_b16 v[20:21], v24, off
	s_cbranch_vccnz .LBB289_66
; %bb.65:
	v_add_co_u32 v20, vcc_lo, v0, v12
	v_add_co_ci_u32_e32 v21, vcc_lo, v1, v13, vcc_lo
	flat_load_u16 v17, v[20:21]
	s_waitcnt vmcnt(0) lgkmcnt(0)
	v_mul_f16_e32 v17, s9, v17
.LBB289_66:
	v_pk_min_f16 v20, v58, v2
	v_pk_min_f16 v21, v59, v3
	v_add_co_u32 v12, vcc_lo, v18, v12
	v_add_co_ci_u32_e32 v13, vcc_lo, v19, v13, vcc_lo
	s_delay_alu instid0(VALU_DEP_4) | instskip(SKIP_1) | instid1(VALU_DEP_1)
	v_pk_add_f16 v20, v20, v30
	s_and_b32 vcc_lo, exec_lo, s0
	v_pk_add_f16 v20, v21, v20
	s_delay_alu instid0(VALU_DEP_1) | instskip(NEXT) | instid1(VALU_DEP_1)
	v_lshrrev_b32_e32 v21, 16, v20
	v_add_f16_e32 v20, v20, v21
	s_delay_alu instid0(VALU_DEP_1)
	v_add_f16_e32 v17, v20, v17
	global_store_b16 v[12:13], v17, off
	s_cbranch_vccnz .LBB289_68
; %bb.67:
	v_add_co_u32 v12, vcc_lo, v0, v14
	v_add_co_ci_u32_e32 v13, vcc_lo, v1, v15, vcc_lo
	flat_load_u16 v12, v[12:13]
	s_waitcnt vmcnt(0) lgkmcnt(0)
	v_mul_f16_e32 v16, s9, v12
.LBB289_68:
	v_pk_min_f16 v12, v60, v2
	v_pk_min_f16 v13, v61, v3
	v_add_co_u32 v14, vcc_lo, v18, v14
	v_add_co_ci_u32_e32 v15, vcc_lo, v19, v15, vcc_lo
	s_delay_alu instid0(VALU_DEP_4) | instskip(SKIP_1) | instid1(VALU_DEP_1)
	v_pk_add_f16 v12, v12, v29
	s_and_b32 vcc_lo, exec_lo, s0
	v_pk_add_f16 v12, v13, v12
	s_delay_alu instid0(VALU_DEP_1) | instskip(NEXT) | instid1(VALU_DEP_1)
	v_lshrrev_b32_e32 v13, 16, v12
	v_add_f16_e32 v12, v12, v13
	v_mov_b32_e32 v13, 0
	s_delay_alu instid0(VALU_DEP_2)
	v_add_f16_e32 v16, v12, v16
	v_mov_b32_e32 v12, 0
	global_store_b16 v[14:15], v16, off
	s_cbranch_vccnz .LBB289_70
; %bb.69:
	v_add_co_u32 v13, vcc_lo, v0, v8
	v_add_co_ci_u32_e32 v14, vcc_lo, v1, v9, vcc_lo
	flat_load_u16 v13, v[13:14]
	s_waitcnt vmcnt(0) lgkmcnt(0)
	v_mul_f16_e32 v13, s9, v13
.LBB289_70:
	v_pk_min_f16 v14, v62, v2
	v_pk_min_f16 v15, v63, v3
	v_add_co_u32 v8, vcc_lo, v18, v8
	v_add_co_ci_u32_e32 v9, vcc_lo, v19, v9, vcc_lo
	s_delay_alu instid0(VALU_DEP_4) | instskip(SKIP_1) | instid1(VALU_DEP_1)
	v_pk_add_f16 v14, v14, v27
	s_and_b32 vcc_lo, exec_lo, s0
	v_pk_add_f16 v14, v15, v14
	s_delay_alu instid0(VALU_DEP_1) | instskip(NEXT) | instid1(VALU_DEP_1)
	v_lshrrev_b32_e32 v15, 16, v14
	v_add_f16_e32 v14, v14, v15
	s_delay_alu instid0(VALU_DEP_1)
	v_add_f16_e32 v13, v14, v13
	global_store_b16 v[8:9], v13, off
	s_cbranch_vccnz .LBB289_72
; %bb.71:
	v_add_co_u32 v8, vcc_lo, v0, v10
	v_add_co_ci_u32_e32 v9, vcc_lo, v1, v11, vcc_lo
	flat_load_u16 v8, v[8:9]
	s_waitcnt vmcnt(0) lgkmcnt(0)
	v_mul_f16_e32 v12, s9, v8
.LBB289_72:
	v_pk_min_f16 v8, v55, v2
	v_pk_min_f16 v9, v64, v3
	;; [unrolled: 1-line block ×3, first 2 shown]
	s_delay_alu instid0(VALU_DEP_3) | instskip(NEXT) | instid1(VALU_DEP_2)
	v_pk_add_f16 v8, v8, v26
	v_pk_add_f16 v13, v13, v28
	s_delay_alu instid0(VALU_DEP_2) | instskip(SKIP_1) | instid1(VALU_DEP_2)
	v_pk_add_f16 v8, v9, v8
	v_pk_min_f16 v9, v65, v3
	v_lshrrev_b32_e32 v14, 16, v8
	s_delay_alu instid0(VALU_DEP_2) | instskip(SKIP_2) | instid1(VALU_DEP_4)
	v_pk_add_f16 v13, v9, v13
	v_add_co_u32 v9, vcc_lo, v18, v10
	v_add_co_ci_u32_e32 v10, vcc_lo, v19, v11, vcc_lo
	v_add_f16_e32 v8, v8, v14
	s_delay_alu instid0(VALU_DEP_4) | instskip(SKIP_1) | instid1(VALU_DEP_2)
	v_lshrrev_b32_e32 v11, 16, v13
	s_mov_b32 vcc_lo, s2
	v_add_f16_e32 v12, v8, v12
	s_delay_alu instid0(VALU_DEP_2)
	v_add_f16_e32 v8, v13, v11
	global_store_b16 v[9:10], v12, off
	s_cbranch_vccz .LBB289_75
; %bb.73:
	v_add_co_u32 v9, vcc_lo, v18, v4
	v_add_f16_e32 v11, 0, v8
	v_add_co_ci_u32_e32 v10, vcc_lo, v19, v5, vcc_lo
	s_mov_b32 s0, 0
	global_store_b16 v[9:10], v11, off
	s_cbranch_execz .LBB289_76
; %bb.74:
	v_mov_b32_e32 v0, s0
	s_branch .LBB289_77
.LBB289_75:
	s_mov_b32 s0, -1
.LBB289_76:
	v_add_co_u32 v9, vcc_lo, v0, v4
	v_add_co_ci_u32_e32 v10, vcc_lo, v1, v5, vcc_lo
	v_add_co_u32 v4, vcc_lo, v18, v4
	v_add_co_ci_u32_e32 v5, vcc_lo, v19, v5, vcc_lo
	flat_load_u16 v9, v[9:10]
	v_add_co_u32 v0, vcc_lo, v0, v6
	v_add_co_ci_u32_e32 v1, vcc_lo, v1, v7, vcc_lo
	s_waitcnt vmcnt(0) lgkmcnt(0)
	v_fmac_f16_e32 v8, s9, v9
	global_store_b16 v[4:5], v8, off
	flat_load_u16 v0, v[0:1]
	s_waitcnt vmcnt(0) lgkmcnt(0)
	v_mul_f16_e32 v0, s9, v0
.LBB289_77:
	v_pk_min_f16 v1, v22, v2
	v_pk_min_f16 v2, v23, v3
	s_delay_alu instid0(VALU_DEP_2) | instskip(NEXT) | instid1(VALU_DEP_1)
	v_pk_add_f16 v1, v1, v25
	v_pk_add_f16 v1, v2, v1
	s_delay_alu instid0(VALU_DEP_1) | instskip(NEXT) | instid1(VALU_DEP_1)
	v_lshrrev_b32_e32 v2, 16, v1
	v_add_f16_e32 v1, v1, v2
	s_delay_alu instid0(VALU_DEP_1)
	v_add_f16_e32 v2, v1, v0
	v_add_co_u32 v0, vcc_lo, v18, v6
	v_add_co_ci_u32_e32 v1, vcc_lo, v19, v7, vcc_lo
	global_store_b16 v[0:1], v2, off
	s_nop 0
	s_sendmsg sendmsg(MSG_DEALLOC_VGPRS)
	s_endpgm
	.section	.rodata,"a",@progbits
	.p2align	6, 0x0
	.amdhsa_kernel _ZN12_GLOBAL__N_120geam_min_plus_kernelIDF16_Dv2_DF16_S1_Li8ELi32ELi64ELi128ELi4ELi4ELi64ELi4ELi64ELc84ELc78ELb1ELb0ELb0EDF16_KDF16_DF16_EEviiiT16_PT17_ilS5_ilS3_S5_ilPT18_ili26rocblas_geam_ex_operation_
		.amdhsa_group_segment_fixed_size 3072
		.amdhsa_private_segment_fixed_size 0
		.amdhsa_kernarg_size 128
		.amdhsa_user_sgpr_count 14
		.amdhsa_user_sgpr_dispatch_ptr 0
		.amdhsa_user_sgpr_queue_ptr 0
		.amdhsa_user_sgpr_kernarg_segment_ptr 1
		.amdhsa_user_sgpr_dispatch_id 0
		.amdhsa_user_sgpr_private_segment_size 0
		.amdhsa_wavefront_size32 1
		.amdhsa_uses_dynamic_stack 0
		.amdhsa_enable_private_segment 0
		.amdhsa_system_sgpr_workgroup_id_x 1
		.amdhsa_system_sgpr_workgroup_id_y 0
		.amdhsa_system_sgpr_workgroup_id_z 1
		.amdhsa_system_sgpr_workgroup_info 0
		.amdhsa_system_vgpr_workitem_id 1
		.amdhsa_next_free_vgpr 90
		.amdhsa_next_free_sgpr 23
		.amdhsa_reserve_vcc 1
		.amdhsa_float_round_mode_32 0
		.amdhsa_float_round_mode_16_64 0
		.amdhsa_float_denorm_mode_32 3
		.amdhsa_float_denorm_mode_16_64 3
		.amdhsa_dx10_clamp 1
		.amdhsa_ieee_mode 1
		.amdhsa_fp16_overflow 0
		.amdhsa_workgroup_processor_mode 1
		.amdhsa_memory_ordered 1
		.amdhsa_forward_progress 0
		.amdhsa_shared_vgpr_count 0
		.amdhsa_exception_fp_ieee_invalid_op 0
		.amdhsa_exception_fp_denorm_src 0
		.amdhsa_exception_fp_ieee_div_zero 0
		.amdhsa_exception_fp_ieee_overflow 0
		.amdhsa_exception_fp_ieee_underflow 0
		.amdhsa_exception_fp_ieee_inexact 0
		.amdhsa_exception_int_div_zero 0
	.end_amdhsa_kernel
	.section	.text._ZN12_GLOBAL__N_120geam_min_plus_kernelIDF16_Dv2_DF16_S1_Li8ELi32ELi64ELi128ELi4ELi4ELi64ELi4ELi64ELc84ELc78ELb1ELb0ELb0EDF16_KDF16_DF16_EEviiiT16_PT17_ilS5_ilS3_S5_ilPT18_ili26rocblas_geam_ex_operation_,"axG",@progbits,_ZN12_GLOBAL__N_120geam_min_plus_kernelIDF16_Dv2_DF16_S1_Li8ELi32ELi64ELi128ELi4ELi4ELi64ELi4ELi64ELc84ELc78ELb1ELb0ELb0EDF16_KDF16_DF16_EEviiiT16_PT17_ilS5_ilS3_S5_ilPT18_ili26rocblas_geam_ex_operation_,comdat
.Lfunc_end289:
	.size	_ZN12_GLOBAL__N_120geam_min_plus_kernelIDF16_Dv2_DF16_S1_Li8ELi32ELi64ELi128ELi4ELi4ELi64ELi4ELi64ELc84ELc78ELb1ELb0ELb0EDF16_KDF16_DF16_EEviiiT16_PT17_ilS5_ilS3_S5_ilPT18_ili26rocblas_geam_ex_operation_, .Lfunc_end289-_ZN12_GLOBAL__N_120geam_min_plus_kernelIDF16_Dv2_DF16_S1_Li8ELi32ELi64ELi128ELi4ELi4ELi64ELi4ELi64ELc84ELc78ELb1ELb0ELb0EDF16_KDF16_DF16_EEviiiT16_PT17_ilS5_ilS3_S5_ilPT18_ili26rocblas_geam_ex_operation_
                                        ; -- End function
	.section	.AMDGPU.csdata,"",@progbits
; Kernel info:
; codeLenInByte = 9868
; NumSgprs: 25
; NumVgprs: 90
; ScratchSize: 0
; MemoryBound: 0
; FloatMode: 240
; IeeeMode: 1
; LDSByteSize: 3072 bytes/workgroup (compile time only)
; SGPRBlocks: 3
; VGPRBlocks: 11
; NumSGPRsForWavesPerEU: 25
; NumVGPRsForWavesPerEU: 90
; Occupancy: 16
; WaveLimiterHint : 0
; COMPUTE_PGM_RSRC2:SCRATCH_EN: 0
; COMPUTE_PGM_RSRC2:USER_SGPR: 14
; COMPUTE_PGM_RSRC2:TRAP_HANDLER: 0
; COMPUTE_PGM_RSRC2:TGID_X_EN: 1
; COMPUTE_PGM_RSRC2:TGID_Y_EN: 0
; COMPUTE_PGM_RSRC2:TGID_Z_EN: 1
; COMPUTE_PGM_RSRC2:TIDIG_COMP_CNT: 1
	.section	.text._ZN12_GLOBAL__N_120geam_min_plus_kernelIDF16_Dv2_DF16_S1_Li8ELi32ELi64ELi128ELi4ELi4ELi64ELi4ELi64ELc84ELc78ELb0ELb0ELb0EDF16_KDF16_DF16_EEviiiT16_PT17_ilS5_ilS3_S5_ilPT18_ili26rocblas_geam_ex_operation_,"axG",@progbits,_ZN12_GLOBAL__N_120geam_min_plus_kernelIDF16_Dv2_DF16_S1_Li8ELi32ELi64ELi128ELi4ELi4ELi64ELi4ELi64ELc84ELc78ELb0ELb0ELb0EDF16_KDF16_DF16_EEviiiT16_PT17_ilS5_ilS3_S5_ilPT18_ili26rocblas_geam_ex_operation_,comdat
	.globl	_ZN12_GLOBAL__N_120geam_min_plus_kernelIDF16_Dv2_DF16_S1_Li8ELi32ELi64ELi128ELi4ELi4ELi64ELi4ELi64ELc84ELc78ELb0ELb0ELb0EDF16_KDF16_DF16_EEviiiT16_PT17_ilS5_ilS3_S5_ilPT18_ili26rocblas_geam_ex_operation_ ; -- Begin function _ZN12_GLOBAL__N_120geam_min_plus_kernelIDF16_Dv2_DF16_S1_Li8ELi32ELi64ELi128ELi4ELi4ELi64ELi4ELi64ELc84ELc78ELb0ELb0ELb0EDF16_KDF16_DF16_EEviiiT16_PT17_ilS5_ilS3_S5_ilPT18_ili26rocblas_geam_ex_operation_
	.p2align	8
	.type	_ZN12_GLOBAL__N_120geam_min_plus_kernelIDF16_Dv2_DF16_S1_Li8ELi32ELi64ELi128ELi4ELi4ELi64ELi4ELi64ELc84ELc78ELb0ELb0ELb0EDF16_KDF16_DF16_EEviiiT16_PT17_ilS5_ilS3_S5_ilPT18_ili26rocblas_geam_ex_operation_,@function
_ZN12_GLOBAL__N_120geam_min_plus_kernelIDF16_Dv2_DF16_S1_Li8ELi32ELi64ELi128ELi4ELi4ELi64ELi4ELi64ELc84ELc78ELb0ELb0ELb0EDF16_KDF16_DF16_EEviiiT16_PT17_ilS5_ilS3_S5_ilPT18_ili26rocblas_geam_ex_operation_: ; @_ZN12_GLOBAL__N_120geam_min_plus_kernelIDF16_Dv2_DF16_S1_Li8ELi32ELi64ELi128ELi4ELi4ELi64ELi4ELi64ELc84ELc78ELb0ELb0ELb0EDF16_KDF16_DF16_EEviiiT16_PT17_ilS5_ilS3_S5_ilPT18_ili26rocblas_geam_ex_operation_
; %bb.0:
	s_clause 0x1
	s_load_b64 s[8:9], s[0:1], 0x8
	s_load_b128 s[4:7], s[0:1], 0x20
	s_waitcnt lgkmcnt(0)
	v_cmp_eq_f16_e64 s2, s9, 0
	s_delay_alu instid0(VALU_DEP_1)
	s_and_b32 vcc_lo, exec_lo, s2
	s_cbranch_vccnz .LBB290_3
; %bb.1:
	s_load_b64 s[10:11], s[0:1], 0x10
	s_mul_i32 s3, s15, s5
	s_mul_hi_u32 s5, s15, s4
	s_mul_i32 s4, s15, s4
	s_add_i32 s5, s5, s3
	s_delay_alu instid0(SALU_CYCLE_1)
	s_lshl_b64 s[4:5], s[4:5], 1
	s_waitcnt lgkmcnt(0)
	s_add_u32 s10, s10, s4
	s_addc_u32 s11, s11, s5
	s_and_not1_b32 vcc_lo, exec_lo, s2
	s_cbranch_vccnz .LBB290_4
.LBB290_2:
	s_mov_b32 s17, 0
	s_mov_b64 s[12:13], 0
	s_cbranch_execz .LBB290_5
	s_branch .LBB290_6
.LBB290_3:
	s_mov_b64 s[10:11], 0
	s_and_not1_b32 vcc_lo, exec_lo, s2
	s_cbranch_vccz .LBB290_2
.LBB290_4:
	s_mov_b32 s17, -1
                                        ; implicit-def: $sgpr12_sgpr13
.LBB290_5:
	s_load_b64 s[2:3], s[0:1], 0x38
	s_mov_b32 s17, 0
	s_waitcnt lgkmcnt(0)
	s_mul_i32 s3, s15, s3
	s_mul_hi_u32 s4, s15, s2
	s_mul_i32 s2, s15, s2
	s_add_i32 s3, s4, s3
	s_delay_alu instid0(SALU_CYCLE_1) | instskip(NEXT) | instid1(SALU_CYCLE_1)
	s_lshl_b64 s[2:3], s[2:3], 1
	s_add_u32 s12, s6, s2
	s_addc_u32 s13, s7, s3
.LBB290_6:
	s_clause 0x1
	s_load_b32 s16, s[0:1], 0x40
	s_load_b128 s[4:7], s[0:1], 0x58
	v_cmp_neq_f16_e64 s18, s9, 0
	s_waitcnt lgkmcnt(0)
	v_cmp_eq_f16_e64 s2, s16, 0
	s_delay_alu instid0(VALU_DEP_1) | instskip(NEXT) | instid1(SALU_CYCLE_1)
	s_and_b32 s2, exec_lo, s2
	s_mov_b32 vcc_lo, s2
	s_cbranch_vccnz .LBB290_8
; %bb.7:
	s_load_b64 s[20:21], s[0:1], 0x48
	s_mul_i32 s3, s15, s5
	s_mul_hi_u32 s5, s15, s4
	s_delay_alu instid0(SALU_CYCLE_1) | instskip(SKIP_3) | instid1(SALU_CYCLE_1)
	s_add_i32 s3, s5, s3
	s_mul_i32 s5, s17, s4
	s_mul_i32 s4, s15, s4
	s_add_i32 s5, s3, s5
	s_lshl_b64 s[4:5], s[4:5], 1
	s_waitcnt lgkmcnt(0)
	s_add_u32 s4, s20, s4
	s_addc_u32 s5, s21, s5
	s_branch .LBB290_9
.LBB290_8:
	s_mov_b64 s[4:5], 0
.LBB290_9:
	s_clause 0x1
	s_load_b32 s3, s[0:1], 0x0
	s_load_b32 s19, s[0:1], 0x18
	v_and_b32_e32 v24, 0x3ff, v0
	v_bfe_u32 v42, v0, 10, 10
	s_delay_alu instid0(VALU_DEP_2) | instskip(NEXT) | instid1(VALU_DEP_2)
	v_and_b32_e32 v2, 3, v24
	v_lshl_add_u32 v0, v42, 3, v24
	s_delay_alu instid0(VALU_DEP_2) | instskip(NEXT) | instid1(VALU_DEP_2)
	v_lshlrev_b32_e32 v45, 1, v2
	v_lshrrev_b32_e32 v6, 2, v0
	s_waitcnt lgkmcnt(0)
	s_add_i32 s3, s3, -1
	s_delay_alu instid0(SALU_CYCLE_1) | instskip(NEXT) | instid1(SALU_CYCLE_1)
	s_ashr_i32 s20, s3, 31
	s_lshr_b32 s20, s20, 26
	s_delay_alu instid0(SALU_CYCLE_1) | instskip(NEXT) | instid1(SALU_CYCLE_1)
	s_add_i32 s3, s3, s20
	s_ashr_i32 s3, s3, 6
	s_delay_alu instid0(SALU_CYCLE_1) | instskip(SKIP_2) | instid1(VALU_DEP_1)
	s_add_i32 s20, s3, 1
	s_not_b32 s3, s3
	v_cvt_f32_u32_e32 v1, s20
	v_rcp_iflag_f32_e32 v1, v1
	s_waitcnt_depctr 0xfff
	v_mul_f32_e32 v1, 0x4f7ffffe, v1
	s_delay_alu instid0(VALU_DEP_1) | instskip(NEXT) | instid1(VALU_DEP_1)
	v_cvt_u32_f32_e32 v1, v1
	v_readfirstlane_b32 s21, v1
	v_cndmask_b32_e64 v1, 0, 1, s18
	s_delay_alu instid0(VALU_DEP_2) | instskip(NEXT) | instid1(SALU_CYCLE_1)
	s_mul_i32 s3, s3, s21
	s_mul_hi_u32 s3, s21, s3
	s_delay_alu instid0(SALU_CYCLE_1) | instskip(NEXT) | instid1(SALU_CYCLE_1)
	s_add_i32 s21, s21, s3
	s_mul_hi_u32 s3, s14, s21
	s_delay_alu instid0(SALU_CYCLE_1) | instskip(SKIP_2) | instid1(SALU_CYCLE_1)
	s_mul_i32 s21, s3, s20
	s_add_i32 s22, s3, 1
	s_sub_i32 s21, s14, s21
	s_sub_i32 s23, s21, s20
	s_cmp_ge_u32 s21, s20
	s_cselect_b32 s3, s22, s3
	s_cselect_b32 s21, s23, s21
	s_add_i32 s22, s3, 1
	s_cmp_ge_u32 s21, s20
	s_cselect_b32 s21, s22, s3
	s_and_not1_b32 vcc_lo, exec_lo, s18
	s_mul_i32 s3, s21, s20
	s_delay_alu instid0(SALU_CYCLE_1) | instskip(SKIP_2) | instid1(SALU_CYCLE_1)
	s_sub_i32 s14, s14, s3
	v_cmp_ne_u32_e64 s3, 1, v1
	s_lshl_b32 s14, s14, 6
	v_add_nc_u32_e32 v0, s14, v6
	s_cbranch_vccnz .LBB290_11
; %bb.10:
	s_delay_alu instid0(VALU_DEP_1) | instskip(NEXT) | instid1(VALU_DEP_1)
	v_mad_i64_i32 v[1:2], null, v0, s19, 0
	v_lshlrev_b64 v[1:2], 1, v[1:2]
	s_delay_alu instid0(VALU_DEP_1) | instskip(NEXT) | instid1(VALU_DEP_2)
	v_add_co_u32 v1, vcc_lo, s10, v1
	v_add_co_ci_u32_e32 v2, vcc_lo, s11, v2, vcc_lo
	s_delay_alu instid0(VALU_DEP_2) | instskip(NEXT) | instid1(VALU_DEP_2)
	v_add_co_u32 v1, vcc_lo, v1, v45
	v_add_co_ci_u32_e32 v2, vcc_lo, 0, v2, vcc_lo
	flat_load_u16 v1, v[1:2]
	s_waitcnt vmcnt(0) lgkmcnt(0)
	v_mul_f16_e32 v7, s9, v1
	s_branch .LBB290_12
.LBB290_11:
	v_mov_b32_e32 v7, 0
.LBB290_12:
	s_load_b32 s20, s[0:1], 0x30
	s_lshl_b32 s18, s21, 7
	s_and_b32 vcc_lo, exec_lo, s3
	v_add_nc_u32_e32 v1, s18, v6
	s_delay_alu instid0(VALU_DEP_1)
	v_add_nc_u32_e32 v2, 64, v1
	s_cbranch_vccnz .LBB290_16
; %bb.13:
	s_waitcnt lgkmcnt(0)
	v_mad_i64_i32 v[3:4], null, v1, s20, 0
	s_delay_alu instid0(VALU_DEP_2) | instskip(SKIP_1) | instid1(VALU_DEP_1)
	v_mad_i64_i32 v[8:9], null, v2, s20, 0
	v_add_co_u32 v5, s21, s12, v45
	v_add_co_ci_u32_e64 v10, null, s13, 0, s21
	s_delay_alu instid0(VALU_DEP_4) | instskip(NEXT) | instid1(VALU_DEP_4)
	v_lshlrev_b64 v[3:4], 1, v[3:4]
	v_lshlrev_b64 v[8:9], 1, v[8:9]
	s_delay_alu instid0(VALU_DEP_2) | instskip(NEXT) | instid1(VALU_DEP_3)
	v_add_co_u32 v3, vcc_lo, v5, v3
	v_add_co_ci_u32_e32 v4, vcc_lo, v10, v4, vcc_lo
	s_delay_alu instid0(VALU_DEP_3) | instskip(NEXT) | instid1(VALU_DEP_4)
	v_add_co_u32 v8, vcc_lo, v5, v8
	v_add_co_ci_u32_e32 v9, vcc_lo, v10, v9, vcc_lo
	s_clause 0x1
	flat_load_u16 v3, v[3:4]
	flat_load_u16 v4, v[8:9]
	s_waitcnt vmcnt(1) lgkmcnt(1)
	v_mul_f16_e32 v8, s9, v3
	s_waitcnt vmcnt(0) lgkmcnt(0)
	v_mul_f16_e32 v9, s9, v4
	s_and_b32 vcc_lo, exec_lo, s3
	s_cbranch_vccnz .LBB290_17
.LBB290_14:
	v_mad_i64_i32 v[3:4], null, v0, s19, 0
	s_delay_alu instid0(VALU_DEP_1) | instskip(NEXT) | instid1(VALU_DEP_1)
	v_lshlrev_b64 v[3:4], 1, v[3:4]
	v_add_co_u32 v3, vcc_lo, s10, v3
	s_delay_alu instid0(VALU_DEP_2) | instskip(NEXT) | instid1(VALU_DEP_2)
	v_add_co_ci_u32_e32 v4, vcc_lo, s11, v4, vcc_lo
	v_add_co_u32 v3, vcc_lo, v3, v45
	s_delay_alu instid0(VALU_DEP_2)
	v_add_co_ci_u32_e32 v4, vcc_lo, 0, v4, vcc_lo
	flat_load_u16 v3, v[3:4] offset:8
	s_waitcnt vmcnt(0) lgkmcnt(0)
	v_mul_f16_e32 v3, s9, v3
	s_and_b32 vcc_lo, exec_lo, s3
	s_cbranch_vccnz .LBB290_18
.LBB290_15:
	s_waitcnt lgkmcnt(0)
	v_mad_i64_i32 v[4:5], null, v1, s20, 0
	v_mad_i64_i32 v[10:11], null, v2, s20, 0
	v_add_co_u32 v12, s21, s12, v45
	s_delay_alu instid0(VALU_DEP_1) | instskip(NEXT) | instid1(VALU_DEP_4)
	v_add_co_ci_u32_e64 v13, null, s13, 0, s21
	v_lshlrev_b64 v[4:5], 1, v[4:5]
	s_delay_alu instid0(VALU_DEP_4) | instskip(NEXT) | instid1(VALU_DEP_2)
	v_lshlrev_b64 v[10:11], 1, v[10:11]
	v_add_co_u32 v4, vcc_lo, v12, v4
	s_delay_alu instid0(VALU_DEP_3) | instskip(NEXT) | instid1(VALU_DEP_3)
	v_add_co_ci_u32_e32 v5, vcc_lo, v13, v5, vcc_lo
	v_add_co_u32 v10, vcc_lo, v12, v10
	s_delay_alu instid0(VALU_DEP_4)
	v_add_co_ci_u32_e32 v11, vcc_lo, v13, v11, vcc_lo
	s_clause 0x1
	flat_load_u16 v4, v[4:5] offset:8
	flat_load_u16 v5, v[10:11] offset:8
	s_waitcnt vmcnt(1) lgkmcnt(1)
	v_mul_f16_e32 v4, s9, v4
	s_waitcnt vmcnt(0) lgkmcnt(0)
	v_mul_f16_e32 v5, s9, v5
	s_branch .LBB290_19
.LBB290_16:
	v_dual_mov_b32 v8, 0 :: v_dual_mov_b32 v9, 0
	s_and_b32 vcc_lo, exec_lo, s3
	s_cbranch_vccz .LBB290_14
.LBB290_17:
	v_mov_b32_e32 v3, 0
	s_and_b32 vcc_lo, exec_lo, s3
	s_cbranch_vccz .LBB290_15
.LBB290_18:
	v_dual_mov_b32 v4, 0 :: v_dual_mov_b32 v5, 0
.LBB290_19:
	v_lshlrev_b32_e32 v44, 3, v24
	v_lshl_or_b32 v54, v6, 3, v45
	v_lshlrev_b32_e32 v43, 3, v42
	s_cmp_lt_i32 s8, 9
	ds_store_b16 v54, v8
	ds_store_b16 v54, v7 offset:2048
	ds_store_b16 v54, v9 offset:512
	v_add_nc_u32_e32 v22, 0x800, v44
	s_waitcnt lgkmcnt(0)
	s_barrier
	buffer_gl0_inv
	ds_load_2addr_b64 v[6:9], v43 offset1:32
	ds_load_2addr_b64 v[10:13], v22 offset0:48 offset1:56
	ds_load_2addr_b64 v[14:17], v43 offset0:64 offset1:96
	ds_load_2addr_b64 v[18:21], v22 offset1:8
	ds_load_2addr_b64 v[25:28], v22 offset0:16 offset1:24
	ds_load_2addr_b64 v[33:36], v22 offset0:32 offset1:40
	ds_store_b16 v54, v4 offset:1024
	ds_store_b16 v54, v3 offset:2560
	;; [unrolled: 1-line block ×3, first 2 shown]
	s_waitcnt lgkmcnt(0)
	s_barrier
	buffer_gl0_inv
	v_pk_max_f16 v6, v6, v6
	v_pk_max_f16 v8, v8, v8
	;; [unrolled: 1-line block ×9, first 2 shown]
	v_pk_min_f16 v40, v25, v6
	v_pk_min_f16 v41, v25, v8
	v_pk_max_f16 v20, v20, v20
	v_pk_min_f16 v22, v12, v6
	v_pk_min_f16 v49, v27, v14
	v_pk_add_f16 v47, v40, 0
	v_pk_min_f16 v40, v27, v6
	v_pk_add_f16 v48, v41, 0
	v_pk_min_f16 v41, v27, v8
	v_pk_max_f16 v35, v35, v35
	v_pk_max_f16 v10, v10, v10
	v_pk_add_f16 v55, v40, 0
	v_pk_min_f16 v40, v33, v6
	v_pk_add_f16 v56, v41, 0
	v_pk_min_f16 v41, v33, v8
	v_pk_max_f16 v7, v7, v7
	v_pk_max_f16 v13, v13, v13
	v_pk_add_f16 v62, v40, 0
	v_pk_min_f16 v40, v33, v14
	v_pk_min_f16 v33, v33, v16
	;; [unrolled: 1-line block ×12, first 2 shown]
	v_pk_add_f16 v22, v22, 0
	v_pk_min_f16 v46, v25, v14
	v_pk_min_f16 v25, v25, v16
	;; [unrolled: 1-line block ×3, first 2 shown]
	v_pk_add_f16 v57, v49, 0
	v_pk_add_f16 v63, v41, 0
	v_pk_min_f16 v41, v35, v6
	v_pk_min_f16 v49, v35, v8
	v_pk_add_f16 v65, v33, 0
	v_pk_min_f16 v33, v35, v14
	v_pk_min_f16 v35, v35, v16
	v_pk_min_f16 v6, v10, v6
	v_pk_min_f16 v8, v10, v8
	v_pk_min_f16 v14, v10, v14
	v_pk_min_f16 v10, v10, v16
	v_pk_max_f16 v9, v9, v9
	v_pk_min_f16 v12, v12, v16
	v_pk_min_f16 v16, v13, v7
	v_pk_add_f16 v23, v23, 0
	v_pk_add_f16 v68, v33, 0
	v_pk_max_f16 v15, v15, v15
	v_pk_min_f16 v33, v13, v9
	v_pk_max_f16 v19, v19, v19
	v_pk_add_f16 v53, v16, v22
	v_pk_max_f16 v16, v17, v17
	v_pk_add_f16 v30, v30, 0
	v_pk_add_f16 v31, v31, 0
	;; [unrolled: 1-line block ×6, first 2 shown]
	v_pk_min_f16 v17, v19, v7
	v_pk_min_f16 v22, v19, v9
	;; [unrolled: 1-line block ×4, first 2 shown]
	v_pk_max_f16 v21, v21, v21
	v_pk_add_f16 v37, v37, 0
	v_pk_add_f16 v38, v38, 0
	;; [unrolled: 1-line block ×9, first 2 shown]
	v_pk_min_f16 v17, v21, v7
	v_pk_min_f16 v18, v21, v9
	;; [unrolled: 1-line block ×4, first 2 shown]
	v_pk_max_f16 v22, v26, v26
	v_pk_add_f16 v46, v46, 0
	v_pk_add_f16 v25, v25, 0
	;; [unrolled: 1-line block ×6, first 2 shown]
	v_pk_min_f16 v17, v22, v7
	v_pk_min_f16 v18, v22, v9
	;; [unrolled: 1-line block ×4, first 2 shown]
	v_pk_max_f16 v21, v28, v28
	v_pk_add_f16 v29, v29, 0
	v_pk_add_f16 v27, v27, 0
	;; [unrolled: 1-line block ×3, first 2 shown]
	v_pk_min_f16 v35, v13, v15
	v_pk_add_f16 v59, v17, v47
	v_pk_add_f16 v50, v18, v48
	;; [unrolled: 1-line block ×4, first 2 shown]
	v_pk_min_f16 v17, v21, v7
	v_pk_min_f16 v18, v21, v9
	;; [unrolled: 1-line block ×4, first 2 shown]
	v_pk_max_f16 v21, v34, v34
	v_pk_add_f16 v67, v49, 0
	v_pk_add_f16 v33, v35, v29
	v_pk_add_f16 v58, v17, v55
	v_pk_add_f16 v49, v18, v56
	v_pk_add_f16 v37, v19, v57
	v_pk_add_f16 v29, v20, v27
	v_pk_min_f16 v17, v21, v7
	v_pk_min_f16 v18, v21, v9
	;; [unrolled: 1-line block ×4, first 2 shown]
	v_pk_max_f16 v21, v36, v36
	v_pk_max_f16 v11, v11, v11
	v_pk_add_f16 v6, v6, 0
	v_pk_add_f16 v8, v8, 0
	;; [unrolled: 1-line block ×9, first 2 shown]
	v_pk_min_f16 v17, v21, v7
	v_pk_min_f16 v18, v21, v9
	v_pk_min_f16 v19, v21, v15
	v_pk_min_f16 v20, v21, v16
	v_pk_min_f16 v7, v11, v7
	v_pk_min_f16 v9, v11, v9
	v_pk_min_f16 v15, v11, v15
	v_pk_min_f16 v11, v11, v16
	v_pk_min_f16 v13, v13, v16
	v_pk_add_f16 v56, v17, v66
	v_pk_add_f16 v47, v18, v67
	;; [unrolled: 1-line block ×9, first 2 shown]
	s_cbranch_scc1 .LBB290_33
; %bb.20:
	v_mad_i64_i32 v[3:4], null, v0, s19, 0
	v_mad_i64_i32 v[5:6], null, s20, v2, 0
	;; [unrolled: 1-line block ×3, first 2 shown]
	v_add_nc_u32_e32 v62, 0x800, v54
	v_add_nc_u32_e32 v63, 0x800, v44
	v_lshlrev_b64 v[2:3], 1, v[3:4]
	v_add_nc_u32_e32 v64, 0xa00, v54
	v_lshlrev_b64 v[0:1], 1, v[5:6]
	v_add_nc_u32_e32 v65, 0x400, v54
	v_lshl_add_u32 v68, v24, 3, 0xa00
	v_lshl_add_u32 v69, v42, 3, 0x400
	v_add_co_u32 v66, vcc_lo, s10, v2
	v_add_co_ci_u32_e32 v67, vcc_lo, s11, v3, vcc_lo
	v_lshlrev_b64 v[2:3], 1, v[7:8]
	v_add_co_u32 v70, vcc_lo, s12, v0
	v_add_co_ci_u32_e32 v71, vcc_lo, s13, v1, vcc_lo
	s_add_i32 s8, s8, -8
	s_delay_alu instid0(VALU_DEP_3) | instskip(NEXT) | instid1(VALU_DEP_4)
	v_add_co_u32 v72, vcc_lo, s12, v2
	v_add_co_ci_u32_e32 v73, vcc_lo, s13, v3, vcc_lo
	s_mov_b32 s10, 0
	s_branch .LBB290_23
.LBB290_21:                             ;   in Loop: Header=BB290_23 Depth=1
	v_add_co_u32 v0, vcc_lo, v72, v45
	v_add_co_ci_u32_e32 v1, vcc_lo, 0, v73, vcc_lo
	v_add_co_u32 v117, vcc_lo, v70, v45
	v_add_co_ci_u32_e32 v118, vcc_lo, 0, v71, vcc_lo
	flat_load_u16 v0, v[0:1] offset:24
	flat_load_u16 v1, v[117:118] offset:24
	s_waitcnt vmcnt(1) lgkmcnt(1)
	v_mul_f16_e32 v0, s9, v0
	s_waitcnt vmcnt(0) lgkmcnt(0)
	v_mul_f16_e32 v1, s9, v1
.LBB290_22:                             ;   in Loop: Header=BB290_23 Depth=1
	v_pk_add_f16 v16, v16, v33
	v_pk_add_f16 v22, v22, v32
	;; [unrolled: 1-line block ×30, first 2 shown]
	ds_load_2addr_b64 v[25:28], v63 offset0:48 offset1:56
	ds_load_2addr_b64 v[29:32], v43 offset1:32
	ds_load_2addr_b64 v[33:36], v43 offset0:64 offset1:96
	v_pk_add_f16 v78, v114, v39
	v_pk_add_f16 v79, v116, v38
	;; [unrolled: 1-line block ×4, first 2 shown]
	ds_load_2addr_b64 v[37:40], v63 offset1:8
	v_pk_add_f16 v8, v8, v60
	v_pk_add_f16 v47, v89, v47
	v_pk_add_f16 v14, v14, v61
	v_pk_add_f16 v60, v103, v2
	v_pk_add_f16 v12, v104, v12
	v_pk_add_f16 v16, v105, v16
	v_pk_add_f16 v61, v110, v8
	v_pk_add_f16 v80, v96, v4
	v_pk_add_f16 v82, v102, v6
	v_pk_add_f16 v48, v3, v48
	v_pk_add_f16 v51, v5, v51
	v_pk_add_f16 v13, v13, v52
	s_waitcnt lgkmcnt(3)
	v_pk_max_f16 v27, v27, v27
	s_waitcnt lgkmcnt(2)
	v_pk_max_f16 v29, v29, v29
	v_pk_max_f16 v31, v31, v31
	s_waitcnt lgkmcnt(1)
	v_pk_max_f16 v33, v33, v33
	v_pk_add_f16 v15, v15, v47
	v_pk_add_f16 v47, v7, v58
	;; [unrolled: 1-line block ×3, first 2 shown]
	v_pk_min_f16 v6, v27, v29
	v_pk_min_f16 v7, v27, v31
	v_pk_min_f16 v8, v27, v33
	ds_load_2addr_b64 v[2:5], v63 offset0:16 offset1:24
	s_waitcnt lgkmcnt(1)
	v_pk_max_f16 v9, v37, v37
	v_pk_max_f16 v35, v35, v35
	v_pk_add_f16 v14, v106, v14
	v_pk_add_f16 v18, v107, v18
	;; [unrolled: 1-line block ×7, first 2 shown]
	v_pk_min_f16 v6, v9, v29
	v_pk_min_f16 v7, v9, v31
	;; [unrolled: 1-line block ×4, first 2 shown]
	v_pk_add_f16 v55, v92, v55
	v_pk_add_f16 v14, v6, v14
	;; [unrolled: 1-line block ×5, first 2 shown]
	ds_load_2addr_b64 v[6:9], v63 offset0:32 offset1:40
	v_pk_max_f16 v39, v39, v39
	v_pk_add_f16 v17, v17, v53
	v_pk_add_f16 v19, v19, v56
	;; [unrolled: 1-line block ×3, first 2 shown]
	s_waitcnt lgkmcnt(1)
	v_pk_max_f16 v2, v2, v2
	v_pk_min_f16 v53, v39, v29
	v_pk_min_f16 v55, v39, v31
	;; [unrolled: 1-line block ×4, first 2 shown]
	v_pk_max_f16 v4, v4, v4
	v_pk_add_f16 v46, v93, v46
	v_pk_add_f16 v41, v97, v41
	v_pk_add_f16 v55, v55, v75
	v_pk_add_f16 v58, v39, v77
	v_pk_min_f16 v39, v2, v29
	v_pk_add_f16 v10, v115, v10
	v_pk_add_f16 v50, v100, v50
	;; [unrolled: 1-line block ×5, first 2 shown]
	v_pk_min_f16 v39, v4, v31
	s_waitcnt lgkmcnt(0)
	v_pk_max_f16 v6, v6, v6
	v_pk_add_f16 v57, v53, v61
	v_pk_min_f16 v53, v2, v31
	v_pk_min_f16 v59, v2, v33
	;; [unrolled: 1-line block ×3, first 2 shown]
	v_pk_add_f16 v77, v39, v41
	v_pk_min_f16 v39, v6, v29
	v_pk_add_f16 v49, v99, v49
	v_pk_add_f16 v56, v56, v76
	;; [unrolled: 1-line block ×5, first 2 shown]
	v_pk_min_f16 v11, v4, v29
	v_pk_min_f16 v53, v4, v33
	;; [unrolled: 1-line block ×4, first 2 shown]
	v_pk_max_f16 v8, v8, v8
	v_pk_add_f16 v79, v39, v50
	v_pk_min_f16 v39, v6, v33
	v_pk_max_f16 v25, v25, v25
	v_pk_add_f16 v11, v11, v80
	v_pk_add_f16 v78, v53, v81
	;; [unrolled: 1-line block ×4, first 2 shown]
	v_pk_min_f16 v41, v8, v29
	v_pk_min_f16 v49, v8, v31
	v_pk_add_f16 v81, v39, v48
	v_pk_min_f16 v39, v8, v33
	v_pk_min_f16 v8, v8, v35
	v_pk_min_f16 v29, v25, v29
	v_pk_min_f16 v31, v25, v31
	v_pk_min_f16 v33, v25, v33
	v_pk_max_f16 v28, v28, v28
	v_pk_max_f16 v82, v32, v32
	v_pk_add_f16 v8, v8, v19
	v_pk_add_f16 v19, v29, v21
	;; [unrolled: 1-line block ×4, first 2 shown]
	v_pk_max_f16 v46, v30, v30
	v_pk_min_f16 v27, v27, v35
	v_pk_max_f16 v34, v34, v34
	v_pk_min_f16 v30, v28, v82
	v_pk_add_f16 v13, v41, v13
	v_pk_min_f16 v29, v28, v46
	v_pk_add_f16 v83, v27, v52
	v_pk_min_f16 v27, v28, v34
	v_pk_max_f16 v31, v38, v38
	v_pk_add_f16 v41, v30, v12
	v_pk_max_f16 v12, v36, v36
	v_pk_add_f16 v53, v29, v37
	v_pk_add_f16 v33, v27, v16
	v_pk_min_f16 v16, v31, v46
	v_pk_min_f16 v27, v31, v82
	;; [unrolled: 1-line block ×4, first 2 shown]
	v_pk_max_f16 v31, v40, v40
	v_pk_min_f16 v6, v6, v35
	v_pk_add_f16 v61, v16, v14
	v_pk_add_f16 v52, v27, v18
	v_pk_max_f16 v3, v3, v3
	v_pk_min_f16 v14, v31, v46
	v_pk_min_f16 v16, v31, v82
	v_pk_min_f16 v18, v31, v34
	v_pk_add_f16 v6, v6, v51
	v_pk_add_f16 v17, v39, v17
	;; [unrolled: 1-line block ×5, first 2 shown]
	v_pk_min_f16 v14, v3, v46
	v_pk_min_f16 v16, v3, v82
	;; [unrolled: 1-line block ×4, first 2 shown]
	v_pk_max_f16 v5, v5, v5
	v_pk_add_f16 v40, v29, v20
	v_pk_add_f16 v32, v30, v22
	v_pk_min_f16 v20, v31, v12
	v_pk_add_f16 v50, v16, v10
	v_pk_add_f16 v30, v3, v2
	v_pk_min_f16 v2, v5, v46
	v_pk_min_f16 v3, v5, v82
	;; [unrolled: 1-line block ×4, first 2 shown]
	v_pk_max_f16 v7, v7, v7
	v_pk_add_f16 v15, v49, v15
	v_pk_add_f16 v31, v20, v58
	;; [unrolled: 1-line block ×5, first 2 shown]
	v_pk_min_f16 v2, v7, v46
	v_pk_min_f16 v3, v7, v82
	;; [unrolled: 1-line block ×4, first 2 shown]
	v_pk_max_f16 v7, v9, v9
	v_pk_min_f16 v25, v25, v35
	v_pk_add_f16 v57, v2, v79
	v_pk_add_f16 v48, v3, v80
	;; [unrolled: 1-line block ×4, first 2 shown]
	v_pk_min_f16 v2, v7, v46
	v_pk_min_f16 v3, v7, v82
	;; [unrolled: 1-line block ×4, first 2 shown]
	v_pk_max_f16 v6, v26, v26
	v_add_co_u32 v70, vcc_lo, v70, 16
	v_add_co_ci_u32_e32 v71, vcc_lo, 0, v71, vcc_lo
	v_pk_add_f16 v25, v25, v47
	v_pk_add_f16 v56, v2, v13
	;; [unrolled: 1-line block ×5, first 2 shown]
	v_pk_min_f16 v2, v6, v46
	v_pk_min_f16 v3, v6, v82
	;; [unrolled: 1-line block ×5, first 2 shown]
	v_add_co_u32 v72, vcc_lo, v72, 16
	v_add_co_ci_u32_e32 v73, vcc_lo, 0, v73, vcc_lo
	v_add_co_u32 v66, vcc_lo, v66, 16
	v_pk_add_f16 v59, v14, v75
	v_pk_add_f16 v38, v18, v76
	;; [unrolled: 1-line block ×8, first 2 shown]
	v_add_co_ci_u32_e32 v67, vcc_lo, 0, v67, vcc_lo
	s_add_i32 s10, s10, 8
	ds_store_b16 v64, v74
	ds_store_b16 v65, v0
	ds_store_b16 v65, v1 offset:512
	s_cmp_ge_i32 s10, s8
	s_waitcnt lgkmcnt(0)
	s_barrier
	buffer_gl0_inv
	s_cbranch_scc1 .LBB290_33
.LBB290_23:                             ; =>This Inner Loop Header: Depth=1
	v_mov_b32_e32 v74, 0
	s_and_b32 vcc_lo, exec_lo, s3
	s_cbranch_vccnz .LBB290_25
; %bb.24:                               ;   in Loop: Header=BB290_23 Depth=1
	v_add_co_u32 v0, vcc_lo, v66, v45
	v_add_co_ci_u32_e32 v1, vcc_lo, 0, v67, vcc_lo
	flat_load_u16 v0, v[0:1] offset:16
	s_waitcnt vmcnt(0) lgkmcnt(0)
	v_mul_f16_e32 v74, s9, v0
.LBB290_25:                             ;   in Loop: Header=BB290_23 Depth=1
	s_and_b32 vcc_lo, exec_lo, s3
	s_cbranch_vccnz .LBB290_27
; %bb.26:                               ;   in Loop: Header=BB290_23 Depth=1
	v_add_co_u32 v0, vcc_lo, v72, v45
	v_add_co_ci_u32_e32 v1, vcc_lo, 0, v73, vcc_lo
	v_add_co_u32 v2, vcc_lo, v70, v45
	v_add_co_ci_u32_e32 v3, vcc_lo, 0, v71, vcc_lo
	flat_load_u16 v0, v[0:1] offset:16
	flat_load_u16 v1, v[2:3] offset:16
	s_waitcnt vmcnt(1) lgkmcnt(1)
	v_mul_f16_e32 v75, s9, v0
	s_waitcnt vmcnt(0) lgkmcnt(0)
	v_mul_f16_e32 v76, s9, v1
	s_branch .LBB290_28
.LBB290_27:                             ;   in Loop: Header=BB290_23 Depth=1
	v_dual_mov_b32 v75, 0 :: v_dual_mov_b32 v76, 0
.LBB290_28:                             ;   in Loop: Header=BB290_23 Depth=1
	ds_load_2addr_b64 v[0:3], v68 offset0:48 offset1:56
	ds_load_2addr_b64 v[12:15], v69 offset0:64 offset1:96
	ds_load_2addr_b64 v[20:23], v69 offset1:32
	ds_load_2addr_b64 v[16:19], v68 offset1:8
	ds_load_2addr_b64 v[8:11], v68 offset0:16 offset1:24
	ds_load_2addr_b64 v[4:7], v68 offset0:32 offset1:40
	s_and_b32 vcc_lo, exec_lo, s3
	ds_store_b16 v62, v74
	ds_store_b16 v54, v75
	ds_store_b16 v54, v76 offset:512
	s_waitcnt lgkmcnt(0)
	s_barrier
	buffer_gl0_inv
	s_cbranch_vccnz .LBB290_30
; %bb.29:                               ;   in Loop: Header=BB290_23 Depth=1
	v_add_co_u32 v74, vcc_lo, v66, v45
	v_add_co_ci_u32_e32 v75, vcc_lo, 0, v67, vcc_lo
	flat_load_u16 v74, v[74:75] offset:24
	s_waitcnt vmcnt(0) lgkmcnt(0)
	v_mul_f16_e32 v74, s9, v74
	s_branch .LBB290_31
.LBB290_30:                             ;   in Loop: Header=BB290_23 Depth=1
	v_mov_b32_e32 v74, 0
.LBB290_31:                             ;   in Loop: Header=BB290_23 Depth=1
	v_pk_max_f16 v87, v2, v2
	v_pk_max_f16 v92, v20, v20
	;; [unrolled: 1-line block ×12, first 2 shown]
	v_pk_min_f16 v2, v87, v92
	v_pk_min_f16 v12, v87, v93
	;; [unrolled: 1-line block ×25, first 2 shown]
	v_pk_max_f16 v0, v3, v3
	v_pk_max_f16 v21, v21, v21
	;; [unrolled: 1-line block ×9, first 2 shown]
	v_pk_min_f16 v106, v3, v21
	v_pk_min_f16 v107, v3, v23
	;; [unrolled: 1-line block ×4, first 2 shown]
	v_pk_max_f16 v3, v9, v9
	v_pk_max_f16 v9, v11, v11
	;; [unrolled: 1-line block ×3, first 2 shown]
	v_pk_min_f16 v22, v22, v96
	v_pk_min_f16 v77, v77, v96
	;; [unrolled: 1-line block ×35, first 2 shown]
	s_and_b32 vcc_lo, exec_lo, s3
	s_cbranch_vccz .LBB290_21
; %bb.32:                               ;   in Loop: Header=BB290_23 Depth=1
	v_dual_mov_b32 v0, 0 :: v_dual_mov_b32 v1, 0
	s_branch .LBB290_22
.LBB290_33:
	s_load_b32 s8, s[0:1], 0x50
	v_add_nc_u32_e32 v42, s18, v42
	ds_load_b64 v[0:1], v43 offset:1024
	ds_load_b64 v[2:3], v44 offset:2560
	v_add_nc_u32_e32 v22, s14, v24
	v_cmp_neq_f16_e64 s9, s16, 0
	v_mov_b32_e32 v62, 0
	v_mov_b32_e32 v20, 0
	s_delay_alu instid0(VALU_DEP_4) | instskip(NEXT) | instid1(VALU_DEP_4)
	v_ashrrev_i32_e32 v23, 31, v22
	s_and_b32 vcc_lo, exec_lo, s9
	s_delay_alu instid0(VALU_DEP_1) | instskip(SKIP_2) | instid1(VALU_DEP_1)
	v_lshlrev_b64 v[16:17], 1, v[22:23]
	s_waitcnt lgkmcnt(0)
	v_mad_i64_i32 v[4:5], null, v42, s8, 0
	v_lshlrev_b64 v[4:5], 1, v[4:5]
	s_delay_alu instid0(VALU_DEP_1) | instskip(NEXT) | instid1(VALU_DEP_1)
	v_add_co_u32 v66, s3, s4, v4
	v_add_co_ci_u32_e64 v67, s3, s5, v5, s3
	s_cbranch_vccz .LBB290_35
; %bb.34:
	s_delay_alu instid0(VALU_DEP_2) | instskip(NEXT) | instid1(VALU_DEP_2)
	v_add_co_u32 v4, vcc_lo, v66, v16
	v_add_co_ci_u32_e32 v5, vcc_lo, v67, v17, vcc_lo
	flat_load_u16 v4, v[4:5]
	s_waitcnt vmcnt(0) lgkmcnt(0)
	v_mul_f16_e32 v20, s16, v4
.LBB290_35:
	s_clause 0x1
	s_load_b64 s[10:11], s[0:1], 0x70
	s_load_b32 s1, s[0:1], 0x68
	v_pk_max_f16 v69, v0, v0
	v_pk_max_f16 v45, v2, v2
	;; [unrolled: 1-line block ×4, first 2 shown]
	v_add_nc_u32_e32 v4, 0x800, v44
	ds_load_b64 v[23:24], v44 offset:3008
	ds_load_b64 v[18:19], v43 offset:1792
	v_pk_min_f16 v0, v45, v69
	v_pk_min_f16 v5, v54, v68
	s_delay_alu instid0(VALU_DEP_2)
	v_pk_add_f16 v6, v0, v61
	ds_load_2addr_b64 v[0:3], v43 offset0:160 offset1:192
	ds_load_2addr_b64 v[12:15], v4 offset0:72 offset1:80
	;; [unrolled: 1-line block ×3, first 2 shown]
	v_add_nc_u32_e32 v43, 8, v22
	v_pk_add_f16 v21, v5, v6
	ds_load_2addr_b64 v[4:7], v4 offset0:104 offset1:112
	s_waitcnt lgkmcnt(0)
	s_mul_i32 s0, s15, s11
	v_mad_i64_i32 v[63:64], null, v42, s1, 0
	s_mul_hi_u32 s3, s15, s10
	s_mul_i32 s11, s17, s10
	s_add_i32 s0, s3, s0
	s_mul_i32 s10, s15, s10
	s_add_i32 s11, s0, s11
	v_lshrrev_b32_e32 v61, 16, v21
	s_delay_alu instid0(VALU_DEP_2)
	v_lshlrev_b64 v[63:64], 1, v[63:64]
	s_lshl_b64 s[10:11], s[10:11], 1
	v_ashrrev_i32_e32 v44, 31, v43
	s_add_u32 s3, s6, s10
	s_addc_u32 s6, s7, s11
	v_add_f16_e32 v21, v21, v61
	v_add_co_u32 v70, vcc_lo, s3, v63
	v_cndmask_b32_e64 v61, 0, 1, s9
	v_add_co_ci_u32_e32 v71, vcc_lo, s6, v64, vcc_lo
	s_delay_alu instid0(VALU_DEP_3)
	v_add_co_u32 v63, vcc_lo, v70, v16
	v_add_f16_e32 v65, v21, v20
	v_lshlrev_b64 v[20:21], 1, v[43:44]
	v_cmp_ne_u32_e64 s0, 1, v61
	v_add_co_ci_u32_e32 v64, vcc_lo, v71, v17, vcc_lo
	s_and_not1_b32 vcc_lo, exec_lo, s9
	global_store_b16 v[63:64], v65, off
	s_cbranch_vccnz .LBB290_37
; %bb.36:
	v_add_co_u32 v43, vcc_lo, v66, v20
	v_add_co_ci_u32_e32 v44, vcc_lo, v67, v21, vcc_lo
	flat_load_u16 v43, v[43:44]
	s_waitcnt vmcnt(0) lgkmcnt(0)
	v_mul_f16_e32 v62, s16, v43
.LBB290_37:
	v_pk_max_f16 v43, v12, v12
	v_pk_max_f16 v44, v13, v13
	v_mov_b32_e32 v63, 0
	s_delay_alu instid0(VALU_DEP_3) | instskip(NEXT) | instid1(VALU_DEP_3)
	v_pk_min_f16 v12, v43, v69
	v_pk_min_f16 v13, v44, v68
	s_delay_alu instid0(VALU_DEP_2) | instskip(NEXT) | instid1(VALU_DEP_1)
	v_pk_add_f16 v12, v12, v60
	v_pk_add_f16 v60, v13, v12
	v_add_nc_u32_e32 v12, 16, v22
	s_delay_alu instid0(VALU_DEP_2) | instskip(NEXT) | instid1(VALU_DEP_2)
	v_lshrrev_b32_e32 v61, 16, v60
	v_ashrrev_i32_e32 v13, 31, v12
	s_delay_alu instid0(VALU_DEP_2) | instskip(SKIP_1) | instid1(VALU_DEP_3)
	v_add_f16_e32 v64, v60, v61
	v_add_co_u32 v60, vcc_lo, v70, v20
	v_lshlrev_b64 v[12:13], 1, v[12:13]
	v_add_co_ci_u32_e32 v61, vcc_lo, v71, v21, vcc_lo
	s_delay_alu instid0(VALU_DEP_4)
	v_add_f16_e32 v64, v64, v62
	v_mov_b32_e32 v62, 0
	s_and_b32 vcc_lo, exec_lo, s0
	global_store_b16 v[60:61], v64, off
	s_cbranch_vccnz .LBB290_39
; %bb.38:
	v_add_co_u32 v60, vcc_lo, v66, v12
	v_add_co_ci_u32_e32 v61, vcc_lo, v67, v13, vcc_lo
	flat_load_u16 v60, v[60:61]
	s_waitcnt vmcnt(0) lgkmcnt(0)
	v_mul_f16_e32 v62, s16, v60
.LBB290_39:
	v_pk_max_f16 v60, v14, v14
	v_pk_max_f16 v61, v15, v15
	s_delay_alu instid0(VALU_DEP_2) | instskip(NEXT) | instid1(VALU_DEP_2)
	v_pk_min_f16 v14, v60, v69
	v_pk_min_f16 v15, v61, v68
	s_delay_alu instid0(VALU_DEP_2) | instskip(NEXT) | instid1(VALU_DEP_1)
	v_pk_add_f16 v14, v14, v59
	v_pk_add_f16 v59, v15, v14
	v_add_nc_u32_e32 v14, 24, v22
	s_delay_alu instid0(VALU_DEP_2) | instskip(NEXT) | instid1(VALU_DEP_2)
	v_lshrrev_b32_e32 v64, 16, v59
	v_ashrrev_i32_e32 v15, 31, v14
	s_delay_alu instid0(VALU_DEP_2) | instskip(SKIP_1) | instid1(VALU_DEP_3)
	v_add_f16_e32 v59, v59, v64
	v_add_co_u32 v64, vcc_lo, v70, v12
	v_lshlrev_b64 v[14:15], 1, v[14:15]
	v_add_co_ci_u32_e32 v65, vcc_lo, v71, v13, vcc_lo
	s_delay_alu instid0(VALU_DEP_4)
	v_add_f16_e32 v59, v59, v62
	s_and_b32 vcc_lo, exec_lo, s0
	global_store_b16 v[64:65], v59, off
	s_cbranch_vccnz .LBB290_41
; %bb.40:
	v_add_co_u32 v62, vcc_lo, v66, v14
	v_add_co_ci_u32_e32 v63, vcc_lo, v67, v15, vcc_lo
	flat_load_u16 v59, v[62:63]
	s_waitcnt vmcnt(0) lgkmcnt(0)
	v_mul_f16_e32 v63, s16, v59
.LBB290_41:
	v_pk_max_f16 v59, v8, v8
	v_pk_max_f16 v62, v9, v9
	v_add_co_u32 v72, vcc_lo, v70, v14
	v_add_co_ci_u32_e32 v73, vcc_lo, v71, v15, vcc_lo
	s_delay_alu instid0(VALU_DEP_4) | instskip(NEXT) | instid1(VALU_DEP_4)
	v_pk_min_f16 v8, v59, v69
	v_pk_min_f16 v9, v62, v68
	s_and_b32 vcc_lo, exec_lo, s0
	v_mov_b32_e32 v65, 0
	s_delay_alu instid0(VALU_DEP_3) | instskip(NEXT) | instid1(VALU_DEP_1)
	v_pk_add_f16 v8, v8, v58
	v_pk_add_f16 v58, v9, v8
	v_add_nc_u32_e32 v8, 32, v22
	s_delay_alu instid0(VALU_DEP_2) | instskip(NEXT) | instid1(VALU_DEP_2)
	v_lshrrev_b32_e32 v64, 16, v58
	v_ashrrev_i32_e32 v9, 31, v8
	s_delay_alu instid0(VALU_DEP_2) | instskip(NEXT) | instid1(VALU_DEP_2)
	v_add_f16_e32 v58, v58, v64
	v_lshlrev_b64 v[8:9], 1, v[8:9]
	v_mov_b32_e32 v64, 0
	s_delay_alu instid0(VALU_DEP_3)
	v_add_f16_e32 v58, v58, v63
	global_store_b16 v[72:73], v58, off
	s_cbranch_vccnz .LBB290_43
; %bb.42:
	v_add_co_u32 v63, vcc_lo, v66, v8
	v_add_co_ci_u32_e32 v64, vcc_lo, v67, v9, vcc_lo
	flat_load_u16 v58, v[63:64]
	s_waitcnt vmcnt(0) lgkmcnt(0)
	v_mul_f16_e32 v64, s16, v58
.LBB290_43:
	v_pk_max_f16 v58, v10, v10
	v_pk_max_f16 v63, v11, v11
	s_delay_alu instid0(VALU_DEP_2) | instskip(NEXT) | instid1(VALU_DEP_2)
	v_pk_min_f16 v10, v58, v69
	v_pk_min_f16 v11, v63, v68
	s_delay_alu instid0(VALU_DEP_2) | instskip(NEXT) | instid1(VALU_DEP_1)
	v_pk_add_f16 v10, v10, v57
	v_pk_add_f16 v57, v11, v10
	v_add_nc_u32_e32 v10, 40, v22
	s_delay_alu instid0(VALU_DEP_2) | instskip(NEXT) | instid1(VALU_DEP_2)
	v_lshrrev_b32_e32 v72, 16, v57
	v_ashrrev_i32_e32 v11, 31, v10
	s_delay_alu instid0(VALU_DEP_2) | instskip(SKIP_1) | instid1(VALU_DEP_3)
	v_add_f16_e32 v57, v57, v72
	v_add_co_u32 v72, vcc_lo, v70, v8
	v_lshlrev_b64 v[10:11], 1, v[10:11]
	v_add_co_ci_u32_e32 v73, vcc_lo, v71, v9, vcc_lo
	s_delay_alu instid0(VALU_DEP_4)
	v_add_f16_e32 v57, v57, v64
	s_and_b32 vcc_lo, exec_lo, s0
	global_store_b16 v[72:73], v57, off
	s_cbranch_vccnz .LBB290_45
; %bb.44:
	v_add_co_u32 v64, vcc_lo, v66, v10
	v_add_co_ci_u32_e32 v65, vcc_lo, v67, v11, vcc_lo
	flat_load_u16 v57, v[64:65]
	s_waitcnt vmcnt(0) lgkmcnt(0)
	v_mul_f16_e32 v65, s16, v57
.LBB290_45:
	v_pk_max_f16 v57, v4, v4
	v_pk_max_f16 v64, v5, v5
	v_add_co_u32 v74, vcc_lo, v70, v10
	v_add_co_ci_u32_e32 v75, vcc_lo, v71, v11, vcc_lo
	s_delay_alu instid0(VALU_DEP_4) | instskip(NEXT) | instid1(VALU_DEP_4)
	v_pk_min_f16 v4, v57, v69
	v_pk_min_f16 v5, v64, v68
	s_and_b32 vcc_lo, exec_lo, s0
	v_mov_b32_e32 v73, 0
	s_delay_alu instid0(VALU_DEP_3) | instskip(NEXT) | instid1(VALU_DEP_1)
	v_pk_add_f16 v4, v4, v56
	v_pk_add_f16 v56, v5, v4
	v_add_nc_u32_e32 v4, 48, v22
	s_delay_alu instid0(VALU_DEP_2) | instskip(NEXT) | instid1(VALU_DEP_2)
	v_lshrrev_b32_e32 v72, 16, v56
	v_ashrrev_i32_e32 v5, 31, v4
	s_delay_alu instid0(VALU_DEP_2) | instskip(NEXT) | instid1(VALU_DEP_2)
	v_add_f16_e32 v56, v56, v72
	v_lshlrev_b64 v[4:5], 1, v[4:5]
	v_mov_b32_e32 v72, 0
	s_delay_alu instid0(VALU_DEP_3)
	v_add_f16_e32 v56, v56, v65
	global_store_b16 v[74:75], v56, off
	s_cbranch_vccnz .LBB290_47
; %bb.46:
	v_add_co_u32 v73, vcc_lo, v66, v4
	v_add_co_ci_u32_e32 v74, vcc_lo, v67, v5, vcc_lo
	flat_load_u16 v56, v[73:74]
	s_waitcnt vmcnt(0) lgkmcnt(0)
	v_mul_f16_e32 v73, s16, v56
.LBB290_47:
	v_pk_max_f16 v56, v6, v6
	v_pk_max_f16 v65, v7, v7
	v_add_co_u32 v74, vcc_lo, v70, v4
	v_add_co_ci_u32_e32 v75, vcc_lo, v71, v5, vcc_lo
	s_delay_alu instid0(VALU_DEP_4) | instskip(NEXT) | instid1(VALU_DEP_4)
	v_pk_min_f16 v6, v56, v69
	v_pk_min_f16 v7, v65, v68
	s_and_b32 vcc_lo, exec_lo, s0
	s_delay_alu instid0(VALU_DEP_2) | instskip(NEXT) | instid1(VALU_DEP_1)
	v_pk_add_f16 v6, v6, v55
	v_pk_add_f16 v55, v7, v6
	v_add_nc_u32_e32 v6, 56, v22
	s_delay_alu instid0(VALU_DEP_2) | instskip(NEXT) | instid1(VALU_DEP_2)
	v_lshrrev_b32_e32 v22, 16, v55
	v_ashrrev_i32_e32 v7, 31, v6
	s_delay_alu instid0(VALU_DEP_2) | instskip(NEXT) | instid1(VALU_DEP_2)
	v_add_f16_e32 v22, v55, v22
	v_lshlrev_b64 v[6:7], 1, v[6:7]
	s_delay_alu instid0(VALU_DEP_2)
	v_add_f16_e32 v22, v22, v73
	global_store_b16 v[74:75], v22, off
	s_cbranch_vccnz .LBB290_49
; %bb.48:
	v_add_co_u32 v66, vcc_lo, v66, v6
	v_add_co_ci_u32_e32 v67, vcc_lo, v67, v7, vcc_lo
	flat_load_u16 v22, v[66:67]
	s_waitcnt vmcnt(0) lgkmcnt(0)
	v_mul_f16_e32 v72, s16, v22
.LBB290_49:
	v_pk_max_f16 v22, v23, v23
	v_pk_max_f16 v23, v24, v24
	v_dual_mov_b32 v66, 0 :: v_dual_add_nc_u32 v67, 32, v42
	v_add_co_u32 v70, vcc_lo, v70, v6
	s_delay_alu instid0(VALU_DEP_4) | instskip(NEXT) | instid1(VALU_DEP_4)
	v_pk_min_f16 v24, v22, v69
	v_pk_min_f16 v55, v23, v68
	s_delay_alu instid0(VALU_DEP_4) | instskip(SKIP_1) | instid1(VALU_DEP_4)
	v_mad_i64_i32 v[68:69], null, v67, s8, 0
	v_add_co_ci_u32_e32 v71, vcc_lo, v71, v7, vcc_lo
	v_pk_add_f16 v24, v24, v53
	s_delay_alu instid0(VALU_DEP_3) | instskip(NEXT) | instid1(VALU_DEP_2)
	v_lshlrev_b64 v[68:69], 1, v[68:69]
	v_pk_add_f16 v24, v55, v24
	s_delay_alu instid0(VALU_DEP_1) | instskip(NEXT) | instid1(VALU_DEP_1)
	v_lshrrev_b32_e32 v53, 16, v24
	v_add_f16_e32 v55, v24, v53
	s_delay_alu instid0(VALU_DEP_4) | instskip(SKIP_1) | instid1(VALU_DEP_3)
	v_add_co_u32 v24, vcc_lo, s4, v68
	v_add_co_ci_u32_e32 v53, vcc_lo, s5, v69, vcc_lo
	v_add_f16_e32 v55, v55, v72
	v_mov_b32_e32 v68, 0
	s_and_b32 vcc_lo, exec_lo, s0
	global_store_b16 v[70:71], v55, off
	s_cbranch_vccnz .LBB290_51
; %bb.50:
	v_add_co_u32 v68, vcc_lo, v24, v16
	v_add_co_ci_u32_e32 v69, vcc_lo, v53, v17, vcc_lo
	flat_load_u16 v55, v[68:69]
	s_waitcnt vmcnt(0) lgkmcnt(0)
	v_mul_f16_e32 v68, s16, v55
.LBB290_51:
	v_pk_max_f16 v55, v0, v0
	v_pk_max_f16 v0, v1, v1
	v_mad_i64_i32 v[69:70], null, v67, s1, 0
	s_delay_alu instid0(VALU_DEP_3) | instskip(NEXT) | instid1(VALU_DEP_3)
	v_pk_min_f16 v1, v45, v55
	v_pk_min_f16 v71, v54, v0
	s_delay_alu instid0(VALU_DEP_3) | instskip(NEXT) | instid1(VALU_DEP_3)
	v_lshlrev_b64 v[69:70], 1, v[69:70]
	v_pk_add_f16 v1, v1, v52
	s_delay_alu instid0(VALU_DEP_1) | instskip(NEXT) | instid1(VALU_DEP_1)
	v_pk_add_f16 v1, v71, v1
	v_lshrrev_b32_e32 v52, 16, v1
	s_delay_alu instid0(VALU_DEP_1) | instskip(SKIP_2) | instid1(VALU_DEP_3)
	v_add_f16_e32 v67, v1, v52
	v_add_co_u32 v1, vcc_lo, s3, v69
	v_add_co_ci_u32_e32 v52, vcc_lo, s6, v70, vcc_lo
	v_add_f16_e32 v69, v67, v68
	s_delay_alu instid0(VALU_DEP_3) | instskip(NEXT) | instid1(VALU_DEP_3)
	v_add_co_u32 v67, vcc_lo, v1, v16
	v_add_co_ci_u32_e32 v68, vcc_lo, v52, v17, vcc_lo
	s_and_b32 vcc_lo, exec_lo, s0
	global_store_b16 v[67:68], v69, off
	s_cbranch_vccnz .LBB290_53
; %bb.52:
	v_add_co_u32 v66, vcc_lo, v24, v20
	v_add_co_ci_u32_e32 v67, vcc_lo, v53, v21, vcc_lo
	flat_load_u16 v66, v[66:67]
	s_waitcnt vmcnt(0) lgkmcnt(0)
	v_mul_f16_e32 v66, s16, v66
.LBB290_53:
	v_pk_min_f16 v67, v43, v55
	v_pk_min_f16 v68, v44, v0
	s_delay_alu instid0(VALU_DEP_2) | instskip(NEXT) | instid1(VALU_DEP_1)
	v_pk_add_f16 v51, v67, v51
	v_pk_add_f16 v51, v68, v51
	s_delay_alu instid0(VALU_DEP_1) | instskip(NEXT) | instid1(VALU_DEP_1)
	v_lshrrev_b32_e32 v67, 16, v51
	v_add_f16_e32 v51, v51, v67
	v_add_co_u32 v67, vcc_lo, v1, v20
	v_add_co_ci_u32_e32 v68, vcc_lo, v52, v21, vcc_lo
	s_delay_alu instid0(VALU_DEP_3)
	v_add_f16_e32 v69, v51, v66
	v_dual_mov_b32 v51, 0 :: v_dual_mov_b32 v66, 0
	s_and_b32 vcc_lo, exec_lo, s0
	global_store_b16 v[67:68], v69, off
	s_cbranch_vccnz .LBB290_55
; %bb.54:
	v_add_co_u32 v66, vcc_lo, v24, v12
	v_add_co_ci_u32_e32 v67, vcc_lo, v53, v13, vcc_lo
	flat_load_u16 v66, v[66:67]
	s_waitcnt vmcnt(0) lgkmcnt(0)
	v_mul_f16_e32 v66, s16, v66
.LBB290_55:
	v_pk_min_f16 v67, v60, v55
	v_pk_min_f16 v68, v61, v0
	s_delay_alu instid0(VALU_DEP_2) | instskip(NEXT) | instid1(VALU_DEP_1)
	v_pk_add_f16 v50, v67, v50
	v_pk_add_f16 v50, v68, v50
	s_delay_alu instid0(VALU_DEP_1) | instskip(NEXT) | instid1(VALU_DEP_1)
	v_lshrrev_b32_e32 v67, 16, v50
	v_add_f16_e32 v50, v50, v67
	s_delay_alu instid0(VALU_DEP_1)
	v_add_f16_e32 v50, v50, v66
	v_add_co_u32 v66, vcc_lo, v1, v12
	v_add_co_ci_u32_e32 v67, vcc_lo, v52, v13, vcc_lo
	s_and_b32 vcc_lo, exec_lo, s0
	global_store_b16 v[66:67], v50, off
	s_cbranch_vccnz .LBB290_57
; %bb.56:
	v_add_co_u32 v50, vcc_lo, v24, v14
	v_add_co_ci_u32_e32 v51, vcc_lo, v53, v15, vcc_lo
	flat_load_u16 v50, v[50:51]
	s_waitcnt vmcnt(0) lgkmcnt(0)
	v_mul_f16_e32 v51, s16, v50
.LBB290_57:
	v_pk_min_f16 v50, v59, v55
	v_pk_min_f16 v66, v62, v0
	s_delay_alu instid0(VALU_DEP_2) | instskip(NEXT) | instid1(VALU_DEP_1)
	v_pk_add_f16 v49, v50, v49
	v_pk_add_f16 v49, v66, v49
	v_add_co_u32 v66, vcc_lo, v1, v14
	v_add_co_ci_u32_e32 v67, vcc_lo, v52, v15, vcc_lo
	s_delay_alu instid0(VALU_DEP_3) | instskip(SKIP_1) | instid1(VALU_DEP_1)
	v_lshrrev_b32_e32 v50, 16, v49
	s_and_b32 vcc_lo, exec_lo, s0
	v_add_f16_e32 v49, v49, v50
	v_mov_b32_e32 v50, 0
	s_delay_alu instid0(VALU_DEP_2)
	v_add_f16_e32 v51, v49, v51
	v_mov_b32_e32 v49, 0
	global_store_b16 v[66:67], v51, off
	s_cbranch_vccnz .LBB290_59
; %bb.58:
	v_add_co_u32 v50, vcc_lo, v24, v8
	v_add_co_ci_u32_e32 v51, vcc_lo, v53, v9, vcc_lo
	flat_load_u16 v50, v[50:51]
	s_waitcnt vmcnt(0) lgkmcnt(0)
	v_mul_f16_e32 v50, s16, v50
.LBB290_59:
	v_pk_min_f16 v51, v58, v55
	v_pk_min_f16 v66, v63, v0
	s_delay_alu instid0(VALU_DEP_2) | instskip(NEXT) | instid1(VALU_DEP_1)
	v_pk_add_f16 v48, v51, v48
	v_pk_add_f16 v48, v66, v48
	s_delay_alu instid0(VALU_DEP_1) | instskip(NEXT) | instid1(VALU_DEP_1)
	v_lshrrev_b32_e32 v51, 16, v48
	v_add_f16_e32 v48, v48, v51
	s_delay_alu instid0(VALU_DEP_1)
	v_add_f16_e32 v48, v48, v50
	v_add_co_u32 v50, vcc_lo, v1, v8
	v_add_co_ci_u32_e32 v51, vcc_lo, v52, v9, vcc_lo
	s_and_b32 vcc_lo, exec_lo, s0
	global_store_b16 v[50:51], v48, off
	s_cbranch_vccnz .LBB290_61
; %bb.60:
	v_add_co_u32 v48, vcc_lo, v24, v10
	v_add_co_ci_u32_e32 v49, vcc_lo, v53, v11, vcc_lo
	flat_load_u16 v48, v[48:49]
	s_waitcnt vmcnt(0) lgkmcnt(0)
	v_mul_f16_e32 v49, s16, v48
.LBB290_61:
	v_pk_min_f16 v48, v57, v55
	v_pk_min_f16 v50, v64, v0
	s_delay_alu instid0(VALU_DEP_2) | instskip(NEXT) | instid1(VALU_DEP_1)
	v_pk_add_f16 v47, v48, v47
	v_pk_add_f16 v47, v50, v47
	v_add_co_u32 v50, vcc_lo, v1, v10
	v_add_co_ci_u32_e32 v51, vcc_lo, v52, v11, vcc_lo
	s_delay_alu instid0(VALU_DEP_3) | instskip(SKIP_1) | instid1(VALU_DEP_1)
	v_lshrrev_b32_e32 v48, 16, v47
	s_and_b32 vcc_lo, exec_lo, s0
	v_add_f16_e32 v47, v47, v48
	v_mov_b32_e32 v48, 0
	s_delay_alu instid0(VALU_DEP_2)
	v_add_f16_e32 v49, v47, v49
	v_mov_b32_e32 v47, 0
	global_store_b16 v[50:51], v49, off
	s_cbranch_vccnz .LBB290_63
; %bb.62:
	v_add_co_u32 v48, vcc_lo, v24, v4
	v_add_co_ci_u32_e32 v49, vcc_lo, v53, v5, vcc_lo
	flat_load_u16 v48, v[48:49]
	s_waitcnt vmcnt(0) lgkmcnt(0)
	v_mul_f16_e32 v48, s16, v48
.LBB290_63:
	v_pk_min_f16 v49, v56, v55
	v_pk_min_f16 v50, v65, v0
	s_delay_alu instid0(VALU_DEP_2) | instskip(NEXT) | instid1(VALU_DEP_1)
	v_pk_add_f16 v46, v49, v46
	v_pk_add_f16 v46, v50, v46
	s_delay_alu instid0(VALU_DEP_1) | instskip(NEXT) | instid1(VALU_DEP_1)
	v_lshrrev_b32_e32 v49, 16, v46
	v_add_f16_e32 v46, v46, v49
	s_delay_alu instid0(VALU_DEP_1)
	v_add_f16_e32 v46, v46, v48
	v_add_co_u32 v48, vcc_lo, v1, v4
	v_add_co_ci_u32_e32 v49, vcc_lo, v52, v5, vcc_lo
	s_and_b32 vcc_lo, exec_lo, s0
	global_store_b16 v[48:49], v46, off
	s_cbranch_vccnz .LBB290_65
; %bb.64:
	v_add_co_u32 v46, vcc_lo, v24, v6
	v_add_co_ci_u32_e32 v47, vcc_lo, v53, v7, vcc_lo
	flat_load_u16 v24, v[46:47]
	s_waitcnt vmcnt(0) lgkmcnt(0)
	v_mul_f16_e32 v47, s16, v24
.LBB290_65:
	v_pk_min_f16 v24, v22, v55
	v_pk_min_f16 v0, v23, v0
	v_add_nc_u32_e32 v48, 64, v42
	v_add_co_u32 v51, vcc_lo, v1, v6
	s_delay_alu instid0(VALU_DEP_4) | instskip(SKIP_2) | instid1(VALU_DEP_3)
	v_pk_add_f16 v24, v24, v41
	v_add_co_ci_u32_e32 v52, vcc_lo, v52, v7, vcc_lo
	v_mov_b32_e32 v46, 0
	v_pk_add_f16 v0, v0, v24
	s_delay_alu instid0(VALU_DEP_1) | instskip(NEXT) | instid1(VALU_DEP_1)
	v_lshrrev_b32_e32 v24, 16, v0
	v_add_f16_e32 v0, v0, v24
	s_delay_alu instid0(VALU_DEP_1) | instskip(SKIP_4) | instid1(VALU_DEP_1)
	v_add_f16_e32 v0, v0, v47
	v_mov_b32_e32 v47, 0
	v_mad_i64_i32 v[49:50], null, v48, s8, 0
	global_store_b16 v[51:52], v0, off
	v_lshlrev_b64 v[49:50], 1, v[49:50]
	v_add_co_u32 v1, vcc_lo, s4, v49
	s_delay_alu instid0(VALU_DEP_2)
	v_add_co_ci_u32_e32 v24, vcc_lo, s5, v50, vcc_lo
	s_and_b32 vcc_lo, exec_lo, s0
	s_cbranch_vccnz .LBB290_67
; %bb.66:
	s_delay_alu instid0(VALU_DEP_2) | instskip(NEXT) | instid1(VALU_DEP_2)
	v_add_co_u32 v49, vcc_lo, v1, v16
	v_add_co_ci_u32_e32 v50, vcc_lo, v24, v17, vcc_lo
	flat_load_u16 v0, v[49:50]
	s_waitcnt vmcnt(0) lgkmcnt(0)
	v_mul_f16_e32 v47, s16, v0
.LBB290_67:
	v_pk_max_f16 v41, v2, v2
	v_pk_max_f16 v0, v3, v3
	s_delay_alu instid0(VALU_DEP_2) | instskip(NEXT) | instid1(VALU_DEP_2)
	v_pk_min_f16 v2, v45, v41
	v_pk_min_f16 v49, v54, v0
	s_delay_alu instid0(VALU_DEP_2) | instskip(SKIP_1) | instid1(VALU_DEP_2)
	v_pk_add_f16 v40, v2, v40
	v_mad_i64_i32 v[2:3], null, v48, s1, 0
	v_pk_add_f16 v40, v49, v40
	s_delay_alu instid0(VALU_DEP_2) | instskip(NEXT) | instid1(VALU_DEP_2)
	v_lshlrev_b64 v[2:3], 1, v[2:3]
	v_lshrrev_b32_e32 v48, 16, v40
	s_delay_alu instid0(VALU_DEP_2) | instskip(NEXT) | instid1(VALU_DEP_2)
	v_add_co_u32 v2, vcc_lo, s3, v2
	v_add_f16_e32 v40, v40, v48
	s_delay_alu instid0(VALU_DEP_4) | instskip(NEXT) | instid1(VALU_DEP_2)
	v_add_co_ci_u32_e32 v3, vcc_lo, s6, v3, vcc_lo
	v_add_f16_e32 v40, v40, v47
	s_delay_alu instid0(VALU_DEP_4) | instskip(NEXT) | instid1(VALU_DEP_3)
	v_add_co_u32 v47, vcc_lo, v2, v16
	v_add_co_ci_u32_e32 v48, vcc_lo, v3, v17, vcc_lo
	s_and_b32 vcc_lo, exec_lo, s0
	global_store_b16 v[47:48], v40, off
	s_cbranch_vccnz .LBB290_69
; %bb.68:
	v_add_co_u32 v46, vcc_lo, v1, v20
	v_add_co_ci_u32_e32 v47, vcc_lo, v24, v21, vcc_lo
	flat_load_u16 v40, v[46:47]
	s_waitcnt vmcnt(0) lgkmcnt(0)
	v_mul_f16_e32 v46, s16, v40
.LBB290_69:
	v_pk_min_f16 v40, v43, v41
	v_pk_min_f16 v47, v44, v0
	s_delay_alu instid0(VALU_DEP_2) | instskip(NEXT) | instid1(VALU_DEP_1)
	v_pk_add_f16 v39, v40, v39
	v_pk_add_f16 v39, v47, v39
	v_add_co_u32 v47, vcc_lo, v2, v20
	v_add_co_ci_u32_e32 v48, vcc_lo, v3, v21, vcc_lo
	s_delay_alu instid0(VALU_DEP_3) | instskip(SKIP_1) | instid1(VALU_DEP_1)
	v_lshrrev_b32_e32 v40, 16, v39
	s_and_b32 vcc_lo, exec_lo, s0
	v_add_f16_e32 v39, v39, v40
	v_mov_b32_e32 v40, 0
	s_delay_alu instid0(VALU_DEP_2)
	v_add_f16_e32 v46, v39, v46
	v_mov_b32_e32 v39, 0
	global_store_b16 v[47:48], v46, off
	s_cbranch_vccnz .LBB290_71
; %bb.70:
	v_add_co_u32 v46, vcc_lo, v1, v12
	v_add_co_ci_u32_e32 v47, vcc_lo, v24, v13, vcc_lo
	flat_load_u16 v40, v[46:47]
	s_waitcnt vmcnt(0) lgkmcnt(0)
	v_mul_f16_e32 v40, s16, v40
.LBB290_71:
	v_pk_min_f16 v46, v60, v41
	v_pk_min_f16 v47, v61, v0
	s_delay_alu instid0(VALU_DEP_2) | instskip(NEXT) | instid1(VALU_DEP_1)
	v_pk_add_f16 v38, v46, v38
	v_pk_add_f16 v38, v47, v38
	s_delay_alu instid0(VALU_DEP_1) | instskip(NEXT) | instid1(VALU_DEP_1)
	v_lshrrev_b32_e32 v46, 16, v38
	v_add_f16_e32 v38, v38, v46
	v_add_co_u32 v46, vcc_lo, v2, v12
	v_add_co_ci_u32_e32 v47, vcc_lo, v3, v13, vcc_lo
	s_delay_alu instid0(VALU_DEP_3)
	v_add_f16_e32 v38, v38, v40
	s_and_b32 vcc_lo, exec_lo, s0
	global_store_b16 v[46:47], v38, off
	s_cbranch_vccnz .LBB290_73
; %bb.72:
	v_add_co_u32 v38, vcc_lo, v1, v14
	v_add_co_ci_u32_e32 v39, vcc_lo, v24, v15, vcc_lo
	flat_load_u16 v38, v[38:39]
	s_waitcnt vmcnt(0) lgkmcnt(0)
	v_mul_f16_e32 v39, s16, v38
.LBB290_73:
	v_pk_min_f16 v38, v59, v41
	v_pk_min_f16 v40, v62, v0
	v_add_co_u32 v46, vcc_lo, v2, v14
	v_add_co_ci_u32_e32 v47, vcc_lo, v3, v15, vcc_lo
	s_delay_alu instid0(VALU_DEP_4) | instskip(SKIP_1) | instid1(VALU_DEP_1)
	v_pk_add_f16 v37, v38, v37
	s_and_b32 vcc_lo, exec_lo, s0
	v_pk_add_f16 v37, v40, v37
	s_delay_alu instid0(VALU_DEP_1) | instskip(NEXT) | instid1(VALU_DEP_1)
	v_lshrrev_b32_e32 v38, 16, v37
	v_add_f16_e32 v37, v37, v38
	v_mov_b32_e32 v38, 0
	s_delay_alu instid0(VALU_DEP_2)
	v_add_f16_e32 v39, v37, v39
	v_mov_b32_e32 v37, 0
	global_store_b16 v[46:47], v39, off
	s_cbranch_vccnz .LBB290_75
; %bb.74:
	v_add_co_u32 v38, vcc_lo, v1, v8
	v_add_co_ci_u32_e32 v39, vcc_lo, v24, v9, vcc_lo
	flat_load_u16 v38, v[38:39]
	s_waitcnt vmcnt(0) lgkmcnt(0)
	v_mul_f16_e32 v38, s16, v38
.LBB290_75:
	v_pk_min_f16 v39, v58, v41
	v_pk_min_f16 v40, v63, v0
	s_delay_alu instid0(VALU_DEP_2) | instskip(NEXT) | instid1(VALU_DEP_1)
	v_pk_add_f16 v36, v39, v36
	v_pk_add_f16 v36, v40, v36
	s_delay_alu instid0(VALU_DEP_1) | instskip(NEXT) | instid1(VALU_DEP_1)
	v_lshrrev_b32_e32 v39, 16, v36
	v_add_f16_e32 v36, v36, v39
	s_delay_alu instid0(VALU_DEP_1)
	v_add_f16_e32 v36, v36, v38
	v_add_co_u32 v38, vcc_lo, v2, v8
	v_add_co_ci_u32_e32 v39, vcc_lo, v3, v9, vcc_lo
	s_and_b32 vcc_lo, exec_lo, s0
	global_store_b16 v[38:39], v36, off
	s_cbranch_vccnz .LBB290_77
; %bb.76:
	v_add_co_u32 v36, vcc_lo, v1, v10
	v_add_co_ci_u32_e32 v37, vcc_lo, v24, v11, vcc_lo
	flat_load_u16 v36, v[36:37]
	s_waitcnt vmcnt(0) lgkmcnt(0)
	v_mul_f16_e32 v37, s16, v36
.LBB290_77:
	v_pk_min_f16 v36, v57, v41
	v_pk_min_f16 v38, v64, v0
	s_delay_alu instid0(VALU_DEP_2) | instskip(NEXT) | instid1(VALU_DEP_1)
	v_pk_add_f16 v35, v36, v35
	v_pk_add_f16 v35, v38, v35
	v_add_co_u32 v38, vcc_lo, v2, v10
	v_add_co_ci_u32_e32 v39, vcc_lo, v3, v11, vcc_lo
	s_delay_alu instid0(VALU_DEP_3) | instskip(SKIP_1) | instid1(VALU_DEP_1)
	v_lshrrev_b32_e32 v36, 16, v35
	s_and_b32 vcc_lo, exec_lo, s0
	v_add_f16_e32 v35, v35, v36
	v_mov_b32_e32 v36, 0
	s_delay_alu instid0(VALU_DEP_2)
	v_add_f16_e32 v37, v35, v37
	v_mov_b32_e32 v35, 0
	global_store_b16 v[38:39], v37, off
	s_cbranch_vccnz .LBB290_79
; %bb.78:
	v_add_co_u32 v36, vcc_lo, v1, v4
	v_add_co_ci_u32_e32 v37, vcc_lo, v24, v5, vcc_lo
	flat_load_u16 v36, v[36:37]
	s_waitcnt vmcnt(0) lgkmcnt(0)
	v_mul_f16_e32 v36, s16, v36
.LBB290_79:
	v_pk_min_f16 v37, v56, v41
	v_pk_min_f16 v38, v65, v0
	s_delay_alu instid0(VALU_DEP_2) | instskip(NEXT) | instid1(VALU_DEP_1)
	v_pk_add_f16 v34, v37, v34
	v_pk_add_f16 v34, v38, v34
	s_delay_alu instid0(VALU_DEP_1) | instskip(NEXT) | instid1(VALU_DEP_1)
	v_lshrrev_b32_e32 v37, 16, v34
	v_add_f16_e32 v34, v34, v37
	s_delay_alu instid0(VALU_DEP_1)
	v_add_f16_e32 v34, v34, v36
	v_add_co_u32 v36, vcc_lo, v2, v4
	v_add_co_ci_u32_e32 v37, vcc_lo, v3, v5, vcc_lo
	s_and_b32 vcc_lo, exec_lo, s0
	global_store_b16 v[36:37], v34, off
	s_cbranch_vccnz .LBB290_81
; %bb.80:
	v_add_co_u32 v34, vcc_lo, v1, v6
	v_add_co_ci_u32_e32 v35, vcc_lo, v24, v7, vcc_lo
	flat_load_u16 v1, v[34:35]
	s_waitcnt vmcnt(0) lgkmcnt(0)
	v_mul_f16_e32 v35, s16, v1
.LBB290_81:
	v_pk_min_f16 v1, v22, v41
	v_pk_min_f16 v24, v23, v0
	v_add_nc_u32_e32 v34, 0x60, v42
	v_add_co_u32 v2, vcc_lo, v2, v6
	s_delay_alu instid0(VALU_DEP_4) | instskip(SKIP_1) | instid1(VALU_DEP_2)
	v_pk_add_f16 v33, v1, v33
	v_add_co_ci_u32_e32 v3, vcc_lo, v3, v7, vcc_lo
	v_pk_add_f16 v24, v24, v33
	s_delay_alu instid0(VALU_DEP_1) | instskip(NEXT) | instid1(VALU_DEP_1)
	v_lshrrev_b32_e32 v33, 16, v24
	v_add_f16_e32 v24, v24, v33
	v_mov_b32_e32 v33, 0
	v_mad_i64_i32 v[0:1], null, v34, s8, 0
	s_delay_alu instid0(VALU_DEP_3) | instskip(SKIP_1) | instid1(VALU_DEP_3)
	v_add_f16_e32 v35, v24, v35
	v_mov_b32_e32 v24, 0
	v_lshlrev_b64 v[0:1], 1, v[0:1]
	global_store_b16 v[2:3], v35, off
	v_add_co_u32 v0, vcc_lo, s4, v0
	v_add_co_ci_u32_e32 v1, vcc_lo, s5, v1, vcc_lo
	s_and_b32 vcc_lo, exec_lo, s0
	s_cbranch_vccnz .LBB290_83
; %bb.82:
	s_delay_alu instid0(VALU_DEP_2) | instskip(NEXT) | instid1(VALU_DEP_2)
	v_add_co_u32 v2, vcc_lo, v0, v16
	v_add_co_ci_u32_e32 v3, vcc_lo, v1, v17, vcc_lo
	flat_load_u16 v2, v[2:3]
	s_waitcnt vmcnt(0) lgkmcnt(0)
	v_mul_f16_e32 v33, s16, v2
.LBB290_83:
	v_pk_max_f16 v2, v18, v18
	v_pk_max_f16 v3, v19, v19
	s_delay_alu instid0(VALU_DEP_2) | instskip(NEXT) | instid1(VALU_DEP_2)
	v_pk_min_f16 v18, v45, v2
	v_pk_min_f16 v35, v54, v3
	s_delay_alu instid0(VALU_DEP_2) | instskip(SKIP_1) | instid1(VALU_DEP_2)
	v_pk_add_f16 v32, v18, v32
	v_mad_i64_i32 v[18:19], null, v34, s1, 0
	v_pk_add_f16 v32, v35, v32
	s_delay_alu instid0(VALU_DEP_2) | instskip(NEXT) | instid1(VALU_DEP_2)
	v_lshlrev_b64 v[18:19], 1, v[18:19]
	v_lshrrev_b32_e32 v34, 16, v32
	s_delay_alu instid0(VALU_DEP_2) | instskip(NEXT) | instid1(VALU_DEP_2)
	v_add_co_u32 v18, vcc_lo, s3, v18
	v_add_f16_e32 v32, v32, v34
	s_delay_alu instid0(VALU_DEP_4) | instskip(NEXT) | instid1(VALU_DEP_3)
	v_add_co_ci_u32_e32 v19, vcc_lo, s6, v19, vcc_lo
	v_add_co_u32 v16, vcc_lo, v18, v16
	s_delay_alu instid0(VALU_DEP_3) | instskip(NEXT) | instid1(VALU_DEP_3)
	v_add_f16_e32 v32, v32, v33
	v_add_co_ci_u32_e32 v17, vcc_lo, v19, v17, vcc_lo
	s_and_b32 vcc_lo, exec_lo, s0
	global_store_b16 v[16:17], v32, off
	s_cbranch_vccnz .LBB290_85
; %bb.84:
	v_add_co_u32 v16, vcc_lo, v0, v20
	v_add_co_ci_u32_e32 v17, vcc_lo, v1, v21, vcc_lo
	flat_load_u16 v16, v[16:17]
	s_waitcnt vmcnt(0) lgkmcnt(0)
	v_mul_f16_e32 v24, s16, v16
.LBB290_85:
	v_pk_min_f16 v16, v43, v2
	v_pk_min_f16 v17, v44, v3
	v_add_co_u32 v20, vcc_lo, v18, v20
	v_add_co_ci_u32_e32 v21, vcc_lo, v19, v21, vcc_lo
	s_delay_alu instid0(VALU_DEP_4) | instskip(SKIP_1) | instid1(VALU_DEP_1)
	v_pk_add_f16 v16, v16, v31
	s_and_b32 vcc_lo, exec_lo, s0
	v_pk_add_f16 v16, v17, v16
	s_delay_alu instid0(VALU_DEP_1) | instskip(NEXT) | instid1(VALU_DEP_1)
	v_lshrrev_b32_e32 v17, 16, v16
	v_add_f16_e32 v16, v16, v17
	v_mov_b32_e32 v17, 0
	s_delay_alu instid0(VALU_DEP_2)
	v_add_f16_e32 v24, v16, v24
	v_mov_b32_e32 v16, 0
	global_store_b16 v[20:21], v24, off
	s_cbranch_vccnz .LBB290_87
; %bb.86:
	v_add_co_u32 v20, vcc_lo, v0, v12
	v_add_co_ci_u32_e32 v21, vcc_lo, v1, v13, vcc_lo
	flat_load_u16 v17, v[20:21]
	s_waitcnt vmcnt(0) lgkmcnt(0)
	v_mul_f16_e32 v17, s16, v17
.LBB290_87:
	v_pk_min_f16 v20, v60, v2
	v_pk_min_f16 v21, v61, v3
	v_add_co_u32 v12, vcc_lo, v18, v12
	v_add_co_ci_u32_e32 v13, vcc_lo, v19, v13, vcc_lo
	s_delay_alu instid0(VALU_DEP_4) | instskip(SKIP_1) | instid1(VALU_DEP_1)
	v_pk_add_f16 v20, v20, v30
	s_and_b32 vcc_lo, exec_lo, s0
	v_pk_add_f16 v20, v21, v20
	s_delay_alu instid0(VALU_DEP_1) | instskip(NEXT) | instid1(VALU_DEP_1)
	v_lshrrev_b32_e32 v21, 16, v20
	v_add_f16_e32 v20, v20, v21
	s_delay_alu instid0(VALU_DEP_1)
	v_add_f16_e32 v17, v20, v17
	global_store_b16 v[12:13], v17, off
	s_cbranch_vccnz .LBB290_89
; %bb.88:
	v_add_co_u32 v12, vcc_lo, v0, v14
	v_add_co_ci_u32_e32 v13, vcc_lo, v1, v15, vcc_lo
	flat_load_u16 v12, v[12:13]
	s_waitcnt vmcnt(0) lgkmcnt(0)
	v_mul_f16_e32 v16, s16, v12
.LBB290_89:
	v_pk_min_f16 v12, v59, v2
	v_pk_min_f16 v13, v62, v3
	v_add_co_u32 v14, vcc_lo, v18, v14
	v_add_co_ci_u32_e32 v15, vcc_lo, v19, v15, vcc_lo
	s_delay_alu instid0(VALU_DEP_4) | instskip(SKIP_1) | instid1(VALU_DEP_1)
	v_pk_add_f16 v12, v12, v29
	s_and_b32 vcc_lo, exec_lo, s0
	v_pk_add_f16 v12, v13, v12
	s_delay_alu instid0(VALU_DEP_1) | instskip(NEXT) | instid1(VALU_DEP_1)
	v_lshrrev_b32_e32 v13, 16, v12
	v_add_f16_e32 v12, v12, v13
	v_mov_b32_e32 v13, 0
	s_delay_alu instid0(VALU_DEP_2)
	v_add_f16_e32 v16, v12, v16
	v_mov_b32_e32 v12, 0
	global_store_b16 v[14:15], v16, off
	s_cbranch_vccnz .LBB290_91
; %bb.90:
	v_add_co_u32 v13, vcc_lo, v0, v8
	v_add_co_ci_u32_e32 v14, vcc_lo, v1, v9, vcc_lo
	flat_load_u16 v13, v[13:14]
	s_waitcnt vmcnt(0) lgkmcnt(0)
	v_mul_f16_e32 v13, s16, v13
.LBB290_91:
	v_pk_min_f16 v14, v58, v2
	v_pk_min_f16 v15, v63, v3
	v_add_co_u32 v8, vcc_lo, v18, v8
	v_add_co_ci_u32_e32 v9, vcc_lo, v19, v9, vcc_lo
	s_delay_alu instid0(VALU_DEP_4) | instskip(SKIP_1) | instid1(VALU_DEP_1)
	v_pk_add_f16 v14, v14, v27
	s_and_b32 vcc_lo, exec_lo, s0
	v_pk_add_f16 v14, v15, v14
	s_delay_alu instid0(VALU_DEP_1) | instskip(NEXT) | instid1(VALU_DEP_1)
	v_lshrrev_b32_e32 v15, 16, v14
	v_add_f16_e32 v14, v14, v15
	s_delay_alu instid0(VALU_DEP_1)
	v_add_f16_e32 v13, v14, v13
	global_store_b16 v[8:9], v13, off
	s_cbranch_vccnz .LBB290_93
; %bb.92:
	v_add_co_u32 v8, vcc_lo, v0, v10
	v_add_co_ci_u32_e32 v9, vcc_lo, v1, v11, vcc_lo
	flat_load_u16 v8, v[8:9]
	s_waitcnt vmcnt(0) lgkmcnt(0)
	v_mul_f16_e32 v12, s16, v8
.LBB290_93:
	v_pk_min_f16 v8, v57, v2
	v_pk_min_f16 v9, v64, v3
	;; [unrolled: 1-line block ×3, first 2 shown]
	s_delay_alu instid0(VALU_DEP_3) | instskip(NEXT) | instid1(VALU_DEP_2)
	v_pk_add_f16 v8, v8, v26
	v_pk_add_f16 v13, v13, v28
	s_delay_alu instid0(VALU_DEP_2) | instskip(SKIP_1) | instid1(VALU_DEP_2)
	v_pk_add_f16 v8, v9, v8
	v_pk_min_f16 v9, v65, v3
	v_lshrrev_b32_e32 v14, 16, v8
	s_delay_alu instid0(VALU_DEP_2) | instskip(SKIP_2) | instid1(VALU_DEP_4)
	v_pk_add_f16 v13, v9, v13
	v_add_co_u32 v9, vcc_lo, v18, v10
	v_add_co_ci_u32_e32 v10, vcc_lo, v19, v11, vcc_lo
	v_add_f16_e32 v8, v8, v14
	s_delay_alu instid0(VALU_DEP_4) | instskip(SKIP_1) | instid1(VALU_DEP_2)
	v_lshrrev_b32_e32 v11, 16, v13
	s_mov_b32 vcc_lo, s2
	v_add_f16_e32 v12, v8, v12
	s_delay_alu instid0(VALU_DEP_2)
	v_add_f16_e32 v8, v13, v11
	global_store_b16 v[9:10], v12, off
	s_cbranch_vccz .LBB290_96
; %bb.94:
	v_add_co_u32 v9, vcc_lo, v18, v4
	v_add_f16_e32 v11, 0, v8
	v_add_co_ci_u32_e32 v10, vcc_lo, v19, v5, vcc_lo
	s_mov_b32 s0, 0
	global_store_b16 v[9:10], v11, off
	s_cbranch_execz .LBB290_97
; %bb.95:
	v_mov_b32_e32 v0, s0
	s_branch .LBB290_98
.LBB290_96:
	s_mov_b32 s0, -1
.LBB290_97:
	v_add_co_u32 v9, vcc_lo, v0, v4
	v_add_co_ci_u32_e32 v10, vcc_lo, v1, v5, vcc_lo
	v_add_co_u32 v4, vcc_lo, v18, v4
	v_add_co_ci_u32_e32 v5, vcc_lo, v19, v5, vcc_lo
	flat_load_u16 v9, v[9:10]
	v_add_co_u32 v0, vcc_lo, v0, v6
	v_add_co_ci_u32_e32 v1, vcc_lo, v1, v7, vcc_lo
	s_waitcnt vmcnt(0) lgkmcnt(0)
	v_fmac_f16_e32 v8, s16, v9
	global_store_b16 v[4:5], v8, off
	flat_load_u16 v0, v[0:1]
	s_waitcnt vmcnt(0) lgkmcnt(0)
	v_mul_f16_e32 v0, s16, v0
.LBB290_98:
	v_pk_min_f16 v1, v22, v2
	v_pk_min_f16 v2, v23, v3
	s_delay_alu instid0(VALU_DEP_2) | instskip(NEXT) | instid1(VALU_DEP_1)
	v_pk_add_f16 v1, v1, v25
	v_pk_add_f16 v1, v2, v1
	s_delay_alu instid0(VALU_DEP_1) | instskip(NEXT) | instid1(VALU_DEP_1)
	v_lshrrev_b32_e32 v2, 16, v1
	v_add_f16_e32 v1, v1, v2
	s_delay_alu instid0(VALU_DEP_1)
	v_add_f16_e32 v2, v1, v0
	v_add_co_u32 v0, vcc_lo, v18, v6
	v_add_co_ci_u32_e32 v1, vcc_lo, v19, v7, vcc_lo
	global_store_b16 v[0:1], v2, off
	s_nop 0
	s_sendmsg sendmsg(MSG_DEALLOC_VGPRS)
	s_endpgm
	.section	.rodata,"a",@progbits
	.p2align	6, 0x0
	.amdhsa_kernel _ZN12_GLOBAL__N_120geam_min_plus_kernelIDF16_Dv2_DF16_S1_Li8ELi32ELi64ELi128ELi4ELi4ELi64ELi4ELi64ELc84ELc78ELb0ELb0ELb0EDF16_KDF16_DF16_EEviiiT16_PT17_ilS5_ilS3_S5_ilPT18_ili26rocblas_geam_ex_operation_
		.amdhsa_group_segment_fixed_size 3072
		.amdhsa_private_segment_fixed_size 0
		.amdhsa_kernarg_size 128
		.amdhsa_user_sgpr_count 14
		.amdhsa_user_sgpr_dispatch_ptr 0
		.amdhsa_user_sgpr_queue_ptr 0
		.amdhsa_user_sgpr_kernarg_segment_ptr 1
		.amdhsa_user_sgpr_dispatch_id 0
		.amdhsa_user_sgpr_private_segment_size 0
		.amdhsa_wavefront_size32 1
		.amdhsa_uses_dynamic_stack 0
		.amdhsa_enable_private_segment 0
		.amdhsa_system_sgpr_workgroup_id_x 1
		.amdhsa_system_sgpr_workgroup_id_y 0
		.amdhsa_system_sgpr_workgroup_id_z 1
		.amdhsa_system_sgpr_workgroup_info 0
		.amdhsa_system_vgpr_workitem_id 1
		.amdhsa_next_free_vgpr 119
		.amdhsa_next_free_sgpr 24
		.amdhsa_reserve_vcc 1
		.amdhsa_float_round_mode_32 0
		.amdhsa_float_round_mode_16_64 0
		.amdhsa_float_denorm_mode_32 3
		.amdhsa_float_denorm_mode_16_64 3
		.amdhsa_dx10_clamp 1
		.amdhsa_ieee_mode 1
		.amdhsa_fp16_overflow 0
		.amdhsa_workgroup_processor_mode 1
		.amdhsa_memory_ordered 1
		.amdhsa_forward_progress 0
		.amdhsa_shared_vgpr_count 0
		.amdhsa_exception_fp_ieee_invalid_op 0
		.amdhsa_exception_fp_denorm_src 0
		.amdhsa_exception_fp_ieee_div_zero 0
		.amdhsa_exception_fp_ieee_overflow 0
		.amdhsa_exception_fp_ieee_underflow 0
		.amdhsa_exception_fp_ieee_inexact 0
		.amdhsa_exception_int_div_zero 0
	.end_amdhsa_kernel
	.section	.text._ZN12_GLOBAL__N_120geam_min_plus_kernelIDF16_Dv2_DF16_S1_Li8ELi32ELi64ELi128ELi4ELi4ELi64ELi4ELi64ELc84ELc78ELb0ELb0ELb0EDF16_KDF16_DF16_EEviiiT16_PT17_ilS5_ilS3_S5_ilPT18_ili26rocblas_geam_ex_operation_,"axG",@progbits,_ZN12_GLOBAL__N_120geam_min_plus_kernelIDF16_Dv2_DF16_S1_Li8ELi32ELi64ELi128ELi4ELi4ELi64ELi4ELi64ELc84ELc78ELb0ELb0ELb0EDF16_KDF16_DF16_EEviiiT16_PT17_ilS5_ilS3_S5_ilPT18_ili26rocblas_geam_ex_operation_,comdat
.Lfunc_end290:
	.size	_ZN12_GLOBAL__N_120geam_min_plus_kernelIDF16_Dv2_DF16_S1_Li8ELi32ELi64ELi128ELi4ELi4ELi64ELi4ELi64ELc84ELc78ELb0ELb0ELb0EDF16_KDF16_DF16_EEviiiT16_PT17_ilS5_ilS3_S5_ilPT18_ili26rocblas_geam_ex_operation_, .Lfunc_end290-_ZN12_GLOBAL__N_120geam_min_plus_kernelIDF16_Dv2_DF16_S1_Li8ELi32ELi64ELi128ELi4ELi4ELi64ELi4ELi64ELc84ELc78ELb0ELb0ELb0EDF16_KDF16_DF16_EEviiiT16_PT17_ilS5_ilS3_S5_ilPT18_ili26rocblas_geam_ex_operation_
                                        ; -- End function
	.section	.AMDGPU.csdata,"",@progbits
; Kernel info:
; codeLenInByte = 10076
; NumSgprs: 26
; NumVgprs: 119
; ScratchSize: 0
; MemoryBound: 0
; FloatMode: 240
; IeeeMode: 1
; LDSByteSize: 3072 bytes/workgroup (compile time only)
; SGPRBlocks: 3
; VGPRBlocks: 14
; NumSGPRsForWavesPerEU: 26
; NumVGPRsForWavesPerEU: 119
; Occupancy: 12
; WaveLimiterHint : 0
; COMPUTE_PGM_RSRC2:SCRATCH_EN: 0
; COMPUTE_PGM_RSRC2:USER_SGPR: 14
; COMPUTE_PGM_RSRC2:TRAP_HANDLER: 0
; COMPUTE_PGM_RSRC2:TGID_X_EN: 1
; COMPUTE_PGM_RSRC2:TGID_Y_EN: 0
; COMPUTE_PGM_RSRC2:TGID_Z_EN: 1
; COMPUTE_PGM_RSRC2:TIDIG_COMP_CNT: 1
	.section	.text._ZN12_GLOBAL__N_120geam_min_plus_kernelIDF16_Dv2_DF16_S1_Li8ELi32ELi64ELi128ELi4ELi4ELi64ELi4ELi64ELc84ELc78ELb0ELb1ELb0EPKDF16_S2_DF16_EEviiiT16_PT17_ilS6_ilS4_S6_ilPT18_ili26rocblas_geam_ex_operation_,"axG",@progbits,_ZN12_GLOBAL__N_120geam_min_plus_kernelIDF16_Dv2_DF16_S1_Li8ELi32ELi64ELi128ELi4ELi4ELi64ELi4ELi64ELc84ELc78ELb0ELb1ELb0EPKDF16_S2_DF16_EEviiiT16_PT17_ilS6_ilS4_S6_ilPT18_ili26rocblas_geam_ex_operation_,comdat
	.globl	_ZN12_GLOBAL__N_120geam_min_plus_kernelIDF16_Dv2_DF16_S1_Li8ELi32ELi64ELi128ELi4ELi4ELi64ELi4ELi64ELc84ELc78ELb0ELb1ELb0EPKDF16_S2_DF16_EEviiiT16_PT17_ilS6_ilS4_S6_ilPT18_ili26rocblas_geam_ex_operation_ ; -- Begin function _ZN12_GLOBAL__N_120geam_min_plus_kernelIDF16_Dv2_DF16_S1_Li8ELi32ELi64ELi128ELi4ELi4ELi64ELi4ELi64ELc84ELc78ELb0ELb1ELb0EPKDF16_S2_DF16_EEviiiT16_PT17_ilS6_ilS4_S6_ilPT18_ili26rocblas_geam_ex_operation_
	.p2align	8
	.type	_ZN12_GLOBAL__N_120geam_min_plus_kernelIDF16_Dv2_DF16_S1_Li8ELi32ELi64ELi128ELi4ELi4ELi64ELi4ELi64ELc84ELc78ELb0ELb1ELb0EPKDF16_S2_DF16_EEviiiT16_PT17_ilS6_ilS4_S6_ilPT18_ili26rocblas_geam_ex_operation_,@function
_ZN12_GLOBAL__N_120geam_min_plus_kernelIDF16_Dv2_DF16_S1_Li8ELi32ELi64ELi128ELi4ELi4ELi64ELi4ELi64ELc84ELc78ELb0ELb1ELb0EPKDF16_S2_DF16_EEviiiT16_PT17_ilS6_ilS4_S6_ilPT18_ili26rocblas_geam_ex_operation_: ; @_ZN12_GLOBAL__N_120geam_min_plus_kernelIDF16_Dv2_DF16_S1_Li8ELi32ELi64ELi128ELi4ELi4ELi64ELi4ELi64ELc84ELc78ELb0ELb1ELb0EPKDF16_S2_DF16_EEviiiT16_PT17_ilS6_ilS4_S6_ilPT18_ili26rocblas_geam_ex_operation_
; %bb.0:
	s_clause 0x1
	s_load_b128 s[16:19], s[0:1], 0x10
	s_load_b128 s[4:7], s[0:1], 0x40
	s_mov_b32 s12, s15
	s_mov_b32 s13, 0
	v_mov_b32_e32 v1, 0
	s_lshl_b64 s[2:3], s[12:13], 1
	s_load_b128 s[8:11], s[0:1], 0x28
	s_mov_b64 s[20:21], 0
	s_mov_b64 s[22:23], 0
	s_waitcnt lgkmcnt(0)
	s_add_u32 s16, s16, s2
	s_addc_u32 s17, s17, s3
	s_add_u32 s2, s6, s2
	global_load_u16 v32, v1, s[16:17]
	s_addc_u32 s3, s7, s3
	global_load_u16 v42, v1, s[2:3]
	s_load_b64 s[16:17], s[0:1], 0x50
	s_waitcnt vmcnt(1)
	v_cmp_eq_f16_e32 vcc_lo, 0, v32
	v_cmp_neq_f16_e64 s3, 0, v32
	s_cbranch_vccnz .LBB291_2
; %bb.1:
	s_mul_i32 s2, s12, s9
	s_mul_hi_u32 s6, s12, s8
	s_delay_alu instid0(SALU_CYCLE_1) | instskip(SKIP_1) | instid1(SALU_CYCLE_1)
	s_add_i32 s7, s6, s2
	s_mul_i32 s6, s12, s8
	s_lshl_b64 s[6:7], s[6:7], 1
	s_delay_alu instid0(SALU_CYCLE_1)
	s_add_u32 s22, s18, s6
	s_addc_u32 s23, s19, s7
.LBB291_2:
	s_delay_alu instid0(VALU_DEP_1)
	s_and_not1_b32 vcc_lo, exec_lo, s3
	s_cbranch_vccnz .LBB291_4
; %bb.3:
	s_mul_i32 s2, s12, s5
	s_mul_hi_u32 s5, s12, s4
	s_mul_i32 s4, s12, s4
	s_add_i32 s5, s5, s2
	s_delay_alu instid0(SALU_CYCLE_1) | instskip(NEXT) | instid1(SALU_CYCLE_1)
	s_lshl_b64 s[4:5], s[4:5], 1
	s_add_u32 s20, s10, s4
	s_addc_u32 s21, s11, s5
.LBB291_4:
	s_load_b128 s[4:7], s[0:1], 0x60
	s_waitcnt vmcnt(0)
	v_cmp_eq_f16_e32 vcc_lo, 0, v42
	v_cmp_neq_f16_e64 s2, 0, v42
	s_cbranch_vccnz .LBB291_6
; %bb.5:
	s_waitcnt lgkmcnt(0)
	s_mul_i32 s5, s12, s5
	s_mul_hi_u32 s8, s12, s4
	s_mul_i32 s4, s12, s4
	s_add_i32 s5, s8, s5
	s_delay_alu instid0(SALU_CYCLE_1) | instskip(NEXT) | instid1(SALU_CYCLE_1)
	s_lshl_b64 s[4:5], s[4:5], 1
	s_add_u32 s10, s16, s4
	s_addc_u32 s11, s17, s5
	s_branch .LBB291_7
.LBB291_6:
	s_mov_b64 s[10:11], 0
.LBB291_7:
	s_waitcnt lgkmcnt(0)
	s_clause 0x1
	s_load_b128 s[16:19], s[0:1], 0x0
	s_load_b32 s25, s[0:1], 0x20
	v_dual_mov_b32 v7, 0 :: v_dual_and_b32 v30, 0x3ff, v0
	v_bfe_u32 v31, v0, 10, 10
	s_delay_alu instid0(VALU_DEP_2) | instskip(NEXT) | instid1(VALU_DEP_2)
	v_dual_mov_b32 v8, 0 :: v_dual_and_b32 v33, 3, v30
	v_lshl_add_u32 v0, v31, 3, v30
	s_waitcnt lgkmcnt(0)
	s_add_i32 s4, s16, -1
	s_delay_alu instid0(SALU_CYCLE_1) | instskip(NEXT) | instid1(SALU_CYCLE_1)
	s_ashr_i32 s5, s4, 31
	s_lshr_b32 s5, s5, 26
	s_delay_alu instid0(SALU_CYCLE_1) | instskip(NEXT) | instid1(SALU_CYCLE_1)
	s_add_i32 s4, s4, s5
	s_ashr_i32 s4, s4, 6
	s_delay_alu instid0(SALU_CYCLE_1) | instskip(SKIP_2) | instid1(VALU_DEP_1)
	s_add_i32 s8, s4, 1
	s_not_b32 s4, s4
	v_cvt_f32_u32_e32 v1, s8
	v_rcp_iflag_f32_e32 v1, v1
	s_waitcnt_depctr 0xfff
	v_mul_f32_e32 v1, 0x4f7ffffe, v1
	s_delay_alu instid0(VALU_DEP_1) | instskip(NEXT) | instid1(VALU_DEP_1)
	v_cvt_u32_f32_e32 v1, v1
	v_readfirstlane_b32 s5, v1
	v_lshrrev_b32_e32 v1, 2, v0
	v_lshlrev_b32_e32 v0, 1, v33
	s_delay_alu instid0(VALU_DEP_3) | instskip(NEXT) | instid1(SALU_CYCLE_1)
	s_mul_i32 s4, s4, s5
	s_mul_hi_u32 s4, s5, s4
	s_delay_alu instid0(SALU_CYCLE_1) | instskip(NEXT) | instid1(SALU_CYCLE_1)
	s_add_i32 s5, s5, s4
	s_mul_hi_u32 s4, s14, s5
	s_delay_alu instid0(SALU_CYCLE_1) | instskip(SKIP_2) | instid1(SALU_CYCLE_1)
	s_mul_i32 s5, s4, s8
	s_add_i32 s9, s4, 1
	s_sub_i32 s5, s14, s5
	s_sub_i32 s13, s5, s8
	s_cmp_ge_u32 s5, s8
	s_cselect_b32 s4, s9, s4
	s_cselect_b32 s5, s13, s5
	s_add_i32 s9, s4, 1
	s_cmp_ge_u32 s5, s8
	s_cselect_b32 s5, s9, s4
	s_delay_alu instid0(SALU_CYCLE_1) | instskip(NEXT) | instid1(SALU_CYCLE_1)
	s_mul_i32 s26, s5, s8
	s_sub_i32 s4, s14, s26
	s_delay_alu instid0(SALU_CYCLE_1) | instskip(SKIP_2) | instid1(VALU_DEP_1)
	s_lshl_b32 s8, s4, 6
	v_cmp_gt_i32_e64 s4, s18, v33
	v_add_nc_u32_e32 v5, s8, v1
	v_cmp_gt_i32_e32 vcc_lo, s16, v5
	s_delay_alu instid0(VALU_DEP_3) | instskip(NEXT) | instid1(SALU_CYCLE_1)
	s_and_b32 s4, s4, vcc_lo
	s_and_b32 s4, s3, s4
	s_delay_alu instid0(SALU_CYCLE_1)
	s_and_saveexec_b32 s9, s4
	s_cbranch_execz .LBB291_9
; %bb.8:
	v_mad_i64_i32 v[2:3], null, v5, s25, 0
	s_delay_alu instid0(VALU_DEP_1) | instskip(NEXT) | instid1(VALU_DEP_1)
	v_lshlrev_b64 v[2:3], 1, v[2:3]
	v_add_co_u32 v2, s4, s22, v2
	s_delay_alu instid0(VALU_DEP_1) | instskip(NEXT) | instid1(VALU_DEP_2)
	v_add_co_ci_u32_e64 v3, s4, s23, v3, s4
	v_add_co_u32 v2, s4, v2, v0
	s_delay_alu instid0(VALU_DEP_1)
	v_add_co_ci_u32_e64 v3, s4, 0, v3, s4
	flat_load_u16 v2, v[2:3]
	s_waitcnt vmcnt(0) lgkmcnt(0)
	v_mul_f16_e32 v8, v32, v2
.LBB291_9:
	s_or_b32 exec_lo, exec_lo, s9
	s_add_i32 s13, s18, -1
	s_load_b32 s27, s[0:1], 0x38
	v_min_i32_e32 v3, s13, v33
	s_lshl_b32 s9, s5, 7
	s_xor_b32 s19, s3, -1
	v_add_nc_u32_e32 v2, s9, v1
	v_cmp_le_i32_e64 s4, s18, v33
	v_ashrrev_i32_e32 v4, 31, v3
	s_delay_alu instid0(VALU_DEP_3) | instskip(NEXT) | instid1(VALU_DEP_2)
	v_cmp_le_i32_e64 s5, s17, v2
	v_lshlrev_b64 v[3:4], 1, v[3:4]
	s_delay_alu instid0(VALU_DEP_2) | instskip(NEXT) | instid1(VALU_DEP_1)
	s_or_b32 s15, s5, s19
	v_add_co_u32 v6, s5, s20, v3
	s_delay_alu instid0(VALU_DEP_1) | instskip(SKIP_1) | instid1(SALU_CYCLE_1)
	v_add_co_ci_u32_e64 v10, s5, s21, v4, s5
	s_or_b32 s5, s4, s15
	s_xor_b32 s5, s5, -1
	s_delay_alu instid0(SALU_CYCLE_1)
	s_and_saveexec_b32 s24, s5
	s_cbranch_execz .LBB291_11
; %bb.10:
	s_waitcnt lgkmcnt(0)
	v_mad_i64_i32 v[3:4], null, v2, s27, 0
	s_delay_alu instid0(VALU_DEP_1) | instskip(NEXT) | instid1(VALU_DEP_1)
	v_lshlrev_b64 v[3:4], 1, v[3:4]
	v_add_co_u32 v3, s5, v6, v3
	s_delay_alu instid0(VALU_DEP_1)
	v_add_co_ci_u32_e64 v4, s5, v10, v4, s5
	flat_load_u16 v3, v[3:4]
	s_waitcnt vmcnt(0) lgkmcnt(0)
	v_mul_f16_e32 v7, v32, v3
.LBB291_11:
	s_or_b32 exec_lo, exec_lo, s24
	v_dual_mov_b32 v4, 0 :: v_dual_add_nc_u32 v3, 64, v2
	v_mov_b32_e32 v9, 0
	s_delay_alu instid0(VALU_DEP_2) | instskip(NEXT) | instid1(VALU_DEP_1)
	v_cmp_le_i32_e64 s5, s17, v3
	s_or_b32 s19, s5, s19
	s_delay_alu instid0(SALU_CYCLE_1) | instskip(NEXT) | instid1(SALU_CYCLE_1)
	s_or_b32 s4, s4, s19
	s_xor_b32 s4, s4, -1
	s_delay_alu instid0(SALU_CYCLE_1)
	s_and_saveexec_b32 s5, s4
	s_cbranch_execz .LBB291_13
; %bb.12:
	s_waitcnt lgkmcnt(0)
	v_mad_i64_i32 v[11:12], null, v3, s27, 0
	s_delay_alu instid0(VALU_DEP_1) | instskip(NEXT) | instid1(VALU_DEP_1)
	v_lshlrev_b64 v[11:12], 1, v[11:12]
	v_add_co_u32 v9, s4, v6, v11
	s_delay_alu instid0(VALU_DEP_1)
	v_add_co_ci_u32_e64 v10, s4, v10, v12, s4
	flat_load_u16 v6, v[9:10]
	s_waitcnt vmcnt(0) lgkmcnt(0)
	v_mul_f16_e32 v9, v32, v6
.LBB291_13:
	s_or_b32 exec_lo, exec_lo, s5
	v_or_b32_e32 v6, 4, v33
	s_delay_alu instid0(VALU_DEP_1) | instskip(NEXT) | instid1(VALU_DEP_1)
	v_cmp_gt_i32_e64 s4, s18, v6
	s_and_b32 s4, s4, vcc_lo
	s_delay_alu instid0(SALU_CYCLE_1) | instskip(NEXT) | instid1(SALU_CYCLE_1)
	s_and_b32 s4, s3, s4
	s_and_saveexec_b32 s5, s4
	s_cbranch_execz .LBB291_15
; %bb.14:
	v_mad_i64_i32 v[10:11], null, v5, s25, 0
	s_delay_alu instid0(VALU_DEP_1) | instskip(NEXT) | instid1(VALU_DEP_1)
	v_lshlrev_b64 v[4:5], 1, v[10:11]
	v_add_co_u32 v4, s4, s22, v4
	s_delay_alu instid0(VALU_DEP_1) | instskip(NEXT) | instid1(VALU_DEP_2)
	v_add_co_ci_u32_e64 v5, s4, s23, v5, s4
	v_add_co_u32 v4, s4, v4, v0
	s_delay_alu instid0(VALU_DEP_1)
	v_add_co_ci_u32_e64 v5, s4, 0, v5, s4
	flat_load_u16 v4, v[4:5] offset:8
	s_waitcnt vmcnt(0) lgkmcnt(0)
	v_mul_f16_e32 v4, v32, v4
.LBB291_15:
	s_or_b32 exec_lo, exec_lo, s5
	v_min_i32_e32 v10, s13, v6
	v_cmp_le_i32_e64 s4, s18, v6
	v_dual_mov_b32 v5, 0 :: v_dual_mov_b32 v6, 0
	s_delay_alu instid0(VALU_DEP_3) | instskip(NEXT) | instid1(VALU_DEP_1)
	v_ashrrev_i32_e32 v11, 31, v10
	v_lshlrev_b64 v[10:11], 1, v[10:11]
	s_delay_alu instid0(VALU_DEP_1) | instskip(NEXT) | instid1(VALU_DEP_1)
	v_add_co_u32 v10, s5, s20, v10
	v_add_co_ci_u32_e64 v11, s5, s21, v11, s5
	s_or_b32 s5, s4, s15
	s_delay_alu instid0(SALU_CYCLE_1) | instskip(NEXT) | instid1(SALU_CYCLE_1)
	s_xor_b32 s5, s5, -1
	s_and_saveexec_b32 s24, s5
	s_cbranch_execz .LBB291_17
; %bb.16:
	s_waitcnt lgkmcnt(0)
	v_mad_i64_i32 v[12:13], null, v2, s27, 0
	s_delay_alu instid0(VALU_DEP_1) | instskip(NEXT) | instid1(VALU_DEP_1)
	v_lshlrev_b64 v[12:13], 1, v[12:13]
	v_add_co_u32 v12, s5, v10, v12
	s_delay_alu instid0(VALU_DEP_1)
	v_add_co_ci_u32_e64 v13, s5, v11, v13, s5
	flat_load_u16 v6, v[12:13]
	s_waitcnt vmcnt(0) lgkmcnt(0)
	v_mul_f16_e32 v6, v32, v6
.LBB291_17:
	s_or_b32 exec_lo, exec_lo, s24
	s_or_b32 s4, s4, s19
	s_delay_alu instid0(SALU_CYCLE_1) | instskip(NEXT) | instid1(SALU_CYCLE_1)
	s_xor_b32 s4, s4, -1
	s_and_saveexec_b32 s5, s4
	s_cbranch_execz .LBB291_19
; %bb.18:
	s_waitcnt lgkmcnt(0)
	v_mad_i64_i32 v[12:13], null, v3, s27, 0
	s_delay_alu instid0(VALU_DEP_1) | instskip(NEXT) | instid1(VALU_DEP_1)
	v_lshlrev_b64 v[12:13], 1, v[12:13]
	v_add_co_u32 v10, s4, v10, v12
	s_delay_alu instid0(VALU_DEP_1)
	v_add_co_ci_u32_e64 v11, s4, v11, v13, s4
	flat_load_u16 v5, v[10:11]
	s_waitcnt vmcnt(0) lgkmcnt(0)
	v_mul_f16_e32 v5, v32, v5
.LBB291_19:
	s_or_b32 exec_lo, exec_lo, s5
	v_lshlrev_b32_e32 v35, 3, v30
	v_lshl_or_b32 v36, v1, 3, v0
	v_lshlrev_b32_e32 v34, 3, v31
	s_mov_b32 s24, 0
	s_cmp_lt_i32 s18, 9
	v_add_nc_u32_e32 v27, 0x800, v35
	ds_store_b16 v36, v7
	ds_store_b16 v36, v8 offset:2048
	ds_store_b16 v36, v9 offset:512
	s_waitcnt lgkmcnt(0)
	s_barrier
	buffer_gl0_inv
	ds_load_2addr_b64 v[7:10], v34 offset1:32
	ds_load_2addr_b64 v[11:14], v27 offset0:48 offset1:56
	ds_load_2addr_b64 v[15:18], v34 offset0:64 offset1:96
	ds_load_2addr_b64 v[19:22], v27 offset1:8
	ds_load_2addr_b64 v[23:26], v27 offset0:16 offset1:24
	ds_load_2addr_b64 v[37:40], v27 offset0:32 offset1:40
	ds_store_b16 v36, v6 offset:1024
	ds_store_b16 v36, v4 offset:2560
	ds_store_b16 v36, v5 offset:1536
	s_waitcnt lgkmcnt(0)
	s_barrier
	buffer_gl0_inv
	v_pk_max_f16 v9, v9, v9
	v_pk_max_f16 v7, v7, v7
	;; [unrolled: 1-line block ×8, first 2 shown]
	v_pk_min_f16 v49, v23, v9
	v_pk_min_f16 v50, v23, v15
	v_pk_max_f16 v19, v19, v19
	v_pk_max_f16 v21, v21, v21
	v_pk_min_f16 v27, v13, v7
	v_pk_add_f16 v52, v49, 0
	v_pk_min_f16 v49, v25, v7
	v_pk_add_f16 v53, v50, 0
	v_pk_min_f16 v50, v25, v9
	v_pk_min_f16 v51, v25, v15
	v_pk_max_f16 v39, v39, v39
	v_pk_add_f16 v54, v49, 0
	v_pk_min_f16 v49, v37, v7
	v_pk_add_f16 v55, v50, 0
	v_pk_min_f16 v50, v37, v9
	v_pk_max_f16 v11, v11, v11
	v_pk_max_f16 v8, v8, v8
	v_pk_add_f16 v61, v49, 0
	v_pk_min_f16 v49, v37, v15
	v_pk_min_f16 v37, v37, v17
	v_pk_max_f16 v14, v14, v14
	v_pk_min_f16 v28, v13, v9
	v_pk_min_f16 v29, v13, v15
	;; [unrolled: 1-line block ×9, first 2 shown]
	v_pk_add_f16 v27, v27, 0
	v_pk_min_f16 v21, v21, v17
	v_pk_min_f16 v48, v23, v7
	;; [unrolled: 1-line block ×4, first 2 shown]
	v_pk_add_f16 v60, v51, 0
	v_pk_add_f16 v62, v50, 0
	v_pk_min_f16 v50, v39, v7
	v_pk_min_f16 v51, v39, v9
	v_pk_add_f16 v72, v37, 0
	v_pk_min_f16 v37, v39, v15
	v_pk_min_f16 v39, v39, v17
	v_pk_min_f16 v7, v11, v7
	v_pk_min_f16 v9, v11, v9
	v_pk_min_f16 v15, v11, v15
	v_pk_min_f16 v11, v11, v17
	v_pk_max_f16 v10, v10, v10
	v_pk_min_f16 v13, v13, v17
	v_pk_min_f16 v17, v14, v8
	v_pk_add_f16 v28, v28, 0
	v_pk_add_f16 v75, v37, 0
	v_pk_max_f16 v16, v16, v16
	v_pk_min_f16 v37, v14, v10
	v_pk_max_f16 v20, v20, v20
	v_pk_add_f16 v69, v27, v17
	v_pk_max_f16 v17, v18, v18
	v_pk_add_f16 v41, v41, 0
	v_pk_add_f16 v19, v19, 0
	;; [unrolled: 1-line block ×3, first 2 shown]
	v_pk_min_f16 v18, v20, v8
	v_pk_min_f16 v27, v20, v10
	;; [unrolled: 1-line block ×4, first 2 shown]
	v_pk_max_f16 v22, v22, v22
	v_pk_add_f16 v45, v45, 0
	v_pk_add_f16 v46, v46, 0
	;; [unrolled: 1-line block ×7, first 2 shown]
	v_pk_min_f16 v18, v22, v8
	v_pk_min_f16 v19, v22, v10
	v_pk_min_f16 v20, v22, v16
	v_pk_min_f16 v22, v22, v17
	v_pk_max_f16 v24, v24, v24
	v_pk_add_f16 v48, v48, 0
	v_pk_add_f16 v23, v23, 0
	;; [unrolled: 1-line block ×7, first 2 shown]
	v_pk_min_f16 v18, v24, v8
	v_pk_min_f16 v19, v24, v10
	;; [unrolled: 1-line block ×4, first 2 shown]
	v_pk_max_f16 v22, v26, v26
	v_pk_add_f16 v29, v29, 0
	v_pk_add_f16 v25, v25, 0
	;; [unrolled: 1-line block ×3, first 2 shown]
	v_pk_min_f16 v39, v14, v16
	v_pk_add_f16 v41, v48, v18
	v_pk_add_f16 v65, v52, v19
	v_pk_add_f16 v56, v53, v20
	v_pk_add_f16 v48, v23, v21
	v_pk_min_f16 v18, v22, v8
	v_pk_min_f16 v19, v22, v10
	;; [unrolled: 1-line block ×4, first 2 shown]
	v_pk_max_f16 v22, v38, v38
	v_pk_add_f16 v74, v51, 0
	v_pk_add_f16 v51, v29, v39
	;; [unrolled: 1-line block ×6, first 2 shown]
	v_pk_min_f16 v18, v22, v8
	v_pk_min_f16 v19, v22, v10
	;; [unrolled: 1-line block ×4, first 2 shown]
	v_pk_max_f16 v22, v40, v40
	v_pk_max_f16 v12, v12, v12
	v_pk_add_f16 v43, v43, 0
	v_pk_add_f16 v44, v44, 0
	v_pk_add_f16 v7, v7, 0
	v_pk_add_f16 v9, v9, 0
	v_pk_add_f16 v15, v15, 0
	v_pk_add_f16 v11, v11, 0
	v_pk_add_f16 v13, v13, 0
	v_pk_add_f16 v37, v61, v18
	v_pk_add_f16 v63, v62, v19
	v_pk_add_f16 v54, v67, v20
	v_pk_add_f16 v46, v72, v21
	v_pk_min_f16 v18, v22, v8
	v_pk_min_f16 v19, v22, v10
	;; [unrolled: 1-line block ×9, first 2 shown]
	v_pk_add_f16 v68, v43, v27
	v_pk_add_f16 v58, v44, v28
	;; [unrolled: 1-line block ×11, first 2 shown]
	s_cbranch_scc1 .LBB291_34
; %bb.20:
	v_lshl_add_u32 v1, s14, 6, v1
	s_lshl_b32 s4, s26, 6
	v_mad_i64_i32 v[6:7], null, v2, s27, 0
	v_add_nc_u32_e32 v60, 0x800, v36
	s_delay_alu instid0(VALU_DEP_3)
	v_subrev_nc_u32_e32 v1, s4, v1
	v_add_nc_u32_e32 v67, 0x800, v35
	v_add_nc_u32_e32 v72, 0xa00, v36
	;; [unrolled: 1-line block ×3, first 2 shown]
	v_lshl_add_u32 v74, v30, 3, 0xa00
	v_mad_i64_i32 v[4:5], null, s25, v1, 0
	v_lshlrev_b64 v[24:25], 1, v[6:7]
	v_lshl_add_u32 v75, v31, 3, 0x400
	s_add_i32 s14, s18, -8
	s_delay_alu instid0(VALU_DEP_3) | instskip(SKIP_1) | instid1(VALU_DEP_2)
	v_lshlrev_b64 v[1:2], 1, v[4:5]
	v_mad_i64_i32 v[4:5], null, v3, s27, 0
	v_add_co_u32 v0, s4, v1, v0
	s_delay_alu instid0(VALU_DEP_1) | instskip(NEXT) | instid1(VALU_DEP_3)
	v_add_co_ci_u32_e64 v1, s4, 0, v2, s4
	v_lshlrev_b64 v[26:27], 1, v[4:5]
	s_delay_alu instid0(VALU_DEP_3) | instskip(NEXT) | instid1(VALU_DEP_1)
	v_add_co_u32 v0, s4, v0, s22
	v_add_co_ci_u32_e64 v1, s4, s23, v1, s4
	s_delay_alu instid0(VALU_DEP_2) | instskip(NEXT) | instid1(VALU_DEP_1)
	v_add_co_u32 v28, s4, v0, 24
	v_add_co_ci_u32_e64 v29, s4, 0, v1, s4
	s_branch .LBB291_22
.LBB291_21:                             ;   in Loop: Header=BB291_22 Depth=1
	s_or_b32 exec_lo, exec_lo, s5
	v_pk_add_f16 v22, v50, v22
	v_pk_add_f16 v50, v66, v80
	;; [unrolled: 1-line block ×25, first 2 shown]
	ds_load_2addr_b64 v[37:40], v67 offset0:48 offset1:56
	ds_load_2addr_b64 v[43:46], v34 offset1:32
	v_pk_add_f16 v9, v48, v9
	ds_load_2addr_b64 v[47:50], v34 offset0:64 offset1:96
	v_pk_add_f16 v8, v70, v8
	v_pk_add_f16 v6, v63, v6
	;; [unrolled: 1-line block ×6, first 2 shown]
	ds_load_2addr_b64 v[51:54], v67 offset1:8
	v_pk_add_f16 v62, v62, v93
	v_pk_add_f16 v61, v61, v97
	;; [unrolled: 1-line block ×9, first 2 shown]
	s_waitcnt lgkmcnt(3)
	v_pk_max_f16 v39, v39, v39
	s_waitcnt lgkmcnt(2)
	v_pk_max_f16 v43, v43, v43
	v_pk_max_f16 v45, v45, v45
	s_waitcnt lgkmcnt(1)
	v_pk_max_f16 v47, v47, v47
	v_pk_add_f16 v63, v63, v3
	v_pk_add_f16 v64, v64, v5
	;; [unrolled: 1-line block ×6, first 2 shown]
	v_pk_min_f16 v5, v39, v43
	v_pk_min_f16 v6, v39, v45
	;; [unrolled: 1-line block ×3, first 2 shown]
	ds_load_2addr_b64 v[1:4], v67 offset0:16 offset1:24
	s_waitcnt lgkmcnt(1)
	v_pk_max_f16 v8, v51, v51
	v_pk_max_f16 v49, v49, v49
	v_pk_add_f16 v14, v14, v110
	v_pk_add_f16 v18, v18, v111
	;; [unrolled: 1-line block ×7, first 2 shown]
	v_pk_min_f16 v5, v8, v43
	v_pk_min_f16 v6, v8, v45
	;; [unrolled: 1-line block ×4, first 2 shown]
	v_pk_max_f16 v53, v53, v53
	v_pk_add_f16 v14, v14, v5
	v_pk_add_f16 v18, v18, v6
	;; [unrolled: 1-line block ×4, first 2 shown]
	ds_load_2addr_b64 v[5:8], v67 offset0:32 offset1:40
	v_pk_add_f16 v17, v68, v17
	v_pk_min_f16 v68, v53, v47
	s_waitcnt lgkmcnt(1)
	v_pk_max_f16 v1, v1, v1
	v_pk_add_f16 v41, v41, v118
	v_pk_max_f16 v3, v3, v3
	v_pk_add_f16 v10, v10, v119
	v_pk_add_f16 v78, v82, v68
	v_pk_min_f16 v68, v1, v43
	v_pk_add_f16 v57, v57, v101
	v_pk_add_f16 v19, v69, v19
	v_pk_add_f16 v23, v70, v23
	v_pk_min_f16 v69, v1, v45
	v_pk_min_f16 v70, v1, v47
	;; [unrolled: 1-line block ×3, first 2 shown]
	v_pk_add_f16 v41, v41, v68
	v_pk_min_f16 v68, v3, v45
	v_pk_add_f16 v58, v58, v103
	v_pk_add_f16 v59, v59, v104
	;; [unrolled: 1-line block ×3, first 2 shown]
	s_waitcnt lgkmcnt(0)
	v_pk_max_f16 v5, v5, v5
	v_pk_min_f16 v65, v53, v43
	v_pk_add_f16 v10, v10, v69
	v_pk_add_f16 v1, v9, v1
	v_pk_min_f16 v9, v3, v43
	v_pk_min_f16 v69, v3, v47
	;; [unrolled: 1-line block ×3, first 2 shown]
	v_pk_add_f16 v79, v57, v68
	v_pk_min_f16 v57, v5, v43
	v_pk_add_f16 v15, v66, v15
	v_pk_min_f16 v66, v53, v45
	v_pk_add_f16 v65, v80, v65
	v_pk_add_f16 v3, v58, v3
	v_pk_min_f16 v58, v5, v45
	v_pk_max_f16 v7, v7, v7
	v_pk_add_f16 v80, v59, v57
	v_pk_min_f16 v57, v5, v47
	v_pk_max_f16 v37, v37, v37
	v_pk_add_f16 v66, v81, v66
	v_pk_add_f16 v81, v85, v58
	v_pk_min_f16 v58, v7, v43
	v_pk_min_f16 v59, v7, v45
	v_pk_add_f16 v82, v63, v57
	v_pk_min_f16 v57, v7, v47
	v_pk_min_f16 v7, v7, v49
	;; [unrolled: 1-line block ×6, first 2 shown]
	v_pk_add_f16 v7, v17, v7
	v_pk_add_f16 v17, v19, v43
	v_pk_max_f16 v40, v40, v40
	v_pk_max_f16 v43, v44, v44
	;; [unrolled: 1-line block ×3, first 2 shown]
	v_pk_add_f16 v55, v55, v87
	v_pk_add_f16 v53, v83, v53
	;; [unrolled: 1-line block ×4, first 2 shown]
	v_pk_min_f16 v23, v37, v49
	v_pk_min_f16 v37, v39, v49
	v_pk_max_f16 v83, v48, v48
	v_pk_min_f16 v45, v40, v44
	v_pk_add_f16 v55, v55, v102
	v_pk_add_f16 v9, v84, v9
	;; [unrolled: 1-line block ×3, first 2 shown]
	v_pk_min_f16 v39, v40, v43
	v_pk_add_f16 v84, v62, v37
	v_pk_min_f16 v37, v40, v83
	v_pk_max_f16 v46, v52, v52
	v_pk_add_f16 v59, v12, v45
	v_pk_max_f16 v12, v50, v50
	v_pk_add_f16 v55, v55, v69
	v_pk_add_f16 v69, v51, v39
	v_pk_add_f16 v51, v16, v37
	v_pk_min_f16 v16, v46, v43
	v_pk_min_f16 v37, v46, v44
	;; [unrolled: 1-line block ×4, first 2 shown]
	v_pk_max_f16 v46, v54, v54
	v_pk_add_f16 v56, v56, v120
	v_pk_add_f16 v71, v14, v16
	;; [unrolled: 1-line block ×3, first 2 shown]
	v_pk_max_f16 v2, v2, v2
	v_pk_min_f16 v14, v46, v43
	v_pk_min_f16 v16, v46, v44
	;; [unrolled: 1-line block ×3, first 2 shown]
	v_pk_add_f16 v56, v56, v70
	v_pk_add_f16 v15, v15, v57
	;; [unrolled: 1-line block ×5, first 2 shown]
	v_pk_min_f16 v14, v2, v43
	v_pk_min_f16 v16, v2, v44
	;; [unrolled: 1-line block ×4, first 2 shown]
	v_pk_max_f16 v4, v4, v4
	v_pk_min_f16 v5, v5, v49
	v_pk_add_f16 v65, v10, v16
	v_pk_max_f16 v6, v6, v6
	v_pk_add_f16 v48, v1, v2
	v_pk_min_f16 v1, v4, v43
	v_pk_min_f16 v2, v4, v44
	v_pk_min_f16 v10, v4, v83
	v_pk_min_f16 v4, v4, v12
	v_pk_add_f16 v5, v64, v5
	v_pk_add_f16 v11, v11, v58
	;; [unrolled: 1-line block ×6, first 2 shown]
	v_pk_min_f16 v1, v6, v43
	v_pk_min_f16 v2, v6, v44
	;; [unrolled: 1-line block ×4, first 2 shown]
	v_pk_max_f16 v6, v8, v8
	v_pk_min_f16 v20, v46, v12
	v_pk_add_f16 v37, v80, v1
	v_pk_add_f16 v63, v81, v2
	;; [unrolled: 1-line block ×4, first 2 shown]
	v_pk_min_f16 v1, v6, v43
	v_pk_min_f16 v2, v6, v44
	;; [unrolled: 1-line block ×4, first 2 shown]
	v_pk_max_f16 v5, v38, v38
	v_pk_add_f16 v23, v61, v23
	v_pk_add_f16 v50, v22, v45
	;; [unrolled: 1-line block ×7, first 2 shown]
	v_pk_min_f16 v1, v5, v43
	v_pk_min_f16 v2, v5, v44
	;; [unrolled: 1-line block ×5, first 2 shown]
	v_add_co_u32 v28, s4, v28, 16
	v_pk_add_f16 v41, v41, v14
	v_pk_add_f16 v56, v56, v18
	;; [unrolled: 1-line block ×8, first 2 shown]
	v_add_co_ci_u32_e64 v29, s4, 0, v29, s4
	s_add_i32 s24, s24, 8
	ds_store_b16 v72, v76
	ds_store_b16 v73, v77
	ds_store_b16 v73, v0 offset:512
	s_cmp_ge_i32 s24, s14
	s_waitcnt lgkmcnt(0)
	s_barrier
	buffer_gl0_inv
	s_cbranch_scc1 .LBB291_34
.LBB291_22:                             ; =>This Inner Loop Header: Depth=1
	v_dual_mov_b32 v77, 0 :: v_dual_add_nc_u32 v76, s24, v33
	s_delay_alu instid0(VALU_DEP_1) | instskip(NEXT) | instid1(VALU_DEP_1)
	v_add_nc_u32_e32 v0, 8, v76
	v_cmp_gt_i32_e64 s4, s18, v0
	s_delay_alu instid0(VALU_DEP_1) | instskip(NEXT) | instid1(SALU_CYCLE_1)
	s_and_b32 s4, s4, vcc_lo
	s_and_b32 s4, s3, s4
	s_delay_alu instid0(SALU_CYCLE_1)
	s_and_saveexec_b32 s5, s4
	s_cbranch_execz .LBB291_24
; %bb.23:                               ;   in Loop: Header=BB291_22 Depth=1
	v_add_co_u32 v1, s4, -8, v28
	s_delay_alu instid0(VALU_DEP_1)
	v_add_co_ci_u32_e64 v2, s4, -1, v29, s4
	flat_load_u16 v1, v[1:2]
	s_waitcnt vmcnt(0) lgkmcnt(0)
	v_mul_f16_e32 v77, v32, v1
.LBB291_24:                             ;   in Loop: Header=BB291_22 Depth=1
	s_or_b32 exec_lo, exec_lo, s5
	v_min_i32_e32 v1, s13, v0
	v_cmp_le_i32_e64 s4, s18, v0
	v_dual_mov_b32 v78, 0 :: v_dual_mov_b32 v79, 0
	s_delay_alu instid0(VALU_DEP_3) | instskip(NEXT) | instid1(VALU_DEP_1)
	v_ashrrev_i32_e32 v2, 31, v1
	v_lshlrev_b64 v[1:2], 1, v[1:2]
	s_delay_alu instid0(VALU_DEP_1) | instskip(NEXT) | instid1(VALU_DEP_1)
	v_add_co_u32 v0, s5, s20, v1
	v_add_co_ci_u32_e64 v1, s5, s21, v2, s5
	s_or_b32 s5, s15, s4
	s_delay_alu instid0(SALU_CYCLE_1) | instskip(NEXT) | instid1(SALU_CYCLE_1)
	s_xor_b32 s5, s5, -1
	s_and_saveexec_b32 s22, s5
	s_cbranch_execz .LBB291_26
; %bb.25:                               ;   in Loop: Header=BB291_22 Depth=1
	v_add_co_u32 v2, s5, v0, v24
	s_delay_alu instid0(VALU_DEP_1)
	v_add_co_ci_u32_e64 v3, s5, v1, v25, s5
	flat_load_u16 v2, v[2:3]
	s_waitcnt vmcnt(0) lgkmcnt(0)
	v_mul_f16_e32 v79, v32, v2
.LBB291_26:                             ;   in Loop: Header=BB291_22 Depth=1
	s_or_b32 exec_lo, exec_lo, s22
	s_or_b32 s4, s19, s4
	s_delay_alu instid0(SALU_CYCLE_1) | instskip(NEXT) | instid1(SALU_CYCLE_1)
	s_xor_b32 s4, s4, -1
	s_and_saveexec_b32 s5, s4
	s_cbranch_execz .LBB291_28
; %bb.27:                               ;   in Loop: Header=BB291_22 Depth=1
	v_add_co_u32 v0, s4, v0, v26
	s_delay_alu instid0(VALU_DEP_1)
	v_add_co_ci_u32_e64 v1, s4, v1, v27, s4
	flat_load_u16 v0, v[0:1]
	s_waitcnt vmcnt(0) lgkmcnt(0)
	v_mul_f16_e32 v78, v32, v0
.LBB291_28:                             ;   in Loop: Header=BB291_22 Depth=1
	s_or_b32 exec_lo, exec_lo, s5
	ds_load_2addr_b64 v[0:3], v74 offset0:48 offset1:56
	ds_load_2addr_b64 v[12:15], v75 offset0:64 offset1:96
	ds_load_2addr_b64 v[20:23], v75 offset1:32
	ds_load_2addr_b64 v[16:19], v74 offset1:8
	ds_load_2addr_b64 v[8:11], v74 offset0:16 offset1:24
	ds_load_2addr_b64 v[4:7], v74 offset0:32 offset1:40
	v_add_nc_u32_e32 v80, 12, v76
	ds_store_b16 v60, v77
	ds_store_b16 v36, v79
	ds_store_b16 v36, v78 offset:512
	v_dual_mov_b32 v77, 0 :: v_dual_mov_b32 v76, 0
	s_waitcnt lgkmcnt(0)
	v_cmp_gt_i32_e64 s4, s18, v80
	s_barrier
	buffer_gl0_inv
	s_and_b32 s4, s4, vcc_lo
	s_delay_alu instid0(SALU_CYCLE_1) | instskip(NEXT) | instid1(SALU_CYCLE_1)
	s_and_b32 s5, s3, s4
	s_and_saveexec_b32 s4, s5
	s_cbranch_execz .LBB291_30
; %bb.29:                               ;   in Loop: Header=BB291_22 Depth=1
	flat_load_u16 v76, v[28:29]
	s_waitcnt vmcnt(0) lgkmcnt(0)
	v_mul_f16_e32 v76, v32, v76
.LBB291_30:                             ;   in Loop: Header=BB291_22 Depth=1
	s_or_b32 exec_lo, exec_lo, s4
	v_min_i32_e32 v78, s13, v80
	v_cmp_le_i32_e64 s4, s18, v80
	s_delay_alu instid0(VALU_DEP_2) | instskip(NEXT) | instid1(VALU_DEP_1)
	v_ashrrev_i32_e32 v79, 31, v78
	v_lshlrev_b64 v[78:79], 1, v[78:79]
	s_delay_alu instid0(VALU_DEP_1) | instskip(NEXT) | instid1(VALU_DEP_1)
	v_add_co_u32 v78, s5, s20, v78
	v_add_co_ci_u32_e64 v79, s5, s21, v79, s5
	s_or_b32 s5, s15, s4
	s_delay_alu instid0(SALU_CYCLE_1) | instskip(NEXT) | instid1(SALU_CYCLE_1)
	s_xor_b32 s5, s5, -1
	s_and_saveexec_b32 s22, s5
	s_cbranch_execz .LBB291_32
; %bb.31:                               ;   in Loop: Header=BB291_22 Depth=1
	v_add_co_u32 v80, s5, v78, v24
	s_delay_alu instid0(VALU_DEP_1)
	v_add_co_ci_u32_e64 v81, s5, v79, v25, s5
	flat_load_u16 v77, v[80:81]
	s_waitcnt vmcnt(0) lgkmcnt(0)
	v_mul_f16_e32 v77, v32, v77
.LBB291_32:                             ;   in Loop: Header=BB291_22 Depth=1
	s_or_b32 exec_lo, exec_lo, s22
	v_pk_max_f16 v100, v2, v2
	v_pk_max_f16 v96, v20, v20
	v_pk_max_f16 v97, v22, v22
	v_pk_max_f16 v98, v12, v12
	v_pk_max_f16 v22, v16, v16
	v_pk_max_f16 v101, v14, v14
	v_pk_max_f16 v82, v18, v18
	v_pk_max_f16 v85, v8, v8
	v_pk_max_f16 v88, v10, v10
	v_pk_max_f16 v91, v4, v4
	v_pk_max_f16 v95, v6, v6
	v_pk_max_f16 v0, v0, v0
	v_pk_min_f16 v2, v100, v96
	v_pk_min_f16 v12, v100, v97
	;; [unrolled: 1-line block ×25, first 2 shown]
	v_pk_max_f16 v0, v3, v3
	v_pk_max_f16 v21, v21, v21
	;; [unrolled: 1-line block ×9, first 2 shown]
	v_pk_min_f16 v110, v3, v21
	v_pk_min_f16 v111, v3, v23
	;; [unrolled: 1-line block ×4, first 2 shown]
	v_pk_max_f16 v3, v9, v9
	v_pk_max_f16 v7, v7, v7
	;; [unrolled: 1-line block ×3, first 2 shown]
	v_pk_min_f16 v22, v22, v101
	v_pk_min_f16 v82, v82, v101
	;; [unrolled: 1-line block ×35, first 2 shown]
	v_mov_b32_e32 v0, 0
	s_or_b32 s4, s19, s4
	s_delay_alu instid0(SALU_CYCLE_1) | instskip(NEXT) | instid1(SALU_CYCLE_1)
	s_xor_b32 s4, s4, -1
	s_and_saveexec_b32 s5, s4
	s_cbranch_execz .LBB291_21
; %bb.33:                               ;   in Loop: Header=BB291_22 Depth=1
	v_add_co_u32 v78, s4, v78, v26
	s_delay_alu instid0(VALU_DEP_1)
	v_add_co_ci_u32_e64 v79, s4, v79, v27, s4
	flat_load_u16 v0, v[78:79]
	s_waitcnt vmcnt(0) lgkmcnt(0)
	v_mul_f16_e32 v0, v32, v0
	s_branch .LBB291_21
.LBB291_34:
	s_clause 0x2
	s_load_b64 s[4:5], s[0:1], 0x78
	s_load_b32 s14, s[0:1], 0x58
	s_load_b32 s13, s[0:1], 0x70
	v_add_nc_u32_e32 v67, s9, v31
	v_add_nc_u32_e32 v8, 0x800, v35
	ds_load_2addr_b64 v[0:3], v34 offset0:192 offset1:224
	ds_load_2addr_b64 v[20:23], v34 offset0:128 offset1:160
	v_add_nc_u32_e32 v24, s8, v30
	ds_load_2addr_b64 v[4:7], v8 offset0:112 offset1:120
	ds_load_2addr_b64 v[16:19], v8 offset0:64 offset1:72
	;; [unrolled: 1-line block ×4, first 2 shown]
	v_cmp_gt_i32_e64 s8, s17, v67
	v_cndmask_b32_e64 v60, 0, 1, s2
	s_waitcnt lgkmcnt(0)
	s_mul_i32 s1, s12, s5
	v_mad_i64_i32 v[25:26], null, v67, s14, 0
	v_mad_i64_i32 v[27:28], null, v67, s13, 0
	s_mul_hi_u32 s3, s12, s4
	s_mul_i32 s0, s12, s4
	s_add_i32 s1, s3, s1
	s_delay_alu instid0(SALU_CYCLE_1) | instskip(NEXT) | instid1(VALU_DEP_2)
	s_lshl_b64 s[4:5], s[0:1], 1
	v_lshlrev_b64 v[25:26], 1, v[25:26]
	s_delay_alu instid0(VALU_DEP_2) | instskip(SKIP_3) | instid1(VALU_DEP_3)
	v_lshlrev_b64 v[27:28], 1, v[27:28]
	s_add_u32 s9, s6, s4
	v_cmp_gt_i32_e64 s0, s16, v24
	s_addc_u32 s12, s7, s5
	v_add_co_u32 v74, vcc_lo, s10, v25
	v_add_co_ci_u32_e32 v75, vcc_lo, s11, v26, vcc_lo
	v_add_co_u32 v72, vcc_lo, s9, v27
	v_add_co_ci_u32_e32 v73, vcc_lo, s12, v28, vcc_lo
	v_ashrrev_i32_e32 v25, 31, v24
	s_and_b32 s3, s0, s8
	s_delay_alu instid0(SALU_CYCLE_1)
	s_and_saveexec_b32 s1, s3
	s_cbranch_execz .LBB291_39
; %bb.35:
	s_delay_alu instid0(VALU_DEP_1)
	v_lshlrev_b64 v[26:27], 1, v[24:25]
	s_and_not1_b32 vcc_lo, exec_lo, s2
	s_cbranch_vccnz .LBB291_37
; %bb.36:
	s_delay_alu instid0(VALU_DEP_1) | instskip(NEXT) | instid1(VALU_DEP_2)
	v_add_co_u32 v28, vcc_lo, v74, v26
	v_add_co_ci_u32_e32 v29, vcc_lo, v75, v27, vcc_lo
	flat_load_u16 v28, v[28:29]
	s_waitcnt vmcnt(0) lgkmcnt(0)
	v_mul_f16_e32 v28, v42, v28
	s_branch .LBB291_38
.LBB291_37:
	v_mov_b32_e32 v28, 0
.LBB291_38:
	v_pk_max_f16 v29, v20, v20
	v_pk_max_f16 v30, v16, v16
	;; [unrolled: 1-line block ×4, first 2 shown]
	v_add_co_u32 v26, vcc_lo, v72, v26
	s_delay_alu instid0(VALU_DEP_4) | instskip(SKIP_1) | instid1(VALU_DEP_4)
	v_pk_min_f16 v29, v30, v29
	v_add_co_ci_u32_e32 v27, vcc_lo, v73, v27, vcc_lo
	v_pk_min_f16 v30, v32, v31
	s_delay_alu instid0(VALU_DEP_3) | instskip(NEXT) | instid1(VALU_DEP_1)
	v_pk_add_f16 v29, v71, v29
	v_pk_add_f16 v29, v29, v30
	s_delay_alu instid0(VALU_DEP_1) | instskip(NEXT) | instid1(VALU_DEP_1)
	v_lshrrev_b32_e32 v30, 16, v29
	v_add_f16_e32 v29, v29, v30
	s_delay_alu instid0(VALU_DEP_1)
	v_add_f16_e32 v28, v29, v28
	global_store_b16 v[26:27], v28, off
.LBB291_39:
	s_or_b32 exec_lo, exec_lo, s1
	v_add_nc_u32_e32 v26, 8, v24
	s_delay_alu instid0(VALU_DEP_1) | instskip(SKIP_1) | instid1(VALU_DEP_2)
	v_cmp_gt_i32_e64 s1, s16, v26
	v_ashrrev_i32_e32 v27, 31, v26
	s_and_b32 s3, s1, s8
	s_delay_alu instid0(SALU_CYCLE_1)
	s_and_saveexec_b32 s2, s3
	s_cbranch_execz .LBB291_44
; %bb.40:
	v_cmp_ne_u32_e32 vcc_lo, 1, v60
	v_lshlrev_b64 v[28:29], 1, v[26:27]
	s_cbranch_vccnz .LBB291_42
; %bb.41:
	s_delay_alu instid0(VALU_DEP_1) | instskip(NEXT) | instid1(VALU_DEP_2)
	v_add_co_u32 v30, vcc_lo, v74, v28
	v_add_co_ci_u32_e32 v31, vcc_lo, v75, v29, vcc_lo
	flat_load_u16 v30, v[30:31]
	s_waitcnt vmcnt(0) lgkmcnt(0)
	v_mul_f16_e32 v30, v42, v30
	s_branch .LBB291_43
.LBB291_42:
	v_mov_b32_e32 v30, 0
.LBB291_43:
	v_pk_max_f16 v31, v20, v20
	v_pk_max_f16 v32, v18, v18
	v_pk_max_f16 v33, v21, v21
	v_pk_max_f16 v34, v19, v19
	v_add_co_u32 v28, vcc_lo, v72, v28
	s_delay_alu instid0(VALU_DEP_4) | instskip(SKIP_1) | instid1(VALU_DEP_4)
	v_pk_min_f16 v31, v32, v31
	v_add_co_ci_u32_e32 v29, vcc_lo, v73, v29, vcc_lo
	v_pk_min_f16 v32, v34, v33
	s_delay_alu instid0(VALU_DEP_3) | instskip(NEXT) | instid1(VALU_DEP_1)
	v_pk_add_f16 v31, v70, v31
	v_pk_add_f16 v31, v31, v32
	s_delay_alu instid0(VALU_DEP_1) | instskip(NEXT) | instid1(VALU_DEP_1)
	v_lshrrev_b32_e32 v32, 16, v31
	v_add_f16_e32 v31, v31, v32
	s_delay_alu instid0(VALU_DEP_1)
	v_add_f16_e32 v30, v31, v30
	global_store_b16 v[28:29], v30, off
.LBB291_44:
	s_or_b32 exec_lo, exec_lo, s2
	v_add_nc_u32_e32 v28, 16, v24
	s_delay_alu instid0(VALU_DEP_1) | instskip(SKIP_1) | instid1(VALU_DEP_2)
	v_cmp_gt_i32_e64 s2, s16, v28
	v_ashrrev_i32_e32 v29, 31, v28
	s_and_b32 s4, s2, s8
	s_delay_alu instid0(SALU_CYCLE_1)
	s_and_saveexec_b32 s3, s4
	s_cbranch_execz .LBB291_49
; %bb.45:
	v_cmp_ne_u32_e32 vcc_lo, 1, v60
	v_lshlrev_b64 v[30:31], 1, v[28:29]
	s_cbranch_vccnz .LBB291_47
; %bb.46:
	s_delay_alu instid0(VALU_DEP_1) | instskip(NEXT) | instid1(VALU_DEP_2)
	v_add_co_u32 v32, vcc_lo, v74, v30
	v_add_co_ci_u32_e32 v33, vcc_lo, v75, v31, vcc_lo
	flat_load_u16 v32, v[32:33]
	s_waitcnt vmcnt(0) lgkmcnt(0)
	v_mul_f16_e32 v32, v42, v32
	s_branch .LBB291_48
.LBB291_47:
	v_mov_b32_e32 v32, 0
.LBB291_48:
	v_pk_max_f16 v33, v20, v20
	v_pk_max_f16 v34, v12, v12
	v_pk_max_f16 v35, v21, v21
	v_pk_max_f16 v36, v13, v13
	v_add_co_u32 v30, vcc_lo, v72, v30
	s_delay_alu instid0(VALU_DEP_4) | instskip(SKIP_1) | instid1(VALU_DEP_4)
	v_pk_min_f16 v33, v34, v33
	v_add_co_ci_u32_e32 v31, vcc_lo, v73, v31, vcc_lo
	v_pk_min_f16 v34, v36, v35
	s_delay_alu instid0(VALU_DEP_3) | instskip(NEXT) | instid1(VALU_DEP_1)
	v_pk_add_f16 v33, v41, v33
	v_pk_add_f16 v33, v33, v34
	s_delay_alu instid0(VALU_DEP_1) | instskip(NEXT) | instid1(VALU_DEP_1)
	v_lshrrev_b32_e32 v34, 16, v33
	v_add_f16_e32 v33, v33, v34
	s_delay_alu instid0(VALU_DEP_1)
	v_add_f16_e32 v32, v33, v32
	global_store_b16 v[30:31], v32, off
.LBB291_49:
	s_or_b32 exec_lo, exec_lo, s3
	v_add_nc_u32_e32 v30, 24, v24
	s_delay_alu instid0(VALU_DEP_1) | instskip(SKIP_1) | instid1(VALU_DEP_2)
	v_cmp_gt_i32_e64 s3, s16, v30
	v_ashrrev_i32_e32 v31, 31, v30
	s_and_b32 s5, s3, s8
	s_delay_alu instid0(SALU_CYCLE_1)
	s_and_saveexec_b32 s4, s5
	s_cbranch_execz .LBB291_54
; %bb.50:
	v_cmp_ne_u32_e32 vcc_lo, 1, v60
	v_lshlrev_b64 v[32:33], 1, v[30:31]
	s_cbranch_vccnz .LBB291_52
; %bb.51:
	s_delay_alu instid0(VALU_DEP_1) | instskip(NEXT) | instid1(VALU_DEP_2)
	v_add_co_u32 v34, vcc_lo, v74, v32
	v_add_co_ci_u32_e32 v35, vcc_lo, v75, v33, vcc_lo
	flat_load_u16 v34, v[34:35]
	s_waitcnt vmcnt(0) lgkmcnt(0)
	v_mul_f16_e32 v34, v42, v34
	s_branch .LBB291_53
.LBB291_52:
	v_mov_b32_e32 v34, 0
.LBB291_53:
	v_pk_max_f16 v35, v20, v20
	v_pk_max_f16 v36, v14, v14
	v_pk_max_f16 v41, v21, v21
	v_pk_max_f16 v70, v15, v15
	v_add_co_u32 v32, vcc_lo, v72, v32
	s_delay_alu instid0(VALU_DEP_4) | instskip(SKIP_1) | instid1(VALU_DEP_4)
	v_pk_min_f16 v35, v36, v35
	v_add_co_ci_u32_e32 v33, vcc_lo, v73, v33, vcc_lo
	v_pk_min_f16 v36, v70, v41
	s_delay_alu instid0(VALU_DEP_3) | instskip(NEXT) | instid1(VALU_DEP_1)
	v_pk_add_f16 v35, v39, v35
	v_pk_add_f16 v35, v35, v36
	s_delay_alu instid0(VALU_DEP_1) | instskip(NEXT) | instid1(VALU_DEP_1)
	v_lshrrev_b32_e32 v36, 16, v35
	v_add_f16_e32 v35, v35, v36
	s_delay_alu instid0(VALU_DEP_1)
	v_add_f16_e32 v34, v35, v34
	global_store_b16 v[32:33], v34, off
.LBB291_54:
	s_or_b32 exec_lo, exec_lo, s4
	v_add_nc_u32_e32 v32, 32, v24
	s_delay_alu instid0(VALU_DEP_1) | instskip(SKIP_1) | instid1(VALU_DEP_2)
	v_cmp_gt_i32_e64 s4, s16, v32
	v_ashrrev_i32_e32 v33, 31, v32
	s_and_b32 s6, s4, s8
	s_delay_alu instid0(SALU_CYCLE_1)
	s_and_saveexec_b32 s5, s6
	s_cbranch_execz .LBB291_59
; %bb.55:
	v_cmp_ne_u32_e32 vcc_lo, 1, v60
	v_lshlrev_b64 v[34:35], 1, v[32:33]
	s_cbranch_vccnz .LBB291_57
; %bb.56:
	s_delay_alu instid0(VALU_DEP_1) | instskip(NEXT) | instid1(VALU_DEP_2)
	v_add_co_u32 v70, vcc_lo, v74, v34
	v_add_co_ci_u32_e32 v71, vcc_lo, v75, v35, vcc_lo
	flat_load_u16 v36, v[70:71]
	s_waitcnt vmcnt(0) lgkmcnt(0)
	v_mul_f16_e32 v36, v42, v36
	s_branch .LBB291_58
.LBB291_57:
	v_mov_b32_e32 v36, 0
.LBB291_58:
	v_pk_max_f16 v39, v20, v20
	v_pk_max_f16 v41, v8, v8
	v_pk_max_f16 v70, v21, v21
	v_pk_max_f16 v71, v9, v9
	v_add_co_u32 v34, vcc_lo, v72, v34
	s_delay_alu instid0(VALU_DEP_4) | instskip(SKIP_1) | instid1(VALU_DEP_4)
	v_pk_min_f16 v39, v41, v39
	v_add_co_ci_u32_e32 v35, vcc_lo, v73, v35, vcc_lo
	v_pk_min_f16 v41, v71, v70
	s_delay_alu instid0(VALU_DEP_3) | instskip(NEXT) | instid1(VALU_DEP_1)
	v_pk_add_f16 v37, v37, v39
	v_pk_add_f16 v37, v37, v41
	s_delay_alu instid0(VALU_DEP_1) | instskip(NEXT) | instid1(VALU_DEP_1)
	v_lshrrev_b32_e32 v39, 16, v37
	v_add_f16_e32 v37, v37, v39
	s_delay_alu instid0(VALU_DEP_1)
	v_add_f16_e32 v36, v37, v36
	global_store_b16 v[34:35], v36, off
.LBB291_59:
	s_or_b32 exec_lo, exec_lo, s5
	v_add_nc_u32_e32 v34, 40, v24
	s_delay_alu instid0(VALU_DEP_1) | instskip(SKIP_1) | instid1(VALU_DEP_2)
	v_cmp_gt_i32_e64 s5, s16, v34
	v_ashrrev_i32_e32 v35, 31, v34
	s_and_b32 s7, s5, s8
	s_delay_alu instid0(SALU_CYCLE_1)
	s_and_saveexec_b32 s6, s7
	s_cbranch_execz .LBB291_64
; %bb.60:
	v_cmp_ne_u32_e32 vcc_lo, 1, v60
	v_lshlrev_b64 v[36:37], 1, v[34:35]
	s_cbranch_vccnz .LBB291_62
; %bb.61:
	s_delay_alu instid0(VALU_DEP_1) | instskip(NEXT) | instid1(VALU_DEP_2)
	v_add_co_u32 v70, vcc_lo, v74, v36
	v_add_co_ci_u32_e32 v71, vcc_lo, v75, v37, vcc_lo
	flat_load_u16 v39, v[70:71]
	s_waitcnt vmcnt(0) lgkmcnt(0)
	v_mul_f16_e32 v39, v42, v39
	s_branch .LBB291_63
.LBB291_62:
	v_mov_b32_e32 v39, 0
.LBB291_63:
	v_pk_max_f16 v41, v20, v20
	v_pk_max_f16 v70, v10, v10
	v_pk_max_f16 v71, v21, v21
	v_pk_max_f16 v76, v11, v11
	v_add_co_u32 v36, vcc_lo, v72, v36
	s_delay_alu instid0(VALU_DEP_4) | instskip(SKIP_1) | instid1(VALU_DEP_4)
	v_pk_min_f16 v41, v70, v41
	v_add_co_ci_u32_e32 v37, vcc_lo, v73, v37, vcc_lo
	v_pk_min_f16 v70, v76, v71
	s_delay_alu instid0(VALU_DEP_3) | instskip(NEXT) | instid1(VALU_DEP_1)
	v_pk_add_f16 v38, v38, v41
	v_pk_add_f16 v38, v38, v70
	s_delay_alu instid0(VALU_DEP_1) | instskip(NEXT) | instid1(VALU_DEP_1)
	v_lshrrev_b32_e32 v41, 16, v38
	v_add_f16_e32 v38, v38, v41
	s_delay_alu instid0(VALU_DEP_1)
	v_add_f16_e32 v38, v38, v39
	global_store_b16 v[36:37], v38, off
.LBB291_64:
	s_or_b32 exec_lo, exec_lo, s6
	v_add_nc_u32_e32 v36, 48, v24
	s_delay_alu instid0(VALU_DEP_1) | instskip(SKIP_1) | instid1(VALU_DEP_2)
	v_cmp_gt_i32_e64 s6, s16, v36
	v_ashrrev_i32_e32 v37, 31, v36
	s_and_b32 s15, s6, s8
	s_delay_alu instid0(SALU_CYCLE_1)
	s_and_saveexec_b32 s7, s15
	s_cbranch_execz .LBB291_69
; %bb.65:
	v_cmp_ne_u32_e32 vcc_lo, 1, v60
	v_lshlrev_b64 v[38:39], 1, v[36:37]
	s_cbranch_vccnz .LBB291_67
; %bb.66:
	s_delay_alu instid0(VALU_DEP_1) | instskip(NEXT) | instid1(VALU_DEP_2)
	v_add_co_u32 v70, vcc_lo, v74, v38
	v_add_co_ci_u32_e32 v71, vcc_lo, v75, v39, vcc_lo
	flat_load_u16 v41, v[70:71]
	s_waitcnt vmcnt(0) lgkmcnt(0)
	v_mul_f16_e32 v41, v42, v41
	s_branch .LBB291_68
.LBB291_67:
	v_mov_b32_e32 v41, 0
.LBB291_68:
	v_pk_max_f16 v70, v20, v20
	v_pk_max_f16 v71, v4, v4
	v_pk_max_f16 v76, v21, v21
	v_pk_max_f16 v77, v5, v5
	v_add_co_u32 v38, vcc_lo, v72, v38
	s_delay_alu instid0(VALU_DEP_4) | instskip(SKIP_1) | instid1(VALU_DEP_4)
	v_pk_min_f16 v70, v71, v70
	v_add_co_ci_u32_e32 v39, vcc_lo, v73, v39, vcc_lo
	v_pk_min_f16 v71, v77, v76
	s_delay_alu instid0(VALU_DEP_3) | instskip(NEXT) | instid1(VALU_DEP_1)
	v_pk_add_f16 v40, v40, v70
	v_pk_add_f16 v40, v40, v71
	s_delay_alu instid0(VALU_DEP_1) | instskip(NEXT) | instid1(VALU_DEP_1)
	v_lshrrev_b32_e32 v70, 16, v40
	v_add_f16_e32 v40, v40, v70
	s_delay_alu instid0(VALU_DEP_1)
	v_add_f16_e32 v40, v40, v41
	global_store_b16 v[38:39], v40, off
.LBB291_69:
	s_or_b32 exec_lo, exec_lo, s7
	v_add_nc_u32_e32 v38, 56, v24
	s_delay_alu instid0(VALU_DEP_1) | instskip(SKIP_1) | instid1(VALU_DEP_2)
	v_cmp_gt_i32_e64 s7, s16, v38
	v_ashrrev_i32_e32 v39, 31, v38
	s_and_b32 s15, s7, s8
	s_delay_alu instid0(SALU_CYCLE_1)
	s_and_saveexec_b32 s8, s15
	s_cbranch_execz .LBB291_74
; %bb.70:
	v_cmp_ne_u32_e32 vcc_lo, 1, v60
	v_lshlrev_b64 v[40:41], 1, v[38:39]
	s_cbranch_vccnz .LBB291_72
; %bb.71:
	s_delay_alu instid0(VALU_DEP_1) | instskip(NEXT) | instid1(VALU_DEP_2)
	v_add_co_u32 v70, vcc_lo, v74, v40
	v_add_co_ci_u32_e32 v71, vcc_lo, v75, v41, vcc_lo
	flat_load_u16 v70, v[70:71]
	s_waitcnt vmcnt(0) lgkmcnt(0)
	v_mul_f16_e32 v70, v42, v70
	s_branch .LBB291_73
.LBB291_72:
	v_mov_b32_e32 v70, 0
.LBB291_73:
	v_pk_max_f16 v20, v20, v20
	v_pk_max_f16 v71, v6, v6
	;; [unrolled: 1-line block ×4, first 2 shown]
	s_delay_alu instid0(VALU_DEP_3) | instskip(NEXT) | instid1(VALU_DEP_2)
	v_pk_min_f16 v20, v71, v20
	v_pk_min_f16 v21, v74, v21
	s_delay_alu instid0(VALU_DEP_2) | instskip(NEXT) | instid1(VALU_DEP_1)
	v_pk_add_f16 v20, v69, v20
	v_pk_add_f16 v20, v20, v21
	s_delay_alu instid0(VALU_DEP_1) | instskip(NEXT) | instid1(VALU_DEP_1)
	v_lshrrev_b32_e32 v21, 16, v20
	v_add_f16_e32 v20, v20, v21
	s_delay_alu instid0(VALU_DEP_1)
	v_add_f16_e32 v69, v20, v70
	v_add_co_u32 v20, vcc_lo, v72, v40
	v_add_co_ci_u32_e32 v21, vcc_lo, v73, v41, vcc_lo
	global_store_b16 v[20:21], v69, off
.LBB291_74:
	s_or_b32 exec_lo, exec_lo, s8
	v_add_nc_u32_e32 v69, 32, v67
	s_delay_alu instid0(VALU_DEP_1) | instskip(SKIP_2) | instid1(VALU_DEP_3)
	v_mad_i64_i32 v[20:21], null, v69, s14, 0
	v_mad_i64_i32 v[40:41], null, v69, s13, 0
	v_cmp_gt_i32_e64 s8, s17, v69
	v_lshlrev_b64 v[20:21], 1, v[20:21]
	s_delay_alu instid0(VALU_DEP_2) | instskip(NEXT) | instid1(VALU_DEP_3)
	s_and_b32 s16, s0, s8
	v_lshlrev_b64 v[40:41], 1, v[40:41]
	s_delay_alu instid0(VALU_DEP_2) | instskip(NEXT) | instid1(VALU_DEP_3)
	v_add_co_u32 v69, vcc_lo, s10, v20
	v_add_co_ci_u32_e32 v70, vcc_lo, s11, v21, vcc_lo
	s_delay_alu instid0(VALU_DEP_3) | instskip(NEXT) | instid1(VALU_DEP_4)
	v_add_co_u32 v40, vcc_lo, s9, v40
	v_add_co_ci_u32_e32 v41, vcc_lo, s12, v41, vcc_lo
	s_and_saveexec_b32 s15, s16
	s_cbranch_execnz .LBB291_82
; %bb.75:
	s_or_b32 exec_lo, exec_lo, s15
	s_and_b32 s16, s1, s8
	s_delay_alu instid0(SALU_CYCLE_1)
	s_and_saveexec_b32 s15, s16
	s_cbranch_execnz .LBB291_86
.LBB291_76:
	s_or_b32 exec_lo, exec_lo, s15
	s_and_b32 s16, s2, s8
	s_delay_alu instid0(SALU_CYCLE_1)
	s_and_saveexec_b32 s15, s16
	s_cbranch_execnz .LBB291_90
.LBB291_77:
	s_or_b32 exec_lo, exec_lo, s15
	s_and_b32 s16, s3, s8
	s_delay_alu instid0(SALU_CYCLE_1)
	s_and_saveexec_b32 s15, s16
	s_cbranch_execnz .LBB291_94
.LBB291_78:
	s_or_b32 exec_lo, exec_lo, s15
	s_and_b32 s16, s4, s8
	s_delay_alu instid0(SALU_CYCLE_1)
	s_and_saveexec_b32 s15, s16
	s_cbranch_execnz .LBB291_98
.LBB291_79:
	s_or_b32 exec_lo, exec_lo, s15
	s_and_b32 s16, s5, s8
	s_delay_alu instid0(SALU_CYCLE_1)
	s_and_saveexec_b32 s15, s16
	s_cbranch_execnz .LBB291_102
.LBB291_80:
	s_or_b32 exec_lo, exec_lo, s15
	s_and_b32 s16, s6, s8
	s_delay_alu instid0(SALU_CYCLE_1)
	s_and_saveexec_b32 s15, s16
	s_cbranch_execnz .LBB291_106
.LBB291_81:
	s_or_b32 exec_lo, exec_lo, s15
	s_and_b32 s15, s7, s8
	s_delay_alu instid0(SALU_CYCLE_1)
	s_and_saveexec_b32 s8, s15
	s_cbranch_execnz .LBB291_110
	s_branch .LBB291_114
.LBB291_82:
	v_cmp_ne_u32_e32 vcc_lo, 1, v60
	v_lshlrev_b64 v[20:21], 1, v[24:25]
	s_cbranch_vccnz .LBB291_84
; %bb.83:
	s_delay_alu instid0(VALU_DEP_1) | instskip(NEXT) | instid1(VALU_DEP_2)
	v_add_co_u32 v71, vcc_lo, v69, v20
	v_add_co_ci_u32_e32 v72, vcc_lo, v70, v21, vcc_lo
	flat_load_u16 v71, v[71:72]
	s_waitcnt vmcnt(0) lgkmcnt(0)
	v_mul_f16_e32 v71, v42, v71
	s_branch .LBB291_85
.LBB291_84:
	v_mov_b32_e32 v71, 0
.LBB291_85:
	v_pk_max_f16 v72, v22, v22
	v_pk_max_f16 v73, v16, v16
	;; [unrolled: 1-line block ×4, first 2 shown]
	v_add_co_u32 v20, vcc_lo, v40, v20
	s_delay_alu instid0(VALU_DEP_4) | instskip(SKIP_1) | instid1(VALU_DEP_4)
	v_pk_min_f16 v72, v73, v72
	v_add_co_ci_u32_e32 v21, vcc_lo, v41, v21, vcc_lo
	v_pk_min_f16 v73, v75, v74
	s_delay_alu instid0(VALU_DEP_3) | instskip(NEXT) | instid1(VALU_DEP_1)
	v_pk_add_f16 v68, v68, v72
	v_pk_add_f16 v68, v68, v73
	s_delay_alu instid0(VALU_DEP_1) | instskip(NEXT) | instid1(VALU_DEP_1)
	v_lshrrev_b32_e32 v72, 16, v68
	v_add_f16_e32 v68, v68, v72
	s_delay_alu instid0(VALU_DEP_1) | instskip(SKIP_3) | instid1(SALU_CYCLE_1)
	v_add_f16_e32 v68, v68, v71
	global_store_b16 v[20:21], v68, off
	s_or_b32 exec_lo, exec_lo, s15
	s_and_b32 s16, s1, s8
	s_and_saveexec_b32 s15, s16
	s_cbranch_execz .LBB291_76
.LBB291_86:
	v_cmp_ne_u32_e32 vcc_lo, 1, v60
	v_lshlrev_b64 v[20:21], 1, v[26:27]
	s_cbranch_vccnz .LBB291_88
; %bb.87:
	s_delay_alu instid0(VALU_DEP_1) | instskip(NEXT) | instid1(VALU_DEP_2)
	v_add_co_u32 v71, vcc_lo, v69, v20
	v_add_co_ci_u32_e32 v72, vcc_lo, v70, v21, vcc_lo
	flat_load_u16 v68, v[71:72]
	s_waitcnt vmcnt(0) lgkmcnt(0)
	v_mul_f16_e32 v68, v42, v68
	s_branch .LBB291_89
.LBB291_88:
	v_mov_b32_e32 v68, 0
.LBB291_89:
	v_pk_max_f16 v71, v22, v22
	v_pk_max_f16 v72, v18, v18
	;; [unrolled: 1-line block ×4, first 2 shown]
	v_add_co_u32 v20, vcc_lo, v40, v20
	s_delay_alu instid0(VALU_DEP_4) | instskip(SKIP_1) | instid1(VALU_DEP_4)
	v_pk_min_f16 v71, v72, v71
	v_add_co_ci_u32_e32 v21, vcc_lo, v41, v21, vcc_lo
	v_pk_min_f16 v72, v74, v73
	s_delay_alu instid0(VALU_DEP_3) | instskip(NEXT) | instid1(VALU_DEP_1)
	v_pk_add_f16 v66, v66, v71
	v_pk_add_f16 v66, v66, v72
	s_delay_alu instid0(VALU_DEP_1) | instskip(NEXT) | instid1(VALU_DEP_1)
	v_lshrrev_b32_e32 v71, 16, v66
	v_add_f16_e32 v66, v66, v71
	s_delay_alu instid0(VALU_DEP_1) | instskip(SKIP_3) | instid1(SALU_CYCLE_1)
	v_add_f16_e32 v66, v66, v68
	global_store_b16 v[20:21], v66, off
	s_or_b32 exec_lo, exec_lo, s15
	s_and_b32 s16, s2, s8
	s_and_saveexec_b32 s15, s16
	s_cbranch_execz .LBB291_77
.LBB291_90:
	v_cmp_ne_u32_e32 vcc_lo, 1, v60
	v_lshlrev_b64 v[20:21], 1, v[28:29]
	s_cbranch_vccnz .LBB291_92
; %bb.91:
	s_delay_alu instid0(VALU_DEP_1) | instskip(NEXT) | instid1(VALU_DEP_2)
	v_add_co_u32 v71, vcc_lo, v69, v20
	v_add_co_ci_u32_e32 v72, vcc_lo, v70, v21, vcc_lo
	flat_load_u16 v66, v[71:72]
	s_waitcnt vmcnt(0) lgkmcnt(0)
	v_mul_f16_e32 v66, v42, v66
	s_branch .LBB291_93
.LBB291_92:
	v_mov_b32_e32 v66, 0
.LBB291_93:
	v_pk_max_f16 v68, v22, v22
	v_pk_max_f16 v71, v12, v12
	;; [unrolled: 1-line block ×4, first 2 shown]
	v_add_co_u32 v20, vcc_lo, v40, v20
	s_delay_alu instid0(VALU_DEP_4) | instskip(SKIP_1) | instid1(VALU_DEP_4)
	v_pk_min_f16 v68, v71, v68
	v_add_co_ci_u32_e32 v21, vcc_lo, v41, v21, vcc_lo
	v_pk_min_f16 v71, v73, v72
	s_delay_alu instid0(VALU_DEP_3) | instskip(NEXT) | instid1(VALU_DEP_1)
	v_pk_add_f16 v65, v65, v68
	v_pk_add_f16 v65, v65, v71
	s_delay_alu instid0(VALU_DEP_1) | instskip(NEXT) | instid1(VALU_DEP_1)
	v_lshrrev_b32_e32 v68, 16, v65
	v_add_f16_e32 v65, v65, v68
	s_delay_alu instid0(VALU_DEP_1) | instskip(SKIP_3) | instid1(SALU_CYCLE_1)
	v_add_f16_e32 v65, v65, v66
	global_store_b16 v[20:21], v65, off
	s_or_b32 exec_lo, exec_lo, s15
	s_and_b32 s16, s3, s8
	s_and_saveexec_b32 s15, s16
	s_cbranch_execz .LBB291_78
.LBB291_94:
	v_cmp_ne_u32_e32 vcc_lo, 1, v60
	v_lshlrev_b64 v[20:21], 1, v[30:31]
	s_cbranch_vccnz .LBB291_96
; %bb.95:
	s_delay_alu instid0(VALU_DEP_1) | instskip(NEXT) | instid1(VALU_DEP_2)
	v_add_co_u32 v65, vcc_lo, v69, v20
	v_add_co_ci_u32_e32 v66, vcc_lo, v70, v21, vcc_lo
	flat_load_u16 v65, v[65:66]
	s_waitcnt vmcnt(0) lgkmcnt(0)
	v_mul_f16_e32 v65, v42, v65
	s_branch .LBB291_97
.LBB291_96:
	v_mov_b32_e32 v65, 0
.LBB291_97:
	v_pk_max_f16 v66, v22, v22
	v_pk_max_f16 v68, v14, v14
	;; [unrolled: 1-line block ×4, first 2 shown]
	v_add_co_u32 v20, vcc_lo, v40, v20
	s_delay_alu instid0(VALU_DEP_4) | instskip(SKIP_1) | instid1(VALU_DEP_4)
	v_pk_min_f16 v66, v68, v66
	v_add_co_ci_u32_e32 v21, vcc_lo, v41, v21, vcc_lo
	v_pk_min_f16 v68, v72, v71
	s_delay_alu instid0(VALU_DEP_3) | instskip(NEXT) | instid1(VALU_DEP_1)
	v_pk_add_f16 v64, v64, v66
	v_pk_add_f16 v64, v64, v68
	s_delay_alu instid0(VALU_DEP_1) | instskip(NEXT) | instid1(VALU_DEP_1)
	v_lshrrev_b32_e32 v66, 16, v64
	v_add_f16_e32 v64, v64, v66
	s_delay_alu instid0(VALU_DEP_1) | instskip(SKIP_3) | instid1(SALU_CYCLE_1)
	v_add_f16_e32 v64, v64, v65
	global_store_b16 v[20:21], v64, off
	s_or_b32 exec_lo, exec_lo, s15
	s_and_b32 s16, s4, s8
	s_and_saveexec_b32 s15, s16
	s_cbranch_execz .LBB291_79
.LBB291_98:
	v_cmp_ne_u32_e32 vcc_lo, 1, v60
	v_lshlrev_b64 v[20:21], 1, v[32:33]
	s_cbranch_vccnz .LBB291_100
; %bb.99:
	s_delay_alu instid0(VALU_DEP_1) | instskip(NEXT) | instid1(VALU_DEP_2)
	v_add_co_u32 v64, vcc_lo, v69, v20
	v_add_co_ci_u32_e32 v65, vcc_lo, v70, v21, vcc_lo
	flat_load_u16 v64, v[64:65]
	s_waitcnt vmcnt(0) lgkmcnt(0)
	v_mul_f16_e32 v64, v42, v64
	s_branch .LBB291_101
.LBB291_100:
	v_mov_b32_e32 v64, 0
.LBB291_101:
	v_pk_max_f16 v65, v22, v22
	v_pk_max_f16 v66, v8, v8
	;; [unrolled: 1-line block ×4, first 2 shown]
	v_add_co_u32 v20, vcc_lo, v40, v20
	s_delay_alu instid0(VALU_DEP_4) | instskip(SKIP_1) | instid1(VALU_DEP_4)
	v_pk_min_f16 v65, v66, v65
	v_add_co_ci_u32_e32 v21, vcc_lo, v41, v21, vcc_lo
	v_pk_min_f16 v66, v71, v68
	s_delay_alu instid0(VALU_DEP_3) | instskip(NEXT) | instid1(VALU_DEP_1)
	v_pk_add_f16 v63, v63, v65
	v_pk_add_f16 v63, v63, v66
	s_delay_alu instid0(VALU_DEP_1) | instskip(NEXT) | instid1(VALU_DEP_1)
	v_lshrrev_b32_e32 v65, 16, v63
	v_add_f16_e32 v63, v63, v65
	s_delay_alu instid0(VALU_DEP_1) | instskip(SKIP_3) | instid1(SALU_CYCLE_1)
	v_add_f16_e32 v63, v63, v64
	global_store_b16 v[20:21], v63, off
	s_or_b32 exec_lo, exec_lo, s15
	s_and_b32 s16, s5, s8
	s_and_saveexec_b32 s15, s16
	s_cbranch_execz .LBB291_80
.LBB291_102:
	v_cmp_ne_u32_e32 vcc_lo, 1, v60
	v_lshlrev_b64 v[20:21], 1, v[34:35]
	s_cbranch_vccnz .LBB291_104
; %bb.103:
	s_delay_alu instid0(VALU_DEP_1) | instskip(NEXT) | instid1(VALU_DEP_2)
	v_add_co_u32 v63, vcc_lo, v69, v20
	v_add_co_ci_u32_e32 v64, vcc_lo, v70, v21, vcc_lo
	flat_load_u16 v63, v[63:64]
	s_waitcnt vmcnt(0) lgkmcnt(0)
	v_mul_f16_e32 v63, v42, v63
	s_branch .LBB291_105
.LBB291_104:
	v_mov_b32_e32 v63, 0
.LBB291_105:
	v_pk_max_f16 v64, v22, v22
	v_pk_max_f16 v65, v10, v10
	;; [unrolled: 1-line block ×4, first 2 shown]
	v_add_co_u32 v20, vcc_lo, v40, v20
	s_delay_alu instid0(VALU_DEP_4) | instskip(SKIP_1) | instid1(VALU_DEP_4)
	v_pk_min_f16 v64, v65, v64
	v_add_co_ci_u32_e32 v21, vcc_lo, v41, v21, vcc_lo
	v_pk_min_f16 v65, v68, v66
	s_delay_alu instid0(VALU_DEP_3) | instskip(NEXT) | instid1(VALU_DEP_1)
	v_pk_add_f16 v62, v62, v64
	v_pk_add_f16 v62, v62, v65
	s_delay_alu instid0(VALU_DEP_1) | instskip(NEXT) | instid1(VALU_DEP_1)
	v_lshrrev_b32_e32 v64, 16, v62
	v_add_f16_e32 v62, v62, v64
	s_delay_alu instid0(VALU_DEP_1) | instskip(SKIP_3) | instid1(SALU_CYCLE_1)
	v_add_f16_e32 v62, v62, v63
	global_store_b16 v[20:21], v62, off
	s_or_b32 exec_lo, exec_lo, s15
	s_and_b32 s16, s6, s8
	s_and_saveexec_b32 s15, s16
	s_cbranch_execz .LBB291_81
.LBB291_106:
	v_cmp_ne_u32_e32 vcc_lo, 1, v60
	v_lshlrev_b64 v[20:21], 1, v[36:37]
	s_cbranch_vccnz .LBB291_108
; %bb.107:
	s_delay_alu instid0(VALU_DEP_1) | instskip(NEXT) | instid1(VALU_DEP_2)
	v_add_co_u32 v62, vcc_lo, v69, v20
	v_add_co_ci_u32_e32 v63, vcc_lo, v70, v21, vcc_lo
	flat_load_u16 v62, v[62:63]
	s_waitcnt vmcnt(0) lgkmcnt(0)
	v_mul_f16_e32 v62, v42, v62
	s_branch .LBB291_109
.LBB291_108:
	v_mov_b32_e32 v62, 0
.LBB291_109:
	v_pk_max_f16 v63, v22, v22
	v_pk_max_f16 v64, v4, v4
	;; [unrolled: 1-line block ×4, first 2 shown]
	v_add_co_u32 v20, vcc_lo, v40, v20
	s_delay_alu instid0(VALU_DEP_4) | instskip(SKIP_1) | instid1(VALU_DEP_4)
	v_pk_min_f16 v63, v64, v63
	v_add_co_ci_u32_e32 v21, vcc_lo, v41, v21, vcc_lo
	v_pk_min_f16 v64, v66, v65
	s_delay_alu instid0(VALU_DEP_3) | instskip(NEXT) | instid1(VALU_DEP_1)
	v_pk_add_f16 v61, v61, v63
	v_pk_add_f16 v61, v61, v64
	s_delay_alu instid0(VALU_DEP_1) | instskip(NEXT) | instid1(VALU_DEP_1)
	v_lshrrev_b32_e32 v63, 16, v61
	v_add_f16_e32 v61, v61, v63
	s_delay_alu instid0(VALU_DEP_1) | instskip(SKIP_3) | instid1(SALU_CYCLE_1)
	v_add_f16_e32 v61, v61, v62
	global_store_b16 v[20:21], v61, off
	s_or_b32 exec_lo, exec_lo, s15
	s_and_b32 s15, s7, s8
	s_and_saveexec_b32 s8, s15
	s_cbranch_execz .LBB291_114
.LBB291_110:
	v_cmp_ne_u32_e32 vcc_lo, 1, v60
	v_lshlrev_b64 v[20:21], 1, v[38:39]
	s_cbranch_vccnz .LBB291_112
; %bb.111:
	s_delay_alu instid0(VALU_DEP_1) | instskip(NEXT) | instid1(VALU_DEP_2)
	v_add_co_u32 v61, vcc_lo, v69, v20
	v_add_co_ci_u32_e32 v62, vcc_lo, v70, v21, vcc_lo
	flat_load_u16 v61, v[61:62]
	s_waitcnt vmcnt(0) lgkmcnt(0)
	v_mul_f16_e32 v61, v42, v61
	s_branch .LBB291_113
.LBB291_112:
	v_mov_b32_e32 v61, 0
.LBB291_113:
	v_pk_max_f16 v22, v22, v22
	v_pk_max_f16 v62, v6, v6
	;; [unrolled: 1-line block ×4, first 2 shown]
	v_add_co_u32 v20, vcc_lo, v40, v20
	s_delay_alu instid0(VALU_DEP_4) | instskip(SKIP_1) | instid1(VALU_DEP_4)
	v_pk_min_f16 v22, v62, v22
	v_add_co_ci_u32_e32 v21, vcc_lo, v41, v21, vcc_lo
	v_pk_min_f16 v23, v63, v23
	s_delay_alu instid0(VALU_DEP_3) | instskip(NEXT) | instid1(VALU_DEP_1)
	v_pk_add_f16 v22, v59, v22
	v_pk_add_f16 v22, v22, v23
	s_delay_alu instid0(VALU_DEP_1) | instskip(NEXT) | instid1(VALU_DEP_1)
	v_lshrrev_b32_e32 v23, 16, v22
	v_add_f16_e32 v22, v22, v23
	s_delay_alu instid0(VALU_DEP_1)
	v_add_f16_e32 v22, v22, v61
	global_store_b16 v[20:21], v22, off
.LBB291_114:
	s_or_b32 exec_lo, exec_lo, s8
	v_add_nc_u32_e32 v40, 64, v67
	s_delay_alu instid0(VALU_DEP_1) | instskip(SKIP_2) | instid1(VALU_DEP_3)
	v_mad_i64_i32 v[20:21], null, v40, s14, 0
	v_mad_i64_i32 v[22:23], null, v40, s13, 0
	v_cmp_gt_i32_e64 s8, s17, v40
	v_lshlrev_b64 v[20:21], 1, v[20:21]
	s_delay_alu instid0(VALU_DEP_2) | instskip(NEXT) | instid1(VALU_DEP_3)
	s_and_b32 s16, s0, s8
	v_lshlrev_b64 v[22:23], 1, v[22:23]
	s_delay_alu instid0(VALU_DEP_2) | instskip(NEXT) | instid1(VALU_DEP_3)
	v_add_co_u32 v40, vcc_lo, s10, v20
	v_add_co_ci_u32_e32 v41, vcc_lo, s11, v21, vcc_lo
	s_delay_alu instid0(VALU_DEP_3) | instskip(NEXT) | instid1(VALU_DEP_4)
	v_add_co_u32 v22, vcc_lo, s9, v22
	v_add_co_ci_u32_e32 v23, vcc_lo, s12, v23, vcc_lo
	s_and_saveexec_b32 s15, s16
	s_cbranch_execnz .LBB291_122
; %bb.115:
	s_or_b32 exec_lo, exec_lo, s15
	s_and_b32 s16, s1, s8
	s_delay_alu instid0(SALU_CYCLE_1)
	s_and_saveexec_b32 s15, s16
	s_cbranch_execnz .LBB291_126
.LBB291_116:
	s_or_b32 exec_lo, exec_lo, s15
	s_and_b32 s16, s2, s8
	s_delay_alu instid0(SALU_CYCLE_1)
	s_and_saveexec_b32 s15, s16
	s_cbranch_execnz .LBB291_130
.LBB291_117:
	s_or_b32 exec_lo, exec_lo, s15
	s_and_b32 s16, s3, s8
	s_delay_alu instid0(SALU_CYCLE_1)
	s_and_saveexec_b32 s15, s16
	s_cbranch_execnz .LBB291_134
.LBB291_118:
	s_or_b32 exec_lo, exec_lo, s15
	s_and_b32 s16, s4, s8
	s_delay_alu instid0(SALU_CYCLE_1)
	s_and_saveexec_b32 s15, s16
	s_cbranch_execnz .LBB291_138
.LBB291_119:
	s_or_b32 exec_lo, exec_lo, s15
	s_and_b32 s16, s5, s8
	s_delay_alu instid0(SALU_CYCLE_1)
	s_and_saveexec_b32 s15, s16
	s_cbranch_execnz .LBB291_142
.LBB291_120:
	s_or_b32 exec_lo, exec_lo, s15
	s_and_b32 s16, s6, s8
	s_delay_alu instid0(SALU_CYCLE_1)
	s_and_saveexec_b32 s15, s16
	s_cbranch_execnz .LBB291_146
.LBB291_121:
	s_or_b32 exec_lo, exec_lo, s15
	s_and_b32 s15, s7, s8
	s_delay_alu instid0(SALU_CYCLE_1)
	s_and_saveexec_b32 s8, s15
	s_cbranch_execnz .LBB291_150
	s_branch .LBB291_154
.LBB291_122:
	v_cmp_ne_u32_e32 vcc_lo, 1, v60
	v_lshlrev_b64 v[20:21], 1, v[24:25]
	s_cbranch_vccnz .LBB291_124
; %bb.123:
	s_delay_alu instid0(VALU_DEP_1) | instskip(NEXT) | instid1(VALU_DEP_2)
	v_add_co_u32 v61, vcc_lo, v40, v20
	v_add_co_ci_u32_e32 v62, vcc_lo, v41, v21, vcc_lo
	flat_load_u16 v59, v[61:62]
	s_waitcnt vmcnt(0) lgkmcnt(0)
	v_mul_f16_e32 v59, v42, v59
	s_branch .LBB291_125
.LBB291_124:
	v_mov_b32_e32 v59, 0
.LBB291_125:
	v_pk_max_f16 v61, v0, v0
	v_pk_max_f16 v62, v16, v16
	;; [unrolled: 1-line block ×4, first 2 shown]
	v_add_co_u32 v20, vcc_lo, v22, v20
	s_delay_alu instid0(VALU_DEP_4) | instskip(SKIP_1) | instid1(VALU_DEP_4)
	v_pk_min_f16 v61, v62, v61
	v_add_co_ci_u32_e32 v21, vcc_lo, v23, v21, vcc_lo
	v_pk_min_f16 v62, v64, v63
	s_delay_alu instid0(VALU_DEP_3) | instskip(NEXT) | instid1(VALU_DEP_1)
	v_pk_add_f16 v58, v58, v61
	v_pk_add_f16 v58, v58, v62
	s_delay_alu instid0(VALU_DEP_1) | instskip(NEXT) | instid1(VALU_DEP_1)
	v_lshrrev_b32_e32 v61, 16, v58
	v_add_f16_e32 v58, v58, v61
	s_delay_alu instid0(VALU_DEP_1) | instskip(SKIP_3) | instid1(SALU_CYCLE_1)
	v_add_f16_e32 v58, v58, v59
	global_store_b16 v[20:21], v58, off
	s_or_b32 exec_lo, exec_lo, s15
	s_and_b32 s16, s1, s8
	s_and_saveexec_b32 s15, s16
	s_cbranch_execz .LBB291_116
.LBB291_126:
	v_cmp_ne_u32_e32 vcc_lo, 1, v60
	v_lshlrev_b64 v[20:21], 1, v[26:27]
	s_cbranch_vccnz .LBB291_128
; %bb.127:
	s_delay_alu instid0(VALU_DEP_1) | instskip(NEXT) | instid1(VALU_DEP_2)
	v_add_co_u32 v58, vcc_lo, v40, v20
	v_add_co_ci_u32_e32 v59, vcc_lo, v41, v21, vcc_lo
	flat_load_u16 v58, v[58:59]
	s_waitcnt vmcnt(0) lgkmcnt(0)
	v_mul_f16_e32 v58, v42, v58
	s_branch .LBB291_129
.LBB291_128:
	v_mov_b32_e32 v58, 0
.LBB291_129:
	v_pk_max_f16 v59, v0, v0
	v_pk_max_f16 v61, v18, v18
	;; [unrolled: 1-line block ×4, first 2 shown]
	v_add_co_u32 v20, vcc_lo, v22, v20
	s_delay_alu instid0(VALU_DEP_4) | instskip(SKIP_1) | instid1(VALU_DEP_4)
	v_pk_min_f16 v59, v61, v59
	v_add_co_ci_u32_e32 v21, vcc_lo, v23, v21, vcc_lo
	v_pk_min_f16 v61, v63, v62
	s_delay_alu instid0(VALU_DEP_3) | instskip(NEXT) | instid1(VALU_DEP_1)
	v_pk_add_f16 v57, v57, v59
	v_pk_add_f16 v57, v57, v61
	s_delay_alu instid0(VALU_DEP_1) | instskip(NEXT) | instid1(VALU_DEP_1)
	v_lshrrev_b32_e32 v59, 16, v57
	v_add_f16_e32 v57, v57, v59
	s_delay_alu instid0(VALU_DEP_1) | instskip(SKIP_3) | instid1(SALU_CYCLE_1)
	v_add_f16_e32 v57, v57, v58
	global_store_b16 v[20:21], v57, off
	s_or_b32 exec_lo, exec_lo, s15
	s_and_b32 s16, s2, s8
	s_and_saveexec_b32 s15, s16
	s_cbranch_execz .LBB291_117
.LBB291_130:
	v_cmp_ne_u32_e32 vcc_lo, 1, v60
	v_lshlrev_b64 v[20:21], 1, v[28:29]
	s_cbranch_vccnz .LBB291_132
; %bb.131:
	s_delay_alu instid0(VALU_DEP_1) | instskip(NEXT) | instid1(VALU_DEP_2)
	v_add_co_u32 v57, vcc_lo, v40, v20
	v_add_co_ci_u32_e32 v58, vcc_lo, v41, v21, vcc_lo
	flat_load_u16 v57, v[57:58]
	s_waitcnt vmcnt(0) lgkmcnt(0)
	v_mul_f16_e32 v57, v42, v57
	s_branch .LBB291_133
.LBB291_132:
	v_mov_b32_e32 v57, 0
.LBB291_133:
	v_pk_max_f16 v58, v0, v0
	v_pk_max_f16 v59, v12, v12
	;; [unrolled: 1-line block ×4, first 2 shown]
	v_add_co_u32 v20, vcc_lo, v22, v20
	s_delay_alu instid0(VALU_DEP_4) | instskip(SKIP_1) | instid1(VALU_DEP_4)
	v_pk_min_f16 v58, v59, v58
	v_add_co_ci_u32_e32 v21, vcc_lo, v23, v21, vcc_lo
	v_pk_min_f16 v59, v62, v61
	s_delay_alu instid0(VALU_DEP_3) | instskip(NEXT) | instid1(VALU_DEP_1)
	v_pk_add_f16 v56, v56, v58
	v_pk_add_f16 v56, v56, v59
	s_delay_alu instid0(VALU_DEP_1) | instskip(NEXT) | instid1(VALU_DEP_1)
	v_lshrrev_b32_e32 v58, 16, v56
	v_add_f16_e32 v56, v56, v58
	s_delay_alu instid0(VALU_DEP_1) | instskip(SKIP_3) | instid1(SALU_CYCLE_1)
	v_add_f16_e32 v56, v56, v57
	global_store_b16 v[20:21], v56, off
	s_or_b32 exec_lo, exec_lo, s15
	s_and_b32 s16, s3, s8
	s_and_saveexec_b32 s15, s16
	s_cbranch_execz .LBB291_118
.LBB291_134:
	v_cmp_ne_u32_e32 vcc_lo, 1, v60
	v_lshlrev_b64 v[20:21], 1, v[30:31]
	s_cbranch_vccnz .LBB291_136
; %bb.135:
	s_delay_alu instid0(VALU_DEP_1) | instskip(NEXT) | instid1(VALU_DEP_2)
	v_add_co_u32 v56, vcc_lo, v40, v20
	v_add_co_ci_u32_e32 v57, vcc_lo, v41, v21, vcc_lo
	flat_load_u16 v56, v[56:57]
	s_waitcnt vmcnt(0) lgkmcnt(0)
	v_mul_f16_e32 v56, v42, v56
	s_branch .LBB291_137
.LBB291_136:
	v_mov_b32_e32 v56, 0
.LBB291_137:
	v_pk_max_f16 v57, v0, v0
	v_pk_max_f16 v58, v14, v14
	;; [unrolled: 1-line block ×4, first 2 shown]
	v_add_co_u32 v20, vcc_lo, v22, v20
	s_delay_alu instid0(VALU_DEP_4) | instskip(SKIP_1) | instid1(VALU_DEP_4)
	v_pk_min_f16 v57, v58, v57
	v_add_co_ci_u32_e32 v21, vcc_lo, v23, v21, vcc_lo
	v_pk_min_f16 v58, v61, v59
	s_delay_alu instid0(VALU_DEP_3) | instskip(NEXT) | instid1(VALU_DEP_1)
	v_pk_add_f16 v55, v55, v57
	v_pk_add_f16 v55, v55, v58
	s_delay_alu instid0(VALU_DEP_1) | instskip(NEXT) | instid1(VALU_DEP_1)
	v_lshrrev_b32_e32 v57, 16, v55
	v_add_f16_e32 v55, v55, v57
	s_delay_alu instid0(VALU_DEP_1) | instskip(SKIP_3) | instid1(SALU_CYCLE_1)
	v_add_f16_e32 v55, v55, v56
	global_store_b16 v[20:21], v55, off
	s_or_b32 exec_lo, exec_lo, s15
	s_and_b32 s16, s4, s8
	s_and_saveexec_b32 s15, s16
	s_cbranch_execz .LBB291_119
.LBB291_138:
	v_cmp_ne_u32_e32 vcc_lo, 1, v60
	v_lshlrev_b64 v[20:21], 1, v[32:33]
	s_cbranch_vccnz .LBB291_140
; %bb.139:
	s_delay_alu instid0(VALU_DEP_1) | instskip(NEXT) | instid1(VALU_DEP_2)
	v_add_co_u32 v55, vcc_lo, v40, v20
	v_add_co_ci_u32_e32 v56, vcc_lo, v41, v21, vcc_lo
	flat_load_u16 v55, v[55:56]
	s_waitcnt vmcnt(0) lgkmcnt(0)
	v_mul_f16_e32 v55, v42, v55
	s_branch .LBB291_141
.LBB291_140:
	v_mov_b32_e32 v55, 0
.LBB291_141:
	v_pk_max_f16 v56, v0, v0
	v_pk_max_f16 v57, v8, v8
	;; [unrolled: 1-line block ×4, first 2 shown]
	v_add_co_u32 v20, vcc_lo, v22, v20
	s_delay_alu instid0(VALU_DEP_4) | instskip(SKIP_1) | instid1(VALU_DEP_4)
	v_pk_min_f16 v56, v57, v56
	v_add_co_ci_u32_e32 v21, vcc_lo, v23, v21, vcc_lo
	v_pk_min_f16 v57, v59, v58
	s_delay_alu instid0(VALU_DEP_3) | instskip(NEXT) | instid1(VALU_DEP_1)
	v_pk_add_f16 v54, v54, v56
	v_pk_add_f16 v54, v54, v57
	s_delay_alu instid0(VALU_DEP_1) | instskip(NEXT) | instid1(VALU_DEP_1)
	v_lshrrev_b32_e32 v56, 16, v54
	v_add_f16_e32 v54, v54, v56
	s_delay_alu instid0(VALU_DEP_1) | instskip(SKIP_3) | instid1(SALU_CYCLE_1)
	v_add_f16_e32 v54, v54, v55
	global_store_b16 v[20:21], v54, off
	s_or_b32 exec_lo, exec_lo, s15
	s_and_b32 s16, s5, s8
	s_and_saveexec_b32 s15, s16
	s_cbranch_execz .LBB291_120
.LBB291_142:
	v_cmp_ne_u32_e32 vcc_lo, 1, v60
	v_lshlrev_b64 v[20:21], 1, v[34:35]
	s_cbranch_vccnz .LBB291_144
; %bb.143:
	s_delay_alu instid0(VALU_DEP_1) | instskip(NEXT) | instid1(VALU_DEP_2)
	v_add_co_u32 v54, vcc_lo, v40, v20
	v_add_co_ci_u32_e32 v55, vcc_lo, v41, v21, vcc_lo
	flat_load_u16 v54, v[54:55]
	s_waitcnt vmcnt(0) lgkmcnt(0)
	v_mul_f16_e32 v54, v42, v54
	s_branch .LBB291_145
.LBB291_144:
	v_mov_b32_e32 v54, 0
.LBB291_145:
	v_pk_max_f16 v55, v0, v0
	v_pk_max_f16 v56, v10, v10
	;; [unrolled: 1-line block ×4, first 2 shown]
	v_add_co_u32 v20, vcc_lo, v22, v20
	s_delay_alu instid0(VALU_DEP_4) | instskip(SKIP_1) | instid1(VALU_DEP_4)
	v_pk_min_f16 v55, v56, v55
	v_add_co_ci_u32_e32 v21, vcc_lo, v23, v21, vcc_lo
	v_pk_min_f16 v56, v58, v57
	s_delay_alu instid0(VALU_DEP_3) | instskip(NEXT) | instid1(VALU_DEP_1)
	v_pk_add_f16 v53, v53, v55
	v_pk_add_f16 v53, v53, v56
	s_delay_alu instid0(VALU_DEP_1) | instskip(NEXT) | instid1(VALU_DEP_1)
	v_lshrrev_b32_e32 v55, 16, v53
	v_add_f16_e32 v53, v53, v55
	s_delay_alu instid0(VALU_DEP_1) | instskip(SKIP_3) | instid1(SALU_CYCLE_1)
	v_add_f16_e32 v53, v53, v54
	global_store_b16 v[20:21], v53, off
	s_or_b32 exec_lo, exec_lo, s15
	s_and_b32 s16, s6, s8
	s_and_saveexec_b32 s15, s16
	s_cbranch_execz .LBB291_121
.LBB291_146:
	v_cmp_ne_u32_e32 vcc_lo, 1, v60
	v_lshlrev_b64 v[20:21], 1, v[36:37]
	s_cbranch_vccnz .LBB291_148
; %bb.147:
	s_delay_alu instid0(VALU_DEP_1) | instskip(NEXT) | instid1(VALU_DEP_2)
	v_add_co_u32 v53, vcc_lo, v40, v20
	v_add_co_ci_u32_e32 v54, vcc_lo, v41, v21, vcc_lo
	flat_load_u16 v53, v[53:54]
	s_waitcnt vmcnt(0) lgkmcnt(0)
	v_mul_f16_e32 v53, v42, v53
	s_branch .LBB291_149
.LBB291_148:
	v_mov_b32_e32 v53, 0
.LBB291_149:
	v_pk_max_f16 v54, v0, v0
	v_pk_max_f16 v55, v4, v4
	;; [unrolled: 1-line block ×4, first 2 shown]
	v_add_co_u32 v20, vcc_lo, v22, v20
	s_delay_alu instid0(VALU_DEP_4) | instskip(SKIP_1) | instid1(VALU_DEP_4)
	v_pk_min_f16 v54, v55, v54
	v_add_co_ci_u32_e32 v21, vcc_lo, v23, v21, vcc_lo
	v_pk_min_f16 v55, v57, v56
	s_delay_alu instid0(VALU_DEP_3) | instskip(NEXT) | instid1(VALU_DEP_1)
	v_pk_add_f16 v52, v52, v54
	v_pk_add_f16 v52, v52, v55
	s_delay_alu instid0(VALU_DEP_1) | instskip(NEXT) | instid1(VALU_DEP_1)
	v_lshrrev_b32_e32 v54, 16, v52
	v_add_f16_e32 v52, v52, v54
	s_delay_alu instid0(VALU_DEP_1) | instskip(SKIP_3) | instid1(SALU_CYCLE_1)
	v_add_f16_e32 v52, v52, v53
	global_store_b16 v[20:21], v52, off
	s_or_b32 exec_lo, exec_lo, s15
	s_and_b32 s15, s7, s8
	s_and_saveexec_b32 s8, s15
	s_cbranch_execz .LBB291_154
.LBB291_150:
	v_cmp_ne_u32_e32 vcc_lo, 1, v60
	v_lshlrev_b64 v[20:21], 1, v[38:39]
	s_cbranch_vccnz .LBB291_152
; %bb.151:
	s_delay_alu instid0(VALU_DEP_1) | instskip(NEXT) | instid1(VALU_DEP_2)
	v_add_co_u32 v40, vcc_lo, v40, v20
	v_add_co_ci_u32_e32 v41, vcc_lo, v41, v21, vcc_lo
	flat_load_u16 v40, v[40:41]
	s_waitcnt vmcnt(0) lgkmcnt(0)
	v_mul_f16_e32 v40, v42, v40
	s_branch .LBB291_153
.LBB291_152:
	v_mov_b32_e32 v40, 0
.LBB291_153:
	v_pk_max_f16 v0, v0, v0
	v_pk_max_f16 v41, v6, v6
	;; [unrolled: 1-line block ×4, first 2 shown]
	s_delay_alu instid0(VALU_DEP_3) | instskip(NEXT) | instid1(VALU_DEP_2)
	v_pk_min_f16 v0, v41, v0
	v_pk_min_f16 v1, v52, v1
	s_delay_alu instid0(VALU_DEP_2) | instskip(NEXT) | instid1(VALU_DEP_1)
	v_pk_add_f16 v0, v51, v0
	v_pk_add_f16 v0, v0, v1
	s_delay_alu instid0(VALU_DEP_1) | instskip(NEXT) | instid1(VALU_DEP_1)
	v_lshrrev_b32_e32 v1, 16, v0
	v_add_f16_e32 v0, v0, v1
	s_delay_alu instid0(VALU_DEP_1)
	v_add_f16_e32 v40, v0, v40
	v_add_co_u32 v0, vcc_lo, v22, v20
	v_add_co_ci_u32_e32 v1, vcc_lo, v23, v21, vcc_lo
	global_store_b16 v[0:1], v40, off
.LBB291_154:
	s_or_b32 exec_lo, exec_lo, s8
	v_add_nc_u32_e32 v22, 0x60, v67
	s_delay_alu instid0(VALU_DEP_1) | instskip(SKIP_2) | instid1(VALU_DEP_3)
	v_mad_i64_i32 v[0:1], null, v22, s14, 0
	v_mad_i64_i32 v[20:21], null, v22, s13, 0
	v_cmp_gt_i32_e64 s8, s17, v22
	v_lshlrev_b64 v[0:1], 1, v[0:1]
	s_delay_alu instid0(VALU_DEP_3) | instskip(NEXT) | instid1(VALU_DEP_2)
	v_lshlrev_b64 v[20:21], 1, v[20:21]
	v_add_co_u32 v22, vcc_lo, s10, v0
	s_delay_alu instid0(VALU_DEP_3) | instskip(NEXT) | instid1(VALU_DEP_3)
	v_add_co_ci_u32_e32 v23, vcc_lo, s11, v1, vcc_lo
	v_add_co_u32 v20, vcc_lo, s9, v20
	s_delay_alu instid0(VALU_DEP_4) | instskip(SKIP_1) | instid1(SALU_CYCLE_1)
	v_add_co_ci_u32_e32 v21, vcc_lo, s12, v21, vcc_lo
	s_and_b32 s9, s0, s8
	s_and_saveexec_b32 s0, s9
	s_cbranch_execnz .LBB291_163
; %bb.155:
	s_or_b32 exec_lo, exec_lo, s0
	s_and_b32 s1, s1, s8
	s_delay_alu instid0(SALU_CYCLE_1)
	s_and_saveexec_b32 s0, s1
	s_cbranch_execnz .LBB291_167
.LBB291_156:
	s_or_b32 exec_lo, exec_lo, s0
	s_and_b32 s1, s2, s8
	s_delay_alu instid0(SALU_CYCLE_1)
	s_and_saveexec_b32 s0, s1
	s_cbranch_execnz .LBB291_171
.LBB291_157:
	s_or_b32 exec_lo, exec_lo, s0
	s_and_b32 s1, s3, s8
	s_delay_alu instid0(SALU_CYCLE_1)
	s_and_saveexec_b32 s0, s1
	s_cbranch_execnz .LBB291_175
.LBB291_158:
	s_or_b32 exec_lo, exec_lo, s0
	s_and_b32 s1, s4, s8
	s_delay_alu instid0(SALU_CYCLE_1)
	s_and_saveexec_b32 s0, s1
	s_cbranch_execnz .LBB291_179
.LBB291_159:
	s_or_b32 exec_lo, exec_lo, s0
	s_and_b32 s1, s5, s8
	s_delay_alu instid0(SALU_CYCLE_1)
	s_and_saveexec_b32 s0, s1
	s_cbranch_execnz .LBB291_183
.LBB291_160:
	s_or_b32 exec_lo, exec_lo, s0
	s_and_b32 s1, s6, s8
	s_delay_alu instid0(SALU_CYCLE_1)
	s_and_saveexec_b32 s0, s1
	s_cbranch_execnz .LBB291_187
.LBB291_161:
	s_or_b32 exec_lo, exec_lo, s0
	s_and_b32 s0, s7, s8
	s_delay_alu instid0(SALU_CYCLE_1)
	s_and_saveexec_b32 s1, s0
	s_cbranch_execnz .LBB291_191
.LBB291_162:
	s_nop 0
	s_sendmsg sendmsg(MSG_DEALLOC_VGPRS)
	s_endpgm
.LBB291_163:
	v_cmp_ne_u32_e32 vcc_lo, 1, v60
	v_lshlrev_b64 v[0:1], 1, v[24:25]
	s_cbranch_vccnz .LBB291_165
; %bb.164:
	s_delay_alu instid0(VALU_DEP_1) | instskip(NEXT) | instid1(VALU_DEP_2)
	v_add_co_u32 v24, vcc_lo, v22, v0
	v_add_co_ci_u32_e32 v25, vcc_lo, v23, v1, vcc_lo
	flat_load_u16 v24, v[24:25]
	s_waitcnt vmcnt(0) lgkmcnt(0)
	v_mul_f16_e32 v24, v42, v24
	s_branch .LBB291_166
.LBB291_165:
	v_mov_b32_e32 v24, 0
.LBB291_166:
	v_pk_max_f16 v25, v2, v2
	v_pk_max_f16 v16, v16, v16
	;; [unrolled: 1-line block ×4, first 2 shown]
	v_add_co_u32 v0, vcc_lo, v20, v0
	s_delay_alu instid0(VALU_DEP_4) | instskip(SKIP_1) | instid1(VALU_DEP_4)
	v_pk_min_f16 v16, v16, v25
	v_add_co_ci_u32_e32 v1, vcc_lo, v21, v1, vcc_lo
	v_pk_min_f16 v17, v17, v40
	s_delay_alu instid0(VALU_DEP_3) | instskip(NEXT) | instid1(VALU_DEP_1)
	v_pk_add_f16 v16, v50, v16
	v_pk_add_f16 v16, v16, v17
	s_delay_alu instid0(VALU_DEP_1) | instskip(NEXT) | instid1(VALU_DEP_1)
	v_lshrrev_b32_e32 v17, 16, v16
	v_add_f16_e32 v16, v16, v17
	s_delay_alu instid0(VALU_DEP_1) | instskip(SKIP_3) | instid1(SALU_CYCLE_1)
	v_add_f16_e32 v16, v16, v24
	global_store_b16 v[0:1], v16, off
	s_or_b32 exec_lo, exec_lo, s0
	s_and_b32 s1, s1, s8
	s_and_saveexec_b32 s0, s1
	s_cbranch_execz .LBB291_156
.LBB291_167:
	v_cmp_ne_u32_e32 vcc_lo, 1, v60
	v_lshlrev_b64 v[0:1], 1, v[26:27]
	s_cbranch_vccnz .LBB291_169
; %bb.168:
	s_delay_alu instid0(VALU_DEP_1) | instskip(NEXT) | instid1(VALU_DEP_2)
	v_add_co_u32 v16, vcc_lo, v22, v0
	v_add_co_ci_u32_e32 v17, vcc_lo, v23, v1, vcc_lo
	flat_load_u16 v16, v[16:17]
	s_waitcnt vmcnt(0) lgkmcnt(0)
	v_mul_f16_e32 v16, v42, v16
	s_branch .LBB291_170
.LBB291_169:
	v_mov_b32_e32 v16, 0
.LBB291_170:
	v_pk_max_f16 v17, v2, v2
	v_pk_max_f16 v18, v18, v18
	;; [unrolled: 1-line block ×4, first 2 shown]
	v_add_co_u32 v0, vcc_lo, v20, v0
	s_delay_alu instid0(VALU_DEP_4) | instskip(SKIP_1) | instid1(VALU_DEP_4)
	v_pk_min_f16 v17, v18, v17
	v_add_co_ci_u32_e32 v1, vcc_lo, v21, v1, vcc_lo
	v_pk_min_f16 v18, v19, v24
	s_delay_alu instid0(VALU_DEP_3) | instskip(NEXT) | instid1(VALU_DEP_1)
	v_pk_add_f16 v17, v49, v17
	v_pk_add_f16 v17, v17, v18
	s_delay_alu instid0(VALU_DEP_1) | instskip(NEXT) | instid1(VALU_DEP_1)
	v_lshrrev_b32_e32 v18, 16, v17
	v_add_f16_e32 v17, v17, v18
	s_delay_alu instid0(VALU_DEP_1) | instskip(SKIP_3) | instid1(SALU_CYCLE_1)
	v_add_f16_e32 v16, v17, v16
	global_store_b16 v[0:1], v16, off
	s_or_b32 exec_lo, exec_lo, s0
	s_and_b32 s1, s2, s8
	s_and_saveexec_b32 s0, s1
	s_cbranch_execz .LBB291_157
.LBB291_171:
	v_cmp_ne_u32_e32 vcc_lo, 1, v60
	v_lshlrev_b64 v[0:1], 1, v[28:29]
	s_cbranch_vccnz .LBB291_173
; %bb.172:
	s_delay_alu instid0(VALU_DEP_1) | instskip(NEXT) | instid1(VALU_DEP_2)
	v_add_co_u32 v16, vcc_lo, v22, v0
	v_add_co_ci_u32_e32 v17, vcc_lo, v23, v1, vcc_lo
	flat_load_u16 v16, v[16:17]
	s_waitcnt vmcnt(0) lgkmcnt(0)
	v_mul_f16_e32 v16, v42, v16
	s_branch .LBB291_174
.LBB291_173:
	v_mov_b32_e32 v16, 0
.LBB291_174:
	v_pk_max_f16 v17, v2, v2
	v_pk_max_f16 v12, v12, v12
	;; [unrolled: 1-line block ×4, first 2 shown]
	v_add_co_u32 v0, vcc_lo, v20, v0
	s_delay_alu instid0(VALU_DEP_4) | instskip(SKIP_1) | instid1(VALU_DEP_4)
	v_pk_min_f16 v12, v12, v17
	v_add_co_ci_u32_e32 v1, vcc_lo, v21, v1, vcc_lo
	v_pk_min_f16 v13, v13, v18
	s_delay_alu instid0(VALU_DEP_3) | instskip(NEXT) | instid1(VALU_DEP_1)
	v_pk_add_f16 v12, v48, v12
	v_pk_add_f16 v12, v12, v13
	s_delay_alu instid0(VALU_DEP_1) | instskip(NEXT) | instid1(VALU_DEP_1)
	v_lshrrev_b32_e32 v13, 16, v12
	v_add_f16_e32 v12, v12, v13
	s_delay_alu instid0(VALU_DEP_1) | instskip(SKIP_3) | instid1(SALU_CYCLE_1)
	v_add_f16_e32 v12, v12, v16
	global_store_b16 v[0:1], v12, off
	s_or_b32 exec_lo, exec_lo, s0
	s_and_b32 s1, s3, s8
	s_and_saveexec_b32 s0, s1
	s_cbranch_execz .LBB291_158
.LBB291_175:
	v_cmp_ne_u32_e32 vcc_lo, 1, v60
	v_lshlrev_b64 v[0:1], 1, v[30:31]
	s_cbranch_vccnz .LBB291_177
; %bb.176:
	s_delay_alu instid0(VALU_DEP_1) | instskip(NEXT) | instid1(VALU_DEP_2)
	v_add_co_u32 v12, vcc_lo, v22, v0
	v_add_co_ci_u32_e32 v13, vcc_lo, v23, v1, vcc_lo
	flat_load_u16 v12, v[12:13]
	s_waitcnt vmcnt(0) lgkmcnt(0)
	v_mul_f16_e32 v12, v42, v12
	s_branch .LBB291_178
.LBB291_177:
	v_mov_b32_e32 v12, 0
.LBB291_178:
	v_pk_max_f16 v13, v2, v2
	v_pk_max_f16 v14, v14, v14
	;; [unrolled: 1-line block ×4, first 2 shown]
	v_add_co_u32 v0, vcc_lo, v20, v0
	s_delay_alu instid0(VALU_DEP_4) | instskip(SKIP_1) | instid1(VALU_DEP_4)
	v_pk_min_f16 v13, v14, v13
	v_add_co_ci_u32_e32 v1, vcc_lo, v21, v1, vcc_lo
	v_pk_min_f16 v14, v15, v16
	s_delay_alu instid0(VALU_DEP_3) | instskip(NEXT) | instid1(VALU_DEP_1)
	v_pk_add_f16 v13, v47, v13
	v_pk_add_f16 v13, v13, v14
	s_delay_alu instid0(VALU_DEP_1) | instskip(NEXT) | instid1(VALU_DEP_1)
	v_lshrrev_b32_e32 v14, 16, v13
	v_add_f16_e32 v13, v13, v14
	s_delay_alu instid0(VALU_DEP_1) | instskip(SKIP_3) | instid1(SALU_CYCLE_1)
	v_add_f16_e32 v12, v13, v12
	global_store_b16 v[0:1], v12, off
	s_or_b32 exec_lo, exec_lo, s0
	s_and_b32 s1, s4, s8
	s_and_saveexec_b32 s0, s1
	s_cbranch_execz .LBB291_159
.LBB291_179:
	v_cmp_ne_u32_e32 vcc_lo, 1, v60
	v_lshlrev_b64 v[0:1], 1, v[32:33]
	s_cbranch_vccnz .LBB291_181
; %bb.180:
	s_delay_alu instid0(VALU_DEP_1) | instskip(NEXT) | instid1(VALU_DEP_2)
	v_add_co_u32 v12, vcc_lo, v22, v0
	v_add_co_ci_u32_e32 v13, vcc_lo, v23, v1, vcc_lo
	flat_load_u16 v12, v[12:13]
	s_waitcnt vmcnt(0) lgkmcnt(0)
	v_mul_f16_e32 v12, v42, v12
	s_branch .LBB291_182
.LBB291_181:
	v_mov_b32_e32 v12, 0
.LBB291_182:
	v_pk_max_f16 v13, v2, v2
	v_pk_max_f16 v8, v8, v8
	;; [unrolled: 1-line block ×4, first 2 shown]
	v_add_co_u32 v0, vcc_lo, v20, v0
	s_delay_alu instid0(VALU_DEP_4) | instskip(SKIP_1) | instid1(VALU_DEP_4)
	v_pk_min_f16 v8, v8, v13
	v_add_co_ci_u32_e32 v1, vcc_lo, v21, v1, vcc_lo
	v_pk_min_f16 v9, v9, v14
	s_delay_alu instid0(VALU_DEP_3) | instskip(NEXT) | instid1(VALU_DEP_1)
	v_pk_add_f16 v8, v46, v8
	v_pk_add_f16 v8, v8, v9
	s_delay_alu instid0(VALU_DEP_1) | instskip(NEXT) | instid1(VALU_DEP_1)
	v_lshrrev_b32_e32 v9, 16, v8
	v_add_f16_e32 v8, v8, v9
	s_delay_alu instid0(VALU_DEP_1) | instskip(SKIP_3) | instid1(SALU_CYCLE_1)
	v_add_f16_e32 v8, v8, v12
	global_store_b16 v[0:1], v8, off
	s_or_b32 exec_lo, exec_lo, s0
	s_and_b32 s1, s5, s8
	s_and_saveexec_b32 s0, s1
	s_cbranch_execz .LBB291_160
.LBB291_183:
	v_cmp_ne_u32_e32 vcc_lo, 1, v60
	v_lshlrev_b64 v[0:1], 1, v[34:35]
	s_cbranch_vccnz .LBB291_185
; %bb.184:
	s_delay_alu instid0(VALU_DEP_1) | instskip(NEXT) | instid1(VALU_DEP_2)
	v_add_co_u32 v8, vcc_lo, v22, v0
	v_add_co_ci_u32_e32 v9, vcc_lo, v23, v1, vcc_lo
	flat_load_u16 v8, v[8:9]
	s_waitcnt vmcnt(0) lgkmcnt(0)
	v_mul_f16_e32 v8, v42, v8
	s_branch .LBB291_186
.LBB291_185:
	v_mov_b32_e32 v8, 0
.LBB291_186:
	v_pk_max_f16 v9, v2, v2
	v_pk_max_f16 v10, v10, v10
	;; [unrolled: 1-line block ×4, first 2 shown]
	v_add_co_u32 v0, vcc_lo, v20, v0
	s_delay_alu instid0(VALU_DEP_4) | instskip(SKIP_1) | instid1(VALU_DEP_4)
	v_pk_min_f16 v9, v10, v9
	v_add_co_ci_u32_e32 v1, vcc_lo, v21, v1, vcc_lo
	v_pk_min_f16 v10, v11, v12
	s_delay_alu instid0(VALU_DEP_3) | instskip(NEXT) | instid1(VALU_DEP_1)
	v_pk_add_f16 v9, v45, v9
	v_pk_add_f16 v9, v9, v10
	s_delay_alu instid0(VALU_DEP_1) | instskip(NEXT) | instid1(VALU_DEP_1)
	v_lshrrev_b32_e32 v10, 16, v9
	v_add_f16_e32 v9, v9, v10
	s_delay_alu instid0(VALU_DEP_1) | instskip(SKIP_3) | instid1(SALU_CYCLE_1)
	v_add_f16_e32 v8, v9, v8
	global_store_b16 v[0:1], v8, off
	s_or_b32 exec_lo, exec_lo, s0
	s_and_b32 s1, s6, s8
	s_and_saveexec_b32 s0, s1
	s_cbranch_execz .LBB291_161
.LBB291_187:
	v_cmp_ne_u32_e32 vcc_lo, 1, v60
	v_lshlrev_b64 v[0:1], 1, v[36:37]
	s_cbranch_vccnz .LBB291_189
; %bb.188:
	s_delay_alu instid0(VALU_DEP_1) | instskip(NEXT) | instid1(VALU_DEP_2)
	v_add_co_u32 v8, vcc_lo, v22, v0
	v_add_co_ci_u32_e32 v9, vcc_lo, v23, v1, vcc_lo
	flat_load_u16 v8, v[8:9]
	s_waitcnt vmcnt(0) lgkmcnt(0)
	v_mul_f16_e32 v8, v42, v8
	s_branch .LBB291_190
.LBB291_189:
	v_mov_b32_e32 v8, 0
.LBB291_190:
	v_pk_max_f16 v9, v2, v2
	v_pk_max_f16 v4, v4, v4
	;; [unrolled: 1-line block ×4, first 2 shown]
	v_add_co_u32 v0, vcc_lo, v20, v0
	s_delay_alu instid0(VALU_DEP_4) | instskip(SKIP_1) | instid1(VALU_DEP_4)
	v_pk_min_f16 v4, v4, v9
	v_add_co_ci_u32_e32 v1, vcc_lo, v21, v1, vcc_lo
	v_pk_min_f16 v5, v5, v10
	s_delay_alu instid0(VALU_DEP_3) | instskip(NEXT) | instid1(VALU_DEP_1)
	v_pk_add_f16 v4, v44, v4
	v_pk_add_f16 v4, v4, v5
	s_delay_alu instid0(VALU_DEP_1) | instskip(NEXT) | instid1(VALU_DEP_1)
	v_lshrrev_b32_e32 v5, 16, v4
	v_add_f16_e32 v4, v4, v5
	s_delay_alu instid0(VALU_DEP_1) | instskip(SKIP_3) | instid1(SALU_CYCLE_1)
	v_add_f16_e32 v4, v4, v8
	global_store_b16 v[0:1], v4, off
	s_or_b32 exec_lo, exec_lo, s0
	s_and_b32 s0, s7, s8
	s_and_saveexec_b32 s1, s0
	s_cbranch_execz .LBB291_162
.LBB291_191:
	v_cmp_ne_u32_e32 vcc_lo, 1, v60
	v_lshlrev_b64 v[0:1], 1, v[38:39]
	s_cbranch_vccnz .LBB291_193
; %bb.192:
	s_delay_alu instid0(VALU_DEP_1) | instskip(NEXT) | instid1(VALU_DEP_2)
	v_add_co_u32 v4, vcc_lo, v22, v0
	v_add_co_ci_u32_e32 v5, vcc_lo, v23, v1, vcc_lo
	flat_load_u16 v4, v[4:5]
	s_waitcnt vmcnt(0) lgkmcnt(0)
	v_mul_f16_e32 v4, v42, v4
	s_branch .LBB291_194
.LBB291_193:
	v_mov_b32_e32 v4, 0
.LBB291_194:
	v_pk_max_f16 v2, v2, v2
	v_pk_max_f16 v5, v6, v6
	;; [unrolled: 1-line block ×4, first 2 shown]
	v_add_co_u32 v0, vcc_lo, v20, v0
	s_delay_alu instid0(VALU_DEP_4) | instskip(SKIP_1) | instid1(VALU_DEP_4)
	v_pk_min_f16 v2, v5, v2
	v_add_co_ci_u32_e32 v1, vcc_lo, v21, v1, vcc_lo
	v_pk_min_f16 v3, v6, v3
	s_delay_alu instid0(VALU_DEP_3) | instskip(NEXT) | instid1(VALU_DEP_1)
	v_pk_add_f16 v2, v43, v2
	v_pk_add_f16 v2, v2, v3
	s_delay_alu instid0(VALU_DEP_1) | instskip(NEXT) | instid1(VALU_DEP_1)
	v_lshrrev_b32_e32 v3, 16, v2
	v_add_f16_e32 v2, v2, v3
	s_delay_alu instid0(VALU_DEP_1)
	v_add_f16_e32 v2, v2, v4
	global_store_b16 v[0:1], v2, off
	s_nop 0
	s_sendmsg sendmsg(MSG_DEALLOC_VGPRS)
	s_endpgm
	.section	.rodata,"a",@progbits
	.p2align	6, 0x0
	.amdhsa_kernel _ZN12_GLOBAL__N_120geam_min_plus_kernelIDF16_Dv2_DF16_S1_Li8ELi32ELi64ELi128ELi4ELi4ELi64ELi4ELi64ELc84ELc78ELb0ELb1ELb0EPKDF16_S2_DF16_EEviiiT16_PT17_ilS6_ilS4_S6_ilPT18_ili26rocblas_geam_ex_operation_
		.amdhsa_group_segment_fixed_size 3072
		.amdhsa_private_segment_fixed_size 0
		.amdhsa_kernarg_size 136
		.amdhsa_user_sgpr_count 14
		.amdhsa_user_sgpr_dispatch_ptr 0
		.amdhsa_user_sgpr_queue_ptr 0
		.amdhsa_user_sgpr_kernarg_segment_ptr 1
		.amdhsa_user_sgpr_dispatch_id 0
		.amdhsa_user_sgpr_private_segment_size 0
		.amdhsa_wavefront_size32 1
		.amdhsa_uses_dynamic_stack 0
		.amdhsa_enable_private_segment 0
		.amdhsa_system_sgpr_workgroup_id_x 1
		.amdhsa_system_sgpr_workgroup_id_y 0
		.amdhsa_system_sgpr_workgroup_id_z 1
		.amdhsa_system_sgpr_workgroup_info 0
		.amdhsa_system_vgpr_workitem_id 1
		.amdhsa_next_free_vgpr 123
		.amdhsa_next_free_sgpr 28
		.amdhsa_reserve_vcc 1
		.amdhsa_float_round_mode_32 0
		.amdhsa_float_round_mode_16_64 0
		.amdhsa_float_denorm_mode_32 3
		.amdhsa_float_denorm_mode_16_64 3
		.amdhsa_dx10_clamp 1
		.amdhsa_ieee_mode 1
		.amdhsa_fp16_overflow 0
		.amdhsa_workgroup_processor_mode 1
		.amdhsa_memory_ordered 1
		.amdhsa_forward_progress 0
		.amdhsa_shared_vgpr_count 0
		.amdhsa_exception_fp_ieee_invalid_op 0
		.amdhsa_exception_fp_denorm_src 0
		.amdhsa_exception_fp_ieee_div_zero 0
		.amdhsa_exception_fp_ieee_overflow 0
		.amdhsa_exception_fp_ieee_underflow 0
		.amdhsa_exception_fp_ieee_inexact 0
		.amdhsa_exception_int_div_zero 0
	.end_amdhsa_kernel
	.section	.text._ZN12_GLOBAL__N_120geam_min_plus_kernelIDF16_Dv2_DF16_S1_Li8ELi32ELi64ELi128ELi4ELi4ELi64ELi4ELi64ELc84ELc78ELb0ELb1ELb0EPKDF16_S2_DF16_EEviiiT16_PT17_ilS6_ilS4_S6_ilPT18_ili26rocblas_geam_ex_operation_,"axG",@progbits,_ZN12_GLOBAL__N_120geam_min_plus_kernelIDF16_Dv2_DF16_S1_Li8ELi32ELi64ELi128ELi4ELi4ELi64ELi4ELi64ELc84ELc78ELb0ELb1ELb0EPKDF16_S2_DF16_EEviiiT16_PT17_ilS6_ilS4_S6_ilPT18_ili26rocblas_geam_ex_operation_,comdat
.Lfunc_end291:
	.size	_ZN12_GLOBAL__N_120geam_min_plus_kernelIDF16_Dv2_DF16_S1_Li8ELi32ELi64ELi128ELi4ELi4ELi64ELi4ELi64ELc84ELc78ELb0ELb1ELb0EPKDF16_S2_DF16_EEviiiT16_PT17_ilS6_ilS4_S6_ilPT18_ili26rocblas_geam_ex_operation_, .Lfunc_end291-_ZN12_GLOBAL__N_120geam_min_plus_kernelIDF16_Dv2_DF16_S1_Li8ELi32ELi64ELi128ELi4ELi4ELi64ELi4ELi64ELc84ELc78ELb0ELb1ELb0EPKDF16_S2_DF16_EEviiiT16_PT17_ilS6_ilS4_S6_ilPT18_ili26rocblas_geam_ex_operation_
                                        ; -- End function
	.section	.AMDGPU.csdata,"",@progbits
; Kernel info:
; codeLenInByte = 12972
; NumSgprs: 30
; NumVgprs: 123
; ScratchSize: 0
; MemoryBound: 0
; FloatMode: 240
; IeeeMode: 1
; LDSByteSize: 3072 bytes/workgroup (compile time only)
; SGPRBlocks: 3
; VGPRBlocks: 15
; NumSGPRsForWavesPerEU: 30
; NumVGPRsForWavesPerEU: 123
; Occupancy: 10
; WaveLimiterHint : 0
; COMPUTE_PGM_RSRC2:SCRATCH_EN: 0
; COMPUTE_PGM_RSRC2:USER_SGPR: 14
; COMPUTE_PGM_RSRC2:TRAP_HANDLER: 0
; COMPUTE_PGM_RSRC2:TGID_X_EN: 1
; COMPUTE_PGM_RSRC2:TGID_Y_EN: 0
; COMPUTE_PGM_RSRC2:TGID_Z_EN: 1
; COMPUTE_PGM_RSRC2:TIDIG_COMP_CNT: 1
	.section	.text._ZN12_GLOBAL__N_120geam_min_plus_kernelIDF16_Dv2_DF16_S1_Li8ELi32ELi64ELi128ELi4ELi4ELi64ELi4ELi64ELc84ELc78ELb1ELb1ELb0EDF16_KDF16_DF16_EEviiiT16_PT17_ilS5_ilS3_S5_ilPT18_ili26rocblas_geam_ex_operation_,"axG",@progbits,_ZN12_GLOBAL__N_120geam_min_plus_kernelIDF16_Dv2_DF16_S1_Li8ELi32ELi64ELi128ELi4ELi4ELi64ELi4ELi64ELc84ELc78ELb1ELb1ELb0EDF16_KDF16_DF16_EEviiiT16_PT17_ilS5_ilS3_S5_ilPT18_ili26rocblas_geam_ex_operation_,comdat
	.globl	_ZN12_GLOBAL__N_120geam_min_plus_kernelIDF16_Dv2_DF16_S1_Li8ELi32ELi64ELi128ELi4ELi4ELi64ELi4ELi64ELc84ELc78ELb1ELb1ELb0EDF16_KDF16_DF16_EEviiiT16_PT17_ilS5_ilS3_S5_ilPT18_ili26rocblas_geam_ex_operation_ ; -- Begin function _ZN12_GLOBAL__N_120geam_min_plus_kernelIDF16_Dv2_DF16_S1_Li8ELi32ELi64ELi128ELi4ELi4ELi64ELi4ELi64ELc84ELc78ELb1ELb1ELb0EDF16_KDF16_DF16_EEviiiT16_PT17_ilS5_ilS3_S5_ilPT18_ili26rocblas_geam_ex_operation_
	.p2align	8
	.type	_ZN12_GLOBAL__N_120geam_min_plus_kernelIDF16_Dv2_DF16_S1_Li8ELi32ELi64ELi128ELi4ELi4ELi64ELi4ELi64ELc84ELc78ELb1ELb1ELb0EDF16_KDF16_DF16_EEviiiT16_PT17_ilS5_ilS3_S5_ilPT18_ili26rocblas_geam_ex_operation_,@function
_ZN12_GLOBAL__N_120geam_min_plus_kernelIDF16_Dv2_DF16_S1_Li8ELi32ELi64ELi128ELi4ELi4ELi64ELi4ELi64ELc84ELc78ELb1ELb1ELb0EDF16_KDF16_DF16_EEviiiT16_PT17_ilS5_ilS3_S5_ilPT18_ili26rocblas_geam_ex_operation_: ; @_ZN12_GLOBAL__N_120geam_min_plus_kernelIDF16_Dv2_DF16_S1_Li8ELi32ELi64ELi128ELi4ELi4ELi64ELi4ELi64ELc84ELc78ELb1ELb1ELb0EDF16_KDF16_DF16_EEviiiT16_PT17_ilS5_ilS3_S5_ilPT18_ili26rocblas_geam_ex_operation_
; %bb.0:
	s_clause 0x1
	s_load_b128 s[16:19], s[0:1], 0x0
	s_load_b128 s[4:7], s[0:1], 0x20
	s_waitcnt lgkmcnt(0)
	v_cmp_eq_f16_e64 s2, s19, 0
	s_delay_alu instid0(VALU_DEP_1)
	s_and_b32 vcc_lo, exec_lo, s2
	s_cbranch_vccnz .LBB292_3
; %bb.1:
	s_load_b64 s[8:9], s[0:1], 0x10
	s_mul_i32 s3, s15, s5
	s_mul_hi_u32 s5, s15, s4
	s_mul_i32 s4, s15, s4
	s_add_i32 s5, s5, s3
	s_delay_alu instid0(SALU_CYCLE_1)
	s_lshl_b64 s[4:5], s[4:5], 1
	s_waitcnt lgkmcnt(0)
	s_add_u32 s8, s8, s4
	s_addc_u32 s9, s9, s5
	s_and_not1_b32 vcc_lo, exec_lo, s2
	s_cbranch_vccnz .LBB292_4
.LBB292_2:
	s_mov_b32 s21, 0
	s_mov_b64 s[12:13], 0
	s_cbranch_execz .LBB292_5
	s_branch .LBB292_6
.LBB292_3:
	s_mov_b64 s[8:9], 0
	s_and_not1_b32 vcc_lo, exec_lo, s2
	s_cbranch_vccz .LBB292_2
.LBB292_4:
	s_mov_b32 s21, -1
                                        ; implicit-def: $sgpr12_sgpr13
.LBB292_5:
	s_load_b64 s[2:3], s[0:1], 0x38
	s_mov_b32 s21, 0
	s_waitcnt lgkmcnt(0)
	s_mul_i32 s3, s15, s3
	s_mul_hi_u32 s4, s15, s2
	s_mul_i32 s2, s15, s2
	s_add_i32 s3, s4, s3
	s_delay_alu instid0(SALU_CYCLE_1) | instskip(NEXT) | instid1(SALU_CYCLE_1)
	s_lshl_b64 s[2:3], s[2:3], 1
	s_add_u32 s12, s6, s2
	s_addc_u32 s13, s7, s3
.LBB292_6:
	s_clause 0x1
	s_load_b32 s19, s[0:1], 0x40
	s_load_b128 s[4:7], s[0:1], 0x58
	s_waitcnt lgkmcnt(0)
	v_cmp_eq_f16_e64 s2, s19, 0
	v_cmp_neq_f16_e64 s20, s19, 0
	s_delay_alu instid0(VALU_DEP_2)
	s_and_b32 vcc_lo, exec_lo, s2
	s_cbranch_vccnz .LBB292_8
; %bb.7:
	s_load_b64 s[2:3], s[0:1], 0x48
	s_mul_i32 s5, s15, s5
	s_mul_hi_u32 s10, s15, s4
	s_delay_alu instid0(SALU_CYCLE_1) | instskip(SKIP_3) | instid1(SALU_CYCLE_1)
	s_add_i32 s5, s10, s5
	s_mul_i32 s10, s21, s4
	s_mul_i32 s4, s15, s4
	s_add_i32 s5, s5, s10
	s_lshl_b64 s[4:5], s[4:5], 1
	s_waitcnt lgkmcnt(0)
	s_add_u32 s10, s2, s4
	s_addc_u32 s11, s3, s5
	s_branch .LBB292_9
.LBB292_8:
	s_mov_b64 s[10:11], 0
.LBB292_9:
	s_add_i32 s2, s16, -1
	v_and_b32_e32 v26, 0x3ff, v0
	s_ashr_i32 s3, s2, 31
	v_bfe_u32 v27, v0, 10, 10
	s_lshr_b32 s3, s3, 26
	s_load_b32 s25, s[0:1], 0x18
	s_add_i32 s2, s2, s3
	v_and_b32_e32 v24, 3, v26
	s_ashr_i32 s2, s2, 6
	v_lshl_add_u32 v0, v27, 3, v26
	s_add_i32 s4, s2, 1
	s_not_b32 s2, s2
	v_cvt_f32_u32_e32 v1, s4
	v_lshlrev_b32_e32 v28, 1, v24
	v_lshrrev_b32_e32 v2, 2, v0
	s_delay_alu instid0(VALU_DEP_3) | instskip(SKIP_2) | instid1(VALU_DEP_1)
	v_rcp_iflag_f32_e32 v1, v1
	s_waitcnt_depctr 0xfff
	v_mul_f32_e32 v1, 0x4f7ffffe, v1
	v_cvt_u32_f32_e32 v1, v1
	s_delay_alu instid0(VALU_DEP_1) | instskip(NEXT) | instid1(VALU_DEP_1)
	v_readfirstlane_b32 s3, v1
                                        ; implicit-def: $vgpr0_vgpr1
	s_mul_i32 s2, s2, s3
	s_delay_alu instid0(SALU_CYCLE_1) | instskip(NEXT) | instid1(SALU_CYCLE_1)
	s_mul_hi_u32 s2, s3, s2
	s_add_i32 s3, s3, s2
	s_delay_alu instid0(SALU_CYCLE_1) | instskip(NEXT) | instid1(SALU_CYCLE_1)
	s_mul_hi_u32 s2, s14, s3
	s_mul_i32 s3, s2, s4
	s_add_i32 s5, s2, 1
	s_sub_i32 s3, s14, s3
	s_delay_alu instid0(SALU_CYCLE_1)
	s_sub_i32 s22, s3, s4
	s_cmp_ge_u32 s3, s4
	s_cselect_b32 s2, s5, s2
	s_cselect_b32 s3, s22, s3
	s_add_i32 s5, s2, 1
	s_cmp_ge_u32 s3, s4
	s_cselect_b32 s3, s5, s2
	s_delay_alu instid0(SALU_CYCLE_1) | instskip(SKIP_2) | instid1(SALU_CYCLE_1)
	s_mul_i32 s26, s3, s4
	v_cmp_le_i32_e64 s4, s18, v24
	s_sub_i32 s2, s14, s26
	s_lshl_b32 s22, s2, 6
	s_delay_alu instid0(SALU_CYCLE_1) | instskip(NEXT) | instid1(VALU_DEP_1)
	v_add_nc_u32_e32 v8, s22, v2
	v_cmp_le_i32_e32 vcc_lo, s16, v8
	s_or_b32 s2, s4, vcc_lo
	s_delay_alu instid0(SALU_CYCLE_1) | instskip(NEXT) | instid1(SALU_CYCLE_1)
	s_xor_b32 s2, s2, -1
	s_and_saveexec_b32 s5, s2
	s_delay_alu instid0(SALU_CYCLE_1)
	s_xor_b32 s5, exec_lo, s5
	s_cbranch_execz .LBB292_11
; %bb.10:
	s_waitcnt lgkmcnt(0)
	v_mad_i64_i32 v[0:1], null, v8, s25, 0
	v_mov_b32_e32 v25, 0
	s_delay_alu instid0(VALU_DEP_2) | instskip(NEXT) | instid1(VALU_DEP_1)
	v_lshlrev_b64 v[0:1], 1, v[0:1]
	v_add_co_u32 v0, s2, s8, v0
	s_delay_alu instid0(VALU_DEP_1) | instskip(NEXT) | instid1(VALU_DEP_2)
	v_add_co_ci_u32_e64 v1, s2, s9, v1, s2
	v_add_co_u32 v3, s2, v0, v28
	s_delay_alu instid0(VALU_DEP_1)
	v_add_co_ci_u32_e64 v4, s2, 0, v1, s2
	v_dual_mov_b32 v0, v24 :: v_dual_mov_b32 v1, v25
	flat_load_u16 v25, v[3:4]
.LBB292_11:
	s_and_not1_saveexec_b32 s2, s5
	s_cbranch_execz .LBB292_13
; %bb.12:
	s_waitcnt vmcnt(0) lgkmcnt(0)
	v_mov_b32_e32 v25, 0
	s_delay_alu instid0(VALU_DEP_1)
	v_dual_mov_b32 v0, v24 :: v_dual_mov_b32 v1, v25
.LBB292_13:
	s_or_b32 exec_lo, exec_lo, s2
	s_load_b32 s27, s[0:1], 0x30
	s_lshl_b32 s23, s3, 7
	s_delay_alu instid0(VALU_DEP_1) | instskip(SKIP_2) | instid1(VALU_DEP_3)
	v_lshlrev_b64 v[0:1], 1, v[0:1]
	v_dual_mov_b32 v6, 0 :: v_dual_add_nc_u32 v3, s23, v2
	v_mov_b32_e32 v7, 0
	v_add_co_u32 v0, s3, s12, v0
	s_delay_alu instid0(VALU_DEP_3) | instskip(SKIP_1) | instid1(VALU_DEP_2)
	v_cmp_le_i32_e64 s2, s17, v3
	v_add_co_ci_u32_e64 v1, s3, s13, v1, s3
	s_or_b32 s3, s4, s2
	s_delay_alu instid0(SALU_CYCLE_1) | instskip(NEXT) | instid1(SALU_CYCLE_1)
	s_xor_b32 s3, s3, -1
	s_and_saveexec_b32 s5, s3
	s_cbranch_execz .LBB292_15
; %bb.14:
	s_waitcnt lgkmcnt(0)
	v_mad_i64_i32 v[4:5], null, v3, s27, 0
	s_delay_alu instid0(VALU_DEP_1) | instskip(NEXT) | instid1(VALU_DEP_1)
	v_lshlrev_b64 v[4:5], 1, v[4:5]
	v_add_co_u32 v4, s3, v0, v4
	s_delay_alu instid0(VALU_DEP_1)
	v_add_co_ci_u32_e64 v5, s3, v1, v5, s3
	flat_load_u16 v7, v[4:5]
.LBB292_15:
	s_or_b32 exec_lo, exec_lo, s5
	v_add_nc_u32_e32 v4, 64, v3
	s_delay_alu instid0(VALU_DEP_1) | instskip(NEXT) | instid1(VALU_DEP_1)
	v_cmp_le_i32_e64 s3, s17, v4
	s_or_b32 s4, s4, s3
	s_delay_alu instid0(SALU_CYCLE_1) | instskip(NEXT) | instid1(SALU_CYCLE_1)
	s_xor_b32 s4, s4, -1
	s_and_saveexec_b32 s5, s4
	s_cbranch_execz .LBB292_17
; %bb.16:
	s_waitcnt lgkmcnt(0)
	v_mad_i64_i32 v[5:6], null, v4, s27, 0
	s_delay_alu instid0(VALU_DEP_1) | instskip(NEXT) | instid1(VALU_DEP_1)
	v_lshlrev_b64 v[5:6], 1, v[5:6]
	v_add_co_u32 v0, s4, v0, v5
	s_delay_alu instid0(VALU_DEP_1)
	v_add_co_ci_u32_e64 v1, s4, v1, v6, s4
	flat_load_u16 v6, v[0:1]
.LBB292_17:
	s_or_b32 exec_lo, exec_lo, s5
	v_or_b32_e32 v0, 4, v24
                                        ; implicit-def: $vgpr5
	s_delay_alu instid0(VALU_DEP_1) | instskip(NEXT) | instid1(VALU_DEP_1)
	v_cmp_le_i32_e64 s4, s18, v0
	s_or_b32 s5, s4, vcc_lo
	s_delay_alu instid0(SALU_CYCLE_1) | instskip(NEXT) | instid1(SALU_CYCLE_1)
	s_xor_b32 s5, s5, -1
	s_and_saveexec_b32 s24, s5
	s_delay_alu instid0(SALU_CYCLE_1)
	s_xor_b32 s24, exec_lo, s24
	s_cbranch_execz .LBB292_19
; %bb.18:
	s_waitcnt lgkmcnt(0)
	v_mad_i64_i32 v[9:10], null, v8, s25, 0
	s_delay_alu instid0(VALU_DEP_1) | instskip(NEXT) | instid1(VALU_DEP_1)
	v_lshlrev_b64 v[8:9], 1, v[9:10]
	v_add_co_u32 v1, s5, s8, v8
	s_delay_alu instid0(VALU_DEP_1) | instskip(NEXT) | instid1(VALU_DEP_2)
	v_add_co_ci_u32_e64 v5, s5, s9, v9, s5
	v_add_co_u32 v8, s5, v1, v28
	s_delay_alu instid0(VALU_DEP_1)
	v_add_co_ci_u32_e64 v9, s5, 0, v5, s5
	v_mov_b32_e32 v1, 0
	flat_load_u16 v5, v[8:9] offset:8
.LBB292_19:
	s_and_not1_saveexec_b32 s5, s24
	s_cbranch_execz .LBB292_21
; %bb.20:
	v_mov_b32_e32 v1, 0
	s_waitcnt vmcnt(0) lgkmcnt(0)
	s_delay_alu instid0(VALU_DEP_1)
	v_mov_b32_e32 v5, v1
.LBB292_21:
	s_or_b32 exec_lo, exec_lo, s5
	v_lshlrev_b64 v[8:9], 1, v[0:1]
	v_dual_mov_b32 v0, 0 :: v_dual_mov_b32 v1, 0
	s_delay_alu instid0(VALU_DEP_2) | instskip(NEXT) | instid1(VALU_DEP_1)
	v_add_co_u32 v8, s5, s12, v8
	v_add_co_ci_u32_e64 v9, s5, s13, v9, s5
	s_or_b32 s5, s4, s2
	s_delay_alu instid0(SALU_CYCLE_1) | instskip(NEXT) | instid1(SALU_CYCLE_1)
	s_xor_b32 s5, s5, -1
	s_and_saveexec_b32 s24, s5
	s_cbranch_execz .LBB292_23
; %bb.22:
	s_waitcnt lgkmcnt(0)
	v_mad_i64_i32 v[10:11], null, v3, s27, 0
	s_delay_alu instid0(VALU_DEP_1) | instskip(NEXT) | instid1(VALU_DEP_1)
	v_lshlrev_b64 v[10:11], 1, v[10:11]
	v_add_co_u32 v10, s5, v8, v10
	s_delay_alu instid0(VALU_DEP_1)
	v_add_co_ci_u32_e64 v11, s5, v9, v11, s5
	flat_load_u16 v1, v[10:11]
.LBB292_23:
	s_or_b32 exec_lo, exec_lo, s24
	s_or_b32 s4, s4, s3
	s_delay_alu instid0(SALU_CYCLE_1) | instskip(NEXT) | instid1(SALU_CYCLE_1)
	s_xor_b32 s4, s4, -1
	s_and_saveexec_b32 s5, s4
	s_cbranch_execz .LBB292_25
; %bb.24:
	s_waitcnt lgkmcnt(0)
	v_mad_i64_i32 v[10:11], null, v4, s27, 0
	s_delay_alu instid0(VALU_DEP_1) | instskip(NEXT) | instid1(VALU_DEP_1)
	v_lshlrev_b64 v[10:11], 1, v[10:11]
	v_add_co_u32 v8, s4, v8, v10
	s_delay_alu instid0(VALU_DEP_1)
	v_add_co_ci_u32_e64 v9, s4, v9, v11, s4
	flat_load_u16 v0, v[8:9]
.LBB292_25:
	s_or_b32 exec_lo, exec_lo, s5
	v_lshlrev_b32_e32 v30, 3, v26
	v_lshl_or_b32 v31, v2, 3, v28
	v_lshlrev_b32_e32 v29, 3, v27
	s_mov_b32 s24, 0
	s_cmp_lt_i32 s18, 9
	v_add_nc_u32_e32 v22, 0x800, v30
	s_waitcnt vmcnt(0) lgkmcnt(0)
	ds_store_b16 v31, v7
	ds_store_b16 v31, v25 offset:2048
	ds_store_b16 v31, v6 offset:512
	s_waitcnt lgkmcnt(0)
	s_barrier
	buffer_gl0_inv
	ds_load_2addr_b64 v[6:9], v29 offset1:32
	ds_load_2addr_b64 v[10:13], v22 offset0:48 offset1:56
	ds_load_2addr_b64 v[14:17], v29 offset0:64 offset1:96
	ds_load_2addr_b64 v[18:21], v22 offset1:8
	ds_load_2addr_b64 v[33:36], v22 offset0:16 offset1:24
	ds_load_2addr_b64 v[37:40], v22 offset0:32 offset1:40
	ds_store_b16 v31, v1 offset:1024
	ds_store_b16 v31, v5 offset:2560
	;; [unrolled: 1-line block ×3, first 2 shown]
	s_waitcnt lgkmcnt(0)
	s_barrier
	buffer_gl0_inv
	v_pk_max_f16 v6, v6, v6
	v_pk_max_f16 v8, v8, v8
	;; [unrolled: 1-line block ×9, first 2 shown]
	v_pk_min_f16 v46, v33, v6
	v_pk_min_f16 v47, v33, v8
	;; [unrolled: 1-line block ×5, first 2 shown]
	v_pk_max_f16 v18, v18, v18
	v_pk_max_f16 v20, v20, v20
	v_pk_add_f16 v51, v48, 0
	v_pk_add_f16 v52, v33, 0
	v_pk_min_f16 v33, v35, v6
	v_pk_min_f16 v48, v35, v8
	;; [unrolled: 1-line block ×4, first 2 shown]
	v_pk_max_f16 v10, v10, v10
	v_pk_add_f16 v53, v33, 0
	v_pk_min_f16 v33, v37, v6
	v_pk_add_f16 v60, v35, 0
	v_pk_min_f16 v35, v37, v8
	v_pk_max_f16 v7, v7, v7
	v_pk_max_f16 v13, v13, v13
	v_pk_add_f16 v61, v33, 0
	v_pk_min_f16 v33, v37, v14
	v_pk_add_f16 v62, v35, 0
	v_pk_min_f16 v35, v39, v6
	v_pk_min_f16 v23, v12, v8
	;; [unrolled: 1-line block ×10, first 2 shown]
	v_pk_add_f16 v22, v22, 0
	v_pk_min_f16 v20, v20, v16
	v_pk_add_f16 v54, v48, 0
	v_pk_min_f16 v37, v37, v16
	v_pk_min_f16 v48, v39, v8
	v_pk_add_f16 v66, v33, 0
	v_pk_add_f16 v69, v35, 0
	v_pk_min_f16 v33, v39, v14
	v_pk_min_f16 v35, v39, v16
	;; [unrolled: 1-line block ×6, first 2 shown]
	v_pk_max_f16 v9, v9, v9
	v_pk_min_f16 v12, v12, v16
	v_pk_min_f16 v16, v13, v7
	v_pk_add_f16 v23, v23, 0
	v_pk_add_f16 v39, v33, 0
	v_pk_max_f16 v15, v15, v15
	v_pk_min_f16 v33, v13, v9
	v_pk_max_f16 v19, v19, v19
	v_pk_add_f16 v68, v22, v16
	v_pk_max_f16 v16, v17, v17
	v_pk_add_f16 v25, v25, 0
	v_pk_add_f16 v32, v32, 0
	;; [unrolled: 1-line block ×5, first 2 shown]
	v_pk_min_f16 v35, v13, v15
	v_pk_add_f16 v58, v23, v33
	v_pk_min_f16 v17, v19, v7
	v_pk_min_f16 v22, v19, v9
	;; [unrolled: 1-line block ×4, first 2 shown]
	v_pk_max_f16 v21, v21, v21
	v_pk_add_f16 v43, v43, 0
	v_pk_add_f16 v44, v44, 0
	;; [unrolled: 1-line block ×9, first 2 shown]
	v_pk_min_f16 v17, v21, v7
	v_pk_min_f16 v18, v21, v9
	;; [unrolled: 1-line block ×4, first 2 shown]
	v_pk_max_f16 v22, v34, v34
	v_pk_add_f16 v46, v46, 0
	v_pk_add_f16 v47, v47, 0
	;; [unrolled: 1-line block ×7, first 2 shown]
	v_pk_min_f16 v17, v22, v7
	v_pk_min_f16 v18, v22, v9
	;; [unrolled: 1-line block ×4, first 2 shown]
	v_pk_max_f16 v21, v36, v36
	v_pk_add_f16 v32, v46, v17
	v_pk_add_f16 v64, v47, v18
	v_pk_add_f16 v55, v51, v19
	v_pk_add_f16 v47, v52, v20
	v_pk_min_f16 v17, v21, v7
	v_pk_min_f16 v18, v21, v9
	;; [unrolled: 1-line block ×4, first 2 shown]
	v_pk_max_f16 v21, v38, v38
	v_pk_add_f16 v37, v37, 0
	v_pk_add_f16 v34, v53, v17
	;; [unrolled: 1-line block ×5, first 2 shown]
	v_pk_min_f16 v17, v21, v7
	v_pk_min_f16 v18, v21, v9
	;; [unrolled: 1-line block ×4, first 2 shown]
	v_pk_max_f16 v21, v40, v40
	v_pk_max_f16 v11, v11, v11
	v_pk_add_f16 v42, v42, 0
	v_pk_add_f16 v6, v6, 0
	;; [unrolled: 1-line block ×10, first 2 shown]
	v_pk_min_f16 v17, v21, v7
	v_pk_min_f16 v18, v21, v9
	;; [unrolled: 1-line block ×9, first 2 shown]
	v_pk_add_f16 v57, v42, v23
	v_pk_add_f16 v38, v69, v17
	;; [unrolled: 1-line block ×10, first 2 shown]
	s_cbranch_scc1 .LBB292_40
; %bb.26:
	v_lshl_add_u32 v0, s14, 6, v2
	s_lshl_b32 s4, s26, 6
	v_mad_i64_i32 v[5:6], null, s27, v3, 0
	v_add_nc_u32_e32 v25, 0x800, v31
	s_delay_alu instid0(VALU_DEP_3)
	v_subrev_nc_u32_e32 v2, s4, v0
	v_add_nc_u32_e32 v37, 0x800, v30
	v_add_nc_u32_e32 v39, 0xa00, v31
	;; [unrolled: 1-line block ×3, first 2 shown]
	v_lshl_add_u32 v59, v26, 3, 0xa00
	v_mad_i64_i32 v[0:1], null, s25, v2, 0
	v_mad_i64_i32 v[2:3], null, s27, v4, 0
	v_lshlrev_b64 v[4:5], 1, v[5:6]
	v_lshl_add_u32 v66, v27, 3, 0x400
	s_delay_alu instid0(VALU_DEP_4) | instskip(NEXT) | instid1(VALU_DEP_4)
	v_lshlrev_b64 v[0:1], 1, v[0:1]
	v_lshlrev_b64 v[2:3], 1, v[2:3]
	s_delay_alu instid0(VALU_DEP_2) | instskip(NEXT) | instid1(VALU_DEP_1)
	v_add_co_u32 v69, s4, s8, v0
	v_add_co_ci_u32_e64 v70, s4, s9, v1, s4
	v_add_co_u32 v71, s4, s12, v4
	s_delay_alu instid0(VALU_DEP_1) | instskip(SKIP_1) | instid1(VALU_DEP_1)
	v_add_co_ci_u32_e64 v72, s4, s13, v5, s4
	v_add_co_u32 v73, s4, s12, v2
	v_add_co_ci_u32_e64 v74, s4, s13, v3, s4
	s_add_i32 s8, s18, -8
	s_branch .LBB292_28
.LBB292_27:                             ;   in Loop: Header=BB292_28 Depth=1
	s_or_b32 exec_lo, exec_lo, s5
	v_pk_add_f16 v14, v35, v14
	v_pk_add_f16 v22, v49, v22
	;; [unrolled: 1-line block ×25, first 2 shown]
	ds_load_2addr_b64 v[42:45], v37 offset0:48 offset1:56
	ds_load_2addr_b64 v[32:35], v29 offset1:32
	v_pk_add_f16 v9, v47, v9
	ds_load_2addr_b64 v[46:49], v29 offset0:64 offset1:96
	v_pk_add_f16 v12, v58, v12
	v_pk_add_f16 v56, v53, v87
	;; [unrolled: 1-line block ×6, first 2 shown]
	ds_load_2addr_b64 v[50:53], v37 offset1:8
	v_pk_add_f16 v38, v38, v89
	v_pk_add_f16 v40, v40, v93
	;; [unrolled: 1-line block ×9, first 2 shown]
	s_waitcnt lgkmcnt(3)
	v_pk_max_f16 v38, v44, v44
	s_waitcnt lgkmcnt(2)
	v_pk_max_f16 v32, v32, v32
	v_pk_max_f16 v34, v34, v34
	s_waitcnt lgkmcnt(1)
	v_pk_max_f16 v40, v46, v46
	v_pk_add_f16 v16, v16, v106
	v_pk_add_f16 v68, v8, v111
	;; [unrolled: 1-line block ×8, first 2 shown]
	v_pk_min_f16 v5, v38, v32
	v_pk_min_f16 v6, v38, v34
	;; [unrolled: 1-line block ×3, first 2 shown]
	ds_load_2addr_b64 v[1:4], v37 offset0:16 offset1:24
	s_waitcnt lgkmcnt(1)
	v_pk_max_f16 v8, v50, v50
	v_pk_max_f16 v48, v48, v48
	v_pk_add_f16 v14, v14, v107
	v_pk_add_f16 v18, v18, v108
	;; [unrolled: 1-line block ×7, first 2 shown]
	v_pk_min_f16 v5, v8, v32
	v_pk_min_f16 v6, v8, v34
	;; [unrolled: 1-line block ×4, first 2 shown]
	v_pk_max_f16 v52, v52, v52
	v_pk_add_f16 v14, v14, v5
	v_pk_add_f16 v18, v18, v6
	;; [unrolled: 1-line block ×4, first 2 shown]
	ds_load_2addr_b64 v[5:8], v37 offset0:32 offset1:40
	v_pk_add_f16 v60, v60, v94
	v_pk_add_f16 v13, v58, v13
	v_pk_min_f16 v58, v52, v32
	s_waitcnt lgkmcnt(1)
	v_pk_max_f16 v1, v1, v1
	v_pk_add_f16 v10, v10, v116
	v_pk_add_f16 v17, v62, v17
	;; [unrolled: 1-line block ×4, first 2 shown]
	v_pk_min_f16 v60, v52, v34
	v_pk_add_f16 v62, v68, v58
	v_pk_min_f16 v58, v1, v32
	v_pk_min_f16 v63, v1, v34
	;; [unrolled: 1-line block ×4, first 2 shown]
	v_pk_max_f16 v3, v3, v3
	v_pk_add_f16 v55, v55, v100
	v_pk_add_f16 v60, v77, v60
	;; [unrolled: 1-line block ×6, first 2 shown]
	v_pk_min_f16 v9, v3, v32
	v_pk_min_f16 v58, v3, v34
	s_waitcnt lgkmcnt(0)
	v_pk_max_f16 v5, v5, v5
	v_pk_min_f16 v64, v3, v40
	v_pk_min_f16 v3, v3, v48
	v_pk_add_f16 v36, v36, v86
	v_pk_add_f16 v15, v61, v15
	v_pk_min_f16 v61, v52, v40
	v_pk_min_f16 v52, v52, v48
	v_pk_add_f16 v3, v55, v3
	v_pk_min_f16 v55, v5, v34
	v_pk_max_f16 v7, v7, v7
	v_pk_add_f16 v54, v54, v99
	v_pk_add_f16 v36, v36, v101
	;; [unrolled: 1-line block ×5, first 2 shown]
	v_pk_min_f16 v58, v5, v32
	v_pk_add_f16 v79, v84, v55
	v_pk_min_f16 v55, v7, v32
	v_pk_max_f16 v42, v42, v42
	v_pk_add_f16 v54, v54, v64
	v_pk_add_f16 v36, v36, v58
	v_pk_min_f16 v58, v5, v40
	v_pk_min_f16 v64, v7, v34
	v_pk_add_f16 v11, v11, v55
	v_pk_min_f16 v55, v7, v40
	v_pk_min_f16 v7, v7, v48
	;; [unrolled: 1-line block ×5, first 2 shown]
	v_pk_add_f16 v9, v82, v9
	v_pk_add_f16 v7, v17, v7
	v_pk_add_f16 v17, v19, v32
	v_pk_add_f16 v19, v21, v34
	v_pk_add_f16 v21, v23, v40
	v_pk_min_f16 v23, v42, v48
	v_pk_max_f16 v40, v45, v45
	v_pk_max_f16 v42, v33, v33
	;; [unrolled: 1-line block ×3, first 2 shown]
	v_pk_min_f16 v32, v38, v48
	v_pk_max_f16 v82, v47, v47
	v_pk_max_f16 v35, v51, v51
	v_pk_min_f16 v33, v40, v42
	v_pk_min_f16 v34, v40, v81
	v_pk_add_f16 v83, v46, v32
	v_pk_min_f16 v32, v40, v82
	v_pk_add_f16 v80, v56, v58
	v_pk_add_f16 v68, v50, v33
	;; [unrolled: 1-line block ×3, first 2 shown]
	v_pk_max_f16 v12, v49, v49
	v_pk_add_f16 v50, v16, v32
	v_pk_min_f16 v16, v35, v42
	v_pk_min_f16 v32, v35, v81
	v_pk_max_f16 v38, v53, v53
	v_pk_min_f16 v5, v5, v48
	v_pk_min_f16 v33, v35, v82
	;; [unrolled: 1-line block ×3, first 2 shown]
	v_pk_add_f16 v35, v14, v16
	v_pk_add_f16 v67, v18, v32
	v_pk_min_f16 v14, v38, v42
	v_pk_min_f16 v16, v38, v81
	;; [unrolled: 1-line block ×3, first 2 shown]
	v_pk_max_f16 v2, v2, v2
	v_pk_add_f16 v5, v57, v5
	v_pk_add_f16 v57, v20, v33
	v_pk_add_f16 v33, v62, v14
	v_pk_add_f16 v65, v60, v16
	v_pk_add_f16 v56, v61, v18
	v_pk_min_f16 v14, v2, v42
	v_pk_min_f16 v16, v2, v81
	;; [unrolled: 1-line block ×4, first 2 shown]
	v_pk_max_f16 v4, v4, v4
	v_pk_add_f16 v13, v13, v64
	v_pk_add_f16 v64, v10, v16
	v_pk_max_f16 v6, v6, v6
	v_pk_add_f16 v47, v1, v2
	v_pk_min_f16 v1, v4, v42
	v_pk_min_f16 v2, v4, v81
	;; [unrolled: 1-line block ×4, first 2 shown]
	v_pk_add_f16 v15, v15, v55
	v_pk_add_f16 v49, v22, v34
	;; [unrolled: 1-line block ×6, first 2 shown]
	v_pk_min_f16 v1, v6, v42
	v_pk_min_f16 v2, v6, v81
	;; [unrolled: 1-line block ×4, first 2 shown]
	v_pk_max_f16 v6, v8, v8
	v_pk_min_f16 v20, v38, v12
	v_pk_add_f16 v36, v36, v1
	v_pk_add_f16 v62, v79, v2
	;; [unrolled: 1-line block ×4, first 2 shown]
	v_pk_min_f16 v1, v6, v42
	v_pk_min_f16 v2, v6, v81
	;; [unrolled: 1-line block ×4, first 2 shown]
	v_pk_max_f16 v5, v43, v43
	v_add_co_u32 v69, s4, v69, 16
	s_delay_alu instid0(VALU_DEP_1)
	v_add_co_ci_u32_e64 v70, s4, 0, v70, s4
	v_pk_add_f16 v23, v44, v23
	v_pk_add_f16 v48, v52, v20
	;; [unrolled: 1-line block ×6, first 2 shown]
	v_pk_min_f16 v1, v5, v42
	v_pk_min_f16 v2, v5, v81
	;; [unrolled: 1-line block ×5, first 2 shown]
	v_add_co_u32 v71, s4, v71, 16
	s_delay_alu instid0(VALU_DEP_1)
	v_add_co_ci_u32_e64 v72, s4, 0, v72, s4
	v_add_co_u32 v73, s4, v73, 16
	v_pk_add_f16 v32, v77, v14
	v_pk_add_f16 v54, v54, v10
	;; [unrolled: 1-line block ×7, first 2 shown]
	v_add_co_ci_u32_e64 v74, s4, 0, v74, s4
	s_add_i32 s24, s24, 8
	s_waitcnt vmcnt(0)
	ds_store_b16 v39, v76
	ds_store_b16 v41, v75
	ds_store_b16 v41, v0 offset:512
	s_cmp_ge_i32 s24, s8
	s_waitcnt lgkmcnt(0)
	s_barrier
	buffer_gl0_inv
	s_cbranch_scc1 .LBB292_40
.LBB292_28:                             ; =>This Inner Loop Header: Depth=1
	v_dual_mov_b32 v76, 0 :: v_dual_add_nc_u32 v75, s24, v24
	s_delay_alu instid0(VALU_DEP_1) | instskip(NEXT) | instid1(VALU_DEP_1)
	v_add_nc_u32_e32 v0, 8, v75
	v_cmp_le_i32_e64 s4, s18, v0
	s_delay_alu instid0(VALU_DEP_1) | instskip(NEXT) | instid1(SALU_CYCLE_1)
	s_or_b32 s5, s4, vcc_lo
	s_xor_b32 s5, s5, -1
	s_delay_alu instid0(SALU_CYCLE_1)
	s_and_saveexec_b32 s9, s5
	s_cbranch_execz .LBB292_30
; %bb.29:                               ;   in Loop: Header=BB292_28 Depth=1
	v_add_co_u32 v0, s5, v69, v28
	s_delay_alu instid0(VALU_DEP_1)
	v_add_co_ci_u32_e64 v1, s5, 0, v70, s5
	flat_load_u16 v76, v[0:1] offset:16
.LBB292_30:                             ;   in Loop: Header=BB292_28 Depth=1
	s_or_b32 exec_lo, exec_lo, s9
	v_dual_mov_b32 v77, 0 :: v_dual_mov_b32 v78, 0
	s_or_b32 s5, s2, s4
	s_delay_alu instid0(SALU_CYCLE_1) | instskip(NEXT) | instid1(SALU_CYCLE_1)
	s_xor_b32 s5, s5, -1
	s_and_saveexec_b32 s9, s5
	s_cbranch_execz .LBB292_32
; %bb.31:                               ;   in Loop: Header=BB292_28 Depth=1
	v_add_co_u32 v0, s5, v71, v28
	s_delay_alu instid0(VALU_DEP_1)
	v_add_co_ci_u32_e64 v1, s5, 0, v72, s5
	flat_load_u16 v78, v[0:1] offset:16
.LBB292_32:                             ;   in Loop: Header=BB292_28 Depth=1
	s_or_b32 exec_lo, exec_lo, s9
	s_or_b32 s4, s3, s4
	s_delay_alu instid0(SALU_CYCLE_1) | instskip(NEXT) | instid1(SALU_CYCLE_1)
	s_xor_b32 s4, s4, -1
	s_and_saveexec_b32 s5, s4
	s_cbranch_execz .LBB292_34
; %bb.33:                               ;   in Loop: Header=BB292_28 Depth=1
	v_add_co_u32 v0, s4, v73, v28
	s_delay_alu instid0(VALU_DEP_1)
	v_add_co_ci_u32_e64 v1, s4, 0, v74, s4
	flat_load_u16 v77, v[0:1] offset:16
.LBB292_34:                             ;   in Loop: Header=BB292_28 Depth=1
	s_or_b32 exec_lo, exec_lo, s5
	ds_load_2addr_b64 v[0:3], v59 offset0:48 offset1:56
	ds_load_2addr_b64 v[12:15], v66 offset0:64 offset1:96
	ds_load_2addr_b64 v[20:23], v66 offset1:32
	ds_load_2addr_b64 v[16:19], v59 offset1:8
	ds_load_2addr_b64 v[8:11], v59 offset0:16 offset1:24
	ds_load_2addr_b64 v[4:7], v59 offset0:32 offset1:40
	v_add_nc_u32_e32 v75, 12, v75
	s_waitcnt vmcnt(0) lgkmcnt(6)
	ds_store_b16 v25, v76
	ds_store_b16 v31, v78
	ds_store_b16 v31, v77 offset:512
	v_mov_b32_e32 v76, 0
	s_waitcnt lgkmcnt(0)
	s_barrier
	v_cmp_le_i32_e64 s4, s18, v75
	v_mov_b32_e32 v75, 0
	buffer_gl0_inv
	s_or_b32 s5, s4, vcc_lo
	s_delay_alu instid0(SALU_CYCLE_1) | instskip(NEXT) | instid1(SALU_CYCLE_1)
	s_xor_b32 s5, s5, -1
	s_and_saveexec_b32 s9, s5
	s_cbranch_execz .LBB292_36
; %bb.35:                               ;   in Loop: Header=BB292_28 Depth=1
	v_add_co_u32 v76, s5, v69, v28
	s_delay_alu instid0(VALU_DEP_1)
	v_add_co_ci_u32_e64 v77, s5, 0, v70, s5
	flat_load_u16 v76, v[76:77] offset:24
.LBB292_36:                             ;   in Loop: Header=BB292_28 Depth=1
	s_or_b32 exec_lo, exec_lo, s9
	s_or_b32 s5, s2, s4
	s_delay_alu instid0(SALU_CYCLE_1) | instskip(NEXT) | instid1(SALU_CYCLE_1)
	s_xor_b32 s5, s5, -1
	s_and_saveexec_b32 s9, s5
	s_cbranch_execz .LBB292_38
; %bb.37:                               ;   in Loop: Header=BB292_28 Depth=1
	v_add_co_u32 v77, s5, v71, v28
	s_delay_alu instid0(VALU_DEP_1)
	v_add_co_ci_u32_e64 v78, s5, 0, v72, s5
	flat_load_u16 v75, v[77:78] offset:24
.LBB292_38:                             ;   in Loop: Header=BB292_28 Depth=1
	s_or_b32 exec_lo, exec_lo, s9
	v_pk_max_f16 v97, v2, v2
	v_pk_max_f16 v93, v20, v20
	v_pk_max_f16 v94, v22, v22
	v_pk_max_f16 v95, v12, v12
	v_pk_max_f16 v22, v16, v16
	v_pk_max_f16 v98, v14, v14
	v_pk_max_f16 v79, v18, v18
	v_pk_max_f16 v82, v8, v8
	v_pk_max_f16 v85, v10, v10
	v_pk_max_f16 v88, v4, v4
	v_pk_max_f16 v92, v6, v6
	v_pk_max_f16 v0, v0, v0
	v_pk_min_f16 v2, v97, v93
	v_pk_min_f16 v12, v97, v94
	;; [unrolled: 1-line block ×25, first 2 shown]
	v_pk_max_f16 v0, v3, v3
	v_pk_max_f16 v21, v21, v21
	;; [unrolled: 1-line block ×9, first 2 shown]
	v_pk_min_f16 v107, v3, v21
	v_pk_min_f16 v108, v3, v23
	;; [unrolled: 1-line block ×4, first 2 shown]
	v_pk_max_f16 v3, v9, v9
	v_pk_max_f16 v7, v7, v7
	;; [unrolled: 1-line block ×3, first 2 shown]
	v_pk_min_f16 v22, v22, v98
	v_pk_min_f16 v79, v79, v98
	;; [unrolled: 1-line block ×35, first 2 shown]
	v_mov_b32_e32 v0, 0
	s_or_b32 s4, s3, s4
	s_delay_alu instid0(SALU_CYCLE_1) | instskip(NEXT) | instid1(SALU_CYCLE_1)
	s_xor_b32 s4, s4, -1
	s_and_saveexec_b32 s5, s4
	s_cbranch_execz .LBB292_27
; %bb.39:                               ;   in Loop: Header=BB292_28 Depth=1
	v_add_co_u32 v118, s4, v73, v28
	s_delay_alu instid0(VALU_DEP_1)
	v_add_co_ci_u32_e64 v119, s4, 0, v74, s4
	flat_load_u16 v0, v[118:119] offset:24
	s_branch .LBB292_27
.LBB292_40:
	s_clause 0x2
	s_load_b64 s[2:3], s[0:1], 0x70
	s_load_b32 s12, s[0:1], 0x50
	s_load_b32 s9, s[0:1], 0x68
	v_add_nc_u32_e32 v66, s23, v27
	v_add_nc_u32_e32 v8, 0x800, v30
	;; [unrolled: 1-line block ×3, first 2 shown]
	ds_load_2addr_b64 v[0:3], v29 offset0:192 offset1:224
	ds_load_2addr_b64 v[20:23], v29 offset0:128 offset1:160
	;; [unrolled: 1-line block ×6, first 2 shown]
	v_cmp_gt_i32_e64 s8, s17, v66
	v_cndmask_b32_e64 v59, 0, 1, s20
	s_waitcnt lgkmcnt(0)
	s_mul_i32 s0, s15, s3
	v_mad_i64_i32 v[25:26], null, v66, s12, 0
	v_mad_i64_i32 v[27:28], null, v66, s9, 0
	s_mul_hi_u32 s1, s15, s2
	s_mul_i32 s3, s21, s2
	s_add_i32 s1, s1, s0
	s_mul_i32 s0, s15, s2
	s_delay_alu instid0(VALU_DEP_2) | instskip(SKIP_1) | instid1(VALU_DEP_2)
	v_lshlrev_b64 v[25:26], 1, v[25:26]
	s_add_i32 s1, s1, s3
	v_lshlrev_b64 v[27:28], 1, v[27:28]
	s_lshl_b64 s[0:1], s[0:1], 1
	s_delay_alu instid0(SALU_CYCLE_1) | instskip(NEXT) | instid1(VALU_DEP_2)
	s_add_u32 s13, s6, s0
	v_add_co_u32 v71, vcc_lo, s10, v25
	v_add_co_ci_u32_e32 v72, vcc_lo, s11, v26, vcc_lo
	s_addc_u32 s14, s7, s1
	v_add_co_u32 v69, vcc_lo, s13, v27
	v_cmp_gt_i32_e64 s0, s16, v24
	v_add_co_ci_u32_e32 v70, vcc_lo, s14, v28, vcc_lo
	v_ashrrev_i32_e32 v25, 31, v24
	s_delay_alu instid0(VALU_DEP_3) | instskip(NEXT) | instid1(SALU_CYCLE_1)
	s_and_b32 s2, s0, s8
	s_and_saveexec_b32 s1, s2
	s_cbranch_execz .LBB292_45
; %bb.41:
	s_delay_alu instid0(VALU_DEP_1)
	v_lshlrev_b64 v[26:27], 1, v[24:25]
	s_and_not1_b32 vcc_lo, exec_lo, s20
	s_cbranch_vccnz .LBB292_43
; %bb.42:
	s_delay_alu instid0(VALU_DEP_1) | instskip(NEXT) | instid1(VALU_DEP_2)
	v_add_co_u32 v28, vcc_lo, v71, v26
	v_add_co_ci_u32_e32 v29, vcc_lo, v72, v27, vcc_lo
	flat_load_u16 v28, v[28:29]
	s_waitcnt vmcnt(0) lgkmcnt(0)
	v_mul_f16_e32 v28, s19, v28
	s_branch .LBB292_44
.LBB292_43:
	v_mov_b32_e32 v28, 0
.LBB292_44:
	v_pk_max_f16 v29, v20, v20
	v_pk_max_f16 v30, v16, v16
	;; [unrolled: 1-line block ×4, first 2 shown]
	v_add_co_u32 v26, vcc_lo, v69, v26
	s_delay_alu instid0(VALU_DEP_4) | instskip(SKIP_1) | instid1(VALU_DEP_4)
	v_pk_min_f16 v29, v30, v29
	v_add_co_ci_u32_e32 v27, vcc_lo, v70, v27, vcc_lo
	v_pk_min_f16 v30, v37, v31
	s_delay_alu instid0(VALU_DEP_3) | instskip(NEXT) | instid1(VALU_DEP_1)
	v_pk_add_f16 v29, v35, v29
	v_pk_add_f16 v29, v29, v30
	s_delay_alu instid0(VALU_DEP_1) | instskip(NEXT) | instid1(VALU_DEP_1)
	v_lshrrev_b32_e32 v30, 16, v29
	v_add_f16_e32 v29, v29, v30
	s_delay_alu instid0(VALU_DEP_1)
	v_add_f16_e32 v28, v29, v28
	global_store_b16 v[26:27], v28, off
.LBB292_45:
	s_or_b32 exec_lo, exec_lo, s1
	v_add_nc_u32_e32 v26, 8, v24
	s_delay_alu instid0(VALU_DEP_1) | instskip(SKIP_1) | instid1(VALU_DEP_2)
	v_cmp_gt_i32_e64 s1, s16, v26
	v_ashrrev_i32_e32 v27, 31, v26
	s_and_b32 s3, s1, s8
	s_delay_alu instid0(SALU_CYCLE_1)
	s_and_saveexec_b32 s2, s3
	s_cbranch_execz .LBB292_50
; %bb.46:
	v_cmp_ne_u32_e32 vcc_lo, 1, v59
	v_lshlrev_b64 v[28:29], 1, v[26:27]
	s_cbranch_vccnz .LBB292_48
; %bb.47:
	s_delay_alu instid0(VALU_DEP_1) | instskip(NEXT) | instid1(VALU_DEP_2)
	v_add_co_u32 v30, vcc_lo, v71, v28
	v_add_co_ci_u32_e32 v31, vcc_lo, v72, v29, vcc_lo
	flat_load_u16 v30, v[30:31]
	s_waitcnt vmcnt(0) lgkmcnt(0)
	v_mul_f16_e32 v30, s19, v30
	s_branch .LBB292_49
.LBB292_48:
	v_mov_b32_e32 v30, 0
.LBB292_49:
	v_pk_max_f16 v31, v20, v20
	v_pk_max_f16 v35, v18, v18
	v_pk_max_f16 v37, v21, v21
	v_pk_max_f16 v39, v19, v19
	v_add_co_u32 v28, vcc_lo, v69, v28
	s_delay_alu instid0(VALU_DEP_4) | instskip(SKIP_1) | instid1(VALU_DEP_4)
	v_pk_min_f16 v31, v35, v31
	v_add_co_ci_u32_e32 v29, vcc_lo, v70, v29, vcc_lo
	v_pk_min_f16 v35, v39, v37
	s_delay_alu instid0(VALU_DEP_3) | instskip(NEXT) | instid1(VALU_DEP_1)
	v_pk_add_f16 v31, v33, v31
	v_pk_add_f16 v31, v31, v35
	s_delay_alu instid0(VALU_DEP_1) | instskip(NEXT) | instid1(VALU_DEP_1)
	v_lshrrev_b32_e32 v33, 16, v31
	v_add_f16_e32 v31, v31, v33
	s_delay_alu instid0(VALU_DEP_1)
	v_add_f16_e32 v30, v31, v30
	global_store_b16 v[28:29], v30, off
.LBB292_50:
	s_or_b32 exec_lo, exec_lo, s2
	v_add_nc_u32_e32 v28, 16, v24
	s_delay_alu instid0(VALU_DEP_1) | instskip(SKIP_1) | instid1(VALU_DEP_2)
	v_cmp_gt_i32_e64 s2, s16, v28
	v_ashrrev_i32_e32 v29, 31, v28
	s_and_b32 s4, s2, s8
	s_delay_alu instid0(SALU_CYCLE_1)
	s_and_saveexec_b32 s3, s4
	s_cbranch_execz .LBB292_55
; %bb.51:
	v_cmp_ne_u32_e32 vcc_lo, 1, v59
	v_lshlrev_b64 v[30:31], 1, v[28:29]
	s_cbranch_vccnz .LBB292_53
; %bb.52:
	s_delay_alu instid0(VALU_DEP_1) | instskip(NEXT) | instid1(VALU_DEP_2)
	v_add_co_u32 v73, vcc_lo, v71, v30
	v_add_co_ci_u32_e32 v74, vcc_lo, v72, v31, vcc_lo
	flat_load_u16 v33, v[73:74]
	s_waitcnt vmcnt(0) lgkmcnt(0)
	v_mul_f16_e32 v33, s19, v33
	s_branch .LBB292_54
.LBB292_53:
	v_mov_b32_e32 v33, 0
.LBB292_54:
	v_pk_max_f16 v35, v20, v20
	v_pk_max_f16 v37, v12, v12
	v_pk_max_f16 v39, v21, v21
	v_pk_max_f16 v41, v13, v13
	v_add_co_u32 v30, vcc_lo, v69, v30
	s_delay_alu instid0(VALU_DEP_4) | instskip(SKIP_1) | instid1(VALU_DEP_4)
	v_pk_min_f16 v35, v37, v35
	v_add_co_ci_u32_e32 v31, vcc_lo, v70, v31, vcc_lo
	v_pk_min_f16 v37, v41, v39
	s_delay_alu instid0(VALU_DEP_3) | instskip(NEXT) | instid1(VALU_DEP_1)
	v_pk_add_f16 v32, v32, v35
	v_pk_add_f16 v32, v32, v37
	s_delay_alu instid0(VALU_DEP_1) | instskip(NEXT) | instid1(VALU_DEP_1)
	v_lshrrev_b32_e32 v35, 16, v32
	v_add_f16_e32 v32, v32, v35
	s_delay_alu instid0(VALU_DEP_1)
	v_add_f16_e32 v32, v32, v33
	global_store_b16 v[30:31], v32, off
.LBB292_55:
	s_or_b32 exec_lo, exec_lo, s3
	v_add_nc_u32_e32 v30, 24, v24
	s_delay_alu instid0(VALU_DEP_1) | instskip(SKIP_1) | instid1(VALU_DEP_2)
	v_cmp_gt_i32_e64 s3, s16, v30
	v_ashrrev_i32_e32 v31, 31, v30
	s_and_b32 s5, s3, s8
	s_delay_alu instid0(SALU_CYCLE_1)
	s_and_saveexec_b32 s4, s5
	s_cbranch_execz .LBB292_60
; %bb.56:
	v_cmp_ne_u32_e32 vcc_lo, 1, v59
	v_lshlrev_b64 v[32:33], 1, v[30:31]
	s_cbranch_vccnz .LBB292_58
; %bb.57:
	s_delay_alu instid0(VALU_DEP_1) | instskip(NEXT) | instid1(VALU_DEP_2)
	v_add_co_u32 v73, vcc_lo, v71, v32
	v_add_co_ci_u32_e32 v74, vcc_lo, v72, v33, vcc_lo
	flat_load_u16 v35, v[73:74]
	s_waitcnt vmcnt(0) lgkmcnt(0)
	v_mul_f16_e32 v35, s19, v35
	s_branch .LBB292_59
.LBB292_58:
	v_mov_b32_e32 v35, 0
.LBB292_59:
	v_pk_max_f16 v37, v20, v20
	v_pk_max_f16 v39, v14, v14
	v_pk_max_f16 v41, v21, v21
	v_pk_max_f16 v73, v15, v15
	v_add_co_u32 v32, vcc_lo, v69, v32
	s_delay_alu instid0(VALU_DEP_4) | instskip(SKIP_1) | instid1(VALU_DEP_4)
	v_pk_min_f16 v37, v39, v37
	v_add_co_ci_u32_e32 v33, vcc_lo, v70, v33, vcc_lo
	v_pk_min_f16 v39, v73, v41
	s_delay_alu instid0(VALU_DEP_3) | instskip(NEXT) | instid1(VALU_DEP_1)
	v_pk_add_f16 v34, v34, v37
	v_pk_add_f16 v34, v34, v39
	s_delay_alu instid0(VALU_DEP_1) | instskip(NEXT) | instid1(VALU_DEP_1)
	v_lshrrev_b32_e32 v37, 16, v34
	v_add_f16_e32 v34, v34, v37
	s_delay_alu instid0(VALU_DEP_1)
	v_add_f16_e32 v34, v34, v35
	global_store_b16 v[32:33], v34, off
.LBB292_60:
	s_or_b32 exec_lo, exec_lo, s4
	v_add_nc_u32_e32 v32, 32, v24
	s_delay_alu instid0(VALU_DEP_1) | instskip(SKIP_1) | instid1(VALU_DEP_2)
	v_cmp_gt_i32_e64 s4, s16, v32
	v_ashrrev_i32_e32 v33, 31, v32
	s_and_b32 s6, s4, s8
	s_delay_alu instid0(SALU_CYCLE_1)
	s_and_saveexec_b32 s5, s6
	s_cbranch_execz .LBB292_65
; %bb.61:
	v_cmp_ne_u32_e32 vcc_lo, 1, v59
	v_lshlrev_b64 v[34:35], 1, v[32:33]
	s_cbranch_vccnz .LBB292_63
; %bb.62:
	s_delay_alu instid0(VALU_DEP_1) | instskip(NEXT) | instid1(VALU_DEP_2)
	v_add_co_u32 v73, vcc_lo, v71, v34
	v_add_co_ci_u32_e32 v74, vcc_lo, v72, v35, vcc_lo
	flat_load_u16 v37, v[73:74]
	s_waitcnt vmcnt(0) lgkmcnt(0)
	v_mul_f16_e32 v37, s19, v37
	s_branch .LBB292_64
.LBB292_63:
	v_mov_b32_e32 v37, 0
.LBB292_64:
	v_pk_max_f16 v39, v20, v20
	v_pk_max_f16 v41, v8, v8
	v_pk_max_f16 v73, v21, v21
	v_pk_max_f16 v74, v9, v9
	v_add_co_u32 v34, vcc_lo, v69, v34
	s_delay_alu instid0(VALU_DEP_4) | instskip(SKIP_1) | instid1(VALU_DEP_4)
	v_pk_min_f16 v39, v41, v39
	v_add_co_ci_u32_e32 v35, vcc_lo, v70, v35, vcc_lo
	v_pk_min_f16 v41, v74, v73
	s_delay_alu instid0(VALU_DEP_3) | instskip(NEXT) | instid1(VALU_DEP_1)
	v_pk_add_f16 v36, v36, v39
	v_pk_add_f16 v36, v36, v41
	s_delay_alu instid0(VALU_DEP_1) | instskip(NEXT) | instid1(VALU_DEP_1)
	v_lshrrev_b32_e32 v39, 16, v36
	v_add_f16_e32 v36, v36, v39
	s_delay_alu instid0(VALU_DEP_1)
	v_add_f16_e32 v36, v36, v37
	global_store_b16 v[34:35], v36, off
.LBB292_65:
	s_or_b32 exec_lo, exec_lo, s5
	v_add_nc_u32_e32 v34, 40, v24
	s_delay_alu instid0(VALU_DEP_1) | instskip(SKIP_1) | instid1(VALU_DEP_2)
	v_cmp_gt_i32_e64 s5, s16, v34
	v_ashrrev_i32_e32 v35, 31, v34
	s_and_b32 s7, s5, s8
	s_delay_alu instid0(SALU_CYCLE_1)
	s_and_saveexec_b32 s6, s7
	s_cbranch_execz .LBB292_70
; %bb.66:
	v_cmp_ne_u32_e32 vcc_lo, 1, v59
	v_lshlrev_b64 v[36:37], 1, v[34:35]
	s_cbranch_vccnz .LBB292_68
; %bb.67:
	s_delay_alu instid0(VALU_DEP_1) | instskip(NEXT) | instid1(VALU_DEP_2)
	v_add_co_u32 v73, vcc_lo, v71, v36
	v_add_co_ci_u32_e32 v74, vcc_lo, v72, v37, vcc_lo
	flat_load_u16 v39, v[73:74]
	s_waitcnt vmcnt(0) lgkmcnt(0)
	v_mul_f16_e32 v39, s19, v39
	s_branch .LBB292_69
.LBB292_68:
	v_mov_b32_e32 v39, 0
.LBB292_69:
	v_pk_max_f16 v41, v20, v20
	v_pk_max_f16 v73, v10, v10
	v_pk_max_f16 v74, v21, v21
	v_pk_max_f16 v75, v11, v11
	v_add_co_u32 v36, vcc_lo, v69, v36
	s_delay_alu instid0(VALU_DEP_4) | instskip(SKIP_1) | instid1(VALU_DEP_4)
	v_pk_min_f16 v41, v73, v41
	v_add_co_ci_u32_e32 v37, vcc_lo, v70, v37, vcc_lo
	v_pk_min_f16 v73, v75, v74
	s_delay_alu instid0(VALU_DEP_3) | instskip(NEXT) | instid1(VALU_DEP_1)
	v_pk_add_f16 v38, v38, v41
	v_pk_add_f16 v38, v38, v73
	s_delay_alu instid0(VALU_DEP_1) | instskip(NEXT) | instid1(VALU_DEP_1)
	v_lshrrev_b32_e32 v41, 16, v38
	v_add_f16_e32 v38, v38, v41
	s_delay_alu instid0(VALU_DEP_1)
	v_add_f16_e32 v38, v38, v39
	global_store_b16 v[36:37], v38, off
.LBB292_70:
	s_or_b32 exec_lo, exec_lo, s6
	v_add_nc_u32_e32 v36, 48, v24
	s_delay_alu instid0(VALU_DEP_1) | instskip(SKIP_1) | instid1(VALU_DEP_2)
	v_cmp_gt_i32_e64 s6, s16, v36
	v_ashrrev_i32_e32 v37, 31, v36
	s_and_b32 s15, s6, s8
	s_delay_alu instid0(SALU_CYCLE_1)
	s_and_saveexec_b32 s7, s15
	s_cbranch_execz .LBB292_75
; %bb.71:
	v_cmp_ne_u32_e32 vcc_lo, 1, v59
	v_lshlrev_b64 v[38:39], 1, v[36:37]
	s_cbranch_vccnz .LBB292_73
; %bb.72:
	s_delay_alu instid0(VALU_DEP_1) | instskip(NEXT) | instid1(VALU_DEP_2)
	v_add_co_u32 v73, vcc_lo, v71, v38
	v_add_co_ci_u32_e32 v74, vcc_lo, v72, v39, vcc_lo
	flat_load_u16 v41, v[73:74]
	s_waitcnt vmcnt(0) lgkmcnt(0)
	v_mul_f16_e32 v41, s19, v41
	s_branch .LBB292_74
.LBB292_73:
	v_mov_b32_e32 v41, 0
.LBB292_74:
	v_pk_max_f16 v73, v20, v20
	v_pk_max_f16 v74, v4, v4
	v_pk_max_f16 v75, v21, v21
	v_pk_max_f16 v76, v5, v5
	v_add_co_u32 v38, vcc_lo, v69, v38
	s_delay_alu instid0(VALU_DEP_4) | instskip(SKIP_1) | instid1(VALU_DEP_4)
	v_pk_min_f16 v73, v74, v73
	v_add_co_ci_u32_e32 v39, vcc_lo, v70, v39, vcc_lo
	v_pk_min_f16 v74, v76, v75
	s_delay_alu instid0(VALU_DEP_3) | instskip(NEXT) | instid1(VALU_DEP_1)
	v_pk_add_f16 v40, v40, v73
	v_pk_add_f16 v40, v40, v74
	s_delay_alu instid0(VALU_DEP_1) | instskip(NEXT) | instid1(VALU_DEP_1)
	v_lshrrev_b32_e32 v73, 16, v40
	v_add_f16_e32 v40, v40, v73
	s_delay_alu instid0(VALU_DEP_1)
	v_add_f16_e32 v40, v40, v41
	global_store_b16 v[38:39], v40, off
.LBB292_75:
	s_or_b32 exec_lo, exec_lo, s7
	v_add_nc_u32_e32 v38, 56, v24
	s_delay_alu instid0(VALU_DEP_1) | instskip(SKIP_1) | instid1(VALU_DEP_2)
	v_cmp_gt_i32_e64 s7, s16, v38
	v_ashrrev_i32_e32 v39, 31, v38
	s_and_b32 s15, s7, s8
	s_delay_alu instid0(SALU_CYCLE_1)
	s_and_saveexec_b32 s8, s15
	s_cbranch_execz .LBB292_80
; %bb.76:
	v_cmp_ne_u32_e32 vcc_lo, 1, v59
	v_lshlrev_b64 v[40:41], 1, v[38:39]
	s_cbranch_vccnz .LBB292_78
; %bb.77:
	s_delay_alu instid0(VALU_DEP_1) | instskip(NEXT) | instid1(VALU_DEP_2)
	v_add_co_u32 v71, vcc_lo, v71, v40
	v_add_co_ci_u32_e32 v72, vcc_lo, v72, v41, vcc_lo
	flat_load_u16 v71, v[71:72]
	s_waitcnt vmcnt(0) lgkmcnt(0)
	v_mul_f16_e32 v71, s19, v71
	s_branch .LBB292_79
.LBB292_78:
	v_mov_b32_e32 v71, 0
.LBB292_79:
	v_pk_max_f16 v20, v20, v20
	v_pk_max_f16 v72, v6, v6
	;; [unrolled: 1-line block ×4, first 2 shown]
	s_delay_alu instid0(VALU_DEP_3) | instskip(NEXT) | instid1(VALU_DEP_2)
	v_pk_min_f16 v20, v72, v20
	v_pk_min_f16 v21, v73, v21
	s_delay_alu instid0(VALU_DEP_2) | instskip(NEXT) | instid1(VALU_DEP_1)
	v_pk_add_f16 v20, v68, v20
	v_pk_add_f16 v20, v20, v21
	s_delay_alu instid0(VALU_DEP_1) | instskip(NEXT) | instid1(VALU_DEP_1)
	v_lshrrev_b32_e32 v21, 16, v20
	v_add_f16_e32 v20, v20, v21
	s_delay_alu instid0(VALU_DEP_1)
	v_add_f16_e32 v68, v20, v71
	v_add_co_u32 v20, vcc_lo, v69, v40
	v_add_co_ci_u32_e32 v21, vcc_lo, v70, v41, vcc_lo
	global_store_b16 v[20:21], v68, off
.LBB292_80:
	s_or_b32 exec_lo, exec_lo, s8
	v_add_nc_u32_e32 v68, 32, v66
	s_delay_alu instid0(VALU_DEP_1) | instskip(SKIP_2) | instid1(VALU_DEP_3)
	v_mad_i64_i32 v[20:21], null, v68, s12, 0
	v_mad_i64_i32 v[40:41], null, v68, s9, 0
	v_cmp_gt_i32_e64 s8, s17, v68
	v_lshlrev_b64 v[20:21], 1, v[20:21]
	s_delay_alu instid0(VALU_DEP_2) | instskip(NEXT) | instid1(VALU_DEP_3)
	s_and_b32 s16, s0, s8
	v_lshlrev_b64 v[40:41], 1, v[40:41]
	s_delay_alu instid0(VALU_DEP_2) | instskip(NEXT) | instid1(VALU_DEP_3)
	v_add_co_u32 v68, vcc_lo, s10, v20
	v_add_co_ci_u32_e32 v69, vcc_lo, s11, v21, vcc_lo
	s_delay_alu instid0(VALU_DEP_3) | instskip(NEXT) | instid1(VALU_DEP_4)
	v_add_co_u32 v40, vcc_lo, s13, v40
	v_add_co_ci_u32_e32 v41, vcc_lo, s14, v41, vcc_lo
	s_and_saveexec_b32 s15, s16
	s_cbranch_execnz .LBB292_88
; %bb.81:
	s_or_b32 exec_lo, exec_lo, s15
	s_and_b32 s16, s1, s8
	s_delay_alu instid0(SALU_CYCLE_1)
	s_and_saveexec_b32 s15, s16
	s_cbranch_execnz .LBB292_92
.LBB292_82:
	s_or_b32 exec_lo, exec_lo, s15
	s_and_b32 s16, s2, s8
	s_delay_alu instid0(SALU_CYCLE_1)
	s_and_saveexec_b32 s15, s16
	s_cbranch_execnz .LBB292_96
.LBB292_83:
	s_or_b32 exec_lo, exec_lo, s15
	s_and_b32 s16, s3, s8
	s_delay_alu instid0(SALU_CYCLE_1)
	s_and_saveexec_b32 s15, s16
	s_cbranch_execnz .LBB292_100
.LBB292_84:
	s_or_b32 exec_lo, exec_lo, s15
	s_and_b32 s16, s4, s8
	s_delay_alu instid0(SALU_CYCLE_1)
	s_and_saveexec_b32 s15, s16
	s_cbranch_execnz .LBB292_104
.LBB292_85:
	s_or_b32 exec_lo, exec_lo, s15
	s_and_b32 s16, s5, s8
	s_delay_alu instid0(SALU_CYCLE_1)
	s_and_saveexec_b32 s15, s16
	s_cbranch_execnz .LBB292_108
.LBB292_86:
	s_or_b32 exec_lo, exec_lo, s15
	s_and_b32 s16, s6, s8
	s_delay_alu instid0(SALU_CYCLE_1)
	s_and_saveexec_b32 s15, s16
	s_cbranch_execnz .LBB292_112
.LBB292_87:
	s_or_b32 exec_lo, exec_lo, s15
	s_and_b32 s15, s7, s8
	s_delay_alu instid0(SALU_CYCLE_1)
	s_and_saveexec_b32 s8, s15
	s_cbranch_execnz .LBB292_116
	s_branch .LBB292_120
.LBB292_88:
	v_cmp_ne_u32_e32 vcc_lo, 1, v59
	v_lshlrev_b64 v[20:21], 1, v[24:25]
	s_cbranch_vccnz .LBB292_90
; %bb.89:
	s_delay_alu instid0(VALU_DEP_1) | instskip(NEXT) | instid1(VALU_DEP_2)
	v_add_co_u32 v70, vcc_lo, v68, v20
	v_add_co_ci_u32_e32 v71, vcc_lo, v69, v21, vcc_lo
	flat_load_u16 v70, v[70:71]
	s_waitcnt vmcnt(0) lgkmcnt(0)
	v_mul_f16_e32 v70, s19, v70
	s_branch .LBB292_91
.LBB292_90:
	v_mov_b32_e32 v70, 0
.LBB292_91:
	v_pk_max_f16 v71, v22, v22
	v_pk_max_f16 v72, v16, v16
	;; [unrolled: 1-line block ×4, first 2 shown]
	v_add_co_u32 v20, vcc_lo, v40, v20
	s_delay_alu instid0(VALU_DEP_4) | instskip(SKIP_1) | instid1(VALU_DEP_4)
	v_pk_min_f16 v71, v72, v71
	v_add_co_ci_u32_e32 v21, vcc_lo, v41, v21, vcc_lo
	v_pk_min_f16 v72, v74, v73
	s_delay_alu instid0(VALU_DEP_3) | instskip(NEXT) | instid1(VALU_DEP_1)
	v_pk_add_f16 v67, v67, v71
	v_pk_add_f16 v67, v67, v72
	s_delay_alu instid0(VALU_DEP_1) | instskip(NEXT) | instid1(VALU_DEP_1)
	v_lshrrev_b32_e32 v71, 16, v67
	v_add_f16_e32 v67, v67, v71
	s_delay_alu instid0(VALU_DEP_1) | instskip(SKIP_3) | instid1(SALU_CYCLE_1)
	v_add_f16_e32 v67, v67, v70
	global_store_b16 v[20:21], v67, off
	s_or_b32 exec_lo, exec_lo, s15
	s_and_b32 s16, s1, s8
	s_and_saveexec_b32 s15, s16
	s_cbranch_execz .LBB292_82
.LBB292_92:
	v_cmp_ne_u32_e32 vcc_lo, 1, v59
	v_lshlrev_b64 v[20:21], 1, v[26:27]
	s_cbranch_vccnz .LBB292_94
; %bb.93:
	s_delay_alu instid0(VALU_DEP_1) | instskip(NEXT) | instid1(VALU_DEP_2)
	v_add_co_u32 v70, vcc_lo, v68, v20
	v_add_co_ci_u32_e32 v71, vcc_lo, v69, v21, vcc_lo
	flat_load_u16 v67, v[70:71]
	s_waitcnt vmcnt(0) lgkmcnt(0)
	v_mul_f16_e32 v67, s19, v67
	s_branch .LBB292_95
.LBB292_94:
	v_mov_b32_e32 v67, 0
.LBB292_95:
	v_pk_max_f16 v70, v22, v22
	v_pk_max_f16 v71, v18, v18
	;; [unrolled: 1-line block ×4, first 2 shown]
	v_add_co_u32 v20, vcc_lo, v40, v20
	s_delay_alu instid0(VALU_DEP_4) | instskip(SKIP_1) | instid1(VALU_DEP_4)
	v_pk_min_f16 v70, v71, v70
	v_add_co_ci_u32_e32 v21, vcc_lo, v41, v21, vcc_lo
	v_pk_min_f16 v71, v73, v72
	s_delay_alu instid0(VALU_DEP_3) | instskip(NEXT) | instid1(VALU_DEP_1)
	v_pk_add_f16 v65, v65, v70
	v_pk_add_f16 v65, v65, v71
	s_delay_alu instid0(VALU_DEP_1) | instskip(NEXT) | instid1(VALU_DEP_1)
	v_lshrrev_b32_e32 v70, 16, v65
	v_add_f16_e32 v65, v65, v70
	s_delay_alu instid0(VALU_DEP_1) | instskip(SKIP_3) | instid1(SALU_CYCLE_1)
	v_add_f16_e32 v65, v65, v67
	global_store_b16 v[20:21], v65, off
	s_or_b32 exec_lo, exec_lo, s15
	s_and_b32 s16, s2, s8
	s_and_saveexec_b32 s15, s16
	s_cbranch_execz .LBB292_83
.LBB292_96:
	v_cmp_ne_u32_e32 vcc_lo, 1, v59
	v_lshlrev_b64 v[20:21], 1, v[28:29]
	s_cbranch_vccnz .LBB292_98
; %bb.97:
	s_delay_alu instid0(VALU_DEP_1) | instskip(NEXT) | instid1(VALU_DEP_2)
	v_add_co_u32 v70, vcc_lo, v68, v20
	v_add_co_ci_u32_e32 v71, vcc_lo, v69, v21, vcc_lo
	flat_load_u16 v65, v[70:71]
	s_waitcnt vmcnt(0) lgkmcnt(0)
	v_mul_f16_e32 v65, s19, v65
	s_branch .LBB292_99
.LBB292_98:
	v_mov_b32_e32 v65, 0
.LBB292_99:
	v_pk_max_f16 v67, v22, v22
	v_pk_max_f16 v70, v12, v12
	;; [unrolled: 1-line block ×4, first 2 shown]
	v_add_co_u32 v20, vcc_lo, v40, v20
	s_delay_alu instid0(VALU_DEP_4) | instskip(SKIP_1) | instid1(VALU_DEP_4)
	v_pk_min_f16 v67, v70, v67
	v_add_co_ci_u32_e32 v21, vcc_lo, v41, v21, vcc_lo
	v_pk_min_f16 v70, v72, v71
	s_delay_alu instid0(VALU_DEP_3) | instskip(NEXT) | instid1(VALU_DEP_1)
	v_pk_add_f16 v64, v64, v67
	v_pk_add_f16 v64, v64, v70
	s_delay_alu instid0(VALU_DEP_1) | instskip(NEXT) | instid1(VALU_DEP_1)
	v_lshrrev_b32_e32 v67, 16, v64
	v_add_f16_e32 v64, v64, v67
	s_delay_alu instid0(VALU_DEP_1) | instskip(SKIP_3) | instid1(SALU_CYCLE_1)
	v_add_f16_e32 v64, v64, v65
	global_store_b16 v[20:21], v64, off
	s_or_b32 exec_lo, exec_lo, s15
	s_and_b32 s16, s3, s8
	s_and_saveexec_b32 s15, s16
	s_cbranch_execz .LBB292_84
.LBB292_100:
	v_cmp_ne_u32_e32 vcc_lo, 1, v59
	v_lshlrev_b64 v[20:21], 1, v[30:31]
	s_cbranch_vccnz .LBB292_102
; %bb.101:
	s_delay_alu instid0(VALU_DEP_1) | instskip(NEXT) | instid1(VALU_DEP_2)
	v_add_co_u32 v64, vcc_lo, v68, v20
	v_add_co_ci_u32_e32 v65, vcc_lo, v69, v21, vcc_lo
	flat_load_u16 v64, v[64:65]
	s_waitcnt vmcnt(0) lgkmcnt(0)
	v_mul_f16_e32 v64, s19, v64
	s_branch .LBB292_103
.LBB292_102:
	v_mov_b32_e32 v64, 0
.LBB292_103:
	v_pk_max_f16 v65, v22, v22
	v_pk_max_f16 v67, v14, v14
	;; [unrolled: 1-line block ×4, first 2 shown]
	v_add_co_u32 v20, vcc_lo, v40, v20
	s_delay_alu instid0(VALU_DEP_4) | instskip(SKIP_1) | instid1(VALU_DEP_4)
	v_pk_min_f16 v65, v67, v65
	v_add_co_ci_u32_e32 v21, vcc_lo, v41, v21, vcc_lo
	v_pk_min_f16 v67, v71, v70
	s_delay_alu instid0(VALU_DEP_3) | instskip(NEXT) | instid1(VALU_DEP_1)
	v_pk_add_f16 v63, v63, v65
	v_pk_add_f16 v63, v63, v67
	s_delay_alu instid0(VALU_DEP_1) | instskip(NEXT) | instid1(VALU_DEP_1)
	v_lshrrev_b32_e32 v65, 16, v63
	v_add_f16_e32 v63, v63, v65
	s_delay_alu instid0(VALU_DEP_1) | instskip(SKIP_3) | instid1(SALU_CYCLE_1)
	v_add_f16_e32 v63, v63, v64
	global_store_b16 v[20:21], v63, off
	s_or_b32 exec_lo, exec_lo, s15
	s_and_b32 s16, s4, s8
	s_and_saveexec_b32 s15, s16
	s_cbranch_execz .LBB292_85
.LBB292_104:
	v_cmp_ne_u32_e32 vcc_lo, 1, v59
	v_lshlrev_b64 v[20:21], 1, v[32:33]
	s_cbranch_vccnz .LBB292_106
; %bb.105:
	s_delay_alu instid0(VALU_DEP_1) | instskip(NEXT) | instid1(VALU_DEP_2)
	v_add_co_u32 v63, vcc_lo, v68, v20
	v_add_co_ci_u32_e32 v64, vcc_lo, v69, v21, vcc_lo
	flat_load_u16 v63, v[63:64]
	s_waitcnt vmcnt(0) lgkmcnt(0)
	v_mul_f16_e32 v63, s19, v63
	s_branch .LBB292_107
.LBB292_106:
	v_mov_b32_e32 v63, 0
.LBB292_107:
	v_pk_max_f16 v64, v22, v22
	v_pk_max_f16 v65, v8, v8
	;; [unrolled: 1-line block ×4, first 2 shown]
	v_add_co_u32 v20, vcc_lo, v40, v20
	s_delay_alu instid0(VALU_DEP_4) | instskip(SKIP_1) | instid1(VALU_DEP_4)
	v_pk_min_f16 v64, v65, v64
	v_add_co_ci_u32_e32 v21, vcc_lo, v41, v21, vcc_lo
	v_pk_min_f16 v65, v70, v67
	s_delay_alu instid0(VALU_DEP_3) | instskip(NEXT) | instid1(VALU_DEP_1)
	v_pk_add_f16 v62, v62, v64
	v_pk_add_f16 v62, v62, v65
	s_delay_alu instid0(VALU_DEP_1) | instskip(NEXT) | instid1(VALU_DEP_1)
	v_lshrrev_b32_e32 v64, 16, v62
	v_add_f16_e32 v62, v62, v64
	s_delay_alu instid0(VALU_DEP_1) | instskip(SKIP_3) | instid1(SALU_CYCLE_1)
	v_add_f16_e32 v62, v62, v63
	global_store_b16 v[20:21], v62, off
	s_or_b32 exec_lo, exec_lo, s15
	s_and_b32 s16, s5, s8
	s_and_saveexec_b32 s15, s16
	s_cbranch_execz .LBB292_86
.LBB292_108:
	v_cmp_ne_u32_e32 vcc_lo, 1, v59
	v_lshlrev_b64 v[20:21], 1, v[34:35]
	s_cbranch_vccnz .LBB292_110
; %bb.109:
	s_delay_alu instid0(VALU_DEP_1) | instskip(NEXT) | instid1(VALU_DEP_2)
	v_add_co_u32 v62, vcc_lo, v68, v20
	v_add_co_ci_u32_e32 v63, vcc_lo, v69, v21, vcc_lo
	flat_load_u16 v62, v[62:63]
	s_waitcnt vmcnt(0) lgkmcnt(0)
	v_mul_f16_e32 v62, s19, v62
	s_branch .LBB292_111
.LBB292_110:
	v_mov_b32_e32 v62, 0
.LBB292_111:
	v_pk_max_f16 v63, v22, v22
	v_pk_max_f16 v64, v10, v10
	v_pk_max_f16 v65, v23, v23
	v_pk_max_f16 v67, v11, v11
	v_add_co_u32 v20, vcc_lo, v40, v20
	s_delay_alu instid0(VALU_DEP_4) | instskip(SKIP_1) | instid1(VALU_DEP_4)
	v_pk_min_f16 v63, v64, v63
	v_add_co_ci_u32_e32 v21, vcc_lo, v41, v21, vcc_lo
	v_pk_min_f16 v64, v67, v65
	s_delay_alu instid0(VALU_DEP_3) | instskip(NEXT) | instid1(VALU_DEP_1)
	v_pk_add_f16 v61, v61, v63
	v_pk_add_f16 v61, v61, v64
	s_delay_alu instid0(VALU_DEP_1) | instskip(NEXT) | instid1(VALU_DEP_1)
	v_lshrrev_b32_e32 v63, 16, v61
	v_add_f16_e32 v61, v61, v63
	s_delay_alu instid0(VALU_DEP_1) | instskip(SKIP_3) | instid1(SALU_CYCLE_1)
	v_add_f16_e32 v61, v61, v62
	global_store_b16 v[20:21], v61, off
	s_or_b32 exec_lo, exec_lo, s15
	s_and_b32 s16, s6, s8
	s_and_saveexec_b32 s15, s16
	s_cbranch_execz .LBB292_87
.LBB292_112:
	v_cmp_ne_u32_e32 vcc_lo, 1, v59
	v_lshlrev_b64 v[20:21], 1, v[36:37]
	s_cbranch_vccnz .LBB292_114
; %bb.113:
	s_delay_alu instid0(VALU_DEP_1) | instskip(NEXT) | instid1(VALU_DEP_2)
	v_add_co_u32 v61, vcc_lo, v68, v20
	v_add_co_ci_u32_e32 v62, vcc_lo, v69, v21, vcc_lo
	flat_load_u16 v61, v[61:62]
	s_waitcnt vmcnt(0) lgkmcnt(0)
	v_mul_f16_e32 v61, s19, v61
	s_branch .LBB292_115
.LBB292_114:
	v_mov_b32_e32 v61, 0
.LBB292_115:
	v_pk_max_f16 v62, v22, v22
	v_pk_max_f16 v63, v4, v4
	;; [unrolled: 1-line block ×4, first 2 shown]
	v_add_co_u32 v20, vcc_lo, v40, v20
	s_delay_alu instid0(VALU_DEP_4) | instskip(SKIP_1) | instid1(VALU_DEP_4)
	v_pk_min_f16 v62, v63, v62
	v_add_co_ci_u32_e32 v21, vcc_lo, v41, v21, vcc_lo
	v_pk_min_f16 v63, v65, v64
	s_delay_alu instid0(VALU_DEP_3) | instskip(NEXT) | instid1(VALU_DEP_1)
	v_pk_add_f16 v60, v60, v62
	v_pk_add_f16 v60, v60, v63
	s_delay_alu instid0(VALU_DEP_1) | instskip(NEXT) | instid1(VALU_DEP_1)
	v_lshrrev_b32_e32 v62, 16, v60
	v_add_f16_e32 v60, v60, v62
	s_delay_alu instid0(VALU_DEP_1) | instskip(SKIP_3) | instid1(SALU_CYCLE_1)
	v_add_f16_e32 v60, v60, v61
	global_store_b16 v[20:21], v60, off
	s_or_b32 exec_lo, exec_lo, s15
	s_and_b32 s15, s7, s8
	s_and_saveexec_b32 s8, s15
	s_cbranch_execz .LBB292_120
.LBB292_116:
	v_cmp_ne_u32_e32 vcc_lo, 1, v59
	v_lshlrev_b64 v[20:21], 1, v[38:39]
	s_cbranch_vccnz .LBB292_118
; %bb.117:
	s_delay_alu instid0(VALU_DEP_1) | instskip(NEXT) | instid1(VALU_DEP_2)
	v_add_co_u32 v60, vcc_lo, v68, v20
	v_add_co_ci_u32_e32 v61, vcc_lo, v69, v21, vcc_lo
	flat_load_u16 v60, v[60:61]
	s_waitcnt vmcnt(0) lgkmcnt(0)
	v_mul_f16_e32 v60, s19, v60
	s_branch .LBB292_119
.LBB292_118:
	v_mov_b32_e32 v60, 0
.LBB292_119:
	v_pk_max_f16 v22, v22, v22
	v_pk_max_f16 v61, v6, v6
	;; [unrolled: 1-line block ×4, first 2 shown]
	v_add_co_u32 v20, vcc_lo, v40, v20
	s_delay_alu instid0(VALU_DEP_4) | instskip(SKIP_1) | instid1(VALU_DEP_4)
	v_pk_min_f16 v22, v61, v22
	v_add_co_ci_u32_e32 v21, vcc_lo, v41, v21, vcc_lo
	v_pk_min_f16 v23, v62, v23
	s_delay_alu instid0(VALU_DEP_3) | instskip(NEXT) | instid1(VALU_DEP_1)
	v_pk_add_f16 v22, v58, v22
	v_pk_add_f16 v22, v22, v23
	s_delay_alu instid0(VALU_DEP_1) | instskip(NEXT) | instid1(VALU_DEP_1)
	v_lshrrev_b32_e32 v23, 16, v22
	v_add_f16_e32 v22, v22, v23
	s_delay_alu instid0(VALU_DEP_1)
	v_add_f16_e32 v22, v22, v60
	global_store_b16 v[20:21], v22, off
.LBB292_120:
	s_or_b32 exec_lo, exec_lo, s8
	v_add_nc_u32_e32 v40, 64, v66
	s_delay_alu instid0(VALU_DEP_1) | instskip(SKIP_2) | instid1(VALU_DEP_3)
	v_mad_i64_i32 v[20:21], null, v40, s12, 0
	v_mad_i64_i32 v[22:23], null, v40, s9, 0
	v_cmp_gt_i32_e64 s8, s17, v40
	v_lshlrev_b64 v[20:21], 1, v[20:21]
	s_delay_alu instid0(VALU_DEP_2) | instskip(NEXT) | instid1(VALU_DEP_3)
	s_and_b32 s16, s0, s8
	v_lshlrev_b64 v[22:23], 1, v[22:23]
	s_delay_alu instid0(VALU_DEP_2) | instskip(NEXT) | instid1(VALU_DEP_3)
	v_add_co_u32 v40, vcc_lo, s10, v20
	v_add_co_ci_u32_e32 v41, vcc_lo, s11, v21, vcc_lo
	s_delay_alu instid0(VALU_DEP_3) | instskip(NEXT) | instid1(VALU_DEP_4)
	v_add_co_u32 v22, vcc_lo, s13, v22
	v_add_co_ci_u32_e32 v23, vcc_lo, s14, v23, vcc_lo
	s_and_saveexec_b32 s15, s16
	s_cbranch_execnz .LBB292_128
; %bb.121:
	s_or_b32 exec_lo, exec_lo, s15
	s_and_b32 s16, s1, s8
	s_delay_alu instid0(SALU_CYCLE_1)
	s_and_saveexec_b32 s15, s16
	s_cbranch_execnz .LBB292_132
.LBB292_122:
	s_or_b32 exec_lo, exec_lo, s15
	s_and_b32 s16, s2, s8
	s_delay_alu instid0(SALU_CYCLE_1)
	s_and_saveexec_b32 s15, s16
	s_cbranch_execnz .LBB292_136
.LBB292_123:
	s_or_b32 exec_lo, exec_lo, s15
	s_and_b32 s16, s3, s8
	s_delay_alu instid0(SALU_CYCLE_1)
	s_and_saveexec_b32 s15, s16
	s_cbranch_execnz .LBB292_140
.LBB292_124:
	s_or_b32 exec_lo, exec_lo, s15
	s_and_b32 s16, s4, s8
	s_delay_alu instid0(SALU_CYCLE_1)
	s_and_saveexec_b32 s15, s16
	s_cbranch_execnz .LBB292_144
.LBB292_125:
	s_or_b32 exec_lo, exec_lo, s15
	s_and_b32 s16, s5, s8
	s_delay_alu instid0(SALU_CYCLE_1)
	s_and_saveexec_b32 s15, s16
	s_cbranch_execnz .LBB292_148
.LBB292_126:
	s_or_b32 exec_lo, exec_lo, s15
	s_and_b32 s16, s6, s8
	s_delay_alu instid0(SALU_CYCLE_1)
	s_and_saveexec_b32 s15, s16
	s_cbranch_execnz .LBB292_152
.LBB292_127:
	s_or_b32 exec_lo, exec_lo, s15
	s_and_b32 s15, s7, s8
	s_delay_alu instid0(SALU_CYCLE_1)
	s_and_saveexec_b32 s8, s15
	s_cbranch_execnz .LBB292_156
	s_branch .LBB292_160
.LBB292_128:
	v_cmp_ne_u32_e32 vcc_lo, 1, v59
	v_lshlrev_b64 v[20:21], 1, v[24:25]
	s_cbranch_vccnz .LBB292_130
; %bb.129:
	s_delay_alu instid0(VALU_DEP_1) | instskip(NEXT) | instid1(VALU_DEP_2)
	v_add_co_u32 v60, vcc_lo, v40, v20
	v_add_co_ci_u32_e32 v61, vcc_lo, v41, v21, vcc_lo
	flat_load_u16 v58, v[60:61]
	s_waitcnt vmcnt(0) lgkmcnt(0)
	v_mul_f16_e32 v58, s19, v58
	s_branch .LBB292_131
.LBB292_130:
	v_mov_b32_e32 v58, 0
.LBB292_131:
	v_pk_max_f16 v60, v0, v0
	v_pk_max_f16 v61, v16, v16
	;; [unrolled: 1-line block ×4, first 2 shown]
	v_add_co_u32 v20, vcc_lo, v22, v20
	s_delay_alu instid0(VALU_DEP_4) | instskip(SKIP_1) | instid1(VALU_DEP_4)
	v_pk_min_f16 v60, v61, v60
	v_add_co_ci_u32_e32 v21, vcc_lo, v23, v21, vcc_lo
	v_pk_min_f16 v61, v63, v62
	s_delay_alu instid0(VALU_DEP_3) | instskip(NEXT) | instid1(VALU_DEP_1)
	v_pk_add_f16 v57, v57, v60
	v_pk_add_f16 v57, v57, v61
	s_delay_alu instid0(VALU_DEP_1) | instskip(NEXT) | instid1(VALU_DEP_1)
	v_lshrrev_b32_e32 v60, 16, v57
	v_add_f16_e32 v57, v57, v60
	s_delay_alu instid0(VALU_DEP_1) | instskip(SKIP_3) | instid1(SALU_CYCLE_1)
	v_add_f16_e32 v57, v57, v58
	global_store_b16 v[20:21], v57, off
	s_or_b32 exec_lo, exec_lo, s15
	s_and_b32 s16, s1, s8
	s_and_saveexec_b32 s15, s16
	s_cbranch_execz .LBB292_122
.LBB292_132:
	v_cmp_ne_u32_e32 vcc_lo, 1, v59
	v_lshlrev_b64 v[20:21], 1, v[26:27]
	s_cbranch_vccnz .LBB292_134
; %bb.133:
	s_delay_alu instid0(VALU_DEP_1) | instskip(NEXT) | instid1(VALU_DEP_2)
	v_add_co_u32 v57, vcc_lo, v40, v20
	v_add_co_ci_u32_e32 v58, vcc_lo, v41, v21, vcc_lo
	flat_load_u16 v57, v[57:58]
	s_waitcnt vmcnt(0) lgkmcnt(0)
	v_mul_f16_e32 v57, s19, v57
	s_branch .LBB292_135
.LBB292_134:
	v_mov_b32_e32 v57, 0
.LBB292_135:
	v_pk_max_f16 v58, v0, v0
	v_pk_max_f16 v60, v18, v18
	;; [unrolled: 1-line block ×4, first 2 shown]
	v_add_co_u32 v20, vcc_lo, v22, v20
	s_delay_alu instid0(VALU_DEP_4) | instskip(SKIP_1) | instid1(VALU_DEP_4)
	v_pk_min_f16 v58, v60, v58
	v_add_co_ci_u32_e32 v21, vcc_lo, v23, v21, vcc_lo
	v_pk_min_f16 v60, v62, v61
	s_delay_alu instid0(VALU_DEP_3) | instskip(NEXT) | instid1(VALU_DEP_1)
	v_pk_add_f16 v56, v56, v58
	v_pk_add_f16 v56, v56, v60
	s_delay_alu instid0(VALU_DEP_1) | instskip(NEXT) | instid1(VALU_DEP_1)
	v_lshrrev_b32_e32 v58, 16, v56
	v_add_f16_e32 v56, v56, v58
	s_delay_alu instid0(VALU_DEP_1) | instskip(SKIP_3) | instid1(SALU_CYCLE_1)
	v_add_f16_e32 v56, v56, v57
	global_store_b16 v[20:21], v56, off
	s_or_b32 exec_lo, exec_lo, s15
	s_and_b32 s16, s2, s8
	s_and_saveexec_b32 s15, s16
	s_cbranch_execz .LBB292_123
.LBB292_136:
	v_cmp_ne_u32_e32 vcc_lo, 1, v59
	v_lshlrev_b64 v[20:21], 1, v[28:29]
	s_cbranch_vccnz .LBB292_138
; %bb.137:
	s_delay_alu instid0(VALU_DEP_1) | instskip(NEXT) | instid1(VALU_DEP_2)
	v_add_co_u32 v56, vcc_lo, v40, v20
	v_add_co_ci_u32_e32 v57, vcc_lo, v41, v21, vcc_lo
	flat_load_u16 v56, v[56:57]
	s_waitcnt vmcnt(0) lgkmcnt(0)
	v_mul_f16_e32 v56, s19, v56
	s_branch .LBB292_139
.LBB292_138:
	v_mov_b32_e32 v56, 0
.LBB292_139:
	v_pk_max_f16 v57, v0, v0
	v_pk_max_f16 v58, v12, v12
	;; [unrolled: 1-line block ×4, first 2 shown]
	v_add_co_u32 v20, vcc_lo, v22, v20
	s_delay_alu instid0(VALU_DEP_4) | instskip(SKIP_1) | instid1(VALU_DEP_4)
	v_pk_min_f16 v57, v58, v57
	v_add_co_ci_u32_e32 v21, vcc_lo, v23, v21, vcc_lo
	v_pk_min_f16 v58, v61, v60
	s_delay_alu instid0(VALU_DEP_3) | instskip(NEXT) | instid1(VALU_DEP_1)
	v_pk_add_f16 v55, v55, v57
	v_pk_add_f16 v55, v55, v58
	s_delay_alu instid0(VALU_DEP_1) | instskip(NEXT) | instid1(VALU_DEP_1)
	v_lshrrev_b32_e32 v57, 16, v55
	v_add_f16_e32 v55, v55, v57
	s_delay_alu instid0(VALU_DEP_1) | instskip(SKIP_3) | instid1(SALU_CYCLE_1)
	v_add_f16_e32 v55, v55, v56
	global_store_b16 v[20:21], v55, off
	s_or_b32 exec_lo, exec_lo, s15
	s_and_b32 s16, s3, s8
	s_and_saveexec_b32 s15, s16
	s_cbranch_execz .LBB292_124
.LBB292_140:
	v_cmp_ne_u32_e32 vcc_lo, 1, v59
	v_lshlrev_b64 v[20:21], 1, v[30:31]
	s_cbranch_vccnz .LBB292_142
; %bb.141:
	s_delay_alu instid0(VALU_DEP_1) | instskip(NEXT) | instid1(VALU_DEP_2)
	v_add_co_u32 v55, vcc_lo, v40, v20
	v_add_co_ci_u32_e32 v56, vcc_lo, v41, v21, vcc_lo
	flat_load_u16 v55, v[55:56]
	s_waitcnt vmcnt(0) lgkmcnt(0)
	v_mul_f16_e32 v55, s19, v55
	s_branch .LBB292_143
.LBB292_142:
	v_mov_b32_e32 v55, 0
.LBB292_143:
	v_pk_max_f16 v56, v0, v0
	v_pk_max_f16 v57, v14, v14
	;; [unrolled: 1-line block ×4, first 2 shown]
	v_add_co_u32 v20, vcc_lo, v22, v20
	s_delay_alu instid0(VALU_DEP_4) | instskip(SKIP_1) | instid1(VALU_DEP_4)
	v_pk_min_f16 v56, v57, v56
	v_add_co_ci_u32_e32 v21, vcc_lo, v23, v21, vcc_lo
	v_pk_min_f16 v57, v60, v58
	s_delay_alu instid0(VALU_DEP_3) | instskip(NEXT) | instid1(VALU_DEP_1)
	v_pk_add_f16 v54, v54, v56
	v_pk_add_f16 v54, v54, v57
	s_delay_alu instid0(VALU_DEP_1) | instskip(NEXT) | instid1(VALU_DEP_1)
	v_lshrrev_b32_e32 v56, 16, v54
	v_add_f16_e32 v54, v54, v56
	s_delay_alu instid0(VALU_DEP_1) | instskip(SKIP_3) | instid1(SALU_CYCLE_1)
	v_add_f16_e32 v54, v54, v55
	global_store_b16 v[20:21], v54, off
	s_or_b32 exec_lo, exec_lo, s15
	s_and_b32 s16, s4, s8
	s_and_saveexec_b32 s15, s16
	s_cbranch_execz .LBB292_125
.LBB292_144:
	v_cmp_ne_u32_e32 vcc_lo, 1, v59
	v_lshlrev_b64 v[20:21], 1, v[32:33]
	s_cbranch_vccnz .LBB292_146
; %bb.145:
	s_delay_alu instid0(VALU_DEP_1) | instskip(NEXT) | instid1(VALU_DEP_2)
	v_add_co_u32 v54, vcc_lo, v40, v20
	v_add_co_ci_u32_e32 v55, vcc_lo, v41, v21, vcc_lo
	flat_load_u16 v54, v[54:55]
	s_waitcnt vmcnt(0) lgkmcnt(0)
	v_mul_f16_e32 v54, s19, v54
	s_branch .LBB292_147
.LBB292_146:
	v_mov_b32_e32 v54, 0
.LBB292_147:
	v_pk_max_f16 v55, v0, v0
	v_pk_max_f16 v56, v8, v8
	;; [unrolled: 1-line block ×4, first 2 shown]
	v_add_co_u32 v20, vcc_lo, v22, v20
	s_delay_alu instid0(VALU_DEP_4) | instskip(SKIP_1) | instid1(VALU_DEP_4)
	v_pk_min_f16 v55, v56, v55
	v_add_co_ci_u32_e32 v21, vcc_lo, v23, v21, vcc_lo
	v_pk_min_f16 v56, v58, v57
	s_delay_alu instid0(VALU_DEP_3) | instskip(NEXT) | instid1(VALU_DEP_1)
	v_pk_add_f16 v53, v53, v55
	v_pk_add_f16 v53, v53, v56
	s_delay_alu instid0(VALU_DEP_1) | instskip(NEXT) | instid1(VALU_DEP_1)
	v_lshrrev_b32_e32 v55, 16, v53
	v_add_f16_e32 v53, v53, v55
	s_delay_alu instid0(VALU_DEP_1) | instskip(SKIP_3) | instid1(SALU_CYCLE_1)
	v_add_f16_e32 v53, v53, v54
	global_store_b16 v[20:21], v53, off
	s_or_b32 exec_lo, exec_lo, s15
	s_and_b32 s16, s5, s8
	s_and_saveexec_b32 s15, s16
	s_cbranch_execz .LBB292_126
.LBB292_148:
	v_cmp_ne_u32_e32 vcc_lo, 1, v59
	v_lshlrev_b64 v[20:21], 1, v[34:35]
	s_cbranch_vccnz .LBB292_150
; %bb.149:
	s_delay_alu instid0(VALU_DEP_1) | instskip(NEXT) | instid1(VALU_DEP_2)
	v_add_co_u32 v53, vcc_lo, v40, v20
	v_add_co_ci_u32_e32 v54, vcc_lo, v41, v21, vcc_lo
	flat_load_u16 v53, v[53:54]
	s_waitcnt vmcnt(0) lgkmcnt(0)
	v_mul_f16_e32 v53, s19, v53
	s_branch .LBB292_151
.LBB292_150:
	v_mov_b32_e32 v53, 0
.LBB292_151:
	v_pk_max_f16 v54, v0, v0
	v_pk_max_f16 v55, v10, v10
	;; [unrolled: 1-line block ×4, first 2 shown]
	v_add_co_u32 v20, vcc_lo, v22, v20
	s_delay_alu instid0(VALU_DEP_4) | instskip(SKIP_1) | instid1(VALU_DEP_4)
	v_pk_min_f16 v54, v55, v54
	v_add_co_ci_u32_e32 v21, vcc_lo, v23, v21, vcc_lo
	v_pk_min_f16 v55, v57, v56
	s_delay_alu instid0(VALU_DEP_3) | instskip(NEXT) | instid1(VALU_DEP_1)
	v_pk_add_f16 v52, v52, v54
	v_pk_add_f16 v52, v52, v55
	s_delay_alu instid0(VALU_DEP_1) | instskip(NEXT) | instid1(VALU_DEP_1)
	v_lshrrev_b32_e32 v54, 16, v52
	v_add_f16_e32 v52, v52, v54
	s_delay_alu instid0(VALU_DEP_1) | instskip(SKIP_3) | instid1(SALU_CYCLE_1)
	v_add_f16_e32 v52, v52, v53
	global_store_b16 v[20:21], v52, off
	s_or_b32 exec_lo, exec_lo, s15
	s_and_b32 s16, s6, s8
	s_and_saveexec_b32 s15, s16
	s_cbranch_execz .LBB292_127
.LBB292_152:
	v_cmp_ne_u32_e32 vcc_lo, 1, v59
	v_lshlrev_b64 v[20:21], 1, v[36:37]
	s_cbranch_vccnz .LBB292_154
; %bb.153:
	s_delay_alu instid0(VALU_DEP_1) | instskip(NEXT) | instid1(VALU_DEP_2)
	v_add_co_u32 v52, vcc_lo, v40, v20
	v_add_co_ci_u32_e32 v53, vcc_lo, v41, v21, vcc_lo
	flat_load_u16 v52, v[52:53]
	s_waitcnt vmcnt(0) lgkmcnt(0)
	v_mul_f16_e32 v52, s19, v52
	s_branch .LBB292_155
.LBB292_154:
	v_mov_b32_e32 v52, 0
.LBB292_155:
	v_pk_max_f16 v53, v0, v0
	v_pk_max_f16 v54, v4, v4
	;; [unrolled: 1-line block ×4, first 2 shown]
	v_add_co_u32 v20, vcc_lo, v22, v20
	s_delay_alu instid0(VALU_DEP_4) | instskip(SKIP_1) | instid1(VALU_DEP_4)
	v_pk_min_f16 v53, v54, v53
	v_add_co_ci_u32_e32 v21, vcc_lo, v23, v21, vcc_lo
	v_pk_min_f16 v54, v56, v55
	s_delay_alu instid0(VALU_DEP_3) | instskip(NEXT) | instid1(VALU_DEP_1)
	v_pk_add_f16 v51, v51, v53
	v_pk_add_f16 v51, v51, v54
	s_delay_alu instid0(VALU_DEP_1) | instskip(NEXT) | instid1(VALU_DEP_1)
	v_lshrrev_b32_e32 v53, 16, v51
	v_add_f16_e32 v51, v51, v53
	s_delay_alu instid0(VALU_DEP_1) | instskip(SKIP_3) | instid1(SALU_CYCLE_1)
	v_add_f16_e32 v51, v51, v52
	global_store_b16 v[20:21], v51, off
	s_or_b32 exec_lo, exec_lo, s15
	s_and_b32 s15, s7, s8
	s_and_saveexec_b32 s8, s15
	s_cbranch_execz .LBB292_160
.LBB292_156:
	v_cmp_ne_u32_e32 vcc_lo, 1, v59
	v_lshlrev_b64 v[20:21], 1, v[38:39]
	s_cbranch_vccnz .LBB292_158
; %bb.157:
	s_delay_alu instid0(VALU_DEP_1) | instskip(NEXT) | instid1(VALU_DEP_2)
	v_add_co_u32 v40, vcc_lo, v40, v20
	v_add_co_ci_u32_e32 v41, vcc_lo, v41, v21, vcc_lo
	flat_load_u16 v40, v[40:41]
	s_waitcnt vmcnt(0) lgkmcnt(0)
	v_mul_f16_e32 v40, s19, v40
	s_branch .LBB292_159
.LBB292_158:
	v_mov_b32_e32 v40, 0
.LBB292_159:
	v_pk_max_f16 v0, v0, v0
	v_pk_max_f16 v41, v6, v6
	;; [unrolled: 1-line block ×4, first 2 shown]
	s_delay_alu instid0(VALU_DEP_3) | instskip(NEXT) | instid1(VALU_DEP_2)
	v_pk_min_f16 v0, v41, v0
	v_pk_min_f16 v1, v51, v1
	s_delay_alu instid0(VALU_DEP_2) | instskip(NEXT) | instid1(VALU_DEP_1)
	v_pk_add_f16 v0, v50, v0
	v_pk_add_f16 v0, v0, v1
	s_delay_alu instid0(VALU_DEP_1) | instskip(NEXT) | instid1(VALU_DEP_1)
	v_lshrrev_b32_e32 v1, 16, v0
	v_add_f16_e32 v0, v0, v1
	s_delay_alu instid0(VALU_DEP_1)
	v_add_f16_e32 v40, v0, v40
	v_add_co_u32 v0, vcc_lo, v22, v20
	v_add_co_ci_u32_e32 v1, vcc_lo, v23, v21, vcc_lo
	global_store_b16 v[0:1], v40, off
.LBB292_160:
	s_or_b32 exec_lo, exec_lo, s8
	v_add_nc_u32_e32 v22, 0x60, v66
	s_delay_alu instid0(VALU_DEP_1) | instskip(SKIP_2) | instid1(VALU_DEP_3)
	v_mad_i64_i32 v[0:1], null, v22, s12, 0
	v_mad_i64_i32 v[20:21], null, v22, s9, 0
	v_cmp_gt_i32_e64 s8, s17, v22
	v_lshlrev_b64 v[0:1], 1, v[0:1]
	s_delay_alu instid0(VALU_DEP_2) | instskip(NEXT) | instid1(VALU_DEP_3)
	s_and_b32 s9, s0, s8
	v_lshlrev_b64 v[20:21], 1, v[20:21]
	s_delay_alu instid0(VALU_DEP_2) | instskip(NEXT) | instid1(VALU_DEP_3)
	v_add_co_u32 v22, vcc_lo, s10, v0
	v_add_co_ci_u32_e32 v23, vcc_lo, s11, v1, vcc_lo
	s_delay_alu instid0(VALU_DEP_3) | instskip(NEXT) | instid1(VALU_DEP_4)
	v_add_co_u32 v20, vcc_lo, s13, v20
	v_add_co_ci_u32_e32 v21, vcc_lo, s14, v21, vcc_lo
	s_and_saveexec_b32 s0, s9
	s_cbranch_execnz .LBB292_169
; %bb.161:
	s_or_b32 exec_lo, exec_lo, s0
	s_and_b32 s1, s1, s8
	s_delay_alu instid0(SALU_CYCLE_1)
	s_and_saveexec_b32 s0, s1
	s_cbranch_execnz .LBB292_173
.LBB292_162:
	s_or_b32 exec_lo, exec_lo, s0
	s_and_b32 s1, s2, s8
	s_delay_alu instid0(SALU_CYCLE_1)
	s_and_saveexec_b32 s0, s1
	s_cbranch_execnz .LBB292_177
.LBB292_163:
	s_or_b32 exec_lo, exec_lo, s0
	s_and_b32 s1, s3, s8
	s_delay_alu instid0(SALU_CYCLE_1)
	s_and_saveexec_b32 s0, s1
	s_cbranch_execnz .LBB292_181
.LBB292_164:
	s_or_b32 exec_lo, exec_lo, s0
	s_and_b32 s1, s4, s8
	s_delay_alu instid0(SALU_CYCLE_1)
	s_and_saveexec_b32 s0, s1
	s_cbranch_execnz .LBB292_185
.LBB292_165:
	s_or_b32 exec_lo, exec_lo, s0
	s_and_b32 s1, s5, s8
	s_delay_alu instid0(SALU_CYCLE_1)
	s_and_saveexec_b32 s0, s1
	s_cbranch_execnz .LBB292_189
.LBB292_166:
	s_or_b32 exec_lo, exec_lo, s0
	s_and_b32 s1, s6, s8
	s_delay_alu instid0(SALU_CYCLE_1)
	s_and_saveexec_b32 s0, s1
	s_cbranch_execnz .LBB292_193
.LBB292_167:
	s_or_b32 exec_lo, exec_lo, s0
	s_and_b32 s0, s7, s8
	s_delay_alu instid0(SALU_CYCLE_1)
	s_and_saveexec_b32 s1, s0
	s_cbranch_execnz .LBB292_197
.LBB292_168:
	s_nop 0
	s_sendmsg sendmsg(MSG_DEALLOC_VGPRS)
	s_endpgm
.LBB292_169:
	v_cmp_ne_u32_e32 vcc_lo, 1, v59
	v_lshlrev_b64 v[0:1], 1, v[24:25]
	s_cbranch_vccnz .LBB292_171
; %bb.170:
	s_delay_alu instid0(VALU_DEP_1) | instskip(NEXT) | instid1(VALU_DEP_2)
	v_add_co_u32 v24, vcc_lo, v22, v0
	v_add_co_ci_u32_e32 v25, vcc_lo, v23, v1, vcc_lo
	flat_load_u16 v24, v[24:25]
	s_waitcnt vmcnt(0) lgkmcnt(0)
	v_mul_f16_e32 v24, s19, v24
	s_branch .LBB292_172
.LBB292_171:
	v_mov_b32_e32 v24, 0
.LBB292_172:
	v_pk_max_f16 v25, v2, v2
	v_pk_max_f16 v16, v16, v16
	;; [unrolled: 1-line block ×4, first 2 shown]
	v_add_co_u32 v0, vcc_lo, v20, v0
	s_delay_alu instid0(VALU_DEP_4) | instskip(SKIP_1) | instid1(VALU_DEP_4)
	v_pk_min_f16 v16, v16, v25
	v_add_co_ci_u32_e32 v1, vcc_lo, v21, v1, vcc_lo
	v_pk_min_f16 v17, v17, v40
	s_delay_alu instid0(VALU_DEP_3) | instskip(NEXT) | instid1(VALU_DEP_1)
	v_pk_add_f16 v16, v49, v16
	v_pk_add_f16 v16, v16, v17
	s_delay_alu instid0(VALU_DEP_1) | instskip(NEXT) | instid1(VALU_DEP_1)
	v_lshrrev_b32_e32 v17, 16, v16
	v_add_f16_e32 v16, v16, v17
	s_delay_alu instid0(VALU_DEP_1) | instskip(SKIP_3) | instid1(SALU_CYCLE_1)
	v_add_f16_e32 v16, v16, v24
	global_store_b16 v[0:1], v16, off
	s_or_b32 exec_lo, exec_lo, s0
	s_and_b32 s1, s1, s8
	s_and_saveexec_b32 s0, s1
	s_cbranch_execz .LBB292_162
.LBB292_173:
	v_cmp_ne_u32_e32 vcc_lo, 1, v59
	v_lshlrev_b64 v[0:1], 1, v[26:27]
	s_cbranch_vccnz .LBB292_175
; %bb.174:
	s_delay_alu instid0(VALU_DEP_1) | instskip(NEXT) | instid1(VALU_DEP_2)
	v_add_co_u32 v16, vcc_lo, v22, v0
	v_add_co_ci_u32_e32 v17, vcc_lo, v23, v1, vcc_lo
	flat_load_u16 v16, v[16:17]
	s_waitcnt vmcnt(0) lgkmcnt(0)
	v_mul_f16_e32 v16, s19, v16
	s_branch .LBB292_176
.LBB292_175:
	v_mov_b32_e32 v16, 0
.LBB292_176:
	v_pk_max_f16 v17, v2, v2
	v_pk_max_f16 v18, v18, v18
	;; [unrolled: 1-line block ×4, first 2 shown]
	v_add_co_u32 v0, vcc_lo, v20, v0
	s_delay_alu instid0(VALU_DEP_4) | instskip(SKIP_1) | instid1(VALU_DEP_4)
	v_pk_min_f16 v17, v18, v17
	v_add_co_ci_u32_e32 v1, vcc_lo, v21, v1, vcc_lo
	v_pk_min_f16 v18, v19, v24
	s_delay_alu instid0(VALU_DEP_3) | instskip(NEXT) | instid1(VALU_DEP_1)
	v_pk_add_f16 v17, v48, v17
	v_pk_add_f16 v17, v17, v18
	s_delay_alu instid0(VALU_DEP_1) | instskip(NEXT) | instid1(VALU_DEP_1)
	v_lshrrev_b32_e32 v18, 16, v17
	v_add_f16_e32 v17, v17, v18
	s_delay_alu instid0(VALU_DEP_1) | instskip(SKIP_3) | instid1(SALU_CYCLE_1)
	v_add_f16_e32 v16, v17, v16
	global_store_b16 v[0:1], v16, off
	s_or_b32 exec_lo, exec_lo, s0
	s_and_b32 s1, s2, s8
	s_and_saveexec_b32 s0, s1
	s_cbranch_execz .LBB292_163
.LBB292_177:
	v_cmp_ne_u32_e32 vcc_lo, 1, v59
	v_lshlrev_b64 v[0:1], 1, v[28:29]
	s_cbranch_vccnz .LBB292_179
; %bb.178:
	s_delay_alu instid0(VALU_DEP_1) | instskip(NEXT) | instid1(VALU_DEP_2)
	v_add_co_u32 v16, vcc_lo, v22, v0
	v_add_co_ci_u32_e32 v17, vcc_lo, v23, v1, vcc_lo
	flat_load_u16 v16, v[16:17]
	s_waitcnt vmcnt(0) lgkmcnt(0)
	v_mul_f16_e32 v16, s19, v16
	s_branch .LBB292_180
.LBB292_179:
	v_mov_b32_e32 v16, 0
.LBB292_180:
	v_pk_max_f16 v17, v2, v2
	v_pk_max_f16 v12, v12, v12
	;; [unrolled: 1-line block ×4, first 2 shown]
	v_add_co_u32 v0, vcc_lo, v20, v0
	s_delay_alu instid0(VALU_DEP_4) | instskip(SKIP_1) | instid1(VALU_DEP_4)
	v_pk_min_f16 v12, v12, v17
	v_add_co_ci_u32_e32 v1, vcc_lo, v21, v1, vcc_lo
	v_pk_min_f16 v13, v13, v18
	s_delay_alu instid0(VALU_DEP_3) | instskip(NEXT) | instid1(VALU_DEP_1)
	v_pk_add_f16 v12, v47, v12
	v_pk_add_f16 v12, v12, v13
	s_delay_alu instid0(VALU_DEP_1) | instskip(NEXT) | instid1(VALU_DEP_1)
	v_lshrrev_b32_e32 v13, 16, v12
	v_add_f16_e32 v12, v12, v13
	s_delay_alu instid0(VALU_DEP_1) | instskip(SKIP_3) | instid1(SALU_CYCLE_1)
	v_add_f16_e32 v12, v12, v16
	global_store_b16 v[0:1], v12, off
	s_or_b32 exec_lo, exec_lo, s0
	s_and_b32 s1, s3, s8
	s_and_saveexec_b32 s0, s1
	s_cbranch_execz .LBB292_164
.LBB292_181:
	v_cmp_ne_u32_e32 vcc_lo, 1, v59
	v_lshlrev_b64 v[0:1], 1, v[30:31]
	s_cbranch_vccnz .LBB292_183
; %bb.182:
	s_delay_alu instid0(VALU_DEP_1) | instskip(NEXT) | instid1(VALU_DEP_2)
	v_add_co_u32 v12, vcc_lo, v22, v0
	v_add_co_ci_u32_e32 v13, vcc_lo, v23, v1, vcc_lo
	flat_load_u16 v12, v[12:13]
	s_waitcnt vmcnt(0) lgkmcnt(0)
	v_mul_f16_e32 v12, s19, v12
	s_branch .LBB292_184
.LBB292_183:
	v_mov_b32_e32 v12, 0
.LBB292_184:
	v_pk_max_f16 v13, v2, v2
	v_pk_max_f16 v14, v14, v14
	;; [unrolled: 1-line block ×4, first 2 shown]
	v_add_co_u32 v0, vcc_lo, v20, v0
	s_delay_alu instid0(VALU_DEP_4) | instskip(SKIP_1) | instid1(VALU_DEP_4)
	v_pk_min_f16 v13, v14, v13
	v_add_co_ci_u32_e32 v1, vcc_lo, v21, v1, vcc_lo
	v_pk_min_f16 v14, v15, v16
	s_delay_alu instid0(VALU_DEP_3) | instskip(NEXT) | instid1(VALU_DEP_1)
	v_pk_add_f16 v13, v46, v13
	v_pk_add_f16 v13, v13, v14
	s_delay_alu instid0(VALU_DEP_1) | instskip(NEXT) | instid1(VALU_DEP_1)
	v_lshrrev_b32_e32 v14, 16, v13
	v_add_f16_e32 v13, v13, v14
	s_delay_alu instid0(VALU_DEP_1) | instskip(SKIP_3) | instid1(SALU_CYCLE_1)
	v_add_f16_e32 v12, v13, v12
	global_store_b16 v[0:1], v12, off
	s_or_b32 exec_lo, exec_lo, s0
	s_and_b32 s1, s4, s8
	s_and_saveexec_b32 s0, s1
	s_cbranch_execz .LBB292_165
.LBB292_185:
	v_cmp_ne_u32_e32 vcc_lo, 1, v59
	v_lshlrev_b64 v[0:1], 1, v[32:33]
	s_cbranch_vccnz .LBB292_187
; %bb.186:
	s_delay_alu instid0(VALU_DEP_1) | instskip(NEXT) | instid1(VALU_DEP_2)
	v_add_co_u32 v12, vcc_lo, v22, v0
	v_add_co_ci_u32_e32 v13, vcc_lo, v23, v1, vcc_lo
	flat_load_u16 v12, v[12:13]
	s_waitcnt vmcnt(0) lgkmcnt(0)
	v_mul_f16_e32 v12, s19, v12
	s_branch .LBB292_188
.LBB292_187:
	v_mov_b32_e32 v12, 0
.LBB292_188:
	v_pk_max_f16 v13, v2, v2
	v_pk_max_f16 v8, v8, v8
	;; [unrolled: 1-line block ×4, first 2 shown]
	v_add_co_u32 v0, vcc_lo, v20, v0
	s_delay_alu instid0(VALU_DEP_4) | instskip(SKIP_1) | instid1(VALU_DEP_4)
	v_pk_min_f16 v8, v8, v13
	v_add_co_ci_u32_e32 v1, vcc_lo, v21, v1, vcc_lo
	v_pk_min_f16 v9, v9, v14
	s_delay_alu instid0(VALU_DEP_3) | instskip(NEXT) | instid1(VALU_DEP_1)
	v_pk_add_f16 v8, v45, v8
	v_pk_add_f16 v8, v8, v9
	s_delay_alu instid0(VALU_DEP_1) | instskip(NEXT) | instid1(VALU_DEP_1)
	v_lshrrev_b32_e32 v9, 16, v8
	v_add_f16_e32 v8, v8, v9
	s_delay_alu instid0(VALU_DEP_1) | instskip(SKIP_3) | instid1(SALU_CYCLE_1)
	v_add_f16_e32 v8, v8, v12
	global_store_b16 v[0:1], v8, off
	s_or_b32 exec_lo, exec_lo, s0
	s_and_b32 s1, s5, s8
	s_and_saveexec_b32 s0, s1
	s_cbranch_execz .LBB292_166
.LBB292_189:
	v_cmp_ne_u32_e32 vcc_lo, 1, v59
	v_lshlrev_b64 v[0:1], 1, v[34:35]
	s_cbranch_vccnz .LBB292_191
; %bb.190:
	s_delay_alu instid0(VALU_DEP_1) | instskip(NEXT) | instid1(VALU_DEP_2)
	v_add_co_u32 v8, vcc_lo, v22, v0
	v_add_co_ci_u32_e32 v9, vcc_lo, v23, v1, vcc_lo
	flat_load_u16 v8, v[8:9]
	s_waitcnt vmcnt(0) lgkmcnt(0)
	v_mul_f16_e32 v8, s19, v8
	s_branch .LBB292_192
.LBB292_191:
	v_mov_b32_e32 v8, 0
.LBB292_192:
	v_pk_max_f16 v9, v2, v2
	v_pk_max_f16 v10, v10, v10
	;; [unrolled: 1-line block ×4, first 2 shown]
	v_add_co_u32 v0, vcc_lo, v20, v0
	s_delay_alu instid0(VALU_DEP_4) | instskip(SKIP_1) | instid1(VALU_DEP_4)
	v_pk_min_f16 v9, v10, v9
	v_add_co_ci_u32_e32 v1, vcc_lo, v21, v1, vcc_lo
	v_pk_min_f16 v10, v11, v12
	s_delay_alu instid0(VALU_DEP_3) | instskip(NEXT) | instid1(VALU_DEP_1)
	v_pk_add_f16 v9, v44, v9
	v_pk_add_f16 v9, v9, v10
	s_delay_alu instid0(VALU_DEP_1) | instskip(NEXT) | instid1(VALU_DEP_1)
	v_lshrrev_b32_e32 v10, 16, v9
	v_add_f16_e32 v9, v9, v10
	s_delay_alu instid0(VALU_DEP_1) | instskip(SKIP_3) | instid1(SALU_CYCLE_1)
	v_add_f16_e32 v8, v9, v8
	global_store_b16 v[0:1], v8, off
	s_or_b32 exec_lo, exec_lo, s0
	s_and_b32 s1, s6, s8
	s_and_saveexec_b32 s0, s1
	s_cbranch_execz .LBB292_167
.LBB292_193:
	v_cmp_ne_u32_e32 vcc_lo, 1, v59
	v_lshlrev_b64 v[0:1], 1, v[36:37]
	s_cbranch_vccnz .LBB292_195
; %bb.194:
	s_delay_alu instid0(VALU_DEP_1) | instskip(NEXT) | instid1(VALU_DEP_2)
	v_add_co_u32 v8, vcc_lo, v22, v0
	v_add_co_ci_u32_e32 v9, vcc_lo, v23, v1, vcc_lo
	flat_load_u16 v8, v[8:9]
	s_waitcnt vmcnt(0) lgkmcnt(0)
	v_mul_f16_e32 v8, s19, v8
	s_branch .LBB292_196
.LBB292_195:
	v_mov_b32_e32 v8, 0
.LBB292_196:
	v_pk_max_f16 v9, v2, v2
	v_pk_max_f16 v4, v4, v4
	;; [unrolled: 1-line block ×4, first 2 shown]
	v_add_co_u32 v0, vcc_lo, v20, v0
	s_delay_alu instid0(VALU_DEP_4) | instskip(SKIP_1) | instid1(VALU_DEP_4)
	v_pk_min_f16 v4, v4, v9
	v_add_co_ci_u32_e32 v1, vcc_lo, v21, v1, vcc_lo
	v_pk_min_f16 v5, v5, v10
	s_delay_alu instid0(VALU_DEP_3) | instskip(NEXT) | instid1(VALU_DEP_1)
	v_pk_add_f16 v4, v43, v4
	v_pk_add_f16 v4, v4, v5
	s_delay_alu instid0(VALU_DEP_1) | instskip(NEXT) | instid1(VALU_DEP_1)
	v_lshrrev_b32_e32 v5, 16, v4
	v_add_f16_e32 v4, v4, v5
	s_delay_alu instid0(VALU_DEP_1) | instskip(SKIP_3) | instid1(SALU_CYCLE_1)
	v_add_f16_e32 v4, v4, v8
	global_store_b16 v[0:1], v4, off
	s_or_b32 exec_lo, exec_lo, s0
	s_and_b32 s0, s7, s8
	s_and_saveexec_b32 s1, s0
	s_cbranch_execz .LBB292_168
.LBB292_197:
	v_cmp_ne_u32_e32 vcc_lo, 1, v59
	v_lshlrev_b64 v[0:1], 1, v[38:39]
	s_cbranch_vccnz .LBB292_199
; %bb.198:
	s_delay_alu instid0(VALU_DEP_1) | instskip(NEXT) | instid1(VALU_DEP_2)
	v_add_co_u32 v4, vcc_lo, v22, v0
	v_add_co_ci_u32_e32 v5, vcc_lo, v23, v1, vcc_lo
	flat_load_u16 v4, v[4:5]
	s_waitcnt vmcnt(0) lgkmcnt(0)
	v_mul_f16_e32 v4, s19, v4
	s_branch .LBB292_200
.LBB292_199:
	v_mov_b32_e32 v4, 0
.LBB292_200:
	v_pk_max_f16 v2, v2, v2
	v_pk_max_f16 v5, v6, v6
	;; [unrolled: 1-line block ×4, first 2 shown]
	v_add_co_u32 v0, vcc_lo, v20, v0
	s_delay_alu instid0(VALU_DEP_4) | instskip(SKIP_1) | instid1(VALU_DEP_4)
	v_pk_min_f16 v2, v5, v2
	v_add_co_ci_u32_e32 v1, vcc_lo, v21, v1, vcc_lo
	v_pk_min_f16 v3, v6, v3
	s_delay_alu instid0(VALU_DEP_3) | instskip(NEXT) | instid1(VALU_DEP_1)
	v_pk_add_f16 v2, v42, v2
	v_pk_add_f16 v2, v2, v3
	s_delay_alu instid0(VALU_DEP_1) | instskip(NEXT) | instid1(VALU_DEP_1)
	v_lshrrev_b32_e32 v3, 16, v2
	v_add_f16_e32 v2, v2, v3
	s_delay_alu instid0(VALU_DEP_1)
	v_add_f16_e32 v2, v2, v4
	global_store_b16 v[0:1], v2, off
	s_nop 0
	s_sendmsg sendmsg(MSG_DEALLOC_VGPRS)
	s_endpgm
	.section	.rodata,"a",@progbits
	.p2align	6, 0x0
	.amdhsa_kernel _ZN12_GLOBAL__N_120geam_min_plus_kernelIDF16_Dv2_DF16_S1_Li8ELi32ELi64ELi128ELi4ELi4ELi64ELi4ELi64ELc84ELc78ELb1ELb1ELb0EDF16_KDF16_DF16_EEviiiT16_PT17_ilS5_ilS3_S5_ilPT18_ili26rocblas_geam_ex_operation_
		.amdhsa_group_segment_fixed_size 3072
		.amdhsa_private_segment_fixed_size 0
		.amdhsa_kernarg_size 128
		.amdhsa_user_sgpr_count 14
		.amdhsa_user_sgpr_dispatch_ptr 0
		.amdhsa_user_sgpr_queue_ptr 0
		.amdhsa_user_sgpr_kernarg_segment_ptr 1
		.amdhsa_user_sgpr_dispatch_id 0
		.amdhsa_user_sgpr_private_segment_size 0
		.amdhsa_wavefront_size32 1
		.amdhsa_uses_dynamic_stack 0
		.amdhsa_enable_private_segment 0
		.amdhsa_system_sgpr_workgroup_id_x 1
		.amdhsa_system_sgpr_workgroup_id_y 0
		.amdhsa_system_sgpr_workgroup_id_z 1
		.amdhsa_system_sgpr_workgroup_info 0
		.amdhsa_system_vgpr_workitem_id 1
		.amdhsa_next_free_vgpr 120
		.amdhsa_next_free_sgpr 28
		.amdhsa_reserve_vcc 1
		.amdhsa_float_round_mode_32 0
		.amdhsa_float_round_mode_16_64 0
		.amdhsa_float_denorm_mode_32 3
		.amdhsa_float_denorm_mode_16_64 3
		.amdhsa_dx10_clamp 1
		.amdhsa_ieee_mode 1
		.amdhsa_fp16_overflow 0
		.amdhsa_workgroup_processor_mode 1
		.amdhsa_memory_ordered 1
		.amdhsa_forward_progress 0
		.amdhsa_shared_vgpr_count 0
		.amdhsa_exception_fp_ieee_invalid_op 0
		.amdhsa_exception_fp_denorm_src 0
		.amdhsa_exception_fp_ieee_div_zero 0
		.amdhsa_exception_fp_ieee_overflow 0
		.amdhsa_exception_fp_ieee_underflow 0
		.amdhsa_exception_fp_ieee_inexact 0
		.amdhsa_exception_int_div_zero 0
	.end_amdhsa_kernel
	.section	.text._ZN12_GLOBAL__N_120geam_min_plus_kernelIDF16_Dv2_DF16_S1_Li8ELi32ELi64ELi128ELi4ELi4ELi64ELi4ELi64ELc84ELc78ELb1ELb1ELb0EDF16_KDF16_DF16_EEviiiT16_PT17_ilS5_ilS3_S5_ilPT18_ili26rocblas_geam_ex_operation_,"axG",@progbits,_ZN12_GLOBAL__N_120geam_min_plus_kernelIDF16_Dv2_DF16_S1_Li8ELi32ELi64ELi128ELi4ELi4ELi64ELi4ELi64ELc84ELc78ELb1ELb1ELb0EDF16_KDF16_DF16_EEviiiT16_PT17_ilS5_ilS3_S5_ilPT18_ili26rocblas_geam_ex_operation_,comdat
.Lfunc_end292:
	.size	_ZN12_GLOBAL__N_120geam_min_plus_kernelIDF16_Dv2_DF16_S1_Li8ELi32ELi64ELi128ELi4ELi4ELi64ELi4ELi64ELc84ELc78ELb1ELb1ELb0EDF16_KDF16_DF16_EEviiiT16_PT17_ilS5_ilS3_S5_ilPT18_ili26rocblas_geam_ex_operation_, .Lfunc_end292-_ZN12_GLOBAL__N_120geam_min_plus_kernelIDF16_Dv2_DF16_S1_Li8ELi32ELi64ELi128ELi4ELi4ELi64ELi4ELi64ELc84ELc78ELb1ELb1ELb0EDF16_KDF16_DF16_EEviiiT16_PT17_ilS5_ilS3_S5_ilPT18_ili26rocblas_geam_ex_operation_
                                        ; -- End function
	.section	.AMDGPU.csdata,"",@progbits
; Kernel info:
; codeLenInByte = 12864
; NumSgprs: 30
; NumVgprs: 120
; ScratchSize: 0
; MemoryBound: 0
; FloatMode: 240
; IeeeMode: 1
; LDSByteSize: 3072 bytes/workgroup (compile time only)
; SGPRBlocks: 3
; VGPRBlocks: 14
; NumSGPRsForWavesPerEU: 30
; NumVGPRsForWavesPerEU: 120
; Occupancy: 12
; WaveLimiterHint : 0
; COMPUTE_PGM_RSRC2:SCRATCH_EN: 0
; COMPUTE_PGM_RSRC2:USER_SGPR: 14
; COMPUTE_PGM_RSRC2:TRAP_HANDLER: 0
; COMPUTE_PGM_RSRC2:TGID_X_EN: 1
; COMPUTE_PGM_RSRC2:TGID_Y_EN: 0
; COMPUTE_PGM_RSRC2:TGID_Z_EN: 1
; COMPUTE_PGM_RSRC2:TIDIG_COMP_CNT: 1
	.section	.text._ZN12_GLOBAL__N_120geam_min_plus_kernelIDF16_Dv2_DF16_S1_Li8ELi32ELi64ELi128ELi4ELi4ELi64ELi4ELi64ELc84ELc78ELb0ELb1ELb0EDF16_KDF16_DF16_EEviiiT16_PT17_ilS5_ilS3_S5_ilPT18_ili26rocblas_geam_ex_operation_,"axG",@progbits,_ZN12_GLOBAL__N_120geam_min_plus_kernelIDF16_Dv2_DF16_S1_Li8ELi32ELi64ELi128ELi4ELi4ELi64ELi4ELi64ELc84ELc78ELb0ELb1ELb0EDF16_KDF16_DF16_EEviiiT16_PT17_ilS5_ilS3_S5_ilPT18_ili26rocblas_geam_ex_operation_,comdat
	.globl	_ZN12_GLOBAL__N_120geam_min_plus_kernelIDF16_Dv2_DF16_S1_Li8ELi32ELi64ELi128ELi4ELi4ELi64ELi4ELi64ELc84ELc78ELb0ELb1ELb0EDF16_KDF16_DF16_EEviiiT16_PT17_ilS5_ilS3_S5_ilPT18_ili26rocblas_geam_ex_operation_ ; -- Begin function _ZN12_GLOBAL__N_120geam_min_plus_kernelIDF16_Dv2_DF16_S1_Li8ELi32ELi64ELi128ELi4ELi4ELi64ELi4ELi64ELc84ELc78ELb0ELb1ELb0EDF16_KDF16_DF16_EEviiiT16_PT17_ilS5_ilS3_S5_ilPT18_ili26rocblas_geam_ex_operation_
	.p2align	8
	.type	_ZN12_GLOBAL__N_120geam_min_plus_kernelIDF16_Dv2_DF16_S1_Li8ELi32ELi64ELi128ELi4ELi4ELi64ELi4ELi64ELc84ELc78ELb0ELb1ELb0EDF16_KDF16_DF16_EEviiiT16_PT17_ilS5_ilS3_S5_ilPT18_ili26rocblas_geam_ex_operation_,@function
_ZN12_GLOBAL__N_120geam_min_plus_kernelIDF16_Dv2_DF16_S1_Li8ELi32ELi64ELi128ELi4ELi4ELi64ELi4ELi64ELc84ELc78ELb0ELb1ELb0EDF16_KDF16_DF16_EEviiiT16_PT17_ilS5_ilS3_S5_ilPT18_ili26rocblas_geam_ex_operation_: ; @_ZN12_GLOBAL__N_120geam_min_plus_kernelIDF16_Dv2_DF16_S1_Li8ELi32ELi64ELi128ELi4ELi4ELi64ELi4ELi64ELc84ELc78ELb0ELb1ELb0EDF16_KDF16_DF16_EEviiiT16_PT17_ilS5_ilS3_S5_ilPT18_ili26rocblas_geam_ex_operation_
; %bb.0:
	s_clause 0x1
	s_load_b128 s[16:19], s[0:1], 0x0
	s_load_b128 s[4:7], s[0:1], 0x20
	s_waitcnt lgkmcnt(0)
	v_cmp_eq_f16_e64 s2, s19, 0
	v_cmp_neq_f16_e64 s23, s19, 0
	s_delay_alu instid0(VALU_DEP_2)
	s_and_b32 vcc_lo, exec_lo, s2
	s_cbranch_vccnz .LBB293_3
; %bb.1:
	s_load_b64 s[8:9], s[0:1], 0x10
	s_mul_i32 s3, s15, s5
	s_mul_hi_u32 s5, s15, s4
	s_mul_i32 s4, s15, s4
	s_add_i32 s5, s5, s3
	s_delay_alu instid0(SALU_CYCLE_1)
	s_lshl_b64 s[4:5], s[4:5], 1
	s_waitcnt lgkmcnt(0)
	s_add_u32 s12, s8, s4
	s_addc_u32 s13, s9, s5
	s_and_not1_b32 vcc_lo, exec_lo, s2
	s_cbranch_vccnz .LBB293_4
.LBB293_2:
	s_mov_b32 s22, 0
	s_mov_b64 s[8:9], 0
	s_cbranch_execz .LBB293_5
	s_branch .LBB293_6
.LBB293_3:
	s_mov_b64 s[12:13], 0
	s_and_not1_b32 vcc_lo, exec_lo, s2
	s_cbranch_vccz .LBB293_2
.LBB293_4:
	s_mov_b32 s22, -1
                                        ; implicit-def: $sgpr8_sgpr9
.LBB293_5:
	s_load_b64 s[2:3], s[0:1], 0x38
	s_mov_b32 s22, 0
	s_waitcnt lgkmcnt(0)
	s_mul_i32 s3, s15, s3
	s_mul_hi_u32 s4, s15, s2
	s_mul_i32 s2, s15, s2
	s_add_i32 s3, s4, s3
	s_delay_alu instid0(SALU_CYCLE_1) | instskip(NEXT) | instid1(SALU_CYCLE_1)
	s_lshl_b64 s[2:3], s[2:3], 1
	s_add_u32 s8, s6, s2
	s_addc_u32 s9, s7, s3
.LBB293_6:
	s_clause 0x1
	s_load_b32 s20, s[0:1], 0x40
	s_load_b128 s[4:7], s[0:1], 0x58
	s_waitcnt lgkmcnt(0)
	v_cmp_eq_f16_e64 s2, s20, 0
	v_cmp_neq_f16_e64 s21, s20, 0
	s_delay_alu instid0(VALU_DEP_2)
	s_and_b32 vcc_lo, exec_lo, s2
	s_cbranch_vccnz .LBB293_8
; %bb.7:
	s_load_b64 s[2:3], s[0:1], 0x48
	s_mul_i32 s5, s15, s5
	s_mul_hi_u32 s10, s15, s4
	s_delay_alu instid0(SALU_CYCLE_1) | instskip(SKIP_3) | instid1(SALU_CYCLE_1)
	s_add_i32 s5, s10, s5
	s_mul_i32 s10, s22, s4
	s_mul_i32 s4, s15, s4
	s_add_i32 s5, s5, s10
	s_lshl_b64 s[4:5], s[4:5], 1
	s_waitcnt lgkmcnt(0)
	s_add_u32 s10, s2, s4
	s_addc_u32 s11, s3, s5
	s_branch .LBB293_9
.LBB293_8:
	s_mov_b64 s[10:11], 0
.LBB293_9:
	s_add_i32 s2, s16, -1
	v_dual_mov_b32 v7, 0 :: v_dual_and_b32 v30, 0x3ff, v0
	s_ashr_i32 s3, s2, 31
	v_bfe_u32 v31, v0, 10, 10
	s_lshr_b32 s3, s3, 26
	s_load_b32 s28, s[0:1], 0x18
	s_add_i32 s2, s2, s3
	v_and_b32_e32 v32, 3, v30
	s_ashr_i32 s2, s2, 6
	v_lshl_add_u32 v0, v31, 3, v30
	s_add_i32 s4, s2, 1
	s_not_b32 s2, s2
	v_cvt_f32_u32_e32 v1, s4
	v_mov_b32_e32 v8, 0
	s_delay_alu instid0(VALU_DEP_2) | instskip(SKIP_2) | instid1(VALU_DEP_1)
	v_rcp_iflag_f32_e32 v1, v1
	s_waitcnt_depctr 0xfff
	v_mul_f32_e32 v1, 0x4f7ffffe, v1
	v_cvt_u32_f32_e32 v1, v1
	s_delay_alu instid0(VALU_DEP_1) | instskip(SKIP_2) | instid1(VALU_DEP_3)
	v_readfirstlane_b32 s3, v1
	v_lshrrev_b32_e32 v1, 2, v0
	v_lshlrev_b32_e32 v0, 1, v32
	s_mul_i32 s2, s2, s3
	s_delay_alu instid0(SALU_CYCLE_1) | instskip(NEXT) | instid1(SALU_CYCLE_1)
	s_mul_hi_u32 s2, s3, s2
	s_add_i32 s3, s3, s2
	s_delay_alu instid0(SALU_CYCLE_1) | instskip(NEXT) | instid1(SALU_CYCLE_1)
	s_mul_hi_u32 s2, s14, s3
	s_mul_i32 s3, s2, s4
	s_add_i32 s5, s2, 1
	s_sub_i32 s3, s14, s3
	s_delay_alu instid0(SALU_CYCLE_1)
	s_sub_i32 s24, s3, s4
	s_cmp_ge_u32 s3, s4
	s_cselect_b32 s2, s5, s2
	s_cselect_b32 s3, s24, s3
	s_add_i32 s5, s2, 1
	s_cmp_ge_u32 s3, s4
	s_cselect_b32 s3, s5, s2
	s_delay_alu instid0(SALU_CYCLE_1) | instskip(NEXT) | instid1(SALU_CYCLE_1)
	s_mul_i32 s29, s3, s4
	s_sub_i32 s2, s14, s29
	s_delay_alu instid0(SALU_CYCLE_1) | instskip(SKIP_2) | instid1(VALU_DEP_1)
	s_lshl_b32 s4, s2, 6
	v_cmp_gt_i32_e64 s2, s18, v32
	v_add_nc_u32_e32 v5, s4, v1
	v_cmp_gt_i32_e32 vcc_lo, s16, v5
	s_delay_alu instid0(VALU_DEP_3) | instskip(NEXT) | instid1(SALU_CYCLE_1)
	s_and_b32 s2, s2, vcc_lo
	s_and_b32 s2, s23, s2
	s_delay_alu instid0(SALU_CYCLE_1)
	s_and_saveexec_b32 s5, s2
	s_cbranch_execz .LBB293_11
; %bb.10:
	s_waitcnt lgkmcnt(0)
	v_mad_i64_i32 v[2:3], null, v5, s28, 0
	s_delay_alu instid0(VALU_DEP_1) | instskip(NEXT) | instid1(VALU_DEP_1)
	v_lshlrev_b64 v[2:3], 1, v[2:3]
	v_add_co_u32 v2, s2, s12, v2
	s_delay_alu instid0(VALU_DEP_1) | instskip(NEXT) | instid1(VALU_DEP_2)
	v_add_co_ci_u32_e64 v3, s2, s13, v3, s2
	v_add_co_u32 v2, s2, v2, v0
	s_delay_alu instid0(VALU_DEP_1)
	v_add_co_ci_u32_e64 v3, s2, 0, v3, s2
	flat_load_u16 v2, v[2:3]
	s_waitcnt vmcnt(0) lgkmcnt(0)
	v_mul_f16_e32 v8, s19, v2
.LBB293_11:
	s_or_b32 exec_lo, exec_lo, s5
	s_add_i32 s24, s18, -1
	s_load_b32 s30, s[0:1], 0x30
	v_min_i32_e32 v3, s24, v32
	s_lshl_b32 s5, s3, 7
	s_xor_b32 s26, s23, -1
	v_add_nc_u32_e32 v2, s5, v1
	v_cmp_le_i32_e64 s2, s18, v32
	v_ashrrev_i32_e32 v4, 31, v3
	s_delay_alu instid0(VALU_DEP_3) | instskip(NEXT) | instid1(VALU_DEP_2)
	v_cmp_le_i32_e64 s3, s17, v2
	v_lshlrev_b64 v[3:4], 1, v[3:4]
	s_delay_alu instid0(VALU_DEP_2) | instskip(NEXT) | instid1(VALU_DEP_1)
	s_or_b32 s25, s3, s26
	v_add_co_u32 v6, s3, s8, v3
	s_delay_alu instid0(VALU_DEP_1) | instskip(SKIP_1) | instid1(SALU_CYCLE_1)
	v_add_co_ci_u32_e64 v10, s3, s9, v4, s3
	s_or_b32 s3, s2, s25
	s_xor_b32 s3, s3, -1
	s_delay_alu instid0(SALU_CYCLE_1)
	s_and_saveexec_b32 s27, s3
	s_cbranch_execz .LBB293_13
; %bb.12:
	s_waitcnt lgkmcnt(0)
	v_mad_i64_i32 v[3:4], null, v2, s30, 0
	s_delay_alu instid0(VALU_DEP_1) | instskip(NEXT) | instid1(VALU_DEP_1)
	v_lshlrev_b64 v[3:4], 1, v[3:4]
	v_add_co_u32 v3, s3, v6, v3
	s_delay_alu instid0(VALU_DEP_1)
	v_add_co_ci_u32_e64 v4, s3, v10, v4, s3
	flat_load_u16 v3, v[3:4]
	s_waitcnt vmcnt(0) lgkmcnt(0)
	v_mul_f16_e32 v7, s19, v3
.LBB293_13:
	s_or_b32 exec_lo, exec_lo, s27
	v_dual_mov_b32 v4, 0 :: v_dual_add_nc_u32 v3, 64, v2
	v_mov_b32_e32 v9, 0
	s_delay_alu instid0(VALU_DEP_2) | instskip(NEXT) | instid1(VALU_DEP_1)
	v_cmp_le_i32_e64 s3, s17, v3
	s_or_b32 s26, s3, s26
	s_delay_alu instid0(SALU_CYCLE_1) | instskip(NEXT) | instid1(SALU_CYCLE_1)
	s_or_b32 s2, s2, s26
	s_xor_b32 s2, s2, -1
	s_delay_alu instid0(SALU_CYCLE_1)
	s_and_saveexec_b32 s3, s2
	s_cbranch_execz .LBB293_15
; %bb.14:
	s_waitcnt lgkmcnt(0)
	v_mad_i64_i32 v[11:12], null, v3, s30, 0
	s_delay_alu instid0(VALU_DEP_1) | instskip(NEXT) | instid1(VALU_DEP_1)
	v_lshlrev_b64 v[11:12], 1, v[11:12]
	v_add_co_u32 v9, s2, v6, v11
	s_delay_alu instid0(VALU_DEP_1)
	v_add_co_ci_u32_e64 v10, s2, v10, v12, s2
	flat_load_u16 v6, v[9:10]
	s_waitcnt vmcnt(0) lgkmcnt(0)
	v_mul_f16_e32 v9, s19, v6
.LBB293_15:
	s_or_b32 exec_lo, exec_lo, s3
	v_or_b32_e32 v6, 4, v32
	s_delay_alu instid0(VALU_DEP_1) | instskip(NEXT) | instid1(VALU_DEP_1)
	v_cmp_gt_i32_e64 s2, s18, v6
	s_and_b32 s2, s2, vcc_lo
	s_delay_alu instid0(SALU_CYCLE_1) | instskip(NEXT) | instid1(SALU_CYCLE_1)
	s_and_b32 s2, s23, s2
	s_and_saveexec_b32 s3, s2
	s_cbranch_execz .LBB293_17
; %bb.16:
	s_waitcnt lgkmcnt(0)
	v_mad_i64_i32 v[10:11], null, v5, s28, 0
	s_delay_alu instid0(VALU_DEP_1) | instskip(NEXT) | instid1(VALU_DEP_1)
	v_lshlrev_b64 v[4:5], 1, v[10:11]
	v_add_co_u32 v4, s2, s12, v4
	s_delay_alu instid0(VALU_DEP_1) | instskip(NEXT) | instid1(VALU_DEP_2)
	v_add_co_ci_u32_e64 v5, s2, s13, v5, s2
	v_add_co_u32 v4, s2, v4, v0
	s_delay_alu instid0(VALU_DEP_1)
	v_add_co_ci_u32_e64 v5, s2, 0, v5, s2
	flat_load_u16 v4, v[4:5] offset:8
	s_waitcnt vmcnt(0) lgkmcnt(0)
	v_mul_f16_e32 v4, s19, v4
.LBB293_17:
	s_or_b32 exec_lo, exec_lo, s3
	v_min_i32_e32 v10, s24, v6
	v_cmp_le_i32_e64 s2, s18, v6
	v_dual_mov_b32 v5, 0 :: v_dual_mov_b32 v6, 0
	s_delay_alu instid0(VALU_DEP_3) | instskip(NEXT) | instid1(VALU_DEP_1)
	v_ashrrev_i32_e32 v11, 31, v10
	v_lshlrev_b64 v[10:11], 1, v[10:11]
	s_delay_alu instid0(VALU_DEP_1) | instskip(NEXT) | instid1(VALU_DEP_1)
	v_add_co_u32 v10, s3, s8, v10
	v_add_co_ci_u32_e64 v11, s3, s9, v11, s3
	s_or_b32 s3, s2, s25
	s_delay_alu instid0(SALU_CYCLE_1) | instskip(NEXT) | instid1(SALU_CYCLE_1)
	s_xor_b32 s3, s3, -1
	s_and_saveexec_b32 s27, s3
	s_cbranch_execz .LBB293_19
; %bb.18:
	s_waitcnt lgkmcnt(0)
	v_mad_i64_i32 v[12:13], null, v2, s30, 0
	s_delay_alu instid0(VALU_DEP_1) | instskip(NEXT) | instid1(VALU_DEP_1)
	v_lshlrev_b64 v[12:13], 1, v[12:13]
	v_add_co_u32 v12, s3, v10, v12
	s_delay_alu instid0(VALU_DEP_1)
	v_add_co_ci_u32_e64 v13, s3, v11, v13, s3
	flat_load_u16 v6, v[12:13]
	s_waitcnt vmcnt(0) lgkmcnt(0)
	v_mul_f16_e32 v6, s19, v6
.LBB293_19:
	s_or_b32 exec_lo, exec_lo, s27
	s_or_b32 s2, s2, s26
	s_delay_alu instid0(SALU_CYCLE_1) | instskip(NEXT) | instid1(SALU_CYCLE_1)
	s_xor_b32 s2, s2, -1
	s_and_saveexec_b32 s3, s2
	s_cbranch_execz .LBB293_21
; %bb.20:
	s_waitcnt lgkmcnt(0)
	v_mad_i64_i32 v[12:13], null, v3, s30, 0
	s_delay_alu instid0(VALU_DEP_1) | instskip(NEXT) | instid1(VALU_DEP_1)
	v_lshlrev_b64 v[12:13], 1, v[12:13]
	v_add_co_u32 v10, s2, v10, v12
	s_delay_alu instid0(VALU_DEP_1)
	v_add_co_ci_u32_e64 v11, s2, v11, v13, s2
	flat_load_u16 v5, v[10:11]
	s_waitcnt vmcnt(0) lgkmcnt(0)
	v_mul_f16_e32 v5, s19, v5
.LBB293_21:
	s_or_b32 exec_lo, exec_lo, s3
	v_lshlrev_b32_e32 v34, 3, v30
	v_lshl_or_b32 v35, v1, 3, v0
	v_lshlrev_b32_e32 v33, 3, v31
	s_mov_b32 s27, 0
	s_cmp_lt_i32 s18, 9
	v_add_nc_u32_e32 v27, 0x800, v34
	ds_store_b16 v35, v7
	ds_store_b16 v35, v8 offset:2048
	ds_store_b16 v35, v9 offset:512
	s_waitcnt lgkmcnt(0)
	s_barrier
	buffer_gl0_inv
	ds_load_2addr_b64 v[7:10], v33 offset1:32
	ds_load_2addr_b64 v[11:14], v27 offset0:48 offset1:56
	ds_load_2addr_b64 v[15:18], v33 offset0:64 offset1:96
	ds_load_2addr_b64 v[19:22], v27 offset1:8
	ds_load_2addr_b64 v[23:26], v27 offset0:16 offset1:24
	ds_load_2addr_b64 v[37:40], v27 offset0:32 offset1:40
	ds_store_b16 v35, v6 offset:1024
	ds_store_b16 v35, v4 offset:2560
	;; [unrolled: 1-line block ×3, first 2 shown]
	s_waitcnt lgkmcnt(0)
	s_barrier
	buffer_gl0_inv
	v_pk_max_f16 v7, v7, v7
	v_pk_max_f16 v9, v9, v9
	;; [unrolled: 1-line block ×8, first 2 shown]
	v_pk_min_f16 v48, v23, v15
	v_pk_min_f16 v49, v25, v9
	v_pk_max_f16 v19, v19, v19
	v_pk_max_f16 v21, v21, v21
	v_pk_min_f16 v27, v13, v7
	v_pk_add_f16 v51, v48, 0
	v_pk_min_f16 v48, v25, v7
	v_pk_min_f16 v50, v25, v15
	v_pk_add_f16 v53, v49, 0
	v_pk_min_f16 v49, v37, v9
	v_pk_max_f16 v39, v39, v39
	v_pk_add_f16 v52, v48, 0
	v_pk_min_f16 v48, v37, v7
	v_pk_max_f16 v11, v11, v11
	v_pk_max_f16 v8, v8, v8
	;; [unrolled: 1-line block ×3, first 2 shown]
	v_pk_min_f16 v28, v13, v9
	v_pk_add_f16 v59, v48, 0
	v_pk_min_f16 v48, v37, v15
	v_pk_min_f16 v37, v37, v17
	v_pk_min_f16 v29, v13, v15
	v_pk_min_f16 v36, v19, v7
	v_pk_min_f16 v41, v19, v9
	v_pk_min_f16 v42, v19, v15
	v_pk_min_f16 v19, v19, v17
	v_pk_min_f16 v43, v21, v7
	v_pk_min_f16 v44, v21, v9
	v_pk_min_f16 v45, v21, v15
	v_pk_add_f16 v27, v27, 0
	v_pk_min_f16 v21, v21, v17
	v_pk_min_f16 v46, v23, v7
	;; [unrolled: 1-line block ×5, first 2 shown]
	v_pk_add_f16 v54, v50, 0
	v_pk_add_f16 v60, v49, 0
	v_pk_min_f16 v49, v39, v7
	v_pk_min_f16 v50, v39, v9
	v_pk_add_f16 v66, v37, 0
	v_pk_min_f16 v37, v39, v15
	v_pk_min_f16 v39, v39, v17
	;; [unrolled: 1-line block ×6, first 2 shown]
	v_pk_max_f16 v10, v10, v10
	v_pk_min_f16 v13, v13, v17
	v_pk_min_f16 v17, v14, v8
	v_pk_add_f16 v28, v28, 0
	v_pk_add_f16 v72, v37, 0
	v_pk_max_f16 v16, v16, v16
	v_pk_min_f16 v37, v14, v10
	v_pk_max_f16 v20, v20, v20
	v_pk_add_f16 v68, v27, v17
	v_pk_max_f16 v17, v18, v18
	v_pk_add_f16 v36, v36, 0
	v_pk_add_f16 v19, v19, 0
	;; [unrolled: 1-line block ×3, first 2 shown]
	v_pk_min_f16 v18, v20, v8
	v_pk_min_f16 v27, v20, v10
	;; [unrolled: 1-line block ×4, first 2 shown]
	v_pk_max_f16 v22, v22, v22
	v_pk_add_f16 v41, v41, 0
	v_pk_add_f16 v43, v43, 0
	;; [unrolled: 1-line block ×8, first 2 shown]
	v_pk_min_f16 v18, v22, v8
	v_pk_min_f16 v19, v22, v10
	;; [unrolled: 1-line block ×4, first 2 shown]
	v_pk_max_f16 v24, v24, v24
	v_pk_add_f16 v29, v29, 0
	v_pk_add_f16 v46, v46, 0
	;; [unrolled: 1-line block ×6, first 2 shown]
	v_pk_min_f16 v39, v14, v16
	v_pk_add_f16 v67, v41, v27
	v_pk_add_f16 v41, v43, v18
	v_pk_add_f16 v65, v44, v19
	v_pk_add_f16 v56, v45, v20
	v_pk_add_f16 v48, v21, v22
	v_pk_min_f16 v18, v24, v8
	v_pk_min_f16 v19, v24, v10
	;; [unrolled: 1-line block ×4, first 2 shown]
	v_pk_max_f16 v22, v26, v26
	v_pk_add_f16 v25, v25, 0
	v_pk_add_f16 v71, v50, 0
	;; [unrolled: 1-line block ×7, first 2 shown]
	v_pk_min_f16 v18, v22, v8
	v_pk_min_f16 v19, v22, v10
	;; [unrolled: 1-line block ×4, first 2 shown]
	v_pk_max_f16 v22, v38, v38
	v_pk_add_f16 v37, v52, v18
	v_pk_add_f16 v63, v53, v19
	;; [unrolled: 1-line block ×4, first 2 shown]
	v_pk_min_f16 v18, v22, v8
	v_pk_min_f16 v19, v22, v10
	;; [unrolled: 1-line block ×4, first 2 shown]
	v_pk_max_f16 v22, v40, v40
	v_pk_max_f16 v12, v12, v12
	v_pk_add_f16 v42, v42, 0
	v_pk_add_f16 v7, v7, 0
	v_pk_add_f16 v9, v9, 0
	v_pk_add_f16 v15, v15, 0
	v_pk_add_f16 v11, v11, 0
	v_pk_add_f16 v13, v13, 0
	v_pk_add_f16 v36, v59, v18
	v_pk_add_f16 v62, v60, v19
	v_pk_add_f16 v53, v61, v20
	v_pk_add_f16 v45, v66, v21
	v_pk_min_f16 v18, v22, v8
	v_pk_min_f16 v19, v22, v10
	;; [unrolled: 1-line block ×9, first 2 shown]
	v_pk_add_f16 v57, v42, v28
	v_pk_add_f16 v38, v70, v18
	;; [unrolled: 1-line block ×10, first 2 shown]
	s_cbranch_scc1 .LBB293_36
; %bb.22:
	v_lshl_add_u32 v1, s14, 6, v1
	s_lshl_b32 s2, s29, 6
	v_mad_i64_i32 v[6:7], null, v2, s30, 0
	v_add_nc_u32_e32 v59, 0x800, v35
	s_delay_alu instid0(VALU_DEP_3)
	v_subrev_nc_u32_e32 v1, s2, v1
	v_add_nc_u32_e32 v66, 0x800, v34
	v_add_nc_u32_e32 v70, 0xa00, v35
	;; [unrolled: 1-line block ×3, first 2 shown]
	v_lshl_add_u32 v72, v30, 3, 0xa00
	v_mad_i64_i32 v[4:5], null, s28, v1, 0
	v_lshlrev_b64 v[24:25], 1, v[6:7]
	v_lshl_add_u32 v73, v31, 3, 0x400
	s_delay_alu instid0(VALU_DEP_3) | instskip(SKIP_1) | instid1(VALU_DEP_2)
	v_lshlrev_b64 v[1:2], 1, v[4:5]
	v_mad_i64_i32 v[4:5], null, v3, s30, 0
	v_add_co_u32 v0, s2, v1, v0
	s_delay_alu instid0(VALU_DEP_1) | instskip(NEXT) | instid1(VALU_DEP_3)
	v_add_co_ci_u32_e64 v1, s2, 0, v2, s2
	v_lshlrev_b64 v[26:27], 1, v[4:5]
	s_delay_alu instid0(VALU_DEP_3) | instskip(NEXT) | instid1(VALU_DEP_1)
	v_add_co_u32 v0, s2, v0, s12
	v_add_co_ci_u32_e64 v1, s2, s13, v1, s2
	s_add_i32 s12, s18, -8
	s_delay_alu instid0(VALU_DEP_2) | instskip(NEXT) | instid1(VALU_DEP_1)
	v_add_co_u32 v28, s2, v0, 24
	v_add_co_ci_u32_e64 v29, s2, 0, v1, s2
	s_branch .LBB293_24
.LBB293_23:                             ;   in Loop: Header=BB293_24 Depth=1
	s_or_b32 exec_lo, exec_lo, s3
	v_pk_add_f16 v8, v41, v8
	v_pk_add_f16 v41, v65, v78
	;; [unrolled: 1-line block ×26, first 2 shown]
	ds_load_2addr_b64 v[37:40], v66 offset0:48 offset1:56
	ds_load_2addr_b64 v[41:44], v33 offset1:32
	v_pk_add_f16 v9, v47, v9
	ds_load_2addr_b64 v[45:48], v33 offset0:64 offset1:96
	v_pk_add_f16 v6, v62, v6
	v_pk_add_f16 v62, v52, v92
	;; [unrolled: 1-line block ×5, first 2 shown]
	ds_load_2addr_b64 v[49:52], v66 offset1:8
	v_pk_add_f16 v53, v53, v88
	v_pk_add_f16 v60, v60, v95
	;; [unrolled: 1-line block ×10, first 2 shown]
	s_waitcnt lgkmcnt(3)
	v_pk_max_f16 v39, v39, v39
	s_waitcnt lgkmcnt(2)
	v_pk_max_f16 v41, v41, v41
	v_pk_max_f16 v43, v43, v43
	s_waitcnt lgkmcnt(1)
	v_pk_max_f16 v45, v45, v45
	v_pk_add_f16 v57, v57, v5
	v_pk_add_f16 v11, v58, v11
	;; [unrolled: 1-line block ×5, first 2 shown]
	v_pk_min_f16 v5, v39, v41
	v_pk_min_f16 v6, v39, v43
	;; [unrolled: 1-line block ×3, first 2 shown]
	ds_load_2addr_b64 v[1:4], v66 offset0:16 offset1:24
	s_waitcnt lgkmcnt(1)
	v_pk_max_f16 v8, v49, v49
	v_pk_max_f16 v47, v47, v47
	v_pk_add_f16 v14, v14, v108
	v_pk_add_f16 v18, v18, v109
	;; [unrolled: 1-line block ×7, first 2 shown]
	v_pk_min_f16 v5, v8, v41
	v_pk_min_f16 v6, v8, v43
	;; [unrolled: 1-line block ×4, first 2 shown]
	v_pk_add_f16 v61, v61, v91
	v_pk_add_f16 v14, v14, v5
	;; [unrolled: 1-line block ×5, first 2 shown]
	ds_load_2addr_b64 v[5:8], v66 offset0:32 offset1:40
	s_waitcnt lgkmcnt(1)
	v_pk_max_f16 v1, v1, v1
	v_pk_add_f16 v10, v10, v117
	v_pk_add_f16 v23, v65, v23
	v_pk_max_f16 v51, v51, v51
	v_pk_max_f16 v3, v3, v3
	v_pk_min_f16 v65, v1, v43
	v_pk_add_f16 v36, v36, v87
	v_pk_add_f16 v55, v55, v99
	v_pk_add_f16 v13, v61, v13
	v_pk_add_f16 v15, v62, v15
	v_pk_add_f16 v19, v64, v19
	v_pk_min_f16 v61, v51, v41
	v_pk_min_f16 v62, v51, v43
	;; [unrolled: 1-line block ×5, first 2 shown]
	v_pk_add_f16 v10, v10, v65
	v_pk_min_f16 v65, v3, v43
	v_pk_add_f16 v56, v56, v101
	s_waitcnt lgkmcnt(0)
	v_pk_max_f16 v5, v5, v5
	v_pk_add_f16 v36, v36, v102
	v_pk_add_f16 v61, v76, v61
	;; [unrolled: 1-line block ×5, first 2 shown]
	v_pk_min_f16 v9, v3, v41
	v_pk_min_f16 v67, v3, v45
	;; [unrolled: 1-line block ×3, first 2 shown]
	v_pk_add_f16 v77, v55, v65
	v_pk_min_f16 v55, v5, v41
	v_pk_add_f16 v17, v63, v17
	v_pk_min_f16 v63, v51, v45
	;; [unrolled: 2-line block ×3, first 2 shown]
	v_pk_max_f16 v7, v7, v7
	v_pk_add_f16 v36, v36, v55
	v_pk_min_f16 v55, v5, v45
	v_pk_max_f16 v37, v37, v37
	v_pk_add_f16 v63, v78, v63
	v_pk_add_f16 v78, v83, v56
	v_pk_min_f16 v56, v7, v41
	v_pk_min_f16 v65, v7, v43
	v_pk_add_f16 v53, v53, v55
	v_pk_min_f16 v55, v7, v45
	v_pk_min_f16 v7, v7, v47
	;; [unrolled: 1-line block ×6, first 2 shown]
	v_pk_add_f16 v7, v17, v7
	v_pk_add_f16 v17, v19, v41
	;; [unrolled: 1-line block ×3, first 2 shown]
	v_pk_max_f16 v40, v40, v40
	v_pk_max_f16 v43, v44, v44
	v_pk_add_f16 v51, v79, v51
	v_pk_add_f16 v21, v23, v45
	v_pk_min_f16 v23, v37, v47
	v_pk_max_f16 v42, v42, v42
	v_pk_min_f16 v37, v39, v47
	v_pk_max_f16 v79, v46, v46
	v_pk_min_f16 v41, v40, v43
	v_pk_add_f16 v54, v54, v85
	v_pk_add_f16 v64, v80, v64
	;; [unrolled: 1-line block ×3, first 2 shown]
	v_pk_min_f16 v39, v40, v42
	v_pk_add_f16 v80, v60, v37
	v_pk_min_f16 v37, v40, v79
	v_pk_max_f16 v44, v50, v50
	v_pk_add_f16 v58, v12, v41
	v_pk_max_f16 v12, v48, v48
	v_pk_add_f16 v54, v54, v100
	v_pk_add_f16 v68, v49, v39
	;; [unrolled: 1-line block ×3, first 2 shown]
	v_pk_min_f16 v16, v44, v42
	v_pk_min_f16 v37, v44, v43
	;; [unrolled: 1-line block ×4, first 2 shown]
	v_pk_max_f16 v44, v52, v52
	v_pk_add_f16 v54, v54, v67
	v_pk_add_f16 v69, v14, v16
	;; [unrolled: 1-line block ×3, first 2 shown]
	v_pk_max_f16 v2, v2, v2
	v_pk_min_f16 v14, v44, v42
	v_pk_min_f16 v16, v44, v43
	;; [unrolled: 1-line block ×4, first 2 shown]
	v_pk_add_f16 v11, v11, v56
	v_pk_add_f16 v13, v13, v65
	;; [unrolled: 1-line block ×6, first 2 shown]
	v_pk_min_f16 v14, v2, v42
	v_pk_min_f16 v16, v2, v43
	;; [unrolled: 1-line block ×4, first 2 shown]
	v_pk_max_f16 v4, v4, v4
	v_pk_add_f16 v9, v82, v9
	v_pk_add_f16 v5, v57, v5
	;; [unrolled: 1-line block ×6, first 2 shown]
	v_pk_min_f16 v1, v4, v42
	v_pk_min_f16 v2, v4, v43
	;; [unrolled: 1-line block ×4, first 2 shown]
	v_pk_max_f16 v6, v6, v6
	v_pk_add_f16 v37, v9, v1
	v_pk_add_f16 v63, v77, v2
	;; [unrolled: 1-line block ×4, first 2 shown]
	v_pk_min_f16 v1, v6, v42
	v_pk_min_f16 v2, v6, v43
	;; [unrolled: 1-line block ×4, first 2 shown]
	v_pk_max_f16 v6, v8, v8
	v_pk_add_f16 v36, v36, v1
	v_pk_add_f16 v62, v78, v2
	v_pk_add_f16 v53, v53, v3
	v_pk_add_f16 v45, v5, v4
	v_pk_min_f16 v1, v6, v42
	v_pk_min_f16 v2, v6, v43
	;; [unrolled: 1-line block ×4, first 2 shown]
	v_pk_max_f16 v5, v38, v38
	v_pk_min_f16 v20, v44, v12
	v_pk_add_f16 v38, v11, v1
	v_pk_add_f16 v61, v13, v2
	v_pk_add_f16 v52, v15, v3
	v_pk_add_f16 v44, v7, v4
	v_pk_min_f16 v1, v5, v42
	v_pk_min_f16 v2, v5, v43
	;; [unrolled: 1-line block ×5, first 2 shown]
	v_add_co_u32 v28, s2, v28, 16
	v_pk_add_f16 v48, v51, v20
	v_pk_add_f16 v55, v76, v18
	;; [unrolled: 1-line block ×8, first 2 shown]
	v_add_co_ci_u32_e64 v29, s2, 0, v29, s2
	s_add_i32 s27, s27, 8
	ds_store_b16 v70, v74
	ds_store_b16 v71, v75
	ds_store_b16 v71, v0 offset:512
	s_cmp_ge_i32 s27, s12
	s_waitcnt lgkmcnt(0)
	s_barrier
	buffer_gl0_inv
	s_cbranch_scc1 .LBB293_36
.LBB293_24:                             ; =>This Inner Loop Header: Depth=1
	v_dual_mov_b32 v75, 0 :: v_dual_add_nc_u32 v74, s27, v32
	s_delay_alu instid0(VALU_DEP_1) | instskip(NEXT) | instid1(VALU_DEP_1)
	v_add_nc_u32_e32 v0, 8, v74
	v_cmp_gt_i32_e64 s2, s18, v0
	s_delay_alu instid0(VALU_DEP_1) | instskip(NEXT) | instid1(SALU_CYCLE_1)
	s_and_b32 s2, s2, vcc_lo
	s_and_b32 s2, s23, s2
	s_delay_alu instid0(SALU_CYCLE_1)
	s_and_saveexec_b32 s3, s2
	s_cbranch_execz .LBB293_26
; %bb.25:                               ;   in Loop: Header=BB293_24 Depth=1
	v_add_co_u32 v1, s2, -8, v28
	s_delay_alu instid0(VALU_DEP_1)
	v_add_co_ci_u32_e64 v2, s2, -1, v29, s2
	flat_load_u16 v1, v[1:2]
	s_waitcnt vmcnt(0) lgkmcnt(0)
	v_mul_f16_e32 v75, s19, v1
.LBB293_26:                             ;   in Loop: Header=BB293_24 Depth=1
	s_or_b32 exec_lo, exec_lo, s3
	v_min_i32_e32 v1, s24, v0
	v_cmp_le_i32_e64 s2, s18, v0
	v_dual_mov_b32 v76, 0 :: v_dual_mov_b32 v77, 0
	s_delay_alu instid0(VALU_DEP_3) | instskip(NEXT) | instid1(VALU_DEP_1)
	v_ashrrev_i32_e32 v2, 31, v1
	v_lshlrev_b64 v[1:2], 1, v[1:2]
	s_delay_alu instid0(VALU_DEP_1) | instskip(NEXT) | instid1(VALU_DEP_1)
	v_add_co_u32 v0, s3, s8, v1
	v_add_co_ci_u32_e64 v1, s3, s9, v2, s3
	s_or_b32 s3, s25, s2
	s_delay_alu instid0(SALU_CYCLE_1) | instskip(NEXT) | instid1(SALU_CYCLE_1)
	s_xor_b32 s3, s3, -1
	s_and_saveexec_b32 s13, s3
	s_cbranch_execz .LBB293_28
; %bb.27:                               ;   in Loop: Header=BB293_24 Depth=1
	v_add_co_u32 v2, s3, v0, v24
	s_delay_alu instid0(VALU_DEP_1)
	v_add_co_ci_u32_e64 v3, s3, v1, v25, s3
	flat_load_u16 v2, v[2:3]
	s_waitcnt vmcnt(0) lgkmcnt(0)
	v_mul_f16_e32 v77, s19, v2
.LBB293_28:                             ;   in Loop: Header=BB293_24 Depth=1
	s_or_b32 exec_lo, exec_lo, s13
	s_or_b32 s2, s26, s2
	s_delay_alu instid0(SALU_CYCLE_1) | instskip(NEXT) | instid1(SALU_CYCLE_1)
	s_xor_b32 s2, s2, -1
	s_and_saveexec_b32 s3, s2
	s_cbranch_execz .LBB293_30
; %bb.29:                               ;   in Loop: Header=BB293_24 Depth=1
	v_add_co_u32 v0, s2, v0, v26
	s_delay_alu instid0(VALU_DEP_1)
	v_add_co_ci_u32_e64 v1, s2, v1, v27, s2
	flat_load_u16 v0, v[0:1]
	s_waitcnt vmcnt(0) lgkmcnt(0)
	v_mul_f16_e32 v76, s19, v0
.LBB293_30:                             ;   in Loop: Header=BB293_24 Depth=1
	s_or_b32 exec_lo, exec_lo, s3
	ds_load_2addr_b64 v[0:3], v72 offset0:48 offset1:56
	ds_load_2addr_b64 v[12:15], v73 offset0:64 offset1:96
	ds_load_2addr_b64 v[20:23], v73 offset1:32
	ds_load_2addr_b64 v[16:19], v72 offset1:8
	ds_load_2addr_b64 v[8:11], v72 offset0:16 offset1:24
	ds_load_2addr_b64 v[4:7], v72 offset0:32 offset1:40
	v_add_nc_u32_e32 v78, 12, v74
	ds_store_b16 v59, v75
	ds_store_b16 v35, v77
	ds_store_b16 v35, v76 offset:512
	v_dual_mov_b32 v75, 0 :: v_dual_mov_b32 v74, 0
	s_waitcnt lgkmcnt(0)
	v_cmp_gt_i32_e64 s2, s18, v78
	s_barrier
	buffer_gl0_inv
	s_and_b32 s2, s2, vcc_lo
	s_delay_alu instid0(SALU_CYCLE_1) | instskip(NEXT) | instid1(SALU_CYCLE_1)
	s_and_b32 s3, s23, s2
	s_and_saveexec_b32 s2, s3
	s_cbranch_execz .LBB293_32
; %bb.31:                               ;   in Loop: Header=BB293_24 Depth=1
	flat_load_u16 v74, v[28:29]
	s_waitcnt vmcnt(0) lgkmcnt(0)
	v_mul_f16_e32 v74, s19, v74
.LBB293_32:                             ;   in Loop: Header=BB293_24 Depth=1
	s_or_b32 exec_lo, exec_lo, s2
	v_min_i32_e32 v76, s24, v78
	v_cmp_le_i32_e64 s2, s18, v78
	s_delay_alu instid0(VALU_DEP_2) | instskip(NEXT) | instid1(VALU_DEP_1)
	v_ashrrev_i32_e32 v77, 31, v76
	v_lshlrev_b64 v[76:77], 1, v[76:77]
	s_delay_alu instid0(VALU_DEP_1) | instskip(NEXT) | instid1(VALU_DEP_1)
	v_add_co_u32 v76, s3, s8, v76
	v_add_co_ci_u32_e64 v77, s3, s9, v77, s3
	s_or_b32 s3, s25, s2
	s_delay_alu instid0(SALU_CYCLE_1) | instskip(NEXT) | instid1(SALU_CYCLE_1)
	s_xor_b32 s3, s3, -1
	s_and_saveexec_b32 s13, s3
	s_cbranch_execz .LBB293_34
; %bb.33:                               ;   in Loop: Header=BB293_24 Depth=1
	v_add_co_u32 v78, s3, v76, v24
	s_delay_alu instid0(VALU_DEP_1)
	v_add_co_ci_u32_e64 v79, s3, v77, v25, s3
	flat_load_u16 v75, v[78:79]
	s_waitcnt vmcnt(0) lgkmcnt(0)
	v_mul_f16_e32 v75, s19, v75
.LBB293_34:                             ;   in Loop: Header=BB293_24 Depth=1
	s_or_b32 exec_lo, exec_lo, s13
	v_pk_max_f16 v98, v2, v2
	v_pk_max_f16 v94, v20, v20
	;; [unrolled: 1-line block ×12, first 2 shown]
	v_pk_min_f16 v2, v98, v94
	v_pk_min_f16 v12, v98, v95
	;; [unrolled: 1-line block ×25, first 2 shown]
	v_pk_max_f16 v0, v3, v3
	v_pk_max_f16 v21, v21, v21
	v_pk_max_f16 v23, v23, v23
	v_pk_max_f16 v119, v13, v13
	v_pk_max_f16 v3, v17, v17
	v_pk_max_f16 v120, v15, v15
	v_pk_max_f16 v13, v19, v19
	v_pk_max_f16 v11, v11, v11
	v_pk_max_f16 v5, v5, v5
	v_pk_min_f16 v108, v3, v21
	v_pk_min_f16 v109, v3, v23
	;; [unrolled: 1-line block ×4, first 2 shown]
	v_pk_max_f16 v3, v9, v9
	v_pk_max_f16 v7, v7, v7
	;; [unrolled: 1-line block ×3, first 2 shown]
	v_pk_min_f16 v22, v22, v99
	v_pk_min_f16 v80, v80, v99
	;; [unrolled: 1-line block ×35, first 2 shown]
	v_mov_b32_e32 v0, 0
	s_or_b32 s2, s26, s2
	s_delay_alu instid0(SALU_CYCLE_1) | instskip(NEXT) | instid1(SALU_CYCLE_1)
	s_xor_b32 s2, s2, -1
	s_and_saveexec_b32 s3, s2
	s_cbranch_execz .LBB293_23
; %bb.35:                               ;   in Loop: Header=BB293_24 Depth=1
	v_add_co_u32 v76, s2, v76, v26
	s_delay_alu instid0(VALU_DEP_1)
	v_add_co_ci_u32_e64 v77, s2, v77, v27, s2
	flat_load_u16 v0, v[76:77]
	s_waitcnt vmcnt(0) lgkmcnt(0)
	v_mul_f16_e32 v0, s19, v0
	s_branch .LBB293_23
.LBB293_36:
	s_clause 0x2
	s_load_b64 s[2:3], s[0:1], 0x70
	s_load_b32 s12, s[0:1], 0x50
	s_load_b32 s9, s[0:1], 0x68
	v_add_nc_u32_e32 v66, s5, v31
	v_add_nc_u32_e32 v8, 0x800, v34
	ds_load_2addr_b64 v[0:3], v33 offset0:192 offset1:224
	ds_load_2addr_b64 v[20:23], v33 offset0:128 offset1:160
	v_add_nc_u32_e32 v24, s4, v30
	ds_load_2addr_b64 v[4:7], v8 offset0:112 offset1:120
	ds_load_2addr_b64 v[16:19], v8 offset0:64 offset1:72
	;; [unrolled: 1-line block ×4, first 2 shown]
	v_cmp_gt_i32_e64 s8, s17, v66
	v_cndmask_b32_e64 v59, 0, 1, s21
	s_waitcnt lgkmcnt(0)
	s_mul_i32 s0, s15, s3
	v_mad_i64_i32 v[25:26], null, v66, s12, 0
	v_mad_i64_i32 v[27:28], null, v66, s9, 0
	s_mul_hi_u32 s1, s15, s2
	s_mul_i32 s3, s22, s2
	s_add_i32 s1, s1, s0
	s_mul_i32 s0, s15, s2
	s_delay_alu instid0(VALU_DEP_2) | instskip(SKIP_1) | instid1(VALU_DEP_2)
	v_lshlrev_b64 v[25:26], 1, v[25:26]
	s_add_i32 s1, s1, s3
	v_lshlrev_b64 v[27:28], 1, v[27:28]
	s_lshl_b64 s[0:1], s[0:1], 1
	s_delay_alu instid0(SALU_CYCLE_1) | instskip(NEXT) | instid1(VALU_DEP_2)
	s_add_u32 s13, s6, s0
	v_add_co_u32 v72, vcc_lo, s10, v25
	v_add_co_ci_u32_e32 v73, vcc_lo, s11, v26, vcc_lo
	s_addc_u32 s14, s7, s1
	v_add_co_u32 v70, vcc_lo, s13, v27
	v_cmp_gt_i32_e64 s0, s16, v24
	v_add_co_ci_u32_e32 v71, vcc_lo, s14, v28, vcc_lo
	v_ashrrev_i32_e32 v25, 31, v24
	s_delay_alu instid0(VALU_DEP_3) | instskip(NEXT) | instid1(SALU_CYCLE_1)
	s_and_b32 s2, s0, s8
	s_and_saveexec_b32 s1, s2
	s_cbranch_execz .LBB293_41
; %bb.37:
	s_delay_alu instid0(VALU_DEP_1)
	v_lshlrev_b64 v[26:27], 1, v[24:25]
	s_and_not1_b32 vcc_lo, exec_lo, s21
	s_cbranch_vccnz .LBB293_39
; %bb.38:
	s_delay_alu instid0(VALU_DEP_1) | instskip(NEXT) | instid1(VALU_DEP_2)
	v_add_co_u32 v28, vcc_lo, v72, v26
	v_add_co_ci_u32_e32 v29, vcc_lo, v73, v27, vcc_lo
	flat_load_u16 v28, v[28:29]
	s_waitcnt vmcnt(0) lgkmcnt(0)
	v_mul_f16_e32 v28, s20, v28
	s_branch .LBB293_40
.LBB293_39:
	v_mov_b32_e32 v28, 0
.LBB293_40:
	v_pk_max_f16 v29, v20, v20
	v_pk_max_f16 v30, v16, v16
	;; [unrolled: 1-line block ×4, first 2 shown]
	v_add_co_u32 v26, vcc_lo, v70, v26
	s_delay_alu instid0(VALU_DEP_4) | instskip(SKIP_1) | instid1(VALU_DEP_4)
	v_pk_min_f16 v29, v30, v29
	v_add_co_ci_u32_e32 v27, vcc_lo, v71, v27, vcc_lo
	v_pk_min_f16 v30, v32, v31
	s_delay_alu instid0(VALU_DEP_3) | instskip(NEXT) | instid1(VALU_DEP_1)
	v_pk_add_f16 v29, v69, v29
	v_pk_add_f16 v29, v29, v30
	s_delay_alu instid0(VALU_DEP_1) | instskip(NEXT) | instid1(VALU_DEP_1)
	v_lshrrev_b32_e32 v30, 16, v29
	v_add_f16_e32 v29, v29, v30
	s_delay_alu instid0(VALU_DEP_1)
	v_add_f16_e32 v28, v29, v28
	global_store_b16 v[26:27], v28, off
.LBB293_41:
	s_or_b32 exec_lo, exec_lo, s1
	v_add_nc_u32_e32 v26, 8, v24
	s_delay_alu instid0(VALU_DEP_1) | instskip(SKIP_1) | instid1(VALU_DEP_2)
	v_cmp_gt_i32_e64 s1, s16, v26
	v_ashrrev_i32_e32 v27, 31, v26
	s_and_b32 s3, s1, s8
	s_delay_alu instid0(SALU_CYCLE_1)
	s_and_saveexec_b32 s2, s3
	s_cbranch_execz .LBB293_46
; %bb.42:
	v_cmp_ne_u32_e32 vcc_lo, 1, v59
	v_lshlrev_b64 v[28:29], 1, v[26:27]
	s_cbranch_vccnz .LBB293_44
; %bb.43:
	s_delay_alu instid0(VALU_DEP_1) | instskip(NEXT) | instid1(VALU_DEP_2)
	v_add_co_u32 v30, vcc_lo, v72, v28
	v_add_co_ci_u32_e32 v31, vcc_lo, v73, v29, vcc_lo
	flat_load_u16 v30, v[30:31]
	s_waitcnt vmcnt(0) lgkmcnt(0)
	v_mul_f16_e32 v30, s20, v30
	s_branch .LBB293_45
.LBB293_44:
	v_mov_b32_e32 v30, 0
.LBB293_45:
	v_pk_max_f16 v31, v20, v20
	v_pk_max_f16 v32, v18, v18
	v_pk_max_f16 v33, v21, v21
	v_pk_max_f16 v34, v19, v19
	v_add_co_u32 v28, vcc_lo, v70, v28
	s_delay_alu instid0(VALU_DEP_4) | instskip(SKIP_1) | instid1(VALU_DEP_4)
	v_pk_min_f16 v31, v32, v31
	v_add_co_ci_u32_e32 v29, vcc_lo, v71, v29, vcc_lo
	v_pk_min_f16 v32, v34, v33
	s_delay_alu instid0(VALU_DEP_3) | instskip(NEXT) | instid1(VALU_DEP_1)
	v_pk_add_f16 v31, v41, v31
	v_pk_add_f16 v31, v31, v32
	s_delay_alu instid0(VALU_DEP_1) | instskip(NEXT) | instid1(VALU_DEP_1)
	v_lshrrev_b32_e32 v32, 16, v31
	v_add_f16_e32 v31, v31, v32
	s_delay_alu instid0(VALU_DEP_1)
	v_add_f16_e32 v30, v31, v30
	global_store_b16 v[28:29], v30, off
.LBB293_46:
	s_or_b32 exec_lo, exec_lo, s2
	v_add_nc_u32_e32 v28, 16, v24
	s_delay_alu instid0(VALU_DEP_1) | instskip(SKIP_1) | instid1(VALU_DEP_2)
	v_cmp_gt_i32_e64 s2, s16, v28
	v_ashrrev_i32_e32 v29, 31, v28
	s_and_b32 s4, s2, s8
	s_delay_alu instid0(SALU_CYCLE_1)
	s_and_saveexec_b32 s3, s4
	s_cbranch_execz .LBB293_51
; %bb.47:
	v_cmp_ne_u32_e32 vcc_lo, 1, v59
	v_lshlrev_b64 v[30:31], 1, v[28:29]
	s_cbranch_vccnz .LBB293_49
; %bb.48:
	s_delay_alu instid0(VALU_DEP_1) | instskip(NEXT) | instid1(VALU_DEP_2)
	v_add_co_u32 v32, vcc_lo, v72, v30
	v_add_co_ci_u32_e32 v33, vcc_lo, v73, v31, vcc_lo
	flat_load_u16 v32, v[32:33]
	s_waitcnt vmcnt(0) lgkmcnt(0)
	v_mul_f16_e32 v32, s20, v32
	s_branch .LBB293_50
.LBB293_49:
	v_mov_b32_e32 v32, 0
.LBB293_50:
	v_pk_max_f16 v33, v20, v20
	v_pk_max_f16 v34, v12, v12
	v_pk_max_f16 v35, v21, v21
	v_pk_max_f16 v41, v13, v13
	v_add_co_u32 v30, vcc_lo, v70, v30
	s_delay_alu instid0(VALU_DEP_4) | instskip(SKIP_1) | instid1(VALU_DEP_4)
	v_pk_min_f16 v33, v34, v33
	v_add_co_ci_u32_e32 v31, vcc_lo, v71, v31, vcc_lo
	v_pk_min_f16 v34, v41, v35
	s_delay_alu instid0(VALU_DEP_3) | instskip(NEXT) | instid1(VALU_DEP_1)
	v_pk_add_f16 v33, v39, v33
	v_pk_add_f16 v33, v33, v34
	s_delay_alu instid0(VALU_DEP_1) | instskip(NEXT) | instid1(VALU_DEP_1)
	v_lshrrev_b32_e32 v34, 16, v33
	v_add_f16_e32 v33, v33, v34
	s_delay_alu instid0(VALU_DEP_1)
	v_add_f16_e32 v32, v33, v32
	global_store_b16 v[30:31], v32, off
.LBB293_51:
	;; [unrolled: 43-line block ×6, first 2 shown]
	s_or_b32 exec_lo, exec_lo, s7
	v_add_nc_u32_e32 v38, 56, v24
	s_delay_alu instid0(VALU_DEP_1) | instskip(SKIP_1) | instid1(VALU_DEP_2)
	v_cmp_gt_i32_e64 s7, s16, v38
	v_ashrrev_i32_e32 v39, 31, v38
	s_and_b32 s15, s7, s8
	s_delay_alu instid0(SALU_CYCLE_1)
	s_and_saveexec_b32 s8, s15
	s_cbranch_execz .LBB293_76
; %bb.72:
	v_cmp_ne_u32_e32 vcc_lo, 1, v59
	v_lshlrev_b64 v[40:41], 1, v[38:39]
	s_cbranch_vccnz .LBB293_74
; %bb.73:
	s_delay_alu instid0(VALU_DEP_1) | instskip(NEXT) | instid1(VALU_DEP_2)
	v_add_co_u32 v72, vcc_lo, v72, v40
	v_add_co_ci_u32_e32 v73, vcc_lo, v73, v41, vcc_lo
	flat_load_u16 v69, v[72:73]
	s_waitcnt vmcnt(0) lgkmcnt(0)
	v_mul_f16_e32 v69, s20, v69
	s_branch .LBB293_75
.LBB293_74:
	v_mov_b32_e32 v69, 0
.LBB293_75:
	v_pk_max_f16 v20, v20, v20
	v_pk_max_f16 v72, v6, v6
	;; [unrolled: 1-line block ×4, first 2 shown]
	s_delay_alu instid0(VALU_DEP_3) | instskip(NEXT) | instid1(VALU_DEP_2)
	v_pk_min_f16 v20, v72, v20
	v_pk_min_f16 v21, v73, v21
	s_delay_alu instid0(VALU_DEP_2) | instskip(NEXT) | instid1(VALU_DEP_1)
	v_pk_add_f16 v20, v68, v20
	v_pk_add_f16 v20, v20, v21
	s_delay_alu instid0(VALU_DEP_1) | instskip(NEXT) | instid1(VALU_DEP_1)
	v_lshrrev_b32_e32 v21, 16, v20
	v_add_f16_e32 v20, v20, v21
	s_delay_alu instid0(VALU_DEP_1)
	v_add_f16_e32 v68, v20, v69
	v_add_co_u32 v20, vcc_lo, v70, v40
	v_add_co_ci_u32_e32 v21, vcc_lo, v71, v41, vcc_lo
	global_store_b16 v[20:21], v68, off
.LBB293_76:
	s_or_b32 exec_lo, exec_lo, s8
	v_add_nc_u32_e32 v68, 32, v66
	s_delay_alu instid0(VALU_DEP_1) | instskip(SKIP_2) | instid1(VALU_DEP_3)
	v_mad_i64_i32 v[20:21], null, v68, s12, 0
	v_mad_i64_i32 v[40:41], null, v68, s9, 0
	v_cmp_gt_i32_e64 s8, s17, v68
	v_lshlrev_b64 v[20:21], 1, v[20:21]
	s_delay_alu instid0(VALU_DEP_2) | instskip(NEXT) | instid1(VALU_DEP_3)
	s_and_b32 s16, s0, s8
	v_lshlrev_b64 v[40:41], 1, v[40:41]
	s_delay_alu instid0(VALU_DEP_2) | instskip(NEXT) | instid1(VALU_DEP_3)
	v_add_co_u32 v68, vcc_lo, s10, v20
	v_add_co_ci_u32_e32 v69, vcc_lo, s11, v21, vcc_lo
	s_delay_alu instid0(VALU_DEP_3) | instskip(NEXT) | instid1(VALU_DEP_4)
	v_add_co_u32 v40, vcc_lo, s13, v40
	v_add_co_ci_u32_e32 v41, vcc_lo, s14, v41, vcc_lo
	s_and_saveexec_b32 s15, s16
	s_cbranch_execnz .LBB293_84
; %bb.77:
	s_or_b32 exec_lo, exec_lo, s15
	s_and_b32 s16, s1, s8
	s_delay_alu instid0(SALU_CYCLE_1)
	s_and_saveexec_b32 s15, s16
	s_cbranch_execnz .LBB293_88
.LBB293_78:
	s_or_b32 exec_lo, exec_lo, s15
	s_and_b32 s16, s2, s8
	s_delay_alu instid0(SALU_CYCLE_1)
	s_and_saveexec_b32 s15, s16
	s_cbranch_execnz .LBB293_92
.LBB293_79:
	s_or_b32 exec_lo, exec_lo, s15
	s_and_b32 s16, s3, s8
	s_delay_alu instid0(SALU_CYCLE_1)
	s_and_saveexec_b32 s15, s16
	s_cbranch_execnz .LBB293_96
.LBB293_80:
	s_or_b32 exec_lo, exec_lo, s15
	s_and_b32 s16, s4, s8
	s_delay_alu instid0(SALU_CYCLE_1)
	s_and_saveexec_b32 s15, s16
	s_cbranch_execnz .LBB293_100
.LBB293_81:
	s_or_b32 exec_lo, exec_lo, s15
	s_and_b32 s16, s5, s8
	s_delay_alu instid0(SALU_CYCLE_1)
	s_and_saveexec_b32 s15, s16
	s_cbranch_execnz .LBB293_104
.LBB293_82:
	s_or_b32 exec_lo, exec_lo, s15
	s_and_b32 s16, s6, s8
	s_delay_alu instid0(SALU_CYCLE_1)
	s_and_saveexec_b32 s15, s16
	s_cbranch_execnz .LBB293_108
.LBB293_83:
	s_or_b32 exec_lo, exec_lo, s15
	s_and_b32 s15, s7, s8
	s_delay_alu instid0(SALU_CYCLE_1)
	s_and_saveexec_b32 s8, s15
	s_cbranch_execnz .LBB293_112
	s_branch .LBB293_116
.LBB293_84:
	v_cmp_ne_u32_e32 vcc_lo, 1, v59
	v_lshlrev_b64 v[20:21], 1, v[24:25]
	s_cbranch_vccnz .LBB293_86
; %bb.85:
	s_delay_alu instid0(VALU_DEP_1) | instskip(NEXT) | instid1(VALU_DEP_2)
	v_add_co_u32 v70, vcc_lo, v68, v20
	v_add_co_ci_u32_e32 v71, vcc_lo, v69, v21, vcc_lo
	flat_load_u16 v70, v[70:71]
	s_waitcnt vmcnt(0) lgkmcnt(0)
	v_mul_f16_e32 v70, s20, v70
	s_branch .LBB293_87
.LBB293_86:
	v_mov_b32_e32 v70, 0
.LBB293_87:
	v_pk_max_f16 v71, v22, v22
	v_pk_max_f16 v72, v16, v16
	v_pk_max_f16 v73, v23, v23
	v_pk_max_f16 v74, v17, v17
	v_add_co_u32 v20, vcc_lo, v40, v20
	s_delay_alu instid0(VALU_DEP_4) | instskip(SKIP_1) | instid1(VALU_DEP_4)
	v_pk_min_f16 v71, v72, v71
	v_add_co_ci_u32_e32 v21, vcc_lo, v41, v21, vcc_lo
	v_pk_min_f16 v72, v74, v73
	s_delay_alu instid0(VALU_DEP_3) | instskip(NEXT) | instid1(VALU_DEP_1)
	v_pk_add_f16 v67, v67, v71
	v_pk_add_f16 v67, v67, v72
	s_delay_alu instid0(VALU_DEP_1) | instskip(NEXT) | instid1(VALU_DEP_1)
	v_lshrrev_b32_e32 v71, 16, v67
	v_add_f16_e32 v67, v67, v71
	s_delay_alu instid0(VALU_DEP_1) | instskip(SKIP_3) | instid1(SALU_CYCLE_1)
	v_add_f16_e32 v67, v67, v70
	global_store_b16 v[20:21], v67, off
	s_or_b32 exec_lo, exec_lo, s15
	s_and_b32 s16, s1, s8
	s_and_saveexec_b32 s15, s16
	s_cbranch_execz .LBB293_78
.LBB293_88:
	v_cmp_ne_u32_e32 vcc_lo, 1, v59
	v_lshlrev_b64 v[20:21], 1, v[26:27]
	s_cbranch_vccnz .LBB293_90
; %bb.89:
	s_delay_alu instid0(VALU_DEP_1) | instskip(NEXT) | instid1(VALU_DEP_2)
	v_add_co_u32 v70, vcc_lo, v68, v20
	v_add_co_ci_u32_e32 v71, vcc_lo, v69, v21, vcc_lo
	flat_load_u16 v67, v[70:71]
	s_waitcnt vmcnt(0) lgkmcnt(0)
	v_mul_f16_e32 v67, s20, v67
	s_branch .LBB293_91
.LBB293_90:
	v_mov_b32_e32 v67, 0
.LBB293_91:
	v_pk_max_f16 v70, v22, v22
	v_pk_max_f16 v71, v18, v18
	;; [unrolled: 1-line block ×4, first 2 shown]
	v_add_co_u32 v20, vcc_lo, v40, v20
	s_delay_alu instid0(VALU_DEP_4) | instskip(SKIP_1) | instid1(VALU_DEP_4)
	v_pk_min_f16 v70, v71, v70
	v_add_co_ci_u32_e32 v21, vcc_lo, v41, v21, vcc_lo
	v_pk_min_f16 v71, v73, v72
	s_delay_alu instid0(VALU_DEP_3) | instskip(NEXT) | instid1(VALU_DEP_1)
	v_pk_add_f16 v65, v65, v70
	v_pk_add_f16 v65, v65, v71
	s_delay_alu instid0(VALU_DEP_1) | instskip(NEXT) | instid1(VALU_DEP_1)
	v_lshrrev_b32_e32 v70, 16, v65
	v_add_f16_e32 v65, v65, v70
	s_delay_alu instid0(VALU_DEP_1) | instskip(SKIP_3) | instid1(SALU_CYCLE_1)
	v_add_f16_e32 v65, v65, v67
	global_store_b16 v[20:21], v65, off
	s_or_b32 exec_lo, exec_lo, s15
	s_and_b32 s16, s2, s8
	s_and_saveexec_b32 s15, s16
	s_cbranch_execz .LBB293_79
.LBB293_92:
	v_cmp_ne_u32_e32 vcc_lo, 1, v59
	v_lshlrev_b64 v[20:21], 1, v[28:29]
	s_cbranch_vccnz .LBB293_94
; %bb.93:
	s_delay_alu instid0(VALU_DEP_1) | instskip(NEXT) | instid1(VALU_DEP_2)
	v_add_co_u32 v70, vcc_lo, v68, v20
	v_add_co_ci_u32_e32 v71, vcc_lo, v69, v21, vcc_lo
	flat_load_u16 v65, v[70:71]
	s_waitcnt vmcnt(0) lgkmcnt(0)
	v_mul_f16_e32 v65, s20, v65
	s_branch .LBB293_95
.LBB293_94:
	v_mov_b32_e32 v65, 0
.LBB293_95:
	v_pk_max_f16 v67, v22, v22
	v_pk_max_f16 v70, v12, v12
	;; [unrolled: 1-line block ×4, first 2 shown]
	v_add_co_u32 v20, vcc_lo, v40, v20
	s_delay_alu instid0(VALU_DEP_4) | instskip(SKIP_1) | instid1(VALU_DEP_4)
	v_pk_min_f16 v67, v70, v67
	v_add_co_ci_u32_e32 v21, vcc_lo, v41, v21, vcc_lo
	v_pk_min_f16 v70, v72, v71
	s_delay_alu instid0(VALU_DEP_3) | instskip(NEXT) | instid1(VALU_DEP_1)
	v_pk_add_f16 v64, v64, v67
	v_pk_add_f16 v64, v64, v70
	s_delay_alu instid0(VALU_DEP_1) | instskip(NEXT) | instid1(VALU_DEP_1)
	v_lshrrev_b32_e32 v67, 16, v64
	v_add_f16_e32 v64, v64, v67
	s_delay_alu instid0(VALU_DEP_1) | instskip(SKIP_3) | instid1(SALU_CYCLE_1)
	v_add_f16_e32 v64, v64, v65
	global_store_b16 v[20:21], v64, off
	s_or_b32 exec_lo, exec_lo, s15
	s_and_b32 s16, s3, s8
	s_and_saveexec_b32 s15, s16
	s_cbranch_execz .LBB293_80
.LBB293_96:
	v_cmp_ne_u32_e32 vcc_lo, 1, v59
	v_lshlrev_b64 v[20:21], 1, v[30:31]
	s_cbranch_vccnz .LBB293_98
; %bb.97:
	s_delay_alu instid0(VALU_DEP_1) | instskip(NEXT) | instid1(VALU_DEP_2)
	v_add_co_u32 v64, vcc_lo, v68, v20
	v_add_co_ci_u32_e32 v65, vcc_lo, v69, v21, vcc_lo
	flat_load_u16 v64, v[64:65]
	s_waitcnt vmcnt(0) lgkmcnt(0)
	v_mul_f16_e32 v64, s20, v64
	s_branch .LBB293_99
.LBB293_98:
	v_mov_b32_e32 v64, 0
.LBB293_99:
	v_pk_max_f16 v65, v22, v22
	v_pk_max_f16 v67, v14, v14
	;; [unrolled: 1-line block ×4, first 2 shown]
	v_add_co_u32 v20, vcc_lo, v40, v20
	s_delay_alu instid0(VALU_DEP_4) | instskip(SKIP_1) | instid1(VALU_DEP_4)
	v_pk_min_f16 v65, v67, v65
	v_add_co_ci_u32_e32 v21, vcc_lo, v41, v21, vcc_lo
	v_pk_min_f16 v67, v71, v70
	s_delay_alu instid0(VALU_DEP_3) | instskip(NEXT) | instid1(VALU_DEP_1)
	v_pk_add_f16 v63, v63, v65
	v_pk_add_f16 v63, v63, v67
	s_delay_alu instid0(VALU_DEP_1) | instskip(NEXT) | instid1(VALU_DEP_1)
	v_lshrrev_b32_e32 v65, 16, v63
	v_add_f16_e32 v63, v63, v65
	s_delay_alu instid0(VALU_DEP_1) | instskip(SKIP_3) | instid1(SALU_CYCLE_1)
	v_add_f16_e32 v63, v63, v64
	global_store_b16 v[20:21], v63, off
	s_or_b32 exec_lo, exec_lo, s15
	s_and_b32 s16, s4, s8
	s_and_saveexec_b32 s15, s16
	s_cbranch_execz .LBB293_81
.LBB293_100:
	v_cmp_ne_u32_e32 vcc_lo, 1, v59
	v_lshlrev_b64 v[20:21], 1, v[32:33]
	s_cbranch_vccnz .LBB293_102
; %bb.101:
	s_delay_alu instid0(VALU_DEP_1) | instskip(NEXT) | instid1(VALU_DEP_2)
	v_add_co_u32 v63, vcc_lo, v68, v20
	v_add_co_ci_u32_e32 v64, vcc_lo, v69, v21, vcc_lo
	flat_load_u16 v63, v[63:64]
	s_waitcnt vmcnt(0) lgkmcnt(0)
	v_mul_f16_e32 v63, s20, v63
	s_branch .LBB293_103
.LBB293_102:
	v_mov_b32_e32 v63, 0
.LBB293_103:
	v_pk_max_f16 v64, v22, v22
	v_pk_max_f16 v65, v8, v8
	;; [unrolled: 1-line block ×4, first 2 shown]
	v_add_co_u32 v20, vcc_lo, v40, v20
	s_delay_alu instid0(VALU_DEP_4) | instskip(SKIP_1) | instid1(VALU_DEP_4)
	v_pk_min_f16 v64, v65, v64
	v_add_co_ci_u32_e32 v21, vcc_lo, v41, v21, vcc_lo
	v_pk_min_f16 v65, v70, v67
	s_delay_alu instid0(VALU_DEP_3) | instskip(NEXT) | instid1(VALU_DEP_1)
	v_pk_add_f16 v62, v62, v64
	v_pk_add_f16 v62, v62, v65
	s_delay_alu instid0(VALU_DEP_1) | instskip(NEXT) | instid1(VALU_DEP_1)
	v_lshrrev_b32_e32 v64, 16, v62
	v_add_f16_e32 v62, v62, v64
	s_delay_alu instid0(VALU_DEP_1) | instskip(SKIP_3) | instid1(SALU_CYCLE_1)
	v_add_f16_e32 v62, v62, v63
	global_store_b16 v[20:21], v62, off
	s_or_b32 exec_lo, exec_lo, s15
	s_and_b32 s16, s5, s8
	s_and_saveexec_b32 s15, s16
	s_cbranch_execz .LBB293_82
.LBB293_104:
	v_cmp_ne_u32_e32 vcc_lo, 1, v59
	v_lshlrev_b64 v[20:21], 1, v[34:35]
	s_cbranch_vccnz .LBB293_106
; %bb.105:
	s_delay_alu instid0(VALU_DEP_1) | instskip(NEXT) | instid1(VALU_DEP_2)
	v_add_co_u32 v62, vcc_lo, v68, v20
	v_add_co_ci_u32_e32 v63, vcc_lo, v69, v21, vcc_lo
	flat_load_u16 v62, v[62:63]
	s_waitcnt vmcnt(0) lgkmcnt(0)
	v_mul_f16_e32 v62, s20, v62
	s_branch .LBB293_107
.LBB293_106:
	v_mov_b32_e32 v62, 0
.LBB293_107:
	v_pk_max_f16 v63, v22, v22
	v_pk_max_f16 v64, v10, v10
	;; [unrolled: 1-line block ×4, first 2 shown]
	v_add_co_u32 v20, vcc_lo, v40, v20
	s_delay_alu instid0(VALU_DEP_4) | instskip(SKIP_1) | instid1(VALU_DEP_4)
	v_pk_min_f16 v63, v64, v63
	v_add_co_ci_u32_e32 v21, vcc_lo, v41, v21, vcc_lo
	v_pk_min_f16 v64, v67, v65
	s_delay_alu instid0(VALU_DEP_3) | instskip(NEXT) | instid1(VALU_DEP_1)
	v_pk_add_f16 v61, v61, v63
	v_pk_add_f16 v61, v61, v64
	s_delay_alu instid0(VALU_DEP_1) | instskip(NEXT) | instid1(VALU_DEP_1)
	v_lshrrev_b32_e32 v63, 16, v61
	v_add_f16_e32 v61, v61, v63
	s_delay_alu instid0(VALU_DEP_1) | instskip(SKIP_3) | instid1(SALU_CYCLE_1)
	v_add_f16_e32 v61, v61, v62
	global_store_b16 v[20:21], v61, off
	s_or_b32 exec_lo, exec_lo, s15
	s_and_b32 s16, s6, s8
	s_and_saveexec_b32 s15, s16
	s_cbranch_execz .LBB293_83
.LBB293_108:
	v_cmp_ne_u32_e32 vcc_lo, 1, v59
	v_lshlrev_b64 v[20:21], 1, v[36:37]
	s_cbranch_vccnz .LBB293_110
; %bb.109:
	s_delay_alu instid0(VALU_DEP_1) | instskip(NEXT) | instid1(VALU_DEP_2)
	v_add_co_u32 v61, vcc_lo, v68, v20
	v_add_co_ci_u32_e32 v62, vcc_lo, v69, v21, vcc_lo
	flat_load_u16 v61, v[61:62]
	s_waitcnt vmcnt(0) lgkmcnt(0)
	v_mul_f16_e32 v61, s20, v61
	s_branch .LBB293_111
.LBB293_110:
	v_mov_b32_e32 v61, 0
.LBB293_111:
	v_pk_max_f16 v62, v22, v22
	v_pk_max_f16 v63, v4, v4
	;; [unrolled: 1-line block ×4, first 2 shown]
	v_add_co_u32 v20, vcc_lo, v40, v20
	s_delay_alu instid0(VALU_DEP_4) | instskip(SKIP_1) | instid1(VALU_DEP_4)
	v_pk_min_f16 v62, v63, v62
	v_add_co_ci_u32_e32 v21, vcc_lo, v41, v21, vcc_lo
	v_pk_min_f16 v63, v65, v64
	s_delay_alu instid0(VALU_DEP_3) | instskip(NEXT) | instid1(VALU_DEP_1)
	v_pk_add_f16 v60, v60, v62
	v_pk_add_f16 v60, v60, v63
	s_delay_alu instid0(VALU_DEP_1) | instskip(NEXT) | instid1(VALU_DEP_1)
	v_lshrrev_b32_e32 v62, 16, v60
	v_add_f16_e32 v60, v60, v62
	s_delay_alu instid0(VALU_DEP_1) | instskip(SKIP_3) | instid1(SALU_CYCLE_1)
	v_add_f16_e32 v60, v60, v61
	global_store_b16 v[20:21], v60, off
	s_or_b32 exec_lo, exec_lo, s15
	s_and_b32 s15, s7, s8
	s_and_saveexec_b32 s8, s15
	s_cbranch_execz .LBB293_116
.LBB293_112:
	v_cmp_ne_u32_e32 vcc_lo, 1, v59
	v_lshlrev_b64 v[20:21], 1, v[38:39]
	s_cbranch_vccnz .LBB293_114
; %bb.113:
	s_delay_alu instid0(VALU_DEP_1) | instskip(NEXT) | instid1(VALU_DEP_2)
	v_add_co_u32 v60, vcc_lo, v68, v20
	v_add_co_ci_u32_e32 v61, vcc_lo, v69, v21, vcc_lo
	flat_load_u16 v60, v[60:61]
	s_waitcnt vmcnt(0) lgkmcnt(0)
	v_mul_f16_e32 v60, s20, v60
	s_branch .LBB293_115
.LBB293_114:
	v_mov_b32_e32 v60, 0
.LBB293_115:
	v_pk_max_f16 v22, v22, v22
	v_pk_max_f16 v61, v6, v6
	;; [unrolled: 1-line block ×4, first 2 shown]
	v_add_co_u32 v20, vcc_lo, v40, v20
	s_delay_alu instid0(VALU_DEP_4) | instskip(SKIP_1) | instid1(VALU_DEP_4)
	v_pk_min_f16 v22, v61, v22
	v_add_co_ci_u32_e32 v21, vcc_lo, v41, v21, vcc_lo
	v_pk_min_f16 v23, v62, v23
	s_delay_alu instid0(VALU_DEP_3) | instskip(NEXT) | instid1(VALU_DEP_1)
	v_pk_add_f16 v22, v58, v22
	v_pk_add_f16 v22, v22, v23
	s_delay_alu instid0(VALU_DEP_1) | instskip(NEXT) | instid1(VALU_DEP_1)
	v_lshrrev_b32_e32 v23, 16, v22
	v_add_f16_e32 v22, v22, v23
	s_delay_alu instid0(VALU_DEP_1)
	v_add_f16_e32 v22, v22, v60
	global_store_b16 v[20:21], v22, off
.LBB293_116:
	s_or_b32 exec_lo, exec_lo, s8
	v_add_nc_u32_e32 v40, 64, v66
	s_delay_alu instid0(VALU_DEP_1) | instskip(SKIP_2) | instid1(VALU_DEP_3)
	v_mad_i64_i32 v[20:21], null, v40, s12, 0
	v_mad_i64_i32 v[22:23], null, v40, s9, 0
	v_cmp_gt_i32_e64 s8, s17, v40
	v_lshlrev_b64 v[20:21], 1, v[20:21]
	s_delay_alu instid0(VALU_DEP_2) | instskip(NEXT) | instid1(VALU_DEP_3)
	s_and_b32 s16, s0, s8
	v_lshlrev_b64 v[22:23], 1, v[22:23]
	s_delay_alu instid0(VALU_DEP_2) | instskip(NEXT) | instid1(VALU_DEP_3)
	v_add_co_u32 v40, vcc_lo, s10, v20
	v_add_co_ci_u32_e32 v41, vcc_lo, s11, v21, vcc_lo
	s_delay_alu instid0(VALU_DEP_3) | instskip(NEXT) | instid1(VALU_DEP_4)
	v_add_co_u32 v22, vcc_lo, s13, v22
	v_add_co_ci_u32_e32 v23, vcc_lo, s14, v23, vcc_lo
	s_and_saveexec_b32 s15, s16
	s_cbranch_execnz .LBB293_124
; %bb.117:
	s_or_b32 exec_lo, exec_lo, s15
	s_and_b32 s16, s1, s8
	s_delay_alu instid0(SALU_CYCLE_1)
	s_and_saveexec_b32 s15, s16
	s_cbranch_execnz .LBB293_128
.LBB293_118:
	s_or_b32 exec_lo, exec_lo, s15
	s_and_b32 s16, s2, s8
	s_delay_alu instid0(SALU_CYCLE_1)
	s_and_saveexec_b32 s15, s16
	s_cbranch_execnz .LBB293_132
.LBB293_119:
	s_or_b32 exec_lo, exec_lo, s15
	s_and_b32 s16, s3, s8
	s_delay_alu instid0(SALU_CYCLE_1)
	s_and_saveexec_b32 s15, s16
	s_cbranch_execnz .LBB293_136
.LBB293_120:
	s_or_b32 exec_lo, exec_lo, s15
	s_and_b32 s16, s4, s8
	s_delay_alu instid0(SALU_CYCLE_1)
	s_and_saveexec_b32 s15, s16
	s_cbranch_execnz .LBB293_140
.LBB293_121:
	s_or_b32 exec_lo, exec_lo, s15
	s_and_b32 s16, s5, s8
	s_delay_alu instid0(SALU_CYCLE_1)
	s_and_saveexec_b32 s15, s16
	s_cbranch_execnz .LBB293_144
.LBB293_122:
	s_or_b32 exec_lo, exec_lo, s15
	s_and_b32 s16, s6, s8
	s_delay_alu instid0(SALU_CYCLE_1)
	s_and_saveexec_b32 s15, s16
	s_cbranch_execnz .LBB293_148
.LBB293_123:
	s_or_b32 exec_lo, exec_lo, s15
	s_and_b32 s15, s7, s8
	s_delay_alu instid0(SALU_CYCLE_1)
	s_and_saveexec_b32 s8, s15
	s_cbranch_execnz .LBB293_152
	s_branch .LBB293_156
.LBB293_124:
	v_cmp_ne_u32_e32 vcc_lo, 1, v59
	v_lshlrev_b64 v[20:21], 1, v[24:25]
	s_cbranch_vccnz .LBB293_126
; %bb.125:
	s_delay_alu instid0(VALU_DEP_1) | instskip(NEXT) | instid1(VALU_DEP_2)
	v_add_co_u32 v60, vcc_lo, v40, v20
	v_add_co_ci_u32_e32 v61, vcc_lo, v41, v21, vcc_lo
	flat_load_u16 v58, v[60:61]
	s_waitcnt vmcnt(0) lgkmcnt(0)
	v_mul_f16_e32 v58, s20, v58
	s_branch .LBB293_127
.LBB293_126:
	v_mov_b32_e32 v58, 0
.LBB293_127:
	v_pk_max_f16 v60, v0, v0
	v_pk_max_f16 v61, v16, v16
	;; [unrolled: 1-line block ×4, first 2 shown]
	v_add_co_u32 v20, vcc_lo, v22, v20
	s_delay_alu instid0(VALU_DEP_4) | instskip(SKIP_1) | instid1(VALU_DEP_4)
	v_pk_min_f16 v60, v61, v60
	v_add_co_ci_u32_e32 v21, vcc_lo, v23, v21, vcc_lo
	v_pk_min_f16 v61, v63, v62
	s_delay_alu instid0(VALU_DEP_3) | instskip(NEXT) | instid1(VALU_DEP_1)
	v_pk_add_f16 v57, v57, v60
	v_pk_add_f16 v57, v57, v61
	s_delay_alu instid0(VALU_DEP_1) | instskip(NEXT) | instid1(VALU_DEP_1)
	v_lshrrev_b32_e32 v60, 16, v57
	v_add_f16_e32 v57, v57, v60
	s_delay_alu instid0(VALU_DEP_1) | instskip(SKIP_3) | instid1(SALU_CYCLE_1)
	v_add_f16_e32 v57, v57, v58
	global_store_b16 v[20:21], v57, off
	s_or_b32 exec_lo, exec_lo, s15
	s_and_b32 s16, s1, s8
	s_and_saveexec_b32 s15, s16
	s_cbranch_execz .LBB293_118
.LBB293_128:
	v_cmp_ne_u32_e32 vcc_lo, 1, v59
	v_lshlrev_b64 v[20:21], 1, v[26:27]
	s_cbranch_vccnz .LBB293_130
; %bb.129:
	s_delay_alu instid0(VALU_DEP_1) | instskip(NEXT) | instid1(VALU_DEP_2)
	v_add_co_u32 v57, vcc_lo, v40, v20
	v_add_co_ci_u32_e32 v58, vcc_lo, v41, v21, vcc_lo
	flat_load_u16 v57, v[57:58]
	s_waitcnt vmcnt(0) lgkmcnt(0)
	v_mul_f16_e32 v57, s20, v57
	s_branch .LBB293_131
.LBB293_130:
	v_mov_b32_e32 v57, 0
.LBB293_131:
	v_pk_max_f16 v58, v0, v0
	v_pk_max_f16 v60, v18, v18
	;; [unrolled: 1-line block ×4, first 2 shown]
	v_add_co_u32 v20, vcc_lo, v22, v20
	s_delay_alu instid0(VALU_DEP_4) | instskip(SKIP_1) | instid1(VALU_DEP_4)
	v_pk_min_f16 v58, v60, v58
	v_add_co_ci_u32_e32 v21, vcc_lo, v23, v21, vcc_lo
	v_pk_min_f16 v60, v62, v61
	s_delay_alu instid0(VALU_DEP_3) | instskip(NEXT) | instid1(VALU_DEP_1)
	v_pk_add_f16 v56, v56, v58
	v_pk_add_f16 v56, v56, v60
	s_delay_alu instid0(VALU_DEP_1) | instskip(NEXT) | instid1(VALU_DEP_1)
	v_lshrrev_b32_e32 v58, 16, v56
	v_add_f16_e32 v56, v56, v58
	s_delay_alu instid0(VALU_DEP_1) | instskip(SKIP_3) | instid1(SALU_CYCLE_1)
	v_add_f16_e32 v56, v56, v57
	global_store_b16 v[20:21], v56, off
	s_or_b32 exec_lo, exec_lo, s15
	s_and_b32 s16, s2, s8
	s_and_saveexec_b32 s15, s16
	s_cbranch_execz .LBB293_119
.LBB293_132:
	v_cmp_ne_u32_e32 vcc_lo, 1, v59
	v_lshlrev_b64 v[20:21], 1, v[28:29]
	s_cbranch_vccnz .LBB293_134
; %bb.133:
	s_delay_alu instid0(VALU_DEP_1) | instskip(NEXT) | instid1(VALU_DEP_2)
	v_add_co_u32 v56, vcc_lo, v40, v20
	v_add_co_ci_u32_e32 v57, vcc_lo, v41, v21, vcc_lo
	flat_load_u16 v56, v[56:57]
	s_waitcnt vmcnt(0) lgkmcnt(0)
	v_mul_f16_e32 v56, s20, v56
	s_branch .LBB293_135
.LBB293_134:
	v_mov_b32_e32 v56, 0
.LBB293_135:
	v_pk_max_f16 v57, v0, v0
	v_pk_max_f16 v58, v12, v12
	v_pk_max_f16 v60, v1, v1
	v_pk_max_f16 v61, v13, v13
	v_add_co_u32 v20, vcc_lo, v22, v20
	s_delay_alu instid0(VALU_DEP_4) | instskip(SKIP_1) | instid1(VALU_DEP_4)
	v_pk_min_f16 v57, v58, v57
	v_add_co_ci_u32_e32 v21, vcc_lo, v23, v21, vcc_lo
	v_pk_min_f16 v58, v61, v60
	s_delay_alu instid0(VALU_DEP_3) | instskip(NEXT) | instid1(VALU_DEP_1)
	v_pk_add_f16 v55, v55, v57
	v_pk_add_f16 v55, v55, v58
	s_delay_alu instid0(VALU_DEP_1) | instskip(NEXT) | instid1(VALU_DEP_1)
	v_lshrrev_b32_e32 v57, 16, v55
	v_add_f16_e32 v55, v55, v57
	s_delay_alu instid0(VALU_DEP_1) | instskip(SKIP_3) | instid1(SALU_CYCLE_1)
	v_add_f16_e32 v55, v55, v56
	global_store_b16 v[20:21], v55, off
	s_or_b32 exec_lo, exec_lo, s15
	s_and_b32 s16, s3, s8
	s_and_saveexec_b32 s15, s16
	s_cbranch_execz .LBB293_120
.LBB293_136:
	v_cmp_ne_u32_e32 vcc_lo, 1, v59
	v_lshlrev_b64 v[20:21], 1, v[30:31]
	s_cbranch_vccnz .LBB293_138
; %bb.137:
	s_delay_alu instid0(VALU_DEP_1) | instskip(NEXT) | instid1(VALU_DEP_2)
	v_add_co_u32 v55, vcc_lo, v40, v20
	v_add_co_ci_u32_e32 v56, vcc_lo, v41, v21, vcc_lo
	flat_load_u16 v55, v[55:56]
	s_waitcnt vmcnt(0) lgkmcnt(0)
	v_mul_f16_e32 v55, s20, v55
	s_branch .LBB293_139
.LBB293_138:
	v_mov_b32_e32 v55, 0
.LBB293_139:
	v_pk_max_f16 v56, v0, v0
	v_pk_max_f16 v57, v14, v14
	;; [unrolled: 1-line block ×4, first 2 shown]
	v_add_co_u32 v20, vcc_lo, v22, v20
	s_delay_alu instid0(VALU_DEP_4) | instskip(SKIP_1) | instid1(VALU_DEP_4)
	v_pk_min_f16 v56, v57, v56
	v_add_co_ci_u32_e32 v21, vcc_lo, v23, v21, vcc_lo
	v_pk_min_f16 v57, v60, v58
	s_delay_alu instid0(VALU_DEP_3) | instskip(NEXT) | instid1(VALU_DEP_1)
	v_pk_add_f16 v54, v54, v56
	v_pk_add_f16 v54, v54, v57
	s_delay_alu instid0(VALU_DEP_1) | instskip(NEXT) | instid1(VALU_DEP_1)
	v_lshrrev_b32_e32 v56, 16, v54
	v_add_f16_e32 v54, v54, v56
	s_delay_alu instid0(VALU_DEP_1) | instskip(SKIP_3) | instid1(SALU_CYCLE_1)
	v_add_f16_e32 v54, v54, v55
	global_store_b16 v[20:21], v54, off
	s_or_b32 exec_lo, exec_lo, s15
	s_and_b32 s16, s4, s8
	s_and_saveexec_b32 s15, s16
	s_cbranch_execz .LBB293_121
.LBB293_140:
	v_cmp_ne_u32_e32 vcc_lo, 1, v59
	v_lshlrev_b64 v[20:21], 1, v[32:33]
	s_cbranch_vccnz .LBB293_142
; %bb.141:
	s_delay_alu instid0(VALU_DEP_1) | instskip(NEXT) | instid1(VALU_DEP_2)
	v_add_co_u32 v54, vcc_lo, v40, v20
	v_add_co_ci_u32_e32 v55, vcc_lo, v41, v21, vcc_lo
	flat_load_u16 v54, v[54:55]
	s_waitcnt vmcnt(0) lgkmcnt(0)
	v_mul_f16_e32 v54, s20, v54
	s_branch .LBB293_143
.LBB293_142:
	v_mov_b32_e32 v54, 0
.LBB293_143:
	v_pk_max_f16 v55, v0, v0
	v_pk_max_f16 v56, v8, v8
	;; [unrolled: 1-line block ×4, first 2 shown]
	v_add_co_u32 v20, vcc_lo, v22, v20
	s_delay_alu instid0(VALU_DEP_4) | instskip(SKIP_1) | instid1(VALU_DEP_4)
	v_pk_min_f16 v55, v56, v55
	v_add_co_ci_u32_e32 v21, vcc_lo, v23, v21, vcc_lo
	v_pk_min_f16 v56, v58, v57
	s_delay_alu instid0(VALU_DEP_3) | instskip(NEXT) | instid1(VALU_DEP_1)
	v_pk_add_f16 v53, v53, v55
	v_pk_add_f16 v53, v53, v56
	s_delay_alu instid0(VALU_DEP_1) | instskip(NEXT) | instid1(VALU_DEP_1)
	v_lshrrev_b32_e32 v55, 16, v53
	v_add_f16_e32 v53, v53, v55
	s_delay_alu instid0(VALU_DEP_1) | instskip(SKIP_3) | instid1(SALU_CYCLE_1)
	v_add_f16_e32 v53, v53, v54
	global_store_b16 v[20:21], v53, off
	s_or_b32 exec_lo, exec_lo, s15
	s_and_b32 s16, s5, s8
	s_and_saveexec_b32 s15, s16
	s_cbranch_execz .LBB293_122
.LBB293_144:
	v_cmp_ne_u32_e32 vcc_lo, 1, v59
	v_lshlrev_b64 v[20:21], 1, v[34:35]
	s_cbranch_vccnz .LBB293_146
; %bb.145:
	s_delay_alu instid0(VALU_DEP_1) | instskip(NEXT) | instid1(VALU_DEP_2)
	v_add_co_u32 v53, vcc_lo, v40, v20
	v_add_co_ci_u32_e32 v54, vcc_lo, v41, v21, vcc_lo
	flat_load_u16 v53, v[53:54]
	s_waitcnt vmcnt(0) lgkmcnt(0)
	v_mul_f16_e32 v53, s20, v53
	s_branch .LBB293_147
.LBB293_146:
	v_mov_b32_e32 v53, 0
.LBB293_147:
	v_pk_max_f16 v54, v0, v0
	v_pk_max_f16 v55, v10, v10
	;; [unrolled: 1-line block ×4, first 2 shown]
	v_add_co_u32 v20, vcc_lo, v22, v20
	s_delay_alu instid0(VALU_DEP_4) | instskip(SKIP_1) | instid1(VALU_DEP_4)
	v_pk_min_f16 v54, v55, v54
	v_add_co_ci_u32_e32 v21, vcc_lo, v23, v21, vcc_lo
	v_pk_min_f16 v55, v57, v56
	s_delay_alu instid0(VALU_DEP_3) | instskip(NEXT) | instid1(VALU_DEP_1)
	v_pk_add_f16 v52, v52, v54
	v_pk_add_f16 v52, v52, v55
	s_delay_alu instid0(VALU_DEP_1) | instskip(NEXT) | instid1(VALU_DEP_1)
	v_lshrrev_b32_e32 v54, 16, v52
	v_add_f16_e32 v52, v52, v54
	s_delay_alu instid0(VALU_DEP_1) | instskip(SKIP_3) | instid1(SALU_CYCLE_1)
	v_add_f16_e32 v52, v52, v53
	global_store_b16 v[20:21], v52, off
	s_or_b32 exec_lo, exec_lo, s15
	s_and_b32 s16, s6, s8
	s_and_saveexec_b32 s15, s16
	s_cbranch_execz .LBB293_123
.LBB293_148:
	v_cmp_ne_u32_e32 vcc_lo, 1, v59
	v_lshlrev_b64 v[20:21], 1, v[36:37]
	s_cbranch_vccnz .LBB293_150
; %bb.149:
	s_delay_alu instid0(VALU_DEP_1) | instskip(NEXT) | instid1(VALU_DEP_2)
	v_add_co_u32 v52, vcc_lo, v40, v20
	v_add_co_ci_u32_e32 v53, vcc_lo, v41, v21, vcc_lo
	flat_load_u16 v52, v[52:53]
	s_waitcnt vmcnt(0) lgkmcnt(0)
	v_mul_f16_e32 v52, s20, v52
	s_branch .LBB293_151
.LBB293_150:
	v_mov_b32_e32 v52, 0
.LBB293_151:
	v_pk_max_f16 v53, v0, v0
	v_pk_max_f16 v54, v4, v4
	;; [unrolled: 1-line block ×4, first 2 shown]
	v_add_co_u32 v20, vcc_lo, v22, v20
	s_delay_alu instid0(VALU_DEP_4) | instskip(SKIP_1) | instid1(VALU_DEP_4)
	v_pk_min_f16 v53, v54, v53
	v_add_co_ci_u32_e32 v21, vcc_lo, v23, v21, vcc_lo
	v_pk_min_f16 v54, v56, v55
	s_delay_alu instid0(VALU_DEP_3) | instskip(NEXT) | instid1(VALU_DEP_1)
	v_pk_add_f16 v51, v51, v53
	v_pk_add_f16 v51, v51, v54
	s_delay_alu instid0(VALU_DEP_1) | instskip(NEXT) | instid1(VALU_DEP_1)
	v_lshrrev_b32_e32 v53, 16, v51
	v_add_f16_e32 v51, v51, v53
	s_delay_alu instid0(VALU_DEP_1) | instskip(SKIP_3) | instid1(SALU_CYCLE_1)
	v_add_f16_e32 v51, v51, v52
	global_store_b16 v[20:21], v51, off
	s_or_b32 exec_lo, exec_lo, s15
	s_and_b32 s15, s7, s8
	s_and_saveexec_b32 s8, s15
	s_cbranch_execz .LBB293_156
.LBB293_152:
	v_cmp_ne_u32_e32 vcc_lo, 1, v59
	v_lshlrev_b64 v[20:21], 1, v[38:39]
	s_cbranch_vccnz .LBB293_154
; %bb.153:
	s_delay_alu instid0(VALU_DEP_1) | instskip(NEXT) | instid1(VALU_DEP_2)
	v_add_co_u32 v40, vcc_lo, v40, v20
	v_add_co_ci_u32_e32 v41, vcc_lo, v41, v21, vcc_lo
	flat_load_u16 v40, v[40:41]
	s_waitcnt vmcnt(0) lgkmcnt(0)
	v_mul_f16_e32 v40, s20, v40
	s_branch .LBB293_155
.LBB293_154:
	v_mov_b32_e32 v40, 0
.LBB293_155:
	v_pk_max_f16 v0, v0, v0
	v_pk_max_f16 v41, v6, v6
	v_pk_max_f16 v1, v1, v1
	v_pk_max_f16 v51, v7, v7
	s_delay_alu instid0(VALU_DEP_3) | instskip(NEXT) | instid1(VALU_DEP_2)
	v_pk_min_f16 v0, v41, v0
	v_pk_min_f16 v1, v51, v1
	s_delay_alu instid0(VALU_DEP_2) | instskip(NEXT) | instid1(VALU_DEP_1)
	v_pk_add_f16 v0, v50, v0
	v_pk_add_f16 v0, v0, v1
	s_delay_alu instid0(VALU_DEP_1) | instskip(NEXT) | instid1(VALU_DEP_1)
	v_lshrrev_b32_e32 v1, 16, v0
	v_add_f16_e32 v0, v0, v1
	s_delay_alu instid0(VALU_DEP_1)
	v_add_f16_e32 v40, v0, v40
	v_add_co_u32 v0, vcc_lo, v22, v20
	v_add_co_ci_u32_e32 v1, vcc_lo, v23, v21, vcc_lo
	global_store_b16 v[0:1], v40, off
.LBB293_156:
	s_or_b32 exec_lo, exec_lo, s8
	v_add_nc_u32_e32 v22, 0x60, v66
	s_delay_alu instid0(VALU_DEP_1) | instskip(SKIP_2) | instid1(VALU_DEP_3)
	v_mad_i64_i32 v[0:1], null, v22, s12, 0
	v_mad_i64_i32 v[20:21], null, v22, s9, 0
	v_cmp_gt_i32_e64 s8, s17, v22
	v_lshlrev_b64 v[0:1], 1, v[0:1]
	s_delay_alu instid0(VALU_DEP_2) | instskip(NEXT) | instid1(VALU_DEP_3)
	s_and_b32 s9, s0, s8
	v_lshlrev_b64 v[20:21], 1, v[20:21]
	s_delay_alu instid0(VALU_DEP_2) | instskip(NEXT) | instid1(VALU_DEP_3)
	v_add_co_u32 v22, vcc_lo, s10, v0
	v_add_co_ci_u32_e32 v23, vcc_lo, s11, v1, vcc_lo
	s_delay_alu instid0(VALU_DEP_3) | instskip(NEXT) | instid1(VALU_DEP_4)
	v_add_co_u32 v20, vcc_lo, s13, v20
	v_add_co_ci_u32_e32 v21, vcc_lo, s14, v21, vcc_lo
	s_and_saveexec_b32 s0, s9
	s_cbranch_execnz .LBB293_165
; %bb.157:
	s_or_b32 exec_lo, exec_lo, s0
	s_and_b32 s1, s1, s8
	s_delay_alu instid0(SALU_CYCLE_1)
	s_and_saveexec_b32 s0, s1
	s_cbranch_execnz .LBB293_169
.LBB293_158:
	s_or_b32 exec_lo, exec_lo, s0
	s_and_b32 s1, s2, s8
	s_delay_alu instid0(SALU_CYCLE_1)
	s_and_saveexec_b32 s0, s1
	s_cbranch_execnz .LBB293_173
.LBB293_159:
	s_or_b32 exec_lo, exec_lo, s0
	s_and_b32 s1, s3, s8
	s_delay_alu instid0(SALU_CYCLE_1)
	s_and_saveexec_b32 s0, s1
	s_cbranch_execnz .LBB293_177
.LBB293_160:
	s_or_b32 exec_lo, exec_lo, s0
	s_and_b32 s1, s4, s8
	s_delay_alu instid0(SALU_CYCLE_1)
	s_and_saveexec_b32 s0, s1
	s_cbranch_execnz .LBB293_181
.LBB293_161:
	s_or_b32 exec_lo, exec_lo, s0
	s_and_b32 s1, s5, s8
	s_delay_alu instid0(SALU_CYCLE_1)
	s_and_saveexec_b32 s0, s1
	s_cbranch_execnz .LBB293_185
.LBB293_162:
	s_or_b32 exec_lo, exec_lo, s0
	s_and_b32 s1, s6, s8
	s_delay_alu instid0(SALU_CYCLE_1)
	s_and_saveexec_b32 s0, s1
	s_cbranch_execnz .LBB293_189
.LBB293_163:
	s_or_b32 exec_lo, exec_lo, s0
	s_and_b32 s0, s7, s8
	s_delay_alu instid0(SALU_CYCLE_1)
	s_and_saveexec_b32 s1, s0
	s_cbranch_execnz .LBB293_193
.LBB293_164:
	s_nop 0
	s_sendmsg sendmsg(MSG_DEALLOC_VGPRS)
	s_endpgm
.LBB293_165:
	v_cmp_ne_u32_e32 vcc_lo, 1, v59
	v_lshlrev_b64 v[0:1], 1, v[24:25]
	s_cbranch_vccnz .LBB293_167
; %bb.166:
	s_delay_alu instid0(VALU_DEP_1) | instskip(NEXT) | instid1(VALU_DEP_2)
	v_add_co_u32 v24, vcc_lo, v22, v0
	v_add_co_ci_u32_e32 v25, vcc_lo, v23, v1, vcc_lo
	flat_load_u16 v24, v[24:25]
	s_waitcnt vmcnt(0) lgkmcnt(0)
	v_mul_f16_e32 v24, s20, v24
	s_branch .LBB293_168
.LBB293_167:
	v_mov_b32_e32 v24, 0
.LBB293_168:
	v_pk_max_f16 v25, v2, v2
	v_pk_max_f16 v16, v16, v16
	;; [unrolled: 1-line block ×4, first 2 shown]
	v_add_co_u32 v0, vcc_lo, v20, v0
	s_delay_alu instid0(VALU_DEP_4) | instskip(SKIP_1) | instid1(VALU_DEP_4)
	v_pk_min_f16 v16, v16, v25
	v_add_co_ci_u32_e32 v1, vcc_lo, v21, v1, vcc_lo
	v_pk_min_f16 v17, v17, v40
	s_delay_alu instid0(VALU_DEP_3) | instskip(NEXT) | instid1(VALU_DEP_1)
	v_pk_add_f16 v16, v49, v16
	v_pk_add_f16 v16, v16, v17
	s_delay_alu instid0(VALU_DEP_1) | instskip(NEXT) | instid1(VALU_DEP_1)
	v_lshrrev_b32_e32 v17, 16, v16
	v_add_f16_e32 v16, v16, v17
	s_delay_alu instid0(VALU_DEP_1) | instskip(SKIP_3) | instid1(SALU_CYCLE_1)
	v_add_f16_e32 v16, v16, v24
	global_store_b16 v[0:1], v16, off
	s_or_b32 exec_lo, exec_lo, s0
	s_and_b32 s1, s1, s8
	s_and_saveexec_b32 s0, s1
	s_cbranch_execz .LBB293_158
.LBB293_169:
	v_cmp_ne_u32_e32 vcc_lo, 1, v59
	v_lshlrev_b64 v[0:1], 1, v[26:27]
	s_cbranch_vccnz .LBB293_171
; %bb.170:
	s_delay_alu instid0(VALU_DEP_1) | instskip(NEXT) | instid1(VALU_DEP_2)
	v_add_co_u32 v16, vcc_lo, v22, v0
	v_add_co_ci_u32_e32 v17, vcc_lo, v23, v1, vcc_lo
	flat_load_u16 v16, v[16:17]
	s_waitcnt vmcnt(0) lgkmcnt(0)
	v_mul_f16_e32 v16, s20, v16
	s_branch .LBB293_172
.LBB293_171:
	v_mov_b32_e32 v16, 0
.LBB293_172:
	v_pk_max_f16 v17, v2, v2
	v_pk_max_f16 v18, v18, v18
	;; [unrolled: 1-line block ×4, first 2 shown]
	v_add_co_u32 v0, vcc_lo, v20, v0
	s_delay_alu instid0(VALU_DEP_4) | instskip(SKIP_1) | instid1(VALU_DEP_4)
	v_pk_min_f16 v17, v18, v17
	v_add_co_ci_u32_e32 v1, vcc_lo, v21, v1, vcc_lo
	v_pk_min_f16 v18, v19, v24
	s_delay_alu instid0(VALU_DEP_3) | instskip(NEXT) | instid1(VALU_DEP_1)
	v_pk_add_f16 v17, v48, v17
	v_pk_add_f16 v17, v17, v18
	s_delay_alu instid0(VALU_DEP_1) | instskip(NEXT) | instid1(VALU_DEP_1)
	v_lshrrev_b32_e32 v18, 16, v17
	v_add_f16_e32 v17, v17, v18
	s_delay_alu instid0(VALU_DEP_1) | instskip(SKIP_3) | instid1(SALU_CYCLE_1)
	v_add_f16_e32 v16, v17, v16
	global_store_b16 v[0:1], v16, off
	s_or_b32 exec_lo, exec_lo, s0
	s_and_b32 s1, s2, s8
	s_and_saveexec_b32 s0, s1
	s_cbranch_execz .LBB293_159
.LBB293_173:
	v_cmp_ne_u32_e32 vcc_lo, 1, v59
	v_lshlrev_b64 v[0:1], 1, v[28:29]
	s_cbranch_vccnz .LBB293_175
; %bb.174:
	s_delay_alu instid0(VALU_DEP_1) | instskip(NEXT) | instid1(VALU_DEP_2)
	v_add_co_u32 v16, vcc_lo, v22, v0
	v_add_co_ci_u32_e32 v17, vcc_lo, v23, v1, vcc_lo
	flat_load_u16 v16, v[16:17]
	s_waitcnt vmcnt(0) lgkmcnt(0)
	v_mul_f16_e32 v16, s20, v16
	s_branch .LBB293_176
.LBB293_175:
	v_mov_b32_e32 v16, 0
.LBB293_176:
	v_pk_max_f16 v17, v2, v2
	v_pk_max_f16 v12, v12, v12
	;; [unrolled: 1-line block ×4, first 2 shown]
	v_add_co_u32 v0, vcc_lo, v20, v0
	s_delay_alu instid0(VALU_DEP_4) | instskip(SKIP_1) | instid1(VALU_DEP_4)
	v_pk_min_f16 v12, v12, v17
	v_add_co_ci_u32_e32 v1, vcc_lo, v21, v1, vcc_lo
	v_pk_min_f16 v13, v13, v18
	s_delay_alu instid0(VALU_DEP_3) | instskip(NEXT) | instid1(VALU_DEP_1)
	v_pk_add_f16 v12, v47, v12
	v_pk_add_f16 v12, v12, v13
	s_delay_alu instid0(VALU_DEP_1) | instskip(NEXT) | instid1(VALU_DEP_1)
	v_lshrrev_b32_e32 v13, 16, v12
	v_add_f16_e32 v12, v12, v13
	s_delay_alu instid0(VALU_DEP_1) | instskip(SKIP_3) | instid1(SALU_CYCLE_1)
	v_add_f16_e32 v12, v12, v16
	global_store_b16 v[0:1], v12, off
	s_or_b32 exec_lo, exec_lo, s0
	s_and_b32 s1, s3, s8
	s_and_saveexec_b32 s0, s1
	s_cbranch_execz .LBB293_160
.LBB293_177:
	v_cmp_ne_u32_e32 vcc_lo, 1, v59
	v_lshlrev_b64 v[0:1], 1, v[30:31]
	s_cbranch_vccnz .LBB293_179
; %bb.178:
	s_delay_alu instid0(VALU_DEP_1) | instskip(NEXT) | instid1(VALU_DEP_2)
	v_add_co_u32 v12, vcc_lo, v22, v0
	v_add_co_ci_u32_e32 v13, vcc_lo, v23, v1, vcc_lo
	flat_load_u16 v12, v[12:13]
	s_waitcnt vmcnt(0) lgkmcnt(0)
	v_mul_f16_e32 v12, s20, v12
	s_branch .LBB293_180
.LBB293_179:
	v_mov_b32_e32 v12, 0
.LBB293_180:
	v_pk_max_f16 v13, v2, v2
	v_pk_max_f16 v14, v14, v14
	;; [unrolled: 1-line block ×4, first 2 shown]
	v_add_co_u32 v0, vcc_lo, v20, v0
	s_delay_alu instid0(VALU_DEP_4) | instskip(SKIP_1) | instid1(VALU_DEP_4)
	v_pk_min_f16 v13, v14, v13
	v_add_co_ci_u32_e32 v1, vcc_lo, v21, v1, vcc_lo
	v_pk_min_f16 v14, v15, v16
	s_delay_alu instid0(VALU_DEP_3) | instskip(NEXT) | instid1(VALU_DEP_1)
	v_pk_add_f16 v13, v46, v13
	v_pk_add_f16 v13, v13, v14
	s_delay_alu instid0(VALU_DEP_1) | instskip(NEXT) | instid1(VALU_DEP_1)
	v_lshrrev_b32_e32 v14, 16, v13
	v_add_f16_e32 v13, v13, v14
	s_delay_alu instid0(VALU_DEP_1) | instskip(SKIP_3) | instid1(SALU_CYCLE_1)
	v_add_f16_e32 v12, v13, v12
	global_store_b16 v[0:1], v12, off
	s_or_b32 exec_lo, exec_lo, s0
	s_and_b32 s1, s4, s8
	s_and_saveexec_b32 s0, s1
	s_cbranch_execz .LBB293_161
.LBB293_181:
	v_cmp_ne_u32_e32 vcc_lo, 1, v59
	v_lshlrev_b64 v[0:1], 1, v[32:33]
	s_cbranch_vccnz .LBB293_183
; %bb.182:
	s_delay_alu instid0(VALU_DEP_1) | instskip(NEXT) | instid1(VALU_DEP_2)
	v_add_co_u32 v12, vcc_lo, v22, v0
	v_add_co_ci_u32_e32 v13, vcc_lo, v23, v1, vcc_lo
	flat_load_u16 v12, v[12:13]
	s_waitcnt vmcnt(0) lgkmcnt(0)
	v_mul_f16_e32 v12, s20, v12
	s_branch .LBB293_184
.LBB293_183:
	v_mov_b32_e32 v12, 0
.LBB293_184:
	v_pk_max_f16 v13, v2, v2
	v_pk_max_f16 v8, v8, v8
	;; [unrolled: 1-line block ×4, first 2 shown]
	v_add_co_u32 v0, vcc_lo, v20, v0
	s_delay_alu instid0(VALU_DEP_4) | instskip(SKIP_1) | instid1(VALU_DEP_4)
	v_pk_min_f16 v8, v8, v13
	v_add_co_ci_u32_e32 v1, vcc_lo, v21, v1, vcc_lo
	v_pk_min_f16 v9, v9, v14
	s_delay_alu instid0(VALU_DEP_3) | instskip(NEXT) | instid1(VALU_DEP_1)
	v_pk_add_f16 v8, v45, v8
	v_pk_add_f16 v8, v8, v9
	s_delay_alu instid0(VALU_DEP_1) | instskip(NEXT) | instid1(VALU_DEP_1)
	v_lshrrev_b32_e32 v9, 16, v8
	v_add_f16_e32 v8, v8, v9
	s_delay_alu instid0(VALU_DEP_1) | instskip(SKIP_3) | instid1(SALU_CYCLE_1)
	v_add_f16_e32 v8, v8, v12
	global_store_b16 v[0:1], v8, off
	s_or_b32 exec_lo, exec_lo, s0
	s_and_b32 s1, s5, s8
	s_and_saveexec_b32 s0, s1
	s_cbranch_execz .LBB293_162
.LBB293_185:
	v_cmp_ne_u32_e32 vcc_lo, 1, v59
	v_lshlrev_b64 v[0:1], 1, v[34:35]
	s_cbranch_vccnz .LBB293_187
; %bb.186:
	s_delay_alu instid0(VALU_DEP_1) | instskip(NEXT) | instid1(VALU_DEP_2)
	v_add_co_u32 v8, vcc_lo, v22, v0
	v_add_co_ci_u32_e32 v9, vcc_lo, v23, v1, vcc_lo
	flat_load_u16 v8, v[8:9]
	s_waitcnt vmcnt(0) lgkmcnt(0)
	v_mul_f16_e32 v8, s20, v8
	s_branch .LBB293_188
.LBB293_187:
	v_mov_b32_e32 v8, 0
.LBB293_188:
	v_pk_max_f16 v9, v2, v2
	v_pk_max_f16 v10, v10, v10
	;; [unrolled: 1-line block ×4, first 2 shown]
	v_add_co_u32 v0, vcc_lo, v20, v0
	s_delay_alu instid0(VALU_DEP_4) | instskip(SKIP_1) | instid1(VALU_DEP_4)
	v_pk_min_f16 v9, v10, v9
	v_add_co_ci_u32_e32 v1, vcc_lo, v21, v1, vcc_lo
	v_pk_min_f16 v10, v11, v12
	s_delay_alu instid0(VALU_DEP_3) | instskip(NEXT) | instid1(VALU_DEP_1)
	v_pk_add_f16 v9, v44, v9
	v_pk_add_f16 v9, v9, v10
	s_delay_alu instid0(VALU_DEP_1) | instskip(NEXT) | instid1(VALU_DEP_1)
	v_lshrrev_b32_e32 v10, 16, v9
	v_add_f16_e32 v9, v9, v10
	s_delay_alu instid0(VALU_DEP_1) | instskip(SKIP_3) | instid1(SALU_CYCLE_1)
	v_add_f16_e32 v8, v9, v8
	global_store_b16 v[0:1], v8, off
	s_or_b32 exec_lo, exec_lo, s0
	s_and_b32 s1, s6, s8
	s_and_saveexec_b32 s0, s1
	s_cbranch_execz .LBB293_163
.LBB293_189:
	v_cmp_ne_u32_e32 vcc_lo, 1, v59
	v_lshlrev_b64 v[0:1], 1, v[36:37]
	s_cbranch_vccnz .LBB293_191
; %bb.190:
	s_delay_alu instid0(VALU_DEP_1) | instskip(NEXT) | instid1(VALU_DEP_2)
	v_add_co_u32 v8, vcc_lo, v22, v0
	v_add_co_ci_u32_e32 v9, vcc_lo, v23, v1, vcc_lo
	flat_load_u16 v8, v[8:9]
	s_waitcnt vmcnt(0) lgkmcnt(0)
	v_mul_f16_e32 v8, s20, v8
	s_branch .LBB293_192
.LBB293_191:
	v_mov_b32_e32 v8, 0
.LBB293_192:
	v_pk_max_f16 v9, v2, v2
	v_pk_max_f16 v4, v4, v4
	;; [unrolled: 1-line block ×4, first 2 shown]
	v_add_co_u32 v0, vcc_lo, v20, v0
	s_delay_alu instid0(VALU_DEP_4) | instskip(SKIP_1) | instid1(VALU_DEP_4)
	v_pk_min_f16 v4, v4, v9
	v_add_co_ci_u32_e32 v1, vcc_lo, v21, v1, vcc_lo
	v_pk_min_f16 v5, v5, v10
	s_delay_alu instid0(VALU_DEP_3) | instskip(NEXT) | instid1(VALU_DEP_1)
	v_pk_add_f16 v4, v43, v4
	v_pk_add_f16 v4, v4, v5
	s_delay_alu instid0(VALU_DEP_1) | instskip(NEXT) | instid1(VALU_DEP_1)
	v_lshrrev_b32_e32 v5, 16, v4
	v_add_f16_e32 v4, v4, v5
	s_delay_alu instid0(VALU_DEP_1) | instskip(SKIP_3) | instid1(SALU_CYCLE_1)
	v_add_f16_e32 v4, v4, v8
	global_store_b16 v[0:1], v4, off
	s_or_b32 exec_lo, exec_lo, s0
	s_and_b32 s0, s7, s8
	s_and_saveexec_b32 s1, s0
	s_cbranch_execz .LBB293_164
.LBB293_193:
	v_cmp_ne_u32_e32 vcc_lo, 1, v59
	v_lshlrev_b64 v[0:1], 1, v[38:39]
	s_cbranch_vccnz .LBB293_195
; %bb.194:
	s_delay_alu instid0(VALU_DEP_1) | instskip(NEXT) | instid1(VALU_DEP_2)
	v_add_co_u32 v4, vcc_lo, v22, v0
	v_add_co_ci_u32_e32 v5, vcc_lo, v23, v1, vcc_lo
	flat_load_u16 v4, v[4:5]
	s_waitcnt vmcnt(0) lgkmcnt(0)
	v_mul_f16_e32 v4, s20, v4
	s_branch .LBB293_196
.LBB293_195:
	v_mov_b32_e32 v4, 0
.LBB293_196:
	v_pk_max_f16 v2, v2, v2
	v_pk_max_f16 v5, v6, v6
	;; [unrolled: 1-line block ×4, first 2 shown]
	v_add_co_u32 v0, vcc_lo, v20, v0
	s_delay_alu instid0(VALU_DEP_4) | instskip(SKIP_1) | instid1(VALU_DEP_4)
	v_pk_min_f16 v2, v5, v2
	v_add_co_ci_u32_e32 v1, vcc_lo, v21, v1, vcc_lo
	v_pk_min_f16 v3, v6, v3
	s_delay_alu instid0(VALU_DEP_3) | instskip(NEXT) | instid1(VALU_DEP_1)
	v_pk_add_f16 v2, v42, v2
	v_pk_add_f16 v2, v2, v3
	s_delay_alu instid0(VALU_DEP_1) | instskip(NEXT) | instid1(VALU_DEP_1)
	v_lshrrev_b32_e32 v3, 16, v2
	v_add_f16_e32 v2, v2, v3
	s_delay_alu instid0(VALU_DEP_1)
	v_add_f16_e32 v2, v2, v4
	global_store_b16 v[0:1], v2, off
	s_nop 0
	s_sendmsg sendmsg(MSG_DEALLOC_VGPRS)
	s_endpgm
	.section	.rodata,"a",@progbits
	.p2align	6, 0x0
	.amdhsa_kernel _ZN12_GLOBAL__N_120geam_min_plus_kernelIDF16_Dv2_DF16_S1_Li8ELi32ELi64ELi128ELi4ELi4ELi64ELi4ELi64ELc84ELc78ELb0ELb1ELb0EDF16_KDF16_DF16_EEviiiT16_PT17_ilS5_ilS3_S5_ilPT18_ili26rocblas_geam_ex_operation_
		.amdhsa_group_segment_fixed_size 3072
		.amdhsa_private_segment_fixed_size 0
		.amdhsa_kernarg_size 128
		.amdhsa_user_sgpr_count 14
		.amdhsa_user_sgpr_dispatch_ptr 0
		.amdhsa_user_sgpr_queue_ptr 0
		.amdhsa_user_sgpr_kernarg_segment_ptr 1
		.amdhsa_user_sgpr_dispatch_id 0
		.amdhsa_user_sgpr_private_segment_size 0
		.amdhsa_wavefront_size32 1
		.amdhsa_uses_dynamic_stack 0
		.amdhsa_enable_private_segment 0
		.amdhsa_system_sgpr_workgroup_id_x 1
		.amdhsa_system_sgpr_workgroup_id_y 0
		.amdhsa_system_sgpr_workgroup_id_z 1
		.amdhsa_system_sgpr_workgroup_info 0
		.amdhsa_system_vgpr_workitem_id 1
		.amdhsa_next_free_vgpr 121
		.amdhsa_next_free_sgpr 31
		.amdhsa_reserve_vcc 1
		.amdhsa_float_round_mode_32 0
		.amdhsa_float_round_mode_16_64 0
		.amdhsa_float_denorm_mode_32 3
		.amdhsa_float_denorm_mode_16_64 3
		.amdhsa_dx10_clamp 1
		.amdhsa_ieee_mode 1
		.amdhsa_fp16_overflow 0
		.amdhsa_workgroup_processor_mode 1
		.amdhsa_memory_ordered 1
		.amdhsa_forward_progress 0
		.amdhsa_shared_vgpr_count 0
		.amdhsa_exception_fp_ieee_invalid_op 0
		.amdhsa_exception_fp_denorm_src 0
		.amdhsa_exception_fp_ieee_div_zero 0
		.amdhsa_exception_fp_ieee_overflow 0
		.amdhsa_exception_fp_ieee_underflow 0
		.amdhsa_exception_fp_ieee_inexact 0
		.amdhsa_exception_int_div_zero 0
	.end_amdhsa_kernel
	.section	.text._ZN12_GLOBAL__N_120geam_min_plus_kernelIDF16_Dv2_DF16_S1_Li8ELi32ELi64ELi128ELi4ELi4ELi64ELi4ELi64ELc84ELc78ELb0ELb1ELb0EDF16_KDF16_DF16_EEviiiT16_PT17_ilS5_ilS3_S5_ilPT18_ili26rocblas_geam_ex_operation_,"axG",@progbits,_ZN12_GLOBAL__N_120geam_min_plus_kernelIDF16_Dv2_DF16_S1_Li8ELi32ELi64ELi128ELi4ELi4ELi64ELi4ELi64ELc84ELc78ELb0ELb1ELb0EDF16_KDF16_DF16_EEviiiT16_PT17_ilS5_ilS3_S5_ilPT18_ili26rocblas_geam_ex_operation_,comdat
.Lfunc_end293:
	.size	_ZN12_GLOBAL__N_120geam_min_plus_kernelIDF16_Dv2_DF16_S1_Li8ELi32ELi64ELi128ELi4ELi4ELi64ELi4ELi64ELc84ELc78ELb0ELb1ELb0EDF16_KDF16_DF16_EEviiiT16_PT17_ilS5_ilS3_S5_ilPT18_ili26rocblas_geam_ex_operation_, .Lfunc_end293-_ZN12_GLOBAL__N_120geam_min_plus_kernelIDF16_Dv2_DF16_S1_Li8ELi32ELi64ELi128ELi4ELi4ELi64ELi4ELi64ELc84ELc78ELb0ELb1ELb0EDF16_KDF16_DF16_EEviiiT16_PT17_ilS5_ilS3_S5_ilPT18_ili26rocblas_geam_ex_operation_
                                        ; -- End function
	.section	.AMDGPU.csdata,"",@progbits
; Kernel info:
; codeLenInByte = 12984
; NumSgprs: 33
; NumVgprs: 121
; ScratchSize: 0
; MemoryBound: 0
; FloatMode: 240
; IeeeMode: 1
; LDSByteSize: 3072 bytes/workgroup (compile time only)
; SGPRBlocks: 4
; VGPRBlocks: 15
; NumSGPRsForWavesPerEU: 33
; NumVGPRsForWavesPerEU: 121
; Occupancy: 10
; WaveLimiterHint : 0
; COMPUTE_PGM_RSRC2:SCRATCH_EN: 0
; COMPUTE_PGM_RSRC2:USER_SGPR: 14
; COMPUTE_PGM_RSRC2:TRAP_HANDLER: 0
; COMPUTE_PGM_RSRC2:TGID_X_EN: 1
; COMPUTE_PGM_RSRC2:TGID_Y_EN: 0
; COMPUTE_PGM_RSRC2:TGID_Z_EN: 1
; COMPUTE_PGM_RSRC2:TIDIG_COMP_CNT: 1
	.section	.text._ZN12_GLOBAL__N_120geam_min_plus_kernelIDF16_Dv2_DF16_S1_Li8ELi32ELi64ELi128ELi4ELi64ELi4ELi64ELi4ELc78ELc84ELb0ELb0ELb0EPKDF16_S2_DF16_EEviiiT16_PT17_ilS6_ilS4_S6_ilPT18_ili26rocblas_geam_ex_operation_,"axG",@progbits,_ZN12_GLOBAL__N_120geam_min_plus_kernelIDF16_Dv2_DF16_S1_Li8ELi32ELi64ELi128ELi4ELi64ELi4ELi64ELi4ELc78ELc84ELb0ELb0ELb0EPKDF16_S2_DF16_EEviiiT16_PT17_ilS6_ilS4_S6_ilPT18_ili26rocblas_geam_ex_operation_,comdat
	.globl	_ZN12_GLOBAL__N_120geam_min_plus_kernelIDF16_Dv2_DF16_S1_Li8ELi32ELi64ELi128ELi4ELi64ELi4ELi64ELi4ELc78ELc84ELb0ELb0ELb0EPKDF16_S2_DF16_EEviiiT16_PT17_ilS6_ilS4_S6_ilPT18_ili26rocblas_geam_ex_operation_ ; -- Begin function _ZN12_GLOBAL__N_120geam_min_plus_kernelIDF16_Dv2_DF16_S1_Li8ELi32ELi64ELi128ELi4ELi64ELi4ELi64ELi4ELc78ELc84ELb0ELb0ELb0EPKDF16_S2_DF16_EEviiiT16_PT17_ilS6_ilS4_S6_ilPT18_ili26rocblas_geam_ex_operation_
	.p2align	8
	.type	_ZN12_GLOBAL__N_120geam_min_plus_kernelIDF16_Dv2_DF16_S1_Li8ELi32ELi64ELi128ELi4ELi64ELi4ELi64ELi4ELc78ELc84ELb0ELb0ELb0EPKDF16_S2_DF16_EEviiiT16_PT17_ilS6_ilS4_S6_ilPT18_ili26rocblas_geam_ex_operation_,@function
_ZN12_GLOBAL__N_120geam_min_plus_kernelIDF16_Dv2_DF16_S1_Li8ELi32ELi64ELi128ELi4ELi64ELi4ELi64ELi4ELc78ELc84ELb0ELb0ELb0EPKDF16_S2_DF16_EEviiiT16_PT17_ilS6_ilS4_S6_ilPT18_ili26rocblas_geam_ex_operation_: ; @_ZN12_GLOBAL__N_120geam_min_plus_kernelIDF16_Dv2_DF16_S1_Li8ELi32ELi64ELi128ELi4ELi64ELi4ELi64ELi4ELc78ELc84ELb0ELb0ELb0EPKDF16_S2_DF16_EEviiiT16_PT17_ilS6_ilS4_S6_ilPT18_ili26rocblas_geam_ex_operation_
; %bb.0:
	s_clause 0x1
	s_load_b128 s[8:11], s[0:1], 0x10
	s_load_b128 s[4:7], s[0:1], 0x28
	s_mov_b32 s12, s15
	s_mov_b32 s13, 0
	v_mov_b32_e32 v1, 0
	s_lshl_b64 s[2:3], s[12:13], 1
	s_mov_b64 s[20:21], 0
	s_waitcnt lgkmcnt(0)
	s_add_u32 s8, s8, s2
	s_addc_u32 s9, s9, s3
	global_load_u16 v50, v1, s[8:9]
	s_clause 0x1
	s_load_b128 s[16:19], s[0:1], 0x40
	s_load_b64 s[8:9], s[0:1], 0x50
	s_waitcnt lgkmcnt(0)
	s_add_u32 s22, s18, s2
	s_addc_u32 s23, s19, s3
	s_mov_b64 s[18:19], 0
	s_waitcnt vmcnt(0)
	v_cmp_eq_f16_e32 vcc_lo, 0, v50
	v_cmp_neq_f16_e64 s2, 0, v50
	s_cbranch_vccnz .LBB294_2
; %bb.1:
	s_mul_i32 s3, s12, s5
	s_mul_hi_u32 s5, s12, s4
	s_mul_i32 s4, s12, s4
	s_add_i32 s5, s5, s3
	s_delay_alu instid0(SALU_CYCLE_1) | instskip(NEXT) | instid1(SALU_CYCLE_1)
	s_lshl_b64 s[4:5], s[4:5], 1
	s_add_u32 s18, s10, s4
	s_addc_u32 s19, s11, s5
.LBB294_2:
	global_load_u16 v32, v1, s[22:23]
	v_cndmask_b32_e64 v1, 0, 1, s2
	s_and_not1_b32 vcc_lo, exec_lo, s2
	s_delay_alu instid0(VALU_DEP_1)
	v_cmp_ne_u32_e64 s3, 1, v1
	s_cbranch_vccnz .LBB294_4
; %bb.3:
	s_mul_i32 s2, s12, s17
	s_mul_hi_u32 s4, s12, s16
	s_delay_alu instid0(SALU_CYCLE_1) | instskip(SKIP_1) | instid1(SALU_CYCLE_1)
	s_add_i32 s5, s4, s2
	s_mul_i32 s4, s12, s16
	s_lshl_b64 s[4:5], s[4:5], 1
	s_delay_alu instid0(SALU_CYCLE_1)
	s_add_u32 s20, s6, s4
	s_addc_u32 s21, s7, s5
.LBB294_4:
	s_load_b128 s[4:7], s[0:1], 0x60
	s_waitcnt vmcnt(0)
	v_cmp_eq_f16_e32 vcc_lo, 0, v32
	s_and_b32 s2, exec_lo, vcc_lo
	s_delay_alu instid0(SALU_CYCLE_1)
	s_mov_b32 vcc_lo, s2
	s_cbranch_vccnz .LBB294_6
; %bb.5:
	s_waitcnt lgkmcnt(0)
	s_mul_i32 s5, s12, s5
	s_mul_hi_u32 s10, s12, s4
	s_mul_i32 s4, s12, s4
	s_add_i32 s5, s10, s5
	s_delay_alu instid0(SALU_CYCLE_1) | instskip(NEXT) | instid1(SALU_CYCLE_1)
	s_lshl_b64 s[4:5], s[4:5], 1
	s_add_u32 s8, s8, s4
	s_addc_u32 s9, s9, s5
	s_branch .LBB294_7
.LBB294_6:
	s_mov_b64 s[8:9], 0
.LBB294_7:
	s_waitcnt lgkmcnt(0)
	s_clause 0x1
	s_load_b32 s4, s[0:1], 0x0
	s_load_b32 s10, s[0:1], 0x20
	v_and_b32_e32 v51, 0x3ff, v0
	v_bfe_u32 v52, v0, 10, 10
	s_waitcnt lgkmcnt(0)
	s_add_i32 s4, s4, -1
	s_ashr_i32 s11, s10, 31
	s_ashr_i32 s5, s4, 31
	s_delay_alu instid0(SALU_CYCLE_1) | instskip(NEXT) | instid1(SALU_CYCLE_1)
	s_lshr_b32 s5, s5, 26
	s_add_i32 s4, s4, s5
	s_delay_alu instid0(SALU_CYCLE_1) | instskip(NEXT) | instid1(SALU_CYCLE_1)
	s_ashr_i32 s4, s4, 6
	s_add_i32 s13, s4, 1
	s_not_b32 s4, s4
	v_cvt_f32_u32_e32 v1, s13
	s_delay_alu instid0(VALU_DEP_1) | instskip(SKIP_2) | instid1(VALU_DEP_1)
	v_rcp_iflag_f32_e32 v1, v1
	s_waitcnt_depctr 0xfff
	v_mul_f32_e32 v1, 0x4f7ffffe, v1
	v_cvt_u32_f32_e32 v1, v1
	s_delay_alu instid0(VALU_DEP_1) | instskip(SKIP_1) | instid1(VALU_DEP_2)
	v_readfirstlane_b32 s5, v1
	v_lshl_add_u32 v1, v52, 3, v51
	s_mul_i32 s4, s4, s5
	s_delay_alu instid0(VALU_DEP_1) | instskip(SKIP_3) | instid1(SALU_CYCLE_1)
	v_and_b32_e32 v5, 63, v1
	s_mul_hi_u32 s4, s5, s4
	v_lshrrev_b32_e32 v4, 6, v1
	s_add_i32 s5, s5, s4
	s_mul_hi_u32 s4, s14, s5
	s_delay_alu instid0(SALU_CYCLE_1) | instskip(SKIP_2) | instid1(SALU_CYCLE_1)
	s_mul_i32 s5, s4, s13
	s_add_i32 s15, s4, 1
	s_sub_i32 s5, s14, s5
	s_sub_i32 s16, s5, s13
	s_cmp_ge_u32 s5, s13
	s_cselect_b32 s4, s15, s4
	s_cselect_b32 s5, s16, s5
	s_add_i32 s15, s4, 1
	s_cmp_ge_u32 s5, s13
	s_cselect_b32 s5, s15, s4
	s_and_b32 vcc_lo, exec_lo, s3
	s_mul_i32 s17, s5, s13
	s_delay_alu instid0(SALU_CYCLE_1) | instskip(NEXT) | instid1(SALU_CYCLE_1)
	s_sub_i32 s4, s14, s17
	s_lshl_b32 s13, s4, 6
	s_delay_alu instid0(SALU_CYCLE_1) | instskip(NEXT) | instid1(VALU_DEP_1)
	v_or_b32_e32 v0, s13, v5
	v_ashrrev_i32_e32 v1, 31, v0
	s_cbranch_vccnz .LBB294_9
; %bb.8:
	v_mad_i64_i32 v[2:3], null, s10, v4, 0
	s_delay_alu instid0(VALU_DEP_2) | instskip(NEXT) | instid1(VALU_DEP_2)
	v_lshlrev_b64 v[6:7], 1, v[0:1]
	v_lshlrev_b64 v[2:3], 1, v[2:3]
	s_delay_alu instid0(VALU_DEP_1) | instskip(NEXT) | instid1(VALU_DEP_2)
	v_add_co_u32 v2, vcc_lo, s18, v2
	v_add_co_ci_u32_e32 v3, vcc_lo, s19, v3, vcc_lo
	s_delay_alu instid0(VALU_DEP_2) | instskip(NEXT) | instid1(VALU_DEP_2)
	v_add_co_u32 v2, vcc_lo, v2, v6
	v_add_co_ci_u32_e32 v3, vcc_lo, v3, v7, vcc_lo
	flat_load_u16 v2, v[2:3]
	s_waitcnt vmcnt(0) lgkmcnt(0)
	v_mul_f16_e32 v6, v50, v2
	s_branch .LBB294_10
.LBB294_9:
	v_mov_b32_e32 v6, 0
.LBB294_10:
	s_load_b32 s4, s[0:1], 0x38
	s_lshl_b32 s15, s5, 7
	s_and_b32 vcc_lo, exec_lo, s3
	v_or_b32_e32 v2, s15, v5
	s_delay_alu instid0(VALU_DEP_1)
	v_ashrrev_i32_e32 v3, 31, v2
	s_waitcnt lgkmcnt(0)
	s_ashr_i32 s5, s4, 31
	s_cbranch_vccnz .LBB294_14
; %bb.11:
	v_mad_i64_i32 v[7:8], null, s4, v4, 0
	v_lshlrev_b64 v[9:10], 1, v[2:3]
	s_delay_alu instid0(VALU_DEP_2) | instskip(NEXT) | instid1(VALU_DEP_1)
	v_lshlrev_b64 v[7:8], 1, v[7:8]
	v_add_co_u32 v7, vcc_lo, s20, v7
	s_delay_alu instid0(VALU_DEP_2) | instskip(NEXT) | instid1(VALU_DEP_2)
	v_add_co_ci_u32_e32 v8, vcc_lo, s21, v8, vcc_lo
	v_add_co_u32 v7, vcc_lo, v7, v9
	s_delay_alu instid0(VALU_DEP_2)
	v_add_co_ci_u32_e32 v8, vcc_lo, v8, v10, vcc_lo
	s_clause 0x1
	flat_load_u16 v9, v[7:8]
	flat_load_u16 v8, v[7:8] offset:128
	s_waitcnt vmcnt(1) lgkmcnt(1)
	v_mul_f16_e32 v7, v50, v9
	s_waitcnt vmcnt(0) lgkmcnt(0)
	v_mul_f16_e32 v8, v50, v8
	v_add_nc_u32_e32 v9, 4, v4
	s_and_b32 vcc_lo, exec_lo, s3
	s_cbranch_vccnz .LBB294_15
.LBB294_12:
	s_delay_alu instid0(VALU_DEP_1) | instskip(SKIP_1) | instid1(VALU_DEP_2)
	v_mad_i64_i32 v[10:11], null, s10, v9, 0
	v_lshlrev_b64 v[0:1], 1, v[0:1]
	v_lshlrev_b64 v[10:11], 1, v[10:11]
	s_delay_alu instid0(VALU_DEP_1) | instskip(NEXT) | instid1(VALU_DEP_2)
	v_add_co_u32 v10, vcc_lo, s18, v10
	v_add_co_ci_u32_e32 v11, vcc_lo, s19, v11, vcc_lo
	s_delay_alu instid0(VALU_DEP_2) | instskip(NEXT) | instid1(VALU_DEP_2)
	v_add_co_u32 v0, vcc_lo, v10, v0
	v_add_co_ci_u32_e32 v1, vcc_lo, v11, v1, vcc_lo
	flat_load_u16 v0, v[0:1]
	s_waitcnt vmcnt(0) lgkmcnt(0)
	v_mul_f16_e32 v0, v50, v0
	s_and_b32 vcc_lo, exec_lo, s3
	s_cbranch_vccnz .LBB294_16
.LBB294_13:
	v_mad_i64_i32 v[10:11], null, s4, v9, 0
	v_lshlrev_b64 v[1:2], 1, v[2:3]
	s_delay_alu instid0(VALU_DEP_2) | instskip(NEXT) | instid1(VALU_DEP_1)
	v_lshlrev_b64 v[9:10], 1, v[10:11]
	v_add_co_u32 v3, vcc_lo, s20, v9
	s_delay_alu instid0(VALU_DEP_2) | instskip(NEXT) | instid1(VALU_DEP_2)
	v_add_co_ci_u32_e32 v9, vcc_lo, s21, v10, vcc_lo
	v_add_co_u32 v1, vcc_lo, v3, v1
	s_delay_alu instid0(VALU_DEP_2)
	v_add_co_ci_u32_e32 v2, vcc_lo, v9, v2, vcc_lo
	s_clause 0x1
	flat_load_u16 v3, v[1:2]
	flat_load_u16 v2, v[1:2] offset:128
	s_waitcnt vmcnt(1) lgkmcnt(1)
	v_mul_f16_e32 v1, v50, v3
	s_waitcnt vmcnt(0) lgkmcnt(0)
	v_mul_f16_e32 v2, v50, v2
	s_branch .LBB294_17
.LBB294_14:
	v_dual_mov_b32 v7, 0 :: v_dual_mov_b32 v8, 0
	v_add_nc_u32_e32 v9, 4, v4
	s_and_b32 vcc_lo, exec_lo, s3
	s_cbranch_vccz .LBB294_12
.LBB294_15:
	v_mov_b32_e32 v0, 0
	s_and_b32 vcc_lo, exec_lo, s3
	s_cbranch_vccz .LBB294_13
.LBB294_16:
	v_dual_mov_b32 v1, 0 :: v_dual_mov_b32 v2, 0
.LBB294_17:
	v_lshlrev_b32_e32 v3, 1, v4
	v_lshlrev_b32_e32 v53, 3, v51
	v_lshlrev_b32_e32 v54, 3, v52
	s_load_b32 s16, s[0:1], 0x8
	s_delay_alu instid0(VALU_DEP_3) | instskip(NEXT) | instid1(VALU_DEP_3)
	v_lshl_add_u32 v63, v5, 3, v3
	v_add_nc_u32_e32 v3, 0x800, v53
	ds_store_b16 v63, v7
	ds_store_b16 v63, v6 offset:2048
	ds_store_b16 v63, v8 offset:512
	s_waitcnt lgkmcnt(0)
	s_barrier
	buffer_gl0_inv
	ds_load_2addr_b64 v[6:9], v54 offset1:32
	ds_load_2addr_b64 v[10:13], v3 offset0:48 offset1:56
	ds_load_2addr_b64 v[14:17], v54 offset0:64 offset1:96
	ds_load_2addr_b64 v[18:21], v3 offset1:8
	ds_load_2addr_b64 v[22:25], v3 offset0:16 offset1:24
	ds_load_2addr_b64 v[26:29], v3 offset0:32 offset1:40
	ds_store_b16 v63, v1 offset:1024
	ds_store_b16 v63, v0 offset:2560
	;; [unrolled: 1-line block ×3, first 2 shown]
	s_waitcnt lgkmcnt(0)
	s_barrier
	buffer_gl0_inv
	s_cmp_lt_i32 s16, 9
	v_pk_max_f16 v3, v6, v6
	v_pk_max_f16 v8, v8, v8
	;; [unrolled: 1-line block ×8, first 2 shown]
	v_pk_min_f16 v39, v22, v3
	v_pk_min_f16 v40, v22, v8
	;; [unrolled: 1-line block ×3, first 2 shown]
	v_pk_max_f16 v16, v16, v16
	v_pk_max_f16 v18, v20, v20
	v_pk_add_f16 v42, v39, 0
	v_pk_min_f16 v39, v24, v3
	v_pk_add_f16 v43, v40, 0
	v_pk_min_f16 v40, v24, v8
	v_pk_min_f16 v20, v6, v3
	v_pk_add_f16 v44, v41, 0
	v_pk_add_f16 v45, v39, 0
	v_pk_min_f16 v39, v26, v3
	v_pk_min_f16 v41, v24, v12
	v_pk_add_f16 v55, v40, 0
	v_pk_min_f16 v40, v26, v8
	v_pk_max_f16 v28, v28, v28
	v_pk_add_f16 v57, v39, 0
	v_pk_min_f16 v39, v26, v12
	v_pk_max_f16 v10, v10, v10
	v_pk_max_f16 v7, v7, v7
	;; [unrolled: 1-line block ×3, first 2 shown]
	v_pk_min_f16 v30, v6, v8
	v_pk_min_f16 v31, v6, v12
	;; [unrolled: 1-line block ×8, first 2 shown]
	v_pk_add_f16 v20, v20, 0
	v_pk_min_f16 v38, v18, v12
	v_pk_min_f16 v18, v18, v16
	;; [unrolled: 1-line block ×4, first 2 shown]
	v_pk_add_f16 v56, v41, 0
	v_pk_min_f16 v26, v26, v16
	v_pk_add_f16 v64, v40, 0
	v_pk_min_f16 v40, v28, v3
	v_pk_min_f16 v41, v28, v8
	v_pk_add_f16 v65, v39, 0
	v_pk_min_f16 v39, v28, v12
	v_pk_min_f16 v28, v28, v16
	;; [unrolled: 1-line block ×6, first 2 shown]
	v_pk_max_f16 v9, v9, v9
	v_pk_min_f16 v6, v6, v16
	v_pk_min_f16 v16, v13, v7
	v_pk_add_f16 v30, v30, 0
	v_pk_add_f16 v73, v39, 0
	v_pk_max_f16 v15, v15, v15
	v_pk_min_f16 v39, v13, v9
	v_pk_max_f16 v19, v19, v19
	v_pk_add_f16 v62, v16, v20
	v_pk_max_f16 v16, v17, v17
	v_pk_add_f16 v31, v31, 0
	v_pk_add_f16 v33, v33, 0
	;; [unrolled: 1-line block ×5, first 2 shown]
	v_pk_min_f16 v40, v13, v15
	v_pk_add_f16 v49, v39, v30
	v_pk_min_f16 v17, v19, v7
	v_pk_min_f16 v20, v19, v9
	v_pk_min_f16 v30, v19, v15
	v_pk_min_f16 v19, v19, v16
	v_pk_max_f16 v21, v21, v21
	v_pk_add_f16 v36, v36, 0
	v_pk_add_f16 v37, v37, 0
	;; [unrolled: 1-line block ×9, first 2 shown]
	v_pk_min_f16 v14, v21, v7
	v_pk_min_f16 v17, v21, v9
	;; [unrolled: 1-line block ×4, first 2 shown]
	v_pk_max_f16 v21, v23, v23
	v_pk_add_f16 v22, v22, 0
	v_pk_add_f16 v69, v14, v36
	;; [unrolled: 1-line block ×5, first 2 shown]
	v_pk_min_f16 v14, v21, v7
	v_pk_min_f16 v17, v21, v9
	;; [unrolled: 1-line block ×4, first 2 shown]
	v_pk_max_f16 v20, v25, v25
	v_pk_add_f16 v24, v24, 0
	v_pk_add_f16 v68, v14, v42
	;; [unrolled: 1-line block ×5, first 2 shown]
	v_pk_min_f16 v14, v20, v7
	v_pk_min_f16 v17, v20, v9
	;; [unrolled: 1-line block ×4, first 2 shown]
	v_pk_max_f16 v20, v27, v27
	v_pk_add_f16 v67, v14, v45
	v_pk_add_f16 v58, v17, v55
	;; [unrolled: 1-line block ×4, first 2 shown]
	v_pk_min_f16 v14, v20, v7
	v_pk_min_f16 v17, v20, v9
	;; [unrolled: 1-line block ×4, first 2 shown]
	v_pk_max_f16 v20, v29, v29
	v_pk_add_f16 v35, v35, 0
	v_pk_add_f16 v26, v26, 0
	;; [unrolled: 1-line block ×3, first 2 shown]
	v_pk_max_f16 v11, v11, v11
	v_pk_min_f16 v14, v20, v7
	v_pk_add_f16 v28, v28, 0
	v_pk_add_f16 v3, v3, 0
	;; [unrolled: 1-line block ×10, first 2 shown]
	v_pk_min_f16 v17, v20, v9
	v_pk_min_f16 v18, v20, v15
	;; [unrolled: 1-line block ×3, first 2 shown]
	v_pk_add_f16 v65, v14, v71
	v_pk_min_f16 v7, v11, v7
	v_pk_min_f16 v9, v11, v9
	v_pk_min_f16 v14, v11, v15
	v_pk_min_f16 v11, v11, v16
	v_pk_min_f16 v13, v13, v16
	v_pk_add_f16 v56, v17, v72
	v_pk_add_f16 v43, v18, v73
	;; [unrolled: 1-line block ×8, first 2 shown]
	s_cbranch_scc1 .LBB294_31
; %bb.18:
	v_add_nc_u32_e32 v6, 12, v4
	v_add_nc_u32_e32 v2, s15, v5
	v_lshl_or_b32 v5, s14, 6, v5
	s_lshl_b32 s14, s17, 6
	v_add_nc_u32_e32 v10, 8, v4
	v_mad_i64_i32 v[0:1], null, v6, s4, 0
	v_ashrrev_i32_e32 v3, 31, v2
	v_or_b32_e32 v71, 0x800, v63
	s_delay_alu instid0(VALU_DEP_4) | instskip(SKIP_1) | instid1(VALU_DEP_4)
	v_mad_i64_i32 v[8:9], null, v10, s10, 0
	v_add_nc_u32_e32 v72, 0x800, v53
	v_lshlrev_b64 v[2:3], 1, v[2:3]
	v_lshlrev_b64 v[24:25], 1, v[0:1]
	v_subrev_nc_u32_e32 v0, s14, v5
	v_mad_i64_i32 v[4:5], null, v6, s10, 0
	v_mad_i64_i32 v[6:7], null, v10, s4, 0
	s_delay_alu instid0(VALU_DEP_3) | instskip(SKIP_2) | instid1(VALU_DEP_3)
	v_ashrrev_i32_e32 v1, 31, v0
	v_add_co_u32 v77, vcc_lo, s20, v2
	v_add_co_ci_u32_e32 v78, vcc_lo, s21, v3, vcc_lo
	v_lshlrev_b64 v[0:1], 1, v[0:1]
	v_lshlrev_b64 v[26:27], 1, v[4:5]
	;; [unrolled: 1-line block ×4, first 2 shown]
	v_add_nc_u32_e32 v73, 0xa00, v63
	v_or_b32_e32 v74, 0x400, v63
	v_add_co_u32 v79, vcc_lo, s18, v0
	v_lshl_add_u32 v75, v51, 3, 0xa00
	v_lshl_add_u32 v76, v52, 3, 0x400
	v_add_co_ci_u32_e32 v80, vcc_lo, s19, v1, vcc_lo
	s_add_i32 s16, s16, -8
	s_lshl_b64 s[4:5], s[4:5], 4
	s_lshl_b64 s[10:11], s[10:11], 4
	s_mov_b32 s14, 0
	s_branch .LBB294_21
.LBB294_19:                             ;   in Loop: Header=BB294_21 Depth=1
	v_add_co_u32 v0, vcc_lo, v77, v24
	v_add_co_ci_u32_e32 v1, vcc_lo, v78, v25, vcc_lo
	s_clause 0x1
	flat_load_u16 v124, v[0:1]
	flat_load_u16 v1, v[0:1] offset:128
	s_waitcnt vmcnt(1) lgkmcnt(1)
	v_mul_f16_e32 v0, v50, v124
	s_waitcnt vmcnt(0) lgkmcnt(0)
	v_mul_f16_e32 v1, v50, v1
.LBB294_20:                             ;   in Loop: Header=BB294_21 Depth=1
	v_pk_add_f16 v16, v16, v41
	v_pk_add_f16 v22, v22, v40
	;; [unrolled: 1-line block ×30, first 2 shown]
	ds_load_2addr_b64 v[33:36], v72 offset0:48 offset1:56
	ds_load_2addr_b64 v[37:40], v54 offset1:32
	ds_load_2addr_b64 v[41:44], v54 offset0:64 offset1:96
	v_pk_add_f16 v85, v121, v47
	v_pk_add_f16 v86, v123, v46
	;; [unrolled: 1-line block ×4, first 2 shown]
	ds_load_2addr_b64 v[45:48], v72 offset1:8
	v_pk_add_f16 v8, v8, v69
	v_pk_add_f16 v56, v96, v56
	;; [unrolled: 1-line block ×12, first 2 shown]
	s_waitcnt lgkmcnt(3)
	v_pk_max_f16 v35, v35, v35
	s_waitcnt lgkmcnt(2)
	v_pk_max_f16 v37, v37, v37
	v_pk_max_f16 v39, v39, v39
	s_waitcnt lgkmcnt(1)
	v_pk_max_f16 v41, v41, v41
	v_pk_add_f16 v15, v15, v56
	v_pk_add_f16 v56, v7, v67
	;; [unrolled: 1-line block ×3, first 2 shown]
	v_pk_min_f16 v6, v35, v37
	v_pk_min_f16 v7, v35, v39
	;; [unrolled: 1-line block ×3, first 2 shown]
	ds_load_2addr_b64 v[2:5], v72 offset0:16 offset1:24
	s_waitcnt lgkmcnt(1)
	v_pk_max_f16 v9, v45, v45
	v_pk_max_f16 v43, v43, v43
	v_pk_add_f16 v14, v113, v14
	v_pk_add_f16 v18, v114, v18
	;; [unrolled: 1-line block ×7, first 2 shown]
	v_pk_min_f16 v6, v9, v37
	v_pk_min_f16 v7, v9, v39
	;; [unrolled: 1-line block ×4, first 2 shown]
	v_pk_add_f16 v64, v99, v64
	v_pk_add_f16 v14, v6, v14
	;; [unrolled: 1-line block ×5, first 2 shown]
	ds_load_2addr_b64 v[6:9], v72 offset0:32 offset1:40
	v_pk_max_f16 v47, v47, v47
	v_pk_add_f16 v17, v17, v62
	v_pk_add_f16 v19, v19, v65
	;; [unrolled: 1-line block ×3, first 2 shown]
	s_waitcnt lgkmcnt(1)
	v_pk_max_f16 v2, v2, v2
	v_pk_min_f16 v62, v47, v37
	v_pk_min_f16 v64, v47, v39
	;; [unrolled: 1-line block ×4, first 2 shown]
	v_pk_max_f16 v4, v4, v4
	v_pk_add_f16 v55, v100, v55
	v_pk_add_f16 v49, v104, v49
	;; [unrolled: 1-line block ×4, first 2 shown]
	v_pk_min_f16 v47, v2, v37
	v_pk_add_f16 v10, v122, v10
	v_pk_add_f16 v59, v107, v59
	;; [unrolled: 1-line block ×5, first 2 shown]
	v_pk_min_f16 v47, v4, v39
	s_waitcnt lgkmcnt(0)
	v_pk_max_f16 v6, v6, v6
	v_pk_add_f16 v66, v62, v70
	v_pk_min_f16 v62, v2, v39
	v_pk_min_f16 v68, v2, v41
	v_pk_min_f16 v2, v2, v43
	v_pk_add_f16 v84, v47, v49
	v_pk_min_f16 v47, v6, v37
	v_pk_add_f16 v58, v106, v58
	v_pk_add_f16 v65, v65, v83
	;; [unrolled: 1-line block ×5, first 2 shown]
	v_pk_min_f16 v11, v4, v37
	v_pk_min_f16 v62, v4, v41
	;; [unrolled: 1-line block ×4, first 2 shown]
	v_pk_max_f16 v8, v8, v8
	v_pk_add_f16 v86, v47, v59
	v_pk_min_f16 v47, v6, v41
	v_pk_max_f16 v33, v33, v33
	v_pk_add_f16 v11, v11, v87
	v_pk_add_f16 v85, v62, v88
	;; [unrolled: 1-line block ×4, first 2 shown]
	v_pk_min_f16 v49, v8, v37
	v_pk_min_f16 v58, v8, v39
	v_pk_add_f16 v88, v47, v57
	v_pk_min_f16 v47, v8, v41
	v_pk_min_f16 v8, v8, v43
	;; [unrolled: 1-line block ×5, first 2 shown]
	v_pk_max_f16 v36, v36, v36
	v_pk_max_f16 v89, v40, v40
	v_pk_add_f16 v8, v8, v19
	v_pk_add_f16 v19, v37, v21
	;; [unrolled: 1-line block ×4, first 2 shown]
	v_pk_max_f16 v55, v38, v38
	v_pk_min_f16 v35, v35, v43
	v_pk_max_f16 v42, v42, v42
	v_pk_min_f16 v38, v36, v89
	v_pk_add_f16 v13, v49, v13
	v_pk_min_f16 v37, v36, v55
	v_pk_add_f16 v90, v35, v61
	v_pk_min_f16 v35, v36, v42
	v_pk_max_f16 v39, v46, v46
	v_pk_add_f16 v49, v38, v12
	v_pk_max_f16 v12, v44, v44
	v_pk_add_f16 v62, v37, v45
	v_pk_add_f16 v41, v35, v16
	v_pk_min_f16 v16, v39, v55
	v_pk_min_f16 v35, v39, v89
	v_pk_min_f16 v37, v39, v42
	v_pk_min_f16 v38, v39, v12
	v_pk_max_f16 v39, v48, v48
	v_pk_min_f16 v6, v6, v43
	v_pk_add_f16 v70, v16, v14
	v_pk_add_f16 v61, v35, v18
	v_pk_max_f16 v3, v3, v3
	v_pk_min_f16 v14, v39, v55
	v_pk_min_f16 v16, v39, v89
	;; [unrolled: 1-line block ×3, first 2 shown]
	v_pk_add_f16 v6, v6, v60
	v_pk_add_f16 v17, v47, v17
	;; [unrolled: 1-line block ×5, first 2 shown]
	v_pk_min_f16 v14, v3, v55
	v_pk_min_f16 v16, v3, v89
	;; [unrolled: 1-line block ×4, first 2 shown]
	v_pk_max_f16 v5, v5, v5
	v_pk_add_f16 v48, v37, v20
	v_pk_add_f16 v40, v38, v22
	v_pk_min_f16 v20, v39, v12
	v_pk_add_f16 v59, v16, v10
	v_pk_add_f16 v38, v3, v2
	v_pk_min_f16 v2, v5, v55
	v_pk_min_f16 v3, v5, v89
	;; [unrolled: 1-line block ×4, first 2 shown]
	v_pk_max_f16 v7, v7, v7
	v_pk_add_f16 v15, v58, v15
	v_pk_add_f16 v39, v20, v67
	;; [unrolled: 1-line block ×5, first 2 shown]
	v_pk_min_f16 v2, v7, v55
	v_pk_min_f16 v3, v7, v89
	;; [unrolled: 1-line block ×4, first 2 shown]
	v_pk_max_f16 v7, v9, v9
	v_pk_min_f16 v33, v33, v43
	v_pk_add_f16 v66, v2, v86
	v_pk_add_f16 v57, v3, v87
	v_pk_add_f16 v44, v4, v88
	v_pk_add_f16 v35, v5, v6
	v_pk_min_f16 v2, v7, v55
	v_pk_min_f16 v3, v7, v89
	;; [unrolled: 1-line block ×4, first 2 shown]
	v_pk_max_f16 v6, v34, v34
	v_pk_add_f16 v33, v33, v56
	v_pk_add_f16 v65, v2, v13
	;; [unrolled: 1-line block ×5, first 2 shown]
	v_pk_min_f16 v2, v6, v55
	v_pk_min_f16 v3, v6, v89
	;; [unrolled: 1-line block ×5, first 2 shown]
	v_add_co_u32 v77, vcc_lo, v77, s4
	v_add_co_ci_u32_e32 v78, vcc_lo, s5, v78, vcc_lo
	v_add_co_u32 v79, vcc_lo, v79, s10
	v_pk_add_f16 v68, v14, v82
	v_pk_add_f16 v46, v18, v83
	;; [unrolled: 1-line block ×8, first 2 shown]
	v_add_co_ci_u32_e32 v80, vcc_lo, s11, v80, vcc_lo
	s_add_i32 s14, s14, 8
	ds_store_b16 v73, v81
	ds_store_b16 v74, v0
	ds_store_b16 v74, v1 offset:512
	s_cmp_ge_i32 s14, s16
	s_waitcnt lgkmcnt(0)
	s_barrier
	buffer_gl0_inv
	s_cbranch_scc1 .LBB294_31
.LBB294_21:                             ; =>This Inner Loop Header: Depth=1
	s_and_b32 vcc_lo, exec_lo, s3
	s_cbranch_vccnz .LBB294_24
; %bb.22:                               ;   in Loop: Header=BB294_21 Depth=1
	v_add_co_u32 v0, vcc_lo, v79, v30
	v_add_co_ci_u32_e32 v1, vcc_lo, v80, v31, vcc_lo
	flat_load_u16 v0, v[0:1]
	s_waitcnt vmcnt(0) lgkmcnt(0)
	v_mul_f16_e32 v81, v50, v0
	s_and_b32 vcc_lo, exec_lo, s3
	s_cbranch_vccnz .LBB294_25
.LBB294_23:                             ;   in Loop: Header=BB294_21 Depth=1
	v_add_co_u32 v0, vcc_lo, v77, v28
	v_add_co_ci_u32_e32 v1, vcc_lo, v78, v29, vcc_lo
	s_clause 0x1
	flat_load_u16 v2, v[0:1]
	flat_load_u16 v0, v[0:1] offset:128
	s_waitcnt vmcnt(1) lgkmcnt(1)
	v_mul_f16_e32 v82, v50, v2
	s_waitcnt vmcnt(0) lgkmcnt(0)
	v_mul_f16_e32 v83, v50, v0
	s_branch .LBB294_26
.LBB294_24:                             ;   in Loop: Header=BB294_21 Depth=1
	v_mov_b32_e32 v81, 0
	s_and_b32 vcc_lo, exec_lo, s3
	s_cbranch_vccz .LBB294_23
.LBB294_25:                             ;   in Loop: Header=BB294_21 Depth=1
	v_dual_mov_b32 v82, 0 :: v_dual_mov_b32 v83, 0
.LBB294_26:                             ;   in Loop: Header=BB294_21 Depth=1
	ds_load_2addr_b64 v[0:3], v75 offset0:48 offset1:56
	ds_load_2addr_b64 v[12:15], v76 offset0:64 offset1:96
	ds_load_2addr_b64 v[20:23], v76 offset1:32
	ds_load_2addr_b64 v[16:19], v75 offset1:8
	ds_load_2addr_b64 v[8:11], v75 offset0:16 offset1:24
	ds_load_2addr_b64 v[4:7], v75 offset0:32 offset1:40
	s_and_b32 vcc_lo, exec_lo, s3
	ds_store_b16 v71, v81
	ds_store_b16 v63, v82
	ds_store_b16 v63, v83 offset:512
	s_waitcnt lgkmcnt(0)
	s_barrier
	buffer_gl0_inv
	s_cbranch_vccnz .LBB294_28
; %bb.27:                               ;   in Loop: Header=BB294_21 Depth=1
	v_add_co_u32 v81, vcc_lo, v79, v26
	v_add_co_ci_u32_e32 v82, vcc_lo, v80, v27, vcc_lo
	flat_load_u16 v81, v[81:82]
	s_waitcnt vmcnt(0) lgkmcnt(0)
	v_mul_f16_e32 v81, v50, v81
	s_branch .LBB294_29
.LBB294_28:                             ;   in Loop: Header=BB294_21 Depth=1
	v_mov_b32_e32 v81, 0
.LBB294_29:                             ;   in Loop: Header=BB294_21 Depth=1
	v_pk_max_f16 v94, v2, v2
	v_pk_max_f16 v99, v20, v20
	v_pk_max_f16 v100, v22, v22
	v_pk_max_f16 v101, v12, v12
	v_pk_max_f16 v22, v16, v16
	v_pk_max_f16 v103, v14, v14
	v_pk_max_f16 v84, v18, v18
	v_pk_max_f16 v87, v8, v8
	v_pk_max_f16 v90, v10, v10
	v_pk_max_f16 v93, v4, v4
	v_pk_max_f16 v98, v6, v6
	v_pk_max_f16 v0, v0, v0
	v_pk_min_f16 v2, v94, v99
	v_pk_min_f16 v12, v94, v100
	;; [unrolled: 1-line block ×25, first 2 shown]
	v_pk_max_f16 v0, v3, v3
	v_pk_max_f16 v21, v21, v21
	;; [unrolled: 1-line block ×9, first 2 shown]
	v_pk_min_f16 v113, v3, v21
	v_pk_min_f16 v114, v3, v23
	;; [unrolled: 1-line block ×4, first 2 shown]
	v_pk_max_f16 v3, v9, v9
	v_pk_max_f16 v9, v11, v11
	;; [unrolled: 1-line block ×3, first 2 shown]
	v_pk_min_f16 v22, v22, v103
	v_pk_min_f16 v84, v84, v103
	;; [unrolled: 1-line block ×35, first 2 shown]
	s_and_b32 vcc_lo, exec_lo, s3
	s_cbranch_vccz .LBB294_19
; %bb.30:                               ;   in Loop: Header=BB294_21 Depth=1
	v_dual_mov_b32 v0, 0 :: v_dual_mov_b32 v1, 0
	s_branch .LBB294_20
.LBB294_31:
	s_load_b32 s5, s[0:1], 0x58
	v_dual_mov_b32 v30, 0 :: v_dual_add_nc_u32 v25, s15, v52
	ds_load_b64 v[0:1], v54 offset:1024
	ds_load_b64 v[2:3], v53 offset:2560
	v_add_nc_u32_e32 v22, s13, v51
	v_cmp_neq_f16_e64 s3, 0, v32
	v_mov_b32_e32 v20, 0
	s_delay_alu instid0(VALU_DEP_3) | instskip(NEXT) | instid1(VALU_DEP_3)
	v_ashrrev_i32_e32 v23, 31, v22
	s_and_b32 vcc_lo, exec_lo, s3
	s_delay_alu instid0(VALU_DEP_1) | instskip(SKIP_2) | instid1(VALU_DEP_1)
	v_lshlrev_b64 v[16:17], 1, v[22:23]
	s_waitcnt lgkmcnt(0)
	v_mad_i64_i32 v[4:5], null, v25, s5, 0
	v_lshlrev_b64 v[4:5], 1, v[4:5]
	s_delay_alu instid0(VALU_DEP_1) | instskip(NEXT) | instid1(VALU_DEP_1)
	v_add_co_u32 v71, s4, s8, v4
	v_add_co_ci_u32_e64 v72, s4, s9, v5, s4
	s_cbranch_vccz .LBB294_33
; %bb.32:
	s_delay_alu instid0(VALU_DEP_2) | instskip(NEXT) | instid1(VALU_DEP_2)
	v_add_co_u32 v4, vcc_lo, v71, v16
	v_add_co_ci_u32_e32 v5, vcc_lo, v72, v17, vcc_lo
	flat_load_u16 v4, v[4:5]
	s_waitcnt vmcnt(0) lgkmcnt(0)
	v_mul_f16_e32 v20, v32, v4
.LBB294_33:
	s_clause 0x1
	s_load_b32 s4, s[0:1], 0x70
	s_load_b64 s[10:11], s[0:1], 0x78
	v_pk_max_f16 v74, v0, v0
	v_pk_max_f16 v26, v2, v2
	v_pk_max_f16 v73, v1, v1
	v_pk_max_f16 v27, v3, v3
	v_add_nc_u32_e32 v5, 0x800, v53
	ds_load_b64 v[23:24], v53 offset:3008
	ds_load_b64 v[18:19], v54 offset:1792
	v_pk_min_f16 v4, v26, v74
	ds_load_2addr_b64 v[0:3], v54 offset0:160 offset1:192
	v_pk_min_f16 v21, v27, v73
	v_cndmask_b32_e64 v31, 0, 1, s3
	v_add_nc_u32_e32 v28, 8, v22
	v_pk_add_f16 v29, v4, v70
	ds_load_2addr_b64 v[12:15], v5 offset0:72 offset1:80
	ds_load_2addr_b64 v[8:11], v5 offset0:88 offset1:96
	;; [unrolled: 1-line block ×3, first 2 shown]
	v_cmp_ne_u32_e64 s0, 1, v31
	v_pk_add_f16 v21, v21, v29
	v_ashrrev_i32_e32 v29, 31, v28
	s_waitcnt lgkmcnt(0)
	v_mad_i64_i32 v[50:51], null, v25, s4, 0
	s_mul_i32 s1, s12, s11
	s_mul_hi_u32 s11, s12, s10
	s_mul_i32 s10, s12, s10
	s_add_i32 s11, s11, s1
	v_lshrrev_b32_e32 v31, 16, v21
	s_lshl_b64 s[10:11], s[10:11], 1
	s_delay_alu instid0(VALU_DEP_2) | instskip(SKIP_3) | instid1(VALU_DEP_2)
	v_lshlrev_b64 v[50:51], 1, v[50:51]
	s_add_u32 s1, s6, s10
	s_addc_u32 s6, s7, s11
	v_add_f16_e32 v21, v21, v31
	v_add_co_u32 v70, vcc_lo, s1, v50
	s_delay_alu instid0(VALU_DEP_3) | instskip(NEXT) | instid1(VALU_DEP_3)
	v_add_co_ci_u32_e32 v75, vcc_lo, s6, v51, vcc_lo
	v_add_f16_e32 v31, v21, v20
	s_delay_alu instid0(VALU_DEP_3) | instskip(SKIP_1) | instid1(VALU_DEP_4)
	v_add_co_u32 v50, vcc_lo, v70, v16
	v_lshlrev_b64 v[20:21], 1, v[28:29]
	v_add_co_ci_u32_e32 v51, vcc_lo, v75, v17, vcc_lo
	s_and_not1_b32 vcc_lo, exec_lo, s3
	global_store_b16 v[50:51], v31, off
	s_cbranch_vccnz .LBB294_35
; %bb.34:
	v_add_co_u32 v28, vcc_lo, v71, v20
	v_add_co_ci_u32_e32 v29, vcc_lo, v72, v21, vcc_lo
	flat_load_u16 v28, v[28:29]
	s_waitcnt vmcnt(0) lgkmcnt(0)
	v_mul_f16_e32 v30, v32, v28
.LBB294_35:
	v_pk_max_f16 v28, v12, v12
	v_pk_max_f16 v29, v13, v13
	v_add_co_u32 v53, vcc_lo, v70, v20
	v_add_co_ci_u32_e32 v54, vcc_lo, v75, v21, vcc_lo
	s_delay_alu instid0(VALU_DEP_4) | instskip(NEXT) | instid1(VALU_DEP_4)
	v_pk_min_f16 v12, v28, v74
	v_pk_min_f16 v13, v29, v73
	v_mov_b32_e32 v52, 0
	s_and_b32 vcc_lo, exec_lo, s0
	s_delay_alu instid0(VALU_DEP_3) | instskip(NEXT) | instid1(VALU_DEP_1)
	v_pk_add_f16 v12, v12, v69
	v_pk_add_f16 v31, v13, v12
	v_add_nc_u32_e32 v12, 16, v22
	s_delay_alu instid0(VALU_DEP_2) | instskip(NEXT) | instid1(VALU_DEP_2)
	v_lshrrev_b32_e32 v50, 16, v31
	v_ashrrev_i32_e32 v13, 31, v12
	s_delay_alu instid0(VALU_DEP_2) | instskip(NEXT) | instid1(VALU_DEP_2)
	v_add_f16_e32 v31, v31, v50
	v_lshlrev_b64 v[12:13], 1, v[12:13]
	v_mov_b32_e32 v50, 0
	s_delay_alu instid0(VALU_DEP_3)
	v_add_f16_e32 v30, v31, v30
	global_store_b16 v[53:54], v30, off
	s_cbranch_vccnz .LBB294_37
; %bb.36:
	v_add_co_u32 v30, vcc_lo, v71, v12
	v_add_co_ci_u32_e32 v31, vcc_lo, v72, v13, vcc_lo
	flat_load_u16 v30, v[30:31]
	s_waitcnt vmcnt(0) lgkmcnt(0)
	v_mul_f16_e32 v50, v32, v30
.LBB294_37:
	v_pk_max_f16 v30, v14, v14
	v_pk_max_f16 v31, v15, v15
	s_delay_alu instid0(VALU_DEP_2) | instskip(NEXT) | instid1(VALU_DEP_2)
	v_pk_min_f16 v14, v30, v74
	v_pk_min_f16 v15, v31, v73
	s_delay_alu instid0(VALU_DEP_2) | instskip(NEXT) | instid1(VALU_DEP_1)
	v_pk_add_f16 v14, v14, v68
	v_pk_add_f16 v51, v15, v14
	v_add_nc_u32_e32 v14, 24, v22
	s_delay_alu instid0(VALU_DEP_2) | instskip(NEXT) | instid1(VALU_DEP_2)
	v_lshrrev_b32_e32 v53, 16, v51
	v_ashrrev_i32_e32 v15, 31, v14
	s_delay_alu instid0(VALU_DEP_2) | instskip(SKIP_1) | instid1(VALU_DEP_3)
	v_add_f16_e32 v51, v51, v53
	v_add_co_u32 v53, vcc_lo, v70, v12
	v_lshlrev_b64 v[14:15], 1, v[14:15]
	v_add_co_ci_u32_e32 v54, vcc_lo, v75, v13, vcc_lo
	s_delay_alu instid0(VALU_DEP_4)
	v_add_f16_e32 v50, v51, v50
	s_and_b32 vcc_lo, exec_lo, s0
	global_store_b16 v[53:54], v50, off
	s_cbranch_vccnz .LBB294_39
; %bb.38:
	v_add_co_u32 v50, vcc_lo, v71, v14
	v_add_co_ci_u32_e32 v51, vcc_lo, v72, v15, vcc_lo
	flat_load_u16 v50, v[50:51]
	s_waitcnt vmcnt(0) lgkmcnt(0)
	v_mul_f16_e32 v52, v32, v50
.LBB294_39:
	v_pk_max_f16 v50, v8, v8
	v_pk_max_f16 v51, v9, v9
	v_add_co_u32 v76, vcc_lo, v70, v14
	v_add_co_ci_u32_e32 v77, vcc_lo, v75, v15, vcc_lo
	s_delay_alu instid0(VALU_DEP_4) | instskip(NEXT) | instid1(VALU_DEP_4)
	v_pk_min_f16 v8, v50, v74
	v_pk_min_f16 v9, v51, v73
	v_mov_b32_e32 v68, 0
	s_and_b32 vcc_lo, exec_lo, s0
	s_delay_alu instid0(VALU_DEP_3) | instskip(NEXT) | instid1(VALU_DEP_1)
	v_pk_add_f16 v8, v8, v67
	v_pk_add_f16 v53, v9, v8
	v_add_nc_u32_e32 v8, 32, v22
	s_delay_alu instid0(VALU_DEP_2) | instskip(NEXT) | instid1(VALU_DEP_2)
	v_lshrrev_b32_e32 v54, 16, v53
	v_ashrrev_i32_e32 v9, 31, v8
	s_delay_alu instid0(VALU_DEP_2) | instskip(NEXT) | instid1(VALU_DEP_2)
	v_add_f16_e32 v53, v53, v54
	v_lshlrev_b64 v[8:9], 1, v[8:9]
	v_mov_b32_e32 v54, 0
	s_delay_alu instid0(VALU_DEP_3)
	v_add_f16_e32 v52, v53, v52
	global_store_b16 v[76:77], v52, off
	s_cbranch_vccnz .LBB294_41
; %bb.40:
	v_add_co_u32 v52, vcc_lo, v71, v8
	v_add_co_ci_u32_e32 v53, vcc_lo, v72, v9, vcc_lo
	flat_load_u16 v52, v[52:53]
	s_waitcnt vmcnt(0) lgkmcnt(0)
	v_mul_f16_e32 v54, v32, v52
.LBB294_41:
	v_pk_max_f16 v52, v10, v10
	v_pk_max_f16 v53, v11, v11
	s_delay_alu instid0(VALU_DEP_2) | instskip(NEXT) | instid1(VALU_DEP_2)
	v_pk_min_f16 v10, v52, v74
	v_pk_min_f16 v11, v53, v73
	s_delay_alu instid0(VALU_DEP_2) | instskip(NEXT) | instid1(VALU_DEP_1)
	v_pk_add_f16 v10, v10, v66
	v_pk_add_f16 v63, v11, v10
	v_add_nc_u32_e32 v10, 40, v22
	s_delay_alu instid0(VALU_DEP_2) | instskip(NEXT) | instid1(VALU_DEP_2)
	v_lshrrev_b32_e32 v66, 16, v63
	v_ashrrev_i32_e32 v11, 31, v10
	s_delay_alu instid0(VALU_DEP_2) | instskip(SKIP_1) | instid1(VALU_DEP_3)
	v_add_f16_e32 v63, v63, v66
	v_add_co_u32 v66, vcc_lo, v70, v8
	v_lshlrev_b64 v[10:11], 1, v[10:11]
	v_add_co_ci_u32_e32 v67, vcc_lo, v75, v9, vcc_lo
	s_delay_alu instid0(VALU_DEP_4)
	v_add_f16_e32 v54, v63, v54
	s_and_b32 vcc_lo, exec_lo, s0
	global_store_b16 v[66:67], v54, off
	s_cbranch_vccnz .LBB294_43
; %bb.42:
	v_add_co_u32 v66, vcc_lo, v71, v10
	v_add_co_ci_u32_e32 v67, vcc_lo, v72, v11, vcc_lo
	flat_load_u16 v54, v[66:67]
	s_waitcnt vmcnt(0) lgkmcnt(0)
	v_mul_f16_e32 v68, v32, v54
.LBB294_43:
	v_pk_max_f16 v54, v4, v4
	v_pk_max_f16 v63, v5, v5
	v_mov_b32_e32 v67, 0
	s_delay_alu instid0(VALU_DEP_3) | instskip(NEXT) | instid1(VALU_DEP_3)
	v_pk_min_f16 v4, v54, v74
	v_pk_min_f16 v5, v63, v73
	s_delay_alu instid0(VALU_DEP_2) | instskip(NEXT) | instid1(VALU_DEP_1)
	v_pk_add_f16 v4, v4, v65
	v_pk_add_f16 v65, v5, v4
	v_add_nc_u32_e32 v4, 48, v22
	s_delay_alu instid0(VALU_DEP_2) | instskip(NEXT) | instid1(VALU_DEP_2)
	v_lshrrev_b32_e32 v66, 16, v65
	v_ashrrev_i32_e32 v5, 31, v4
	s_delay_alu instid0(VALU_DEP_2) | instskip(SKIP_1) | instid1(VALU_DEP_3)
	v_add_f16_e32 v69, v65, v66
	v_add_co_u32 v65, vcc_lo, v70, v10
	v_lshlrev_b64 v[4:5], 1, v[4:5]
	v_add_co_ci_u32_e32 v66, vcc_lo, v75, v11, vcc_lo
	s_delay_alu instid0(VALU_DEP_4)
	v_add_f16_e32 v69, v69, v68
	v_mov_b32_e32 v68, 0
	s_and_b32 vcc_lo, exec_lo, s0
	global_store_b16 v[65:66], v69, off
	s_cbranch_vccnz .LBB294_45
; %bb.44:
	v_add_co_u32 v65, vcc_lo, v71, v4
	v_add_co_ci_u32_e32 v66, vcc_lo, v72, v5, vcc_lo
	flat_load_u16 v65, v[65:66]
	s_waitcnt vmcnt(0) lgkmcnt(0)
	v_mul_f16_e32 v68, v32, v65
.LBB294_45:
	v_pk_max_f16 v65, v6, v6
	v_pk_max_f16 v66, v7, v7
	v_add_co_u32 v76, vcc_lo, v70, v4
	v_add_co_ci_u32_e32 v77, vcc_lo, v75, v5, vcc_lo
	s_delay_alu instid0(VALU_DEP_4) | instskip(NEXT) | instid1(VALU_DEP_4)
	v_pk_min_f16 v6, v65, v74
	v_pk_min_f16 v7, v66, v73
	s_and_b32 vcc_lo, exec_lo, s0
	s_delay_alu instid0(VALU_DEP_2) | instskip(NEXT) | instid1(VALU_DEP_1)
	v_pk_add_f16 v6, v6, v64
	v_pk_add_f16 v64, v7, v6
	v_add_nc_u32_e32 v6, 56, v22
	s_delay_alu instid0(VALU_DEP_2) | instskip(NEXT) | instid1(VALU_DEP_2)
	v_lshrrev_b32_e32 v22, 16, v64
	v_ashrrev_i32_e32 v7, 31, v6
	s_delay_alu instid0(VALU_DEP_2) | instskip(NEXT) | instid1(VALU_DEP_2)
	v_add_f16_e32 v22, v64, v22
	v_lshlrev_b64 v[6:7], 1, v[6:7]
	s_delay_alu instid0(VALU_DEP_2)
	v_add_f16_e32 v22, v22, v68
	global_store_b16 v[76:77], v22, off
	s_cbranch_vccnz .LBB294_47
; %bb.46:
	v_add_co_u32 v67, vcc_lo, v71, v6
	v_add_co_ci_u32_e32 v68, vcc_lo, v72, v7, vcc_lo
	flat_load_u16 v22, v[67:68]
	s_waitcnt vmcnt(0) lgkmcnt(0)
	v_mul_f16_e32 v67, v32, v22
.LBB294_47:
	v_pk_max_f16 v22, v23, v23
	v_pk_max_f16 v23, v24, v24
	v_dual_mov_b32 v69, 0 :: v_dual_add_nc_u32 v68, 32, v25
	s_delay_alu instid0(VALU_DEP_3) | instskip(NEXT) | instid1(VALU_DEP_3)
	v_pk_min_f16 v24, v22, v74
	v_pk_min_f16 v64, v23, v73
	v_add_co_u32 v73, vcc_lo, v70, v6
	v_add_co_ci_u32_e32 v74, vcc_lo, v75, v7, vcc_lo
	s_delay_alu instid0(VALU_DEP_4) | instskip(NEXT) | instid1(VALU_DEP_1)
	v_pk_add_f16 v24, v24, v62
	v_pk_add_f16 v24, v64, v24
	s_delay_alu instid0(VALU_DEP_1) | instskip(NEXT) | instid1(VALU_DEP_1)
	v_lshrrev_b32_e32 v62, 16, v24
	v_add_f16_e32 v64, v24, v62
	s_delay_alu instid0(VALU_DEP_1) | instskip(SKIP_4) | instid1(VALU_DEP_1)
	v_add_f16_e32 v64, v64, v67
	v_mov_b32_e32 v67, 0
	v_mad_i64_i32 v[71:72], null, v68, s5, 0
	global_store_b16 v[73:74], v64, off
	v_lshlrev_b64 v[71:72], 1, v[71:72]
	v_add_co_u32 v24, vcc_lo, s8, v71
	s_delay_alu instid0(VALU_DEP_2)
	v_add_co_ci_u32_e32 v62, vcc_lo, s9, v72, vcc_lo
	s_and_b32 vcc_lo, exec_lo, s0
	s_cbranch_vccnz .LBB294_49
; %bb.48:
	s_delay_alu instid0(VALU_DEP_2) | instskip(NEXT) | instid1(VALU_DEP_2)
	v_add_co_u32 v69, vcc_lo, v24, v16
	v_add_co_ci_u32_e32 v70, vcc_lo, v62, v17, vcc_lo
	flat_load_u16 v64, v[69:70]
	s_waitcnt vmcnt(0) lgkmcnt(0)
	v_mul_f16_e32 v69, v32, v64
.LBB294_49:
	v_pk_max_f16 v64, v0, v0
	v_pk_max_f16 v0, v1, v1
	v_mad_i64_i32 v[70:71], null, v68, s4, 0
	s_delay_alu instid0(VALU_DEP_3) | instskip(NEXT) | instid1(VALU_DEP_3)
	v_pk_min_f16 v1, v26, v64
	v_pk_min_f16 v72, v27, v0
	s_delay_alu instid0(VALU_DEP_3) | instskip(NEXT) | instid1(VALU_DEP_3)
	v_lshlrev_b64 v[70:71], 1, v[70:71]
	v_pk_add_f16 v1, v1, v61
	s_delay_alu instid0(VALU_DEP_1) | instskip(NEXT) | instid1(VALU_DEP_1)
	v_pk_add_f16 v1, v72, v1
	v_lshrrev_b32_e32 v61, 16, v1
	s_delay_alu instid0(VALU_DEP_1) | instskip(SKIP_2) | instid1(VALU_DEP_3)
	v_add_f16_e32 v68, v1, v61
	v_add_co_u32 v1, vcc_lo, s1, v70
	v_add_co_ci_u32_e32 v61, vcc_lo, s6, v71, vcc_lo
	v_add_f16_e32 v70, v68, v69
	s_delay_alu instid0(VALU_DEP_3) | instskip(NEXT) | instid1(VALU_DEP_3)
	v_add_co_u32 v68, vcc_lo, v1, v16
	v_add_co_ci_u32_e32 v69, vcc_lo, v61, v17, vcc_lo
	s_and_b32 vcc_lo, exec_lo, s0
	global_store_b16 v[68:69], v70, off
	s_cbranch_vccnz .LBB294_51
; %bb.50:
	v_add_co_u32 v67, vcc_lo, v24, v20
	v_add_co_ci_u32_e32 v68, vcc_lo, v62, v21, vcc_lo
	flat_load_u16 v67, v[67:68]
	s_waitcnt vmcnt(0) lgkmcnt(0)
	v_mul_f16_e32 v67, v32, v67
.LBB294_51:
	v_pk_min_f16 v68, v28, v64
	v_pk_min_f16 v69, v29, v0
	s_delay_alu instid0(VALU_DEP_2) | instskip(NEXT) | instid1(VALU_DEP_1)
	v_pk_add_f16 v60, v68, v60
	v_pk_add_f16 v60, v69, v60
	s_delay_alu instid0(VALU_DEP_1) | instskip(NEXT) | instid1(VALU_DEP_1)
	v_lshrrev_b32_e32 v68, 16, v60
	v_add_f16_e32 v60, v60, v68
	v_add_co_u32 v68, vcc_lo, v1, v20
	v_add_co_ci_u32_e32 v69, vcc_lo, v61, v21, vcc_lo
	s_delay_alu instid0(VALU_DEP_3)
	v_add_f16_e32 v70, v60, v67
	v_dual_mov_b32 v60, 0 :: v_dual_mov_b32 v67, 0
	s_and_b32 vcc_lo, exec_lo, s0
	global_store_b16 v[68:69], v70, off
	s_cbranch_vccnz .LBB294_53
; %bb.52:
	v_add_co_u32 v67, vcc_lo, v24, v12
	v_add_co_ci_u32_e32 v68, vcc_lo, v62, v13, vcc_lo
	flat_load_u16 v67, v[67:68]
	s_waitcnt vmcnt(0) lgkmcnt(0)
	v_mul_f16_e32 v67, v32, v67
.LBB294_53:
	v_pk_min_f16 v68, v30, v64
	v_pk_min_f16 v69, v31, v0
	s_delay_alu instid0(VALU_DEP_2) | instskip(NEXT) | instid1(VALU_DEP_1)
	v_pk_add_f16 v59, v68, v59
	v_pk_add_f16 v59, v69, v59
	s_delay_alu instid0(VALU_DEP_1) | instskip(NEXT) | instid1(VALU_DEP_1)
	v_lshrrev_b32_e32 v68, 16, v59
	v_add_f16_e32 v59, v59, v68
	s_delay_alu instid0(VALU_DEP_1)
	v_add_f16_e32 v59, v59, v67
	v_add_co_u32 v67, vcc_lo, v1, v12
	v_add_co_ci_u32_e32 v68, vcc_lo, v61, v13, vcc_lo
	s_and_b32 vcc_lo, exec_lo, s0
	global_store_b16 v[67:68], v59, off
	s_cbranch_vccnz .LBB294_55
; %bb.54:
	v_add_co_u32 v59, vcc_lo, v24, v14
	v_add_co_ci_u32_e32 v60, vcc_lo, v62, v15, vcc_lo
	flat_load_u16 v59, v[59:60]
	s_waitcnt vmcnt(0) lgkmcnt(0)
	v_mul_f16_e32 v60, v32, v59
.LBB294_55:
	v_pk_min_f16 v59, v50, v64
	v_pk_min_f16 v67, v51, v0
	s_delay_alu instid0(VALU_DEP_2) | instskip(NEXT) | instid1(VALU_DEP_1)
	v_pk_add_f16 v58, v59, v58
	v_pk_add_f16 v58, v67, v58
	v_add_co_u32 v67, vcc_lo, v1, v14
	v_add_co_ci_u32_e32 v68, vcc_lo, v61, v15, vcc_lo
	s_delay_alu instid0(VALU_DEP_3) | instskip(SKIP_1) | instid1(VALU_DEP_1)
	v_lshrrev_b32_e32 v59, 16, v58
	s_and_b32 vcc_lo, exec_lo, s0
	v_add_f16_e32 v58, v58, v59
	v_mov_b32_e32 v59, 0
	s_delay_alu instid0(VALU_DEP_2)
	v_add_f16_e32 v60, v58, v60
	v_mov_b32_e32 v58, 0
	global_store_b16 v[67:68], v60, off
	s_cbranch_vccnz .LBB294_57
; %bb.56:
	v_add_co_u32 v59, vcc_lo, v24, v8
	v_add_co_ci_u32_e32 v60, vcc_lo, v62, v9, vcc_lo
	flat_load_u16 v59, v[59:60]
	s_waitcnt vmcnt(0) lgkmcnt(0)
	v_mul_f16_e32 v59, v32, v59
.LBB294_57:
	v_pk_min_f16 v60, v52, v64
	v_pk_min_f16 v67, v53, v0
	s_delay_alu instid0(VALU_DEP_2) | instskip(NEXT) | instid1(VALU_DEP_1)
	v_pk_add_f16 v57, v60, v57
	v_pk_add_f16 v57, v67, v57
	s_delay_alu instid0(VALU_DEP_1) | instskip(NEXT) | instid1(VALU_DEP_1)
	v_lshrrev_b32_e32 v60, 16, v57
	v_add_f16_e32 v57, v57, v60
	s_delay_alu instid0(VALU_DEP_1)
	v_add_f16_e32 v57, v57, v59
	v_add_co_u32 v59, vcc_lo, v1, v8
	v_add_co_ci_u32_e32 v60, vcc_lo, v61, v9, vcc_lo
	s_and_b32 vcc_lo, exec_lo, s0
	global_store_b16 v[59:60], v57, off
	s_cbranch_vccnz .LBB294_59
; %bb.58:
	v_add_co_u32 v57, vcc_lo, v24, v10
	v_add_co_ci_u32_e32 v58, vcc_lo, v62, v11, vcc_lo
	flat_load_u16 v57, v[57:58]
	s_waitcnt vmcnt(0) lgkmcnt(0)
	v_mul_f16_e32 v58, v32, v57
.LBB294_59:
	v_pk_min_f16 v57, v54, v64
	v_pk_min_f16 v59, v63, v0
	s_delay_alu instid0(VALU_DEP_2) | instskip(NEXT) | instid1(VALU_DEP_1)
	v_pk_add_f16 v56, v57, v56
	v_pk_add_f16 v56, v59, v56
	v_add_co_u32 v59, vcc_lo, v1, v10
	v_add_co_ci_u32_e32 v60, vcc_lo, v61, v11, vcc_lo
	s_delay_alu instid0(VALU_DEP_3) | instskip(SKIP_1) | instid1(VALU_DEP_1)
	v_lshrrev_b32_e32 v57, 16, v56
	s_and_b32 vcc_lo, exec_lo, s0
	v_add_f16_e32 v56, v56, v57
	v_mov_b32_e32 v57, 0
	s_delay_alu instid0(VALU_DEP_2)
	v_add_f16_e32 v58, v56, v58
	v_mov_b32_e32 v56, 0
	global_store_b16 v[59:60], v58, off
	s_cbranch_vccnz .LBB294_61
; %bb.60:
	v_add_co_u32 v57, vcc_lo, v24, v4
	v_add_co_ci_u32_e32 v58, vcc_lo, v62, v5, vcc_lo
	flat_load_u16 v57, v[57:58]
	s_waitcnt vmcnt(0) lgkmcnt(0)
	v_mul_f16_e32 v57, v32, v57
.LBB294_61:
	v_pk_min_f16 v58, v65, v64
	v_pk_min_f16 v59, v66, v0
	s_delay_alu instid0(VALU_DEP_2) | instskip(NEXT) | instid1(VALU_DEP_1)
	v_pk_add_f16 v55, v58, v55
	v_pk_add_f16 v55, v59, v55
	s_delay_alu instid0(VALU_DEP_1) | instskip(NEXT) | instid1(VALU_DEP_1)
	v_lshrrev_b32_e32 v58, 16, v55
	v_add_f16_e32 v55, v55, v58
	s_delay_alu instid0(VALU_DEP_1)
	v_add_f16_e32 v55, v55, v57
	v_add_co_u32 v57, vcc_lo, v1, v4
	v_add_co_ci_u32_e32 v58, vcc_lo, v61, v5, vcc_lo
	s_and_b32 vcc_lo, exec_lo, s0
	global_store_b16 v[57:58], v55, off
	s_cbranch_vccnz .LBB294_63
; %bb.62:
	v_add_co_u32 v55, vcc_lo, v24, v6
	v_add_co_ci_u32_e32 v56, vcc_lo, v62, v7, vcc_lo
	flat_load_u16 v24, v[55:56]
	s_waitcnt vmcnt(0) lgkmcnt(0)
	v_mul_f16_e32 v56, v32, v24
.LBB294_63:
	v_pk_min_f16 v24, v22, v64
	v_pk_min_f16 v0, v23, v0
	v_add_nc_u32_e32 v57, 64, v25
	v_add_co_u32 v60, vcc_lo, v1, v6
	s_delay_alu instid0(VALU_DEP_4) | instskip(SKIP_2) | instid1(VALU_DEP_3)
	v_pk_add_f16 v24, v24, v49
	v_add_co_ci_u32_e32 v61, vcc_lo, v61, v7, vcc_lo
	v_mov_b32_e32 v55, 0
	v_pk_add_f16 v0, v0, v24
	s_delay_alu instid0(VALU_DEP_1) | instskip(NEXT) | instid1(VALU_DEP_1)
	v_lshrrev_b32_e32 v24, 16, v0
	v_add_f16_e32 v0, v0, v24
	s_delay_alu instid0(VALU_DEP_1) | instskip(SKIP_4) | instid1(VALU_DEP_1)
	v_add_f16_e32 v0, v0, v56
	v_mov_b32_e32 v56, 0
	v_mad_i64_i32 v[58:59], null, v57, s5, 0
	global_store_b16 v[60:61], v0, off
	v_lshlrev_b64 v[58:59], 1, v[58:59]
	v_add_co_u32 v1, vcc_lo, s8, v58
	s_delay_alu instid0(VALU_DEP_2)
	v_add_co_ci_u32_e32 v24, vcc_lo, s9, v59, vcc_lo
	s_and_b32 vcc_lo, exec_lo, s0
	s_cbranch_vccnz .LBB294_65
; %bb.64:
	s_delay_alu instid0(VALU_DEP_2) | instskip(NEXT) | instid1(VALU_DEP_2)
	v_add_co_u32 v58, vcc_lo, v1, v16
	v_add_co_ci_u32_e32 v59, vcc_lo, v24, v17, vcc_lo
	flat_load_u16 v0, v[58:59]
	s_waitcnt vmcnt(0) lgkmcnt(0)
	v_mul_f16_e32 v56, v32, v0
.LBB294_65:
	v_pk_max_f16 v49, v2, v2
	v_pk_max_f16 v0, v3, v3
	s_delay_alu instid0(VALU_DEP_2) | instskip(NEXT) | instid1(VALU_DEP_2)
	v_pk_min_f16 v2, v26, v49
	v_pk_min_f16 v58, v27, v0
	s_delay_alu instid0(VALU_DEP_2) | instskip(SKIP_1) | instid1(VALU_DEP_2)
	v_pk_add_f16 v48, v2, v48
	v_mad_i64_i32 v[2:3], null, v57, s4, 0
	v_pk_add_f16 v48, v58, v48
	s_delay_alu instid0(VALU_DEP_2) | instskip(NEXT) | instid1(VALU_DEP_2)
	v_lshlrev_b64 v[2:3], 1, v[2:3]
	v_lshrrev_b32_e32 v57, 16, v48
	s_delay_alu instid0(VALU_DEP_2) | instskip(NEXT) | instid1(VALU_DEP_2)
	v_add_co_u32 v2, vcc_lo, s1, v2
	v_add_f16_e32 v48, v48, v57
	s_delay_alu instid0(VALU_DEP_4) | instskip(NEXT) | instid1(VALU_DEP_2)
	v_add_co_ci_u32_e32 v3, vcc_lo, s6, v3, vcc_lo
	v_add_f16_e32 v48, v48, v56
	s_delay_alu instid0(VALU_DEP_4) | instskip(NEXT) | instid1(VALU_DEP_3)
	v_add_co_u32 v56, vcc_lo, v2, v16
	v_add_co_ci_u32_e32 v57, vcc_lo, v3, v17, vcc_lo
	s_and_b32 vcc_lo, exec_lo, s0
	global_store_b16 v[56:57], v48, off
	s_cbranch_vccnz .LBB294_67
; %bb.66:
	v_add_co_u32 v55, vcc_lo, v1, v20
	v_add_co_ci_u32_e32 v56, vcc_lo, v24, v21, vcc_lo
	flat_load_u16 v48, v[55:56]
	s_waitcnt vmcnt(0) lgkmcnt(0)
	v_mul_f16_e32 v55, v32, v48
.LBB294_67:
	v_pk_min_f16 v48, v28, v49
	v_pk_min_f16 v56, v29, v0
	s_delay_alu instid0(VALU_DEP_2) | instskip(NEXT) | instid1(VALU_DEP_1)
	v_pk_add_f16 v47, v48, v47
	v_pk_add_f16 v47, v56, v47
	v_add_co_u32 v56, vcc_lo, v2, v20
	v_add_co_ci_u32_e32 v57, vcc_lo, v3, v21, vcc_lo
	s_delay_alu instid0(VALU_DEP_3) | instskip(SKIP_1) | instid1(VALU_DEP_1)
	v_lshrrev_b32_e32 v48, 16, v47
	s_and_b32 vcc_lo, exec_lo, s0
	v_add_f16_e32 v47, v47, v48
	v_mov_b32_e32 v48, 0
	s_delay_alu instid0(VALU_DEP_2)
	v_add_f16_e32 v55, v47, v55
	v_mov_b32_e32 v47, 0
	global_store_b16 v[56:57], v55, off
	s_cbranch_vccnz .LBB294_69
; %bb.68:
	v_add_co_u32 v55, vcc_lo, v1, v12
	v_add_co_ci_u32_e32 v56, vcc_lo, v24, v13, vcc_lo
	flat_load_u16 v48, v[55:56]
	s_waitcnt vmcnt(0) lgkmcnt(0)
	v_mul_f16_e32 v48, v32, v48
.LBB294_69:
	v_pk_min_f16 v55, v30, v49
	v_pk_min_f16 v56, v31, v0
	s_delay_alu instid0(VALU_DEP_2) | instskip(NEXT) | instid1(VALU_DEP_1)
	v_pk_add_f16 v46, v55, v46
	v_pk_add_f16 v46, v56, v46
	s_delay_alu instid0(VALU_DEP_1) | instskip(NEXT) | instid1(VALU_DEP_1)
	v_lshrrev_b32_e32 v55, 16, v46
	v_add_f16_e32 v46, v46, v55
	v_add_co_u32 v55, vcc_lo, v2, v12
	v_add_co_ci_u32_e32 v56, vcc_lo, v3, v13, vcc_lo
	s_delay_alu instid0(VALU_DEP_3)
	v_add_f16_e32 v46, v46, v48
	s_and_b32 vcc_lo, exec_lo, s0
	global_store_b16 v[55:56], v46, off
	s_cbranch_vccnz .LBB294_71
; %bb.70:
	v_add_co_u32 v46, vcc_lo, v1, v14
	v_add_co_ci_u32_e32 v47, vcc_lo, v24, v15, vcc_lo
	flat_load_u16 v46, v[46:47]
	s_waitcnt vmcnt(0) lgkmcnt(0)
	v_mul_f16_e32 v47, v32, v46
.LBB294_71:
	v_pk_min_f16 v46, v50, v49
	v_pk_min_f16 v48, v51, v0
	v_add_co_u32 v55, vcc_lo, v2, v14
	v_add_co_ci_u32_e32 v56, vcc_lo, v3, v15, vcc_lo
	s_delay_alu instid0(VALU_DEP_4) | instskip(SKIP_1) | instid1(VALU_DEP_1)
	v_pk_add_f16 v45, v46, v45
	s_and_b32 vcc_lo, exec_lo, s0
	v_pk_add_f16 v45, v48, v45
	s_delay_alu instid0(VALU_DEP_1) | instskip(NEXT) | instid1(VALU_DEP_1)
	v_lshrrev_b32_e32 v46, 16, v45
	v_add_f16_e32 v45, v45, v46
	v_mov_b32_e32 v46, 0
	s_delay_alu instid0(VALU_DEP_2)
	v_add_f16_e32 v47, v45, v47
	v_mov_b32_e32 v45, 0
	global_store_b16 v[55:56], v47, off
	s_cbranch_vccnz .LBB294_73
; %bb.72:
	v_add_co_u32 v46, vcc_lo, v1, v8
	v_add_co_ci_u32_e32 v47, vcc_lo, v24, v9, vcc_lo
	flat_load_u16 v46, v[46:47]
	s_waitcnt vmcnt(0) lgkmcnt(0)
	v_mul_f16_e32 v46, v32, v46
.LBB294_73:
	v_pk_min_f16 v47, v52, v49
	v_pk_min_f16 v48, v53, v0
	s_delay_alu instid0(VALU_DEP_2) | instskip(NEXT) | instid1(VALU_DEP_1)
	v_pk_add_f16 v44, v47, v44
	v_pk_add_f16 v44, v48, v44
	s_delay_alu instid0(VALU_DEP_1) | instskip(NEXT) | instid1(VALU_DEP_1)
	v_lshrrev_b32_e32 v47, 16, v44
	v_add_f16_e32 v44, v44, v47
	s_delay_alu instid0(VALU_DEP_1)
	v_add_f16_e32 v44, v44, v46
	v_add_co_u32 v46, vcc_lo, v2, v8
	v_add_co_ci_u32_e32 v47, vcc_lo, v3, v9, vcc_lo
	s_and_b32 vcc_lo, exec_lo, s0
	global_store_b16 v[46:47], v44, off
	s_cbranch_vccnz .LBB294_75
; %bb.74:
	v_add_co_u32 v44, vcc_lo, v1, v10
	v_add_co_ci_u32_e32 v45, vcc_lo, v24, v11, vcc_lo
	flat_load_u16 v44, v[44:45]
	s_waitcnt vmcnt(0) lgkmcnt(0)
	v_mul_f16_e32 v45, v32, v44
.LBB294_75:
	v_pk_min_f16 v44, v54, v49
	v_pk_min_f16 v46, v63, v0
	s_delay_alu instid0(VALU_DEP_2) | instskip(NEXT) | instid1(VALU_DEP_1)
	v_pk_add_f16 v43, v44, v43
	v_pk_add_f16 v43, v46, v43
	v_add_co_u32 v46, vcc_lo, v2, v10
	v_add_co_ci_u32_e32 v47, vcc_lo, v3, v11, vcc_lo
	s_delay_alu instid0(VALU_DEP_3) | instskip(SKIP_1) | instid1(VALU_DEP_1)
	v_lshrrev_b32_e32 v44, 16, v43
	s_and_b32 vcc_lo, exec_lo, s0
	v_add_f16_e32 v43, v43, v44
	v_mov_b32_e32 v44, 0
	s_delay_alu instid0(VALU_DEP_2)
	v_add_f16_e32 v45, v43, v45
	v_mov_b32_e32 v43, 0
	global_store_b16 v[46:47], v45, off
	s_cbranch_vccnz .LBB294_77
; %bb.76:
	v_add_co_u32 v44, vcc_lo, v1, v4
	v_add_co_ci_u32_e32 v45, vcc_lo, v24, v5, vcc_lo
	flat_load_u16 v44, v[44:45]
	s_waitcnt vmcnt(0) lgkmcnt(0)
	v_mul_f16_e32 v44, v32, v44
.LBB294_77:
	v_pk_min_f16 v45, v65, v49
	v_pk_min_f16 v46, v66, v0
	s_delay_alu instid0(VALU_DEP_2) | instskip(NEXT) | instid1(VALU_DEP_1)
	v_pk_add_f16 v42, v45, v42
	v_pk_add_f16 v42, v46, v42
	s_delay_alu instid0(VALU_DEP_1) | instskip(NEXT) | instid1(VALU_DEP_1)
	v_lshrrev_b32_e32 v45, 16, v42
	v_add_f16_e32 v42, v42, v45
	s_delay_alu instid0(VALU_DEP_1)
	v_add_f16_e32 v42, v42, v44
	v_add_co_u32 v44, vcc_lo, v2, v4
	v_add_co_ci_u32_e32 v45, vcc_lo, v3, v5, vcc_lo
	s_and_b32 vcc_lo, exec_lo, s0
	global_store_b16 v[44:45], v42, off
	s_cbranch_vccnz .LBB294_79
; %bb.78:
	v_add_co_u32 v42, vcc_lo, v1, v6
	v_add_co_ci_u32_e32 v43, vcc_lo, v24, v7, vcc_lo
	flat_load_u16 v1, v[42:43]
	s_waitcnt vmcnt(0) lgkmcnt(0)
	v_mul_f16_e32 v43, v32, v1
.LBB294_79:
	v_pk_min_f16 v1, v22, v49
	v_pk_min_f16 v24, v23, v0
	v_add_nc_u32_e32 v25, 0x60, v25
	v_add_co_u32 v2, vcc_lo, v2, v6
	s_delay_alu instid0(VALU_DEP_4) | instskip(SKIP_1) | instid1(VALU_DEP_2)
	v_pk_add_f16 v41, v1, v41
	v_add_co_ci_u32_e32 v3, vcc_lo, v3, v7, vcc_lo
	v_pk_add_f16 v24, v24, v41
	s_delay_alu instid0(VALU_DEP_1) | instskip(NEXT) | instid1(VALU_DEP_1)
	v_lshrrev_b32_e32 v41, 16, v24
	v_add_f16_e32 v24, v24, v41
	v_mov_b32_e32 v41, 0
	s_delay_alu instid0(VALU_DEP_2) | instskip(SKIP_4) | instid1(VALU_DEP_1)
	v_add_f16_e32 v42, v24, v43
	v_mov_b32_e32 v24, 0
	v_mad_i64_i32 v[0:1], null, v25, s5, 0
	global_store_b16 v[2:3], v42, off
	v_lshlrev_b64 v[0:1], 1, v[0:1]
	v_add_co_u32 v0, vcc_lo, s8, v0
	s_delay_alu instid0(VALU_DEP_2)
	v_add_co_ci_u32_e32 v1, vcc_lo, s9, v1, vcc_lo
	s_and_b32 vcc_lo, exec_lo, s0
	s_cbranch_vccnz .LBB294_81
; %bb.80:
	s_delay_alu instid0(VALU_DEP_2) | instskip(NEXT) | instid1(VALU_DEP_2)
	v_add_co_u32 v2, vcc_lo, v0, v16
	v_add_co_ci_u32_e32 v3, vcc_lo, v1, v17, vcc_lo
	flat_load_u16 v2, v[2:3]
	s_waitcnt vmcnt(0) lgkmcnt(0)
	v_mul_f16_e32 v41, v32, v2
.LBB294_81:
	v_pk_max_f16 v2, v18, v18
	v_pk_max_f16 v3, v19, v19
	s_delay_alu instid0(VALU_DEP_2) | instskip(NEXT) | instid1(VALU_DEP_2)
	v_pk_min_f16 v18, v26, v2
	v_pk_min_f16 v26, v27, v3
	s_delay_alu instid0(VALU_DEP_2) | instskip(SKIP_1) | instid1(VALU_DEP_2)
	v_pk_add_f16 v27, v18, v40
	v_mad_i64_i32 v[18:19], null, v25, s4, 0
	v_pk_add_f16 v25, v26, v27
	s_delay_alu instid0(VALU_DEP_2) | instskip(NEXT) | instid1(VALU_DEP_2)
	v_lshlrev_b64 v[18:19], 1, v[18:19]
	v_lshrrev_b32_e32 v26, 16, v25
	s_delay_alu instid0(VALU_DEP_2) | instskip(NEXT) | instid1(VALU_DEP_2)
	v_add_co_u32 v18, vcc_lo, s1, v18
	v_add_f16_e32 v25, v25, v26
	s_delay_alu instid0(VALU_DEP_4) | instskip(NEXT) | instid1(VALU_DEP_3)
	v_add_co_ci_u32_e32 v19, vcc_lo, s6, v19, vcc_lo
	v_add_co_u32 v16, vcc_lo, v18, v16
	s_delay_alu instid0(VALU_DEP_3) | instskip(NEXT) | instid1(VALU_DEP_3)
	v_add_f16_e32 v25, v25, v41
	v_add_co_ci_u32_e32 v17, vcc_lo, v19, v17, vcc_lo
	s_and_b32 vcc_lo, exec_lo, s0
	global_store_b16 v[16:17], v25, off
	s_cbranch_vccnz .LBB294_83
; %bb.82:
	v_add_co_u32 v16, vcc_lo, v0, v20
	v_add_co_ci_u32_e32 v17, vcc_lo, v1, v21, vcc_lo
	flat_load_u16 v16, v[16:17]
	s_waitcnt vmcnt(0) lgkmcnt(0)
	v_mul_f16_e32 v24, v32, v16
.LBB294_83:
	v_pk_min_f16 v16, v28, v2
	v_pk_min_f16 v17, v29, v3
	v_add_co_u32 v20, vcc_lo, v18, v20
	v_add_co_ci_u32_e32 v21, vcc_lo, v19, v21, vcc_lo
	s_delay_alu instid0(VALU_DEP_4) | instskip(SKIP_1) | instid1(VALU_DEP_1)
	v_pk_add_f16 v16, v16, v39
	s_and_b32 vcc_lo, exec_lo, s0
	v_pk_add_f16 v16, v17, v16
	s_delay_alu instid0(VALU_DEP_1) | instskip(NEXT) | instid1(VALU_DEP_1)
	v_lshrrev_b32_e32 v17, 16, v16
	v_add_f16_e32 v16, v16, v17
	v_mov_b32_e32 v17, 0
	s_delay_alu instid0(VALU_DEP_2)
	v_add_f16_e32 v24, v16, v24
	v_mov_b32_e32 v16, 0
	global_store_b16 v[20:21], v24, off
	s_cbranch_vccnz .LBB294_85
; %bb.84:
	v_add_co_u32 v20, vcc_lo, v0, v12
	v_add_co_ci_u32_e32 v21, vcc_lo, v1, v13, vcc_lo
	flat_load_u16 v17, v[20:21]
	s_waitcnt vmcnt(0) lgkmcnt(0)
	v_mul_f16_e32 v17, v32, v17
.LBB294_85:
	v_pk_min_f16 v20, v30, v2
	v_pk_min_f16 v21, v31, v3
	v_add_co_u32 v12, vcc_lo, v18, v12
	v_add_co_ci_u32_e32 v13, vcc_lo, v19, v13, vcc_lo
	s_delay_alu instid0(VALU_DEP_4) | instskip(SKIP_1) | instid1(VALU_DEP_1)
	v_pk_add_f16 v20, v20, v38
	s_and_b32 vcc_lo, exec_lo, s0
	v_pk_add_f16 v20, v21, v20
	s_delay_alu instid0(VALU_DEP_1) | instskip(NEXT) | instid1(VALU_DEP_1)
	v_lshrrev_b32_e32 v21, 16, v20
	v_add_f16_e32 v20, v20, v21
	s_delay_alu instid0(VALU_DEP_1)
	v_add_f16_e32 v17, v20, v17
	global_store_b16 v[12:13], v17, off
	s_cbranch_vccnz .LBB294_87
; %bb.86:
	v_add_co_u32 v12, vcc_lo, v0, v14
	v_add_co_ci_u32_e32 v13, vcc_lo, v1, v15, vcc_lo
	flat_load_u16 v12, v[12:13]
	s_waitcnt vmcnt(0) lgkmcnt(0)
	v_mul_f16_e32 v16, v32, v12
.LBB294_87:
	v_pk_min_f16 v12, v50, v2
	v_pk_min_f16 v13, v51, v3
	v_add_co_u32 v14, vcc_lo, v18, v14
	v_add_co_ci_u32_e32 v15, vcc_lo, v19, v15, vcc_lo
	s_delay_alu instid0(VALU_DEP_4) | instskip(SKIP_1) | instid1(VALU_DEP_1)
	v_pk_add_f16 v12, v12, v37
	s_and_b32 vcc_lo, exec_lo, s0
	v_pk_add_f16 v12, v13, v12
	s_delay_alu instid0(VALU_DEP_1) | instskip(NEXT) | instid1(VALU_DEP_1)
	v_lshrrev_b32_e32 v13, 16, v12
	v_add_f16_e32 v12, v12, v13
	v_mov_b32_e32 v13, 0
	s_delay_alu instid0(VALU_DEP_2)
	v_add_f16_e32 v16, v12, v16
	v_mov_b32_e32 v12, 0
	global_store_b16 v[14:15], v16, off
	s_cbranch_vccnz .LBB294_89
; %bb.88:
	v_add_co_u32 v13, vcc_lo, v0, v8
	v_add_co_ci_u32_e32 v14, vcc_lo, v1, v9, vcc_lo
	flat_load_u16 v13, v[13:14]
	s_waitcnt vmcnt(0) lgkmcnt(0)
	v_mul_f16_e32 v13, v32, v13
.LBB294_89:
	v_pk_min_f16 v14, v52, v2
	v_pk_min_f16 v15, v53, v3
	v_add_co_u32 v8, vcc_lo, v18, v8
	v_add_co_ci_u32_e32 v9, vcc_lo, v19, v9, vcc_lo
	s_delay_alu instid0(VALU_DEP_4) | instskip(SKIP_1) | instid1(VALU_DEP_1)
	v_pk_add_f16 v14, v14, v35
	s_and_b32 vcc_lo, exec_lo, s0
	v_pk_add_f16 v14, v15, v14
	s_delay_alu instid0(VALU_DEP_1) | instskip(NEXT) | instid1(VALU_DEP_1)
	v_lshrrev_b32_e32 v15, 16, v14
	v_add_f16_e32 v14, v14, v15
	s_delay_alu instid0(VALU_DEP_1)
	v_add_f16_e32 v13, v14, v13
	global_store_b16 v[8:9], v13, off
	s_cbranch_vccnz .LBB294_91
; %bb.90:
	v_add_co_u32 v8, vcc_lo, v0, v10
	v_add_co_ci_u32_e32 v9, vcc_lo, v1, v11, vcc_lo
	flat_load_u16 v8, v[8:9]
	s_waitcnt vmcnt(0) lgkmcnt(0)
	v_mul_f16_e32 v12, v32, v8
.LBB294_91:
	v_pk_min_f16 v8, v54, v2
	v_pk_min_f16 v9, v63, v3
	;; [unrolled: 1-line block ×3, first 2 shown]
	s_delay_alu instid0(VALU_DEP_3) | instskip(NEXT) | instid1(VALU_DEP_2)
	v_pk_add_f16 v8, v8, v34
	v_pk_add_f16 v13, v13, v36
	s_delay_alu instid0(VALU_DEP_2) | instskip(SKIP_1) | instid1(VALU_DEP_2)
	v_pk_add_f16 v8, v9, v8
	v_pk_min_f16 v9, v66, v3
	v_lshrrev_b32_e32 v14, 16, v8
	s_delay_alu instid0(VALU_DEP_2) | instskip(SKIP_2) | instid1(VALU_DEP_4)
	v_pk_add_f16 v13, v9, v13
	v_add_co_u32 v9, vcc_lo, v18, v10
	v_add_co_ci_u32_e32 v10, vcc_lo, v19, v11, vcc_lo
	v_add_f16_e32 v8, v8, v14
	s_delay_alu instid0(VALU_DEP_4) | instskip(SKIP_1) | instid1(VALU_DEP_2)
	v_lshrrev_b32_e32 v11, 16, v13
	s_mov_b32 vcc_lo, s2
	v_add_f16_e32 v12, v8, v12
	s_delay_alu instid0(VALU_DEP_2)
	v_add_f16_e32 v8, v13, v11
	global_store_b16 v[9:10], v12, off
	s_cbranch_vccz .LBB294_94
; %bb.92:
	v_add_co_u32 v9, vcc_lo, v18, v4
	v_add_f16_e32 v11, 0, v8
	v_add_co_ci_u32_e32 v10, vcc_lo, v19, v5, vcc_lo
	s_mov_b32 s0, 0
	global_store_b16 v[9:10], v11, off
	s_cbranch_execz .LBB294_95
; %bb.93:
	v_mov_b32_e32 v0, s0
	s_branch .LBB294_96
.LBB294_94:
	s_mov_b32 s0, -1
.LBB294_95:
	v_add_co_u32 v9, vcc_lo, v0, v4
	v_add_co_ci_u32_e32 v10, vcc_lo, v1, v5, vcc_lo
	v_add_co_u32 v4, vcc_lo, v18, v4
	v_add_co_ci_u32_e32 v5, vcc_lo, v19, v5, vcc_lo
	flat_load_u16 v9, v[9:10]
	v_add_co_u32 v0, vcc_lo, v0, v6
	v_add_co_ci_u32_e32 v1, vcc_lo, v1, v7, vcc_lo
	s_waitcnt vmcnt(0) lgkmcnt(0)
	v_fmac_f16_e32 v8, v32, v9
	global_store_b16 v[4:5], v8, off
	flat_load_u16 v0, v[0:1]
	s_waitcnt vmcnt(0) lgkmcnt(0)
	v_mul_f16_e32 v0, v32, v0
.LBB294_96:
	v_pk_min_f16 v1, v22, v2
	v_pk_min_f16 v2, v23, v3
	s_delay_alu instid0(VALU_DEP_2) | instskip(NEXT) | instid1(VALU_DEP_1)
	v_pk_add_f16 v1, v1, v33
	v_pk_add_f16 v1, v2, v1
	s_delay_alu instid0(VALU_DEP_1) | instskip(NEXT) | instid1(VALU_DEP_1)
	v_lshrrev_b32_e32 v2, 16, v1
	v_add_f16_e32 v1, v1, v2
	s_delay_alu instid0(VALU_DEP_1)
	v_add_f16_e32 v2, v1, v0
	v_add_co_u32 v0, vcc_lo, v18, v6
	v_add_co_ci_u32_e32 v1, vcc_lo, v19, v7, vcc_lo
	global_store_b16 v[0:1], v2, off
	s_nop 0
	s_sendmsg sendmsg(MSG_DEALLOC_VGPRS)
	s_endpgm
	.section	.rodata,"a",@progbits
	.p2align	6, 0x0
	.amdhsa_kernel _ZN12_GLOBAL__N_120geam_min_plus_kernelIDF16_Dv2_DF16_S1_Li8ELi32ELi64ELi128ELi4ELi64ELi4ELi64ELi4ELc78ELc84ELb0ELb0ELb0EPKDF16_S2_DF16_EEviiiT16_PT17_ilS6_ilS4_S6_ilPT18_ili26rocblas_geam_ex_operation_
		.amdhsa_group_segment_fixed_size 3072
		.amdhsa_private_segment_fixed_size 0
		.amdhsa_kernarg_size 136
		.amdhsa_user_sgpr_count 14
		.amdhsa_user_sgpr_dispatch_ptr 0
		.amdhsa_user_sgpr_queue_ptr 0
		.amdhsa_user_sgpr_kernarg_segment_ptr 1
		.amdhsa_user_sgpr_dispatch_id 0
		.amdhsa_user_sgpr_private_segment_size 0
		.amdhsa_wavefront_size32 1
		.amdhsa_uses_dynamic_stack 0
		.amdhsa_enable_private_segment 0
		.amdhsa_system_sgpr_workgroup_id_x 1
		.amdhsa_system_sgpr_workgroup_id_y 0
		.amdhsa_system_sgpr_workgroup_id_z 1
		.amdhsa_system_sgpr_workgroup_info 0
		.amdhsa_system_vgpr_workitem_id 1
		.amdhsa_next_free_vgpr 126
		.amdhsa_next_free_sgpr 24
		.amdhsa_reserve_vcc 1
		.amdhsa_float_round_mode_32 0
		.amdhsa_float_round_mode_16_64 0
		.amdhsa_float_denorm_mode_32 3
		.amdhsa_float_denorm_mode_16_64 3
		.amdhsa_dx10_clamp 1
		.amdhsa_ieee_mode 1
		.amdhsa_fp16_overflow 0
		.amdhsa_workgroup_processor_mode 1
		.amdhsa_memory_ordered 1
		.amdhsa_forward_progress 0
		.amdhsa_shared_vgpr_count 0
		.amdhsa_exception_fp_ieee_invalid_op 0
		.amdhsa_exception_fp_denorm_src 0
		.amdhsa_exception_fp_ieee_div_zero 0
		.amdhsa_exception_fp_ieee_overflow 0
		.amdhsa_exception_fp_ieee_underflow 0
		.amdhsa_exception_fp_ieee_inexact 0
		.amdhsa_exception_int_div_zero 0
	.end_amdhsa_kernel
	.section	.text._ZN12_GLOBAL__N_120geam_min_plus_kernelIDF16_Dv2_DF16_S1_Li8ELi32ELi64ELi128ELi4ELi64ELi4ELi64ELi4ELc78ELc84ELb0ELb0ELb0EPKDF16_S2_DF16_EEviiiT16_PT17_ilS6_ilS4_S6_ilPT18_ili26rocblas_geam_ex_operation_,"axG",@progbits,_ZN12_GLOBAL__N_120geam_min_plus_kernelIDF16_Dv2_DF16_S1_Li8ELi32ELi64ELi128ELi4ELi64ELi4ELi64ELi4ELc78ELc84ELb0ELb0ELb0EPKDF16_S2_DF16_EEviiiT16_PT17_ilS6_ilS4_S6_ilPT18_ili26rocblas_geam_ex_operation_,comdat
.Lfunc_end294:
	.size	_ZN12_GLOBAL__N_120geam_min_plus_kernelIDF16_Dv2_DF16_S1_Li8ELi32ELi64ELi128ELi4ELi64ELi4ELi64ELi4ELc78ELc84ELb0ELb0ELb0EPKDF16_S2_DF16_EEviiiT16_PT17_ilS6_ilS4_S6_ilPT18_ili26rocblas_geam_ex_operation_, .Lfunc_end294-_ZN12_GLOBAL__N_120geam_min_plus_kernelIDF16_Dv2_DF16_S1_Li8ELi32ELi64ELi128ELi4ELi64ELi4ELi64ELi4ELc78ELc84ELb0ELb0ELb0EPKDF16_S2_DF16_EEviiiT16_PT17_ilS6_ilS4_S6_ilPT18_ili26rocblas_geam_ex_operation_
                                        ; -- End function
	.section	.AMDGPU.csdata,"",@progbits
; Kernel info:
; codeLenInByte = 10096
; NumSgprs: 26
; NumVgprs: 126
; ScratchSize: 0
; MemoryBound: 0
; FloatMode: 240
; IeeeMode: 1
; LDSByteSize: 3072 bytes/workgroup (compile time only)
; SGPRBlocks: 3
; VGPRBlocks: 15
; NumSGPRsForWavesPerEU: 26
; NumVGPRsForWavesPerEU: 126
; Occupancy: 10
; WaveLimiterHint : 1
; COMPUTE_PGM_RSRC2:SCRATCH_EN: 0
; COMPUTE_PGM_RSRC2:USER_SGPR: 14
; COMPUTE_PGM_RSRC2:TRAP_HANDLER: 0
; COMPUTE_PGM_RSRC2:TGID_X_EN: 1
; COMPUTE_PGM_RSRC2:TGID_Y_EN: 0
; COMPUTE_PGM_RSRC2:TGID_Z_EN: 1
; COMPUTE_PGM_RSRC2:TIDIG_COMP_CNT: 1
	.section	.text._ZN12_GLOBAL__N_120geam_min_plus_kernelIDF16_Dv2_DF16_S1_Li8ELi32ELi64ELi128ELi4ELi64ELi4ELi64ELi4ELc78ELc84ELb1ELb0ELb0EDF16_KDF16_DF16_EEviiiT16_PT17_ilS5_ilS3_S5_ilPT18_ili26rocblas_geam_ex_operation_,"axG",@progbits,_ZN12_GLOBAL__N_120geam_min_plus_kernelIDF16_Dv2_DF16_S1_Li8ELi32ELi64ELi128ELi4ELi64ELi4ELi64ELi4ELc78ELc84ELb1ELb0ELb0EDF16_KDF16_DF16_EEviiiT16_PT17_ilS5_ilS3_S5_ilPT18_ili26rocblas_geam_ex_operation_,comdat
	.globl	_ZN12_GLOBAL__N_120geam_min_plus_kernelIDF16_Dv2_DF16_S1_Li8ELi32ELi64ELi128ELi4ELi64ELi4ELi64ELi4ELc78ELc84ELb1ELb0ELb0EDF16_KDF16_DF16_EEviiiT16_PT17_ilS5_ilS3_S5_ilPT18_ili26rocblas_geam_ex_operation_ ; -- Begin function _ZN12_GLOBAL__N_120geam_min_plus_kernelIDF16_Dv2_DF16_S1_Li8ELi32ELi64ELi128ELi4ELi64ELi4ELi64ELi4ELc78ELc84ELb1ELb0ELb0EDF16_KDF16_DF16_EEviiiT16_PT17_ilS5_ilS3_S5_ilPT18_ili26rocblas_geam_ex_operation_
	.p2align	8
	.type	_ZN12_GLOBAL__N_120geam_min_plus_kernelIDF16_Dv2_DF16_S1_Li8ELi32ELi64ELi128ELi4ELi64ELi4ELi64ELi4ELc78ELc84ELb1ELb0ELb0EDF16_KDF16_DF16_EEviiiT16_PT17_ilS5_ilS3_S5_ilPT18_ili26rocblas_geam_ex_operation_,@function
_ZN12_GLOBAL__N_120geam_min_plus_kernelIDF16_Dv2_DF16_S1_Li8ELi32ELi64ELi128ELi4ELi64ELi4ELi64ELi4ELc78ELc84ELb1ELb0ELb0EDF16_KDF16_DF16_EEviiiT16_PT17_ilS5_ilS3_S5_ilPT18_ili26rocblas_geam_ex_operation_: ; @_ZN12_GLOBAL__N_120geam_min_plus_kernelIDF16_Dv2_DF16_S1_Li8ELi32ELi64ELi128ELi4ELi64ELi4ELi64ELi4ELc78ELc84ELb1ELb0ELb0EDF16_KDF16_DF16_EEviiiT16_PT17_ilS5_ilS3_S5_ilPT18_ili26rocblas_geam_ex_operation_
; %bb.0:
	s_clause 0x1
	s_load_b64 s[8:9], s[0:1], 0x8
	s_load_b128 s[4:7], s[0:1], 0x20
	s_waitcnt lgkmcnt(0)
	v_cmp_eq_f16_e64 s2, s9, 0
	s_delay_alu instid0(VALU_DEP_1)
	s_and_b32 vcc_lo, exec_lo, s2
	s_cbranch_vccnz .LBB295_3
; %bb.1:
	s_load_b64 s[10:11], s[0:1], 0x10
	s_mul_i32 s3, s15, s5
	s_mul_hi_u32 s5, s15, s4
	s_mul_i32 s4, s15, s4
	s_add_i32 s5, s5, s3
	s_delay_alu instid0(SALU_CYCLE_1)
	s_lshl_b64 s[4:5], s[4:5], 1
	s_waitcnt lgkmcnt(0)
	s_add_u32 s10, s10, s4
	s_addc_u32 s11, s11, s5
	s_and_not1_b32 vcc_lo, exec_lo, s2
	s_cbranch_vccnz .LBB295_4
.LBB295_2:
	s_mov_b32 s21, 0
	s_mov_b64 s[12:13], 0
	s_cbranch_execz .LBB295_5
	s_branch .LBB295_6
.LBB295_3:
	s_mov_b64 s[10:11], 0
	s_and_not1_b32 vcc_lo, exec_lo, s2
	s_cbranch_vccz .LBB295_2
.LBB295_4:
	s_mov_b32 s21, -1
                                        ; implicit-def: $sgpr12_sgpr13
.LBB295_5:
	s_load_b64 s[2:3], s[0:1], 0x38
	s_mov_b32 s21, 0
	s_waitcnt lgkmcnt(0)
	s_mul_i32 s3, s15, s3
	s_mul_hi_u32 s4, s15, s2
	s_mul_i32 s2, s15, s2
	s_add_i32 s3, s4, s3
	s_delay_alu instid0(SALU_CYCLE_1) | instskip(NEXT) | instid1(SALU_CYCLE_1)
	s_lshl_b64 s[2:3], s[2:3], 1
	s_add_u32 s12, s6, s2
	s_addc_u32 s13, s7, s3
.LBB295_6:
	s_clause 0x1
	s_load_b32 s20, s[0:1], 0x40
	s_load_b128 s[4:7], s[0:1], 0x58
	s_waitcnt lgkmcnt(0)
	v_cmp_eq_f16_e64 s2, s20, 0
	s_delay_alu instid0(VALU_DEP_1) | instskip(NEXT) | instid1(SALU_CYCLE_1)
	s_and_b32 s2, exec_lo, s2
	s_mov_b32 vcc_lo, s2
	s_cbranch_vccnz .LBB295_8
; %bb.7:
	s_load_b64 s[16:17], s[0:1], 0x48
	s_mul_i32 s3, s15, s5
	s_mul_hi_u32 s5, s15, s4
	s_delay_alu instid0(SALU_CYCLE_1) | instskip(SKIP_3) | instid1(SALU_CYCLE_1)
	s_add_i32 s3, s5, s3
	s_mul_i32 s5, s21, s4
	s_mul_i32 s4, s15, s4
	s_add_i32 s5, s3, s5
	s_lshl_b64 s[4:5], s[4:5], 1
	s_waitcnt lgkmcnt(0)
	s_add_u32 s4, s16, s4
	s_addc_u32 s5, s17, s5
	s_branch .LBB295_9
.LBB295_8:
	s_mov_b64 s[4:5], 0
.LBB295_9:
	s_clause 0x2
	s_load_b32 s3, s[0:1], 0x0
	s_load_b32 s16, s[0:1], 0x18
	;; [unrolled: 1-line block ×3, first 2 shown]
	v_bfe_u32 v51, v0, 10, 10
	v_and_b32_e32 v50, 0x3ff, v0
	s_delay_alu instid0(VALU_DEP_2) | instskip(NEXT) | instid1(VALU_DEP_2)
	v_lshlrev_b32_e32 v48, 3, v51
	v_lshlrev_b32_e32 v53, 3, v50
	s_delay_alu instid0(VALU_DEP_2) | instskip(NEXT) | instid1(VALU_DEP_2)
	v_add_nc_u32_e32 v0, v48, v50
	v_add_nc_u32_e32 v25, 0x800, v53
	s_delay_alu instid0(VALU_DEP_2) | instskip(SKIP_3) | instid1(SALU_CYCLE_1)
	v_lshrrev_b32_e32 v4, 6, v0
	v_and_b32_e32 v11, 63, v0
	s_waitcnt lgkmcnt(0)
	s_add_i32 s3, s3, -1
	s_ashr_i32 s9, s3, 31
	v_mad_i64_i32 v[2:3], null, s18, v4, 0
	s_lshr_b32 s9, s9, 26
	v_add_nc_u32_e32 v12, 4, v4
	s_add_i32 s3, s3, s9
	s_delay_alu instid0(SALU_CYCLE_1) | instskip(NEXT) | instid1(SALU_CYCLE_1)
	s_ashr_i32 s3, s3, 6
	s_add_i32 s9, s3, 1
	s_not_b32 s3, s3
	v_cvt_f32_u32_e32 v1, s9
	v_lshlrev_b64 v[2:3], 1, v[2:3]
	s_delay_alu instid0(VALU_DEP_2) | instskip(SKIP_2) | instid1(VALU_DEP_1)
	v_rcp_iflag_f32_e32 v1, v1
	s_waitcnt_depctr 0xfff
	v_mul_f32_e32 v1, 0x4f7ffffe, v1
	v_cvt_u32_f32_e32 v1, v1
	s_delay_alu instid0(VALU_DEP_1) | instskip(SKIP_1) | instid1(VALU_DEP_2)
	v_readfirstlane_b32 s17, v1
	v_mad_i64_i32 v[0:1], null, s16, v4, 0
	s_mul_i32 s3, s3, s17
	s_delay_alu instid0(SALU_CYCLE_1) | instskip(NEXT) | instid1(SALU_CYCLE_1)
	s_mul_hi_u32 s3, s17, s3
	s_add_i32 s17, s17, s3
	s_delay_alu instid0(VALU_DEP_1) | instskip(SKIP_1) | instid1(SALU_CYCLE_1)
	v_lshlrev_b64 v[0:1], 1, v[0:1]
	s_mul_hi_u32 s3, s14, s17
	s_mul_i32 s17, s3, s9
	s_add_i32 s19, s3, 1
	s_sub_i32 s17, s14, s17
	s_delay_alu instid0(VALU_DEP_1)
	v_add_co_u32 v9, vcc_lo, s10, v0
	s_sub_i32 s22, s17, s9
	s_cmp_ge_u32 s17, s9
	v_add_co_ci_u32_e32 v10, vcc_lo, s11, v1, vcc_lo
	s_cselect_b32 s3, s19, s3
	s_cselect_b32 s17, s22, s17
	s_add_i32 s19, s3, 1
	s_cmp_ge_u32 s17, s9
	s_cselect_b32 s3, s19, s3
	s_delay_alu instid0(SALU_CYCLE_1)
	s_mul_i32 s9, s3, s9
	s_lshl_b32 s22, s3, 7
	s_sub_i32 s3, s14, s9
	v_or_b32_e32 v5, s22, v11
	s_lshl_b32 s3, s3, 6
	s_cmp_lt_i32 s8, 9
	v_or_b32_e32 v7, s3, v11
	s_delay_alu instid0(VALU_DEP_2) | instskip(NEXT) | instid1(VALU_DEP_2)
	v_ashrrev_i32_e32 v6, 31, v5
	v_ashrrev_i32_e32 v8, 31, v7
	s_delay_alu instid0(VALU_DEP_2) | instskip(SKIP_2) | instid1(VALU_DEP_4)
	v_lshlrev_b64 v[0:1], 1, v[5:6]
	v_add_co_u32 v5, vcc_lo, s12, v2
	v_add_co_ci_u32_e32 v6, vcc_lo, s13, v3, vcc_lo
	v_lshlrev_b64 v[2:3], 1, v[7:8]
	s_delay_alu instid0(VALU_DEP_3) | instskip(NEXT) | instid1(VALU_DEP_3)
	v_add_co_u32 v5, vcc_lo, v5, v0
	v_add_co_ci_u32_e32 v6, vcc_lo, v6, v1, vcc_lo
	s_delay_alu instid0(VALU_DEP_3) | instskip(NEXT) | instid1(VALU_DEP_4)
	v_add_co_u32 v7, vcc_lo, v9, v2
	v_add_co_ci_u32_e32 v8, vcc_lo, v10, v3, vcc_lo
	v_mad_i64_i32 v[9:10], null, s18, v12, 0
	flat_load_u16 v13, v[5:6]
	flat_load_u16 v14, v[7:8]
	flat_load_u16 v15, v[5:6] offset:128
	v_mad_i64_i32 v[7:8], null, s16, v12, 0
	v_lshlrev_b64 v[5:6], 1, v[9:10]
	s_delay_alu instid0(VALU_DEP_2) | instskip(NEXT) | instid1(VALU_DEP_2)
	v_lshlrev_b64 v[7:8], 1, v[7:8]
	v_add_co_u32 v5, vcc_lo, s12, v5
	s_delay_alu instid0(VALU_DEP_3) | instskip(NEXT) | instid1(VALU_DEP_2)
	v_add_co_ci_u32_e32 v6, vcc_lo, s13, v6, vcc_lo
	v_add_co_u32 v5, vcc_lo, v5, v0
	s_delay_alu instid0(VALU_DEP_2)
	v_add_co_ci_u32_e32 v6, vcc_lo, v6, v1, vcc_lo
	v_add_co_u32 v7, vcc_lo, s10, v7
	v_add_co_ci_u32_e32 v8, vcc_lo, s11, v8, vcc_lo
	flat_load_u16 v29, v[5:6]
	v_add_co_u32 v7, vcc_lo, v7, v2
	v_add_co_ci_u32_e32 v8, vcc_lo, v8, v3, vcc_lo
	flat_load_u16 v30, v[7:8]
	flat_load_u16 v31, v[5:6] offset:128
	v_lshlrev_b32_e32 v5, 1, v4
	s_delay_alu instid0(VALU_DEP_1)
	v_lshl_add_u32 v61, v11, 3, v5
	s_waitcnt vmcnt(5) lgkmcnt(5)
	ds_store_b16 v61, v13
	s_waitcnt vmcnt(4) lgkmcnt(5)
	ds_store_b16 v61, v14 offset:2048
	s_waitcnt vmcnt(3) lgkmcnt(5)
	ds_store_b16 v61, v15 offset:512
	s_waitcnt vmcnt(0) lgkmcnt(0)
	s_barrier
	buffer_gl0_inv
	ds_load_2addr_b64 v[5:8], v48 offset1:32
	ds_load_2addr_b64 v[9:12], v25 offset0:48 offset1:56
	ds_load_2addr_b64 v[13:16], v48 offset0:64 offset1:96
	ds_load_2addr_b64 v[17:20], v25 offset1:8
	ds_load_2addr_b64 v[21:24], v25 offset0:16 offset1:24
	ds_load_2addr_b64 v[25:28], v25 offset0:32 offset1:40
	s_waitcnt lgkmcnt(5)
	v_pk_max_f16 v5, v5, v5
	s_waitcnt lgkmcnt(4)
	v_pk_max_f16 v11, v11, v11
	v_pk_max_f16 v7, v7, v7
	s_waitcnt lgkmcnt(3)
	v_pk_max_f16 v13, v13, v13
	s_waitcnt lgkmcnt(2)
	v_pk_max_f16 v17, v17, v17
	v_pk_max_f16 v15, v15, v15
	;; [unrolled: 1-line block ×3, first 2 shown]
	s_waitcnt lgkmcnt(1)
	v_pk_max_f16 v21, v21, v21
	v_pk_max_f16 v23, v23, v23
	s_waitcnt lgkmcnt(0)
	v_pk_max_f16 v25, v25, v25
	v_pk_max_f16 v27, v27, v27
	;; [unrolled: 1-line block ×3, first 2 shown]
	ds_store_b16 v61, v29 offset:1024
	v_pk_max_f16 v6, v6, v6
	v_pk_max_f16 v12, v12, v12
	;; [unrolled: 1-line block ×12, first 2 shown]
	v_pk_min_f16 v29, v11, v5
	v_pk_min_f16 v32, v11, v7
	;; [unrolled: 1-line block ×64, first 2 shown]
	v_pk_add_f16 v16, v29, 0
	v_pk_add_f16 v29, v32, 0
	;; [unrolled: 1-line block ×64, first 2 shown]
	ds_store_b16 v61, v30 offset:2560
	ds_store_b16 v61, v31 offset:1536
	s_waitcnt lgkmcnt(0)
	s_barrier
	buffer_gl0_inv
	s_cbranch_scc1 .LBB295_12
; %bb.10:
	v_add_nc_u32_e32 v10, 8, v4
	v_add_nc_u32_e32 v12, 12, v4
	v_add_co_u32 v73, vcc_lo, s10, v2
	v_add_co_ci_u32_e32 v74, vcc_lo, s11, v3, vcc_lo
	s_delay_alu instid0(VALU_DEP_4) | instskip(NEXT) | instid1(VALU_DEP_4)
	v_mad_i64_i32 v[4:5], null, v10, s18, 0
	v_mad_i64_i32 v[6:7], null, v12, s16, 0
	;; [unrolled: 1-line block ×4, first 2 shown]
	v_add_co_u32 v77, vcc_lo, s12, v0
	v_lshlrev_b64 v[24:25], 1, v[4:5]
	v_lshlrev_b64 v[26:27], 1, v[6:7]
	;; [unrolled: 1-line block ×3, first 2 shown]
	v_or_b32_e32 v69, 0x800, v61
	v_lshlrev_b64 v[30:31], 1, v[10:11]
	v_add_nc_u32_e32 v70, 0x800, v53
	v_add_nc_u32_e32 v71, 0xa00, v61
	v_or_b32_e32 v72, 0x400, v61
	v_lshl_add_u32 v75, v50, 3, 0xa00
	v_add_nc_u32_e32 v76, 0x400, v48
	v_add_co_ci_u32_e32 v78, vcc_lo, s13, v1, vcc_lo
	s_ashr_i32 s17, s16, 31
	s_ashr_i32 s19, s18, 31
	s_add_i32 s14, s8, -8
	s_lshl_b64 s[8:9], s[18:19], 4
	s_lshl_b64 s[10:11], s[16:17], 4
	s_mov_b32 s12, 0
.LBB295_11:                             ; =>This Inner Loop Header: Depth=1
	v_add_co_u32 v0, vcc_lo, v73, v28
	v_add_co_ci_u32_e32 v1, vcc_lo, v74, v29, vcc_lo
	v_add_co_u32 v2, vcc_lo, v77, v24
	v_add_co_ci_u32_e32 v3, vcc_lo, v78, v25, vcc_lo
	v_add_co_u32 v82, vcc_lo, v73, v26
	flat_load_u16 v79, v[0:1]
	s_clause 0x1
	flat_load_u16 v80, v[2:3]
	flat_load_u16 v81, v[2:3] offset:128
	v_add_co_ci_u32_e32 v83, vcc_lo, v74, v27, vcc_lo
	v_add_co_u32 v84, vcc_lo, v77, v30
	v_add_co_ci_u32_e32 v85, vcc_lo, v78, v31, vcc_lo
	ds_load_2addr_b64 v[0:3], v75 offset0:48 offset1:56
	ds_load_2addr_b64 v[12:15], v76 offset1:32
	ds_load_2addr_b64 v[4:7], v76 offset0:64 offset1:96
	ds_load_2addr_b64 v[8:11], v75 offset1:8
	ds_load_2addr_b64 v[16:19], v75 offset0:16 offset1:24
	ds_load_2addr_b64 v[20:23], v75 offset0:32 offset1:40
	v_add_co_u32 v77, vcc_lo, v77, s8
	v_add_co_ci_u32_e32 v78, vcc_lo, s9, v78, vcc_lo
	v_add_co_u32 v73, vcc_lo, v73, s10
	v_add_co_ci_u32_e32 v74, vcc_lo, s11, v74, vcc_lo
	s_add_i32 s12, s12, 8
	s_waitcnt vmcnt(2) lgkmcnt(8)
	ds_store_b16 v69, v79
	s_waitcnt vmcnt(1) lgkmcnt(8)
	ds_store_b16 v61, v80
	s_waitcnt vmcnt(0) lgkmcnt(8)
	ds_store_b16 v61, v81 offset:512
	s_waitcnt lgkmcnt(0)
	s_barrier
	buffer_gl0_inv
	flat_load_u16 v79, v[82:83]
	s_clause 0x1
	flat_load_u16 v80, v[84:85]
	flat_load_u16 v81, v[84:85] offset:128
	v_pk_max_f16 v2, v2, v2
	v_pk_max_f16 v12, v12, v12
	;; [unrolled: 1-line block ×24, first 2 shown]
	v_pk_min_f16 v82, v8, v12
	v_pk_min_f16 v83, v8, v14
	;; [unrolled: 1-line block ×64, first 2 shown]
	v_pk_add_f16 v7, v100, v60
	v_pk_add_f16 v49, v101, v49
	;; [unrolled: 1-line block ×39, first 2 shown]
	ds_load_2addr_b64 v[0:3], v48 offset1:32
	ds_load_2addr_b64 v[4:7], v70 offset0:48 offset1:56
	ds_load_2addr_b64 v[8:11], v48 offset0:64 offset1:96
	ds_load_2addr_b64 v[12:15], v70 offset1:8
	ds_load_2addr_b64 v[16:19], v70 offset0:16 offset1:24
	ds_load_2addr_b64 v[20:23], v70 offset0:32 offset1:40
	v_pk_add_f16 v47, v84, v47
	v_pk_add_f16 v46, v87, v46
	v_pk_add_f16 v57, v89, v57
	v_pk_add_f16 v45, v90, v45
	v_pk_add_f16 v56, v92, v56
	v_pk_add_f16 v44, v93, v44
	v_pk_add_f16 v55, v95, v55
	v_pk_add_f16 v43, v96, v43
	v_pk_add_f16 v54, v98, v54
	v_pk_add_f16 v42, v99, v42
	v_pk_add_f16 v47, v104, v47
	v_pk_add_f16 v39, v105, v39
	v_pk_add_f16 v46, v107, v46
	v_pk_add_f16 v38, v108, v38
	s_waitcnt lgkmcnt(5)
	v_pk_max_f16 v0, v0, v0
	s_waitcnt lgkmcnt(4)
	v_pk_max_f16 v6, v6, v6
	v_pk_max_f16 v2, v2, v2
	s_waitcnt lgkmcnt(3)
	v_pk_max_f16 v8, v8, v8
	s_waitcnt lgkmcnt(2)
	v_pk_max_f16 v12, v12, v12
	v_pk_max_f16 v10, v10, v10
	;; [unrolled: 1-line block ×3, first 2 shown]
	s_waitcnt lgkmcnt(1)
	v_pk_max_f16 v16, v16, v16
	v_pk_max_f16 v18, v18, v18
	s_waitcnt lgkmcnt(0)
	v_pk_max_f16 v20, v20, v20
	v_pk_max_f16 v22, v22, v22
	;; [unrolled: 1-line block ×3, first 2 shown]
	v_pk_add_f16 v57, v109, v57
	v_pk_add_f16 v45, v110, v45
	v_pk_add_f16 v37, v111, v37
	v_pk_add_f16 v56, v112, v56
	v_pk_add_f16 v44, v113, v44
	v_pk_add_f16 v36, v114, v36
	v_pk_add_f16 v55, v115, v55
	v_pk_add_f16 v43, v116, v43
	v_pk_add_f16 v35, v117, v35
	v_pk_add_f16 v54, v118, v54
	v_pk_add_f16 v42, v119, v42
	v_pk_max_f16 v1, v1, v1
	v_pk_max_f16 v3, v3, v3
	;; [unrolled: 1-line block ×12, first 2 shown]
	v_pk_min_f16 v82, v12, v0
	v_pk_min_f16 v83, v12, v2
	;; [unrolled: 1-line block ×64, first 2 shown]
	v_pk_add_f16 v11, v100, v32
	v_pk_add_f16 v32, v101, v33
	;; [unrolled: 1-line block ×64, first 2 shown]
	s_cmp_ge_i32 s12, s14
	s_waitcnt vmcnt(2)
	ds_store_b16 v71, v79
	s_waitcnt vmcnt(1)
	ds_store_b16 v72, v80
	s_waitcnt vmcnt(0)
	ds_store_b16 v72, v81 offset:512
	s_waitcnt lgkmcnt(0)
	s_barrier
	buffer_gl0_inv
	s_cbranch_scc0 .LBB295_11
.LBB295_12:
	s_load_b32 s8, s[0:1], 0x50
	v_dual_mov_b32 v30, 0 :: v_dual_add_nc_u32 v25, s22, v51
	ds_load_b64 v[0:1], v48 offset:1024
	ds_load_b64 v[2:3], v53 offset:2560
	v_add_nc_u32_e32 v22, s3, v50
	v_cmp_neq_f16_e64 s9, s20, 0
	v_mov_b32_e32 v20, 0
	s_delay_alu instid0(VALU_DEP_3) | instskip(NEXT) | instid1(VALU_DEP_3)
	v_ashrrev_i32_e32 v23, 31, v22
	s_and_b32 vcc_lo, exec_lo, s9
	s_delay_alu instid0(VALU_DEP_1) | instskip(SKIP_2) | instid1(VALU_DEP_1)
	v_lshlrev_b64 v[16:17], 1, v[22:23]
	s_waitcnt lgkmcnt(0)
	v_mad_i64_i32 v[4:5], null, v25, s8, 0
	v_lshlrev_b64 v[4:5], 1, v[4:5]
	s_delay_alu instid0(VALU_DEP_1) | instskip(NEXT) | instid1(VALU_DEP_1)
	v_add_co_u32 v69, s3, s4, v4
	v_add_co_ci_u32_e64 v70, s3, s5, v5, s3
	s_cbranch_vccz .LBB295_14
; %bb.13:
	s_delay_alu instid0(VALU_DEP_2) | instskip(NEXT) | instid1(VALU_DEP_2)
	v_add_co_u32 v4, vcc_lo, v69, v16
	v_add_co_ci_u32_e32 v5, vcc_lo, v70, v17, vcc_lo
	flat_load_u16 v4, v[4:5]
	s_waitcnt vmcnt(0) lgkmcnt(0)
	v_mul_f16_e32 v20, s20, v4
.LBB295_14:
	s_clause 0x1
	s_load_b64 s[10:11], s[0:1], 0x70
	s_load_b32 s1, s[0:1], 0x68
	v_pk_max_f16 v72, v0, v0
	v_pk_max_f16 v26, v2, v2
	;; [unrolled: 1-line block ×4, first 2 shown]
	v_add_nc_u32_e32 v4, 0x800, v53
	ds_load_b64 v[23:24], v53 offset:3008
	ds_load_b64 v[18:19], v48 offset:1792
	v_pk_min_f16 v0, v26, v72
	v_add_nc_u32_e32 v28, 8, v22
	v_pk_min_f16 v5, v27, v71
	s_delay_alu instid0(VALU_DEP_3)
	v_pk_add_f16 v6, v0, v68
	ds_load_2addr_b64 v[0:3], v48 offset0:160 offset1:192
	ds_load_2addr_b64 v[12:15], v4 offset0:72 offset1:80
	;; [unrolled: 1-line block ×3, first 2 shown]
	v_ashrrev_i32_e32 v29, 31, v28
	v_pk_add_f16 v21, v5, v6
	ds_load_2addr_b64 v[4:7], v4 offset0:104 offset1:112
	s_waitcnt lgkmcnt(0)
	s_mul_i32 s0, s15, s11
	v_mad_i64_i32 v[50:51], null, v25, s1, 0
	s_mul_hi_u32 s3, s15, s10
	s_mul_i32 s11, s21, s10
	s_add_i32 s0, s3, s0
	s_mul_i32 s10, s15, s10
	s_add_i32 s11, s0, s11
	v_lshrrev_b32_e32 v31, 16, v21
	s_delay_alu instid0(VALU_DEP_2) | instskip(SKIP_1) | instid1(SALU_CYCLE_1)
	v_lshlrev_b64 v[50:51], 1, v[50:51]
	s_lshl_b64 s[10:11], s[10:11], 1
	s_add_u32 s3, s6, s10
	s_addc_u32 s6, s7, s11
	v_add_f16_e32 v21, v21, v31
	s_delay_alu instid0(VALU_DEP_2) | instskip(SKIP_2) | instid1(VALU_DEP_3)
	v_add_co_u32 v68, vcc_lo, s3, v50
	v_cndmask_b32_e64 v31, 0, 1, s9
	v_add_co_ci_u32_e32 v73, vcc_lo, s6, v51, vcc_lo
	v_add_co_u32 v50, vcc_lo, v68, v16
	v_add_f16_e32 v48, v21, v20
	v_lshlrev_b64 v[20:21], 1, v[28:29]
	v_cmp_ne_u32_e64 s0, 1, v31
	v_add_co_ci_u32_e32 v51, vcc_lo, v73, v17, vcc_lo
	s_and_not1_b32 vcc_lo, exec_lo, s9
	global_store_b16 v[50:51], v48, off
	s_cbranch_vccnz .LBB295_16
; %bb.15:
	v_add_co_u32 v28, vcc_lo, v69, v20
	v_add_co_ci_u32_e32 v29, vcc_lo, v70, v21, vcc_lo
	flat_load_u16 v28, v[28:29]
	s_waitcnt vmcnt(0) lgkmcnt(0)
	v_mul_f16_e32 v30, s20, v28
.LBB295_16:
	v_pk_max_f16 v28, v12, v12
	v_pk_max_f16 v29, v13, v13
	v_add_co_u32 v74, vcc_lo, v68, v20
	v_add_co_ci_u32_e32 v75, vcc_lo, v73, v21, vcc_lo
	s_delay_alu instid0(VALU_DEP_4) | instskip(NEXT) | instid1(VALU_DEP_4)
	v_pk_min_f16 v12, v28, v72
	v_pk_min_f16 v13, v29, v71
	s_and_b32 vcc_lo, exec_lo, s0
	v_mov_b32_e32 v51, 0
	s_delay_alu instid0(VALU_DEP_3) | instskip(NEXT) | instid1(VALU_DEP_1)
	v_pk_add_f16 v12, v12, v67
	v_pk_add_f16 v31, v13, v12
	v_add_nc_u32_e32 v12, 16, v22
	s_delay_alu instid0(VALU_DEP_2) | instskip(NEXT) | instid1(VALU_DEP_2)
	v_lshrrev_b32_e32 v48, 16, v31
	v_ashrrev_i32_e32 v13, 31, v12
	s_delay_alu instid0(VALU_DEP_2) | instskip(NEXT) | instid1(VALU_DEP_2)
	v_add_f16_e32 v31, v31, v48
	v_lshlrev_b64 v[12:13], 1, v[12:13]
	v_mov_b32_e32 v48, 0
	s_delay_alu instid0(VALU_DEP_3)
	v_add_f16_e32 v30, v31, v30
	global_store_b16 v[74:75], v30, off
	s_cbranch_vccnz .LBB295_18
; %bb.17:
	v_add_co_u32 v30, vcc_lo, v69, v12
	v_add_co_ci_u32_e32 v31, vcc_lo, v70, v13, vcc_lo
	flat_load_u16 v30, v[30:31]
	s_waitcnt vmcnt(0) lgkmcnt(0)
	v_mul_f16_e32 v48, s20, v30
.LBB295_18:
	v_pk_max_f16 v30, v14, v14
	v_pk_max_f16 v31, v15, v15
	s_delay_alu instid0(VALU_DEP_2) | instskip(NEXT) | instid1(VALU_DEP_2)
	v_pk_min_f16 v14, v30, v72
	v_pk_min_f16 v15, v31, v71
	s_delay_alu instid0(VALU_DEP_2) | instskip(SKIP_2) | instid1(VALU_DEP_3)
	v_pk_add_f16 v14, v14, v66
	v_add_co_u32 v66, vcc_lo, v68, v12
	v_add_co_ci_u32_e32 v67, vcc_lo, v73, v13, vcc_lo
	v_pk_add_f16 v50, v15, v14
	v_add_nc_u32_e32 v14, 24, v22
	s_and_b32 vcc_lo, exec_lo, s0
	s_delay_alu instid0(VALU_DEP_2) | instskip(NEXT) | instid1(VALU_DEP_2)
	v_lshrrev_b32_e32 v53, 16, v50
	v_ashrrev_i32_e32 v15, 31, v14
	s_delay_alu instid0(VALU_DEP_2) | instskip(NEXT) | instid1(VALU_DEP_2)
	v_add_f16_e32 v50, v50, v53
	v_lshlrev_b64 v[14:15], 1, v[14:15]
	s_delay_alu instid0(VALU_DEP_2)
	v_add_f16_e32 v48, v50, v48
	global_store_b16 v[66:67], v48, off
	s_cbranch_vccnz .LBB295_20
; %bb.19:
	v_add_co_u32 v50, vcc_lo, v69, v14
	v_add_co_ci_u32_e32 v51, vcc_lo, v70, v15, vcc_lo
	flat_load_u16 v48, v[50:51]
	s_waitcnt vmcnt(0) lgkmcnt(0)
	v_mul_f16_e32 v51, s20, v48
.LBB295_20:
	v_pk_max_f16 v48, v8, v8
	v_pk_max_f16 v50, v9, v9
	v_add_co_u32 v66, vcc_lo, v68, v14
	v_add_co_ci_u32_e32 v67, vcc_lo, v73, v15, vcc_lo
	s_delay_alu instid0(VALU_DEP_4) | instskip(NEXT) | instid1(VALU_DEP_4)
	v_pk_min_f16 v8, v48, v72
	v_pk_min_f16 v9, v50, v71
	s_and_b32 vcc_lo, exec_lo, s0
	s_delay_alu instid0(VALU_DEP_2) | instskip(SKIP_1) | instid1(VALU_DEP_2)
	v_pk_add_f16 v8, v8, v65
	v_mov_b32_e32 v65, 0
	v_pk_add_f16 v53, v9, v8
	v_add_nc_u32_e32 v8, 32, v22
	s_delay_alu instid0(VALU_DEP_2) | instskip(NEXT) | instid1(VALU_DEP_2)
	v_lshrrev_b32_e32 v61, 16, v53
	v_ashrrev_i32_e32 v9, 31, v8
	s_delay_alu instid0(VALU_DEP_2) | instskip(NEXT) | instid1(VALU_DEP_2)
	v_add_f16_e32 v53, v53, v61
	v_lshlrev_b64 v[8:9], 1, v[8:9]
	v_mov_b32_e32 v61, 0
	s_delay_alu instid0(VALU_DEP_3)
	v_add_f16_e32 v51, v53, v51
	global_store_b16 v[66:67], v51, off
	s_cbranch_vccnz .LBB295_22
; %bb.21:
	v_add_co_u32 v66, vcc_lo, v69, v8
	v_add_co_ci_u32_e32 v67, vcc_lo, v70, v9, vcc_lo
	flat_load_u16 v51, v[66:67]
	s_waitcnt vmcnt(0) lgkmcnt(0)
	v_mul_f16_e32 v61, s20, v51
.LBB295_22:
	v_pk_max_f16 v51, v10, v10
	v_pk_max_f16 v53, v11, v11
	s_delay_alu instid0(VALU_DEP_2) | instskip(NEXT) | instid1(VALU_DEP_2)
	v_pk_min_f16 v10, v51, v72
	v_pk_min_f16 v11, v53, v71
	s_delay_alu instid0(VALU_DEP_2) | instskip(NEXT) | instid1(VALU_DEP_1)
	v_pk_add_f16 v10, v10, v64
	v_pk_add_f16 v64, v11, v10
	v_add_nc_u32_e32 v10, 40, v22
	s_delay_alu instid0(VALU_DEP_2) | instskip(NEXT) | instid1(VALU_DEP_2)
	v_lshrrev_b32_e32 v66, 16, v64
	v_ashrrev_i32_e32 v11, 31, v10
	s_delay_alu instid0(VALU_DEP_2) | instskip(SKIP_1) | instid1(VALU_DEP_3)
	v_add_f16_e32 v64, v64, v66
	v_add_co_u32 v66, vcc_lo, v68, v8
	v_lshlrev_b64 v[10:11], 1, v[10:11]
	v_add_co_ci_u32_e32 v67, vcc_lo, v73, v9, vcc_lo
	s_delay_alu instid0(VALU_DEP_4)
	v_add_f16_e32 v61, v64, v61
	s_and_b32 vcc_lo, exec_lo, s0
	global_store_b16 v[66:67], v61, off
	s_cbranch_vccnz .LBB295_24
; %bb.23:
	v_add_co_u32 v64, vcc_lo, v69, v10
	v_add_co_ci_u32_e32 v65, vcc_lo, v70, v11, vcc_lo
	flat_load_u16 v61, v[64:65]
	s_waitcnt vmcnt(0) lgkmcnt(0)
	v_mul_f16_e32 v65, s20, v61
.LBB295_24:
	v_pk_max_f16 v61, v4, v4
	v_pk_max_f16 v64, v5, v5
	v_add_co_u32 v74, vcc_lo, v68, v10
	v_add_co_ci_u32_e32 v75, vcc_lo, v73, v11, vcc_lo
	s_delay_alu instid0(VALU_DEP_4) | instskip(NEXT) | instid1(VALU_DEP_4)
	v_pk_min_f16 v4, v61, v72
	v_pk_min_f16 v5, v64, v71
	s_and_b32 vcc_lo, exec_lo, s0
	v_mov_b32_e32 v67, 0
	s_delay_alu instid0(VALU_DEP_3) | instskip(NEXT) | instid1(VALU_DEP_1)
	v_pk_add_f16 v4, v4, v63
	v_pk_add_f16 v63, v5, v4
	v_add_nc_u32_e32 v4, 48, v22
	s_delay_alu instid0(VALU_DEP_2) | instskip(NEXT) | instid1(VALU_DEP_2)
	v_lshrrev_b32_e32 v66, 16, v63
	v_ashrrev_i32_e32 v5, 31, v4
	s_delay_alu instid0(VALU_DEP_2) | instskip(NEXT) | instid1(VALU_DEP_2)
	v_add_f16_e32 v63, v63, v66
	v_lshlrev_b64 v[4:5], 1, v[4:5]
	v_mov_b32_e32 v66, 0
	s_delay_alu instid0(VALU_DEP_3)
	v_add_f16_e32 v63, v63, v65
	global_store_b16 v[74:75], v63, off
	s_cbranch_vccnz .LBB295_26
; %bb.25:
	v_add_co_u32 v74, vcc_lo, v69, v4
	v_add_co_ci_u32_e32 v75, vcc_lo, v70, v5, vcc_lo
	flat_load_u16 v63, v[74:75]
	s_waitcnt vmcnt(0) lgkmcnt(0)
	v_mul_f16_e32 v67, s20, v63
.LBB295_26:
	v_pk_max_f16 v63, v6, v6
	v_pk_max_f16 v65, v7, v7
	v_add_co_u32 v74, vcc_lo, v68, v4
	v_add_co_ci_u32_e32 v75, vcc_lo, v73, v5, vcc_lo
	s_delay_alu instid0(VALU_DEP_4) | instskip(NEXT) | instid1(VALU_DEP_4)
	v_pk_min_f16 v6, v63, v72
	v_pk_min_f16 v7, v65, v71
	s_and_b32 vcc_lo, exec_lo, s0
	s_delay_alu instid0(VALU_DEP_2) | instskip(NEXT) | instid1(VALU_DEP_1)
	v_pk_add_f16 v6, v6, v62
	v_pk_add_f16 v62, v7, v6
	v_add_nc_u32_e32 v6, 56, v22
	s_delay_alu instid0(VALU_DEP_2) | instskip(NEXT) | instid1(VALU_DEP_2)
	v_lshrrev_b32_e32 v22, 16, v62
	v_ashrrev_i32_e32 v7, 31, v6
	s_delay_alu instid0(VALU_DEP_2) | instskip(NEXT) | instid1(VALU_DEP_2)
	v_add_f16_e32 v22, v62, v22
	v_lshlrev_b64 v[6:7], 1, v[6:7]
	s_delay_alu instid0(VALU_DEP_2)
	v_add_f16_e32 v22, v22, v67
	global_store_b16 v[74:75], v22, off
	s_cbranch_vccnz .LBB295_28
; %bb.27:
	v_add_co_u32 v66, vcc_lo, v69, v6
	v_add_co_ci_u32_e32 v67, vcc_lo, v70, v7, vcc_lo
	flat_load_u16 v22, v[66:67]
	s_waitcnt vmcnt(0) lgkmcnt(0)
	v_mul_f16_e32 v66, s20, v22
.LBB295_28:
	v_pk_max_f16 v22, v23, v23
	v_pk_max_f16 v23, v24, v24
	v_add_nc_u32_e32 v67, 32, v25
	s_delay_alu instid0(VALU_DEP_3) | instskip(NEXT) | instid1(VALU_DEP_3)
	v_pk_min_f16 v24, v22, v72
	v_pk_min_f16 v62, v23, v71
	v_add_co_u32 v71, vcc_lo, v68, v6
	v_add_co_ci_u32_e32 v72, vcc_lo, v73, v7, vcc_lo
	s_delay_alu instid0(VALU_DEP_4) | instskip(SKIP_1) | instid1(VALU_DEP_2)
	v_pk_add_f16 v24, v24, v60
	v_mov_b32_e32 v68, 0
	v_pk_add_f16 v24, v62, v24
	s_delay_alu instid0(VALU_DEP_1) | instskip(NEXT) | instid1(VALU_DEP_1)
	v_lshrrev_b32_e32 v60, 16, v24
	v_add_f16_e32 v62, v24, v60
	s_delay_alu instid0(VALU_DEP_1) | instskip(SKIP_4) | instid1(VALU_DEP_1)
	v_add_f16_e32 v62, v62, v66
	v_mov_b32_e32 v66, 0
	v_mad_i64_i32 v[69:70], null, v67, s8, 0
	global_store_b16 v[71:72], v62, off
	v_lshlrev_b64 v[69:70], 1, v[69:70]
	v_add_co_u32 v24, vcc_lo, s4, v69
	s_delay_alu instid0(VALU_DEP_2)
	v_add_co_ci_u32_e32 v60, vcc_lo, s5, v70, vcc_lo
	s_and_b32 vcc_lo, exec_lo, s0
	s_cbranch_vccnz .LBB295_30
; %bb.29:
	s_delay_alu instid0(VALU_DEP_2) | instskip(NEXT) | instid1(VALU_DEP_2)
	v_add_co_u32 v68, vcc_lo, v24, v16
	v_add_co_ci_u32_e32 v69, vcc_lo, v60, v17, vcc_lo
	flat_load_u16 v62, v[68:69]
	s_waitcnt vmcnt(0) lgkmcnt(0)
	v_mul_f16_e32 v68, s20, v62
.LBB295_30:
	v_pk_max_f16 v62, v0, v0
	v_pk_max_f16 v0, v1, v1
	v_mad_i64_i32 v[69:70], null, v67, s1, 0
	s_delay_alu instid0(VALU_DEP_3) | instskip(NEXT) | instid1(VALU_DEP_3)
	v_pk_min_f16 v1, v26, v62
	v_pk_min_f16 v71, v27, v0
	s_delay_alu instid0(VALU_DEP_3) | instskip(NEXT) | instid1(VALU_DEP_3)
	v_lshlrev_b64 v[69:70], 1, v[69:70]
	v_pk_add_f16 v1, v1, v59
	s_delay_alu instid0(VALU_DEP_1) | instskip(NEXT) | instid1(VALU_DEP_1)
	v_pk_add_f16 v1, v71, v1
	v_lshrrev_b32_e32 v59, 16, v1
	s_delay_alu instid0(VALU_DEP_1) | instskip(SKIP_2) | instid1(VALU_DEP_3)
	v_add_f16_e32 v67, v1, v59
	v_add_co_u32 v1, vcc_lo, s3, v69
	v_add_co_ci_u32_e32 v59, vcc_lo, s6, v70, vcc_lo
	v_add_f16_e32 v69, v67, v68
	s_delay_alu instid0(VALU_DEP_3) | instskip(NEXT) | instid1(VALU_DEP_3)
	v_add_co_u32 v67, vcc_lo, v1, v16
	v_add_co_ci_u32_e32 v68, vcc_lo, v59, v17, vcc_lo
	s_and_b32 vcc_lo, exec_lo, s0
	global_store_b16 v[67:68], v69, off
	s_cbranch_vccnz .LBB295_32
; %bb.31:
	v_add_co_u32 v66, vcc_lo, v24, v20
	v_add_co_ci_u32_e32 v67, vcc_lo, v60, v21, vcc_lo
	flat_load_u16 v66, v[66:67]
	s_waitcnt vmcnt(0) lgkmcnt(0)
	v_mul_f16_e32 v66, s20, v66
.LBB295_32:
	v_pk_min_f16 v67, v28, v62
	v_pk_min_f16 v68, v29, v0
	s_delay_alu instid0(VALU_DEP_2) | instskip(NEXT) | instid1(VALU_DEP_1)
	v_pk_add_f16 v58, v67, v58
	v_pk_add_f16 v58, v68, v58
	s_delay_alu instid0(VALU_DEP_1) | instskip(NEXT) | instid1(VALU_DEP_1)
	v_lshrrev_b32_e32 v67, 16, v58
	v_add_f16_e32 v58, v58, v67
	v_add_co_u32 v67, vcc_lo, v1, v20
	v_add_co_ci_u32_e32 v68, vcc_lo, v59, v21, vcc_lo
	s_delay_alu instid0(VALU_DEP_3)
	v_add_f16_e32 v69, v58, v66
	v_mov_b32_e32 v58, 0
	v_mov_b32_e32 v66, 0
	s_and_b32 vcc_lo, exec_lo, s0
	global_store_b16 v[67:68], v69, off
	s_cbranch_vccnz .LBB295_34
; %bb.33:
	v_add_co_u32 v66, vcc_lo, v24, v12
	v_add_co_ci_u32_e32 v67, vcc_lo, v60, v13, vcc_lo
	flat_load_u16 v66, v[66:67]
	s_waitcnt vmcnt(0) lgkmcnt(0)
	v_mul_f16_e32 v66, s20, v66
.LBB295_34:
	v_pk_min_f16 v67, v30, v62
	v_pk_min_f16 v68, v31, v0
	s_delay_alu instid0(VALU_DEP_2) | instskip(NEXT) | instid1(VALU_DEP_1)
	v_pk_add_f16 v57, v67, v57
	v_pk_add_f16 v57, v68, v57
	s_delay_alu instid0(VALU_DEP_1) | instskip(NEXT) | instid1(VALU_DEP_1)
	v_lshrrev_b32_e32 v67, 16, v57
	v_add_f16_e32 v57, v57, v67
	s_delay_alu instid0(VALU_DEP_1)
	v_add_f16_e32 v57, v57, v66
	v_add_co_u32 v66, vcc_lo, v1, v12
	v_add_co_ci_u32_e32 v67, vcc_lo, v59, v13, vcc_lo
	s_and_b32 vcc_lo, exec_lo, s0
	global_store_b16 v[66:67], v57, off
	s_cbranch_vccnz .LBB295_36
; %bb.35:
	v_add_co_u32 v57, vcc_lo, v24, v14
	v_add_co_ci_u32_e32 v58, vcc_lo, v60, v15, vcc_lo
	flat_load_u16 v57, v[57:58]
	s_waitcnt vmcnt(0) lgkmcnt(0)
	v_mul_f16_e32 v58, s20, v57
.LBB295_36:
	v_pk_min_f16 v57, v48, v62
	v_pk_min_f16 v66, v50, v0
	s_delay_alu instid0(VALU_DEP_2) | instskip(NEXT) | instid1(VALU_DEP_1)
	v_pk_add_f16 v56, v57, v56
	v_pk_add_f16 v56, v66, v56
	v_add_co_u32 v66, vcc_lo, v1, v14
	v_add_co_ci_u32_e32 v67, vcc_lo, v59, v15, vcc_lo
	s_delay_alu instid0(VALU_DEP_3) | instskip(SKIP_1) | instid1(VALU_DEP_1)
	v_lshrrev_b32_e32 v57, 16, v56
	s_and_b32 vcc_lo, exec_lo, s0
	v_add_f16_e32 v56, v56, v57
	v_mov_b32_e32 v57, 0
	s_delay_alu instid0(VALU_DEP_2)
	v_add_f16_e32 v58, v56, v58
	v_mov_b32_e32 v56, 0
	global_store_b16 v[66:67], v58, off
	s_cbranch_vccnz .LBB295_38
; %bb.37:
	v_add_co_u32 v57, vcc_lo, v24, v8
	v_add_co_ci_u32_e32 v58, vcc_lo, v60, v9, vcc_lo
	flat_load_u16 v57, v[57:58]
	s_waitcnt vmcnt(0) lgkmcnt(0)
	v_mul_f16_e32 v57, s20, v57
.LBB295_38:
	v_pk_min_f16 v58, v51, v62
	v_pk_min_f16 v66, v53, v0
	s_delay_alu instid0(VALU_DEP_2) | instskip(NEXT) | instid1(VALU_DEP_1)
	v_pk_add_f16 v55, v58, v55
	v_pk_add_f16 v55, v66, v55
	s_delay_alu instid0(VALU_DEP_1) | instskip(NEXT) | instid1(VALU_DEP_1)
	v_lshrrev_b32_e32 v58, 16, v55
	v_add_f16_e32 v55, v55, v58
	s_delay_alu instid0(VALU_DEP_1)
	v_add_f16_e32 v55, v55, v57
	v_add_co_u32 v57, vcc_lo, v1, v8
	v_add_co_ci_u32_e32 v58, vcc_lo, v59, v9, vcc_lo
	s_and_b32 vcc_lo, exec_lo, s0
	global_store_b16 v[57:58], v55, off
	s_cbranch_vccnz .LBB295_40
; %bb.39:
	v_add_co_u32 v55, vcc_lo, v24, v10
	v_add_co_ci_u32_e32 v56, vcc_lo, v60, v11, vcc_lo
	flat_load_u16 v55, v[55:56]
	s_waitcnt vmcnt(0) lgkmcnt(0)
	v_mul_f16_e32 v56, s20, v55
.LBB295_40:
	v_pk_min_f16 v55, v61, v62
	v_pk_min_f16 v57, v64, v0
	s_delay_alu instid0(VALU_DEP_2) | instskip(NEXT) | instid1(VALU_DEP_1)
	v_pk_add_f16 v54, v55, v54
	v_pk_add_f16 v54, v57, v54
	v_add_co_u32 v57, vcc_lo, v1, v10
	v_add_co_ci_u32_e32 v58, vcc_lo, v59, v11, vcc_lo
	s_delay_alu instid0(VALU_DEP_3) | instskip(SKIP_1) | instid1(VALU_DEP_1)
	v_lshrrev_b32_e32 v55, 16, v54
	s_and_b32 vcc_lo, exec_lo, s0
	v_add_f16_e32 v54, v54, v55
	v_mov_b32_e32 v55, 0
	s_delay_alu instid0(VALU_DEP_2)
	v_add_f16_e32 v56, v54, v56
	v_mov_b32_e32 v54, 0
	global_store_b16 v[57:58], v56, off
	s_cbranch_vccnz .LBB295_42
; %bb.41:
	v_add_co_u32 v55, vcc_lo, v24, v4
	v_add_co_ci_u32_e32 v56, vcc_lo, v60, v5, vcc_lo
	flat_load_u16 v55, v[55:56]
	s_waitcnt vmcnt(0) lgkmcnt(0)
	v_mul_f16_e32 v55, s20, v55
.LBB295_42:
	v_pk_min_f16 v56, v63, v62
	v_pk_min_f16 v57, v65, v0
	s_delay_alu instid0(VALU_DEP_2) | instskip(NEXT) | instid1(VALU_DEP_1)
	v_pk_add_f16 v52, v56, v52
	v_pk_add_f16 v52, v57, v52
	s_delay_alu instid0(VALU_DEP_1) | instskip(NEXT) | instid1(VALU_DEP_1)
	v_lshrrev_b32_e32 v56, 16, v52
	v_add_f16_e32 v52, v52, v56
	s_delay_alu instid0(VALU_DEP_1)
	v_add_f16_e32 v52, v52, v55
	v_add_co_u32 v55, vcc_lo, v1, v4
	v_add_co_ci_u32_e32 v56, vcc_lo, v59, v5, vcc_lo
	s_and_b32 vcc_lo, exec_lo, s0
	global_store_b16 v[55:56], v52, off
	s_cbranch_vccnz .LBB295_44
; %bb.43:
	v_add_co_u32 v54, vcc_lo, v24, v6
	v_add_co_ci_u32_e32 v55, vcc_lo, v60, v7, vcc_lo
	flat_load_u16 v24, v[54:55]
	s_waitcnt vmcnt(0) lgkmcnt(0)
	v_mul_f16_e32 v54, s20, v24
.LBB295_44:
	v_pk_min_f16 v24, v22, v62
	v_dual_mov_b32 v52, 0 :: v_dual_add_nc_u32 v55, 64, v25
	v_pk_min_f16 v0, v23, v0
	v_add_co_u32 v58, vcc_lo, v1, v6
	s_delay_alu instid0(VALU_DEP_4) | instskip(NEXT) | instid1(VALU_DEP_4)
	v_pk_add_f16 v24, v24, v49
	v_mad_i64_i32 v[56:57], null, v55, s8, 0
	v_add_co_ci_u32_e32 v59, vcc_lo, v59, v7, vcc_lo
	s_delay_alu instid0(VALU_DEP_3) | instskip(NEXT) | instid1(VALU_DEP_3)
	v_pk_add_f16 v0, v0, v24
	v_lshlrev_b64 v[56:57], 1, v[56:57]
	s_delay_alu instid0(VALU_DEP_2) | instskip(NEXT) | instid1(VALU_DEP_2)
	v_lshrrev_b32_e32 v24, 16, v0
	v_add_co_u32 v1, vcc_lo, s4, v56
	s_delay_alu instid0(VALU_DEP_2) | instskip(NEXT) | instid1(VALU_DEP_4)
	v_add_f16_e32 v0, v0, v24
	v_add_co_ci_u32_e32 v24, vcc_lo, s5, v57, vcc_lo
	s_and_b32 vcc_lo, exec_lo, s0
	s_delay_alu instid0(VALU_DEP_2)
	v_add_f16_e32 v0, v0, v54
	v_mov_b32_e32 v54, 0
	global_store_b16 v[58:59], v0, off
	s_cbranch_vccnz .LBB295_46
; %bb.45:
	v_add_co_u32 v56, vcc_lo, v1, v16
	v_add_co_ci_u32_e32 v57, vcc_lo, v24, v17, vcc_lo
	flat_load_u16 v0, v[56:57]
	s_waitcnt vmcnt(0) lgkmcnt(0)
	v_mul_f16_e32 v54, s20, v0
.LBB295_46:
	v_pk_max_f16 v49, v2, v2
	v_pk_max_f16 v0, v3, v3
	s_delay_alu instid0(VALU_DEP_2) | instskip(NEXT) | instid1(VALU_DEP_2)
	v_pk_min_f16 v2, v26, v49
	v_pk_min_f16 v56, v27, v0
	s_delay_alu instid0(VALU_DEP_2) | instskip(SKIP_1) | instid1(VALU_DEP_2)
	v_pk_add_f16 v47, v2, v47
	v_mad_i64_i32 v[2:3], null, v55, s1, 0
	v_pk_add_f16 v47, v56, v47
	s_delay_alu instid0(VALU_DEP_2) | instskip(NEXT) | instid1(VALU_DEP_2)
	v_lshlrev_b64 v[2:3], 1, v[2:3]
	v_lshrrev_b32_e32 v55, 16, v47
	s_delay_alu instid0(VALU_DEP_2) | instskip(NEXT) | instid1(VALU_DEP_2)
	v_add_co_u32 v2, vcc_lo, s3, v2
	v_add_f16_e32 v47, v47, v55
	s_delay_alu instid0(VALU_DEP_4) | instskip(NEXT) | instid1(VALU_DEP_2)
	v_add_co_ci_u32_e32 v3, vcc_lo, s6, v3, vcc_lo
	v_add_f16_e32 v47, v47, v54
	s_delay_alu instid0(VALU_DEP_4) | instskip(NEXT) | instid1(VALU_DEP_3)
	v_add_co_u32 v54, vcc_lo, v2, v16
	v_add_co_ci_u32_e32 v55, vcc_lo, v3, v17, vcc_lo
	s_and_b32 vcc_lo, exec_lo, s0
	global_store_b16 v[54:55], v47, off
	s_cbranch_vccnz .LBB295_48
; %bb.47:
	v_add_co_u32 v54, vcc_lo, v1, v20
	v_add_co_ci_u32_e32 v55, vcc_lo, v24, v21, vcc_lo
	flat_load_u16 v47, v[54:55]
	s_waitcnt vmcnt(0) lgkmcnt(0)
	v_mul_f16_e32 v52, s20, v47
.LBB295_48:
	v_pk_min_f16 v47, v28, v49
	v_pk_min_f16 v54, v29, v0
	s_delay_alu instid0(VALU_DEP_2) | instskip(NEXT) | instid1(VALU_DEP_1)
	v_pk_add_f16 v46, v47, v46
	v_pk_add_f16 v46, v54, v46
	v_add_co_u32 v54, vcc_lo, v2, v20
	v_add_co_ci_u32_e32 v55, vcc_lo, v3, v21, vcc_lo
	s_delay_alu instid0(VALU_DEP_3) | instskip(SKIP_1) | instid1(VALU_DEP_1)
	v_lshrrev_b32_e32 v47, 16, v46
	s_and_b32 vcc_lo, exec_lo, s0
	v_add_f16_e32 v46, v46, v47
	v_mov_b32_e32 v47, 0
	s_delay_alu instid0(VALU_DEP_2)
	v_add_f16_e32 v52, v46, v52
	v_mov_b32_e32 v46, 0
	global_store_b16 v[54:55], v52, off
	s_cbranch_vccnz .LBB295_50
; %bb.49:
	v_add_co_u32 v54, vcc_lo, v1, v12
	v_add_co_ci_u32_e32 v55, vcc_lo, v24, v13, vcc_lo
	flat_load_u16 v47, v[54:55]
	s_waitcnt vmcnt(0) lgkmcnt(0)
	v_mul_f16_e32 v47, s20, v47
.LBB295_50:
	v_pk_min_f16 v52, v30, v49
	v_pk_min_f16 v54, v31, v0
	s_delay_alu instid0(VALU_DEP_2) | instskip(NEXT) | instid1(VALU_DEP_1)
	v_pk_add_f16 v45, v52, v45
	v_pk_add_f16 v45, v54, v45
	v_add_co_u32 v54, vcc_lo, v2, v12
	v_add_co_ci_u32_e32 v55, vcc_lo, v3, v13, vcc_lo
	s_delay_alu instid0(VALU_DEP_3) | instskip(SKIP_1) | instid1(VALU_DEP_1)
	v_lshrrev_b32_e32 v52, 16, v45
	s_and_b32 vcc_lo, exec_lo, s0
	v_add_f16_e32 v45, v45, v52
	s_delay_alu instid0(VALU_DEP_1)
	v_add_f16_e32 v45, v45, v47
	global_store_b16 v[54:55], v45, off
	s_cbranch_vccnz .LBB295_52
; %bb.51:
	v_add_co_u32 v45, vcc_lo, v1, v14
	v_add_co_ci_u32_e32 v46, vcc_lo, v24, v15, vcc_lo
	flat_load_u16 v45, v[45:46]
	s_waitcnt vmcnt(0) lgkmcnt(0)
	v_mul_f16_e32 v46, s20, v45
.LBB295_52:
	v_pk_min_f16 v45, v48, v49
	v_pk_min_f16 v47, v50, v0
	v_add_co_u32 v54, vcc_lo, v2, v14
	v_add_co_ci_u32_e32 v55, vcc_lo, v3, v15, vcc_lo
	s_delay_alu instid0(VALU_DEP_4) | instskip(SKIP_1) | instid1(VALU_DEP_1)
	v_pk_add_f16 v44, v45, v44
	s_and_b32 vcc_lo, exec_lo, s0
	v_pk_add_f16 v44, v47, v44
	s_delay_alu instid0(VALU_DEP_1) | instskip(NEXT) | instid1(VALU_DEP_1)
	v_lshrrev_b32_e32 v45, 16, v44
	v_add_f16_e32 v44, v44, v45
	v_mov_b32_e32 v45, 0
	s_delay_alu instid0(VALU_DEP_2)
	v_add_f16_e32 v46, v44, v46
	v_mov_b32_e32 v44, 0
	global_store_b16 v[54:55], v46, off
	s_cbranch_vccnz .LBB295_54
; %bb.53:
	v_add_co_u32 v45, vcc_lo, v1, v8
	v_add_co_ci_u32_e32 v46, vcc_lo, v24, v9, vcc_lo
	flat_load_u16 v45, v[45:46]
	s_waitcnt vmcnt(0) lgkmcnt(0)
	v_mul_f16_e32 v45, s20, v45
.LBB295_54:
	v_pk_min_f16 v46, v51, v49
	v_pk_min_f16 v47, v53, v0
	s_delay_alu instid0(VALU_DEP_2) | instskip(NEXT) | instid1(VALU_DEP_1)
	v_pk_add_f16 v43, v46, v43
	v_pk_add_f16 v43, v47, v43
	s_delay_alu instid0(VALU_DEP_1) | instskip(NEXT) | instid1(VALU_DEP_1)
	v_lshrrev_b32_e32 v46, 16, v43
	v_add_f16_e32 v43, v43, v46
	s_delay_alu instid0(VALU_DEP_1)
	v_add_f16_e32 v43, v43, v45
	v_add_co_u32 v45, vcc_lo, v2, v8
	v_add_co_ci_u32_e32 v46, vcc_lo, v3, v9, vcc_lo
	s_and_b32 vcc_lo, exec_lo, s0
	global_store_b16 v[45:46], v43, off
	s_cbranch_vccnz .LBB295_56
; %bb.55:
	v_add_co_u32 v43, vcc_lo, v1, v10
	v_add_co_ci_u32_e32 v44, vcc_lo, v24, v11, vcc_lo
	flat_load_u16 v43, v[43:44]
	s_waitcnt vmcnt(0) lgkmcnt(0)
	v_mul_f16_e32 v44, s20, v43
.LBB295_56:
	v_pk_min_f16 v43, v61, v49
	v_pk_min_f16 v45, v64, v0
	s_delay_alu instid0(VALU_DEP_2) | instskip(NEXT) | instid1(VALU_DEP_1)
	v_pk_add_f16 v42, v43, v42
	v_pk_add_f16 v42, v45, v42
	v_add_co_u32 v45, vcc_lo, v2, v10
	v_add_co_ci_u32_e32 v46, vcc_lo, v3, v11, vcc_lo
	s_delay_alu instid0(VALU_DEP_3) | instskip(SKIP_1) | instid1(VALU_DEP_1)
	v_lshrrev_b32_e32 v43, 16, v42
	s_and_b32 vcc_lo, exec_lo, s0
	v_add_f16_e32 v42, v42, v43
	v_mov_b32_e32 v43, 0
	s_delay_alu instid0(VALU_DEP_2)
	v_add_f16_e32 v44, v42, v44
	v_mov_b32_e32 v42, 0
	global_store_b16 v[45:46], v44, off
	s_cbranch_vccnz .LBB295_58
; %bb.57:
	v_add_co_u32 v43, vcc_lo, v1, v4
	v_add_co_ci_u32_e32 v44, vcc_lo, v24, v5, vcc_lo
	flat_load_u16 v43, v[43:44]
	s_waitcnt vmcnt(0) lgkmcnt(0)
	v_mul_f16_e32 v43, s20, v43
.LBB295_58:
	v_pk_min_f16 v44, v63, v49
	v_pk_min_f16 v45, v65, v0
	s_delay_alu instid0(VALU_DEP_2) | instskip(NEXT) | instid1(VALU_DEP_1)
	v_pk_add_f16 v41, v44, v41
	v_pk_add_f16 v41, v45, v41
	s_delay_alu instid0(VALU_DEP_1) | instskip(NEXT) | instid1(VALU_DEP_1)
	v_lshrrev_b32_e32 v44, 16, v41
	v_add_f16_e32 v41, v41, v44
	s_delay_alu instid0(VALU_DEP_1)
	v_add_f16_e32 v41, v41, v43
	v_add_co_u32 v43, vcc_lo, v2, v4
	v_add_co_ci_u32_e32 v44, vcc_lo, v3, v5, vcc_lo
	s_and_b32 vcc_lo, exec_lo, s0
	global_store_b16 v[43:44], v41, off
	s_cbranch_vccnz .LBB295_60
; %bb.59:
	v_add_co_u32 v41, vcc_lo, v1, v6
	v_add_co_ci_u32_e32 v42, vcc_lo, v24, v7, vcc_lo
	flat_load_u16 v1, v[41:42]
	s_waitcnt vmcnt(0) lgkmcnt(0)
	v_mul_f16_e32 v42, s20, v1
.LBB295_60:
	v_pk_min_f16 v1, v22, v49
	v_pk_min_f16 v24, v23, v0
	v_add_nc_u32_e32 v25, 0x60, v25
	v_add_co_u32 v2, vcc_lo, v2, v6
	s_delay_alu instid0(VALU_DEP_4) | instskip(SKIP_1) | instid1(VALU_DEP_2)
	v_pk_add_f16 v40, v1, v40
	v_add_co_ci_u32_e32 v3, vcc_lo, v3, v7, vcc_lo
	v_pk_add_f16 v24, v24, v40
	s_delay_alu instid0(VALU_DEP_1) | instskip(NEXT) | instid1(VALU_DEP_1)
	v_lshrrev_b32_e32 v40, 16, v24
	v_add_f16_e32 v24, v24, v40
	v_mov_b32_e32 v40, 0
	s_delay_alu instid0(VALU_DEP_2) | instskip(SKIP_4) | instid1(VALU_DEP_1)
	v_add_f16_e32 v41, v24, v42
	v_mov_b32_e32 v24, 0
	v_mad_i64_i32 v[0:1], null, v25, s8, 0
	global_store_b16 v[2:3], v41, off
	v_lshlrev_b64 v[0:1], 1, v[0:1]
	v_add_co_u32 v0, vcc_lo, s4, v0
	s_delay_alu instid0(VALU_DEP_2)
	v_add_co_ci_u32_e32 v1, vcc_lo, s5, v1, vcc_lo
	s_and_b32 vcc_lo, exec_lo, s0
	s_cbranch_vccnz .LBB295_62
; %bb.61:
	s_delay_alu instid0(VALU_DEP_2) | instskip(NEXT) | instid1(VALU_DEP_2)
	v_add_co_u32 v2, vcc_lo, v0, v16
	v_add_co_ci_u32_e32 v3, vcc_lo, v1, v17, vcc_lo
	flat_load_u16 v2, v[2:3]
	s_waitcnt vmcnt(0) lgkmcnt(0)
	v_mul_f16_e32 v40, s20, v2
.LBB295_62:
	v_pk_max_f16 v2, v18, v18
	v_pk_max_f16 v3, v19, v19
	s_delay_alu instid0(VALU_DEP_2) | instskip(NEXT) | instid1(VALU_DEP_2)
	v_pk_min_f16 v18, v26, v2
	v_pk_min_f16 v26, v27, v3
	s_delay_alu instid0(VALU_DEP_2) | instskip(SKIP_1) | instid1(VALU_DEP_2)
	v_pk_add_f16 v27, v18, v39
	v_mad_i64_i32 v[18:19], null, v25, s1, 0
	v_pk_add_f16 v25, v26, v27
	s_delay_alu instid0(VALU_DEP_2) | instskip(NEXT) | instid1(VALU_DEP_2)
	v_lshlrev_b64 v[18:19], 1, v[18:19]
	v_lshrrev_b32_e32 v26, 16, v25
	s_delay_alu instid0(VALU_DEP_2) | instskip(NEXT) | instid1(VALU_DEP_2)
	v_add_co_u32 v18, vcc_lo, s3, v18
	v_add_f16_e32 v25, v25, v26
	s_delay_alu instid0(VALU_DEP_4) | instskip(NEXT) | instid1(VALU_DEP_3)
	v_add_co_ci_u32_e32 v19, vcc_lo, s6, v19, vcc_lo
	v_add_co_u32 v16, vcc_lo, v18, v16
	s_delay_alu instid0(VALU_DEP_3) | instskip(NEXT) | instid1(VALU_DEP_3)
	v_add_f16_e32 v25, v25, v40
	v_add_co_ci_u32_e32 v17, vcc_lo, v19, v17, vcc_lo
	s_and_b32 vcc_lo, exec_lo, s0
	global_store_b16 v[16:17], v25, off
	s_cbranch_vccnz .LBB295_64
; %bb.63:
	v_add_co_u32 v16, vcc_lo, v0, v20
	v_add_co_ci_u32_e32 v17, vcc_lo, v1, v21, vcc_lo
	flat_load_u16 v16, v[16:17]
	s_waitcnt vmcnt(0) lgkmcnt(0)
	v_mul_f16_e32 v24, s20, v16
.LBB295_64:
	v_pk_min_f16 v16, v28, v2
	v_pk_min_f16 v17, v29, v3
	v_add_co_u32 v20, vcc_lo, v18, v20
	v_add_co_ci_u32_e32 v21, vcc_lo, v19, v21, vcc_lo
	s_delay_alu instid0(VALU_DEP_4) | instskip(SKIP_1) | instid1(VALU_DEP_1)
	v_pk_add_f16 v16, v16, v38
	s_and_b32 vcc_lo, exec_lo, s0
	v_pk_add_f16 v16, v17, v16
	s_delay_alu instid0(VALU_DEP_1) | instskip(NEXT) | instid1(VALU_DEP_1)
	v_lshrrev_b32_e32 v17, 16, v16
	v_add_f16_e32 v16, v16, v17
	v_mov_b32_e32 v17, 0
	s_delay_alu instid0(VALU_DEP_2)
	v_add_f16_e32 v24, v16, v24
	v_mov_b32_e32 v16, 0
	global_store_b16 v[20:21], v24, off
	s_cbranch_vccnz .LBB295_66
; %bb.65:
	v_add_co_u32 v20, vcc_lo, v0, v12
	v_add_co_ci_u32_e32 v21, vcc_lo, v1, v13, vcc_lo
	flat_load_u16 v17, v[20:21]
	s_waitcnt vmcnt(0) lgkmcnt(0)
	v_mul_f16_e32 v17, s20, v17
.LBB295_66:
	v_pk_min_f16 v20, v30, v2
	v_pk_min_f16 v21, v31, v3
	v_add_co_u32 v12, vcc_lo, v18, v12
	v_add_co_ci_u32_e32 v13, vcc_lo, v19, v13, vcc_lo
	s_delay_alu instid0(VALU_DEP_4) | instskip(SKIP_1) | instid1(VALU_DEP_1)
	v_pk_add_f16 v20, v20, v37
	s_and_b32 vcc_lo, exec_lo, s0
	v_pk_add_f16 v20, v21, v20
	s_delay_alu instid0(VALU_DEP_1) | instskip(NEXT) | instid1(VALU_DEP_1)
	v_lshrrev_b32_e32 v21, 16, v20
	v_add_f16_e32 v20, v20, v21
	s_delay_alu instid0(VALU_DEP_1)
	v_add_f16_e32 v17, v20, v17
	global_store_b16 v[12:13], v17, off
	s_cbranch_vccnz .LBB295_68
; %bb.67:
	v_add_co_u32 v12, vcc_lo, v0, v14
	v_add_co_ci_u32_e32 v13, vcc_lo, v1, v15, vcc_lo
	flat_load_u16 v12, v[12:13]
	s_waitcnt vmcnt(0) lgkmcnt(0)
	v_mul_f16_e32 v16, s20, v12
.LBB295_68:
	v_pk_min_f16 v12, v48, v2
	v_pk_min_f16 v13, v50, v3
	v_add_co_u32 v14, vcc_lo, v18, v14
	v_add_co_ci_u32_e32 v15, vcc_lo, v19, v15, vcc_lo
	s_delay_alu instid0(VALU_DEP_4) | instskip(SKIP_1) | instid1(VALU_DEP_1)
	v_pk_add_f16 v12, v12, v36
	s_and_b32 vcc_lo, exec_lo, s0
	v_pk_add_f16 v12, v13, v12
	s_delay_alu instid0(VALU_DEP_1) | instskip(NEXT) | instid1(VALU_DEP_1)
	v_lshrrev_b32_e32 v13, 16, v12
	v_add_f16_e32 v12, v12, v13
	v_mov_b32_e32 v13, 0
	s_delay_alu instid0(VALU_DEP_2)
	v_add_f16_e32 v16, v12, v16
	v_mov_b32_e32 v12, 0
	global_store_b16 v[14:15], v16, off
	s_cbranch_vccnz .LBB295_70
; %bb.69:
	v_add_co_u32 v13, vcc_lo, v0, v8
	v_add_co_ci_u32_e32 v14, vcc_lo, v1, v9, vcc_lo
	flat_load_u16 v13, v[13:14]
	s_waitcnt vmcnt(0) lgkmcnt(0)
	v_mul_f16_e32 v13, s20, v13
.LBB295_70:
	v_pk_min_f16 v14, v51, v2
	v_pk_min_f16 v15, v53, v3
	v_add_co_u32 v8, vcc_lo, v18, v8
	v_add_co_ci_u32_e32 v9, vcc_lo, v19, v9, vcc_lo
	s_delay_alu instid0(VALU_DEP_4) | instskip(SKIP_1) | instid1(VALU_DEP_1)
	v_pk_add_f16 v14, v14, v35
	s_and_b32 vcc_lo, exec_lo, s0
	v_pk_add_f16 v14, v15, v14
	s_delay_alu instid0(VALU_DEP_1) | instskip(NEXT) | instid1(VALU_DEP_1)
	v_lshrrev_b32_e32 v15, 16, v14
	v_add_f16_e32 v14, v14, v15
	s_delay_alu instid0(VALU_DEP_1)
	v_add_f16_e32 v13, v14, v13
	global_store_b16 v[8:9], v13, off
	s_cbranch_vccnz .LBB295_72
; %bb.71:
	v_add_co_u32 v8, vcc_lo, v0, v10
	v_add_co_ci_u32_e32 v9, vcc_lo, v1, v11, vcc_lo
	flat_load_u16 v8, v[8:9]
	s_waitcnt vmcnt(0) lgkmcnt(0)
	v_mul_f16_e32 v12, s20, v8
.LBB295_72:
	v_pk_min_f16 v8, v61, v2
	v_pk_min_f16 v9, v64, v3
	;; [unrolled: 1-line block ×3, first 2 shown]
	s_delay_alu instid0(VALU_DEP_3) | instskip(NEXT) | instid1(VALU_DEP_2)
	v_pk_add_f16 v8, v8, v34
	v_pk_add_f16 v13, v13, v33
	s_delay_alu instid0(VALU_DEP_2) | instskip(SKIP_1) | instid1(VALU_DEP_2)
	v_pk_add_f16 v8, v9, v8
	v_pk_min_f16 v9, v65, v3
	v_lshrrev_b32_e32 v14, 16, v8
	s_delay_alu instid0(VALU_DEP_2) | instskip(SKIP_2) | instid1(VALU_DEP_4)
	v_pk_add_f16 v13, v9, v13
	v_add_co_u32 v9, vcc_lo, v18, v10
	v_add_co_ci_u32_e32 v10, vcc_lo, v19, v11, vcc_lo
	v_add_f16_e32 v8, v8, v14
	s_delay_alu instid0(VALU_DEP_4) | instskip(SKIP_1) | instid1(VALU_DEP_2)
	v_lshrrev_b32_e32 v11, 16, v13
	s_mov_b32 vcc_lo, s2
	v_add_f16_e32 v12, v8, v12
	s_delay_alu instid0(VALU_DEP_2)
	v_add_f16_e32 v8, v13, v11
	global_store_b16 v[9:10], v12, off
	s_cbranch_vccz .LBB295_75
; %bb.73:
	v_add_co_u32 v9, vcc_lo, v18, v4
	v_add_f16_e32 v11, 0, v8
	v_add_co_ci_u32_e32 v10, vcc_lo, v19, v5, vcc_lo
	s_mov_b32 s0, 0
	global_store_b16 v[9:10], v11, off
	s_cbranch_execz .LBB295_76
; %bb.74:
	v_mov_b32_e32 v0, s0
	s_branch .LBB295_77
.LBB295_75:
	s_mov_b32 s0, -1
.LBB295_76:
	v_add_co_u32 v9, vcc_lo, v0, v4
	v_add_co_ci_u32_e32 v10, vcc_lo, v1, v5, vcc_lo
	v_add_co_u32 v4, vcc_lo, v18, v4
	v_add_co_ci_u32_e32 v5, vcc_lo, v19, v5, vcc_lo
	flat_load_u16 v9, v[9:10]
	v_add_co_u32 v0, vcc_lo, v0, v6
	v_add_co_ci_u32_e32 v1, vcc_lo, v1, v7, vcc_lo
	s_waitcnt vmcnt(0) lgkmcnt(0)
	v_fmac_f16_e32 v8, s20, v9
	global_store_b16 v[4:5], v8, off
	flat_load_u16 v0, v[0:1]
	s_waitcnt vmcnt(0) lgkmcnt(0)
	v_mul_f16_e32 v0, s20, v0
.LBB295_77:
	v_pk_min_f16 v1, v22, v2
	v_pk_min_f16 v2, v23, v3
	s_delay_alu instid0(VALU_DEP_2) | instskip(NEXT) | instid1(VALU_DEP_1)
	v_pk_add_f16 v1, v1, v32
	v_pk_add_f16 v1, v2, v1
	s_delay_alu instid0(VALU_DEP_1) | instskip(NEXT) | instid1(VALU_DEP_1)
	v_lshrrev_b32_e32 v2, 16, v1
	v_add_f16_e32 v1, v1, v2
	s_delay_alu instid0(VALU_DEP_1)
	v_add_f16_e32 v2, v1, v0
	v_add_co_u32 v0, vcc_lo, v18, v6
	v_add_co_ci_u32_e32 v1, vcc_lo, v19, v7, vcc_lo
	global_store_b16 v[0:1], v2, off
	s_nop 0
	s_sendmsg sendmsg(MSG_DEALLOC_VGPRS)
	s_endpgm
	.section	.rodata,"a",@progbits
	.p2align	6, 0x0
	.amdhsa_kernel _ZN12_GLOBAL__N_120geam_min_plus_kernelIDF16_Dv2_DF16_S1_Li8ELi32ELi64ELi128ELi4ELi64ELi4ELi64ELi4ELc78ELc84ELb1ELb0ELb0EDF16_KDF16_DF16_EEviiiT16_PT17_ilS5_ilS3_S5_ilPT18_ili26rocblas_geam_ex_operation_
		.amdhsa_group_segment_fixed_size 3072
		.amdhsa_private_segment_fixed_size 0
		.amdhsa_kernarg_size 128
		.amdhsa_user_sgpr_count 14
		.amdhsa_user_sgpr_dispatch_ptr 0
		.amdhsa_user_sgpr_queue_ptr 0
		.amdhsa_user_sgpr_kernarg_segment_ptr 1
		.amdhsa_user_sgpr_dispatch_id 0
		.amdhsa_user_sgpr_private_segment_size 0
		.amdhsa_wavefront_size32 1
		.amdhsa_uses_dynamic_stack 0
		.amdhsa_enable_private_segment 0
		.amdhsa_system_sgpr_workgroup_id_x 1
		.amdhsa_system_sgpr_workgroup_id_y 0
		.amdhsa_system_sgpr_workgroup_id_z 1
		.amdhsa_system_sgpr_workgroup_info 0
		.amdhsa_system_vgpr_workitem_id 1
		.amdhsa_next_free_vgpr 123
		.amdhsa_next_free_sgpr 23
		.amdhsa_reserve_vcc 1
		.amdhsa_float_round_mode_32 0
		.amdhsa_float_round_mode_16_64 0
		.amdhsa_float_denorm_mode_32 3
		.amdhsa_float_denorm_mode_16_64 3
		.amdhsa_dx10_clamp 1
		.amdhsa_ieee_mode 1
		.amdhsa_fp16_overflow 0
		.amdhsa_workgroup_processor_mode 1
		.amdhsa_memory_ordered 1
		.amdhsa_forward_progress 0
		.amdhsa_shared_vgpr_count 0
		.amdhsa_exception_fp_ieee_invalid_op 0
		.amdhsa_exception_fp_denorm_src 0
		.amdhsa_exception_fp_ieee_div_zero 0
		.amdhsa_exception_fp_ieee_overflow 0
		.amdhsa_exception_fp_ieee_underflow 0
		.amdhsa_exception_fp_ieee_inexact 0
		.amdhsa_exception_int_div_zero 0
	.end_amdhsa_kernel
	.section	.text._ZN12_GLOBAL__N_120geam_min_plus_kernelIDF16_Dv2_DF16_S1_Li8ELi32ELi64ELi128ELi4ELi64ELi4ELi64ELi4ELc78ELc84ELb1ELb0ELb0EDF16_KDF16_DF16_EEviiiT16_PT17_ilS5_ilS3_S5_ilPT18_ili26rocblas_geam_ex_operation_,"axG",@progbits,_ZN12_GLOBAL__N_120geam_min_plus_kernelIDF16_Dv2_DF16_S1_Li8ELi32ELi64ELi128ELi4ELi64ELi4ELi64ELi4ELc78ELc84ELb1ELb0ELb0EDF16_KDF16_DF16_EEviiiT16_PT17_ilS5_ilS3_S5_ilPT18_ili26rocblas_geam_ex_operation_,comdat
.Lfunc_end295:
	.size	_ZN12_GLOBAL__N_120geam_min_plus_kernelIDF16_Dv2_DF16_S1_Li8ELi32ELi64ELi128ELi4ELi64ELi4ELi64ELi4ELc78ELc84ELb1ELb0ELb0EDF16_KDF16_DF16_EEviiiT16_PT17_ilS5_ilS3_S5_ilPT18_ili26rocblas_geam_ex_operation_, .Lfunc_end295-_ZN12_GLOBAL__N_120geam_min_plus_kernelIDF16_Dv2_DF16_S1_Li8ELi32ELi64ELi128ELi4ELi64ELi4ELi64ELi4ELc78ELc84ELb1ELb0ELb0EDF16_KDF16_DF16_EEviiiT16_PT17_ilS5_ilS3_S5_ilPT18_ili26rocblas_geam_ex_operation_
                                        ; -- End function
	.section	.AMDGPU.csdata,"",@progbits
; Kernel info:
; codeLenInByte = 9780
; NumSgprs: 25
; NumVgprs: 123
; ScratchSize: 0
; MemoryBound: 0
; FloatMode: 240
; IeeeMode: 1
; LDSByteSize: 3072 bytes/workgroup (compile time only)
; SGPRBlocks: 3
; VGPRBlocks: 15
; NumSGPRsForWavesPerEU: 25
; NumVGPRsForWavesPerEU: 123
; Occupancy: 10
; WaveLimiterHint : 1
; COMPUTE_PGM_RSRC2:SCRATCH_EN: 0
; COMPUTE_PGM_RSRC2:USER_SGPR: 14
; COMPUTE_PGM_RSRC2:TRAP_HANDLER: 0
; COMPUTE_PGM_RSRC2:TGID_X_EN: 1
; COMPUTE_PGM_RSRC2:TGID_Y_EN: 0
; COMPUTE_PGM_RSRC2:TGID_Z_EN: 1
; COMPUTE_PGM_RSRC2:TIDIG_COMP_CNT: 1
	.section	.text._ZN12_GLOBAL__N_120geam_min_plus_kernelIDF16_Dv2_DF16_S1_Li8ELi32ELi64ELi128ELi4ELi64ELi4ELi64ELi4ELc78ELc84ELb0ELb0ELb0EDF16_KDF16_DF16_EEviiiT16_PT17_ilS5_ilS3_S5_ilPT18_ili26rocblas_geam_ex_operation_,"axG",@progbits,_ZN12_GLOBAL__N_120geam_min_plus_kernelIDF16_Dv2_DF16_S1_Li8ELi32ELi64ELi128ELi4ELi64ELi4ELi64ELi4ELc78ELc84ELb0ELb0ELb0EDF16_KDF16_DF16_EEviiiT16_PT17_ilS5_ilS3_S5_ilPT18_ili26rocblas_geam_ex_operation_,comdat
	.globl	_ZN12_GLOBAL__N_120geam_min_plus_kernelIDF16_Dv2_DF16_S1_Li8ELi32ELi64ELi128ELi4ELi64ELi4ELi64ELi4ELc78ELc84ELb0ELb0ELb0EDF16_KDF16_DF16_EEviiiT16_PT17_ilS5_ilS3_S5_ilPT18_ili26rocblas_geam_ex_operation_ ; -- Begin function _ZN12_GLOBAL__N_120geam_min_plus_kernelIDF16_Dv2_DF16_S1_Li8ELi32ELi64ELi128ELi4ELi64ELi4ELi64ELi4ELc78ELc84ELb0ELb0ELb0EDF16_KDF16_DF16_EEviiiT16_PT17_ilS5_ilS3_S5_ilPT18_ili26rocblas_geam_ex_operation_
	.p2align	8
	.type	_ZN12_GLOBAL__N_120geam_min_plus_kernelIDF16_Dv2_DF16_S1_Li8ELi32ELi64ELi128ELi4ELi64ELi4ELi64ELi4ELc78ELc84ELb0ELb0ELb0EDF16_KDF16_DF16_EEviiiT16_PT17_ilS5_ilS3_S5_ilPT18_ili26rocblas_geam_ex_operation_,@function
_ZN12_GLOBAL__N_120geam_min_plus_kernelIDF16_Dv2_DF16_S1_Li8ELi32ELi64ELi128ELi4ELi64ELi4ELi64ELi4ELc78ELc84ELb0ELb0ELb0EDF16_KDF16_DF16_EEviiiT16_PT17_ilS5_ilS3_S5_ilPT18_ili26rocblas_geam_ex_operation_: ; @_ZN12_GLOBAL__N_120geam_min_plus_kernelIDF16_Dv2_DF16_S1_Li8ELi32ELi64ELi128ELi4ELi64ELi4ELi64ELi4ELc78ELc84ELb0ELb0ELb0EDF16_KDF16_DF16_EEviiiT16_PT17_ilS5_ilS3_S5_ilPT18_ili26rocblas_geam_ex_operation_
; %bb.0:
	s_clause 0x1
	s_load_b64 s[8:9], s[0:1], 0x8
	s_load_b128 s[4:7], s[0:1], 0x20
	s_waitcnt lgkmcnt(0)
	v_cmp_eq_f16_e64 s2, s9, 0
	s_delay_alu instid0(VALU_DEP_1)
	s_and_b32 vcc_lo, exec_lo, s2
	s_cbranch_vccnz .LBB296_3
; %bb.1:
	s_load_b64 s[10:11], s[0:1], 0x10
	s_mul_i32 s3, s15, s5
	s_mul_hi_u32 s5, s15, s4
	s_mul_i32 s4, s15, s4
	s_add_i32 s5, s5, s3
	s_delay_alu instid0(SALU_CYCLE_1)
	s_lshl_b64 s[4:5], s[4:5], 1
	s_waitcnt lgkmcnt(0)
	s_add_u32 s10, s10, s4
	s_addc_u32 s11, s11, s5
	s_and_not1_b32 vcc_lo, exec_lo, s2
	s_cbranch_vccnz .LBB296_4
.LBB296_2:
	s_mov_b32 s21, 0
	s_mov_b64 s[12:13], 0
	s_cbranch_execz .LBB296_5
	s_branch .LBB296_6
.LBB296_3:
	s_mov_b64 s[10:11], 0
	s_and_not1_b32 vcc_lo, exec_lo, s2
	s_cbranch_vccz .LBB296_2
.LBB296_4:
	s_mov_b32 s21, -1
                                        ; implicit-def: $sgpr12_sgpr13
.LBB296_5:
	s_load_b64 s[2:3], s[0:1], 0x38
	s_mov_b32 s21, 0
	s_waitcnt lgkmcnt(0)
	s_mul_i32 s3, s15, s3
	s_mul_hi_u32 s4, s15, s2
	s_mul_i32 s2, s15, s2
	s_add_i32 s3, s4, s3
	s_delay_alu instid0(SALU_CYCLE_1) | instskip(NEXT) | instid1(SALU_CYCLE_1)
	s_lshl_b64 s[2:3], s[2:3], 1
	s_add_u32 s12, s6, s2
	s_addc_u32 s13, s7, s3
.LBB296_6:
	s_clause 0x1
	s_load_b32 s20, s[0:1], 0x40
	s_load_b128 s[4:7], s[0:1], 0x58
	v_cmp_neq_f16_e64 s18, s9, 0
	s_waitcnt lgkmcnt(0)
	v_cmp_eq_f16_e64 s2, s20, 0
	s_delay_alu instid0(VALU_DEP_1) | instskip(NEXT) | instid1(SALU_CYCLE_1)
	s_and_b32 s2, exec_lo, s2
	s_mov_b32 vcc_lo, s2
	s_cbranch_vccnz .LBB296_8
; %bb.7:
	s_load_b64 s[16:17], s[0:1], 0x48
	s_mul_i32 s3, s15, s5
	s_mul_hi_u32 s5, s15, s4
	s_delay_alu instid0(SALU_CYCLE_1) | instskip(SKIP_3) | instid1(SALU_CYCLE_1)
	s_add_i32 s3, s5, s3
	s_mul_i32 s5, s21, s4
	s_mul_i32 s4, s15, s4
	s_add_i32 s5, s3, s5
	s_lshl_b64 s[4:5], s[4:5], 1
	s_waitcnt lgkmcnt(0)
	s_add_u32 s4, s16, s4
	s_addc_u32 s5, s17, s5
	s_branch .LBB296_9
.LBB296_8:
	s_mov_b64 s[4:5], 0
.LBB296_9:
	s_clause 0x1
	s_load_b32 s3, s[0:1], 0x0
	s_load_b32 s16, s[0:1], 0x18
	v_and_b32_e32 v49, 0x3ff, v0
	v_bfe_u32 v50, v0, 10, 10
	v_cndmask_b32_e64 v2, 0, 1, s18
	s_waitcnt lgkmcnt(0)
	s_add_i32 s3, s3, -1
	s_delay_alu instid0(SALU_CYCLE_1) | instskip(NEXT) | instid1(SALU_CYCLE_1)
	s_ashr_i32 s17, s3, 31
	s_lshr_b32 s17, s17, 26
	s_delay_alu instid0(SALU_CYCLE_1) | instskip(NEXT) | instid1(SALU_CYCLE_1)
	s_add_i32 s3, s3, s17
	s_ashr_i32 s3, s3, 6
	s_delay_alu instid0(SALU_CYCLE_1) | instskip(SKIP_2) | instid1(VALU_DEP_1)
	s_add_i32 s22, s3, 1
	s_not_b32 s3, s3
	v_cvt_f32_u32_e32 v1, s22
	v_rcp_iflag_f32_e32 v1, v1
	s_waitcnt_depctr 0xfff
	v_mul_f32_e32 v1, 0x4f7ffffe, v1
	s_delay_alu instid0(VALU_DEP_1) | instskip(NEXT) | instid1(VALU_DEP_1)
	v_cvt_u32_f32_e32 v1, v1
	v_readfirstlane_b32 s17, v1
	v_lshl_add_u32 v1, v50, 3, v49
	s_delay_alu instid0(VALU_DEP_2) | instskip(NEXT) | instid1(VALU_DEP_1)
	s_mul_i32 s3, s3, s17
	v_and_b32_e32 v5, 63, v1
	s_mul_hi_u32 s3, s17, s3
	v_lshrrev_b32_e32 v4, 6, v1
	s_add_i32 s17, s17, s3
	s_delay_alu instid0(SALU_CYCLE_1) | instskip(SKIP_4) | instid1(SALU_CYCLE_1)
	s_mul_hi_u32 s3, s14, s17
	s_ashr_i32 s17, s16, 31
	s_mul_i32 s19, s3, s22
	s_add_i32 s23, s3, 1
	s_sub_i32 s19, s14, s19
	s_sub_i32 s24, s19, s22
	s_cmp_ge_u32 s19, s22
	s_cselect_b32 s3, s23, s3
	s_cselect_b32 s19, s24, s19
	s_add_i32 s23, s3, 1
	s_cmp_ge_u32 s19, s22
	s_cselect_b32 s19, s23, s3
	s_and_not1_b32 vcc_lo, exec_lo, s18
	s_mul_i32 s24, s19, s22
	s_delay_alu instid0(SALU_CYCLE_1) | instskip(NEXT) | instid1(SALU_CYCLE_1)
	s_sub_i32 s3, s14, s24
	s_lshl_b32 s22, s3, 6
	v_cmp_ne_u32_e64 s3, 1, v2
	v_or_b32_e32 v0, s22, v5
	s_delay_alu instid0(VALU_DEP_1)
	v_ashrrev_i32_e32 v1, 31, v0
	s_cbranch_vccnz .LBB296_11
; %bb.10:
	v_mad_i64_i32 v[2:3], null, s16, v4, 0
	s_delay_alu instid0(VALU_DEP_2) | instskip(NEXT) | instid1(VALU_DEP_2)
	v_lshlrev_b64 v[6:7], 1, v[0:1]
	v_lshlrev_b64 v[2:3], 1, v[2:3]
	s_delay_alu instid0(VALU_DEP_1) | instskip(NEXT) | instid1(VALU_DEP_2)
	v_add_co_u32 v2, vcc_lo, s10, v2
	v_add_co_ci_u32_e32 v3, vcc_lo, s11, v3, vcc_lo
	s_delay_alu instid0(VALU_DEP_2) | instskip(NEXT) | instid1(VALU_DEP_2)
	v_add_co_u32 v2, vcc_lo, v2, v6
	v_add_co_ci_u32_e32 v3, vcc_lo, v3, v7, vcc_lo
	flat_load_u16 v2, v[2:3]
	s_waitcnt vmcnt(0) lgkmcnt(0)
	v_mul_f16_e32 v6, s9, v2
	s_branch .LBB296_12
.LBB296_11:
	v_mov_b32_e32 v6, 0
.LBB296_12:
	s_load_b32 s18, s[0:1], 0x30
	s_lshl_b32 s23, s19, 7
	s_and_b32 vcc_lo, exec_lo, s3
	v_or_b32_e32 v2, s23, v5
	s_delay_alu instid0(VALU_DEP_1)
	v_ashrrev_i32_e32 v3, 31, v2
	s_waitcnt lgkmcnt(0)
	s_ashr_i32 s19, s18, 31
	s_cbranch_vccnz .LBB296_16
; %bb.13:
	v_mad_i64_i32 v[7:8], null, s18, v4, 0
	v_lshlrev_b64 v[9:10], 1, v[2:3]
	s_delay_alu instid0(VALU_DEP_2) | instskip(NEXT) | instid1(VALU_DEP_1)
	v_lshlrev_b64 v[7:8], 1, v[7:8]
	v_add_co_u32 v7, vcc_lo, s12, v7
	s_delay_alu instid0(VALU_DEP_2) | instskip(NEXT) | instid1(VALU_DEP_2)
	v_add_co_ci_u32_e32 v8, vcc_lo, s13, v8, vcc_lo
	v_add_co_u32 v7, vcc_lo, v7, v9
	s_delay_alu instid0(VALU_DEP_2)
	v_add_co_ci_u32_e32 v8, vcc_lo, v8, v10, vcc_lo
	s_clause 0x1
	flat_load_u16 v9, v[7:8]
	flat_load_u16 v8, v[7:8] offset:128
	s_waitcnt vmcnt(1) lgkmcnt(1)
	v_mul_f16_e32 v7, s9, v9
	s_waitcnt vmcnt(0) lgkmcnt(0)
	v_mul_f16_e32 v8, s9, v8
	v_add_nc_u32_e32 v9, 4, v4
	s_and_b32 vcc_lo, exec_lo, s3
	s_cbranch_vccnz .LBB296_17
.LBB296_14:
	s_delay_alu instid0(VALU_DEP_1) | instskip(SKIP_1) | instid1(VALU_DEP_2)
	v_mad_i64_i32 v[10:11], null, s16, v9, 0
	v_lshlrev_b64 v[0:1], 1, v[0:1]
	v_lshlrev_b64 v[10:11], 1, v[10:11]
	s_delay_alu instid0(VALU_DEP_1) | instskip(NEXT) | instid1(VALU_DEP_2)
	v_add_co_u32 v10, vcc_lo, s10, v10
	v_add_co_ci_u32_e32 v11, vcc_lo, s11, v11, vcc_lo
	s_delay_alu instid0(VALU_DEP_2) | instskip(NEXT) | instid1(VALU_DEP_2)
	v_add_co_u32 v0, vcc_lo, v10, v0
	v_add_co_ci_u32_e32 v1, vcc_lo, v11, v1, vcc_lo
	flat_load_u16 v0, v[0:1]
	s_waitcnt vmcnt(0) lgkmcnt(0)
	v_mul_f16_e32 v0, s9, v0
	s_and_b32 vcc_lo, exec_lo, s3
	s_cbranch_vccnz .LBB296_18
.LBB296_15:
	v_mad_i64_i32 v[10:11], null, s18, v9, 0
	v_lshlrev_b64 v[1:2], 1, v[2:3]
	s_delay_alu instid0(VALU_DEP_2) | instskip(NEXT) | instid1(VALU_DEP_1)
	v_lshlrev_b64 v[9:10], 1, v[10:11]
	v_add_co_u32 v3, vcc_lo, s12, v9
	s_delay_alu instid0(VALU_DEP_2) | instskip(NEXT) | instid1(VALU_DEP_2)
	v_add_co_ci_u32_e32 v9, vcc_lo, s13, v10, vcc_lo
	v_add_co_u32 v1, vcc_lo, v3, v1
	s_delay_alu instid0(VALU_DEP_2)
	v_add_co_ci_u32_e32 v2, vcc_lo, v9, v2, vcc_lo
	s_clause 0x1
	flat_load_u16 v3, v[1:2]
	flat_load_u16 v2, v[1:2] offset:128
	s_waitcnt vmcnt(1) lgkmcnt(1)
	v_mul_f16_e32 v1, s9, v3
	s_waitcnt vmcnt(0) lgkmcnt(0)
	v_mul_f16_e32 v2, s9, v2
	s_branch .LBB296_19
.LBB296_16:
	v_dual_mov_b32 v7, 0 :: v_dual_mov_b32 v8, 0
	v_add_nc_u32_e32 v9, 4, v4
	s_and_b32 vcc_lo, exec_lo, s3
	s_cbranch_vccz .LBB296_14
.LBB296_17:
	v_mov_b32_e32 v0, 0
	s_and_b32 vcc_lo, exec_lo, s3
	s_cbranch_vccz .LBB296_15
.LBB296_18:
	v_dual_mov_b32 v1, 0 :: v_dual_mov_b32 v2, 0
.LBB296_19:
	v_lshlrev_b32_e32 v3, 1, v4
	v_lshlrev_b32_e32 v52, 3, v49
	;; [unrolled: 1-line block ×3, first 2 shown]
	s_cmp_lt_i32 s8, 9
	s_delay_alu instid0(VALU_DEP_3) | instskip(NEXT) | instid1(VALU_DEP_3)
	v_lshl_add_u32 v61, v5, 3, v3
	v_add_nc_u32_e32 v3, 0x800, v52
	ds_store_b16 v61, v7
	ds_store_b16 v61, v6 offset:2048
	ds_store_b16 v61, v8 offset:512
	s_waitcnt lgkmcnt(0)
	s_barrier
	buffer_gl0_inv
	ds_load_2addr_b64 v[6:9], v51 offset1:32
	ds_load_2addr_b64 v[10:13], v3 offset0:48 offset1:56
	ds_load_2addr_b64 v[14:17], v51 offset0:64 offset1:96
	ds_load_2addr_b64 v[18:21], v3 offset1:8
	ds_load_2addr_b64 v[22:25], v3 offset0:16 offset1:24
	ds_load_2addr_b64 v[26:29], v3 offset0:32 offset1:40
	ds_store_b16 v61, v1 offset:1024
	ds_store_b16 v61, v0 offset:2560
	;; [unrolled: 1-line block ×3, first 2 shown]
	s_waitcnt lgkmcnt(0)
	s_barrier
	buffer_gl0_inv
	v_pk_max_f16 v3, v6, v6
	v_pk_max_f16 v8, v8, v8
	;; [unrolled: 1-line block ×9, first 2 shown]
	v_pk_min_f16 v38, v22, v3
	v_pk_min_f16 v39, v22, v8
	;; [unrolled: 1-line block ×3, first 2 shown]
	v_pk_max_f16 v18, v20, v20
	v_pk_min_f16 v20, v6, v3
	v_pk_add_f16 v41, v38, 0
	v_pk_min_f16 v38, v24, v3
	v_pk_add_f16 v42, v39, 0
	;; [unrolled: 2-line block ×5, first 2 shown]
	v_pk_min_f16 v39, v26, v8
	v_pk_max_f16 v28, v28, v28
	v_pk_max_f16 v10, v10, v10
	v_pk_add_f16 v55, v38, 0
	v_pk_min_f16 v38, v26, v12
	v_pk_max_f16 v7, v7, v7
	v_pk_max_f16 v13, v13, v13
	v_pk_min_f16 v30, v6, v8
	v_pk_min_f16 v31, v6, v12
	;; [unrolled: 1-line block ×9, first 2 shown]
	v_pk_add_f16 v20, v20, 0
	v_pk_min_f16 v18, v18, v16
	v_pk_min_f16 v22, v22, v16
	;; [unrolled: 1-line block ×3, first 2 shown]
	v_pk_add_f16 v54, v40, 0
	v_pk_min_f16 v26, v26, v16
	v_pk_add_f16 v62, v39, 0
	v_pk_min_f16 v39, v28, v3
	v_pk_min_f16 v40, v28, v8
	v_pk_add_f16 v63, v38, 0
	v_pk_min_f16 v38, v28, v12
	v_pk_min_f16 v28, v28, v16
	;; [unrolled: 1-line block ×6, first 2 shown]
	v_pk_max_f16 v9, v9, v9
	v_pk_min_f16 v6, v6, v16
	v_pk_min_f16 v16, v13, v7
	v_pk_add_f16 v30, v30, 0
	v_pk_add_f16 v71, v38, 0
	v_pk_max_f16 v15, v15, v15
	v_pk_min_f16 v38, v13, v9
	v_pk_max_f16 v19, v19, v19
	v_pk_add_f16 v60, v16, v20
	v_pk_max_f16 v16, v17, v17
	v_pk_add_f16 v31, v31, 0
	v_pk_add_f16 v32, v32, 0
	;; [unrolled: 1-line block ×5, first 2 shown]
	v_pk_min_f16 v39, v13, v15
	v_pk_add_f16 v48, v38, v30
	v_pk_min_f16 v17, v19, v7
	v_pk_min_f16 v20, v19, v9
	;; [unrolled: 1-line block ×4, first 2 shown]
	v_pk_max_f16 v21, v21, v21
	v_pk_add_f16 v35, v35, 0
	v_pk_add_f16 v36, v36, 0
	;; [unrolled: 1-line block ×9, first 2 shown]
	v_pk_min_f16 v14, v21, v7
	v_pk_min_f16 v17, v21, v9
	v_pk_min_f16 v19, v21, v15
	v_pk_min_f16 v20, v21, v16
	v_pk_max_f16 v21, v23, v23
	v_pk_add_f16 v22, v22, 0
	v_pk_add_f16 v67, v14, v35
	;; [unrolled: 1-line block ×5, first 2 shown]
	v_pk_min_f16 v14, v21, v7
	v_pk_min_f16 v17, v21, v9
	;; [unrolled: 1-line block ×4, first 2 shown]
	v_pk_max_f16 v20, v25, v25
	v_pk_add_f16 v24, v24, 0
	v_pk_add_f16 v66, v14, v41
	;; [unrolled: 1-line block ×5, first 2 shown]
	v_pk_min_f16 v14, v20, v7
	v_pk_min_f16 v17, v20, v9
	;; [unrolled: 1-line block ×4, first 2 shown]
	v_pk_max_f16 v20, v27, v27
	v_pk_add_f16 v65, v14, v44
	v_pk_add_f16 v56, v17, v53
	;; [unrolled: 1-line block ×4, first 2 shown]
	v_pk_min_f16 v14, v20, v7
	v_pk_min_f16 v17, v20, v9
	;; [unrolled: 1-line block ×4, first 2 shown]
	v_pk_max_f16 v20, v29, v29
	v_pk_add_f16 v34, v34, 0
	v_pk_add_f16 v26, v26, 0
	;; [unrolled: 1-line block ×3, first 2 shown]
	v_pk_max_f16 v11, v11, v11
	v_pk_min_f16 v14, v20, v7
	v_pk_add_f16 v28, v28, 0
	v_pk_add_f16 v3, v3, 0
	;; [unrolled: 1-line block ×10, first 2 shown]
	v_pk_min_f16 v17, v20, v9
	v_pk_min_f16 v18, v20, v15
	;; [unrolled: 1-line block ×3, first 2 shown]
	v_pk_add_f16 v63, v14, v69
	v_pk_min_f16 v7, v11, v7
	v_pk_min_f16 v9, v11, v9
	;; [unrolled: 1-line block ×5, first 2 shown]
	v_pk_add_f16 v54, v17, v70
	v_pk_add_f16 v42, v18, v71
	;; [unrolled: 1-line block ×8, first 2 shown]
	s_cbranch_scc1 .LBB296_33
; %bb.20:
	v_add_nc_u32_e32 v6, 12, v4
	v_add_nc_u32_e32 v2, s23, v5
	v_lshl_or_b32 v5, s14, 6, v5
	s_lshl_b32 s14, s24, 6
	v_add_nc_u32_e32 v10, 8, v4
	v_mad_i64_i32 v[0:1], null, v6, s18, 0
	v_ashrrev_i32_e32 v3, 31, v2
	v_or_b32_e32 v69, 0x800, v61
	s_delay_alu instid0(VALU_DEP_4) | instskip(SKIP_1) | instid1(VALU_DEP_4)
	v_mad_i64_i32 v[8:9], null, v10, s16, 0
	v_add_nc_u32_e32 v70, 0x800, v52
	v_lshlrev_b64 v[2:3], 1, v[2:3]
	v_lshlrev_b64 v[24:25], 1, v[0:1]
	v_subrev_nc_u32_e32 v0, s14, v5
	v_mad_i64_i32 v[4:5], null, v6, s16, 0
	v_mad_i64_i32 v[6:7], null, v10, s18, 0
	s_delay_alu instid0(VALU_DEP_3) | instskip(SKIP_2) | instid1(VALU_DEP_3)
	v_ashrrev_i32_e32 v1, 31, v0
	v_add_co_u32 v75, vcc_lo, s12, v2
	v_add_co_ci_u32_e32 v76, vcc_lo, s13, v3, vcc_lo
	v_lshlrev_b64 v[0:1], 1, v[0:1]
	v_lshlrev_b64 v[26:27], 1, v[4:5]
	;; [unrolled: 1-line block ×4, first 2 shown]
	v_add_nc_u32_e32 v71, 0xa00, v61
	v_or_b32_e32 v72, 0x400, v61
	v_add_co_u32 v77, vcc_lo, s10, v0
	v_lshl_add_u32 v73, v49, 3, 0xa00
	v_lshl_add_u32 v74, v50, 3, 0x400
	v_add_co_ci_u32_e32 v78, vcc_lo, s11, v1, vcc_lo
	s_add_i32 s8, s8, -8
	s_lshl_b64 s[10:11], s[18:19], 4
	s_lshl_b64 s[12:13], s[16:17], 4
	s_mov_b32 s14, 0
	s_branch .LBB296_23
.LBB296_21:                             ;   in Loop: Header=BB296_23 Depth=1
	v_add_co_u32 v0, vcc_lo, v75, v24
	v_add_co_ci_u32_e32 v1, vcc_lo, v76, v25, vcc_lo
	s_clause 0x1
	flat_load_u16 v122, v[0:1]
	flat_load_u16 v1, v[0:1] offset:128
	s_waitcnt vmcnt(1) lgkmcnt(1)
	v_mul_f16_e32 v0, s9, v122
	s_waitcnt vmcnt(0) lgkmcnt(0)
	v_mul_f16_e32 v1, s9, v1
.LBB296_22:                             ;   in Loop: Header=BB296_23 Depth=1
	v_pk_add_f16 v16, v16, v40
	v_pk_add_f16 v22, v22, v39
	;; [unrolled: 1-line block ×30, first 2 shown]
	ds_load_2addr_b64 v[32:35], v70 offset0:48 offset1:56
	ds_load_2addr_b64 v[36:39], v51 offset1:32
	ds_load_2addr_b64 v[40:43], v51 offset0:64 offset1:96
	v_pk_add_f16 v83, v119, v46
	v_pk_add_f16 v84, v121, v45
	;; [unrolled: 1-line block ×4, first 2 shown]
	ds_load_2addr_b64 v[44:47], v70 offset1:8
	v_pk_add_f16 v8, v8, v67
	v_pk_add_f16 v54, v94, v54
	;; [unrolled: 1-line block ×12, first 2 shown]
	s_waitcnt lgkmcnt(3)
	v_pk_max_f16 v34, v34, v34
	s_waitcnt lgkmcnt(2)
	v_pk_max_f16 v36, v36, v36
	v_pk_max_f16 v38, v38, v38
	s_waitcnt lgkmcnt(1)
	v_pk_max_f16 v40, v40, v40
	v_pk_add_f16 v15, v15, v54
	v_pk_add_f16 v54, v7, v65
	;; [unrolled: 1-line block ×3, first 2 shown]
	v_pk_min_f16 v6, v34, v36
	v_pk_min_f16 v7, v34, v38
	;; [unrolled: 1-line block ×3, first 2 shown]
	ds_load_2addr_b64 v[2:5], v70 offset0:16 offset1:24
	s_waitcnt lgkmcnt(1)
	v_pk_max_f16 v9, v44, v44
	v_pk_max_f16 v42, v42, v42
	v_pk_add_f16 v14, v111, v14
	v_pk_add_f16 v18, v112, v18
	;; [unrolled: 1-line block ×7, first 2 shown]
	v_pk_min_f16 v6, v9, v36
	v_pk_min_f16 v7, v9, v38
	;; [unrolled: 1-line block ×4, first 2 shown]
	v_pk_add_f16 v62, v97, v62
	v_pk_add_f16 v14, v6, v14
	v_pk_add_f16 v18, v7, v18
	v_pk_add_f16 v20, v8, v20
	v_pk_add_f16 v22, v9, v22
	ds_load_2addr_b64 v[6:9], v70 offset0:32 offset1:40
	v_pk_max_f16 v46, v46, v46
	v_pk_add_f16 v17, v17, v60
	v_pk_add_f16 v19, v19, v63
	;; [unrolled: 1-line block ×3, first 2 shown]
	s_waitcnt lgkmcnt(1)
	v_pk_max_f16 v2, v2, v2
	v_pk_min_f16 v60, v46, v36
	v_pk_min_f16 v62, v46, v38
	;; [unrolled: 1-line block ×4, first 2 shown]
	v_pk_max_f16 v4, v4, v4
	v_pk_add_f16 v53, v98, v53
	v_pk_add_f16 v48, v102, v48
	;; [unrolled: 1-line block ×4, first 2 shown]
	v_pk_min_f16 v46, v2, v36
	v_pk_add_f16 v10, v120, v10
	v_pk_add_f16 v57, v105, v57
	;; [unrolled: 1-line block ×5, first 2 shown]
	v_pk_min_f16 v46, v4, v38
	s_waitcnt lgkmcnt(0)
	v_pk_max_f16 v6, v6, v6
	v_pk_add_f16 v64, v60, v68
	v_pk_min_f16 v60, v2, v38
	v_pk_min_f16 v66, v2, v40
	;; [unrolled: 1-line block ×3, first 2 shown]
	v_pk_add_f16 v82, v46, v48
	v_pk_min_f16 v46, v6, v36
	v_pk_add_f16 v56, v104, v56
	v_pk_add_f16 v63, v63, v81
	;; [unrolled: 1-line block ×5, first 2 shown]
	v_pk_min_f16 v11, v4, v36
	v_pk_min_f16 v60, v4, v40
	;; [unrolled: 1-line block ×4, first 2 shown]
	v_pk_max_f16 v8, v8, v8
	v_pk_add_f16 v84, v46, v57
	v_pk_min_f16 v46, v6, v40
	v_pk_max_f16 v32, v32, v32
	v_pk_add_f16 v11, v11, v85
	v_pk_add_f16 v83, v60, v86
	;; [unrolled: 1-line block ×4, first 2 shown]
	v_pk_min_f16 v48, v8, v36
	v_pk_min_f16 v56, v8, v38
	v_pk_add_f16 v86, v46, v55
	v_pk_min_f16 v46, v8, v40
	v_pk_min_f16 v8, v8, v42
	;; [unrolled: 1-line block ×5, first 2 shown]
	v_pk_max_f16 v35, v35, v35
	v_pk_max_f16 v87, v39, v39
	v_pk_add_f16 v8, v8, v19
	v_pk_add_f16 v19, v36, v21
	;; [unrolled: 1-line block ×4, first 2 shown]
	v_pk_max_f16 v53, v37, v37
	v_pk_min_f16 v34, v34, v42
	v_pk_max_f16 v41, v41, v41
	v_pk_min_f16 v37, v35, v87
	v_pk_add_f16 v13, v48, v13
	v_pk_min_f16 v36, v35, v53
	v_pk_add_f16 v88, v34, v59
	v_pk_min_f16 v34, v35, v41
	v_pk_max_f16 v38, v45, v45
	v_pk_add_f16 v48, v37, v12
	v_pk_max_f16 v12, v43, v43
	v_pk_add_f16 v60, v36, v44
	v_pk_add_f16 v40, v34, v16
	v_pk_min_f16 v16, v38, v53
	v_pk_min_f16 v34, v38, v87
	;; [unrolled: 1-line block ×4, first 2 shown]
	v_pk_max_f16 v38, v47, v47
	v_pk_min_f16 v6, v6, v42
	v_pk_add_f16 v68, v16, v14
	v_pk_add_f16 v59, v34, v18
	v_pk_max_f16 v3, v3, v3
	v_pk_min_f16 v14, v38, v53
	v_pk_min_f16 v16, v38, v87
	v_pk_min_f16 v18, v38, v41
	v_pk_add_f16 v6, v6, v58
	v_pk_add_f16 v17, v46, v17
	v_pk_add_f16 v67, v14, v64
	v_pk_add_f16 v58, v16, v62
	v_pk_add_f16 v46, v18, v63
	v_pk_min_f16 v14, v3, v53
	v_pk_min_f16 v16, v3, v87
	;; [unrolled: 1-line block ×4, first 2 shown]
	v_pk_max_f16 v5, v5, v5
	v_pk_add_f16 v47, v36, v20
	v_pk_add_f16 v39, v37, v22
	v_pk_min_f16 v20, v38, v12
	v_pk_add_f16 v57, v16, v10
	v_pk_add_f16 v37, v3, v2
	v_pk_min_f16 v2, v5, v53
	v_pk_min_f16 v3, v5, v87
	;; [unrolled: 1-line block ×4, first 2 shown]
	v_pk_max_f16 v7, v7, v7
	v_pk_add_f16 v15, v56, v15
	v_pk_add_f16 v38, v20, v65
	;; [unrolled: 1-line block ×5, first 2 shown]
	v_pk_min_f16 v2, v7, v53
	v_pk_min_f16 v3, v7, v87
	;; [unrolled: 1-line block ×4, first 2 shown]
	v_pk_max_f16 v7, v9, v9
	v_pk_min_f16 v32, v32, v42
	v_pk_add_f16 v64, v2, v84
	v_pk_add_f16 v55, v3, v85
	;; [unrolled: 1-line block ×4, first 2 shown]
	v_pk_min_f16 v2, v7, v53
	v_pk_min_f16 v3, v7, v87
	;; [unrolled: 1-line block ×4, first 2 shown]
	v_pk_max_f16 v6, v33, v33
	v_pk_add_f16 v32, v32, v54
	v_pk_add_f16 v63, v2, v13
	;; [unrolled: 1-line block ×5, first 2 shown]
	v_pk_min_f16 v2, v6, v53
	v_pk_min_f16 v3, v6, v87
	;; [unrolled: 1-line block ×5, first 2 shown]
	v_add_co_u32 v75, vcc_lo, v75, s10
	v_add_co_ci_u32_e32 v76, vcc_lo, s11, v76, vcc_lo
	v_add_co_u32 v77, vcc_lo, v77, s12
	v_pk_add_f16 v66, v14, v80
	v_pk_add_f16 v45, v18, v81
	;; [unrolled: 1-line block ×8, first 2 shown]
	v_add_co_ci_u32_e32 v78, vcc_lo, s13, v78, vcc_lo
	s_add_i32 s14, s14, 8
	ds_store_b16 v71, v79
	ds_store_b16 v72, v0
	ds_store_b16 v72, v1 offset:512
	s_cmp_ge_i32 s14, s8
	s_waitcnt lgkmcnt(0)
	s_barrier
	buffer_gl0_inv
	s_cbranch_scc1 .LBB296_33
.LBB296_23:                             ; =>This Inner Loop Header: Depth=1
	s_and_b32 vcc_lo, exec_lo, s3
	s_cbranch_vccnz .LBB296_26
; %bb.24:                               ;   in Loop: Header=BB296_23 Depth=1
	v_add_co_u32 v0, vcc_lo, v77, v30
	v_add_co_ci_u32_e32 v1, vcc_lo, v78, v31, vcc_lo
	flat_load_u16 v0, v[0:1]
	s_waitcnt vmcnt(0) lgkmcnt(0)
	v_mul_f16_e32 v79, s9, v0
	s_and_b32 vcc_lo, exec_lo, s3
	s_cbranch_vccnz .LBB296_27
.LBB296_25:                             ;   in Loop: Header=BB296_23 Depth=1
	v_add_co_u32 v0, vcc_lo, v75, v28
	v_add_co_ci_u32_e32 v1, vcc_lo, v76, v29, vcc_lo
	s_clause 0x1
	flat_load_u16 v2, v[0:1]
	flat_load_u16 v0, v[0:1] offset:128
	s_waitcnt vmcnt(1) lgkmcnt(1)
	v_mul_f16_e32 v80, s9, v2
	s_waitcnt vmcnt(0) lgkmcnt(0)
	v_mul_f16_e32 v81, s9, v0
	s_branch .LBB296_28
.LBB296_26:                             ;   in Loop: Header=BB296_23 Depth=1
	v_mov_b32_e32 v79, 0
	s_and_b32 vcc_lo, exec_lo, s3
	s_cbranch_vccz .LBB296_25
.LBB296_27:                             ;   in Loop: Header=BB296_23 Depth=1
	v_dual_mov_b32 v80, 0 :: v_dual_mov_b32 v81, 0
.LBB296_28:                             ;   in Loop: Header=BB296_23 Depth=1
	ds_load_2addr_b64 v[0:3], v73 offset0:48 offset1:56
	ds_load_2addr_b64 v[12:15], v74 offset0:64 offset1:96
	ds_load_2addr_b64 v[20:23], v74 offset1:32
	ds_load_2addr_b64 v[16:19], v73 offset1:8
	ds_load_2addr_b64 v[8:11], v73 offset0:16 offset1:24
	ds_load_2addr_b64 v[4:7], v73 offset0:32 offset1:40
	s_and_b32 vcc_lo, exec_lo, s3
	ds_store_b16 v69, v79
	ds_store_b16 v61, v80
	ds_store_b16 v61, v81 offset:512
	s_waitcnt lgkmcnt(0)
	s_barrier
	buffer_gl0_inv
	s_cbranch_vccnz .LBB296_30
; %bb.29:                               ;   in Loop: Header=BB296_23 Depth=1
	v_add_co_u32 v79, vcc_lo, v77, v26
	v_add_co_ci_u32_e32 v80, vcc_lo, v78, v27, vcc_lo
	flat_load_u16 v79, v[79:80]
	s_waitcnt vmcnt(0) lgkmcnt(0)
	v_mul_f16_e32 v79, s9, v79
	s_branch .LBB296_31
.LBB296_30:                             ;   in Loop: Header=BB296_23 Depth=1
	v_mov_b32_e32 v79, 0
.LBB296_31:                             ;   in Loop: Header=BB296_23 Depth=1
	v_pk_max_f16 v92, v2, v2
	v_pk_max_f16 v97, v20, v20
	v_pk_max_f16 v98, v22, v22
	v_pk_max_f16 v99, v12, v12
	v_pk_max_f16 v22, v16, v16
	v_pk_max_f16 v101, v14, v14
	v_pk_max_f16 v82, v18, v18
	v_pk_max_f16 v85, v8, v8
	v_pk_max_f16 v88, v10, v10
	v_pk_max_f16 v91, v4, v4
	v_pk_max_f16 v96, v6, v6
	v_pk_max_f16 v0, v0, v0
	v_pk_min_f16 v2, v92, v97
	v_pk_min_f16 v12, v92, v98
	v_pk_min_f16 v16, v92, v99
	v_pk_min_f16 v14, v22, v97
	v_pk_min_f16 v18, v22, v98
	v_pk_min_f16 v20, v22, v99
	v_pk_min_f16 v8, v82, v97
	v_pk_min_f16 v80, v82, v98
	v_pk_min_f16 v81, v82, v99
	v_pk_min_f16 v83, v85, v97
	v_pk_min_f16 v10, v85, v98
	v_pk_min_f16 v84, v85, v99
	v_pk_min_f16 v4, v88, v97
	v_pk_min_f16 v86, v88, v98
	v_pk_min_f16 v87, v88, v99
	v_pk_min_f16 v89, v91, v97
	v_pk_min_f16 v6, v91, v98
	v_pk_min_f16 v90, v91, v99
	v_pk_min_f16 v93, v96, v97
	v_pk_min_f16 v94, v96, v98
	v_pk_min_f16 v95, v96, v99
	v_pk_min_f16 v97, v0, v97
	v_pk_min_f16 v98, v0, v98
	v_pk_min_f16 v99, v0, v99
	v_pk_min_f16 v100, v0, v101
	v_pk_max_f16 v0, v3, v3
	v_pk_max_f16 v21, v21, v21
	;; [unrolled: 1-line block ×9, first 2 shown]
	v_pk_min_f16 v111, v3, v21
	v_pk_min_f16 v112, v3, v23
	;; [unrolled: 1-line block ×4, first 2 shown]
	v_pk_max_f16 v3, v9, v9
	v_pk_max_f16 v9, v11, v11
	;; [unrolled: 1-line block ×3, first 2 shown]
	v_pk_min_f16 v22, v22, v101
	v_pk_min_f16 v82, v82, v101
	;; [unrolled: 1-line block ×35, first 2 shown]
	s_and_b32 vcc_lo, exec_lo, s3
	s_cbranch_vccz .LBB296_21
; %bb.32:                               ;   in Loop: Header=BB296_23 Depth=1
	v_dual_mov_b32 v0, 0 :: v_dual_mov_b32 v1, 0
	s_branch .LBB296_22
.LBB296_33:
	s_load_b32 s8, s[0:1], 0x50
	v_dual_mov_b32 v30, 0 :: v_dual_add_nc_u32 v25, s23, v50
	ds_load_b64 v[0:1], v51 offset:1024
	ds_load_b64 v[2:3], v52 offset:2560
	v_add_nc_u32_e32 v22, s22, v49
	v_cmp_neq_f16_e64 s9, s20, 0
	v_mov_b32_e32 v20, 0
	s_delay_alu instid0(VALU_DEP_3) | instskip(NEXT) | instid1(VALU_DEP_3)
	v_ashrrev_i32_e32 v23, 31, v22
	s_and_b32 vcc_lo, exec_lo, s9
	s_delay_alu instid0(VALU_DEP_1) | instskip(SKIP_2) | instid1(VALU_DEP_1)
	v_lshlrev_b64 v[16:17], 1, v[22:23]
	s_waitcnt lgkmcnt(0)
	v_mad_i64_i32 v[4:5], null, v25, s8, 0
	v_lshlrev_b64 v[4:5], 1, v[4:5]
	s_delay_alu instid0(VALU_DEP_1) | instskip(NEXT) | instid1(VALU_DEP_1)
	v_add_co_u32 v69, s3, s4, v4
	v_add_co_ci_u32_e64 v70, s3, s5, v5, s3
	s_cbranch_vccz .LBB296_35
; %bb.34:
	s_delay_alu instid0(VALU_DEP_2) | instskip(NEXT) | instid1(VALU_DEP_2)
	v_add_co_u32 v4, vcc_lo, v69, v16
	v_add_co_ci_u32_e32 v5, vcc_lo, v70, v17, vcc_lo
	flat_load_u16 v4, v[4:5]
	s_waitcnt vmcnt(0) lgkmcnt(0)
	v_mul_f16_e32 v20, s20, v4
.LBB296_35:
	s_clause 0x1
	s_load_b64 s[10:11], s[0:1], 0x70
	s_load_b32 s1, s[0:1], 0x68
	v_pk_max_f16 v72, v0, v0
	v_pk_max_f16 v26, v2, v2
	;; [unrolled: 1-line block ×4, first 2 shown]
	v_add_nc_u32_e32 v4, 0x800, v52
	ds_load_b64 v[23:24], v52 offset:3008
	ds_load_b64 v[18:19], v51 offset:1792
	v_pk_min_f16 v0, v26, v72
	v_add_nc_u32_e32 v28, 8, v22
	v_pk_min_f16 v5, v27, v71
	s_delay_alu instid0(VALU_DEP_3)
	v_pk_add_f16 v6, v0, v68
	ds_load_2addr_b64 v[0:3], v51 offset0:160 offset1:192
	ds_load_2addr_b64 v[12:15], v4 offset0:72 offset1:80
	;; [unrolled: 1-line block ×3, first 2 shown]
	v_ashrrev_i32_e32 v29, 31, v28
	v_pk_add_f16 v21, v5, v6
	ds_load_2addr_b64 v[4:7], v4 offset0:104 offset1:112
	s_waitcnt lgkmcnt(0)
	s_mul_i32 s0, s15, s11
	v_mad_i64_i32 v[49:50], null, v25, s1, 0
	s_mul_hi_u32 s3, s15, s10
	s_mul_i32 s11, s21, s10
	s_add_i32 s0, s3, s0
	s_mul_i32 s10, s15, s10
	s_add_i32 s11, s0, s11
	v_lshrrev_b32_e32 v31, 16, v21
	s_delay_alu instid0(VALU_DEP_2) | instskip(SKIP_1) | instid1(SALU_CYCLE_1)
	v_lshlrev_b64 v[49:50], 1, v[49:50]
	s_lshl_b64 s[10:11], s[10:11], 1
	s_add_u32 s3, s6, s10
	s_addc_u32 s6, s7, s11
	v_add_f16_e32 v21, v21, v31
	s_delay_alu instid0(VALU_DEP_2) | instskip(SKIP_2) | instid1(VALU_DEP_3)
	v_add_co_u32 v68, vcc_lo, s3, v49
	v_cndmask_b32_e64 v31, 0, 1, s9
	v_add_co_ci_u32_e32 v73, vcc_lo, s6, v50, vcc_lo
	v_add_co_u32 v49, vcc_lo, v68, v16
	v_add_f16_e32 v51, v21, v20
	v_lshlrev_b64 v[20:21], 1, v[28:29]
	v_cmp_ne_u32_e64 s0, 1, v31
	v_add_co_ci_u32_e32 v50, vcc_lo, v73, v17, vcc_lo
	s_and_not1_b32 vcc_lo, exec_lo, s9
	global_store_b16 v[49:50], v51, off
	s_cbranch_vccnz .LBB296_37
; %bb.36:
	v_add_co_u32 v28, vcc_lo, v69, v20
	v_add_co_ci_u32_e32 v29, vcc_lo, v70, v21, vcc_lo
	flat_load_u16 v28, v[28:29]
	s_waitcnt vmcnt(0) lgkmcnt(0)
	v_mul_f16_e32 v30, s20, v28
.LBB296_37:
	v_pk_max_f16 v28, v12, v12
	v_pk_max_f16 v29, v13, v13
	v_add_co_u32 v74, vcc_lo, v68, v20
	v_add_co_ci_u32_e32 v75, vcc_lo, v73, v21, vcc_lo
	s_delay_alu instid0(VALU_DEP_4) | instskip(NEXT) | instid1(VALU_DEP_4)
	v_pk_min_f16 v12, v28, v72
	v_pk_min_f16 v13, v29, v71
	s_and_b32 vcc_lo, exec_lo, s0
	v_mov_b32_e32 v51, 0
	s_delay_alu instid0(VALU_DEP_3) | instskip(NEXT) | instid1(VALU_DEP_1)
	v_pk_add_f16 v12, v12, v67
	v_pk_add_f16 v31, v13, v12
	v_add_nc_u32_e32 v12, 16, v22
	s_delay_alu instid0(VALU_DEP_2) | instskip(NEXT) | instid1(VALU_DEP_2)
	v_lshrrev_b32_e32 v49, 16, v31
	v_ashrrev_i32_e32 v13, 31, v12
	s_delay_alu instid0(VALU_DEP_2) | instskip(NEXT) | instid1(VALU_DEP_2)
	v_add_f16_e32 v31, v31, v49
	v_lshlrev_b64 v[12:13], 1, v[12:13]
	v_mov_b32_e32 v49, 0
	s_delay_alu instid0(VALU_DEP_3)
	v_add_f16_e32 v30, v31, v30
	global_store_b16 v[74:75], v30, off
	s_cbranch_vccnz .LBB296_39
; %bb.38:
	v_add_co_u32 v30, vcc_lo, v69, v12
	v_add_co_ci_u32_e32 v31, vcc_lo, v70, v13, vcc_lo
	flat_load_u16 v30, v[30:31]
	s_waitcnt vmcnt(0) lgkmcnt(0)
	v_mul_f16_e32 v49, s20, v30
.LBB296_39:
	v_pk_max_f16 v30, v14, v14
	v_pk_max_f16 v31, v15, v15
	s_delay_alu instid0(VALU_DEP_2) | instskip(NEXT) | instid1(VALU_DEP_2)
	v_pk_min_f16 v14, v30, v72
	v_pk_min_f16 v15, v31, v71
	s_delay_alu instid0(VALU_DEP_2) | instskip(SKIP_2) | instid1(VALU_DEP_3)
	v_pk_add_f16 v14, v14, v66
	v_add_co_u32 v66, vcc_lo, v68, v12
	v_add_co_ci_u32_e32 v67, vcc_lo, v73, v13, vcc_lo
	v_pk_add_f16 v50, v15, v14
	v_add_nc_u32_e32 v14, 24, v22
	s_and_b32 vcc_lo, exec_lo, s0
	s_delay_alu instid0(VALU_DEP_2) | instskip(NEXT) | instid1(VALU_DEP_2)
	v_lshrrev_b32_e32 v52, 16, v50
	v_ashrrev_i32_e32 v15, 31, v14
	s_delay_alu instid0(VALU_DEP_2) | instskip(NEXT) | instid1(VALU_DEP_2)
	v_add_f16_e32 v50, v50, v52
	v_lshlrev_b64 v[14:15], 1, v[14:15]
	s_delay_alu instid0(VALU_DEP_2)
	v_add_f16_e32 v49, v50, v49
	global_store_b16 v[66:67], v49, off
	s_cbranch_vccnz .LBB296_41
; %bb.40:
	v_add_co_u32 v49, vcc_lo, v69, v14
	v_add_co_ci_u32_e32 v50, vcc_lo, v70, v15, vcc_lo
	flat_load_u16 v49, v[49:50]
	s_waitcnt vmcnt(0) lgkmcnt(0)
	v_mul_f16_e32 v51, s20, v49
.LBB296_41:
	v_pk_max_f16 v49, v8, v8
	v_pk_max_f16 v50, v9, v9
	v_add_co_u32 v66, vcc_lo, v68, v14
	v_add_co_ci_u32_e32 v67, vcc_lo, v73, v15, vcc_lo
	s_delay_alu instid0(VALU_DEP_4) | instskip(NEXT) | instid1(VALU_DEP_4)
	v_pk_min_f16 v8, v49, v72
	v_pk_min_f16 v9, v50, v71
	s_and_b32 vcc_lo, exec_lo, s0
	s_delay_alu instid0(VALU_DEP_2) | instskip(SKIP_1) | instid1(VALU_DEP_2)
	v_pk_add_f16 v8, v8, v65
	v_mov_b32_e32 v65, 0
	v_pk_add_f16 v52, v9, v8
	v_add_nc_u32_e32 v8, 32, v22
	s_delay_alu instid0(VALU_DEP_2) | instskip(NEXT) | instid1(VALU_DEP_2)
	v_lshrrev_b32_e32 v61, 16, v52
	v_ashrrev_i32_e32 v9, 31, v8
	s_delay_alu instid0(VALU_DEP_2) | instskip(NEXT) | instid1(VALU_DEP_2)
	v_add_f16_e32 v52, v52, v61
	v_lshlrev_b64 v[8:9], 1, v[8:9]
	v_mov_b32_e32 v61, 0
	s_delay_alu instid0(VALU_DEP_3)
	v_add_f16_e32 v51, v52, v51
	global_store_b16 v[66:67], v51, off
	s_cbranch_vccnz .LBB296_43
; %bb.42:
	v_add_co_u32 v51, vcc_lo, v69, v8
	v_add_co_ci_u32_e32 v52, vcc_lo, v70, v9, vcc_lo
	flat_load_u16 v51, v[51:52]
	s_waitcnt vmcnt(0) lgkmcnt(0)
	v_mul_f16_e32 v61, s20, v51
.LBB296_43:
	v_pk_max_f16 v51, v10, v10
	v_pk_max_f16 v52, v11, v11
	s_delay_alu instid0(VALU_DEP_2) | instskip(NEXT) | instid1(VALU_DEP_2)
	v_pk_min_f16 v10, v51, v72
	v_pk_min_f16 v11, v52, v71
	s_delay_alu instid0(VALU_DEP_2) | instskip(NEXT) | instid1(VALU_DEP_1)
	v_pk_add_f16 v10, v10, v64
	v_pk_add_f16 v64, v11, v10
	v_add_nc_u32_e32 v10, 40, v22
	s_delay_alu instid0(VALU_DEP_2) | instskip(NEXT) | instid1(VALU_DEP_2)
	v_lshrrev_b32_e32 v66, 16, v64
	v_ashrrev_i32_e32 v11, 31, v10
	s_delay_alu instid0(VALU_DEP_2) | instskip(SKIP_1) | instid1(VALU_DEP_3)
	v_add_f16_e32 v64, v64, v66
	v_add_co_u32 v66, vcc_lo, v68, v8
	v_lshlrev_b64 v[10:11], 1, v[10:11]
	v_add_co_ci_u32_e32 v67, vcc_lo, v73, v9, vcc_lo
	s_delay_alu instid0(VALU_DEP_4)
	v_add_f16_e32 v61, v64, v61
	s_and_b32 vcc_lo, exec_lo, s0
	global_store_b16 v[66:67], v61, off
	s_cbranch_vccnz .LBB296_45
; %bb.44:
	v_add_co_u32 v64, vcc_lo, v69, v10
	v_add_co_ci_u32_e32 v65, vcc_lo, v70, v11, vcc_lo
	flat_load_u16 v61, v[64:65]
	s_waitcnt vmcnt(0) lgkmcnt(0)
	v_mul_f16_e32 v65, s20, v61
.LBB296_45:
	v_pk_max_f16 v61, v4, v4
	v_pk_max_f16 v64, v5, v5
	v_add_co_u32 v74, vcc_lo, v68, v10
	v_add_co_ci_u32_e32 v75, vcc_lo, v73, v11, vcc_lo
	s_delay_alu instid0(VALU_DEP_4) | instskip(NEXT) | instid1(VALU_DEP_4)
	v_pk_min_f16 v4, v61, v72
	v_pk_min_f16 v5, v64, v71
	s_and_b32 vcc_lo, exec_lo, s0
	v_mov_b32_e32 v67, 0
	s_delay_alu instid0(VALU_DEP_3) | instskip(NEXT) | instid1(VALU_DEP_1)
	v_pk_add_f16 v4, v4, v63
	v_pk_add_f16 v63, v5, v4
	v_add_nc_u32_e32 v4, 48, v22
	s_delay_alu instid0(VALU_DEP_2) | instskip(NEXT) | instid1(VALU_DEP_2)
	v_lshrrev_b32_e32 v66, 16, v63
	v_ashrrev_i32_e32 v5, 31, v4
	s_delay_alu instid0(VALU_DEP_2) | instskip(NEXT) | instid1(VALU_DEP_2)
	v_add_f16_e32 v63, v63, v66
	v_lshlrev_b64 v[4:5], 1, v[4:5]
	v_mov_b32_e32 v66, 0
	s_delay_alu instid0(VALU_DEP_3)
	v_add_f16_e32 v63, v63, v65
	global_store_b16 v[74:75], v63, off
	s_cbranch_vccnz .LBB296_47
; %bb.46:
	v_add_co_u32 v74, vcc_lo, v69, v4
	v_add_co_ci_u32_e32 v75, vcc_lo, v70, v5, vcc_lo
	flat_load_u16 v63, v[74:75]
	s_waitcnt vmcnt(0) lgkmcnt(0)
	v_mul_f16_e32 v67, s20, v63
.LBB296_47:
	v_pk_max_f16 v63, v6, v6
	v_pk_max_f16 v65, v7, v7
	v_add_co_u32 v74, vcc_lo, v68, v4
	v_add_co_ci_u32_e32 v75, vcc_lo, v73, v5, vcc_lo
	s_delay_alu instid0(VALU_DEP_4) | instskip(NEXT) | instid1(VALU_DEP_4)
	v_pk_min_f16 v6, v63, v72
	v_pk_min_f16 v7, v65, v71
	s_and_b32 vcc_lo, exec_lo, s0
	s_delay_alu instid0(VALU_DEP_2) | instskip(NEXT) | instid1(VALU_DEP_1)
	v_pk_add_f16 v6, v6, v62
	v_pk_add_f16 v62, v7, v6
	v_add_nc_u32_e32 v6, 56, v22
	s_delay_alu instid0(VALU_DEP_2) | instskip(NEXT) | instid1(VALU_DEP_2)
	v_lshrrev_b32_e32 v22, 16, v62
	v_ashrrev_i32_e32 v7, 31, v6
	s_delay_alu instid0(VALU_DEP_2) | instskip(NEXT) | instid1(VALU_DEP_2)
	v_add_f16_e32 v22, v62, v22
	v_lshlrev_b64 v[6:7], 1, v[6:7]
	s_delay_alu instid0(VALU_DEP_2)
	v_add_f16_e32 v22, v22, v67
	global_store_b16 v[74:75], v22, off
	s_cbranch_vccnz .LBB296_49
; %bb.48:
	v_add_co_u32 v66, vcc_lo, v69, v6
	v_add_co_ci_u32_e32 v67, vcc_lo, v70, v7, vcc_lo
	flat_load_u16 v22, v[66:67]
	s_waitcnt vmcnt(0) lgkmcnt(0)
	v_mul_f16_e32 v66, s20, v22
.LBB296_49:
	v_pk_max_f16 v22, v23, v23
	v_pk_max_f16 v23, v24, v24
	v_add_nc_u32_e32 v67, 32, v25
	s_delay_alu instid0(VALU_DEP_3) | instskip(NEXT) | instid1(VALU_DEP_3)
	v_pk_min_f16 v24, v22, v72
	v_pk_min_f16 v62, v23, v71
	v_add_co_u32 v71, vcc_lo, v68, v6
	v_add_co_ci_u32_e32 v72, vcc_lo, v73, v7, vcc_lo
	s_delay_alu instid0(VALU_DEP_4) | instskip(SKIP_1) | instid1(VALU_DEP_2)
	v_pk_add_f16 v24, v24, v60
	v_mov_b32_e32 v68, 0
	v_pk_add_f16 v24, v62, v24
	s_delay_alu instid0(VALU_DEP_1) | instskip(NEXT) | instid1(VALU_DEP_1)
	v_lshrrev_b32_e32 v60, 16, v24
	v_add_f16_e32 v62, v24, v60
	s_delay_alu instid0(VALU_DEP_1) | instskip(SKIP_4) | instid1(VALU_DEP_1)
	v_add_f16_e32 v62, v62, v66
	v_mov_b32_e32 v66, 0
	v_mad_i64_i32 v[69:70], null, v67, s8, 0
	global_store_b16 v[71:72], v62, off
	v_lshlrev_b64 v[69:70], 1, v[69:70]
	v_add_co_u32 v24, vcc_lo, s4, v69
	s_delay_alu instid0(VALU_DEP_2)
	v_add_co_ci_u32_e32 v60, vcc_lo, s5, v70, vcc_lo
	s_and_b32 vcc_lo, exec_lo, s0
	s_cbranch_vccnz .LBB296_51
; %bb.50:
	s_delay_alu instid0(VALU_DEP_2) | instskip(NEXT) | instid1(VALU_DEP_2)
	v_add_co_u32 v68, vcc_lo, v24, v16
	v_add_co_ci_u32_e32 v69, vcc_lo, v60, v17, vcc_lo
	flat_load_u16 v62, v[68:69]
	s_waitcnt vmcnt(0) lgkmcnt(0)
	v_mul_f16_e32 v68, s20, v62
.LBB296_51:
	v_pk_max_f16 v62, v0, v0
	v_pk_max_f16 v0, v1, v1
	v_mad_i64_i32 v[69:70], null, v67, s1, 0
	s_delay_alu instid0(VALU_DEP_3) | instskip(NEXT) | instid1(VALU_DEP_3)
	v_pk_min_f16 v1, v26, v62
	v_pk_min_f16 v71, v27, v0
	s_delay_alu instid0(VALU_DEP_3) | instskip(NEXT) | instid1(VALU_DEP_3)
	v_lshlrev_b64 v[69:70], 1, v[69:70]
	v_pk_add_f16 v1, v1, v59
	s_delay_alu instid0(VALU_DEP_1) | instskip(NEXT) | instid1(VALU_DEP_1)
	v_pk_add_f16 v1, v71, v1
	v_lshrrev_b32_e32 v59, 16, v1
	s_delay_alu instid0(VALU_DEP_1) | instskip(SKIP_2) | instid1(VALU_DEP_3)
	v_add_f16_e32 v67, v1, v59
	v_add_co_u32 v1, vcc_lo, s3, v69
	v_add_co_ci_u32_e32 v59, vcc_lo, s6, v70, vcc_lo
	v_add_f16_e32 v69, v67, v68
	s_delay_alu instid0(VALU_DEP_3) | instskip(NEXT) | instid1(VALU_DEP_3)
	v_add_co_u32 v67, vcc_lo, v1, v16
	v_add_co_ci_u32_e32 v68, vcc_lo, v59, v17, vcc_lo
	s_and_b32 vcc_lo, exec_lo, s0
	global_store_b16 v[67:68], v69, off
	s_cbranch_vccnz .LBB296_53
; %bb.52:
	v_add_co_u32 v66, vcc_lo, v24, v20
	v_add_co_ci_u32_e32 v67, vcc_lo, v60, v21, vcc_lo
	flat_load_u16 v66, v[66:67]
	s_waitcnt vmcnt(0) lgkmcnt(0)
	v_mul_f16_e32 v66, s20, v66
.LBB296_53:
	v_pk_min_f16 v67, v28, v62
	v_pk_min_f16 v68, v29, v0
	s_delay_alu instid0(VALU_DEP_2) | instskip(NEXT) | instid1(VALU_DEP_1)
	v_pk_add_f16 v58, v67, v58
	v_pk_add_f16 v58, v68, v58
	s_delay_alu instid0(VALU_DEP_1) | instskip(NEXT) | instid1(VALU_DEP_1)
	v_lshrrev_b32_e32 v67, 16, v58
	v_add_f16_e32 v58, v58, v67
	v_add_co_u32 v67, vcc_lo, v1, v20
	v_add_co_ci_u32_e32 v68, vcc_lo, v59, v21, vcc_lo
	s_delay_alu instid0(VALU_DEP_3)
	v_add_f16_e32 v69, v58, v66
	v_mov_b32_e32 v58, 0
	v_mov_b32_e32 v66, 0
	s_and_b32 vcc_lo, exec_lo, s0
	global_store_b16 v[67:68], v69, off
	s_cbranch_vccnz .LBB296_55
; %bb.54:
	v_add_co_u32 v66, vcc_lo, v24, v12
	v_add_co_ci_u32_e32 v67, vcc_lo, v60, v13, vcc_lo
	flat_load_u16 v66, v[66:67]
	s_waitcnt vmcnt(0) lgkmcnt(0)
	v_mul_f16_e32 v66, s20, v66
.LBB296_55:
	v_pk_min_f16 v67, v30, v62
	v_pk_min_f16 v68, v31, v0
	s_delay_alu instid0(VALU_DEP_2) | instskip(NEXT) | instid1(VALU_DEP_1)
	v_pk_add_f16 v57, v67, v57
	v_pk_add_f16 v57, v68, v57
	s_delay_alu instid0(VALU_DEP_1) | instskip(NEXT) | instid1(VALU_DEP_1)
	v_lshrrev_b32_e32 v67, 16, v57
	v_add_f16_e32 v57, v57, v67
	s_delay_alu instid0(VALU_DEP_1)
	v_add_f16_e32 v57, v57, v66
	v_add_co_u32 v66, vcc_lo, v1, v12
	v_add_co_ci_u32_e32 v67, vcc_lo, v59, v13, vcc_lo
	s_and_b32 vcc_lo, exec_lo, s0
	global_store_b16 v[66:67], v57, off
	s_cbranch_vccnz .LBB296_57
; %bb.56:
	v_add_co_u32 v57, vcc_lo, v24, v14
	v_add_co_ci_u32_e32 v58, vcc_lo, v60, v15, vcc_lo
	flat_load_u16 v57, v[57:58]
	s_waitcnt vmcnt(0) lgkmcnt(0)
	v_mul_f16_e32 v58, s20, v57
.LBB296_57:
	v_pk_min_f16 v57, v49, v62
	v_pk_min_f16 v66, v50, v0
	s_delay_alu instid0(VALU_DEP_2) | instskip(NEXT) | instid1(VALU_DEP_1)
	v_pk_add_f16 v56, v57, v56
	v_pk_add_f16 v56, v66, v56
	v_add_co_u32 v66, vcc_lo, v1, v14
	v_add_co_ci_u32_e32 v67, vcc_lo, v59, v15, vcc_lo
	s_delay_alu instid0(VALU_DEP_3) | instskip(SKIP_1) | instid1(VALU_DEP_1)
	v_lshrrev_b32_e32 v57, 16, v56
	s_and_b32 vcc_lo, exec_lo, s0
	v_add_f16_e32 v56, v56, v57
	v_mov_b32_e32 v57, 0
	s_delay_alu instid0(VALU_DEP_2)
	v_add_f16_e32 v58, v56, v58
	v_mov_b32_e32 v56, 0
	global_store_b16 v[66:67], v58, off
	s_cbranch_vccnz .LBB296_59
; %bb.58:
	v_add_co_u32 v57, vcc_lo, v24, v8
	v_add_co_ci_u32_e32 v58, vcc_lo, v60, v9, vcc_lo
	flat_load_u16 v57, v[57:58]
	s_waitcnt vmcnt(0) lgkmcnt(0)
	v_mul_f16_e32 v57, s20, v57
.LBB296_59:
	v_pk_min_f16 v58, v51, v62
	v_pk_min_f16 v66, v52, v0
	s_delay_alu instid0(VALU_DEP_2) | instskip(NEXT) | instid1(VALU_DEP_1)
	v_pk_add_f16 v55, v58, v55
	v_pk_add_f16 v55, v66, v55
	s_delay_alu instid0(VALU_DEP_1) | instskip(NEXT) | instid1(VALU_DEP_1)
	v_lshrrev_b32_e32 v58, 16, v55
	v_add_f16_e32 v55, v55, v58
	s_delay_alu instid0(VALU_DEP_1)
	v_add_f16_e32 v55, v55, v57
	v_add_co_u32 v57, vcc_lo, v1, v8
	v_add_co_ci_u32_e32 v58, vcc_lo, v59, v9, vcc_lo
	s_and_b32 vcc_lo, exec_lo, s0
	global_store_b16 v[57:58], v55, off
	s_cbranch_vccnz .LBB296_61
; %bb.60:
	v_add_co_u32 v55, vcc_lo, v24, v10
	v_add_co_ci_u32_e32 v56, vcc_lo, v60, v11, vcc_lo
	flat_load_u16 v55, v[55:56]
	s_waitcnt vmcnt(0) lgkmcnt(0)
	v_mul_f16_e32 v56, s20, v55
.LBB296_61:
	v_pk_min_f16 v55, v61, v62
	v_pk_min_f16 v57, v64, v0
	s_delay_alu instid0(VALU_DEP_2) | instskip(NEXT) | instid1(VALU_DEP_1)
	v_pk_add_f16 v54, v55, v54
	v_pk_add_f16 v54, v57, v54
	v_add_co_u32 v57, vcc_lo, v1, v10
	v_add_co_ci_u32_e32 v58, vcc_lo, v59, v11, vcc_lo
	s_delay_alu instid0(VALU_DEP_3) | instskip(SKIP_1) | instid1(VALU_DEP_1)
	v_lshrrev_b32_e32 v55, 16, v54
	s_and_b32 vcc_lo, exec_lo, s0
	v_add_f16_e32 v54, v54, v55
	v_mov_b32_e32 v55, 0
	s_delay_alu instid0(VALU_DEP_2)
	v_add_f16_e32 v56, v54, v56
	v_mov_b32_e32 v54, 0
	global_store_b16 v[57:58], v56, off
	s_cbranch_vccnz .LBB296_63
; %bb.62:
	v_add_co_u32 v55, vcc_lo, v24, v4
	v_add_co_ci_u32_e32 v56, vcc_lo, v60, v5, vcc_lo
	flat_load_u16 v55, v[55:56]
	s_waitcnt vmcnt(0) lgkmcnt(0)
	v_mul_f16_e32 v55, s20, v55
.LBB296_63:
	v_pk_min_f16 v56, v63, v62
	v_pk_min_f16 v57, v65, v0
	s_delay_alu instid0(VALU_DEP_2) | instskip(NEXT) | instid1(VALU_DEP_1)
	v_pk_add_f16 v53, v56, v53
	v_pk_add_f16 v53, v57, v53
	s_delay_alu instid0(VALU_DEP_1) | instskip(NEXT) | instid1(VALU_DEP_1)
	v_lshrrev_b32_e32 v56, 16, v53
	v_add_f16_e32 v53, v53, v56
	s_delay_alu instid0(VALU_DEP_1)
	v_add_f16_e32 v53, v53, v55
	v_add_co_u32 v55, vcc_lo, v1, v4
	v_add_co_ci_u32_e32 v56, vcc_lo, v59, v5, vcc_lo
	s_and_b32 vcc_lo, exec_lo, s0
	global_store_b16 v[55:56], v53, off
	s_cbranch_vccnz .LBB296_65
; %bb.64:
	v_add_co_u32 v53, vcc_lo, v24, v6
	v_add_co_ci_u32_e32 v54, vcc_lo, v60, v7, vcc_lo
	flat_load_u16 v24, v[53:54]
	s_waitcnt vmcnt(0) lgkmcnt(0)
	v_mul_f16_e32 v54, s20, v24
.LBB296_65:
	v_pk_min_f16 v24, v22, v62
	v_pk_min_f16 v0, v23, v0
	v_add_nc_u32_e32 v55, 64, v25
	v_add_co_u32 v58, vcc_lo, v1, v6
	s_delay_alu instid0(VALU_DEP_4) | instskip(SKIP_2) | instid1(VALU_DEP_3)
	v_pk_add_f16 v24, v24, v48
	v_add_co_ci_u32_e32 v59, vcc_lo, v59, v7, vcc_lo
	v_mov_b32_e32 v53, 0
	v_pk_add_f16 v0, v0, v24
	s_delay_alu instid0(VALU_DEP_1) | instskip(NEXT) | instid1(VALU_DEP_1)
	v_lshrrev_b32_e32 v24, 16, v0
	v_add_f16_e32 v0, v0, v24
	s_delay_alu instid0(VALU_DEP_1) | instskip(SKIP_4) | instid1(VALU_DEP_1)
	v_add_f16_e32 v0, v0, v54
	v_mov_b32_e32 v54, 0
	v_mad_i64_i32 v[56:57], null, v55, s8, 0
	global_store_b16 v[58:59], v0, off
	v_lshlrev_b64 v[56:57], 1, v[56:57]
	v_add_co_u32 v1, vcc_lo, s4, v56
	s_delay_alu instid0(VALU_DEP_2)
	v_add_co_ci_u32_e32 v24, vcc_lo, s5, v57, vcc_lo
	s_and_b32 vcc_lo, exec_lo, s0
	s_cbranch_vccnz .LBB296_67
; %bb.66:
	s_delay_alu instid0(VALU_DEP_2) | instskip(NEXT) | instid1(VALU_DEP_2)
	v_add_co_u32 v56, vcc_lo, v1, v16
	v_add_co_ci_u32_e32 v57, vcc_lo, v24, v17, vcc_lo
	flat_load_u16 v0, v[56:57]
	s_waitcnt vmcnt(0) lgkmcnt(0)
	v_mul_f16_e32 v54, s20, v0
.LBB296_67:
	v_pk_max_f16 v48, v2, v2
	v_pk_max_f16 v0, v3, v3
	s_delay_alu instid0(VALU_DEP_2) | instskip(NEXT) | instid1(VALU_DEP_2)
	v_pk_min_f16 v2, v26, v48
	v_pk_min_f16 v56, v27, v0
	s_delay_alu instid0(VALU_DEP_2) | instskip(SKIP_1) | instid1(VALU_DEP_2)
	v_pk_add_f16 v47, v2, v47
	v_mad_i64_i32 v[2:3], null, v55, s1, 0
	v_pk_add_f16 v47, v56, v47
	s_delay_alu instid0(VALU_DEP_2) | instskip(NEXT) | instid1(VALU_DEP_2)
	v_lshlrev_b64 v[2:3], 1, v[2:3]
	v_lshrrev_b32_e32 v55, 16, v47
	s_delay_alu instid0(VALU_DEP_2) | instskip(NEXT) | instid1(VALU_DEP_2)
	v_add_co_u32 v2, vcc_lo, s3, v2
	v_add_f16_e32 v47, v47, v55
	s_delay_alu instid0(VALU_DEP_4) | instskip(NEXT) | instid1(VALU_DEP_2)
	v_add_co_ci_u32_e32 v3, vcc_lo, s6, v3, vcc_lo
	v_add_f16_e32 v47, v47, v54
	s_delay_alu instid0(VALU_DEP_4) | instskip(NEXT) | instid1(VALU_DEP_3)
	v_add_co_u32 v54, vcc_lo, v2, v16
	v_add_co_ci_u32_e32 v55, vcc_lo, v3, v17, vcc_lo
	s_and_b32 vcc_lo, exec_lo, s0
	global_store_b16 v[54:55], v47, off
	s_cbranch_vccnz .LBB296_69
; %bb.68:
	v_add_co_u32 v53, vcc_lo, v1, v20
	v_add_co_ci_u32_e32 v54, vcc_lo, v24, v21, vcc_lo
	flat_load_u16 v47, v[53:54]
	s_waitcnt vmcnt(0) lgkmcnt(0)
	v_mul_f16_e32 v53, s20, v47
.LBB296_69:
	v_pk_min_f16 v47, v28, v48
	v_pk_min_f16 v54, v29, v0
	s_delay_alu instid0(VALU_DEP_2) | instskip(NEXT) | instid1(VALU_DEP_1)
	v_pk_add_f16 v46, v47, v46
	v_pk_add_f16 v46, v54, v46
	v_add_co_u32 v54, vcc_lo, v2, v20
	v_add_co_ci_u32_e32 v55, vcc_lo, v3, v21, vcc_lo
	s_delay_alu instid0(VALU_DEP_3) | instskip(SKIP_1) | instid1(VALU_DEP_1)
	v_lshrrev_b32_e32 v47, 16, v46
	s_and_b32 vcc_lo, exec_lo, s0
	v_add_f16_e32 v46, v46, v47
	v_mov_b32_e32 v47, 0
	s_delay_alu instid0(VALU_DEP_2)
	v_add_f16_e32 v53, v46, v53
	v_mov_b32_e32 v46, 0
	global_store_b16 v[54:55], v53, off
	s_cbranch_vccnz .LBB296_71
; %bb.70:
	v_add_co_u32 v53, vcc_lo, v1, v12
	v_add_co_ci_u32_e32 v54, vcc_lo, v24, v13, vcc_lo
	flat_load_u16 v47, v[53:54]
	s_waitcnt vmcnt(0) lgkmcnt(0)
	v_mul_f16_e32 v47, s20, v47
.LBB296_71:
	v_pk_min_f16 v53, v30, v48
	v_pk_min_f16 v54, v31, v0
	s_delay_alu instid0(VALU_DEP_2) | instskip(NEXT) | instid1(VALU_DEP_1)
	v_pk_add_f16 v45, v53, v45
	v_pk_add_f16 v45, v54, v45
	s_delay_alu instid0(VALU_DEP_1) | instskip(NEXT) | instid1(VALU_DEP_1)
	v_lshrrev_b32_e32 v53, 16, v45
	v_add_f16_e32 v45, v45, v53
	v_add_co_u32 v53, vcc_lo, v2, v12
	v_add_co_ci_u32_e32 v54, vcc_lo, v3, v13, vcc_lo
	s_delay_alu instid0(VALU_DEP_3)
	v_add_f16_e32 v45, v45, v47
	s_and_b32 vcc_lo, exec_lo, s0
	global_store_b16 v[53:54], v45, off
	s_cbranch_vccnz .LBB296_73
; %bb.72:
	v_add_co_u32 v45, vcc_lo, v1, v14
	v_add_co_ci_u32_e32 v46, vcc_lo, v24, v15, vcc_lo
	flat_load_u16 v45, v[45:46]
	s_waitcnt vmcnt(0) lgkmcnt(0)
	v_mul_f16_e32 v46, s20, v45
.LBB296_73:
	v_pk_min_f16 v45, v49, v48
	v_pk_min_f16 v47, v50, v0
	v_add_co_u32 v53, vcc_lo, v2, v14
	v_add_co_ci_u32_e32 v54, vcc_lo, v3, v15, vcc_lo
	s_delay_alu instid0(VALU_DEP_4) | instskip(SKIP_1) | instid1(VALU_DEP_1)
	v_pk_add_f16 v44, v45, v44
	s_and_b32 vcc_lo, exec_lo, s0
	v_pk_add_f16 v44, v47, v44
	s_delay_alu instid0(VALU_DEP_1) | instskip(NEXT) | instid1(VALU_DEP_1)
	v_lshrrev_b32_e32 v45, 16, v44
	v_add_f16_e32 v44, v44, v45
	v_mov_b32_e32 v45, 0
	s_delay_alu instid0(VALU_DEP_2)
	v_add_f16_e32 v46, v44, v46
	v_mov_b32_e32 v44, 0
	global_store_b16 v[53:54], v46, off
	s_cbranch_vccnz .LBB296_75
; %bb.74:
	v_add_co_u32 v45, vcc_lo, v1, v8
	v_add_co_ci_u32_e32 v46, vcc_lo, v24, v9, vcc_lo
	flat_load_u16 v45, v[45:46]
	s_waitcnt vmcnt(0) lgkmcnt(0)
	v_mul_f16_e32 v45, s20, v45
.LBB296_75:
	v_pk_min_f16 v46, v51, v48
	v_pk_min_f16 v47, v52, v0
	s_delay_alu instid0(VALU_DEP_2) | instskip(NEXT) | instid1(VALU_DEP_1)
	v_pk_add_f16 v43, v46, v43
	v_pk_add_f16 v43, v47, v43
	s_delay_alu instid0(VALU_DEP_1) | instskip(NEXT) | instid1(VALU_DEP_1)
	v_lshrrev_b32_e32 v46, 16, v43
	v_add_f16_e32 v43, v43, v46
	s_delay_alu instid0(VALU_DEP_1)
	v_add_f16_e32 v43, v43, v45
	v_add_co_u32 v45, vcc_lo, v2, v8
	v_add_co_ci_u32_e32 v46, vcc_lo, v3, v9, vcc_lo
	s_and_b32 vcc_lo, exec_lo, s0
	global_store_b16 v[45:46], v43, off
	s_cbranch_vccnz .LBB296_77
; %bb.76:
	v_add_co_u32 v43, vcc_lo, v1, v10
	v_add_co_ci_u32_e32 v44, vcc_lo, v24, v11, vcc_lo
	flat_load_u16 v43, v[43:44]
	s_waitcnt vmcnt(0) lgkmcnt(0)
	v_mul_f16_e32 v44, s20, v43
.LBB296_77:
	v_pk_min_f16 v43, v61, v48
	v_pk_min_f16 v45, v64, v0
	s_delay_alu instid0(VALU_DEP_2) | instskip(NEXT) | instid1(VALU_DEP_1)
	v_pk_add_f16 v42, v43, v42
	v_pk_add_f16 v42, v45, v42
	v_add_co_u32 v45, vcc_lo, v2, v10
	v_add_co_ci_u32_e32 v46, vcc_lo, v3, v11, vcc_lo
	s_delay_alu instid0(VALU_DEP_3) | instskip(SKIP_1) | instid1(VALU_DEP_1)
	v_lshrrev_b32_e32 v43, 16, v42
	s_and_b32 vcc_lo, exec_lo, s0
	v_add_f16_e32 v42, v42, v43
	v_mov_b32_e32 v43, 0
	s_delay_alu instid0(VALU_DEP_2)
	v_add_f16_e32 v44, v42, v44
	v_mov_b32_e32 v42, 0
	global_store_b16 v[45:46], v44, off
	s_cbranch_vccnz .LBB296_79
; %bb.78:
	v_add_co_u32 v43, vcc_lo, v1, v4
	v_add_co_ci_u32_e32 v44, vcc_lo, v24, v5, vcc_lo
	flat_load_u16 v43, v[43:44]
	s_waitcnt vmcnt(0) lgkmcnt(0)
	v_mul_f16_e32 v43, s20, v43
.LBB296_79:
	v_pk_min_f16 v44, v63, v48
	v_pk_min_f16 v45, v65, v0
	s_delay_alu instid0(VALU_DEP_2) | instskip(NEXT) | instid1(VALU_DEP_1)
	v_pk_add_f16 v41, v44, v41
	v_pk_add_f16 v41, v45, v41
	s_delay_alu instid0(VALU_DEP_1) | instskip(NEXT) | instid1(VALU_DEP_1)
	v_lshrrev_b32_e32 v44, 16, v41
	v_add_f16_e32 v41, v41, v44
	s_delay_alu instid0(VALU_DEP_1)
	v_add_f16_e32 v41, v41, v43
	v_add_co_u32 v43, vcc_lo, v2, v4
	v_add_co_ci_u32_e32 v44, vcc_lo, v3, v5, vcc_lo
	s_and_b32 vcc_lo, exec_lo, s0
	global_store_b16 v[43:44], v41, off
	s_cbranch_vccnz .LBB296_81
; %bb.80:
	v_add_co_u32 v41, vcc_lo, v1, v6
	v_add_co_ci_u32_e32 v42, vcc_lo, v24, v7, vcc_lo
	flat_load_u16 v1, v[41:42]
	s_waitcnt vmcnt(0) lgkmcnt(0)
	v_mul_f16_e32 v42, s20, v1
.LBB296_81:
	v_pk_min_f16 v1, v22, v48
	v_pk_min_f16 v24, v23, v0
	v_add_nc_u32_e32 v25, 0x60, v25
	v_add_co_u32 v2, vcc_lo, v2, v6
	s_delay_alu instid0(VALU_DEP_4) | instskip(SKIP_1) | instid1(VALU_DEP_2)
	v_pk_add_f16 v40, v1, v40
	v_add_co_ci_u32_e32 v3, vcc_lo, v3, v7, vcc_lo
	v_pk_add_f16 v24, v24, v40
	s_delay_alu instid0(VALU_DEP_1) | instskip(NEXT) | instid1(VALU_DEP_1)
	v_lshrrev_b32_e32 v40, 16, v24
	v_add_f16_e32 v24, v24, v40
	v_mov_b32_e32 v40, 0
	s_delay_alu instid0(VALU_DEP_2) | instskip(SKIP_4) | instid1(VALU_DEP_1)
	v_add_f16_e32 v41, v24, v42
	v_mov_b32_e32 v24, 0
	v_mad_i64_i32 v[0:1], null, v25, s8, 0
	global_store_b16 v[2:3], v41, off
	v_lshlrev_b64 v[0:1], 1, v[0:1]
	v_add_co_u32 v0, vcc_lo, s4, v0
	s_delay_alu instid0(VALU_DEP_2)
	v_add_co_ci_u32_e32 v1, vcc_lo, s5, v1, vcc_lo
	s_and_b32 vcc_lo, exec_lo, s0
	s_cbranch_vccnz .LBB296_83
; %bb.82:
	s_delay_alu instid0(VALU_DEP_2) | instskip(NEXT) | instid1(VALU_DEP_2)
	v_add_co_u32 v2, vcc_lo, v0, v16
	v_add_co_ci_u32_e32 v3, vcc_lo, v1, v17, vcc_lo
	flat_load_u16 v2, v[2:3]
	s_waitcnt vmcnt(0) lgkmcnt(0)
	v_mul_f16_e32 v40, s20, v2
.LBB296_83:
	v_pk_max_f16 v2, v18, v18
	v_pk_max_f16 v3, v19, v19
	s_delay_alu instid0(VALU_DEP_2) | instskip(NEXT) | instid1(VALU_DEP_2)
	v_pk_min_f16 v18, v26, v2
	v_pk_min_f16 v26, v27, v3
	s_delay_alu instid0(VALU_DEP_2) | instskip(SKIP_1) | instid1(VALU_DEP_2)
	v_pk_add_f16 v27, v18, v39
	v_mad_i64_i32 v[18:19], null, v25, s1, 0
	v_pk_add_f16 v25, v26, v27
	s_delay_alu instid0(VALU_DEP_2) | instskip(NEXT) | instid1(VALU_DEP_2)
	v_lshlrev_b64 v[18:19], 1, v[18:19]
	v_lshrrev_b32_e32 v26, 16, v25
	s_delay_alu instid0(VALU_DEP_2) | instskip(NEXT) | instid1(VALU_DEP_2)
	v_add_co_u32 v18, vcc_lo, s3, v18
	v_add_f16_e32 v25, v25, v26
	s_delay_alu instid0(VALU_DEP_4) | instskip(NEXT) | instid1(VALU_DEP_3)
	v_add_co_ci_u32_e32 v19, vcc_lo, s6, v19, vcc_lo
	v_add_co_u32 v16, vcc_lo, v18, v16
	s_delay_alu instid0(VALU_DEP_3) | instskip(NEXT) | instid1(VALU_DEP_3)
	v_add_f16_e32 v25, v25, v40
	v_add_co_ci_u32_e32 v17, vcc_lo, v19, v17, vcc_lo
	s_and_b32 vcc_lo, exec_lo, s0
	global_store_b16 v[16:17], v25, off
	s_cbranch_vccnz .LBB296_85
; %bb.84:
	v_add_co_u32 v16, vcc_lo, v0, v20
	v_add_co_ci_u32_e32 v17, vcc_lo, v1, v21, vcc_lo
	flat_load_u16 v16, v[16:17]
	s_waitcnt vmcnt(0) lgkmcnt(0)
	v_mul_f16_e32 v24, s20, v16
.LBB296_85:
	v_pk_min_f16 v16, v28, v2
	v_pk_min_f16 v17, v29, v3
	v_add_co_u32 v20, vcc_lo, v18, v20
	v_add_co_ci_u32_e32 v21, vcc_lo, v19, v21, vcc_lo
	s_delay_alu instid0(VALU_DEP_4) | instskip(SKIP_1) | instid1(VALU_DEP_1)
	v_pk_add_f16 v16, v16, v38
	s_and_b32 vcc_lo, exec_lo, s0
	v_pk_add_f16 v16, v17, v16
	s_delay_alu instid0(VALU_DEP_1) | instskip(NEXT) | instid1(VALU_DEP_1)
	v_lshrrev_b32_e32 v17, 16, v16
	v_add_f16_e32 v16, v16, v17
	v_mov_b32_e32 v17, 0
	s_delay_alu instid0(VALU_DEP_2)
	v_add_f16_e32 v24, v16, v24
	v_mov_b32_e32 v16, 0
	global_store_b16 v[20:21], v24, off
	s_cbranch_vccnz .LBB296_87
; %bb.86:
	v_add_co_u32 v20, vcc_lo, v0, v12
	v_add_co_ci_u32_e32 v21, vcc_lo, v1, v13, vcc_lo
	flat_load_u16 v17, v[20:21]
	s_waitcnt vmcnt(0) lgkmcnt(0)
	v_mul_f16_e32 v17, s20, v17
.LBB296_87:
	v_pk_min_f16 v20, v30, v2
	v_pk_min_f16 v21, v31, v3
	v_add_co_u32 v12, vcc_lo, v18, v12
	v_add_co_ci_u32_e32 v13, vcc_lo, v19, v13, vcc_lo
	s_delay_alu instid0(VALU_DEP_4) | instskip(SKIP_1) | instid1(VALU_DEP_1)
	v_pk_add_f16 v20, v20, v37
	s_and_b32 vcc_lo, exec_lo, s0
	v_pk_add_f16 v20, v21, v20
	s_delay_alu instid0(VALU_DEP_1) | instskip(NEXT) | instid1(VALU_DEP_1)
	v_lshrrev_b32_e32 v21, 16, v20
	v_add_f16_e32 v20, v20, v21
	s_delay_alu instid0(VALU_DEP_1)
	v_add_f16_e32 v17, v20, v17
	global_store_b16 v[12:13], v17, off
	s_cbranch_vccnz .LBB296_89
; %bb.88:
	v_add_co_u32 v12, vcc_lo, v0, v14
	v_add_co_ci_u32_e32 v13, vcc_lo, v1, v15, vcc_lo
	flat_load_u16 v12, v[12:13]
	s_waitcnt vmcnt(0) lgkmcnt(0)
	v_mul_f16_e32 v16, s20, v12
.LBB296_89:
	v_pk_min_f16 v12, v49, v2
	v_pk_min_f16 v13, v50, v3
	v_add_co_u32 v14, vcc_lo, v18, v14
	v_add_co_ci_u32_e32 v15, vcc_lo, v19, v15, vcc_lo
	s_delay_alu instid0(VALU_DEP_4) | instskip(SKIP_1) | instid1(VALU_DEP_1)
	v_pk_add_f16 v12, v12, v36
	s_and_b32 vcc_lo, exec_lo, s0
	v_pk_add_f16 v12, v13, v12
	s_delay_alu instid0(VALU_DEP_1) | instskip(NEXT) | instid1(VALU_DEP_1)
	v_lshrrev_b32_e32 v13, 16, v12
	v_add_f16_e32 v12, v12, v13
	v_mov_b32_e32 v13, 0
	s_delay_alu instid0(VALU_DEP_2)
	v_add_f16_e32 v16, v12, v16
	v_mov_b32_e32 v12, 0
	global_store_b16 v[14:15], v16, off
	s_cbranch_vccnz .LBB296_91
; %bb.90:
	v_add_co_u32 v13, vcc_lo, v0, v8
	v_add_co_ci_u32_e32 v14, vcc_lo, v1, v9, vcc_lo
	flat_load_u16 v13, v[13:14]
	s_waitcnt vmcnt(0) lgkmcnt(0)
	v_mul_f16_e32 v13, s20, v13
.LBB296_91:
	v_pk_min_f16 v14, v51, v2
	v_pk_min_f16 v15, v52, v3
	v_add_co_u32 v8, vcc_lo, v18, v8
	v_add_co_ci_u32_e32 v9, vcc_lo, v19, v9, vcc_lo
	s_delay_alu instid0(VALU_DEP_4) | instskip(SKIP_1) | instid1(VALU_DEP_1)
	v_pk_add_f16 v14, v14, v34
	s_and_b32 vcc_lo, exec_lo, s0
	v_pk_add_f16 v14, v15, v14
	s_delay_alu instid0(VALU_DEP_1) | instskip(NEXT) | instid1(VALU_DEP_1)
	v_lshrrev_b32_e32 v15, 16, v14
	v_add_f16_e32 v14, v14, v15
	s_delay_alu instid0(VALU_DEP_1)
	v_add_f16_e32 v13, v14, v13
	global_store_b16 v[8:9], v13, off
	s_cbranch_vccnz .LBB296_93
; %bb.92:
	v_add_co_u32 v8, vcc_lo, v0, v10
	v_add_co_ci_u32_e32 v9, vcc_lo, v1, v11, vcc_lo
	flat_load_u16 v8, v[8:9]
	s_waitcnt vmcnt(0) lgkmcnt(0)
	v_mul_f16_e32 v12, s20, v8
.LBB296_93:
	v_pk_min_f16 v8, v61, v2
	v_pk_min_f16 v9, v64, v3
	;; [unrolled: 1-line block ×3, first 2 shown]
	s_delay_alu instid0(VALU_DEP_3) | instskip(NEXT) | instid1(VALU_DEP_2)
	v_pk_add_f16 v8, v8, v33
	v_pk_add_f16 v13, v13, v35
	s_delay_alu instid0(VALU_DEP_2) | instskip(SKIP_1) | instid1(VALU_DEP_2)
	v_pk_add_f16 v8, v9, v8
	v_pk_min_f16 v9, v65, v3
	v_lshrrev_b32_e32 v14, 16, v8
	s_delay_alu instid0(VALU_DEP_2) | instskip(SKIP_2) | instid1(VALU_DEP_4)
	v_pk_add_f16 v13, v9, v13
	v_add_co_u32 v9, vcc_lo, v18, v10
	v_add_co_ci_u32_e32 v10, vcc_lo, v19, v11, vcc_lo
	v_add_f16_e32 v8, v8, v14
	s_delay_alu instid0(VALU_DEP_4) | instskip(SKIP_1) | instid1(VALU_DEP_2)
	v_lshrrev_b32_e32 v11, 16, v13
	s_mov_b32 vcc_lo, s2
	v_add_f16_e32 v12, v8, v12
	s_delay_alu instid0(VALU_DEP_2)
	v_add_f16_e32 v8, v13, v11
	global_store_b16 v[9:10], v12, off
	s_cbranch_vccz .LBB296_96
; %bb.94:
	v_add_co_u32 v9, vcc_lo, v18, v4
	v_add_f16_e32 v11, 0, v8
	v_add_co_ci_u32_e32 v10, vcc_lo, v19, v5, vcc_lo
	s_mov_b32 s0, 0
	global_store_b16 v[9:10], v11, off
	s_cbranch_execz .LBB296_97
; %bb.95:
	v_mov_b32_e32 v0, s0
	s_branch .LBB296_98
.LBB296_96:
	s_mov_b32 s0, -1
.LBB296_97:
	v_add_co_u32 v9, vcc_lo, v0, v4
	v_add_co_ci_u32_e32 v10, vcc_lo, v1, v5, vcc_lo
	v_add_co_u32 v4, vcc_lo, v18, v4
	v_add_co_ci_u32_e32 v5, vcc_lo, v19, v5, vcc_lo
	flat_load_u16 v9, v[9:10]
	v_add_co_u32 v0, vcc_lo, v0, v6
	v_add_co_ci_u32_e32 v1, vcc_lo, v1, v7, vcc_lo
	s_waitcnt vmcnt(0) lgkmcnt(0)
	v_fmac_f16_e32 v8, s20, v9
	global_store_b16 v[4:5], v8, off
	flat_load_u16 v0, v[0:1]
	s_waitcnt vmcnt(0) lgkmcnt(0)
	v_mul_f16_e32 v0, s20, v0
.LBB296_98:
	v_pk_min_f16 v1, v22, v2
	v_pk_min_f16 v2, v23, v3
	s_delay_alu instid0(VALU_DEP_2) | instskip(NEXT) | instid1(VALU_DEP_1)
	v_pk_add_f16 v1, v1, v32
	v_pk_add_f16 v1, v2, v1
	s_delay_alu instid0(VALU_DEP_1) | instskip(NEXT) | instid1(VALU_DEP_1)
	v_lshrrev_b32_e32 v2, 16, v1
	v_add_f16_e32 v1, v1, v2
	s_delay_alu instid0(VALU_DEP_1)
	v_add_f16_e32 v2, v1, v0
	v_add_co_u32 v0, vcc_lo, v18, v6
	v_add_co_ci_u32_e32 v1, vcc_lo, v19, v7, vcc_lo
	global_store_b16 v[0:1], v2, off
	s_nop 0
	s_sendmsg sendmsg(MSG_DEALLOC_VGPRS)
	s_endpgm
	.section	.rodata,"a",@progbits
	.p2align	6, 0x0
	.amdhsa_kernel _ZN12_GLOBAL__N_120geam_min_plus_kernelIDF16_Dv2_DF16_S1_Li8ELi32ELi64ELi128ELi4ELi64ELi4ELi64ELi4ELc78ELc84ELb0ELb0ELb0EDF16_KDF16_DF16_EEviiiT16_PT17_ilS5_ilS3_S5_ilPT18_ili26rocblas_geam_ex_operation_
		.amdhsa_group_segment_fixed_size 3072
		.amdhsa_private_segment_fixed_size 0
		.amdhsa_kernarg_size 128
		.amdhsa_user_sgpr_count 14
		.amdhsa_user_sgpr_dispatch_ptr 0
		.amdhsa_user_sgpr_queue_ptr 0
		.amdhsa_user_sgpr_kernarg_segment_ptr 1
		.amdhsa_user_sgpr_dispatch_id 0
		.amdhsa_user_sgpr_private_segment_size 0
		.amdhsa_wavefront_size32 1
		.amdhsa_uses_dynamic_stack 0
		.amdhsa_enable_private_segment 0
		.amdhsa_system_sgpr_workgroup_id_x 1
		.amdhsa_system_sgpr_workgroup_id_y 0
		.amdhsa_system_sgpr_workgroup_id_z 1
		.amdhsa_system_sgpr_workgroup_info 0
		.amdhsa_system_vgpr_workitem_id 1
		.amdhsa_next_free_vgpr 124
		.amdhsa_next_free_sgpr 25
		.amdhsa_reserve_vcc 1
		.amdhsa_float_round_mode_32 0
		.amdhsa_float_round_mode_16_64 0
		.amdhsa_float_denorm_mode_32 3
		.amdhsa_float_denorm_mode_16_64 3
		.amdhsa_dx10_clamp 1
		.amdhsa_ieee_mode 1
		.amdhsa_fp16_overflow 0
		.amdhsa_workgroup_processor_mode 1
		.amdhsa_memory_ordered 1
		.amdhsa_forward_progress 0
		.amdhsa_shared_vgpr_count 0
		.amdhsa_exception_fp_ieee_invalid_op 0
		.amdhsa_exception_fp_denorm_src 0
		.amdhsa_exception_fp_ieee_div_zero 0
		.amdhsa_exception_fp_ieee_overflow 0
		.amdhsa_exception_fp_ieee_underflow 0
		.amdhsa_exception_fp_ieee_inexact 0
		.amdhsa_exception_int_div_zero 0
	.end_amdhsa_kernel
	.section	.text._ZN12_GLOBAL__N_120geam_min_plus_kernelIDF16_Dv2_DF16_S1_Li8ELi32ELi64ELi128ELi4ELi64ELi4ELi64ELi4ELc78ELc84ELb0ELb0ELb0EDF16_KDF16_DF16_EEviiiT16_PT17_ilS5_ilS3_S5_ilPT18_ili26rocblas_geam_ex_operation_,"axG",@progbits,_ZN12_GLOBAL__N_120geam_min_plus_kernelIDF16_Dv2_DF16_S1_Li8ELi32ELi64ELi128ELi4ELi64ELi4ELi64ELi4ELc78ELc84ELb0ELb0ELb0EDF16_KDF16_DF16_EEviiiT16_PT17_ilS5_ilS3_S5_ilPT18_ili26rocblas_geam_ex_operation_,comdat
.Lfunc_end296:
	.size	_ZN12_GLOBAL__N_120geam_min_plus_kernelIDF16_Dv2_DF16_S1_Li8ELi32ELi64ELi128ELi4ELi64ELi4ELi64ELi4ELc78ELc84ELb0ELb0ELb0EDF16_KDF16_DF16_EEviiiT16_PT17_ilS5_ilS3_S5_ilPT18_ili26rocblas_geam_ex_operation_, .Lfunc_end296-_ZN12_GLOBAL__N_120geam_min_plus_kernelIDF16_Dv2_DF16_S1_Li8ELi32ELi64ELi128ELi4ELi64ELi4ELi64ELi4ELc78ELc84ELb0ELb0ELb0EDF16_KDF16_DF16_EEviiiT16_PT17_ilS5_ilS3_S5_ilPT18_ili26rocblas_geam_ex_operation_
                                        ; -- End function
	.section	.AMDGPU.csdata,"",@progbits
; Kernel info:
; codeLenInByte = 10104
; NumSgprs: 27
; NumVgprs: 124
; ScratchSize: 0
; MemoryBound: 0
; FloatMode: 240
; IeeeMode: 1
; LDSByteSize: 3072 bytes/workgroup (compile time only)
; SGPRBlocks: 3
; VGPRBlocks: 15
; NumSGPRsForWavesPerEU: 27
; NumVGPRsForWavesPerEU: 124
; Occupancy: 10
; WaveLimiterHint : 1
; COMPUTE_PGM_RSRC2:SCRATCH_EN: 0
; COMPUTE_PGM_RSRC2:USER_SGPR: 14
; COMPUTE_PGM_RSRC2:TRAP_HANDLER: 0
; COMPUTE_PGM_RSRC2:TGID_X_EN: 1
; COMPUTE_PGM_RSRC2:TGID_Y_EN: 0
; COMPUTE_PGM_RSRC2:TGID_Z_EN: 1
; COMPUTE_PGM_RSRC2:TIDIG_COMP_CNT: 1
	.section	.text._ZN12_GLOBAL__N_120geam_min_plus_kernelIDF16_Dv2_DF16_S1_Li8ELi32ELi64ELi128ELi4ELi64ELi4ELi64ELi4ELc78ELc84ELb0ELb1ELb0EPKDF16_S2_DF16_EEviiiT16_PT17_ilS6_ilS4_S6_ilPT18_ili26rocblas_geam_ex_operation_,"axG",@progbits,_ZN12_GLOBAL__N_120geam_min_plus_kernelIDF16_Dv2_DF16_S1_Li8ELi32ELi64ELi128ELi4ELi64ELi4ELi64ELi4ELc78ELc84ELb0ELb1ELb0EPKDF16_S2_DF16_EEviiiT16_PT17_ilS6_ilS4_S6_ilPT18_ili26rocblas_geam_ex_operation_,comdat
	.globl	_ZN12_GLOBAL__N_120geam_min_plus_kernelIDF16_Dv2_DF16_S1_Li8ELi32ELi64ELi128ELi4ELi64ELi4ELi64ELi4ELc78ELc84ELb0ELb1ELb0EPKDF16_S2_DF16_EEviiiT16_PT17_ilS6_ilS4_S6_ilPT18_ili26rocblas_geam_ex_operation_ ; -- Begin function _ZN12_GLOBAL__N_120geam_min_plus_kernelIDF16_Dv2_DF16_S1_Li8ELi32ELi64ELi128ELi4ELi64ELi4ELi64ELi4ELc78ELc84ELb0ELb1ELb0EPKDF16_S2_DF16_EEviiiT16_PT17_ilS6_ilS4_S6_ilPT18_ili26rocblas_geam_ex_operation_
	.p2align	8
	.type	_ZN12_GLOBAL__N_120geam_min_plus_kernelIDF16_Dv2_DF16_S1_Li8ELi32ELi64ELi128ELi4ELi64ELi4ELi64ELi4ELc78ELc84ELb0ELb1ELb0EPKDF16_S2_DF16_EEviiiT16_PT17_ilS6_ilS4_S6_ilPT18_ili26rocblas_geam_ex_operation_,@function
_ZN12_GLOBAL__N_120geam_min_plus_kernelIDF16_Dv2_DF16_S1_Li8ELi32ELi64ELi128ELi4ELi64ELi4ELi64ELi4ELc78ELc84ELb0ELb1ELb0EPKDF16_S2_DF16_EEviiiT16_PT17_ilS6_ilS4_S6_ilPT18_ili26rocblas_geam_ex_operation_: ; @_ZN12_GLOBAL__N_120geam_min_plus_kernelIDF16_Dv2_DF16_S1_Li8ELi32ELi64ELi128ELi4ELi64ELi4ELi64ELi4ELc78ELc84ELb0ELb1ELb0EPKDF16_S2_DF16_EEviiiT16_PT17_ilS6_ilS4_S6_ilPT18_ili26rocblas_geam_ex_operation_
; %bb.0:
	s_clause 0x1
	s_load_b128 s[16:19], s[0:1], 0x10
	s_load_b128 s[4:7], s[0:1], 0x40
	s_mov_b32 s20, s15
	s_mov_b32 s21, 0
	v_mov_b32_e32 v1, 0
	s_lshl_b64 s[2:3], s[20:21], 1
	s_load_b128 s[8:11], s[0:1], 0x28
	s_mov_b64 s[22:23], 0
	s_mov_b64 s[24:25], 0
	s_waitcnt lgkmcnt(0)
	s_add_u32 s12, s16, s2
	s_addc_u32 s13, s17, s3
	s_add_u32 s2, s6, s2
	global_load_u16 v32, v1, s[12:13]
	s_addc_u32 s3, s7, s3
	global_load_u16 v42, v1, s[2:3]
	s_load_b64 s[12:13], s[0:1], 0x50
	s_waitcnt vmcnt(1)
	v_cmp_eq_f16_e32 vcc_lo, 0, v32
	v_cmp_neq_f16_e64 s3, 0, v32
	s_cbranch_vccnz .LBB297_2
; %bb.1:
	s_mul_i32 s2, s20, s9
	s_mul_hi_u32 s6, s20, s8
	s_delay_alu instid0(SALU_CYCLE_1) | instskip(SKIP_1) | instid1(SALU_CYCLE_1)
	s_add_i32 s7, s6, s2
	s_mul_i32 s6, s20, s8
	s_lshl_b64 s[6:7], s[6:7], 1
	s_delay_alu instid0(SALU_CYCLE_1)
	s_add_u32 s24, s18, s6
	s_addc_u32 s25, s19, s7
.LBB297_2:
	s_delay_alu instid0(VALU_DEP_1)
	s_and_not1_b32 vcc_lo, exec_lo, s3
	s_cbranch_vccnz .LBB297_4
; %bb.3:
	s_mul_i32 s2, s20, s5
	s_mul_hi_u32 s5, s20, s4
	s_mul_i32 s4, s20, s4
	s_add_i32 s5, s5, s2
	s_delay_alu instid0(SALU_CYCLE_1) | instskip(NEXT) | instid1(SALU_CYCLE_1)
	s_lshl_b64 s[4:5], s[4:5], 1
	s_add_u32 s22, s10, s4
	s_addc_u32 s23, s11, s5
.LBB297_4:
	s_load_b128 s[8:11], s[0:1], 0x60
	s_waitcnt vmcnt(0)
	v_cmp_eq_f16_e32 vcc_lo, 0, v42
	v_cmp_neq_f16_e64 s2, 0, v42
	s_cbranch_vccnz .LBB297_6
; %bb.5:
	s_waitcnt lgkmcnt(0)
	s_mul_i32 s4, s20, s9
	s_mul_hi_u32 s5, s20, s8
	s_delay_alu instid0(SALU_CYCLE_1) | instskip(SKIP_1) | instid1(SALU_CYCLE_1)
	s_add_i32 s5, s5, s4
	s_mul_i32 s4, s20, s8
	s_lshl_b64 s[4:5], s[4:5], 1
	s_delay_alu instid0(SALU_CYCLE_1)
	s_add_u32 s12, s12, s4
	s_addc_u32 s13, s13, s5
	s_branch .LBB297_7
.LBB297_6:
	s_waitcnt lgkmcnt(0)
	s_mov_b64 s[12:13], 0
.LBB297_7:
	s_clause 0x1
	s_load_b128 s[16:19], s[0:1], 0x0
	s_load_b32 s8, s[0:1], 0x20
	v_dual_mov_b32 v9, 0 :: v_dual_and_b32 v30, 0x3ff, v0
	v_bfe_u32 v31, v0, 10, 10
	v_mov_b32_e32 v8, 0
	s_waitcnt lgkmcnt(0)
	s_add_i32 s4, s16, -1
	s_ashr_i32 s9, s8, 31
	s_ashr_i32 s5, s4, 31
	s_delay_alu instid0(SALU_CYCLE_1) | instskip(NEXT) | instid1(SALU_CYCLE_1)
	s_lshr_b32 s5, s5, 26
	s_add_i32 s4, s4, s5
	s_delay_alu instid0(SALU_CYCLE_1) | instskip(NEXT) | instid1(SALU_CYCLE_1)
	s_ashr_i32 s4, s4, 6
	s_add_i32 s6, s4, 1
	s_not_b32 s4, s4
	v_cvt_f32_u32_e32 v1, s6
	s_delay_alu instid0(VALU_DEP_1) | instskip(SKIP_2) | instid1(VALU_DEP_1)
	v_rcp_iflag_f32_e32 v1, v1
	s_waitcnt_depctr 0xfff
	v_mul_f32_e32 v1, 0x4f7ffffe, v1
	v_cvt_u32_f32_e32 v1, v1
	s_delay_alu instid0(VALU_DEP_1) | instskip(SKIP_1) | instid1(VALU_DEP_2)
	v_readfirstlane_b32 s5, v1
	v_lshl_add_u32 v1, v31, 3, v30
	s_mul_i32 s4, s4, s5
	s_delay_alu instid0(VALU_DEP_1) | instskip(SKIP_3) | instid1(SALU_CYCLE_1)
	v_and_b32_e32 v7, 63, v1
	s_mul_hi_u32 s4, s5, s4
	v_lshrrev_b32_e32 v33, 6, v1
	s_add_i32 s5, s5, s4
	s_mul_hi_u32 s4, s14, s5
	s_delay_alu instid0(SALU_CYCLE_1) | instskip(SKIP_2) | instid1(SALU_CYCLE_1)
	s_mul_i32 s5, s4, s6
	s_add_i32 s7, s4, 1
	s_sub_i32 s5, s14, s5
	s_sub_i32 s15, s5, s6
	s_cmp_ge_u32 s5, s6
	s_cselect_b32 s4, s7, s4
	s_cselect_b32 s5, s15, s5
	s_add_i32 s7, s4, 1
	s_cmp_ge_u32 s5, s6
	s_cselect_b32 s5, s7, s4
	s_delay_alu instid0(SALU_CYCLE_1) | instskip(NEXT) | instid1(SALU_CYCLE_1)
	s_mul_i32 s4, s5, s6
	s_sub_i32 s4, s14, s4
	s_delay_alu instid0(SALU_CYCLE_1) | instskip(SKIP_2) | instid1(VALU_DEP_1)
	s_lshl_b32 s14, s4, 6
	v_cmp_gt_i32_e64 s4, s18, v33
	v_or_b32_e32 v0, s14, v7
	v_cmp_gt_i32_e32 vcc_lo, s16, v0
	v_ashrrev_i32_e32 v1, 31, v0
	s_delay_alu instid0(VALU_DEP_4) | instskip(NEXT) | instid1(SALU_CYCLE_1)
	s_and_b32 s4, s4, vcc_lo
	s_and_b32 s4, s3, s4
	s_delay_alu instid0(SALU_CYCLE_1)
	s_and_saveexec_b32 s6, s4
	s_cbranch_execz .LBB297_9
; %bb.8:
	v_mad_i64_i32 v[2:3], null, s8, v33, 0
	v_lshlrev_b64 v[4:5], 1, v[0:1]
	s_delay_alu instid0(VALU_DEP_2) | instskip(NEXT) | instid1(VALU_DEP_1)
	v_lshlrev_b64 v[2:3], 1, v[2:3]
	v_add_co_u32 v2, s4, s24, v2
	s_delay_alu instid0(VALU_DEP_1) | instskip(NEXT) | instid1(VALU_DEP_2)
	v_add_co_ci_u32_e64 v3, s4, s25, v3, s4
	v_add_co_u32 v2, s4, v2, v4
	s_delay_alu instid0(VALU_DEP_1)
	v_add_co_ci_u32_e64 v3, s4, v3, v5, s4
	flat_load_u16 v2, v[2:3]
	s_waitcnt vmcnt(0) lgkmcnt(0)
	v_mul_f16_e32 v9, v32, v2
.LBB297_9:
	s_or_b32 exec_lo, exec_lo, s6
	s_load_b32 s19, s[0:1], 0x38
	s_add_i32 s21, s18, -1
	s_lshl_b32 s15, s5, 7
	v_min_i32_e32 v2, s21, v33
	v_cmp_le_i32_e64 s6, s18, v33
	s_xor_b32 s26, s3, -1
	s_waitcnt lgkmcnt(0)
	s_delay_alu instid0(VALU_DEP_2) | instskip(SKIP_1) | instid1(VALU_DEP_1)
	v_mad_i64_i32 v[3:4], null, s19, v2, 0
	v_or_b32_e32 v2, s15, v7
	v_cmp_le_i32_e64 s4, s17, v2
	s_delay_alu instid0(VALU_DEP_3) | instskip(NEXT) | instid1(VALU_DEP_2)
	v_lshlrev_b64 v[3:4], 1, v[3:4]
	s_or_b32 s7, s6, s4
	s_delay_alu instid0(VALU_DEP_1) | instskip(NEXT) | instid1(VALU_DEP_1)
	v_add_co_u32 v5, s5, s22, v3
	v_add_co_ci_u32_e64 v6, s5, s23, v4, s5
	v_ashrrev_i32_e32 v3, 31, v2
	s_or_b32 s5, s7, s26
	s_delay_alu instid0(SALU_CYCLE_1) | instskip(NEXT) | instid1(SALU_CYCLE_1)
	s_xor_b32 s5, s5, -1
	s_and_saveexec_b32 s7, s5
	s_cbranch_execz .LBB297_11
; %bb.10:
	v_lshlrev_b64 v[10:11], 1, v[2:3]
	s_delay_alu instid0(VALU_DEP_1) | instskip(NEXT) | instid1(VALU_DEP_1)
	v_add_co_u32 v10, s5, v5, v10
	v_add_co_ci_u32_e64 v11, s5, v6, v11, s5
	flat_load_u16 v4, v[10:11]
	s_waitcnt vmcnt(0) lgkmcnt(0)
	v_mul_f16_e32 v8, v32, v4
.LBB297_11:
	s_or_b32 exec_lo, exec_lo, s7
	v_or_b32_e32 v4, 64, v2
	v_mov_b32_e32 v10, 0
	s_delay_alu instid0(VALU_DEP_2) | instskip(SKIP_1) | instid1(VALU_DEP_2)
	v_cmp_le_i32_e64 s5, s17, v4
	v_mov_b32_e32 v4, 0
	s_or_b32 s6, s6, s5
	s_delay_alu instid0(SALU_CYCLE_1) | instskip(NEXT) | instid1(SALU_CYCLE_1)
	s_or_b32 s6, s6, s26
	s_xor_b32 s6, s6, -1
	s_delay_alu instid0(SALU_CYCLE_1)
	s_and_saveexec_b32 s7, s6
	s_cbranch_execz .LBB297_13
; %bb.12:
	v_lshlrev_b64 v[10:11], 1, v[2:3]
	s_delay_alu instid0(VALU_DEP_1) | instskip(NEXT) | instid1(VALU_DEP_1)
	v_add_co_u32 v5, s6, v5, v10
	v_add_co_ci_u32_e64 v6, s6, v6, v11, s6
	flat_load_u16 v5, v[5:6] offset:128
	s_waitcnt vmcnt(0) lgkmcnt(0)
	v_mul_f16_e32 v10, v32, v5
.LBB297_13:
	s_or_b32 exec_lo, exec_lo, s7
	v_add_nc_u32_e32 v5, 4, v33
	s_delay_alu instid0(VALU_DEP_1) | instskip(NEXT) | instid1(VALU_DEP_1)
	v_cmp_gt_i32_e64 s6, s18, v5
	s_and_b32 s6, vcc_lo, s6
	s_delay_alu instid0(SALU_CYCLE_1) | instskip(NEXT) | instid1(SALU_CYCLE_1)
	s_and_b32 s6, s3, s6
	s_and_saveexec_b32 s7, s6
	s_cbranch_execz .LBB297_15
; %bb.14:
	v_mad_u64_u32 v[11:12], null, s8, v5, 0
	s_delay_alu instid0(VALU_DEP_1) | instskip(NEXT) | instid1(VALU_DEP_1)
	v_mov_b32_e32 v4, v12
	v_mad_u64_u32 v[12:13], null, s9, v5, v[4:5]
	v_lshlrev_b64 v[13:14], 1, v[0:1]
	s_delay_alu instid0(VALU_DEP_2) | instskip(NEXT) | instid1(VALU_DEP_1)
	v_lshlrev_b64 v[11:12], 1, v[11:12]
	v_add_co_u32 v4, s6, s24, v11
	s_delay_alu instid0(VALU_DEP_1) | instskip(NEXT) | instid1(VALU_DEP_2)
	v_add_co_ci_u32_e64 v6, s6, s25, v12, s6
	v_add_co_u32 v11, s6, v4, v13
	s_delay_alu instid0(VALU_DEP_1)
	v_add_co_ci_u32_e64 v12, s6, v6, v14, s6
	flat_load_u16 v4, v[11:12]
	s_waitcnt vmcnt(0) lgkmcnt(0)
	v_mul_f16_e32 v4, v32, v4
.LBB297_15:
	s_or_b32 exec_lo, exec_lo, s7
	v_min_i32_e32 v6, s21, v5
	v_cmp_le_i32_e64 s6, s18, v5
	v_mov_b32_e32 v5, 0
	s_delay_alu instid0(VALU_DEP_3) | instskip(SKIP_1) | instid1(VALU_DEP_4)
	v_mad_i64_i32 v[11:12], null, s19, v6, 0
	v_mov_b32_e32 v6, 0
	s_or_b32 s27, s4, s6
	s_delay_alu instid0(VALU_DEP_2) | instskip(NEXT) | instid1(VALU_DEP_1)
	v_lshlrev_b64 v[11:12], 1, v[11:12]
	v_add_co_u32 v11, s7, s22, v11
	s_delay_alu instid0(VALU_DEP_1) | instskip(SKIP_1) | instid1(SALU_CYCLE_1)
	v_add_co_ci_u32_e64 v12, s7, s23, v12, s7
	s_or_b32 s7, s27, s26
	s_xor_b32 s7, s7, -1
	s_delay_alu instid0(SALU_CYCLE_1)
	s_and_saveexec_b32 s27, s7
	s_cbranch_execz .LBB297_17
; %bb.16:
	v_lshlrev_b64 v[13:14], 1, v[2:3]
	s_delay_alu instid0(VALU_DEP_1) | instskip(NEXT) | instid1(VALU_DEP_1)
	v_add_co_u32 v13, s7, v11, v13
	v_add_co_ci_u32_e64 v14, s7, v12, v14, s7
	flat_load_u16 v6, v[13:14]
	s_waitcnt vmcnt(0) lgkmcnt(0)
	v_mul_f16_e32 v6, v32, v6
.LBB297_17:
	s_or_b32 exec_lo, exec_lo, s27
	s_or_b32 s6, s5, s6
	s_delay_alu instid0(SALU_CYCLE_1) | instskip(NEXT) | instid1(SALU_CYCLE_1)
	s_or_b32 s6, s6, s26
	s_xor_b32 s6, s6, -1
	s_delay_alu instid0(SALU_CYCLE_1)
	s_and_saveexec_b32 s7, s6
	s_cbranch_execz .LBB297_19
; %bb.18:
	v_lshlrev_b64 v[13:14], 1, v[2:3]
	s_delay_alu instid0(VALU_DEP_1) | instskip(NEXT) | instid1(VALU_DEP_1)
	v_add_co_u32 v11, s6, v11, v13
	v_add_co_ci_u32_e64 v12, s6, v12, v14, s6
	flat_load_u16 v5, v[11:12] offset:128
	s_waitcnt vmcnt(0) lgkmcnt(0)
	v_mul_f16_e32 v5, v32, v5
.LBB297_19:
	s_or_b32 exec_lo, exec_lo, s7
	v_lshlrev_b32_e32 v11, 1, v33
	v_lshlrev_b32_e32 v35, 3, v30
	;; [unrolled: 1-line block ×3, first 2 shown]
	s_mov_b32 s27, 0
	s_cmp_lt_i32 s18, 9
	v_lshl_add_u32 v36, v7, 3, v11
	v_add_nc_u32_e32 v27, 0x800, v35
	ds_store_b16 v36, v8
	ds_store_b16 v36, v9 offset:2048
	ds_store_b16 v36, v10 offset:512
	s_waitcnt lgkmcnt(0)
	s_barrier
	buffer_gl0_inv
	ds_load_2addr_b64 v[7:10], v34 offset1:32
	ds_load_2addr_b64 v[11:14], v27 offset0:48 offset1:56
	ds_load_2addr_b64 v[15:18], v34 offset0:64 offset1:96
	ds_load_2addr_b64 v[19:22], v27 offset1:8
	ds_load_2addr_b64 v[23:26], v27 offset0:16 offset1:24
	ds_load_2addr_b64 v[37:40], v27 offset0:32 offset1:40
	ds_store_b16 v36, v6 offset:1024
	ds_store_b16 v36, v4 offset:2560
	;; [unrolled: 1-line block ×3, first 2 shown]
	s_waitcnt lgkmcnt(0)
	s_barrier
	buffer_gl0_inv
	v_pk_max_f16 v9, v9, v9
	v_pk_max_f16 v7, v7, v7
	;; [unrolled: 1-line block ×8, first 2 shown]
	v_pk_min_f16 v49, v23, v9
	v_pk_min_f16 v50, v23, v15
	v_pk_max_f16 v19, v19, v19
	v_pk_max_f16 v21, v21, v21
	v_pk_min_f16 v27, v13, v7
	v_pk_add_f16 v52, v49, 0
	v_pk_min_f16 v49, v25, v7
	v_pk_add_f16 v53, v50, 0
	v_pk_min_f16 v50, v25, v9
	v_pk_min_f16 v51, v25, v15
	v_pk_max_f16 v39, v39, v39
	v_pk_add_f16 v54, v49, 0
	v_pk_min_f16 v49, v37, v7
	v_pk_add_f16 v55, v50, 0
	v_pk_min_f16 v50, v37, v9
	v_pk_max_f16 v11, v11, v11
	v_pk_max_f16 v8, v8, v8
	v_pk_add_f16 v61, v49, 0
	v_pk_min_f16 v49, v37, v15
	v_pk_min_f16 v37, v37, v17
	v_pk_max_f16 v14, v14, v14
	v_pk_min_f16 v28, v13, v9
	v_pk_min_f16 v29, v13, v15
	;; [unrolled: 1-line block ×8, first 2 shown]
	v_pk_add_f16 v27, v27, 0
	v_pk_min_f16 v47, v21, v15
	v_pk_min_f16 v21, v21, v17
	;; [unrolled: 1-line block ×5, first 2 shown]
	v_pk_add_f16 v60, v51, 0
	v_pk_add_f16 v62, v50, 0
	v_pk_min_f16 v50, v39, v7
	v_pk_min_f16 v51, v39, v9
	v_pk_add_f16 v72, v37, 0
	v_pk_min_f16 v37, v39, v15
	v_pk_min_f16 v39, v39, v17
	;; [unrolled: 1-line block ×6, first 2 shown]
	v_pk_max_f16 v10, v10, v10
	v_pk_min_f16 v13, v13, v17
	v_pk_min_f16 v17, v14, v8
	v_pk_add_f16 v28, v28, 0
	v_pk_add_f16 v75, v37, 0
	v_pk_max_f16 v16, v16, v16
	v_pk_min_f16 v37, v14, v10
	v_pk_max_f16 v20, v20, v20
	v_pk_add_f16 v69, v27, v17
	v_pk_max_f16 v17, v18, v18
	v_pk_add_f16 v41, v41, 0
	v_pk_add_f16 v19, v19, 0
	;; [unrolled: 1-line block ×3, first 2 shown]
	v_pk_min_f16 v18, v20, v8
	v_pk_min_f16 v27, v20, v10
	;; [unrolled: 1-line block ×4, first 2 shown]
	v_pk_max_f16 v22, v22, v22
	v_pk_add_f16 v45, v45, 0
	v_pk_add_f16 v46, v46, 0
	;; [unrolled: 1-line block ×7, first 2 shown]
	v_pk_min_f16 v18, v22, v8
	v_pk_min_f16 v19, v22, v10
	;; [unrolled: 1-line block ×4, first 2 shown]
	v_pk_max_f16 v24, v24, v24
	v_pk_add_f16 v48, v48, 0
	v_pk_add_f16 v23, v23, 0
	;; [unrolled: 1-line block ×7, first 2 shown]
	v_pk_min_f16 v18, v24, v8
	v_pk_min_f16 v19, v24, v10
	;; [unrolled: 1-line block ×4, first 2 shown]
	v_pk_max_f16 v22, v26, v26
	v_pk_add_f16 v29, v29, 0
	v_pk_add_f16 v25, v25, 0
	;; [unrolled: 1-line block ×3, first 2 shown]
	v_pk_min_f16 v39, v14, v16
	v_pk_add_f16 v41, v48, v18
	v_pk_add_f16 v65, v52, v19
	;; [unrolled: 1-line block ×4, first 2 shown]
	v_pk_min_f16 v18, v22, v8
	v_pk_min_f16 v19, v22, v10
	v_pk_min_f16 v20, v22, v16
	v_pk_min_f16 v21, v22, v17
	v_pk_max_f16 v22, v38, v38
	v_pk_add_f16 v74, v51, 0
	v_pk_add_f16 v51, v29, v39
	;; [unrolled: 1-line block ×6, first 2 shown]
	v_pk_min_f16 v18, v22, v8
	v_pk_min_f16 v19, v22, v10
	;; [unrolled: 1-line block ×4, first 2 shown]
	v_pk_max_f16 v22, v40, v40
	v_pk_max_f16 v12, v12, v12
	v_pk_add_f16 v43, v43, 0
	v_pk_add_f16 v44, v44, 0
	;; [unrolled: 1-line block ×11, first 2 shown]
	v_pk_min_f16 v18, v22, v8
	v_pk_min_f16 v19, v22, v10
	;; [unrolled: 1-line block ×9, first 2 shown]
	v_pk_add_f16 v68, v43, v27
	v_pk_add_f16 v58, v44, v28
	;; [unrolled: 1-line block ×11, first 2 shown]
	s_cbranch_scc1 .LBB297_34
; %bb.20:
	v_add_nc_u32_e32 v4, v34, v30
	v_lshlrev_b64 v[0:1], 1, v[0:1]
	v_lshlrev_b64 v[28:29], 1, v[2:3]
	v_or_b32_e32 v60, 0x800, v36
	v_add_nc_u32_e32 v67, 0x800, v35
	v_lshrrev_b32_e32 v4, 6, v4
	v_add_nc_u32_e32 v72, 0xa00, v36
	v_add_co_u32 v75, s6, s24, v0
	v_or_b32_e32 v73, 0x400, v36
	s_delay_alu instid0(VALU_DEP_4) | instskip(SKIP_3) | instid1(VALU_DEP_4)
	v_add_nc_u32_e32 v6, 12, v4
	v_add_nc_u32_e32 v8, 8, v4
	v_lshl_add_u32 v74, v30, 3, 0xa00
	v_add_co_ci_u32_e64 v76, s6, s25, v1, s6
	v_mad_i64_i32 v[4:5], null, v6, s8, 0
	s_delay_alu instid0(VALU_DEP_4) | instskip(SKIP_3) | instid1(VALU_DEP_3)
	v_mad_i64_i32 v[6:7], null, v8, s8, 0
	v_add_nc_u32_e32 v77, 0x400, v34
	s_add_i32 s24, s18, -8
	s_lshl_b64 s[8:9], s[8:9], 4
	v_lshlrev_b64 v[24:25], 1, v[4:5]
	s_delay_alu instid0(VALU_DEP_3)
	v_lshlrev_b64 v[26:27], 1, v[6:7]
	s_branch .LBB297_22
.LBB297_21:                             ;   in Loop: Header=BB297_22 Depth=1
	s_or_b32 exec_lo, exec_lo, s7
	v_pk_add_f16 v22, v50, v22
	v_pk_add_f16 v50, v66, v83
	;; [unrolled: 1-line block ×24, first 2 shown]
	ds_load_2addr_b64 v[37:40], v67 offset0:48 offset1:56
	ds_load_2addr_b64 v[43:46], v34 offset1:32
	v_pk_add_f16 v9, v48, v9
	ds_load_2addr_b64 v[47:50], v34 offset0:64 offset1:96
	v_pk_add_f16 v8, v70, v8
	v_pk_add_f16 v6, v63, v6
	;; [unrolled: 1-line block ×6, first 2 shown]
	ds_load_2addr_b64 v[51:54], v67 offset1:8
	v_pk_add_f16 v62, v62, v96
	v_pk_add_f16 v61, v61, v100
	v_pk_add_f16 v41, v41, v86
	v_pk_add_f16 v82, v2, v109
	v_pk_add_f16 v12, v12, v110
	v_pk_add_f16 v16, v16, v111
	v_pk_add_f16 v23, v4, v23
	v_pk_add_f16 v86, v6, v108
	v_pk_add_f16 v63, v63, v0
	s_waitcnt lgkmcnt(3)
	v_pk_max_f16 v39, v39, v39
	s_waitcnt lgkmcnt(2)
	v_pk_max_f16 v43, v43, v43
	v_pk_max_f16 v45, v45, v45
	s_waitcnt lgkmcnt(1)
	v_pk_max_f16 v47, v47, v47
	v_pk_add_f16 v64, v64, v3
	v_pk_add_f16 v65, v65, v7
	;; [unrolled: 1-line block ×6, first 2 shown]
	v_pk_min_f16 v4, v39, v43
	v_pk_min_f16 v5, v39, v45
	;; [unrolled: 1-line block ×3, first 2 shown]
	ds_load_2addr_b64 v[0:3], v67 offset0:16 offset1:24
	s_waitcnt lgkmcnt(1)
	v_pk_max_f16 v7, v51, v51
	v_pk_max_f16 v49, v49, v49
	v_pk_add_f16 v14, v14, v112
	v_pk_add_f16 v18, v18, v113
	;; [unrolled: 1-line block ×7, first 2 shown]
	v_pk_min_f16 v4, v7, v43
	v_pk_min_f16 v5, v7, v45
	;; [unrolled: 1-line block ×4, first 2 shown]
	v_pk_max_f16 v53, v53, v53
	v_pk_add_f16 v14, v14, v4
	v_pk_add_f16 v18, v18, v5
	;; [unrolled: 1-line block ×4, first 2 shown]
	ds_load_2addr_b64 v[4:7], v67 offset0:32 offset1:40
	v_pk_add_f16 v8, v8, v116
	v_pk_add_f16 v13, v66, v13
	;; [unrolled: 1-line block ×4, first 2 shown]
	v_pk_min_f16 v66, v53, v43
	v_pk_min_f16 v68, v53, v45
	;; [unrolled: 1-line block ×3, first 2 shown]
	s_waitcnt lgkmcnt(1)
	v_pk_max_f16 v0, v0, v0
	v_pk_add_f16 v41, v41, v120
	v_pk_add_f16 v21, v70, v21
	;; [unrolled: 1-line block ×5, first 2 shown]
	v_pk_min_f16 v68, v0, v43
	v_pk_min_f16 v69, v0, v45
	;; [unrolled: 1-line block ×4, first 2 shown]
	v_pk_max_f16 v2, v2, v2
	v_pk_add_f16 v10, v10, v121
	v_pk_add_f16 v57, v57, v103
	;; [unrolled: 1-line block ×4, first 2 shown]
	v_pk_min_f16 v9, v2, v43
	v_pk_min_f16 v68, v2, v45
	s_waitcnt lgkmcnt(0)
	v_pk_max_f16 v4, v4, v4
	v_pk_add_f16 v58, v58, v105
	v_pk_add_f16 v59, v59, v106
	;; [unrolled: 1-line block ×3, first 2 shown]
	v_pk_min_f16 v69, v2, v47
	v_pk_min_f16 v2, v2, v49
	v_pk_add_f16 v9, v23, v9
	v_pk_add_f16 v23, v57, v68
	v_pk_min_f16 v57, v4, v43
	v_pk_max_f16 v6, v6, v6
	v_pk_add_f16 v2, v58, v2
	v_pk_min_f16 v58, v4, v45
	v_pk_max_f16 v37, v37, v37
	v_pk_add_f16 v82, v59, v57
	v_pk_min_f16 v57, v4, v47
	v_pk_min_f16 v59, v6, v45
	v_pk_add_f16 v83, v86, v58
	v_pk_min_f16 v58, v6, v43
	v_pk_min_f16 v43, v37, v43
	;; [unrolled: 3-line block ×3, first 2 shown]
	v_pk_min_f16 v45, v37, v45
	v_pk_min_f16 v47, v37, v47
	v_pk_max_f16 v40, v40, v40
	v_pk_add_f16 v55, v55, v90
	v_pk_add_f16 v6, v15, v6
	;; [unrolled: 1-line block ×3, first 2 shown]
	v_pk_max_f16 v43, v44, v44
	v_pk_max_f16 v44, v46, v46
	v_pk_add_f16 v17, v19, v45
	v_pk_add_f16 v19, v21, v47
	v_pk_min_f16 v21, v37, v49
	v_pk_min_f16 v37, v39, v49
	v_pk_max_f16 v86, v48, v48
	v_pk_min_f16 v45, v40, v44
	v_pk_add_f16 v56, v56, v87
	v_pk_add_f16 v55, v55, v104
	;; [unrolled: 1-line block ×3, first 2 shown]
	v_pk_min_f16 v39, v40, v43
	v_pk_add_f16 v87, v62, v37
	v_pk_min_f16 v37, v40, v86
	v_pk_max_f16 v46, v52, v52
	v_pk_add_f16 v59, v12, v45
	v_pk_max_f16 v12, v50, v50
	v_pk_add_f16 v55, v55, v69
	v_pk_add_f16 v69, v51, v39
	;; [unrolled: 1-line block ×3, first 2 shown]
	v_pk_min_f16 v16, v46, v43
	v_pk_min_f16 v37, v46, v44
	;; [unrolled: 1-line block ×4, first 2 shown]
	v_pk_max_f16 v46, v54, v54
	v_pk_add_f16 v56, v56, v122
	v_pk_add_f16 v71, v14, v16
	v_pk_max_f16 v1, v1, v1
	v_pk_max_f16 v3, v3, v3
	v_pk_min_f16 v14, v46, v43
	v_pk_min_f16 v16, v46, v44
	v_pk_add_f16 v56, v56, v70
	v_pk_min_f16 v53, v53, v49
	v_pk_min_f16 v4, v4, v49
	v_pk_add_f16 v70, v8, v14
	v_pk_add_f16 v66, v66, v16
	v_pk_min_f16 v8, v1, v43
	v_pk_min_f16 v14, v1, v44
	;; [unrolled: 1-line block ×4, first 2 shown]
	v_pk_max_f16 v5, v5, v5
	v_pk_add_f16 v41, v41, v8
	v_pk_min_f16 v8, v3, v86
	v_pk_add_f16 v53, v85, v53
	v_pk_add_f16 v48, v0, v1
	v_pk_min_f16 v0, v3, v43
	v_pk_min_f16 v1, v3, v44
	;; [unrolled: 1-line block ×3, first 2 shown]
	v_pk_add_f16 v4, v64, v4
	v_pk_add_f16 v85, v65, v58
	v_pk_add_f16 v58, v20, v39
	v_pk_add_f16 v39, v9, v0
	v_pk_add_f16 v64, v23, v1
	v_pk_add_f16 v47, v2, v3
	v_pk_min_f16 v0, v5, v43
	v_pk_min_f16 v1, v5, v44
	;; [unrolled: 1-line block ×4, first 2 shown]
	v_pk_max_f16 v5, v7, v7
	v_pk_add_f16 v13, v13, v57
	v_pk_add_f16 v68, v18, v37
	v_pk_min_f16 v18, v46, v86
	v_pk_min_f16 v20, v46, v12
	v_pk_add_f16 v37, v82, v0
	v_pk_add_f16 v63, v83, v1
	;; [unrolled: 1-line block ×4, first 2 shown]
	v_pk_min_f16 v0, v5, v43
	v_pk_min_f16 v1, v5, v44
	;; [unrolled: 1-line block ×4, first 2 shown]
	v_pk_max_f16 v4, v38, v38
	v_pk_add_f16 v21, v61, v21
	v_pk_add_f16 v50, v22, v45
	;; [unrolled: 1-line block ×7, first 2 shown]
	v_pk_min_f16 v0, v4, v43
	v_pk_min_f16 v1, v4, v44
	;; [unrolled: 1-line block ×5, first 2 shown]
	v_add_co_u32 v75, s6, v75, s8
	v_pk_add_f16 v57, v81, v18
	v_pk_add_f16 v65, v10, v14
	;; [unrolled: 1-line block ×9, first 2 shown]
	v_add_co_ci_u32_e64 v76, s6, s9, v76, s6
	s_add_i32 s27, s27, 8
	ds_store_b16 v72, v78
	ds_store_b16 v73, v80
	ds_store_b16 v73, v79 offset:512
	s_cmp_ge_i32 s27, s24
	s_waitcnt lgkmcnt(0)
	s_barrier
	buffer_gl0_inv
	s_cbranch_scc1 .LBB297_34
.LBB297_22:                             ; =>This Inner Loop Header: Depth=1
	v_dual_mov_b32 v80, 0 :: v_dual_add_nc_u32 v79, s27, v33
	s_delay_alu instid0(VALU_DEP_1) | instskip(NEXT) | instid1(VALU_DEP_1)
	v_dual_mov_b32 v81, 0 :: v_dual_add_nc_u32 v0, 8, v79
	v_cmp_gt_i32_e64 s6, s18, v0
	s_delay_alu instid0(VALU_DEP_1) | instskip(NEXT) | instid1(SALU_CYCLE_1)
	s_and_b32 s6, vcc_lo, s6
	s_and_b32 s6, s3, s6
	s_delay_alu instid0(SALU_CYCLE_1)
	s_and_saveexec_b32 s7, s6
	s_cbranch_execz .LBB297_24
; %bb.23:                               ;   in Loop: Header=BB297_22 Depth=1
	v_add_co_u32 v1, s6, v75, v26
	s_delay_alu instid0(VALU_DEP_1)
	v_add_co_ci_u32_e64 v2, s6, v76, v27, s6
	flat_load_u16 v1, v[1:2]
	s_waitcnt vmcnt(0) lgkmcnt(0)
	v_mul_f16_e32 v81, v32, v1
.LBB297_24:                             ;   in Loop: Header=BB297_22 Depth=1
	s_or_b32 exec_lo, exec_lo, s7
	v_min_i32_e32 v3, s21, v0
	v_cmp_le_i32_e64 s6, s18, v0
	s_delay_alu instid0(VALU_DEP_2) | instskip(NEXT) | instid1(VALU_DEP_2)
	v_mad_i64_i32 v[1:2], null, v3, s19, 0
	s_or_b32 s25, s4, s6
	s_delay_alu instid0(VALU_DEP_1) | instskip(NEXT) | instid1(VALU_DEP_1)
	v_lshlrev_b64 v[0:1], 1, v[1:2]
	v_add_co_u32 v0, s7, s22, v0
	s_delay_alu instid0(VALU_DEP_1) | instskip(SKIP_1) | instid1(SALU_CYCLE_1)
	v_add_co_ci_u32_e64 v1, s7, s23, v1, s7
	s_or_b32 s7, s25, s26
	s_xor_b32 s7, s7, -1
	s_delay_alu instid0(SALU_CYCLE_1)
	s_and_saveexec_b32 s25, s7
	s_cbranch_execz .LBB297_26
; %bb.25:                               ;   in Loop: Header=BB297_22 Depth=1
	v_add_co_u32 v2, s7, v0, v28
	s_delay_alu instid0(VALU_DEP_1)
	v_add_co_ci_u32_e64 v3, s7, v1, v29, s7
	flat_load_u16 v2, v[2:3]
	s_waitcnt vmcnt(0) lgkmcnt(0)
	v_mul_f16_e32 v80, v32, v2
.LBB297_26:                             ;   in Loop: Header=BB297_22 Depth=1
	s_or_b32 exec_lo, exec_lo, s25
	s_or_b32 s6, s5, s6
	v_mov_b32_e32 v78, 0
	v_mov_b32_e32 v82, 0
	s_or_b32 s6, s6, s26
	s_delay_alu instid0(SALU_CYCLE_1) | instskip(NEXT) | instid1(SALU_CYCLE_1)
	s_xor_b32 s6, s6, -1
	s_and_saveexec_b32 s7, s6
	s_cbranch_execz .LBB297_28
; %bb.27:                               ;   in Loop: Header=BB297_22 Depth=1
	v_add_co_u32 v0, s6, v0, v28
	s_delay_alu instid0(VALU_DEP_1)
	v_add_co_ci_u32_e64 v1, s6, v1, v29, s6
	flat_load_u16 v0, v[0:1] offset:128
	s_waitcnt vmcnt(0) lgkmcnt(0)
	v_mul_f16_e32 v82, v32, v0
.LBB297_28:                             ;   in Loop: Header=BB297_22 Depth=1
	s_or_b32 exec_lo, exec_lo, s7
	ds_load_2addr_b64 v[0:3], v74 offset0:48 offset1:56
	ds_load_2addr_b64 v[12:15], v77 offset0:64 offset1:96
	ds_load_2addr_b64 v[20:23], v77 offset1:32
	ds_load_2addr_b64 v[16:19], v74 offset1:8
	ds_load_2addr_b64 v[8:11], v74 offset0:16 offset1:24
	ds_load_2addr_b64 v[4:7], v74 offset0:32 offset1:40
	v_add_nc_u32_e32 v79, 12, v79
	ds_store_b16 v60, v81
	ds_store_b16 v36, v80
	ds_store_b16 v36, v82 offset:512
	s_waitcnt lgkmcnt(0)
	s_barrier
	buffer_gl0_inv
	v_cmp_gt_i32_e64 s6, s18, v79
	s_delay_alu instid0(VALU_DEP_1) | instskip(NEXT) | instid1(SALU_CYCLE_1)
	s_and_b32 s6, vcc_lo, s6
	s_and_b32 s6, s3, s6
	s_delay_alu instid0(SALU_CYCLE_1)
	s_and_saveexec_b32 s7, s6
	s_cbranch_execz .LBB297_30
; %bb.29:                               ;   in Loop: Header=BB297_22 Depth=1
	v_add_co_u32 v80, s6, v75, v24
	s_delay_alu instid0(VALU_DEP_1)
	v_add_co_ci_u32_e64 v81, s6, v76, v25, s6
	flat_load_u16 v78, v[80:81]
	s_waitcnt vmcnt(0) lgkmcnt(0)
	v_mul_f16_e32 v78, v32, v78
.LBB297_30:                             ;   in Loop: Header=BB297_22 Depth=1
	s_or_b32 exec_lo, exec_lo, s7
	v_min_i32_e32 v82, s21, v79
	v_cmp_le_i32_e64 s6, s18, v79
	v_mov_b32_e32 v79, 0
	s_delay_alu instid0(VALU_DEP_3) | instskip(NEXT) | instid1(VALU_DEP_3)
	v_mad_i64_i32 v[80:81], null, v82, s19, 0
	s_or_b32 s25, s4, s6
	s_delay_alu instid0(VALU_DEP_1) | instskip(SKIP_1) | instid1(VALU_DEP_2)
	v_lshlrev_b64 v[81:82], 1, v[80:81]
	v_mov_b32_e32 v80, 0
	v_add_co_u32 v81, s7, s22, v81
	s_delay_alu instid0(VALU_DEP_1) | instskip(SKIP_1) | instid1(SALU_CYCLE_1)
	v_add_co_ci_u32_e64 v82, s7, s23, v82, s7
	s_or_b32 s7, s25, s26
	s_xor_b32 s7, s7, -1
	s_delay_alu instid0(SALU_CYCLE_1)
	s_and_saveexec_b32 s25, s7
	s_cbranch_execz .LBB297_32
; %bb.31:                               ;   in Loop: Header=BB297_22 Depth=1
	v_add_co_u32 v83, s7, v81, v28
	s_delay_alu instid0(VALU_DEP_1)
	v_add_co_ci_u32_e64 v84, s7, v82, v29, s7
	flat_load_u16 v80, v[83:84]
	s_waitcnt vmcnt(0) lgkmcnt(0)
	v_mul_f16_e32 v80, v32, v80
.LBB297_32:                             ;   in Loop: Header=BB297_22 Depth=1
	s_or_b32 exec_lo, exec_lo, s25
	v_pk_max_f16 v103, v2, v2
	v_pk_max_f16 v99, v20, v20
	;; [unrolled: 1-line block ×12, first 2 shown]
	v_pk_min_f16 v2, v103, v99
	v_pk_min_f16 v12, v103, v100
	;; [unrolled: 1-line block ×25, first 2 shown]
	v_pk_max_f16 v123, v3, v3
	v_pk_max_f16 v21, v21, v21
	;; [unrolled: 1-line block ×9, first 2 shown]
	v_pk_min_f16 v112, v0, v21
	v_pk_min_f16 v113, v0, v124
	;; [unrolled: 1-line block ×4, first 2 shown]
	v_pk_max_f16 v0, v9, v9
	v_pk_min_f16 v116, v3, v21
	v_pk_min_f16 v117, v3, v124
	;; [unrolled: 1-line block ×4, first 2 shown]
	v_pk_max_f16 v3, v11, v11
	v_pk_max_f16 v1, v1, v1
	s_or_b32 s6, s5, s6
	v_pk_min_f16 v22, v22, v104
	v_pk_min_f16 v85, v85, v104
	;; [unrolled: 1-line block ×31, first 2 shown]
	s_or_b32 s6, s6, s26
	s_delay_alu instid0(SALU_CYCLE_1) | instskip(NEXT) | instid1(SALU_CYCLE_1)
	s_xor_b32 s6, s6, -1
	s_and_saveexec_b32 s7, s6
	s_cbranch_execz .LBB297_21
; %bb.33:                               ;   in Loop: Header=BB297_22 Depth=1
	v_add_co_u32 v81, s6, v81, v28
	s_delay_alu instid0(VALU_DEP_1)
	v_add_co_ci_u32_e64 v82, s6, v82, v29, s6
	flat_load_u16 v79, v[81:82] offset:128
	s_waitcnt vmcnt(0) lgkmcnt(0)
	v_mul_f16_e32 v79, v32, v79
	s_branch .LBB297_21
.LBB297_34:
	s_clause 0x2
	s_load_b64 s[4:5], s[0:1], 0x78
	s_load_b32 s18, s[0:1], 0x58
	s_load_b32 s9, s[0:1], 0x70
	v_add_nc_u32_e32 v67, s15, v31
	v_add_nc_u32_e32 v8, 0x800, v35
	ds_load_2addr_b64 v[0:3], v34 offset0:192 offset1:224
	ds_load_2addr_b64 v[20:23], v34 offset0:128 offset1:160
	v_add_nc_u32_e32 v24, s14, v30
	ds_load_2addr_b64 v[4:7], v8 offset0:112 offset1:120
	ds_load_2addr_b64 v[16:19], v8 offset0:64 offset1:72
	;; [unrolled: 1-line block ×4, first 2 shown]
	v_cmp_gt_i32_e64 s8, s17, v67
	v_cndmask_b32_e64 v60, 0, 1, s2
	s_waitcnt lgkmcnt(0)
	s_mul_i32 s1, s20, s5
	v_mad_i64_i32 v[25:26], null, v67, s18, 0
	v_mad_i64_i32 v[27:28], null, v67, s9, 0
	s_mul_hi_u32 s3, s20, s4
	s_mul_i32 s0, s20, s4
	s_add_i32 s1, s3, s1
	s_delay_alu instid0(SALU_CYCLE_1) | instskip(NEXT) | instid1(VALU_DEP_2)
	s_lshl_b64 s[4:5], s[0:1], 1
	v_lshlrev_b64 v[25:26], 1, v[25:26]
	s_delay_alu instid0(VALU_DEP_2) | instskip(SKIP_3) | instid1(VALU_DEP_3)
	v_lshlrev_b64 v[27:28], 1, v[27:28]
	s_add_u32 s10, s10, s4
	v_cmp_gt_i32_e64 s0, s16, v24
	s_addc_u32 s11, s11, s5
	v_add_co_u32 v74, vcc_lo, s12, v25
	v_add_co_ci_u32_e32 v75, vcc_lo, s13, v26, vcc_lo
	v_add_co_u32 v72, vcc_lo, s10, v27
	v_add_co_ci_u32_e32 v73, vcc_lo, s11, v28, vcc_lo
	v_ashrrev_i32_e32 v25, 31, v24
	s_and_b32 s3, s0, s8
	s_delay_alu instid0(SALU_CYCLE_1)
	s_and_saveexec_b32 s1, s3
	s_cbranch_execz .LBB297_39
; %bb.35:
	s_delay_alu instid0(VALU_DEP_1)
	v_lshlrev_b64 v[26:27], 1, v[24:25]
	s_and_not1_b32 vcc_lo, exec_lo, s2
	s_cbranch_vccnz .LBB297_37
; %bb.36:
	s_delay_alu instid0(VALU_DEP_1) | instskip(NEXT) | instid1(VALU_DEP_2)
	v_add_co_u32 v28, vcc_lo, v74, v26
	v_add_co_ci_u32_e32 v29, vcc_lo, v75, v27, vcc_lo
	flat_load_u16 v28, v[28:29]
	s_waitcnt vmcnt(0) lgkmcnt(0)
	v_mul_f16_e32 v28, v42, v28
	s_branch .LBB297_38
.LBB297_37:
	v_mov_b32_e32 v28, 0
.LBB297_38:
	v_pk_max_f16 v29, v20, v20
	v_pk_max_f16 v30, v16, v16
	;; [unrolled: 1-line block ×4, first 2 shown]
	v_add_co_u32 v26, vcc_lo, v72, v26
	s_delay_alu instid0(VALU_DEP_4) | instskip(SKIP_1) | instid1(VALU_DEP_4)
	v_pk_min_f16 v29, v30, v29
	v_add_co_ci_u32_e32 v27, vcc_lo, v73, v27, vcc_lo
	v_pk_min_f16 v30, v32, v31
	s_delay_alu instid0(VALU_DEP_3) | instskip(NEXT) | instid1(VALU_DEP_1)
	v_pk_add_f16 v29, v71, v29
	v_pk_add_f16 v29, v29, v30
	s_delay_alu instid0(VALU_DEP_1) | instskip(NEXT) | instid1(VALU_DEP_1)
	v_lshrrev_b32_e32 v30, 16, v29
	v_add_f16_e32 v29, v29, v30
	s_delay_alu instid0(VALU_DEP_1)
	v_add_f16_e32 v28, v29, v28
	global_store_b16 v[26:27], v28, off
.LBB297_39:
	s_or_b32 exec_lo, exec_lo, s1
	v_add_nc_u32_e32 v26, 8, v24
	s_delay_alu instid0(VALU_DEP_1) | instskip(SKIP_1) | instid1(VALU_DEP_2)
	v_cmp_gt_i32_e64 s1, s16, v26
	v_ashrrev_i32_e32 v27, 31, v26
	s_and_b32 s3, s1, s8
	s_delay_alu instid0(SALU_CYCLE_1)
	s_and_saveexec_b32 s2, s3
	s_cbranch_execz .LBB297_44
; %bb.40:
	v_cmp_ne_u32_e32 vcc_lo, 1, v60
	v_lshlrev_b64 v[28:29], 1, v[26:27]
	s_cbranch_vccnz .LBB297_42
; %bb.41:
	s_delay_alu instid0(VALU_DEP_1) | instskip(NEXT) | instid1(VALU_DEP_2)
	v_add_co_u32 v30, vcc_lo, v74, v28
	v_add_co_ci_u32_e32 v31, vcc_lo, v75, v29, vcc_lo
	flat_load_u16 v30, v[30:31]
	s_waitcnt vmcnt(0) lgkmcnt(0)
	v_mul_f16_e32 v30, v42, v30
	s_branch .LBB297_43
.LBB297_42:
	v_mov_b32_e32 v30, 0
.LBB297_43:
	v_pk_max_f16 v31, v20, v20
	v_pk_max_f16 v32, v18, v18
	v_pk_max_f16 v33, v21, v21
	v_pk_max_f16 v34, v19, v19
	v_add_co_u32 v28, vcc_lo, v72, v28
	s_delay_alu instid0(VALU_DEP_4) | instskip(SKIP_1) | instid1(VALU_DEP_4)
	v_pk_min_f16 v31, v32, v31
	v_add_co_ci_u32_e32 v29, vcc_lo, v73, v29, vcc_lo
	v_pk_min_f16 v32, v34, v33
	s_delay_alu instid0(VALU_DEP_3) | instskip(NEXT) | instid1(VALU_DEP_1)
	v_pk_add_f16 v31, v70, v31
	v_pk_add_f16 v31, v31, v32
	s_delay_alu instid0(VALU_DEP_1) | instskip(NEXT) | instid1(VALU_DEP_1)
	v_lshrrev_b32_e32 v32, 16, v31
	v_add_f16_e32 v31, v31, v32
	s_delay_alu instid0(VALU_DEP_1)
	v_add_f16_e32 v30, v31, v30
	global_store_b16 v[28:29], v30, off
.LBB297_44:
	s_or_b32 exec_lo, exec_lo, s2
	v_add_nc_u32_e32 v28, 16, v24
	s_delay_alu instid0(VALU_DEP_1) | instskip(SKIP_1) | instid1(VALU_DEP_2)
	v_cmp_gt_i32_e64 s2, s16, v28
	v_ashrrev_i32_e32 v29, 31, v28
	s_and_b32 s4, s2, s8
	s_delay_alu instid0(SALU_CYCLE_1)
	s_and_saveexec_b32 s3, s4
	s_cbranch_execz .LBB297_49
; %bb.45:
	v_cmp_ne_u32_e32 vcc_lo, 1, v60
	v_lshlrev_b64 v[30:31], 1, v[28:29]
	s_cbranch_vccnz .LBB297_47
; %bb.46:
	s_delay_alu instid0(VALU_DEP_1) | instskip(NEXT) | instid1(VALU_DEP_2)
	v_add_co_u32 v32, vcc_lo, v74, v30
	v_add_co_ci_u32_e32 v33, vcc_lo, v75, v31, vcc_lo
	flat_load_u16 v32, v[32:33]
	s_waitcnt vmcnt(0) lgkmcnt(0)
	v_mul_f16_e32 v32, v42, v32
	s_branch .LBB297_48
.LBB297_47:
	v_mov_b32_e32 v32, 0
.LBB297_48:
	v_pk_max_f16 v33, v20, v20
	v_pk_max_f16 v34, v12, v12
	v_pk_max_f16 v35, v21, v21
	v_pk_max_f16 v36, v13, v13
	v_add_co_u32 v30, vcc_lo, v72, v30
	s_delay_alu instid0(VALU_DEP_4) | instskip(SKIP_1) | instid1(VALU_DEP_4)
	v_pk_min_f16 v33, v34, v33
	v_add_co_ci_u32_e32 v31, vcc_lo, v73, v31, vcc_lo
	v_pk_min_f16 v34, v36, v35
	s_delay_alu instid0(VALU_DEP_3) | instskip(NEXT) | instid1(VALU_DEP_1)
	v_pk_add_f16 v33, v41, v33
	v_pk_add_f16 v33, v33, v34
	s_delay_alu instid0(VALU_DEP_1) | instskip(NEXT) | instid1(VALU_DEP_1)
	v_lshrrev_b32_e32 v34, 16, v33
	v_add_f16_e32 v33, v33, v34
	s_delay_alu instid0(VALU_DEP_1)
	v_add_f16_e32 v32, v33, v32
	global_store_b16 v[30:31], v32, off
.LBB297_49:
	;; [unrolled: 43-line block ×6, first 2 shown]
	s_or_b32 exec_lo, exec_lo, s7
	v_add_nc_u32_e32 v38, 56, v24
	s_delay_alu instid0(VALU_DEP_1) | instskip(SKIP_1) | instid1(VALU_DEP_2)
	v_cmp_gt_i32_e64 s7, s16, v38
	v_ashrrev_i32_e32 v39, 31, v38
	s_and_b32 s14, s7, s8
	s_delay_alu instid0(SALU_CYCLE_1)
	s_and_saveexec_b32 s8, s14
	s_cbranch_execz .LBB297_74
; %bb.70:
	v_cmp_ne_u32_e32 vcc_lo, 1, v60
	v_lshlrev_b64 v[40:41], 1, v[38:39]
	s_cbranch_vccnz .LBB297_72
; %bb.71:
	s_delay_alu instid0(VALU_DEP_1) | instskip(NEXT) | instid1(VALU_DEP_2)
	v_add_co_u32 v70, vcc_lo, v74, v40
	v_add_co_ci_u32_e32 v71, vcc_lo, v75, v41, vcc_lo
	flat_load_u16 v70, v[70:71]
	s_waitcnt vmcnt(0) lgkmcnt(0)
	v_mul_f16_e32 v70, v42, v70
	s_branch .LBB297_73
.LBB297_72:
	v_mov_b32_e32 v70, 0
.LBB297_73:
	v_pk_max_f16 v20, v20, v20
	v_pk_max_f16 v71, v6, v6
	;; [unrolled: 1-line block ×4, first 2 shown]
	s_delay_alu instid0(VALU_DEP_3) | instskip(NEXT) | instid1(VALU_DEP_2)
	v_pk_min_f16 v20, v71, v20
	v_pk_min_f16 v21, v74, v21
	s_delay_alu instid0(VALU_DEP_2) | instskip(NEXT) | instid1(VALU_DEP_1)
	v_pk_add_f16 v20, v69, v20
	v_pk_add_f16 v20, v20, v21
	s_delay_alu instid0(VALU_DEP_1) | instskip(NEXT) | instid1(VALU_DEP_1)
	v_lshrrev_b32_e32 v21, 16, v20
	v_add_f16_e32 v20, v20, v21
	s_delay_alu instid0(VALU_DEP_1)
	v_add_f16_e32 v69, v20, v70
	v_add_co_u32 v20, vcc_lo, v72, v40
	v_add_co_ci_u32_e32 v21, vcc_lo, v73, v41, vcc_lo
	global_store_b16 v[20:21], v69, off
.LBB297_74:
	s_or_b32 exec_lo, exec_lo, s8
	v_add_nc_u32_e32 v69, 32, v67
	s_delay_alu instid0(VALU_DEP_1) | instskip(SKIP_2) | instid1(VALU_DEP_3)
	v_mad_i64_i32 v[20:21], null, v69, s18, 0
	v_mad_i64_i32 v[40:41], null, v69, s9, 0
	v_cmp_gt_i32_e64 s8, s17, v69
	v_lshlrev_b64 v[20:21], 1, v[20:21]
	s_delay_alu instid0(VALU_DEP_2) | instskip(NEXT) | instid1(VALU_DEP_3)
	s_and_b32 s15, s0, s8
	v_lshlrev_b64 v[40:41], 1, v[40:41]
	s_delay_alu instid0(VALU_DEP_2) | instskip(NEXT) | instid1(VALU_DEP_3)
	v_add_co_u32 v69, vcc_lo, s12, v20
	v_add_co_ci_u32_e32 v70, vcc_lo, s13, v21, vcc_lo
	s_delay_alu instid0(VALU_DEP_3) | instskip(NEXT) | instid1(VALU_DEP_4)
	v_add_co_u32 v40, vcc_lo, s10, v40
	v_add_co_ci_u32_e32 v41, vcc_lo, s11, v41, vcc_lo
	s_and_saveexec_b32 s14, s15
	s_cbranch_execnz .LBB297_82
; %bb.75:
	s_or_b32 exec_lo, exec_lo, s14
	s_and_b32 s15, s1, s8
	s_delay_alu instid0(SALU_CYCLE_1)
	s_and_saveexec_b32 s14, s15
	s_cbranch_execnz .LBB297_86
.LBB297_76:
	s_or_b32 exec_lo, exec_lo, s14
	s_and_b32 s15, s2, s8
	s_delay_alu instid0(SALU_CYCLE_1)
	s_and_saveexec_b32 s14, s15
	s_cbranch_execnz .LBB297_90
.LBB297_77:
	s_or_b32 exec_lo, exec_lo, s14
	s_and_b32 s15, s3, s8
	s_delay_alu instid0(SALU_CYCLE_1)
	s_and_saveexec_b32 s14, s15
	s_cbranch_execnz .LBB297_94
.LBB297_78:
	s_or_b32 exec_lo, exec_lo, s14
	s_and_b32 s15, s4, s8
	s_delay_alu instid0(SALU_CYCLE_1)
	s_and_saveexec_b32 s14, s15
	s_cbranch_execnz .LBB297_98
.LBB297_79:
	s_or_b32 exec_lo, exec_lo, s14
	s_and_b32 s15, s5, s8
	s_delay_alu instid0(SALU_CYCLE_1)
	s_and_saveexec_b32 s14, s15
	s_cbranch_execnz .LBB297_102
.LBB297_80:
	s_or_b32 exec_lo, exec_lo, s14
	s_and_b32 s15, s6, s8
	s_delay_alu instid0(SALU_CYCLE_1)
	s_and_saveexec_b32 s14, s15
	s_cbranch_execnz .LBB297_106
.LBB297_81:
	s_or_b32 exec_lo, exec_lo, s14
	s_and_b32 s14, s7, s8
	s_delay_alu instid0(SALU_CYCLE_1)
	s_and_saveexec_b32 s8, s14
	s_cbranch_execnz .LBB297_110
	s_branch .LBB297_114
.LBB297_82:
	v_cmp_ne_u32_e32 vcc_lo, 1, v60
	v_lshlrev_b64 v[20:21], 1, v[24:25]
	s_cbranch_vccnz .LBB297_84
; %bb.83:
	s_delay_alu instid0(VALU_DEP_1) | instskip(NEXT) | instid1(VALU_DEP_2)
	v_add_co_u32 v71, vcc_lo, v69, v20
	v_add_co_ci_u32_e32 v72, vcc_lo, v70, v21, vcc_lo
	flat_load_u16 v71, v[71:72]
	s_waitcnt vmcnt(0) lgkmcnt(0)
	v_mul_f16_e32 v71, v42, v71
	s_branch .LBB297_85
.LBB297_84:
	v_mov_b32_e32 v71, 0
.LBB297_85:
	v_pk_max_f16 v72, v22, v22
	v_pk_max_f16 v73, v16, v16
	;; [unrolled: 1-line block ×4, first 2 shown]
	v_add_co_u32 v20, vcc_lo, v40, v20
	s_delay_alu instid0(VALU_DEP_4) | instskip(SKIP_1) | instid1(VALU_DEP_4)
	v_pk_min_f16 v72, v73, v72
	v_add_co_ci_u32_e32 v21, vcc_lo, v41, v21, vcc_lo
	v_pk_min_f16 v73, v75, v74
	s_delay_alu instid0(VALU_DEP_3) | instskip(NEXT) | instid1(VALU_DEP_1)
	v_pk_add_f16 v68, v68, v72
	v_pk_add_f16 v68, v68, v73
	s_delay_alu instid0(VALU_DEP_1) | instskip(NEXT) | instid1(VALU_DEP_1)
	v_lshrrev_b32_e32 v72, 16, v68
	v_add_f16_e32 v68, v68, v72
	s_delay_alu instid0(VALU_DEP_1) | instskip(SKIP_3) | instid1(SALU_CYCLE_1)
	v_add_f16_e32 v68, v68, v71
	global_store_b16 v[20:21], v68, off
	s_or_b32 exec_lo, exec_lo, s14
	s_and_b32 s15, s1, s8
	s_and_saveexec_b32 s14, s15
	s_cbranch_execz .LBB297_76
.LBB297_86:
	v_cmp_ne_u32_e32 vcc_lo, 1, v60
	v_lshlrev_b64 v[20:21], 1, v[26:27]
	s_cbranch_vccnz .LBB297_88
; %bb.87:
	s_delay_alu instid0(VALU_DEP_1) | instskip(NEXT) | instid1(VALU_DEP_2)
	v_add_co_u32 v71, vcc_lo, v69, v20
	v_add_co_ci_u32_e32 v72, vcc_lo, v70, v21, vcc_lo
	flat_load_u16 v68, v[71:72]
	s_waitcnt vmcnt(0) lgkmcnt(0)
	v_mul_f16_e32 v68, v42, v68
	s_branch .LBB297_89
.LBB297_88:
	v_mov_b32_e32 v68, 0
.LBB297_89:
	v_pk_max_f16 v71, v22, v22
	v_pk_max_f16 v72, v18, v18
	;; [unrolled: 1-line block ×4, first 2 shown]
	v_add_co_u32 v20, vcc_lo, v40, v20
	s_delay_alu instid0(VALU_DEP_4) | instskip(SKIP_1) | instid1(VALU_DEP_4)
	v_pk_min_f16 v71, v72, v71
	v_add_co_ci_u32_e32 v21, vcc_lo, v41, v21, vcc_lo
	v_pk_min_f16 v72, v74, v73
	s_delay_alu instid0(VALU_DEP_3) | instskip(NEXT) | instid1(VALU_DEP_1)
	v_pk_add_f16 v66, v66, v71
	v_pk_add_f16 v66, v66, v72
	s_delay_alu instid0(VALU_DEP_1) | instskip(NEXT) | instid1(VALU_DEP_1)
	v_lshrrev_b32_e32 v71, 16, v66
	v_add_f16_e32 v66, v66, v71
	s_delay_alu instid0(VALU_DEP_1) | instskip(SKIP_3) | instid1(SALU_CYCLE_1)
	v_add_f16_e32 v66, v66, v68
	global_store_b16 v[20:21], v66, off
	s_or_b32 exec_lo, exec_lo, s14
	s_and_b32 s15, s2, s8
	s_and_saveexec_b32 s14, s15
	s_cbranch_execz .LBB297_77
.LBB297_90:
	v_cmp_ne_u32_e32 vcc_lo, 1, v60
	v_lshlrev_b64 v[20:21], 1, v[28:29]
	s_cbranch_vccnz .LBB297_92
; %bb.91:
	s_delay_alu instid0(VALU_DEP_1) | instskip(NEXT) | instid1(VALU_DEP_2)
	v_add_co_u32 v71, vcc_lo, v69, v20
	v_add_co_ci_u32_e32 v72, vcc_lo, v70, v21, vcc_lo
	flat_load_u16 v66, v[71:72]
	s_waitcnt vmcnt(0) lgkmcnt(0)
	v_mul_f16_e32 v66, v42, v66
	s_branch .LBB297_93
.LBB297_92:
	v_mov_b32_e32 v66, 0
.LBB297_93:
	v_pk_max_f16 v68, v22, v22
	v_pk_max_f16 v71, v12, v12
	;; [unrolled: 1-line block ×4, first 2 shown]
	v_add_co_u32 v20, vcc_lo, v40, v20
	s_delay_alu instid0(VALU_DEP_4) | instskip(SKIP_1) | instid1(VALU_DEP_4)
	v_pk_min_f16 v68, v71, v68
	v_add_co_ci_u32_e32 v21, vcc_lo, v41, v21, vcc_lo
	v_pk_min_f16 v71, v73, v72
	s_delay_alu instid0(VALU_DEP_3) | instskip(NEXT) | instid1(VALU_DEP_1)
	v_pk_add_f16 v65, v65, v68
	v_pk_add_f16 v65, v65, v71
	s_delay_alu instid0(VALU_DEP_1) | instskip(NEXT) | instid1(VALU_DEP_1)
	v_lshrrev_b32_e32 v68, 16, v65
	v_add_f16_e32 v65, v65, v68
	s_delay_alu instid0(VALU_DEP_1) | instskip(SKIP_3) | instid1(SALU_CYCLE_1)
	v_add_f16_e32 v65, v65, v66
	global_store_b16 v[20:21], v65, off
	s_or_b32 exec_lo, exec_lo, s14
	s_and_b32 s15, s3, s8
	s_and_saveexec_b32 s14, s15
	s_cbranch_execz .LBB297_78
.LBB297_94:
	v_cmp_ne_u32_e32 vcc_lo, 1, v60
	v_lshlrev_b64 v[20:21], 1, v[30:31]
	s_cbranch_vccnz .LBB297_96
; %bb.95:
	s_delay_alu instid0(VALU_DEP_1) | instskip(NEXT) | instid1(VALU_DEP_2)
	v_add_co_u32 v65, vcc_lo, v69, v20
	v_add_co_ci_u32_e32 v66, vcc_lo, v70, v21, vcc_lo
	flat_load_u16 v65, v[65:66]
	s_waitcnt vmcnt(0) lgkmcnt(0)
	v_mul_f16_e32 v65, v42, v65
	s_branch .LBB297_97
.LBB297_96:
	v_mov_b32_e32 v65, 0
.LBB297_97:
	v_pk_max_f16 v66, v22, v22
	v_pk_max_f16 v68, v14, v14
	;; [unrolled: 1-line block ×4, first 2 shown]
	v_add_co_u32 v20, vcc_lo, v40, v20
	s_delay_alu instid0(VALU_DEP_4) | instskip(SKIP_1) | instid1(VALU_DEP_4)
	v_pk_min_f16 v66, v68, v66
	v_add_co_ci_u32_e32 v21, vcc_lo, v41, v21, vcc_lo
	v_pk_min_f16 v68, v72, v71
	s_delay_alu instid0(VALU_DEP_3) | instskip(NEXT) | instid1(VALU_DEP_1)
	v_pk_add_f16 v64, v64, v66
	v_pk_add_f16 v64, v64, v68
	s_delay_alu instid0(VALU_DEP_1) | instskip(NEXT) | instid1(VALU_DEP_1)
	v_lshrrev_b32_e32 v66, 16, v64
	v_add_f16_e32 v64, v64, v66
	s_delay_alu instid0(VALU_DEP_1) | instskip(SKIP_3) | instid1(SALU_CYCLE_1)
	v_add_f16_e32 v64, v64, v65
	global_store_b16 v[20:21], v64, off
	s_or_b32 exec_lo, exec_lo, s14
	s_and_b32 s15, s4, s8
	s_and_saveexec_b32 s14, s15
	s_cbranch_execz .LBB297_79
.LBB297_98:
	v_cmp_ne_u32_e32 vcc_lo, 1, v60
	v_lshlrev_b64 v[20:21], 1, v[32:33]
	s_cbranch_vccnz .LBB297_100
; %bb.99:
	s_delay_alu instid0(VALU_DEP_1) | instskip(NEXT) | instid1(VALU_DEP_2)
	v_add_co_u32 v64, vcc_lo, v69, v20
	v_add_co_ci_u32_e32 v65, vcc_lo, v70, v21, vcc_lo
	flat_load_u16 v64, v[64:65]
	s_waitcnt vmcnt(0) lgkmcnt(0)
	v_mul_f16_e32 v64, v42, v64
	s_branch .LBB297_101
.LBB297_100:
	v_mov_b32_e32 v64, 0
.LBB297_101:
	v_pk_max_f16 v65, v22, v22
	v_pk_max_f16 v66, v8, v8
	;; [unrolled: 1-line block ×4, first 2 shown]
	v_add_co_u32 v20, vcc_lo, v40, v20
	s_delay_alu instid0(VALU_DEP_4) | instskip(SKIP_1) | instid1(VALU_DEP_4)
	v_pk_min_f16 v65, v66, v65
	v_add_co_ci_u32_e32 v21, vcc_lo, v41, v21, vcc_lo
	v_pk_min_f16 v66, v71, v68
	s_delay_alu instid0(VALU_DEP_3) | instskip(NEXT) | instid1(VALU_DEP_1)
	v_pk_add_f16 v63, v63, v65
	v_pk_add_f16 v63, v63, v66
	s_delay_alu instid0(VALU_DEP_1) | instskip(NEXT) | instid1(VALU_DEP_1)
	v_lshrrev_b32_e32 v65, 16, v63
	v_add_f16_e32 v63, v63, v65
	s_delay_alu instid0(VALU_DEP_1) | instskip(SKIP_3) | instid1(SALU_CYCLE_1)
	v_add_f16_e32 v63, v63, v64
	global_store_b16 v[20:21], v63, off
	s_or_b32 exec_lo, exec_lo, s14
	s_and_b32 s15, s5, s8
	s_and_saveexec_b32 s14, s15
	s_cbranch_execz .LBB297_80
.LBB297_102:
	v_cmp_ne_u32_e32 vcc_lo, 1, v60
	v_lshlrev_b64 v[20:21], 1, v[34:35]
	s_cbranch_vccnz .LBB297_104
; %bb.103:
	s_delay_alu instid0(VALU_DEP_1) | instskip(NEXT) | instid1(VALU_DEP_2)
	v_add_co_u32 v63, vcc_lo, v69, v20
	v_add_co_ci_u32_e32 v64, vcc_lo, v70, v21, vcc_lo
	flat_load_u16 v63, v[63:64]
	s_waitcnt vmcnt(0) lgkmcnt(0)
	v_mul_f16_e32 v63, v42, v63
	s_branch .LBB297_105
.LBB297_104:
	v_mov_b32_e32 v63, 0
.LBB297_105:
	v_pk_max_f16 v64, v22, v22
	v_pk_max_f16 v65, v10, v10
	;; [unrolled: 1-line block ×4, first 2 shown]
	v_add_co_u32 v20, vcc_lo, v40, v20
	s_delay_alu instid0(VALU_DEP_4) | instskip(SKIP_1) | instid1(VALU_DEP_4)
	v_pk_min_f16 v64, v65, v64
	v_add_co_ci_u32_e32 v21, vcc_lo, v41, v21, vcc_lo
	v_pk_min_f16 v65, v68, v66
	s_delay_alu instid0(VALU_DEP_3) | instskip(NEXT) | instid1(VALU_DEP_1)
	v_pk_add_f16 v62, v62, v64
	v_pk_add_f16 v62, v62, v65
	s_delay_alu instid0(VALU_DEP_1) | instskip(NEXT) | instid1(VALU_DEP_1)
	v_lshrrev_b32_e32 v64, 16, v62
	v_add_f16_e32 v62, v62, v64
	s_delay_alu instid0(VALU_DEP_1) | instskip(SKIP_3) | instid1(SALU_CYCLE_1)
	v_add_f16_e32 v62, v62, v63
	global_store_b16 v[20:21], v62, off
	s_or_b32 exec_lo, exec_lo, s14
	s_and_b32 s15, s6, s8
	s_and_saveexec_b32 s14, s15
	s_cbranch_execz .LBB297_81
.LBB297_106:
	v_cmp_ne_u32_e32 vcc_lo, 1, v60
	v_lshlrev_b64 v[20:21], 1, v[36:37]
	s_cbranch_vccnz .LBB297_108
; %bb.107:
	s_delay_alu instid0(VALU_DEP_1) | instskip(NEXT) | instid1(VALU_DEP_2)
	v_add_co_u32 v62, vcc_lo, v69, v20
	v_add_co_ci_u32_e32 v63, vcc_lo, v70, v21, vcc_lo
	flat_load_u16 v62, v[62:63]
	s_waitcnt vmcnt(0) lgkmcnt(0)
	v_mul_f16_e32 v62, v42, v62
	s_branch .LBB297_109
.LBB297_108:
	v_mov_b32_e32 v62, 0
.LBB297_109:
	v_pk_max_f16 v63, v22, v22
	v_pk_max_f16 v64, v4, v4
	;; [unrolled: 1-line block ×4, first 2 shown]
	v_add_co_u32 v20, vcc_lo, v40, v20
	s_delay_alu instid0(VALU_DEP_4) | instskip(SKIP_1) | instid1(VALU_DEP_4)
	v_pk_min_f16 v63, v64, v63
	v_add_co_ci_u32_e32 v21, vcc_lo, v41, v21, vcc_lo
	v_pk_min_f16 v64, v66, v65
	s_delay_alu instid0(VALU_DEP_3) | instskip(NEXT) | instid1(VALU_DEP_1)
	v_pk_add_f16 v61, v61, v63
	v_pk_add_f16 v61, v61, v64
	s_delay_alu instid0(VALU_DEP_1) | instskip(NEXT) | instid1(VALU_DEP_1)
	v_lshrrev_b32_e32 v63, 16, v61
	v_add_f16_e32 v61, v61, v63
	s_delay_alu instid0(VALU_DEP_1) | instskip(SKIP_3) | instid1(SALU_CYCLE_1)
	v_add_f16_e32 v61, v61, v62
	global_store_b16 v[20:21], v61, off
	s_or_b32 exec_lo, exec_lo, s14
	s_and_b32 s14, s7, s8
	s_and_saveexec_b32 s8, s14
	s_cbranch_execz .LBB297_114
.LBB297_110:
	v_cmp_ne_u32_e32 vcc_lo, 1, v60
	v_lshlrev_b64 v[20:21], 1, v[38:39]
	s_cbranch_vccnz .LBB297_112
; %bb.111:
	s_delay_alu instid0(VALU_DEP_1) | instskip(NEXT) | instid1(VALU_DEP_2)
	v_add_co_u32 v61, vcc_lo, v69, v20
	v_add_co_ci_u32_e32 v62, vcc_lo, v70, v21, vcc_lo
	flat_load_u16 v61, v[61:62]
	s_waitcnt vmcnt(0) lgkmcnt(0)
	v_mul_f16_e32 v61, v42, v61
	s_branch .LBB297_113
.LBB297_112:
	v_mov_b32_e32 v61, 0
.LBB297_113:
	v_pk_max_f16 v22, v22, v22
	v_pk_max_f16 v62, v6, v6
	;; [unrolled: 1-line block ×4, first 2 shown]
	v_add_co_u32 v20, vcc_lo, v40, v20
	s_delay_alu instid0(VALU_DEP_4) | instskip(SKIP_1) | instid1(VALU_DEP_4)
	v_pk_min_f16 v22, v62, v22
	v_add_co_ci_u32_e32 v21, vcc_lo, v41, v21, vcc_lo
	v_pk_min_f16 v23, v63, v23
	s_delay_alu instid0(VALU_DEP_3) | instskip(NEXT) | instid1(VALU_DEP_1)
	v_pk_add_f16 v22, v59, v22
	v_pk_add_f16 v22, v22, v23
	s_delay_alu instid0(VALU_DEP_1) | instskip(NEXT) | instid1(VALU_DEP_1)
	v_lshrrev_b32_e32 v23, 16, v22
	v_add_f16_e32 v22, v22, v23
	s_delay_alu instid0(VALU_DEP_1)
	v_add_f16_e32 v22, v22, v61
	global_store_b16 v[20:21], v22, off
.LBB297_114:
	s_or_b32 exec_lo, exec_lo, s8
	v_add_nc_u32_e32 v40, 64, v67
	s_delay_alu instid0(VALU_DEP_1) | instskip(SKIP_2) | instid1(VALU_DEP_3)
	v_mad_i64_i32 v[20:21], null, v40, s18, 0
	v_mad_i64_i32 v[22:23], null, v40, s9, 0
	v_cmp_gt_i32_e64 s8, s17, v40
	v_lshlrev_b64 v[20:21], 1, v[20:21]
	s_delay_alu instid0(VALU_DEP_2) | instskip(NEXT) | instid1(VALU_DEP_3)
	s_and_b32 s15, s0, s8
	v_lshlrev_b64 v[22:23], 1, v[22:23]
	s_delay_alu instid0(VALU_DEP_2) | instskip(NEXT) | instid1(VALU_DEP_3)
	v_add_co_u32 v40, vcc_lo, s12, v20
	v_add_co_ci_u32_e32 v41, vcc_lo, s13, v21, vcc_lo
	s_delay_alu instid0(VALU_DEP_3) | instskip(NEXT) | instid1(VALU_DEP_4)
	v_add_co_u32 v22, vcc_lo, s10, v22
	v_add_co_ci_u32_e32 v23, vcc_lo, s11, v23, vcc_lo
	s_and_saveexec_b32 s14, s15
	s_cbranch_execnz .LBB297_122
; %bb.115:
	s_or_b32 exec_lo, exec_lo, s14
	s_and_b32 s15, s1, s8
	s_delay_alu instid0(SALU_CYCLE_1)
	s_and_saveexec_b32 s14, s15
	s_cbranch_execnz .LBB297_126
.LBB297_116:
	s_or_b32 exec_lo, exec_lo, s14
	s_and_b32 s15, s2, s8
	s_delay_alu instid0(SALU_CYCLE_1)
	s_and_saveexec_b32 s14, s15
	s_cbranch_execnz .LBB297_130
.LBB297_117:
	s_or_b32 exec_lo, exec_lo, s14
	s_and_b32 s15, s3, s8
	s_delay_alu instid0(SALU_CYCLE_1)
	s_and_saveexec_b32 s14, s15
	s_cbranch_execnz .LBB297_134
.LBB297_118:
	s_or_b32 exec_lo, exec_lo, s14
	s_and_b32 s15, s4, s8
	s_delay_alu instid0(SALU_CYCLE_1)
	s_and_saveexec_b32 s14, s15
	s_cbranch_execnz .LBB297_138
.LBB297_119:
	s_or_b32 exec_lo, exec_lo, s14
	s_and_b32 s15, s5, s8
	s_delay_alu instid0(SALU_CYCLE_1)
	s_and_saveexec_b32 s14, s15
	s_cbranch_execnz .LBB297_142
.LBB297_120:
	s_or_b32 exec_lo, exec_lo, s14
	s_and_b32 s15, s6, s8
	s_delay_alu instid0(SALU_CYCLE_1)
	s_and_saveexec_b32 s14, s15
	s_cbranch_execnz .LBB297_146
.LBB297_121:
	s_or_b32 exec_lo, exec_lo, s14
	s_and_b32 s14, s7, s8
	s_delay_alu instid0(SALU_CYCLE_1)
	s_and_saveexec_b32 s8, s14
	s_cbranch_execnz .LBB297_150
	s_branch .LBB297_154
.LBB297_122:
	v_cmp_ne_u32_e32 vcc_lo, 1, v60
	v_lshlrev_b64 v[20:21], 1, v[24:25]
	s_cbranch_vccnz .LBB297_124
; %bb.123:
	s_delay_alu instid0(VALU_DEP_1) | instskip(NEXT) | instid1(VALU_DEP_2)
	v_add_co_u32 v61, vcc_lo, v40, v20
	v_add_co_ci_u32_e32 v62, vcc_lo, v41, v21, vcc_lo
	flat_load_u16 v59, v[61:62]
	s_waitcnt vmcnt(0) lgkmcnt(0)
	v_mul_f16_e32 v59, v42, v59
	s_branch .LBB297_125
.LBB297_124:
	v_mov_b32_e32 v59, 0
.LBB297_125:
	v_pk_max_f16 v61, v0, v0
	v_pk_max_f16 v62, v16, v16
	;; [unrolled: 1-line block ×4, first 2 shown]
	v_add_co_u32 v20, vcc_lo, v22, v20
	s_delay_alu instid0(VALU_DEP_4) | instskip(SKIP_1) | instid1(VALU_DEP_4)
	v_pk_min_f16 v61, v62, v61
	v_add_co_ci_u32_e32 v21, vcc_lo, v23, v21, vcc_lo
	v_pk_min_f16 v62, v64, v63
	s_delay_alu instid0(VALU_DEP_3) | instskip(NEXT) | instid1(VALU_DEP_1)
	v_pk_add_f16 v58, v58, v61
	v_pk_add_f16 v58, v58, v62
	s_delay_alu instid0(VALU_DEP_1) | instskip(NEXT) | instid1(VALU_DEP_1)
	v_lshrrev_b32_e32 v61, 16, v58
	v_add_f16_e32 v58, v58, v61
	s_delay_alu instid0(VALU_DEP_1) | instskip(SKIP_3) | instid1(SALU_CYCLE_1)
	v_add_f16_e32 v58, v58, v59
	global_store_b16 v[20:21], v58, off
	s_or_b32 exec_lo, exec_lo, s14
	s_and_b32 s15, s1, s8
	s_and_saveexec_b32 s14, s15
	s_cbranch_execz .LBB297_116
.LBB297_126:
	v_cmp_ne_u32_e32 vcc_lo, 1, v60
	v_lshlrev_b64 v[20:21], 1, v[26:27]
	s_cbranch_vccnz .LBB297_128
; %bb.127:
	s_delay_alu instid0(VALU_DEP_1) | instskip(NEXT) | instid1(VALU_DEP_2)
	v_add_co_u32 v58, vcc_lo, v40, v20
	v_add_co_ci_u32_e32 v59, vcc_lo, v41, v21, vcc_lo
	flat_load_u16 v58, v[58:59]
	s_waitcnt vmcnt(0) lgkmcnt(0)
	v_mul_f16_e32 v58, v42, v58
	s_branch .LBB297_129
.LBB297_128:
	v_mov_b32_e32 v58, 0
.LBB297_129:
	v_pk_max_f16 v59, v0, v0
	v_pk_max_f16 v61, v18, v18
	v_pk_max_f16 v62, v1, v1
	v_pk_max_f16 v63, v19, v19
	v_add_co_u32 v20, vcc_lo, v22, v20
	s_delay_alu instid0(VALU_DEP_4) | instskip(SKIP_1) | instid1(VALU_DEP_4)
	v_pk_min_f16 v59, v61, v59
	v_add_co_ci_u32_e32 v21, vcc_lo, v23, v21, vcc_lo
	v_pk_min_f16 v61, v63, v62
	s_delay_alu instid0(VALU_DEP_3) | instskip(NEXT) | instid1(VALU_DEP_1)
	v_pk_add_f16 v57, v57, v59
	v_pk_add_f16 v57, v57, v61
	s_delay_alu instid0(VALU_DEP_1) | instskip(NEXT) | instid1(VALU_DEP_1)
	v_lshrrev_b32_e32 v59, 16, v57
	v_add_f16_e32 v57, v57, v59
	s_delay_alu instid0(VALU_DEP_1) | instskip(SKIP_3) | instid1(SALU_CYCLE_1)
	v_add_f16_e32 v57, v57, v58
	global_store_b16 v[20:21], v57, off
	s_or_b32 exec_lo, exec_lo, s14
	s_and_b32 s15, s2, s8
	s_and_saveexec_b32 s14, s15
	s_cbranch_execz .LBB297_117
.LBB297_130:
	v_cmp_ne_u32_e32 vcc_lo, 1, v60
	v_lshlrev_b64 v[20:21], 1, v[28:29]
	s_cbranch_vccnz .LBB297_132
; %bb.131:
	s_delay_alu instid0(VALU_DEP_1) | instskip(NEXT) | instid1(VALU_DEP_2)
	v_add_co_u32 v57, vcc_lo, v40, v20
	v_add_co_ci_u32_e32 v58, vcc_lo, v41, v21, vcc_lo
	flat_load_u16 v57, v[57:58]
	s_waitcnt vmcnt(0) lgkmcnt(0)
	v_mul_f16_e32 v57, v42, v57
	s_branch .LBB297_133
.LBB297_132:
	v_mov_b32_e32 v57, 0
.LBB297_133:
	v_pk_max_f16 v58, v0, v0
	v_pk_max_f16 v59, v12, v12
	;; [unrolled: 1-line block ×4, first 2 shown]
	v_add_co_u32 v20, vcc_lo, v22, v20
	s_delay_alu instid0(VALU_DEP_4) | instskip(SKIP_1) | instid1(VALU_DEP_4)
	v_pk_min_f16 v58, v59, v58
	v_add_co_ci_u32_e32 v21, vcc_lo, v23, v21, vcc_lo
	v_pk_min_f16 v59, v62, v61
	s_delay_alu instid0(VALU_DEP_3) | instskip(NEXT) | instid1(VALU_DEP_1)
	v_pk_add_f16 v56, v56, v58
	v_pk_add_f16 v56, v56, v59
	s_delay_alu instid0(VALU_DEP_1) | instskip(NEXT) | instid1(VALU_DEP_1)
	v_lshrrev_b32_e32 v58, 16, v56
	v_add_f16_e32 v56, v56, v58
	s_delay_alu instid0(VALU_DEP_1) | instskip(SKIP_3) | instid1(SALU_CYCLE_1)
	v_add_f16_e32 v56, v56, v57
	global_store_b16 v[20:21], v56, off
	s_or_b32 exec_lo, exec_lo, s14
	s_and_b32 s15, s3, s8
	s_and_saveexec_b32 s14, s15
	s_cbranch_execz .LBB297_118
.LBB297_134:
	v_cmp_ne_u32_e32 vcc_lo, 1, v60
	v_lshlrev_b64 v[20:21], 1, v[30:31]
	s_cbranch_vccnz .LBB297_136
; %bb.135:
	s_delay_alu instid0(VALU_DEP_1) | instskip(NEXT) | instid1(VALU_DEP_2)
	v_add_co_u32 v56, vcc_lo, v40, v20
	v_add_co_ci_u32_e32 v57, vcc_lo, v41, v21, vcc_lo
	flat_load_u16 v56, v[56:57]
	s_waitcnt vmcnt(0) lgkmcnt(0)
	v_mul_f16_e32 v56, v42, v56
	s_branch .LBB297_137
.LBB297_136:
	v_mov_b32_e32 v56, 0
.LBB297_137:
	v_pk_max_f16 v57, v0, v0
	v_pk_max_f16 v58, v14, v14
	;; [unrolled: 1-line block ×4, first 2 shown]
	v_add_co_u32 v20, vcc_lo, v22, v20
	s_delay_alu instid0(VALU_DEP_4) | instskip(SKIP_1) | instid1(VALU_DEP_4)
	v_pk_min_f16 v57, v58, v57
	v_add_co_ci_u32_e32 v21, vcc_lo, v23, v21, vcc_lo
	v_pk_min_f16 v58, v61, v59
	s_delay_alu instid0(VALU_DEP_3) | instskip(NEXT) | instid1(VALU_DEP_1)
	v_pk_add_f16 v55, v55, v57
	v_pk_add_f16 v55, v55, v58
	s_delay_alu instid0(VALU_DEP_1) | instskip(NEXT) | instid1(VALU_DEP_1)
	v_lshrrev_b32_e32 v57, 16, v55
	v_add_f16_e32 v55, v55, v57
	s_delay_alu instid0(VALU_DEP_1) | instskip(SKIP_3) | instid1(SALU_CYCLE_1)
	v_add_f16_e32 v55, v55, v56
	global_store_b16 v[20:21], v55, off
	s_or_b32 exec_lo, exec_lo, s14
	s_and_b32 s15, s4, s8
	s_and_saveexec_b32 s14, s15
	s_cbranch_execz .LBB297_119
.LBB297_138:
	v_cmp_ne_u32_e32 vcc_lo, 1, v60
	v_lshlrev_b64 v[20:21], 1, v[32:33]
	s_cbranch_vccnz .LBB297_140
; %bb.139:
	s_delay_alu instid0(VALU_DEP_1) | instskip(NEXT) | instid1(VALU_DEP_2)
	v_add_co_u32 v55, vcc_lo, v40, v20
	v_add_co_ci_u32_e32 v56, vcc_lo, v41, v21, vcc_lo
	flat_load_u16 v55, v[55:56]
	s_waitcnt vmcnt(0) lgkmcnt(0)
	v_mul_f16_e32 v55, v42, v55
	s_branch .LBB297_141
.LBB297_140:
	v_mov_b32_e32 v55, 0
.LBB297_141:
	v_pk_max_f16 v56, v0, v0
	v_pk_max_f16 v57, v8, v8
	v_pk_max_f16 v58, v1, v1
	v_pk_max_f16 v59, v9, v9
	v_add_co_u32 v20, vcc_lo, v22, v20
	s_delay_alu instid0(VALU_DEP_4) | instskip(SKIP_1) | instid1(VALU_DEP_4)
	v_pk_min_f16 v56, v57, v56
	v_add_co_ci_u32_e32 v21, vcc_lo, v23, v21, vcc_lo
	v_pk_min_f16 v57, v59, v58
	s_delay_alu instid0(VALU_DEP_3) | instskip(NEXT) | instid1(VALU_DEP_1)
	v_pk_add_f16 v54, v54, v56
	v_pk_add_f16 v54, v54, v57
	s_delay_alu instid0(VALU_DEP_1) | instskip(NEXT) | instid1(VALU_DEP_1)
	v_lshrrev_b32_e32 v56, 16, v54
	v_add_f16_e32 v54, v54, v56
	s_delay_alu instid0(VALU_DEP_1) | instskip(SKIP_3) | instid1(SALU_CYCLE_1)
	v_add_f16_e32 v54, v54, v55
	global_store_b16 v[20:21], v54, off
	s_or_b32 exec_lo, exec_lo, s14
	s_and_b32 s15, s5, s8
	s_and_saveexec_b32 s14, s15
	s_cbranch_execz .LBB297_120
.LBB297_142:
	v_cmp_ne_u32_e32 vcc_lo, 1, v60
	v_lshlrev_b64 v[20:21], 1, v[34:35]
	s_cbranch_vccnz .LBB297_144
; %bb.143:
	s_delay_alu instid0(VALU_DEP_1) | instskip(NEXT) | instid1(VALU_DEP_2)
	v_add_co_u32 v54, vcc_lo, v40, v20
	v_add_co_ci_u32_e32 v55, vcc_lo, v41, v21, vcc_lo
	flat_load_u16 v54, v[54:55]
	s_waitcnt vmcnt(0) lgkmcnt(0)
	v_mul_f16_e32 v54, v42, v54
	s_branch .LBB297_145
.LBB297_144:
	v_mov_b32_e32 v54, 0
.LBB297_145:
	v_pk_max_f16 v55, v0, v0
	v_pk_max_f16 v56, v10, v10
	;; [unrolled: 1-line block ×4, first 2 shown]
	v_add_co_u32 v20, vcc_lo, v22, v20
	s_delay_alu instid0(VALU_DEP_4) | instskip(SKIP_1) | instid1(VALU_DEP_4)
	v_pk_min_f16 v55, v56, v55
	v_add_co_ci_u32_e32 v21, vcc_lo, v23, v21, vcc_lo
	v_pk_min_f16 v56, v58, v57
	s_delay_alu instid0(VALU_DEP_3) | instskip(NEXT) | instid1(VALU_DEP_1)
	v_pk_add_f16 v53, v53, v55
	v_pk_add_f16 v53, v53, v56
	s_delay_alu instid0(VALU_DEP_1) | instskip(NEXT) | instid1(VALU_DEP_1)
	v_lshrrev_b32_e32 v55, 16, v53
	v_add_f16_e32 v53, v53, v55
	s_delay_alu instid0(VALU_DEP_1) | instskip(SKIP_3) | instid1(SALU_CYCLE_1)
	v_add_f16_e32 v53, v53, v54
	global_store_b16 v[20:21], v53, off
	s_or_b32 exec_lo, exec_lo, s14
	s_and_b32 s15, s6, s8
	s_and_saveexec_b32 s14, s15
	s_cbranch_execz .LBB297_121
.LBB297_146:
	v_cmp_ne_u32_e32 vcc_lo, 1, v60
	v_lshlrev_b64 v[20:21], 1, v[36:37]
	s_cbranch_vccnz .LBB297_148
; %bb.147:
	s_delay_alu instid0(VALU_DEP_1) | instskip(NEXT) | instid1(VALU_DEP_2)
	v_add_co_u32 v53, vcc_lo, v40, v20
	v_add_co_ci_u32_e32 v54, vcc_lo, v41, v21, vcc_lo
	flat_load_u16 v53, v[53:54]
	s_waitcnt vmcnt(0) lgkmcnt(0)
	v_mul_f16_e32 v53, v42, v53
	s_branch .LBB297_149
.LBB297_148:
	v_mov_b32_e32 v53, 0
.LBB297_149:
	v_pk_max_f16 v54, v0, v0
	v_pk_max_f16 v55, v4, v4
	;; [unrolled: 1-line block ×4, first 2 shown]
	v_add_co_u32 v20, vcc_lo, v22, v20
	s_delay_alu instid0(VALU_DEP_4) | instskip(SKIP_1) | instid1(VALU_DEP_4)
	v_pk_min_f16 v54, v55, v54
	v_add_co_ci_u32_e32 v21, vcc_lo, v23, v21, vcc_lo
	v_pk_min_f16 v55, v57, v56
	s_delay_alu instid0(VALU_DEP_3) | instskip(NEXT) | instid1(VALU_DEP_1)
	v_pk_add_f16 v52, v52, v54
	v_pk_add_f16 v52, v52, v55
	s_delay_alu instid0(VALU_DEP_1) | instskip(NEXT) | instid1(VALU_DEP_1)
	v_lshrrev_b32_e32 v54, 16, v52
	v_add_f16_e32 v52, v52, v54
	s_delay_alu instid0(VALU_DEP_1) | instskip(SKIP_3) | instid1(SALU_CYCLE_1)
	v_add_f16_e32 v52, v52, v53
	global_store_b16 v[20:21], v52, off
	s_or_b32 exec_lo, exec_lo, s14
	s_and_b32 s14, s7, s8
	s_and_saveexec_b32 s8, s14
	s_cbranch_execz .LBB297_154
.LBB297_150:
	v_cmp_ne_u32_e32 vcc_lo, 1, v60
	v_lshlrev_b64 v[20:21], 1, v[38:39]
	s_cbranch_vccnz .LBB297_152
; %bb.151:
	s_delay_alu instid0(VALU_DEP_1) | instskip(NEXT) | instid1(VALU_DEP_2)
	v_add_co_u32 v40, vcc_lo, v40, v20
	v_add_co_ci_u32_e32 v41, vcc_lo, v41, v21, vcc_lo
	flat_load_u16 v40, v[40:41]
	s_waitcnt vmcnt(0) lgkmcnt(0)
	v_mul_f16_e32 v40, v42, v40
	s_branch .LBB297_153
.LBB297_152:
	v_mov_b32_e32 v40, 0
.LBB297_153:
	v_pk_max_f16 v0, v0, v0
	v_pk_max_f16 v41, v6, v6
	;; [unrolled: 1-line block ×4, first 2 shown]
	s_delay_alu instid0(VALU_DEP_3) | instskip(NEXT) | instid1(VALU_DEP_2)
	v_pk_min_f16 v0, v41, v0
	v_pk_min_f16 v1, v52, v1
	s_delay_alu instid0(VALU_DEP_2) | instskip(NEXT) | instid1(VALU_DEP_1)
	v_pk_add_f16 v0, v51, v0
	v_pk_add_f16 v0, v0, v1
	s_delay_alu instid0(VALU_DEP_1) | instskip(NEXT) | instid1(VALU_DEP_1)
	v_lshrrev_b32_e32 v1, 16, v0
	v_add_f16_e32 v0, v0, v1
	s_delay_alu instid0(VALU_DEP_1)
	v_add_f16_e32 v40, v0, v40
	v_add_co_u32 v0, vcc_lo, v22, v20
	v_add_co_ci_u32_e32 v1, vcc_lo, v23, v21, vcc_lo
	global_store_b16 v[0:1], v40, off
.LBB297_154:
	s_or_b32 exec_lo, exec_lo, s8
	v_add_nc_u32_e32 v22, 0x60, v67
	s_delay_alu instid0(VALU_DEP_1) | instskip(SKIP_2) | instid1(VALU_DEP_3)
	v_mad_i64_i32 v[0:1], null, v22, s18, 0
	v_mad_i64_i32 v[20:21], null, v22, s9, 0
	v_cmp_gt_i32_e64 s8, s17, v22
	v_lshlrev_b64 v[0:1], 1, v[0:1]
	s_delay_alu instid0(VALU_DEP_2) | instskip(NEXT) | instid1(VALU_DEP_3)
	s_and_b32 s9, s0, s8
	v_lshlrev_b64 v[20:21], 1, v[20:21]
	s_delay_alu instid0(VALU_DEP_2) | instskip(NEXT) | instid1(VALU_DEP_3)
	v_add_co_u32 v22, vcc_lo, s12, v0
	v_add_co_ci_u32_e32 v23, vcc_lo, s13, v1, vcc_lo
	s_delay_alu instid0(VALU_DEP_3) | instskip(NEXT) | instid1(VALU_DEP_4)
	v_add_co_u32 v20, vcc_lo, s10, v20
	v_add_co_ci_u32_e32 v21, vcc_lo, s11, v21, vcc_lo
	s_and_saveexec_b32 s0, s9
	s_cbranch_execnz .LBB297_163
; %bb.155:
	s_or_b32 exec_lo, exec_lo, s0
	s_and_b32 s1, s1, s8
	s_delay_alu instid0(SALU_CYCLE_1)
	s_and_saveexec_b32 s0, s1
	s_cbranch_execnz .LBB297_167
.LBB297_156:
	s_or_b32 exec_lo, exec_lo, s0
	s_and_b32 s1, s2, s8
	s_delay_alu instid0(SALU_CYCLE_1)
	s_and_saveexec_b32 s0, s1
	s_cbranch_execnz .LBB297_171
.LBB297_157:
	s_or_b32 exec_lo, exec_lo, s0
	s_and_b32 s1, s3, s8
	s_delay_alu instid0(SALU_CYCLE_1)
	s_and_saveexec_b32 s0, s1
	s_cbranch_execnz .LBB297_175
.LBB297_158:
	s_or_b32 exec_lo, exec_lo, s0
	s_and_b32 s1, s4, s8
	s_delay_alu instid0(SALU_CYCLE_1)
	s_and_saveexec_b32 s0, s1
	s_cbranch_execnz .LBB297_179
.LBB297_159:
	s_or_b32 exec_lo, exec_lo, s0
	s_and_b32 s1, s5, s8
	s_delay_alu instid0(SALU_CYCLE_1)
	s_and_saveexec_b32 s0, s1
	s_cbranch_execnz .LBB297_183
.LBB297_160:
	s_or_b32 exec_lo, exec_lo, s0
	s_and_b32 s1, s6, s8
	s_delay_alu instid0(SALU_CYCLE_1)
	s_and_saveexec_b32 s0, s1
	s_cbranch_execnz .LBB297_187
.LBB297_161:
	s_or_b32 exec_lo, exec_lo, s0
	s_and_b32 s0, s7, s8
	s_delay_alu instid0(SALU_CYCLE_1)
	s_and_saveexec_b32 s1, s0
	s_cbranch_execnz .LBB297_191
.LBB297_162:
	s_nop 0
	s_sendmsg sendmsg(MSG_DEALLOC_VGPRS)
	s_endpgm
.LBB297_163:
	v_cmp_ne_u32_e32 vcc_lo, 1, v60
	v_lshlrev_b64 v[0:1], 1, v[24:25]
	s_cbranch_vccnz .LBB297_165
; %bb.164:
	s_delay_alu instid0(VALU_DEP_1) | instskip(NEXT) | instid1(VALU_DEP_2)
	v_add_co_u32 v24, vcc_lo, v22, v0
	v_add_co_ci_u32_e32 v25, vcc_lo, v23, v1, vcc_lo
	flat_load_u16 v24, v[24:25]
	s_waitcnt vmcnt(0) lgkmcnt(0)
	v_mul_f16_e32 v24, v42, v24
	s_branch .LBB297_166
.LBB297_165:
	v_mov_b32_e32 v24, 0
.LBB297_166:
	v_pk_max_f16 v25, v2, v2
	v_pk_max_f16 v16, v16, v16
	;; [unrolled: 1-line block ×4, first 2 shown]
	v_add_co_u32 v0, vcc_lo, v20, v0
	s_delay_alu instid0(VALU_DEP_4) | instskip(SKIP_1) | instid1(VALU_DEP_4)
	v_pk_min_f16 v16, v16, v25
	v_add_co_ci_u32_e32 v1, vcc_lo, v21, v1, vcc_lo
	v_pk_min_f16 v17, v17, v40
	s_delay_alu instid0(VALU_DEP_3) | instskip(NEXT) | instid1(VALU_DEP_1)
	v_pk_add_f16 v16, v50, v16
	v_pk_add_f16 v16, v16, v17
	s_delay_alu instid0(VALU_DEP_1) | instskip(NEXT) | instid1(VALU_DEP_1)
	v_lshrrev_b32_e32 v17, 16, v16
	v_add_f16_e32 v16, v16, v17
	s_delay_alu instid0(VALU_DEP_1) | instskip(SKIP_3) | instid1(SALU_CYCLE_1)
	v_add_f16_e32 v16, v16, v24
	global_store_b16 v[0:1], v16, off
	s_or_b32 exec_lo, exec_lo, s0
	s_and_b32 s1, s1, s8
	s_and_saveexec_b32 s0, s1
	s_cbranch_execz .LBB297_156
.LBB297_167:
	v_cmp_ne_u32_e32 vcc_lo, 1, v60
	v_lshlrev_b64 v[0:1], 1, v[26:27]
	s_cbranch_vccnz .LBB297_169
; %bb.168:
	s_delay_alu instid0(VALU_DEP_1) | instskip(NEXT) | instid1(VALU_DEP_2)
	v_add_co_u32 v16, vcc_lo, v22, v0
	v_add_co_ci_u32_e32 v17, vcc_lo, v23, v1, vcc_lo
	flat_load_u16 v16, v[16:17]
	s_waitcnt vmcnt(0) lgkmcnt(0)
	v_mul_f16_e32 v16, v42, v16
	s_branch .LBB297_170
.LBB297_169:
	v_mov_b32_e32 v16, 0
.LBB297_170:
	v_pk_max_f16 v17, v2, v2
	v_pk_max_f16 v18, v18, v18
	;; [unrolled: 1-line block ×4, first 2 shown]
	v_add_co_u32 v0, vcc_lo, v20, v0
	s_delay_alu instid0(VALU_DEP_4) | instskip(SKIP_1) | instid1(VALU_DEP_4)
	v_pk_min_f16 v17, v18, v17
	v_add_co_ci_u32_e32 v1, vcc_lo, v21, v1, vcc_lo
	v_pk_min_f16 v18, v19, v24
	s_delay_alu instid0(VALU_DEP_3) | instskip(NEXT) | instid1(VALU_DEP_1)
	v_pk_add_f16 v17, v49, v17
	v_pk_add_f16 v17, v17, v18
	s_delay_alu instid0(VALU_DEP_1) | instskip(NEXT) | instid1(VALU_DEP_1)
	v_lshrrev_b32_e32 v18, 16, v17
	v_add_f16_e32 v17, v17, v18
	s_delay_alu instid0(VALU_DEP_1) | instskip(SKIP_3) | instid1(SALU_CYCLE_1)
	v_add_f16_e32 v16, v17, v16
	global_store_b16 v[0:1], v16, off
	s_or_b32 exec_lo, exec_lo, s0
	s_and_b32 s1, s2, s8
	s_and_saveexec_b32 s0, s1
	s_cbranch_execz .LBB297_157
.LBB297_171:
	v_cmp_ne_u32_e32 vcc_lo, 1, v60
	v_lshlrev_b64 v[0:1], 1, v[28:29]
	s_cbranch_vccnz .LBB297_173
; %bb.172:
	s_delay_alu instid0(VALU_DEP_1) | instskip(NEXT) | instid1(VALU_DEP_2)
	v_add_co_u32 v16, vcc_lo, v22, v0
	v_add_co_ci_u32_e32 v17, vcc_lo, v23, v1, vcc_lo
	flat_load_u16 v16, v[16:17]
	s_waitcnt vmcnt(0) lgkmcnt(0)
	v_mul_f16_e32 v16, v42, v16
	s_branch .LBB297_174
.LBB297_173:
	v_mov_b32_e32 v16, 0
.LBB297_174:
	v_pk_max_f16 v17, v2, v2
	v_pk_max_f16 v12, v12, v12
	;; [unrolled: 1-line block ×4, first 2 shown]
	v_add_co_u32 v0, vcc_lo, v20, v0
	s_delay_alu instid0(VALU_DEP_4) | instskip(SKIP_1) | instid1(VALU_DEP_4)
	v_pk_min_f16 v12, v12, v17
	v_add_co_ci_u32_e32 v1, vcc_lo, v21, v1, vcc_lo
	v_pk_min_f16 v13, v13, v18
	s_delay_alu instid0(VALU_DEP_3) | instskip(NEXT) | instid1(VALU_DEP_1)
	v_pk_add_f16 v12, v48, v12
	v_pk_add_f16 v12, v12, v13
	s_delay_alu instid0(VALU_DEP_1) | instskip(NEXT) | instid1(VALU_DEP_1)
	v_lshrrev_b32_e32 v13, 16, v12
	v_add_f16_e32 v12, v12, v13
	s_delay_alu instid0(VALU_DEP_1) | instskip(SKIP_3) | instid1(SALU_CYCLE_1)
	v_add_f16_e32 v12, v12, v16
	global_store_b16 v[0:1], v12, off
	s_or_b32 exec_lo, exec_lo, s0
	s_and_b32 s1, s3, s8
	s_and_saveexec_b32 s0, s1
	s_cbranch_execz .LBB297_158
.LBB297_175:
	v_cmp_ne_u32_e32 vcc_lo, 1, v60
	v_lshlrev_b64 v[0:1], 1, v[30:31]
	s_cbranch_vccnz .LBB297_177
; %bb.176:
	s_delay_alu instid0(VALU_DEP_1) | instskip(NEXT) | instid1(VALU_DEP_2)
	v_add_co_u32 v12, vcc_lo, v22, v0
	v_add_co_ci_u32_e32 v13, vcc_lo, v23, v1, vcc_lo
	flat_load_u16 v12, v[12:13]
	s_waitcnt vmcnt(0) lgkmcnt(0)
	v_mul_f16_e32 v12, v42, v12
	s_branch .LBB297_178
.LBB297_177:
	v_mov_b32_e32 v12, 0
.LBB297_178:
	v_pk_max_f16 v13, v2, v2
	v_pk_max_f16 v14, v14, v14
	;; [unrolled: 1-line block ×4, first 2 shown]
	v_add_co_u32 v0, vcc_lo, v20, v0
	s_delay_alu instid0(VALU_DEP_4) | instskip(SKIP_1) | instid1(VALU_DEP_4)
	v_pk_min_f16 v13, v14, v13
	v_add_co_ci_u32_e32 v1, vcc_lo, v21, v1, vcc_lo
	v_pk_min_f16 v14, v15, v16
	s_delay_alu instid0(VALU_DEP_3) | instskip(NEXT) | instid1(VALU_DEP_1)
	v_pk_add_f16 v13, v47, v13
	v_pk_add_f16 v13, v13, v14
	s_delay_alu instid0(VALU_DEP_1) | instskip(NEXT) | instid1(VALU_DEP_1)
	v_lshrrev_b32_e32 v14, 16, v13
	v_add_f16_e32 v13, v13, v14
	s_delay_alu instid0(VALU_DEP_1) | instskip(SKIP_3) | instid1(SALU_CYCLE_1)
	v_add_f16_e32 v12, v13, v12
	global_store_b16 v[0:1], v12, off
	s_or_b32 exec_lo, exec_lo, s0
	s_and_b32 s1, s4, s8
	s_and_saveexec_b32 s0, s1
	s_cbranch_execz .LBB297_159
.LBB297_179:
	v_cmp_ne_u32_e32 vcc_lo, 1, v60
	v_lshlrev_b64 v[0:1], 1, v[32:33]
	s_cbranch_vccnz .LBB297_181
; %bb.180:
	s_delay_alu instid0(VALU_DEP_1) | instskip(NEXT) | instid1(VALU_DEP_2)
	v_add_co_u32 v12, vcc_lo, v22, v0
	v_add_co_ci_u32_e32 v13, vcc_lo, v23, v1, vcc_lo
	flat_load_u16 v12, v[12:13]
	s_waitcnt vmcnt(0) lgkmcnt(0)
	v_mul_f16_e32 v12, v42, v12
	s_branch .LBB297_182
.LBB297_181:
	v_mov_b32_e32 v12, 0
.LBB297_182:
	v_pk_max_f16 v13, v2, v2
	v_pk_max_f16 v8, v8, v8
	;; [unrolled: 1-line block ×4, first 2 shown]
	v_add_co_u32 v0, vcc_lo, v20, v0
	s_delay_alu instid0(VALU_DEP_4) | instskip(SKIP_1) | instid1(VALU_DEP_4)
	v_pk_min_f16 v8, v8, v13
	v_add_co_ci_u32_e32 v1, vcc_lo, v21, v1, vcc_lo
	v_pk_min_f16 v9, v9, v14
	s_delay_alu instid0(VALU_DEP_3) | instskip(NEXT) | instid1(VALU_DEP_1)
	v_pk_add_f16 v8, v46, v8
	v_pk_add_f16 v8, v8, v9
	s_delay_alu instid0(VALU_DEP_1) | instskip(NEXT) | instid1(VALU_DEP_1)
	v_lshrrev_b32_e32 v9, 16, v8
	v_add_f16_e32 v8, v8, v9
	s_delay_alu instid0(VALU_DEP_1) | instskip(SKIP_3) | instid1(SALU_CYCLE_1)
	v_add_f16_e32 v8, v8, v12
	global_store_b16 v[0:1], v8, off
	s_or_b32 exec_lo, exec_lo, s0
	s_and_b32 s1, s5, s8
	s_and_saveexec_b32 s0, s1
	s_cbranch_execz .LBB297_160
.LBB297_183:
	v_cmp_ne_u32_e32 vcc_lo, 1, v60
	v_lshlrev_b64 v[0:1], 1, v[34:35]
	s_cbranch_vccnz .LBB297_185
; %bb.184:
	s_delay_alu instid0(VALU_DEP_1) | instskip(NEXT) | instid1(VALU_DEP_2)
	v_add_co_u32 v8, vcc_lo, v22, v0
	v_add_co_ci_u32_e32 v9, vcc_lo, v23, v1, vcc_lo
	flat_load_u16 v8, v[8:9]
	s_waitcnt vmcnt(0) lgkmcnt(0)
	v_mul_f16_e32 v8, v42, v8
	s_branch .LBB297_186
.LBB297_185:
	v_mov_b32_e32 v8, 0
.LBB297_186:
	v_pk_max_f16 v9, v2, v2
	v_pk_max_f16 v10, v10, v10
	;; [unrolled: 1-line block ×4, first 2 shown]
	v_add_co_u32 v0, vcc_lo, v20, v0
	s_delay_alu instid0(VALU_DEP_4) | instskip(SKIP_1) | instid1(VALU_DEP_4)
	v_pk_min_f16 v9, v10, v9
	v_add_co_ci_u32_e32 v1, vcc_lo, v21, v1, vcc_lo
	v_pk_min_f16 v10, v11, v12
	s_delay_alu instid0(VALU_DEP_3) | instskip(NEXT) | instid1(VALU_DEP_1)
	v_pk_add_f16 v9, v45, v9
	v_pk_add_f16 v9, v9, v10
	s_delay_alu instid0(VALU_DEP_1) | instskip(NEXT) | instid1(VALU_DEP_1)
	v_lshrrev_b32_e32 v10, 16, v9
	v_add_f16_e32 v9, v9, v10
	s_delay_alu instid0(VALU_DEP_1) | instskip(SKIP_3) | instid1(SALU_CYCLE_1)
	v_add_f16_e32 v8, v9, v8
	global_store_b16 v[0:1], v8, off
	s_or_b32 exec_lo, exec_lo, s0
	s_and_b32 s1, s6, s8
	s_and_saveexec_b32 s0, s1
	s_cbranch_execz .LBB297_161
.LBB297_187:
	v_cmp_ne_u32_e32 vcc_lo, 1, v60
	v_lshlrev_b64 v[0:1], 1, v[36:37]
	s_cbranch_vccnz .LBB297_189
; %bb.188:
	s_delay_alu instid0(VALU_DEP_1) | instskip(NEXT) | instid1(VALU_DEP_2)
	v_add_co_u32 v8, vcc_lo, v22, v0
	v_add_co_ci_u32_e32 v9, vcc_lo, v23, v1, vcc_lo
	flat_load_u16 v8, v[8:9]
	s_waitcnt vmcnt(0) lgkmcnt(0)
	v_mul_f16_e32 v8, v42, v8
	s_branch .LBB297_190
.LBB297_189:
	v_mov_b32_e32 v8, 0
.LBB297_190:
	v_pk_max_f16 v9, v2, v2
	v_pk_max_f16 v4, v4, v4
	;; [unrolled: 1-line block ×4, first 2 shown]
	v_add_co_u32 v0, vcc_lo, v20, v0
	s_delay_alu instid0(VALU_DEP_4) | instskip(SKIP_1) | instid1(VALU_DEP_4)
	v_pk_min_f16 v4, v4, v9
	v_add_co_ci_u32_e32 v1, vcc_lo, v21, v1, vcc_lo
	v_pk_min_f16 v5, v5, v10
	s_delay_alu instid0(VALU_DEP_3) | instskip(NEXT) | instid1(VALU_DEP_1)
	v_pk_add_f16 v4, v44, v4
	v_pk_add_f16 v4, v4, v5
	s_delay_alu instid0(VALU_DEP_1) | instskip(NEXT) | instid1(VALU_DEP_1)
	v_lshrrev_b32_e32 v5, 16, v4
	v_add_f16_e32 v4, v4, v5
	s_delay_alu instid0(VALU_DEP_1) | instskip(SKIP_3) | instid1(SALU_CYCLE_1)
	v_add_f16_e32 v4, v4, v8
	global_store_b16 v[0:1], v4, off
	s_or_b32 exec_lo, exec_lo, s0
	s_and_b32 s0, s7, s8
	s_and_saveexec_b32 s1, s0
	s_cbranch_execz .LBB297_162
.LBB297_191:
	v_cmp_ne_u32_e32 vcc_lo, 1, v60
	v_lshlrev_b64 v[0:1], 1, v[38:39]
	s_cbranch_vccnz .LBB297_193
; %bb.192:
	s_delay_alu instid0(VALU_DEP_1) | instskip(NEXT) | instid1(VALU_DEP_2)
	v_add_co_u32 v4, vcc_lo, v22, v0
	v_add_co_ci_u32_e32 v5, vcc_lo, v23, v1, vcc_lo
	flat_load_u16 v4, v[4:5]
	s_waitcnt vmcnt(0) lgkmcnt(0)
	v_mul_f16_e32 v4, v42, v4
	s_branch .LBB297_194
.LBB297_193:
	v_mov_b32_e32 v4, 0
.LBB297_194:
	v_pk_max_f16 v2, v2, v2
	v_pk_max_f16 v5, v6, v6
	;; [unrolled: 1-line block ×4, first 2 shown]
	v_add_co_u32 v0, vcc_lo, v20, v0
	s_delay_alu instid0(VALU_DEP_4) | instskip(SKIP_1) | instid1(VALU_DEP_4)
	v_pk_min_f16 v2, v5, v2
	v_add_co_ci_u32_e32 v1, vcc_lo, v21, v1, vcc_lo
	v_pk_min_f16 v3, v6, v3
	s_delay_alu instid0(VALU_DEP_3) | instskip(NEXT) | instid1(VALU_DEP_1)
	v_pk_add_f16 v2, v43, v2
	v_pk_add_f16 v2, v2, v3
	s_delay_alu instid0(VALU_DEP_1) | instskip(NEXT) | instid1(VALU_DEP_1)
	v_lshrrev_b32_e32 v3, 16, v2
	v_add_f16_e32 v2, v2, v3
	s_delay_alu instid0(VALU_DEP_1)
	v_add_f16_e32 v2, v2, v4
	global_store_b16 v[0:1], v2, off
	s_nop 0
	s_sendmsg sendmsg(MSG_DEALLOC_VGPRS)
	s_endpgm
	.section	.rodata,"a",@progbits
	.p2align	6, 0x0
	.amdhsa_kernel _ZN12_GLOBAL__N_120geam_min_plus_kernelIDF16_Dv2_DF16_S1_Li8ELi32ELi64ELi128ELi4ELi64ELi4ELi64ELi4ELc78ELc84ELb0ELb1ELb0EPKDF16_S2_DF16_EEviiiT16_PT17_ilS6_ilS4_S6_ilPT18_ili26rocblas_geam_ex_operation_
		.amdhsa_group_segment_fixed_size 3072
		.amdhsa_private_segment_fixed_size 0
		.amdhsa_kernarg_size 136
		.amdhsa_user_sgpr_count 14
		.amdhsa_user_sgpr_dispatch_ptr 0
		.amdhsa_user_sgpr_queue_ptr 0
		.amdhsa_user_sgpr_kernarg_segment_ptr 1
		.amdhsa_user_sgpr_dispatch_id 0
		.amdhsa_user_sgpr_private_segment_size 0
		.amdhsa_wavefront_size32 1
		.amdhsa_uses_dynamic_stack 0
		.amdhsa_enable_private_segment 0
		.amdhsa_system_sgpr_workgroup_id_x 1
		.amdhsa_system_sgpr_workgroup_id_y 0
		.amdhsa_system_sgpr_workgroup_id_z 1
		.amdhsa_system_sgpr_workgroup_info 0
		.amdhsa_system_vgpr_workitem_id 1
		.amdhsa_next_free_vgpr 127
		.amdhsa_next_free_sgpr 28
		.amdhsa_reserve_vcc 1
		.amdhsa_float_round_mode_32 0
		.amdhsa_float_round_mode_16_64 0
		.amdhsa_float_denorm_mode_32 3
		.amdhsa_float_denorm_mode_16_64 3
		.amdhsa_dx10_clamp 1
		.amdhsa_ieee_mode 1
		.amdhsa_fp16_overflow 0
		.amdhsa_workgroup_processor_mode 1
		.amdhsa_memory_ordered 1
		.amdhsa_forward_progress 0
		.amdhsa_shared_vgpr_count 0
		.amdhsa_exception_fp_ieee_invalid_op 0
		.amdhsa_exception_fp_denorm_src 0
		.amdhsa_exception_fp_ieee_div_zero 0
		.amdhsa_exception_fp_ieee_overflow 0
		.amdhsa_exception_fp_ieee_underflow 0
		.amdhsa_exception_fp_ieee_inexact 0
		.amdhsa_exception_int_div_zero 0
	.end_amdhsa_kernel
	.section	.text._ZN12_GLOBAL__N_120geam_min_plus_kernelIDF16_Dv2_DF16_S1_Li8ELi32ELi64ELi128ELi4ELi64ELi4ELi64ELi4ELc78ELc84ELb0ELb1ELb0EPKDF16_S2_DF16_EEviiiT16_PT17_ilS6_ilS4_S6_ilPT18_ili26rocblas_geam_ex_operation_,"axG",@progbits,_ZN12_GLOBAL__N_120geam_min_plus_kernelIDF16_Dv2_DF16_S1_Li8ELi32ELi64ELi128ELi4ELi64ELi4ELi64ELi4ELc78ELc84ELb0ELb1ELb0EPKDF16_S2_DF16_EEviiiT16_PT17_ilS6_ilS4_S6_ilPT18_ili26rocblas_geam_ex_operation_,comdat
.Lfunc_end297:
	.size	_ZN12_GLOBAL__N_120geam_min_plus_kernelIDF16_Dv2_DF16_S1_Li8ELi32ELi64ELi128ELi4ELi64ELi4ELi64ELi4ELc78ELc84ELb0ELb1ELb0EPKDF16_S2_DF16_EEviiiT16_PT17_ilS6_ilS4_S6_ilPT18_ili26rocblas_geam_ex_operation_, .Lfunc_end297-_ZN12_GLOBAL__N_120geam_min_plus_kernelIDF16_Dv2_DF16_S1_Li8ELi32ELi64ELi128ELi4ELi64ELi4ELi64ELi4ELc78ELc84ELb0ELb1ELb0EPKDF16_S2_DF16_EEviiiT16_PT17_ilS6_ilS4_S6_ilPT18_ili26rocblas_geam_ex_operation_
                                        ; -- End function
	.section	.AMDGPU.csdata,"",@progbits
; Kernel info:
; codeLenInByte = 12992
; NumSgprs: 30
; NumVgprs: 127
; ScratchSize: 0
; MemoryBound: 0
; FloatMode: 240
; IeeeMode: 1
; LDSByteSize: 3072 bytes/workgroup (compile time only)
; SGPRBlocks: 3
; VGPRBlocks: 15
; NumSGPRsForWavesPerEU: 30
; NumVGPRsForWavesPerEU: 127
; Occupancy: 10
; WaveLimiterHint : 0
; COMPUTE_PGM_RSRC2:SCRATCH_EN: 0
; COMPUTE_PGM_RSRC2:USER_SGPR: 14
; COMPUTE_PGM_RSRC2:TRAP_HANDLER: 0
; COMPUTE_PGM_RSRC2:TGID_X_EN: 1
; COMPUTE_PGM_RSRC2:TGID_Y_EN: 0
; COMPUTE_PGM_RSRC2:TGID_Z_EN: 1
; COMPUTE_PGM_RSRC2:TIDIG_COMP_CNT: 1
	.section	.text._ZN12_GLOBAL__N_120geam_min_plus_kernelIDF16_Dv2_DF16_S1_Li8ELi32ELi64ELi128ELi4ELi64ELi4ELi64ELi4ELc78ELc84ELb1ELb1ELb0EDF16_KDF16_DF16_EEviiiT16_PT17_ilS5_ilS3_S5_ilPT18_ili26rocblas_geam_ex_operation_,"axG",@progbits,_ZN12_GLOBAL__N_120geam_min_plus_kernelIDF16_Dv2_DF16_S1_Li8ELi32ELi64ELi128ELi4ELi64ELi4ELi64ELi4ELc78ELc84ELb1ELb1ELb0EDF16_KDF16_DF16_EEviiiT16_PT17_ilS5_ilS3_S5_ilPT18_ili26rocblas_geam_ex_operation_,comdat
	.globl	_ZN12_GLOBAL__N_120geam_min_plus_kernelIDF16_Dv2_DF16_S1_Li8ELi32ELi64ELi128ELi4ELi64ELi4ELi64ELi4ELc78ELc84ELb1ELb1ELb0EDF16_KDF16_DF16_EEviiiT16_PT17_ilS5_ilS3_S5_ilPT18_ili26rocblas_geam_ex_operation_ ; -- Begin function _ZN12_GLOBAL__N_120geam_min_plus_kernelIDF16_Dv2_DF16_S1_Li8ELi32ELi64ELi128ELi4ELi64ELi4ELi64ELi4ELc78ELc84ELb1ELb1ELb0EDF16_KDF16_DF16_EEviiiT16_PT17_ilS5_ilS3_S5_ilPT18_ili26rocblas_geam_ex_operation_
	.p2align	8
	.type	_ZN12_GLOBAL__N_120geam_min_plus_kernelIDF16_Dv2_DF16_S1_Li8ELi32ELi64ELi128ELi4ELi64ELi4ELi64ELi4ELc78ELc84ELb1ELb1ELb0EDF16_KDF16_DF16_EEviiiT16_PT17_ilS5_ilS3_S5_ilPT18_ili26rocblas_geam_ex_operation_,@function
_ZN12_GLOBAL__N_120geam_min_plus_kernelIDF16_Dv2_DF16_S1_Li8ELi32ELi64ELi128ELi4ELi64ELi4ELi64ELi4ELc78ELc84ELb1ELb1ELb0EDF16_KDF16_DF16_EEviiiT16_PT17_ilS5_ilS3_S5_ilPT18_ili26rocblas_geam_ex_operation_: ; @_ZN12_GLOBAL__N_120geam_min_plus_kernelIDF16_Dv2_DF16_S1_Li8ELi32ELi64ELi128ELi4ELi64ELi4ELi64ELi4ELc78ELc84ELb1ELb1ELb0EDF16_KDF16_DF16_EEviiiT16_PT17_ilS5_ilS3_S5_ilPT18_ili26rocblas_geam_ex_operation_
; %bb.0:
	s_clause 0x1
	s_load_b128 s[16:19], s[0:1], 0x0
	s_load_b128 s[4:7], s[0:1], 0x20
	s_waitcnt lgkmcnt(0)
	v_cmp_eq_f16_e64 s2, s19, 0
	s_delay_alu instid0(VALU_DEP_1)
	s_and_b32 vcc_lo, exec_lo, s2
	s_cbranch_vccnz .LBB298_3
; %bb.1:
	s_load_b64 s[8:9], s[0:1], 0x10
	s_mul_i32 s3, s15, s5
	s_mul_hi_u32 s5, s15, s4
	s_mul_i32 s4, s15, s4
	s_add_i32 s5, s5, s3
	s_delay_alu instid0(SALU_CYCLE_1)
	s_lshl_b64 s[4:5], s[4:5], 1
	s_waitcnt lgkmcnt(0)
	s_add_u32 s8, s8, s4
	s_addc_u32 s9, s9, s5
	s_and_not1_b32 vcc_lo, exec_lo, s2
	s_cbranch_vccnz .LBB298_4
.LBB298_2:
	s_mov_b32 s25, 0
	s_mov_b64 s[12:13], 0
	s_cbranch_execz .LBB298_5
	s_branch .LBB298_6
.LBB298_3:
	s_mov_b64 s[8:9], 0
	s_and_not1_b32 vcc_lo, exec_lo, s2
	s_cbranch_vccz .LBB298_2
.LBB298_4:
	s_mov_b32 s25, -1
                                        ; implicit-def: $sgpr12_sgpr13
.LBB298_5:
	s_load_b64 s[2:3], s[0:1], 0x38
	s_mov_b32 s25, 0
	s_waitcnt lgkmcnt(0)
	s_mul_i32 s3, s15, s3
	s_mul_hi_u32 s4, s15, s2
	s_mul_i32 s2, s15, s2
	s_add_i32 s3, s4, s3
	s_delay_alu instid0(SALU_CYCLE_1) | instskip(NEXT) | instid1(SALU_CYCLE_1)
	s_lshl_b64 s[2:3], s[2:3], 1
	s_add_u32 s12, s6, s2
	s_addc_u32 s13, s7, s3
.LBB298_6:
	s_clause 0x1
	s_load_b32 s19, s[0:1], 0x40
	s_load_b128 s[4:7], s[0:1], 0x58
	s_waitcnt lgkmcnt(0)
	v_cmp_eq_f16_e64 s2, s19, 0
	v_cmp_neq_f16_e64 s24, s19, 0
	s_delay_alu instid0(VALU_DEP_2)
	s_and_b32 vcc_lo, exec_lo, s2
	s_cbranch_vccnz .LBB298_8
; %bb.7:
	s_load_b64 s[2:3], s[0:1], 0x48
	s_mul_i32 s5, s15, s5
	s_mul_hi_u32 s10, s15, s4
	s_delay_alu instid0(SALU_CYCLE_1) | instskip(SKIP_3) | instid1(SALU_CYCLE_1)
	s_add_i32 s5, s10, s5
	s_mul_i32 s10, s25, s4
	s_mul_i32 s4, s15, s4
	s_add_i32 s5, s5, s10
	s_lshl_b64 s[4:5], s[4:5], 1
	s_waitcnt lgkmcnt(0)
	s_add_u32 s10, s2, s4
	s_addc_u32 s11, s3, s5
	s_branch .LBB298_9
.LBB298_8:
	s_mov_b64 s[10:11], 0
.LBB298_9:
	s_add_i32 s2, s16, -1
	s_load_b32 s20, s[0:1], 0x18
	s_ashr_i32 s3, s2, 31
	v_dual_mov_b32 v9, 0 :: v_dual_and_b32 v32, 0x3ff, v0
	s_lshr_b32 s3, s3, 26
	v_bfe_u32 v33, v0, 10, 10
	s_add_i32 s2, s2, s3
	v_mov_b32_e32 v8, 0
	s_ashr_i32 s2, s2, 6
	s_delay_alu instid0(SALU_CYCLE_1) | instskip(SKIP_2) | instid1(VALU_DEP_1)
	s_add_i32 s4, s2, 1
	s_not_b32 s2, s2
	v_cvt_f32_u32_e32 v1, s4
	v_rcp_iflag_f32_e32 v1, v1
	s_waitcnt lgkmcnt(0)
	s_ashr_i32 s21, s20, 31
	s_waitcnt_depctr 0xfff
	v_mul_f32_e32 v1, 0x4f7ffffe, v1
	s_delay_alu instid0(VALU_DEP_1) | instskip(NEXT) | instid1(VALU_DEP_1)
	v_cvt_u32_f32_e32 v1, v1
	v_readfirstlane_b32 s3, v1
	v_lshl_add_u32 v1, v33, 3, v32
	s_delay_alu instid0(VALU_DEP_2) | instskip(NEXT) | instid1(VALU_DEP_1)
	s_mul_i32 s2, s2, s3
	v_and_b32_e32 v7, 63, v1
	s_mul_hi_u32 s2, s3, s2
	v_lshrrev_b32_e32 v34, 6, v1
	s_add_i32 s3, s3, s2
	s_delay_alu instid0(SALU_CYCLE_1) | instskip(NEXT) | instid1(SALU_CYCLE_1)
	s_mul_hi_u32 s2, s14, s3
	s_mul_i32 s3, s2, s4
	s_add_i32 s5, s2, 1
	s_sub_i32 s3, s14, s3
	s_delay_alu instid0(SALU_CYCLE_1)
	s_sub_i32 s22, s3, s4
	s_cmp_ge_u32 s3, s4
	s_cselect_b32 s2, s5, s2
	s_cselect_b32 s3, s22, s3
	s_add_i32 s5, s2, 1
	s_cmp_ge_u32 s3, s4
	s_cselect_b32 s3, s5, s2
	s_delay_alu instid0(SALU_CYCLE_1) | instskip(SKIP_2) | instid1(SALU_CYCLE_1)
	s_mul_i32 s2, s3, s4
	v_cmp_le_i32_e64 s4, s18, v34
	s_sub_i32 s2, s14, s2
	s_lshl_b32 s14, s2, 6
	s_delay_alu instid0(SALU_CYCLE_1) | instskip(NEXT) | instid1(VALU_DEP_1)
	v_or_b32_e32 v0, s14, v7
	v_cmp_le_i32_e32 vcc_lo, s16, v0
	v_ashrrev_i32_e32 v1, 31, v0
	s_or_b32 s2, s4, vcc_lo
	s_delay_alu instid0(SALU_CYCLE_1) | instskip(NEXT) | instid1(SALU_CYCLE_1)
	s_xor_b32 s2, s2, -1
	s_and_saveexec_b32 s5, s2
	s_cbranch_execz .LBB298_11
; %bb.10:
	v_mad_i64_i32 v[2:3], null, s20, v34, 0
	v_lshlrev_b64 v[4:5], 1, v[0:1]
	s_delay_alu instid0(VALU_DEP_2) | instskip(NEXT) | instid1(VALU_DEP_1)
	v_lshlrev_b64 v[2:3], 1, v[2:3]
	v_add_co_u32 v2, s2, s8, v2
	s_delay_alu instid0(VALU_DEP_1) | instskip(NEXT) | instid1(VALU_DEP_2)
	v_add_co_ci_u32_e64 v3, s2, s9, v3, s2
	v_add_co_u32 v2, s2, v2, v4
	s_delay_alu instid0(VALU_DEP_1)
	v_add_co_ci_u32_e64 v3, s2, v3, v5, s2
	flat_load_u16 v9, v[2:3]
.LBB298_11:
	s_or_b32 exec_lo, exec_lo, s5
	s_load_b32 s22, s[0:1], 0x30
	s_lshl_b32 s26, s3, 7
	s_delay_alu instid0(SALU_CYCLE_1) | instskip(NEXT) | instid1(VALU_DEP_1)
	v_or_b32_e32 v2, s26, v7
	v_cmp_le_i32_e64 s2, s17, v2
	s_waitcnt lgkmcnt(0)
	v_mad_i64_i32 v[3:4], null, v34, s22, 0
	s_ashr_i32 s23, s22, 31
	s_delay_alu instid0(VALU_DEP_1) | instskip(NEXT) | instid1(VALU_DEP_1)
	v_lshlrev_b64 v[3:4], 1, v[3:4]
	v_add_co_u32 v5, s3, s12, v3
	s_delay_alu instid0(VALU_DEP_1) | instskip(SKIP_2) | instid1(SALU_CYCLE_1)
	v_add_co_ci_u32_e64 v6, s3, s13, v4, s3
	v_ashrrev_i32_e32 v3, 31, v2
	s_or_b32 s3, s4, s2
	s_xor_b32 s3, s3, -1
	s_delay_alu instid0(SALU_CYCLE_1)
	s_and_saveexec_b32 s5, s3
	s_cbranch_execz .LBB298_13
; %bb.12:
	v_lshlrev_b64 v[10:11], 1, v[2:3]
	s_delay_alu instid0(VALU_DEP_1) | instskip(NEXT) | instid1(VALU_DEP_1)
	v_add_co_u32 v10, s3, v5, v10
	v_add_co_ci_u32_e64 v11, s3, v6, v11, s3
	flat_load_u16 v8, v[10:11]
.LBB298_13:
	s_or_b32 exec_lo, exec_lo, s5
	v_or_b32_e32 v4, 64, v2
	v_mov_b32_e32 v10, 0
	s_delay_alu instid0(VALU_DEP_2) | instskip(SKIP_1) | instid1(VALU_DEP_2)
	v_cmp_le_i32_e64 s3, s17, v4
	v_mov_b32_e32 v4, 0
	s_or_b32 s4, s4, s3
	s_delay_alu instid0(SALU_CYCLE_1) | instskip(NEXT) | instid1(SALU_CYCLE_1)
	s_xor_b32 s4, s4, -1
	s_and_saveexec_b32 s5, s4
	s_cbranch_execz .LBB298_15
; %bb.14:
	v_lshlrev_b64 v[10:11], 1, v[2:3]
	s_delay_alu instid0(VALU_DEP_1) | instskip(NEXT) | instid1(VALU_DEP_1)
	v_add_co_u32 v5, s4, v5, v10
	v_add_co_ci_u32_e64 v6, s4, v6, v11, s4
	flat_load_u16 v10, v[5:6] offset:128
.LBB298_15:
	s_or_b32 exec_lo, exec_lo, s5
	v_add_nc_u32_e32 v5, 4, v34
	s_delay_alu instid0(VALU_DEP_1) | instskip(NEXT) | instid1(VALU_DEP_1)
	v_cmp_le_i32_e64 s4, s18, v5
	s_or_b32 s5, vcc_lo, s4
	s_delay_alu instid0(SALU_CYCLE_1) | instskip(NEXT) | instid1(SALU_CYCLE_1)
	s_xor_b32 s5, s5, -1
	s_and_saveexec_b32 s27, s5
	s_cbranch_execz .LBB298_17
; %bb.16:
	v_mad_i64_i32 v[11:12], null, s20, v5, 0
	v_lshlrev_b64 v[13:14], 1, v[0:1]
	s_delay_alu instid0(VALU_DEP_2) | instskip(NEXT) | instid1(VALU_DEP_1)
	v_lshlrev_b64 v[11:12], 1, v[11:12]
	v_add_co_u32 v4, s5, s8, v11
	s_delay_alu instid0(VALU_DEP_1) | instskip(NEXT) | instid1(VALU_DEP_2)
	v_add_co_ci_u32_e64 v6, s5, s9, v12, s5
	v_add_co_u32 v11, s5, v4, v13
	s_delay_alu instid0(VALU_DEP_1)
	v_add_co_ci_u32_e64 v12, s5, v6, v14, s5
	flat_load_u16 v4, v[11:12]
.LBB298_17:
	s_or_b32 exec_lo, exec_lo, s27
	v_mad_i64_i32 v[11:12], null, v5, s22, 0
	v_dual_mov_b32 v5, 0 :: v_dual_mov_b32 v6, 0
	s_delay_alu instid0(VALU_DEP_2) | instskip(NEXT) | instid1(VALU_DEP_1)
	v_lshlrev_b64 v[11:12], 1, v[11:12]
	v_add_co_u32 v11, s5, s12, v11
	s_delay_alu instid0(VALU_DEP_1) | instskip(SKIP_1) | instid1(SALU_CYCLE_1)
	v_add_co_ci_u32_e64 v12, s5, s13, v12, s5
	s_or_b32 s5, s2, s4
	s_xor_b32 s5, s5, -1
	s_delay_alu instid0(SALU_CYCLE_1)
	s_and_saveexec_b32 s27, s5
	s_cbranch_execz .LBB298_19
; %bb.18:
	v_lshlrev_b64 v[13:14], 1, v[2:3]
	s_delay_alu instid0(VALU_DEP_1) | instskip(NEXT) | instid1(VALU_DEP_1)
	v_add_co_u32 v13, s5, v11, v13
	v_add_co_ci_u32_e64 v14, s5, v12, v14, s5
	flat_load_u16 v6, v[13:14]
.LBB298_19:
	s_or_b32 exec_lo, exec_lo, s27
	s_or_b32 s4, s3, s4
	s_delay_alu instid0(SALU_CYCLE_1) | instskip(NEXT) | instid1(SALU_CYCLE_1)
	s_xor_b32 s4, s4, -1
	s_and_saveexec_b32 s5, s4
	s_cbranch_execz .LBB298_21
; %bb.20:
	v_lshlrev_b64 v[13:14], 1, v[2:3]
	s_delay_alu instid0(VALU_DEP_1) | instskip(NEXT) | instid1(VALU_DEP_1)
	v_add_co_u32 v11, s4, v11, v13
	v_add_co_ci_u32_e64 v12, s4, v12, v14, s4
	flat_load_u16 v5, v[11:12] offset:128
.LBB298_21:
	s_or_b32 exec_lo, exec_lo, s5
	v_lshlrev_b32_e32 v11, 1, v34
	v_lshlrev_b32_e32 v36, 3, v32
	;; [unrolled: 1-line block ×3, first 2 shown]
	s_mov_b32 s27, 0
	s_cmp_lt_i32 s18, 9
	v_lshl_add_u32 v37, v7, 3, v11
	v_add_nc_u32_e32 v27, 0x800, v36
	s_waitcnt vmcnt(0) lgkmcnt(0)
	ds_store_b16 v37, v8
	ds_store_b16 v37, v9 offset:2048
	ds_store_b16 v37, v10 offset:512
	s_waitcnt lgkmcnt(0)
	s_barrier
	buffer_gl0_inv
	ds_load_2addr_b64 v[7:10], v35 offset1:32
	ds_load_2addr_b64 v[11:14], v27 offset0:48 offset1:56
	ds_load_2addr_b64 v[15:18], v35 offset0:64 offset1:96
	ds_load_2addr_b64 v[19:22], v27 offset1:8
	ds_load_2addr_b64 v[23:26], v27 offset0:16 offset1:24
	ds_load_2addr_b64 v[27:30], v27 offset0:32 offset1:40
	ds_store_b16 v37, v6 offset:1024
	ds_store_b16 v37, v4 offset:2560
	ds_store_b16 v37, v5 offset:1536
	s_waitcnt lgkmcnt(0)
	s_barrier
	buffer_gl0_inv
	v_pk_max_f16 v7, v7, v7
	v_pk_max_f16 v9, v9, v9
	v_pk_max_f16 v15, v15, v15
	v_pk_max_f16 v23, v23, v23
	v_pk_max_f16 v25, v25, v25
	v_pk_max_f16 v27, v27, v27
	v_pk_max_f16 v13, v13, v13
	v_pk_max_f16 v19, v19, v19
	v_pk_min_f16 v48, v23, v15
	v_pk_min_f16 v49, v25, v9
	v_pk_max_f16 v17, v17, v17
	v_pk_max_f16 v21, v21, v21
	v_pk_min_f16 v31, v13, v7
	v_pk_add_f16 v51, v48, 0
	v_pk_min_f16 v48, v25, v7
	v_pk_min_f16 v50, v25, v15
	v_pk_add_f16 v53, v49, 0
	v_pk_min_f16 v49, v27, v9
	v_pk_max_f16 v29, v29, v29
	v_pk_add_f16 v52, v48, 0
	v_pk_min_f16 v48, v27, v7
	v_pk_max_f16 v11, v11, v11
	v_pk_max_f16 v8, v8, v8
	;; [unrolled: 1-line block ×3, first 2 shown]
	v_pk_min_f16 v38, v13, v9
	v_pk_add_f16 v59, v48, 0
	v_pk_min_f16 v48, v27, v15
	v_pk_min_f16 v39, v13, v15
	;; [unrolled: 1-line block ×8, first 2 shown]
	v_pk_add_f16 v31, v31, 0
	v_pk_min_f16 v45, v21, v15
	v_pk_min_f16 v21, v21, v17
	;; [unrolled: 1-line block ×6, first 2 shown]
	v_pk_add_f16 v54, v50, 0
	v_pk_min_f16 v27, v27, v17
	v_pk_add_f16 v60, v49, 0
	v_pk_min_f16 v49, v29, v7
	v_pk_min_f16 v50, v29, v9
	v_pk_add_f16 v61, v48, 0
	v_pk_min_f16 v48, v29, v15
	v_pk_min_f16 v29, v29, v17
	;; [unrolled: 1-line block ×6, first 2 shown]
	v_pk_max_f16 v10, v10, v10
	v_pk_min_f16 v13, v13, v17
	v_pk_min_f16 v17, v14, v8
	v_pk_add_f16 v38, v38, 0
	v_pk_add_f16 v73, v48, 0
	v_pk_max_f16 v16, v16, v16
	v_pk_min_f16 v48, v14, v10
	v_pk_max_f16 v20, v20, v20
	v_pk_add_f16 v68, v31, v17
	v_pk_max_f16 v17, v18, v18
	v_pk_add_f16 v39, v39, 0
	v_pk_add_f16 v40, v40, 0
	;; [unrolled: 1-line block ×4, first 2 shown]
	v_pk_min_f16 v49, v14, v16
	v_pk_add_f16 v58, v38, v48
	v_pk_min_f16 v18, v20, v8
	v_pk_min_f16 v31, v20, v10
	;; [unrolled: 1-line block ×4, first 2 shown]
	v_pk_max_f16 v22, v22, v22
	v_pk_add_f16 v43, v43, 0
	v_pk_add_f16 v44, v44, 0
	;; [unrolled: 1-line block ×8, first 2 shown]
	v_pk_min_f16 v18, v22, v8
	v_pk_min_f16 v19, v22, v10
	;; [unrolled: 1-line block ×4, first 2 shown]
	v_pk_max_f16 v24, v24, v24
	v_pk_add_f16 v46, v46, 0
	v_pk_add_f16 v47, v47, 0
	;; [unrolled: 1-line block ×7, first 2 shown]
	v_pk_min_f16 v18, v24, v8
	v_pk_min_f16 v19, v24, v10
	;; [unrolled: 1-line block ×4, first 2 shown]
	v_pk_max_f16 v22, v26, v26
	v_pk_add_f16 v41, v41, 0
	v_pk_add_f16 v25, v25, 0
	;; [unrolled: 1-line block ×6, first 2 shown]
	v_pk_min_f16 v18, v22, v8
	v_pk_min_f16 v19, v22, v10
	;; [unrolled: 1-line block ×4, first 2 shown]
	v_pk_max_f16 v22, v28, v28
	v_pk_add_f16 v27, v27, 0
	v_pk_add_f16 v67, v41, v31
	;; [unrolled: 1-line block ×6, first 2 shown]
	v_pk_min_f16 v18, v22, v8
	v_pk_min_f16 v19, v22, v10
	;; [unrolled: 1-line block ×4, first 2 shown]
	v_pk_max_f16 v22, v30, v30
	v_pk_max_f16 v12, v12, v12
	v_pk_add_f16 v42, v42, 0
	v_pk_add_f16 v29, v29, 0
	;; [unrolled: 1-line block ×11, first 2 shown]
	v_pk_min_f16 v18, v22, v8
	v_pk_min_f16 v19, v22, v10
	;; [unrolled: 1-line block ×9, first 2 shown]
	v_pk_add_f16 v57, v42, v38
	v_pk_add_f16 v38, v66, v18
	;; [unrolled: 1-line block ×10, first 2 shown]
	s_cbranch_scc1 .LBB298_36
; %bb.22:
	v_add_nc_u32_e32 v4, v35, v32
	v_lshlrev_b64 v[0:1], 1, v[0:1]
	v_or_b32_e32 v59, 0x800, v37
	v_add_nc_u32_e32 v66, 0x800, v36
	v_add_nc_u32_e32 v72, 0xa00, v37
	v_lshrrev_b32_e32 v4, 6, v4
	v_or_b32_e32 v73, 0x400, v37
	v_add_co_u32 v74, s4, s8, v0
	s_delay_alu instid0(VALU_DEP_1) | instskip(NEXT) | instid1(VALU_DEP_4)
	v_add_co_ci_u32_e64 v75, s4, s9, v1, s4
	v_add_nc_u32_e32 v8, 12, v4
	v_add_nc_u32_e32 v12, 8, v4
	v_lshlrev_b64 v[0:1], 1, v[2:3]
	v_lshl_add_u32 v76, v32, 3, 0xa00
	v_add_nc_u32_e32 v77, 0x400, v35
	v_mad_i64_i32 v[4:5], null, v8, s22, 0
	v_mad_i64_i32 v[6:7], null, v8, s20, 0
	;; [unrolled: 1-line block ×4, first 2 shown]
	v_add_co_u32 v78, s4, s12, v0
	v_lshlrev_b64 v[24:25], 1, v[4:5]
	v_lshlrev_b64 v[26:27], 1, v[6:7]
	;; [unrolled: 1-line block ×3, first 2 shown]
	v_add_co_ci_u32_e64 v79, s4, s13, v1, s4
	v_lshlrev_b64 v[30:31], 1, v[10:11]
	s_add_i32 s28, s18, -8
	s_lshl_b64 s[8:9], s[22:23], 4
	s_lshl_b64 s[12:13], s[20:21], 4
	s_branch .LBB298_24
.LBB298_23:                             ;   in Loop: Header=BB298_24 Depth=1
	s_or_b32 exec_lo, exec_lo, s5
	v_pk_add_f16 v16, v50, v16
	v_pk_add_f16 v22, v49, v22
	;; [unrolled: 1-line block ×27, first 2 shown]
	ds_load_2addr_b64 v[39:42], v66 offset0:48 offset1:56
	ds_load_2addr_b64 v[43:46], v35 offset1:32
	v_pk_add_f16 v9, v47, v9
	ds_load_2addr_b64 v[47:50], v35 offset0:64 offset1:96
	v_pk_add_f16 v55, v55, v87
	v_pk_add_f16 v6, v62, v6
	;; [unrolled: 1-line block ×6, first 2 shown]
	ds_load_2addr_b64 v[51:54], v66 offset1:8
	v_pk_add_f16 v38, v38, v95
	v_pk_add_f16 v61, v61, v96
	;; [unrolled: 1-line block ×9, first 2 shown]
	s_waitcnt lgkmcnt(3)
	v_pk_max_f16 v41, v41, v41
	s_waitcnt lgkmcnt(2)
	v_pk_max_f16 v43, v43, v43
	v_pk_max_f16 v45, v45, v45
	s_waitcnt lgkmcnt(1)
	v_pk_max_f16 v47, v47, v47
	v_pk_add_f16 v64, v64, v3
	v_pk_add_f16 v38, v38, v7
	;; [unrolled: 1-line block ×6, first 2 shown]
	v_pk_min_f16 v4, v41, v43
	v_pk_min_f16 v5, v41, v45
	;; [unrolled: 1-line block ×3, first 2 shown]
	ds_load_2addr_b64 v[0:3], v66 offset0:16 offset1:24
	s_waitcnt lgkmcnt(1)
	v_pk_max_f16 v7, v51, v51
	v_pk_max_f16 v49, v49, v49
	v_pk_add_f16 v14, v14, v112
	v_pk_add_f16 v18, v18, v113
	;; [unrolled: 1-line block ×7, first 2 shown]
	v_pk_min_f16 v4, v7, v43
	v_pk_min_f16 v5, v7, v45
	;; [unrolled: 1-line block ×4, first 2 shown]
	v_pk_max_f16 v53, v53, v53
	v_pk_add_f16 v14, v14, v4
	v_pk_add_f16 v18, v18, v5
	;; [unrolled: 1-line block ×4, first 2 shown]
	ds_load_2addr_b64 v[4:7], v66 offset0:32 offset1:40
	v_pk_add_f16 v8, v8, v116
	v_pk_add_f16 v13, v65, v13
	;; [unrolled: 1-line block ×4, first 2 shown]
	v_pk_min_f16 v65, v53, v43
	v_pk_min_f16 v67, v53, v45
	;; [unrolled: 1-line block ×3, first 2 shown]
	s_waitcnt lgkmcnt(1)
	v_pk_max_f16 v0, v0, v0
	v_pk_add_f16 v56, v56, v120
	v_pk_add_f16 v21, v69, v21
	;; [unrolled: 1-line block ×5, first 2 shown]
	v_pk_min_f16 v67, v0, v43
	v_pk_min_f16 v68, v0, v45
	;; [unrolled: 1-line block ×4, first 2 shown]
	v_pk_max_f16 v2, v2, v2
	v_pk_add_f16 v57, v57, v103
	v_pk_add_f16 v83, v56, v67
	s_waitcnt lgkmcnt(0)
	v_pk_max_f16 v4, v4, v4
	v_pk_add_f16 v0, v9, v0
	v_pk_min_f16 v9, v2, v43
	v_pk_min_f16 v56, v2, v45
	v_pk_add_f16 v63, v63, v106
	v_pk_add_f16 v58, v58, v105
	v_pk_min_f16 v53, v53, v49
	v_pk_add_f16 v9, v23, v9
	v_pk_add_f16 v23, v57, v56
	v_pk_min_f16 v56, v4, v43
	v_pk_min_f16 v67, v2, v47
	;; [unrolled: 1-line block ×4, first 2 shown]
	v_pk_max_f16 v6, v6, v6
	v_pk_add_f16 v85, v63, v56
	v_pk_min_f16 v56, v4, v47
	v_pk_max_f16 v39, v39, v39
	v_pk_add_f16 v53, v86, v53
	v_pk_add_f16 v84, v87, v67
	;; [unrolled: 1-line block ×4, first 2 shown]
	v_pk_min_f16 v57, v6, v43
	v_pk_min_f16 v58, v6, v45
	v_pk_add_f16 v87, v62, v56
	v_pk_min_f16 v56, v6, v47
	v_pk_min_f16 v6, v6, v49
	;; [unrolled: 1-line block ×5, first 2 shown]
	v_pk_max_f16 v42, v42, v42
	v_pk_max_f16 v88, v46, v46
	v_pk_add_f16 v6, v15, v6
	v_pk_add_f16 v15, v17, v43
	;; [unrolled: 1-line block ×4, first 2 shown]
	v_pk_min_f16 v21, v39, v49
	v_pk_max_f16 v43, v44, v44
	v_pk_min_f16 v39, v41, v49
	v_pk_max_f16 v89, v48, v48
	v_pk_min_f16 v44, v42, v88
	v_pk_add_f16 v10, v10, v121
	v_pk_add_f16 v11, v11, v58
	v_pk_min_f16 v41, v42, v43
	v_pk_add_f16 v90, v61, v39
	v_pk_min_f16 v39, v42, v89
	v_pk_max_f16 v45, v52, v52
	v_pk_add_f16 v58, v12, v44
	v_pk_max_f16 v12, v50, v50
	v_pk_add_f16 v10, v10, v68
	v_pk_add_f16 v68, v51, v41
	;; [unrolled: 1-line block ×3, first 2 shown]
	v_pk_min_f16 v16, v45, v43
	v_pk_min_f16 v39, v45, v88
	;; [unrolled: 1-line block ×4, first 2 shown]
	v_pk_max_f16 v45, v54, v54
	v_pk_add_f16 v55, v55, v122
	v_pk_add_f16 v71, v14, v16
	v_pk_max_f16 v1, v1, v1
	v_pk_add_f16 v67, v18, v39
	v_pk_min_f16 v14, v45, v43
	v_pk_min_f16 v16, v45, v88
	v_pk_add_f16 v55, v55, v70
	v_pk_min_f16 v18, v45, v89
	v_pk_max_f16 v3, v3, v3
	v_pk_add_f16 v70, v8, v14
	v_pk_add_f16 v65, v65, v16
	v_pk_min_f16 v8, v1, v43
	v_pk_min_f16 v14, v1, v88
	;; [unrolled: 1-line block ×5, first 2 shown]
	v_pk_add_f16 v13, v13, v56
	v_pk_add_f16 v56, v69, v18
	;; [unrolled: 1-line block ×4, first 2 shown]
	v_pk_min_f16 v0, v3, v43
	v_pk_min_f16 v1, v3, v88
	;; [unrolled: 1-line block ×4, first 2 shown]
	v_pk_max_f16 v5, v5, v5
	v_pk_add_f16 v4, v64, v4
	v_pk_add_f16 v38, v38, v57
	;; [unrolled: 1-line block ×3, first 2 shown]
	v_pk_min_f16 v20, v45, v12
	v_pk_add_f16 v41, v9, v0
	v_pk_add_f16 v63, v23, v1
	;; [unrolled: 1-line block ×3, first 2 shown]
	v_pk_min_f16 v0, v5, v43
	v_pk_min_f16 v1, v5, v88
	;; [unrolled: 1-line block ×4, first 2 shown]
	v_pk_max_f16 v5, v7, v7
	v_pk_add_f16 v48, v53, v20
	v_pk_add_f16 v39, v85, v0
	v_pk_add_f16 v62, v86, v1
	v_pk_add_f16 v53, v87, v2
	v_pk_add_f16 v45, v4, v3
	v_pk_min_f16 v0, v5, v43
	v_pk_min_f16 v1, v5, v88
	;; [unrolled: 1-line block ×4, first 2 shown]
	v_pk_max_f16 v4, v40, v40
	v_pk_add_f16 v21, v60, v21
	v_pk_add_f16 v49, v22, v44
	;; [unrolled: 1-line block ×6, first 2 shown]
	v_pk_min_f16 v0, v4, v43
	v_pk_min_f16 v1, v4, v88
	;; [unrolled: 1-line block ×5, first 2 shown]
	v_add_co_u32 v78, s4, v78, s8
	s_delay_alu instid0(VALU_DEP_1)
	v_add_co_ci_u32_e64 v79, s4, s9, v79, s4
	v_add_co_u32 v74, s4, v74, s12
	v_pk_add_f16 v64, v10, v14
	v_pk_add_f16 v55, v55, v16
	;; [unrolled: 1-line block ×8, first 2 shown]
	v_add_co_ci_u32_e64 v75, s4, s13, v75, s4
	s_add_i32 s27, s27, 8
	s_waitcnt vmcnt(0)
	ds_store_b16 v72, v80
	ds_store_b16 v73, v82
	ds_store_b16 v73, v81 offset:512
	s_cmp_ge_i32 s27, s28
	s_waitcnt lgkmcnt(0)
	s_barrier
	buffer_gl0_inv
	s_cbranch_scc1 .LBB298_36
.LBB298_24:                             ; =>This Inner Loop Header: Depth=1
	v_dual_mov_b32 v82, 0 :: v_dual_add_nc_u32 v81, s27, v34
	s_delay_alu instid0(VALU_DEP_1) | instskip(NEXT) | instid1(VALU_DEP_1)
	v_dual_mov_b32 v83, 0 :: v_dual_add_nc_u32 v0, 8, v81
	v_cmp_le_i32_e64 s4, s18, v0
	s_delay_alu instid0(VALU_DEP_1) | instskip(NEXT) | instid1(SALU_CYCLE_1)
	s_or_b32 s5, vcc_lo, s4
	s_xor_b32 s5, s5, -1
	s_delay_alu instid0(SALU_CYCLE_1)
	s_and_saveexec_b32 s20, s5
	s_cbranch_execz .LBB298_26
; %bb.25:                               ;   in Loop: Header=BB298_24 Depth=1
	v_add_co_u32 v0, s5, v74, v28
	s_delay_alu instid0(VALU_DEP_1)
	v_add_co_ci_u32_e64 v1, s5, v75, v29, s5
	flat_load_u16 v83, v[0:1]
.LBB298_26:                             ;   in Loop: Header=BB298_24 Depth=1
	s_or_b32 exec_lo, exec_lo, s20
	s_or_b32 s5, s2, s4
	s_delay_alu instid0(SALU_CYCLE_1) | instskip(NEXT) | instid1(SALU_CYCLE_1)
	s_xor_b32 s5, s5, -1
	s_and_saveexec_b32 s20, s5
	s_cbranch_execz .LBB298_28
; %bb.27:                               ;   in Loop: Header=BB298_24 Depth=1
	v_add_co_u32 v0, s5, v78, v30
	s_delay_alu instid0(VALU_DEP_1)
	v_add_co_ci_u32_e64 v1, s5, v79, v31, s5
	flat_load_u16 v82, v[0:1]
.LBB298_28:                             ;   in Loop: Header=BB298_24 Depth=1
	s_or_b32 exec_lo, exec_lo, s20
	v_mov_b32_e32 v80, 0
	v_mov_b32_e32 v84, 0
	s_or_b32 s4, s3, s4
	s_delay_alu instid0(SALU_CYCLE_1) | instskip(NEXT) | instid1(SALU_CYCLE_1)
	s_xor_b32 s4, s4, -1
	s_and_saveexec_b32 s5, s4
	s_cbranch_execz .LBB298_30
; %bb.29:                               ;   in Loop: Header=BB298_24 Depth=1
	v_add_co_u32 v0, s4, v78, v30
	s_delay_alu instid0(VALU_DEP_1)
	v_add_co_ci_u32_e64 v1, s4, v79, v31, s4
	flat_load_u16 v84, v[0:1] offset:128
.LBB298_30:                             ;   in Loop: Header=BB298_24 Depth=1
	s_or_b32 exec_lo, exec_lo, s5
	ds_load_2addr_b64 v[0:3], v76 offset0:48 offset1:56
	ds_load_2addr_b64 v[12:15], v77 offset0:64 offset1:96
	ds_load_2addr_b64 v[20:23], v77 offset1:32
	ds_load_2addr_b64 v[16:19], v76 offset1:8
	ds_load_2addr_b64 v[8:11], v76 offset0:16 offset1:24
	ds_load_2addr_b64 v[4:7], v76 offset0:32 offset1:40
	v_add_nc_u32_e32 v81, 12, v81
	s_waitcnt vmcnt(0) lgkmcnt(6)
	ds_store_b16 v59, v83
	ds_store_b16 v37, v82
	ds_store_b16 v37, v84 offset:512
	s_waitcnt lgkmcnt(0)
	s_barrier
	buffer_gl0_inv
	v_cmp_le_i32_e64 s4, s18, v81
	s_delay_alu instid0(VALU_DEP_1) | instskip(NEXT) | instid1(SALU_CYCLE_1)
	s_or_b32 s5, vcc_lo, s4
	s_xor_b32 s5, s5, -1
	s_delay_alu instid0(SALU_CYCLE_1)
	s_and_saveexec_b32 s20, s5
	s_cbranch_execz .LBB298_32
; %bb.31:                               ;   in Loop: Header=BB298_24 Depth=1
	v_add_co_u32 v80, s5, v74, v26
	s_delay_alu instid0(VALU_DEP_1)
	v_add_co_ci_u32_e64 v81, s5, v75, v27, s5
	flat_load_u16 v80, v[80:81]
.LBB298_32:                             ;   in Loop: Header=BB298_24 Depth=1
	s_or_b32 exec_lo, exec_lo, s20
	v_dual_mov_b32 v81, 0 :: v_dual_mov_b32 v82, 0
	s_or_b32 s5, s2, s4
	s_delay_alu instid0(SALU_CYCLE_1) | instskip(NEXT) | instid1(SALU_CYCLE_1)
	s_xor_b32 s5, s5, -1
	s_and_saveexec_b32 s20, s5
	s_cbranch_execz .LBB298_34
; %bb.33:                               ;   in Loop: Header=BB298_24 Depth=1
	v_add_co_u32 v82, s5, v78, v24
	s_delay_alu instid0(VALU_DEP_1)
	v_add_co_ci_u32_e64 v83, s5, v79, v25, s5
	flat_load_u16 v82, v[82:83]
.LBB298_34:                             ;   in Loop: Header=BB298_24 Depth=1
	s_or_b32 exec_lo, exec_lo, s20
	v_pk_max_f16 v103, v2, v2
	v_pk_max_f16 v99, v20, v20
	;; [unrolled: 1-line block ×12, first 2 shown]
	v_pk_min_f16 v2, v103, v99
	v_pk_min_f16 v12, v103, v100
	;; [unrolled: 1-line block ×25, first 2 shown]
	v_pk_max_f16 v123, v3, v3
	v_pk_max_f16 v21, v21, v21
	;; [unrolled: 1-line block ×9, first 2 shown]
	v_pk_min_f16 v112, v0, v21
	v_pk_min_f16 v113, v0, v124
	;; [unrolled: 1-line block ×4, first 2 shown]
	v_pk_max_f16 v0, v9, v9
	v_pk_min_f16 v116, v3, v21
	v_pk_min_f16 v117, v3, v124
	;; [unrolled: 1-line block ×4, first 2 shown]
	v_pk_max_f16 v3, v11, v11
	v_pk_max_f16 v1, v1, v1
	v_pk_min_f16 v22, v22, v104
	v_pk_min_f16 v85, v85, v104
	;; [unrolled: 1-line block ×31, first 2 shown]
	s_or_b32 s4, s3, s4
	s_delay_alu instid0(SALU_CYCLE_1) | instskip(NEXT) | instid1(SALU_CYCLE_1)
	s_xor_b32 s4, s4, -1
	s_and_saveexec_b32 s5, s4
	s_cbranch_execz .LBB298_23
; %bb.35:                               ;   in Loop: Header=BB298_24 Depth=1
	v_add_co_u32 v123, s4, v78, v24
	s_delay_alu instid0(VALU_DEP_1)
	v_add_co_ci_u32_e64 v124, s4, v79, v25, s4
	flat_load_u16 v81, v[123:124] offset:128
	s_branch .LBB298_23
.LBB298_36:
	s_clause 0x2
	s_load_b64 s[2:3], s[0:1], 0x70
	s_load_b32 s12, s[0:1], 0x50
	s_load_b32 s9, s[0:1], 0x68
	v_add_nc_u32_e32 v66, s26, v33
	v_add_nc_u32_e32 v8, 0x800, v36
	ds_load_2addr_b64 v[0:3], v35 offset0:192 offset1:224
	ds_load_2addr_b64 v[20:23], v35 offset0:128 offset1:160
	v_add_nc_u32_e32 v24, s14, v32
	ds_load_2addr_b64 v[4:7], v8 offset0:112 offset1:120
	ds_load_2addr_b64 v[16:19], v8 offset0:64 offset1:72
	;; [unrolled: 1-line block ×4, first 2 shown]
	v_cmp_gt_i32_e64 s8, s17, v66
	v_cndmask_b32_e64 v59, 0, 1, s24
	s_waitcnt lgkmcnt(0)
	s_mul_i32 s0, s15, s3
	v_mad_i64_i32 v[25:26], null, v66, s12, 0
	v_mad_i64_i32 v[27:28], null, v66, s9, 0
	s_mul_hi_u32 s1, s15, s2
	s_mul_i32 s3, s25, s2
	s_add_i32 s1, s1, s0
	s_mul_i32 s0, s15, s2
	s_delay_alu instid0(VALU_DEP_2) | instskip(SKIP_1) | instid1(VALU_DEP_2)
	v_lshlrev_b64 v[25:26], 1, v[25:26]
	s_add_i32 s1, s1, s3
	v_lshlrev_b64 v[27:28], 1, v[27:28]
	s_lshl_b64 s[0:1], s[0:1], 1
	s_delay_alu instid0(SALU_CYCLE_1) | instskip(NEXT) | instid1(VALU_DEP_2)
	s_add_u32 s13, s6, s0
	v_add_co_u32 v74, vcc_lo, s10, v25
	v_add_co_ci_u32_e32 v75, vcc_lo, s11, v26, vcc_lo
	s_addc_u32 s14, s7, s1
	v_add_co_u32 v72, vcc_lo, s13, v27
	v_cmp_gt_i32_e64 s0, s16, v24
	v_add_co_ci_u32_e32 v73, vcc_lo, s14, v28, vcc_lo
	v_ashrrev_i32_e32 v25, 31, v24
	s_delay_alu instid0(VALU_DEP_3) | instskip(NEXT) | instid1(SALU_CYCLE_1)
	s_and_b32 s2, s0, s8
	s_and_saveexec_b32 s1, s2
	s_cbranch_execz .LBB298_41
; %bb.37:
	s_delay_alu instid0(VALU_DEP_1)
	v_lshlrev_b64 v[26:27], 1, v[24:25]
	s_and_not1_b32 vcc_lo, exec_lo, s24
	s_cbranch_vccnz .LBB298_39
; %bb.38:
	s_delay_alu instid0(VALU_DEP_1) | instskip(NEXT) | instid1(VALU_DEP_2)
	v_add_co_u32 v28, vcc_lo, v74, v26
	v_add_co_ci_u32_e32 v29, vcc_lo, v75, v27, vcc_lo
	flat_load_u16 v28, v[28:29]
	s_waitcnt vmcnt(0) lgkmcnt(0)
	v_mul_f16_e32 v28, s19, v28
	s_branch .LBB298_40
.LBB298_39:
	v_mov_b32_e32 v28, 0
.LBB298_40:
	v_pk_max_f16 v29, v20, v20
	v_pk_max_f16 v30, v16, v16
	v_pk_max_f16 v31, v21, v21
	v_pk_max_f16 v32, v17, v17
	v_add_co_u32 v26, vcc_lo, v72, v26
	s_delay_alu instid0(VALU_DEP_4) | instskip(SKIP_1) | instid1(VALU_DEP_4)
	v_pk_min_f16 v29, v30, v29
	v_add_co_ci_u32_e32 v27, vcc_lo, v73, v27, vcc_lo
	v_pk_min_f16 v30, v32, v31
	s_delay_alu instid0(VALU_DEP_3) | instskip(NEXT) | instid1(VALU_DEP_1)
	v_pk_add_f16 v29, v71, v29
	v_pk_add_f16 v29, v29, v30
	s_delay_alu instid0(VALU_DEP_1) | instskip(NEXT) | instid1(VALU_DEP_1)
	v_lshrrev_b32_e32 v30, 16, v29
	v_add_f16_e32 v29, v29, v30
	s_delay_alu instid0(VALU_DEP_1)
	v_add_f16_e32 v28, v29, v28
	global_store_b16 v[26:27], v28, off
.LBB298_41:
	s_or_b32 exec_lo, exec_lo, s1
	v_add_nc_u32_e32 v26, 8, v24
	s_delay_alu instid0(VALU_DEP_1) | instskip(SKIP_1) | instid1(VALU_DEP_2)
	v_cmp_gt_i32_e64 s1, s16, v26
	v_ashrrev_i32_e32 v27, 31, v26
	s_and_b32 s3, s1, s8
	s_delay_alu instid0(SALU_CYCLE_1)
	s_and_saveexec_b32 s2, s3
	s_cbranch_execz .LBB298_46
; %bb.42:
	v_cmp_ne_u32_e32 vcc_lo, 1, v59
	v_lshlrev_b64 v[28:29], 1, v[26:27]
	s_cbranch_vccnz .LBB298_44
; %bb.43:
	s_delay_alu instid0(VALU_DEP_1) | instskip(NEXT) | instid1(VALU_DEP_2)
	v_add_co_u32 v30, vcc_lo, v74, v28
	v_add_co_ci_u32_e32 v31, vcc_lo, v75, v29, vcc_lo
	flat_load_u16 v30, v[30:31]
	s_waitcnt vmcnt(0) lgkmcnt(0)
	v_mul_f16_e32 v30, s19, v30
	s_branch .LBB298_45
.LBB298_44:
	v_mov_b32_e32 v30, 0
.LBB298_45:
	v_pk_max_f16 v31, v20, v20
	v_pk_max_f16 v32, v18, v18
	v_pk_max_f16 v33, v21, v21
	v_pk_max_f16 v34, v19, v19
	v_add_co_u32 v28, vcc_lo, v72, v28
	s_delay_alu instid0(VALU_DEP_4) | instskip(SKIP_1) | instid1(VALU_DEP_4)
	v_pk_min_f16 v31, v32, v31
	v_add_co_ci_u32_e32 v29, vcc_lo, v73, v29, vcc_lo
	v_pk_min_f16 v32, v34, v33
	s_delay_alu instid0(VALU_DEP_3) | instskip(NEXT) | instid1(VALU_DEP_1)
	v_pk_add_f16 v31, v70, v31
	v_pk_add_f16 v31, v31, v32
	s_delay_alu instid0(VALU_DEP_1) | instskip(NEXT) | instid1(VALU_DEP_1)
	v_lshrrev_b32_e32 v32, 16, v31
	v_add_f16_e32 v31, v31, v32
	s_delay_alu instid0(VALU_DEP_1)
	v_add_f16_e32 v30, v31, v30
	global_store_b16 v[28:29], v30, off
.LBB298_46:
	s_or_b32 exec_lo, exec_lo, s2
	v_add_nc_u32_e32 v28, 16, v24
	s_delay_alu instid0(VALU_DEP_1) | instskip(SKIP_1) | instid1(VALU_DEP_2)
	v_cmp_gt_i32_e64 s2, s16, v28
	v_ashrrev_i32_e32 v29, 31, v28
	s_and_b32 s4, s2, s8
	s_delay_alu instid0(SALU_CYCLE_1)
	s_and_saveexec_b32 s3, s4
	s_cbranch_execz .LBB298_51
; %bb.47:
	v_cmp_ne_u32_e32 vcc_lo, 1, v59
	v_lshlrev_b64 v[30:31], 1, v[28:29]
	s_cbranch_vccnz .LBB298_49
; %bb.48:
	s_delay_alu instid0(VALU_DEP_1) | instskip(NEXT) | instid1(VALU_DEP_2)
	v_add_co_u32 v32, vcc_lo, v74, v30
	v_add_co_ci_u32_e32 v33, vcc_lo, v75, v31, vcc_lo
	flat_load_u16 v32, v[32:33]
	s_waitcnt vmcnt(0) lgkmcnt(0)
	v_mul_f16_e32 v32, s19, v32
	s_branch .LBB298_50
.LBB298_49:
	v_mov_b32_e32 v32, 0
.LBB298_50:
	v_pk_max_f16 v33, v20, v20
	v_pk_max_f16 v34, v12, v12
	v_pk_max_f16 v35, v21, v21
	v_pk_max_f16 v36, v13, v13
	v_add_co_u32 v30, vcc_lo, v72, v30
	s_delay_alu instid0(VALU_DEP_4) | instskip(SKIP_1) | instid1(VALU_DEP_4)
	v_pk_min_f16 v33, v34, v33
	v_add_co_ci_u32_e32 v31, vcc_lo, v73, v31, vcc_lo
	v_pk_min_f16 v34, v36, v35
	s_delay_alu instid0(VALU_DEP_3) | instskip(NEXT) | instid1(VALU_DEP_1)
	v_pk_add_f16 v33, v69, v33
	v_pk_add_f16 v33, v33, v34
	s_delay_alu instid0(VALU_DEP_1) | instskip(NEXT) | instid1(VALU_DEP_1)
	v_lshrrev_b32_e32 v34, 16, v33
	v_add_f16_e32 v33, v33, v34
	s_delay_alu instid0(VALU_DEP_1)
	v_add_f16_e32 v32, v33, v32
	global_store_b16 v[30:31], v32, off
.LBB298_51:
	;; [unrolled: 43-line block ×6, first 2 shown]
	s_or_b32 exec_lo, exec_lo, s7
	v_add_nc_u32_e32 v38, 56, v24
	s_delay_alu instid0(VALU_DEP_1) | instskip(SKIP_1) | instid1(VALU_DEP_2)
	v_cmp_gt_i32_e64 s7, s16, v38
	v_ashrrev_i32_e32 v39, 31, v38
	s_and_b32 s15, s7, s8
	s_delay_alu instid0(SALU_CYCLE_1)
	s_and_saveexec_b32 s8, s15
	s_cbranch_execz .LBB298_76
; %bb.72:
	v_cmp_ne_u32_e32 vcc_lo, 1, v59
	v_lshlrev_b64 v[40:41], 1, v[38:39]
	s_cbranch_vccnz .LBB298_74
; %bb.73:
	s_delay_alu instid0(VALU_DEP_1) | instskip(NEXT) | instid1(VALU_DEP_2)
	v_add_co_u32 v69, vcc_lo, v74, v40
	v_add_co_ci_u32_e32 v70, vcc_lo, v75, v41, vcc_lo
	flat_load_u16 v69, v[69:70]
	s_waitcnt vmcnt(0) lgkmcnt(0)
	v_mul_f16_e32 v69, s19, v69
	s_branch .LBB298_75
.LBB298_74:
	v_mov_b32_e32 v69, 0
.LBB298_75:
	v_pk_max_f16 v20, v20, v20
	v_pk_max_f16 v70, v6, v6
	v_pk_max_f16 v21, v21, v21
	v_pk_max_f16 v71, v7, v7
	s_delay_alu instid0(VALU_DEP_3) | instskip(NEXT) | instid1(VALU_DEP_2)
	v_pk_min_f16 v20, v70, v20
	v_pk_min_f16 v21, v71, v21
	s_delay_alu instid0(VALU_DEP_2) | instskip(NEXT) | instid1(VALU_DEP_1)
	v_pk_add_f16 v20, v68, v20
	v_pk_add_f16 v20, v20, v21
	s_delay_alu instid0(VALU_DEP_1) | instskip(NEXT) | instid1(VALU_DEP_1)
	v_lshrrev_b32_e32 v21, 16, v20
	v_add_f16_e32 v20, v20, v21
	s_delay_alu instid0(VALU_DEP_1)
	v_add_f16_e32 v68, v20, v69
	v_add_co_u32 v20, vcc_lo, v72, v40
	v_add_co_ci_u32_e32 v21, vcc_lo, v73, v41, vcc_lo
	global_store_b16 v[20:21], v68, off
.LBB298_76:
	s_or_b32 exec_lo, exec_lo, s8
	v_add_nc_u32_e32 v68, 32, v66
	s_delay_alu instid0(VALU_DEP_1) | instskip(SKIP_2) | instid1(VALU_DEP_3)
	v_mad_i64_i32 v[20:21], null, v68, s12, 0
	v_mad_i64_i32 v[40:41], null, v68, s9, 0
	v_cmp_gt_i32_e64 s8, s17, v68
	v_lshlrev_b64 v[20:21], 1, v[20:21]
	s_delay_alu instid0(VALU_DEP_2) | instskip(NEXT) | instid1(VALU_DEP_3)
	s_and_b32 s16, s0, s8
	v_lshlrev_b64 v[40:41], 1, v[40:41]
	s_delay_alu instid0(VALU_DEP_2) | instskip(NEXT) | instid1(VALU_DEP_3)
	v_add_co_u32 v68, vcc_lo, s10, v20
	v_add_co_ci_u32_e32 v69, vcc_lo, s11, v21, vcc_lo
	s_delay_alu instid0(VALU_DEP_3) | instskip(NEXT) | instid1(VALU_DEP_4)
	v_add_co_u32 v40, vcc_lo, s13, v40
	v_add_co_ci_u32_e32 v41, vcc_lo, s14, v41, vcc_lo
	s_and_saveexec_b32 s15, s16
	s_cbranch_execnz .LBB298_84
; %bb.77:
	s_or_b32 exec_lo, exec_lo, s15
	s_and_b32 s16, s1, s8
	s_delay_alu instid0(SALU_CYCLE_1)
	s_and_saveexec_b32 s15, s16
	s_cbranch_execnz .LBB298_88
.LBB298_78:
	s_or_b32 exec_lo, exec_lo, s15
	s_and_b32 s16, s2, s8
	s_delay_alu instid0(SALU_CYCLE_1)
	s_and_saveexec_b32 s15, s16
	s_cbranch_execnz .LBB298_92
.LBB298_79:
	s_or_b32 exec_lo, exec_lo, s15
	s_and_b32 s16, s3, s8
	s_delay_alu instid0(SALU_CYCLE_1)
	s_and_saveexec_b32 s15, s16
	s_cbranch_execnz .LBB298_96
.LBB298_80:
	s_or_b32 exec_lo, exec_lo, s15
	s_and_b32 s16, s4, s8
	s_delay_alu instid0(SALU_CYCLE_1)
	s_and_saveexec_b32 s15, s16
	s_cbranch_execnz .LBB298_100
.LBB298_81:
	s_or_b32 exec_lo, exec_lo, s15
	s_and_b32 s16, s5, s8
	s_delay_alu instid0(SALU_CYCLE_1)
	s_and_saveexec_b32 s15, s16
	s_cbranch_execnz .LBB298_104
.LBB298_82:
	s_or_b32 exec_lo, exec_lo, s15
	s_and_b32 s16, s6, s8
	s_delay_alu instid0(SALU_CYCLE_1)
	s_and_saveexec_b32 s15, s16
	s_cbranch_execnz .LBB298_108
.LBB298_83:
	s_or_b32 exec_lo, exec_lo, s15
	s_and_b32 s15, s7, s8
	s_delay_alu instid0(SALU_CYCLE_1)
	s_and_saveexec_b32 s8, s15
	s_cbranch_execnz .LBB298_112
	s_branch .LBB298_116
.LBB298_84:
	v_cmp_ne_u32_e32 vcc_lo, 1, v59
	v_lshlrev_b64 v[20:21], 1, v[24:25]
	s_cbranch_vccnz .LBB298_86
; %bb.85:
	s_delay_alu instid0(VALU_DEP_1) | instskip(NEXT) | instid1(VALU_DEP_2)
	v_add_co_u32 v70, vcc_lo, v68, v20
	v_add_co_ci_u32_e32 v71, vcc_lo, v69, v21, vcc_lo
	flat_load_u16 v70, v[70:71]
	s_waitcnt vmcnt(0) lgkmcnt(0)
	v_mul_f16_e32 v70, s19, v70
	s_branch .LBB298_87
.LBB298_86:
	v_mov_b32_e32 v70, 0
.LBB298_87:
	v_pk_max_f16 v71, v22, v22
	v_pk_max_f16 v72, v16, v16
	v_pk_max_f16 v73, v23, v23
	v_pk_max_f16 v74, v17, v17
	v_add_co_u32 v20, vcc_lo, v40, v20
	s_delay_alu instid0(VALU_DEP_4) | instskip(SKIP_1) | instid1(VALU_DEP_4)
	v_pk_min_f16 v71, v72, v71
	v_add_co_ci_u32_e32 v21, vcc_lo, v41, v21, vcc_lo
	v_pk_min_f16 v72, v74, v73
	s_delay_alu instid0(VALU_DEP_3) | instskip(NEXT) | instid1(VALU_DEP_1)
	v_pk_add_f16 v67, v67, v71
	v_pk_add_f16 v67, v67, v72
	s_delay_alu instid0(VALU_DEP_1) | instskip(NEXT) | instid1(VALU_DEP_1)
	v_lshrrev_b32_e32 v71, 16, v67
	v_add_f16_e32 v67, v67, v71
	s_delay_alu instid0(VALU_DEP_1) | instskip(SKIP_3) | instid1(SALU_CYCLE_1)
	v_add_f16_e32 v67, v67, v70
	global_store_b16 v[20:21], v67, off
	s_or_b32 exec_lo, exec_lo, s15
	s_and_b32 s16, s1, s8
	s_and_saveexec_b32 s15, s16
	s_cbranch_execz .LBB298_78
.LBB298_88:
	v_cmp_ne_u32_e32 vcc_lo, 1, v59
	v_lshlrev_b64 v[20:21], 1, v[26:27]
	s_cbranch_vccnz .LBB298_90
; %bb.89:
	s_delay_alu instid0(VALU_DEP_1) | instskip(NEXT) | instid1(VALU_DEP_2)
	v_add_co_u32 v70, vcc_lo, v68, v20
	v_add_co_ci_u32_e32 v71, vcc_lo, v69, v21, vcc_lo
	flat_load_u16 v67, v[70:71]
	s_waitcnt vmcnt(0) lgkmcnt(0)
	v_mul_f16_e32 v67, s19, v67
	s_branch .LBB298_91
.LBB298_90:
	v_mov_b32_e32 v67, 0
.LBB298_91:
	v_pk_max_f16 v70, v22, v22
	v_pk_max_f16 v71, v18, v18
	;; [unrolled: 1-line block ×4, first 2 shown]
	v_add_co_u32 v20, vcc_lo, v40, v20
	s_delay_alu instid0(VALU_DEP_4) | instskip(SKIP_1) | instid1(VALU_DEP_4)
	v_pk_min_f16 v70, v71, v70
	v_add_co_ci_u32_e32 v21, vcc_lo, v41, v21, vcc_lo
	v_pk_min_f16 v71, v73, v72
	s_delay_alu instid0(VALU_DEP_3) | instskip(NEXT) | instid1(VALU_DEP_1)
	v_pk_add_f16 v65, v65, v70
	v_pk_add_f16 v65, v65, v71
	s_delay_alu instid0(VALU_DEP_1) | instskip(NEXT) | instid1(VALU_DEP_1)
	v_lshrrev_b32_e32 v70, 16, v65
	v_add_f16_e32 v65, v65, v70
	s_delay_alu instid0(VALU_DEP_1) | instskip(SKIP_3) | instid1(SALU_CYCLE_1)
	v_add_f16_e32 v65, v65, v67
	global_store_b16 v[20:21], v65, off
	s_or_b32 exec_lo, exec_lo, s15
	s_and_b32 s16, s2, s8
	s_and_saveexec_b32 s15, s16
	s_cbranch_execz .LBB298_79
.LBB298_92:
	v_cmp_ne_u32_e32 vcc_lo, 1, v59
	v_lshlrev_b64 v[20:21], 1, v[28:29]
	s_cbranch_vccnz .LBB298_94
; %bb.93:
	s_delay_alu instid0(VALU_DEP_1) | instskip(NEXT) | instid1(VALU_DEP_2)
	v_add_co_u32 v70, vcc_lo, v68, v20
	v_add_co_ci_u32_e32 v71, vcc_lo, v69, v21, vcc_lo
	flat_load_u16 v65, v[70:71]
	s_waitcnt vmcnt(0) lgkmcnt(0)
	v_mul_f16_e32 v65, s19, v65
	s_branch .LBB298_95
.LBB298_94:
	v_mov_b32_e32 v65, 0
.LBB298_95:
	v_pk_max_f16 v67, v22, v22
	v_pk_max_f16 v70, v12, v12
	;; [unrolled: 1-line block ×4, first 2 shown]
	v_add_co_u32 v20, vcc_lo, v40, v20
	s_delay_alu instid0(VALU_DEP_4) | instskip(SKIP_1) | instid1(VALU_DEP_4)
	v_pk_min_f16 v67, v70, v67
	v_add_co_ci_u32_e32 v21, vcc_lo, v41, v21, vcc_lo
	v_pk_min_f16 v70, v72, v71
	s_delay_alu instid0(VALU_DEP_3) | instskip(NEXT) | instid1(VALU_DEP_1)
	v_pk_add_f16 v64, v64, v67
	v_pk_add_f16 v64, v64, v70
	s_delay_alu instid0(VALU_DEP_1) | instskip(NEXT) | instid1(VALU_DEP_1)
	v_lshrrev_b32_e32 v67, 16, v64
	v_add_f16_e32 v64, v64, v67
	s_delay_alu instid0(VALU_DEP_1) | instskip(SKIP_3) | instid1(SALU_CYCLE_1)
	v_add_f16_e32 v64, v64, v65
	global_store_b16 v[20:21], v64, off
	s_or_b32 exec_lo, exec_lo, s15
	s_and_b32 s16, s3, s8
	s_and_saveexec_b32 s15, s16
	s_cbranch_execz .LBB298_80
.LBB298_96:
	v_cmp_ne_u32_e32 vcc_lo, 1, v59
	v_lshlrev_b64 v[20:21], 1, v[30:31]
	s_cbranch_vccnz .LBB298_98
; %bb.97:
	s_delay_alu instid0(VALU_DEP_1) | instskip(NEXT) | instid1(VALU_DEP_2)
	v_add_co_u32 v64, vcc_lo, v68, v20
	v_add_co_ci_u32_e32 v65, vcc_lo, v69, v21, vcc_lo
	flat_load_u16 v64, v[64:65]
	s_waitcnt vmcnt(0) lgkmcnt(0)
	v_mul_f16_e32 v64, s19, v64
	s_branch .LBB298_99
.LBB298_98:
	v_mov_b32_e32 v64, 0
.LBB298_99:
	v_pk_max_f16 v65, v22, v22
	v_pk_max_f16 v67, v14, v14
	;; [unrolled: 1-line block ×4, first 2 shown]
	v_add_co_u32 v20, vcc_lo, v40, v20
	s_delay_alu instid0(VALU_DEP_4) | instskip(SKIP_1) | instid1(VALU_DEP_4)
	v_pk_min_f16 v65, v67, v65
	v_add_co_ci_u32_e32 v21, vcc_lo, v41, v21, vcc_lo
	v_pk_min_f16 v67, v71, v70
	s_delay_alu instid0(VALU_DEP_3) | instskip(NEXT) | instid1(VALU_DEP_1)
	v_pk_add_f16 v63, v63, v65
	v_pk_add_f16 v63, v63, v67
	s_delay_alu instid0(VALU_DEP_1) | instskip(NEXT) | instid1(VALU_DEP_1)
	v_lshrrev_b32_e32 v65, 16, v63
	v_add_f16_e32 v63, v63, v65
	s_delay_alu instid0(VALU_DEP_1) | instskip(SKIP_3) | instid1(SALU_CYCLE_1)
	v_add_f16_e32 v63, v63, v64
	global_store_b16 v[20:21], v63, off
	s_or_b32 exec_lo, exec_lo, s15
	s_and_b32 s16, s4, s8
	s_and_saveexec_b32 s15, s16
	s_cbranch_execz .LBB298_81
.LBB298_100:
	v_cmp_ne_u32_e32 vcc_lo, 1, v59
	v_lshlrev_b64 v[20:21], 1, v[32:33]
	s_cbranch_vccnz .LBB298_102
; %bb.101:
	s_delay_alu instid0(VALU_DEP_1) | instskip(NEXT) | instid1(VALU_DEP_2)
	v_add_co_u32 v63, vcc_lo, v68, v20
	v_add_co_ci_u32_e32 v64, vcc_lo, v69, v21, vcc_lo
	flat_load_u16 v63, v[63:64]
	s_waitcnt vmcnt(0) lgkmcnt(0)
	v_mul_f16_e32 v63, s19, v63
	s_branch .LBB298_103
.LBB298_102:
	v_mov_b32_e32 v63, 0
.LBB298_103:
	v_pk_max_f16 v64, v22, v22
	v_pk_max_f16 v65, v8, v8
	;; [unrolled: 1-line block ×4, first 2 shown]
	v_add_co_u32 v20, vcc_lo, v40, v20
	s_delay_alu instid0(VALU_DEP_4) | instskip(SKIP_1) | instid1(VALU_DEP_4)
	v_pk_min_f16 v64, v65, v64
	v_add_co_ci_u32_e32 v21, vcc_lo, v41, v21, vcc_lo
	v_pk_min_f16 v65, v70, v67
	s_delay_alu instid0(VALU_DEP_3) | instskip(NEXT) | instid1(VALU_DEP_1)
	v_pk_add_f16 v62, v62, v64
	v_pk_add_f16 v62, v62, v65
	s_delay_alu instid0(VALU_DEP_1) | instskip(NEXT) | instid1(VALU_DEP_1)
	v_lshrrev_b32_e32 v64, 16, v62
	v_add_f16_e32 v62, v62, v64
	s_delay_alu instid0(VALU_DEP_1) | instskip(SKIP_3) | instid1(SALU_CYCLE_1)
	v_add_f16_e32 v62, v62, v63
	global_store_b16 v[20:21], v62, off
	s_or_b32 exec_lo, exec_lo, s15
	s_and_b32 s16, s5, s8
	s_and_saveexec_b32 s15, s16
	s_cbranch_execz .LBB298_82
.LBB298_104:
	v_cmp_ne_u32_e32 vcc_lo, 1, v59
	v_lshlrev_b64 v[20:21], 1, v[34:35]
	s_cbranch_vccnz .LBB298_106
; %bb.105:
	s_delay_alu instid0(VALU_DEP_1) | instskip(NEXT) | instid1(VALU_DEP_2)
	v_add_co_u32 v62, vcc_lo, v68, v20
	v_add_co_ci_u32_e32 v63, vcc_lo, v69, v21, vcc_lo
	flat_load_u16 v62, v[62:63]
	s_waitcnt vmcnt(0) lgkmcnt(0)
	v_mul_f16_e32 v62, s19, v62
	s_branch .LBB298_107
.LBB298_106:
	v_mov_b32_e32 v62, 0
.LBB298_107:
	v_pk_max_f16 v63, v22, v22
	v_pk_max_f16 v64, v10, v10
	;; [unrolled: 1-line block ×4, first 2 shown]
	v_add_co_u32 v20, vcc_lo, v40, v20
	s_delay_alu instid0(VALU_DEP_4) | instskip(SKIP_1) | instid1(VALU_DEP_4)
	v_pk_min_f16 v63, v64, v63
	v_add_co_ci_u32_e32 v21, vcc_lo, v41, v21, vcc_lo
	v_pk_min_f16 v64, v67, v65
	s_delay_alu instid0(VALU_DEP_3) | instskip(NEXT) | instid1(VALU_DEP_1)
	v_pk_add_f16 v61, v61, v63
	v_pk_add_f16 v61, v61, v64
	s_delay_alu instid0(VALU_DEP_1) | instskip(NEXT) | instid1(VALU_DEP_1)
	v_lshrrev_b32_e32 v63, 16, v61
	v_add_f16_e32 v61, v61, v63
	s_delay_alu instid0(VALU_DEP_1) | instskip(SKIP_3) | instid1(SALU_CYCLE_1)
	v_add_f16_e32 v61, v61, v62
	global_store_b16 v[20:21], v61, off
	s_or_b32 exec_lo, exec_lo, s15
	s_and_b32 s16, s6, s8
	s_and_saveexec_b32 s15, s16
	s_cbranch_execz .LBB298_83
.LBB298_108:
	v_cmp_ne_u32_e32 vcc_lo, 1, v59
	v_lshlrev_b64 v[20:21], 1, v[36:37]
	s_cbranch_vccnz .LBB298_110
; %bb.109:
	s_delay_alu instid0(VALU_DEP_1) | instskip(NEXT) | instid1(VALU_DEP_2)
	v_add_co_u32 v61, vcc_lo, v68, v20
	v_add_co_ci_u32_e32 v62, vcc_lo, v69, v21, vcc_lo
	flat_load_u16 v61, v[61:62]
	s_waitcnt vmcnt(0) lgkmcnt(0)
	v_mul_f16_e32 v61, s19, v61
	s_branch .LBB298_111
.LBB298_110:
	v_mov_b32_e32 v61, 0
.LBB298_111:
	v_pk_max_f16 v62, v22, v22
	v_pk_max_f16 v63, v4, v4
	;; [unrolled: 1-line block ×4, first 2 shown]
	v_add_co_u32 v20, vcc_lo, v40, v20
	s_delay_alu instid0(VALU_DEP_4) | instskip(SKIP_1) | instid1(VALU_DEP_4)
	v_pk_min_f16 v62, v63, v62
	v_add_co_ci_u32_e32 v21, vcc_lo, v41, v21, vcc_lo
	v_pk_min_f16 v63, v65, v64
	s_delay_alu instid0(VALU_DEP_3) | instskip(NEXT) | instid1(VALU_DEP_1)
	v_pk_add_f16 v60, v60, v62
	v_pk_add_f16 v60, v60, v63
	s_delay_alu instid0(VALU_DEP_1) | instskip(NEXT) | instid1(VALU_DEP_1)
	v_lshrrev_b32_e32 v62, 16, v60
	v_add_f16_e32 v60, v60, v62
	s_delay_alu instid0(VALU_DEP_1) | instskip(SKIP_3) | instid1(SALU_CYCLE_1)
	v_add_f16_e32 v60, v60, v61
	global_store_b16 v[20:21], v60, off
	s_or_b32 exec_lo, exec_lo, s15
	s_and_b32 s15, s7, s8
	s_and_saveexec_b32 s8, s15
	s_cbranch_execz .LBB298_116
.LBB298_112:
	v_cmp_ne_u32_e32 vcc_lo, 1, v59
	v_lshlrev_b64 v[20:21], 1, v[38:39]
	s_cbranch_vccnz .LBB298_114
; %bb.113:
	s_delay_alu instid0(VALU_DEP_1) | instskip(NEXT) | instid1(VALU_DEP_2)
	v_add_co_u32 v60, vcc_lo, v68, v20
	v_add_co_ci_u32_e32 v61, vcc_lo, v69, v21, vcc_lo
	flat_load_u16 v60, v[60:61]
	s_waitcnt vmcnt(0) lgkmcnt(0)
	v_mul_f16_e32 v60, s19, v60
	s_branch .LBB298_115
.LBB298_114:
	v_mov_b32_e32 v60, 0
.LBB298_115:
	v_pk_max_f16 v22, v22, v22
	v_pk_max_f16 v61, v6, v6
	;; [unrolled: 1-line block ×4, first 2 shown]
	v_add_co_u32 v20, vcc_lo, v40, v20
	s_delay_alu instid0(VALU_DEP_4) | instskip(SKIP_1) | instid1(VALU_DEP_4)
	v_pk_min_f16 v22, v61, v22
	v_add_co_ci_u32_e32 v21, vcc_lo, v41, v21, vcc_lo
	v_pk_min_f16 v23, v62, v23
	s_delay_alu instid0(VALU_DEP_3) | instskip(NEXT) | instid1(VALU_DEP_1)
	v_pk_add_f16 v22, v58, v22
	v_pk_add_f16 v22, v22, v23
	s_delay_alu instid0(VALU_DEP_1) | instskip(NEXT) | instid1(VALU_DEP_1)
	v_lshrrev_b32_e32 v23, 16, v22
	v_add_f16_e32 v22, v22, v23
	s_delay_alu instid0(VALU_DEP_1)
	v_add_f16_e32 v22, v22, v60
	global_store_b16 v[20:21], v22, off
.LBB298_116:
	s_or_b32 exec_lo, exec_lo, s8
	v_add_nc_u32_e32 v40, 64, v66
	s_delay_alu instid0(VALU_DEP_1) | instskip(SKIP_2) | instid1(VALU_DEP_3)
	v_mad_i64_i32 v[20:21], null, v40, s12, 0
	v_mad_i64_i32 v[22:23], null, v40, s9, 0
	v_cmp_gt_i32_e64 s8, s17, v40
	v_lshlrev_b64 v[20:21], 1, v[20:21]
	s_delay_alu instid0(VALU_DEP_2) | instskip(NEXT) | instid1(VALU_DEP_3)
	s_and_b32 s16, s0, s8
	v_lshlrev_b64 v[22:23], 1, v[22:23]
	s_delay_alu instid0(VALU_DEP_2) | instskip(NEXT) | instid1(VALU_DEP_3)
	v_add_co_u32 v40, vcc_lo, s10, v20
	v_add_co_ci_u32_e32 v41, vcc_lo, s11, v21, vcc_lo
	s_delay_alu instid0(VALU_DEP_3) | instskip(NEXT) | instid1(VALU_DEP_4)
	v_add_co_u32 v22, vcc_lo, s13, v22
	v_add_co_ci_u32_e32 v23, vcc_lo, s14, v23, vcc_lo
	s_and_saveexec_b32 s15, s16
	s_cbranch_execnz .LBB298_124
; %bb.117:
	s_or_b32 exec_lo, exec_lo, s15
	s_and_b32 s16, s1, s8
	s_delay_alu instid0(SALU_CYCLE_1)
	s_and_saveexec_b32 s15, s16
	s_cbranch_execnz .LBB298_128
.LBB298_118:
	s_or_b32 exec_lo, exec_lo, s15
	s_and_b32 s16, s2, s8
	s_delay_alu instid0(SALU_CYCLE_1)
	s_and_saveexec_b32 s15, s16
	s_cbranch_execnz .LBB298_132
.LBB298_119:
	s_or_b32 exec_lo, exec_lo, s15
	s_and_b32 s16, s3, s8
	s_delay_alu instid0(SALU_CYCLE_1)
	s_and_saveexec_b32 s15, s16
	s_cbranch_execnz .LBB298_136
.LBB298_120:
	s_or_b32 exec_lo, exec_lo, s15
	s_and_b32 s16, s4, s8
	s_delay_alu instid0(SALU_CYCLE_1)
	s_and_saveexec_b32 s15, s16
	s_cbranch_execnz .LBB298_140
.LBB298_121:
	s_or_b32 exec_lo, exec_lo, s15
	s_and_b32 s16, s5, s8
	s_delay_alu instid0(SALU_CYCLE_1)
	s_and_saveexec_b32 s15, s16
	s_cbranch_execnz .LBB298_144
.LBB298_122:
	s_or_b32 exec_lo, exec_lo, s15
	s_and_b32 s16, s6, s8
	s_delay_alu instid0(SALU_CYCLE_1)
	s_and_saveexec_b32 s15, s16
	s_cbranch_execnz .LBB298_148
.LBB298_123:
	s_or_b32 exec_lo, exec_lo, s15
	s_and_b32 s15, s7, s8
	s_delay_alu instid0(SALU_CYCLE_1)
	s_and_saveexec_b32 s8, s15
	s_cbranch_execnz .LBB298_152
	s_branch .LBB298_156
.LBB298_124:
	v_cmp_ne_u32_e32 vcc_lo, 1, v59
	v_lshlrev_b64 v[20:21], 1, v[24:25]
	s_cbranch_vccnz .LBB298_126
; %bb.125:
	s_delay_alu instid0(VALU_DEP_1) | instskip(NEXT) | instid1(VALU_DEP_2)
	v_add_co_u32 v60, vcc_lo, v40, v20
	v_add_co_ci_u32_e32 v61, vcc_lo, v41, v21, vcc_lo
	flat_load_u16 v58, v[60:61]
	s_waitcnt vmcnt(0) lgkmcnt(0)
	v_mul_f16_e32 v58, s19, v58
	s_branch .LBB298_127
.LBB298_126:
	v_mov_b32_e32 v58, 0
.LBB298_127:
	v_pk_max_f16 v60, v0, v0
	v_pk_max_f16 v61, v16, v16
	;; [unrolled: 1-line block ×4, first 2 shown]
	v_add_co_u32 v20, vcc_lo, v22, v20
	s_delay_alu instid0(VALU_DEP_4) | instskip(SKIP_1) | instid1(VALU_DEP_4)
	v_pk_min_f16 v60, v61, v60
	v_add_co_ci_u32_e32 v21, vcc_lo, v23, v21, vcc_lo
	v_pk_min_f16 v61, v63, v62
	s_delay_alu instid0(VALU_DEP_3) | instskip(NEXT) | instid1(VALU_DEP_1)
	v_pk_add_f16 v57, v57, v60
	v_pk_add_f16 v57, v57, v61
	s_delay_alu instid0(VALU_DEP_1) | instskip(NEXT) | instid1(VALU_DEP_1)
	v_lshrrev_b32_e32 v60, 16, v57
	v_add_f16_e32 v57, v57, v60
	s_delay_alu instid0(VALU_DEP_1) | instskip(SKIP_3) | instid1(SALU_CYCLE_1)
	v_add_f16_e32 v57, v57, v58
	global_store_b16 v[20:21], v57, off
	s_or_b32 exec_lo, exec_lo, s15
	s_and_b32 s16, s1, s8
	s_and_saveexec_b32 s15, s16
	s_cbranch_execz .LBB298_118
.LBB298_128:
	v_cmp_ne_u32_e32 vcc_lo, 1, v59
	v_lshlrev_b64 v[20:21], 1, v[26:27]
	s_cbranch_vccnz .LBB298_130
; %bb.129:
	s_delay_alu instid0(VALU_DEP_1) | instskip(NEXT) | instid1(VALU_DEP_2)
	v_add_co_u32 v57, vcc_lo, v40, v20
	v_add_co_ci_u32_e32 v58, vcc_lo, v41, v21, vcc_lo
	flat_load_u16 v57, v[57:58]
	s_waitcnt vmcnt(0) lgkmcnt(0)
	v_mul_f16_e32 v57, s19, v57
	s_branch .LBB298_131
.LBB298_130:
	v_mov_b32_e32 v57, 0
.LBB298_131:
	v_pk_max_f16 v58, v0, v0
	v_pk_max_f16 v60, v18, v18
	;; [unrolled: 1-line block ×4, first 2 shown]
	v_add_co_u32 v20, vcc_lo, v22, v20
	s_delay_alu instid0(VALU_DEP_4) | instskip(SKIP_1) | instid1(VALU_DEP_4)
	v_pk_min_f16 v58, v60, v58
	v_add_co_ci_u32_e32 v21, vcc_lo, v23, v21, vcc_lo
	v_pk_min_f16 v60, v62, v61
	s_delay_alu instid0(VALU_DEP_3) | instskip(NEXT) | instid1(VALU_DEP_1)
	v_pk_add_f16 v56, v56, v58
	v_pk_add_f16 v56, v56, v60
	s_delay_alu instid0(VALU_DEP_1) | instskip(NEXT) | instid1(VALU_DEP_1)
	v_lshrrev_b32_e32 v58, 16, v56
	v_add_f16_e32 v56, v56, v58
	s_delay_alu instid0(VALU_DEP_1) | instskip(SKIP_3) | instid1(SALU_CYCLE_1)
	v_add_f16_e32 v56, v56, v57
	global_store_b16 v[20:21], v56, off
	s_or_b32 exec_lo, exec_lo, s15
	s_and_b32 s16, s2, s8
	s_and_saveexec_b32 s15, s16
	s_cbranch_execz .LBB298_119
.LBB298_132:
	v_cmp_ne_u32_e32 vcc_lo, 1, v59
	v_lshlrev_b64 v[20:21], 1, v[28:29]
	s_cbranch_vccnz .LBB298_134
; %bb.133:
	s_delay_alu instid0(VALU_DEP_1) | instskip(NEXT) | instid1(VALU_DEP_2)
	v_add_co_u32 v56, vcc_lo, v40, v20
	v_add_co_ci_u32_e32 v57, vcc_lo, v41, v21, vcc_lo
	flat_load_u16 v56, v[56:57]
	s_waitcnt vmcnt(0) lgkmcnt(0)
	v_mul_f16_e32 v56, s19, v56
	s_branch .LBB298_135
.LBB298_134:
	v_mov_b32_e32 v56, 0
.LBB298_135:
	v_pk_max_f16 v57, v0, v0
	v_pk_max_f16 v58, v12, v12
	v_pk_max_f16 v60, v1, v1
	v_pk_max_f16 v61, v13, v13
	v_add_co_u32 v20, vcc_lo, v22, v20
	s_delay_alu instid0(VALU_DEP_4) | instskip(SKIP_1) | instid1(VALU_DEP_4)
	v_pk_min_f16 v57, v58, v57
	v_add_co_ci_u32_e32 v21, vcc_lo, v23, v21, vcc_lo
	v_pk_min_f16 v58, v61, v60
	s_delay_alu instid0(VALU_DEP_3) | instskip(NEXT) | instid1(VALU_DEP_1)
	v_pk_add_f16 v55, v55, v57
	v_pk_add_f16 v55, v55, v58
	s_delay_alu instid0(VALU_DEP_1) | instskip(NEXT) | instid1(VALU_DEP_1)
	v_lshrrev_b32_e32 v57, 16, v55
	v_add_f16_e32 v55, v55, v57
	s_delay_alu instid0(VALU_DEP_1) | instskip(SKIP_3) | instid1(SALU_CYCLE_1)
	v_add_f16_e32 v55, v55, v56
	global_store_b16 v[20:21], v55, off
	s_or_b32 exec_lo, exec_lo, s15
	s_and_b32 s16, s3, s8
	s_and_saveexec_b32 s15, s16
	s_cbranch_execz .LBB298_120
.LBB298_136:
	v_cmp_ne_u32_e32 vcc_lo, 1, v59
	v_lshlrev_b64 v[20:21], 1, v[30:31]
	s_cbranch_vccnz .LBB298_138
; %bb.137:
	s_delay_alu instid0(VALU_DEP_1) | instskip(NEXT) | instid1(VALU_DEP_2)
	v_add_co_u32 v55, vcc_lo, v40, v20
	v_add_co_ci_u32_e32 v56, vcc_lo, v41, v21, vcc_lo
	flat_load_u16 v55, v[55:56]
	s_waitcnt vmcnt(0) lgkmcnt(0)
	v_mul_f16_e32 v55, s19, v55
	s_branch .LBB298_139
.LBB298_138:
	v_mov_b32_e32 v55, 0
.LBB298_139:
	v_pk_max_f16 v56, v0, v0
	v_pk_max_f16 v57, v14, v14
	;; [unrolled: 1-line block ×4, first 2 shown]
	v_add_co_u32 v20, vcc_lo, v22, v20
	s_delay_alu instid0(VALU_DEP_4) | instskip(SKIP_1) | instid1(VALU_DEP_4)
	v_pk_min_f16 v56, v57, v56
	v_add_co_ci_u32_e32 v21, vcc_lo, v23, v21, vcc_lo
	v_pk_min_f16 v57, v60, v58
	s_delay_alu instid0(VALU_DEP_3) | instskip(NEXT) | instid1(VALU_DEP_1)
	v_pk_add_f16 v54, v54, v56
	v_pk_add_f16 v54, v54, v57
	s_delay_alu instid0(VALU_DEP_1) | instskip(NEXT) | instid1(VALU_DEP_1)
	v_lshrrev_b32_e32 v56, 16, v54
	v_add_f16_e32 v54, v54, v56
	s_delay_alu instid0(VALU_DEP_1) | instskip(SKIP_3) | instid1(SALU_CYCLE_1)
	v_add_f16_e32 v54, v54, v55
	global_store_b16 v[20:21], v54, off
	s_or_b32 exec_lo, exec_lo, s15
	s_and_b32 s16, s4, s8
	s_and_saveexec_b32 s15, s16
	s_cbranch_execz .LBB298_121
.LBB298_140:
	v_cmp_ne_u32_e32 vcc_lo, 1, v59
	v_lshlrev_b64 v[20:21], 1, v[32:33]
	s_cbranch_vccnz .LBB298_142
; %bb.141:
	s_delay_alu instid0(VALU_DEP_1) | instskip(NEXT) | instid1(VALU_DEP_2)
	v_add_co_u32 v54, vcc_lo, v40, v20
	v_add_co_ci_u32_e32 v55, vcc_lo, v41, v21, vcc_lo
	flat_load_u16 v54, v[54:55]
	s_waitcnt vmcnt(0) lgkmcnt(0)
	v_mul_f16_e32 v54, s19, v54
	s_branch .LBB298_143
.LBB298_142:
	v_mov_b32_e32 v54, 0
.LBB298_143:
	v_pk_max_f16 v55, v0, v0
	v_pk_max_f16 v56, v8, v8
	;; [unrolled: 1-line block ×4, first 2 shown]
	v_add_co_u32 v20, vcc_lo, v22, v20
	s_delay_alu instid0(VALU_DEP_4) | instskip(SKIP_1) | instid1(VALU_DEP_4)
	v_pk_min_f16 v55, v56, v55
	v_add_co_ci_u32_e32 v21, vcc_lo, v23, v21, vcc_lo
	v_pk_min_f16 v56, v58, v57
	s_delay_alu instid0(VALU_DEP_3) | instskip(NEXT) | instid1(VALU_DEP_1)
	v_pk_add_f16 v53, v53, v55
	v_pk_add_f16 v53, v53, v56
	s_delay_alu instid0(VALU_DEP_1) | instskip(NEXT) | instid1(VALU_DEP_1)
	v_lshrrev_b32_e32 v55, 16, v53
	v_add_f16_e32 v53, v53, v55
	s_delay_alu instid0(VALU_DEP_1) | instskip(SKIP_3) | instid1(SALU_CYCLE_1)
	v_add_f16_e32 v53, v53, v54
	global_store_b16 v[20:21], v53, off
	s_or_b32 exec_lo, exec_lo, s15
	s_and_b32 s16, s5, s8
	s_and_saveexec_b32 s15, s16
	s_cbranch_execz .LBB298_122
.LBB298_144:
	v_cmp_ne_u32_e32 vcc_lo, 1, v59
	v_lshlrev_b64 v[20:21], 1, v[34:35]
	s_cbranch_vccnz .LBB298_146
; %bb.145:
	s_delay_alu instid0(VALU_DEP_1) | instskip(NEXT) | instid1(VALU_DEP_2)
	v_add_co_u32 v53, vcc_lo, v40, v20
	v_add_co_ci_u32_e32 v54, vcc_lo, v41, v21, vcc_lo
	flat_load_u16 v53, v[53:54]
	s_waitcnt vmcnt(0) lgkmcnt(0)
	v_mul_f16_e32 v53, s19, v53
	s_branch .LBB298_147
.LBB298_146:
	v_mov_b32_e32 v53, 0
.LBB298_147:
	v_pk_max_f16 v54, v0, v0
	v_pk_max_f16 v55, v10, v10
	;; [unrolled: 1-line block ×4, first 2 shown]
	v_add_co_u32 v20, vcc_lo, v22, v20
	s_delay_alu instid0(VALU_DEP_4) | instskip(SKIP_1) | instid1(VALU_DEP_4)
	v_pk_min_f16 v54, v55, v54
	v_add_co_ci_u32_e32 v21, vcc_lo, v23, v21, vcc_lo
	v_pk_min_f16 v55, v57, v56
	s_delay_alu instid0(VALU_DEP_3) | instskip(NEXT) | instid1(VALU_DEP_1)
	v_pk_add_f16 v52, v52, v54
	v_pk_add_f16 v52, v52, v55
	s_delay_alu instid0(VALU_DEP_1) | instskip(NEXT) | instid1(VALU_DEP_1)
	v_lshrrev_b32_e32 v54, 16, v52
	v_add_f16_e32 v52, v52, v54
	s_delay_alu instid0(VALU_DEP_1) | instskip(SKIP_3) | instid1(SALU_CYCLE_1)
	v_add_f16_e32 v52, v52, v53
	global_store_b16 v[20:21], v52, off
	s_or_b32 exec_lo, exec_lo, s15
	s_and_b32 s16, s6, s8
	s_and_saveexec_b32 s15, s16
	s_cbranch_execz .LBB298_123
.LBB298_148:
	v_cmp_ne_u32_e32 vcc_lo, 1, v59
	v_lshlrev_b64 v[20:21], 1, v[36:37]
	s_cbranch_vccnz .LBB298_150
; %bb.149:
	s_delay_alu instid0(VALU_DEP_1) | instskip(NEXT) | instid1(VALU_DEP_2)
	v_add_co_u32 v52, vcc_lo, v40, v20
	v_add_co_ci_u32_e32 v53, vcc_lo, v41, v21, vcc_lo
	flat_load_u16 v52, v[52:53]
	s_waitcnt vmcnt(0) lgkmcnt(0)
	v_mul_f16_e32 v52, s19, v52
	s_branch .LBB298_151
.LBB298_150:
	v_mov_b32_e32 v52, 0
.LBB298_151:
	v_pk_max_f16 v53, v0, v0
	v_pk_max_f16 v54, v4, v4
	;; [unrolled: 1-line block ×4, first 2 shown]
	v_add_co_u32 v20, vcc_lo, v22, v20
	s_delay_alu instid0(VALU_DEP_4) | instskip(SKIP_1) | instid1(VALU_DEP_4)
	v_pk_min_f16 v53, v54, v53
	v_add_co_ci_u32_e32 v21, vcc_lo, v23, v21, vcc_lo
	v_pk_min_f16 v54, v56, v55
	s_delay_alu instid0(VALU_DEP_3) | instskip(NEXT) | instid1(VALU_DEP_1)
	v_pk_add_f16 v51, v51, v53
	v_pk_add_f16 v51, v51, v54
	s_delay_alu instid0(VALU_DEP_1) | instskip(NEXT) | instid1(VALU_DEP_1)
	v_lshrrev_b32_e32 v53, 16, v51
	v_add_f16_e32 v51, v51, v53
	s_delay_alu instid0(VALU_DEP_1) | instskip(SKIP_3) | instid1(SALU_CYCLE_1)
	v_add_f16_e32 v51, v51, v52
	global_store_b16 v[20:21], v51, off
	s_or_b32 exec_lo, exec_lo, s15
	s_and_b32 s15, s7, s8
	s_and_saveexec_b32 s8, s15
	s_cbranch_execz .LBB298_156
.LBB298_152:
	v_cmp_ne_u32_e32 vcc_lo, 1, v59
	v_lshlrev_b64 v[20:21], 1, v[38:39]
	s_cbranch_vccnz .LBB298_154
; %bb.153:
	s_delay_alu instid0(VALU_DEP_1) | instskip(NEXT) | instid1(VALU_DEP_2)
	v_add_co_u32 v40, vcc_lo, v40, v20
	v_add_co_ci_u32_e32 v41, vcc_lo, v41, v21, vcc_lo
	flat_load_u16 v40, v[40:41]
	s_waitcnt vmcnt(0) lgkmcnt(0)
	v_mul_f16_e32 v40, s19, v40
	s_branch .LBB298_155
.LBB298_154:
	v_mov_b32_e32 v40, 0
.LBB298_155:
	v_pk_max_f16 v0, v0, v0
	v_pk_max_f16 v41, v6, v6
	;; [unrolled: 1-line block ×4, first 2 shown]
	s_delay_alu instid0(VALU_DEP_3) | instskip(NEXT) | instid1(VALU_DEP_2)
	v_pk_min_f16 v0, v41, v0
	v_pk_min_f16 v1, v51, v1
	s_delay_alu instid0(VALU_DEP_2) | instskip(NEXT) | instid1(VALU_DEP_1)
	v_pk_add_f16 v0, v50, v0
	v_pk_add_f16 v0, v0, v1
	s_delay_alu instid0(VALU_DEP_1) | instskip(NEXT) | instid1(VALU_DEP_1)
	v_lshrrev_b32_e32 v1, 16, v0
	v_add_f16_e32 v0, v0, v1
	s_delay_alu instid0(VALU_DEP_1)
	v_add_f16_e32 v40, v0, v40
	v_add_co_u32 v0, vcc_lo, v22, v20
	v_add_co_ci_u32_e32 v1, vcc_lo, v23, v21, vcc_lo
	global_store_b16 v[0:1], v40, off
.LBB298_156:
	s_or_b32 exec_lo, exec_lo, s8
	v_add_nc_u32_e32 v22, 0x60, v66
	s_delay_alu instid0(VALU_DEP_1) | instskip(SKIP_2) | instid1(VALU_DEP_3)
	v_mad_i64_i32 v[0:1], null, v22, s12, 0
	v_mad_i64_i32 v[20:21], null, v22, s9, 0
	v_cmp_gt_i32_e64 s8, s17, v22
	v_lshlrev_b64 v[0:1], 1, v[0:1]
	s_delay_alu instid0(VALU_DEP_2) | instskip(NEXT) | instid1(VALU_DEP_3)
	s_and_b32 s9, s0, s8
	v_lshlrev_b64 v[20:21], 1, v[20:21]
	s_delay_alu instid0(VALU_DEP_2) | instskip(NEXT) | instid1(VALU_DEP_3)
	v_add_co_u32 v22, vcc_lo, s10, v0
	v_add_co_ci_u32_e32 v23, vcc_lo, s11, v1, vcc_lo
	s_delay_alu instid0(VALU_DEP_3) | instskip(NEXT) | instid1(VALU_DEP_4)
	v_add_co_u32 v20, vcc_lo, s13, v20
	v_add_co_ci_u32_e32 v21, vcc_lo, s14, v21, vcc_lo
	s_and_saveexec_b32 s0, s9
	s_cbranch_execnz .LBB298_165
; %bb.157:
	s_or_b32 exec_lo, exec_lo, s0
	s_and_b32 s1, s1, s8
	s_delay_alu instid0(SALU_CYCLE_1)
	s_and_saveexec_b32 s0, s1
	s_cbranch_execnz .LBB298_169
.LBB298_158:
	s_or_b32 exec_lo, exec_lo, s0
	s_and_b32 s1, s2, s8
	s_delay_alu instid0(SALU_CYCLE_1)
	s_and_saveexec_b32 s0, s1
	s_cbranch_execnz .LBB298_173
.LBB298_159:
	s_or_b32 exec_lo, exec_lo, s0
	s_and_b32 s1, s3, s8
	s_delay_alu instid0(SALU_CYCLE_1)
	s_and_saveexec_b32 s0, s1
	s_cbranch_execnz .LBB298_177
.LBB298_160:
	s_or_b32 exec_lo, exec_lo, s0
	s_and_b32 s1, s4, s8
	s_delay_alu instid0(SALU_CYCLE_1)
	s_and_saveexec_b32 s0, s1
	s_cbranch_execnz .LBB298_181
.LBB298_161:
	s_or_b32 exec_lo, exec_lo, s0
	s_and_b32 s1, s5, s8
	s_delay_alu instid0(SALU_CYCLE_1)
	s_and_saveexec_b32 s0, s1
	s_cbranch_execnz .LBB298_185
.LBB298_162:
	s_or_b32 exec_lo, exec_lo, s0
	s_and_b32 s1, s6, s8
	s_delay_alu instid0(SALU_CYCLE_1)
	s_and_saveexec_b32 s0, s1
	s_cbranch_execnz .LBB298_189
.LBB298_163:
	s_or_b32 exec_lo, exec_lo, s0
	s_and_b32 s0, s7, s8
	s_delay_alu instid0(SALU_CYCLE_1)
	s_and_saveexec_b32 s1, s0
	s_cbranch_execnz .LBB298_193
.LBB298_164:
	s_nop 0
	s_sendmsg sendmsg(MSG_DEALLOC_VGPRS)
	s_endpgm
.LBB298_165:
	v_cmp_ne_u32_e32 vcc_lo, 1, v59
	v_lshlrev_b64 v[0:1], 1, v[24:25]
	s_cbranch_vccnz .LBB298_167
; %bb.166:
	s_delay_alu instid0(VALU_DEP_1) | instskip(NEXT) | instid1(VALU_DEP_2)
	v_add_co_u32 v24, vcc_lo, v22, v0
	v_add_co_ci_u32_e32 v25, vcc_lo, v23, v1, vcc_lo
	flat_load_u16 v24, v[24:25]
	s_waitcnt vmcnt(0) lgkmcnt(0)
	v_mul_f16_e32 v24, s19, v24
	s_branch .LBB298_168
.LBB298_167:
	v_mov_b32_e32 v24, 0
.LBB298_168:
	v_pk_max_f16 v25, v2, v2
	v_pk_max_f16 v16, v16, v16
	;; [unrolled: 1-line block ×4, first 2 shown]
	v_add_co_u32 v0, vcc_lo, v20, v0
	s_delay_alu instid0(VALU_DEP_4) | instskip(SKIP_1) | instid1(VALU_DEP_4)
	v_pk_min_f16 v16, v16, v25
	v_add_co_ci_u32_e32 v1, vcc_lo, v21, v1, vcc_lo
	v_pk_min_f16 v17, v17, v40
	s_delay_alu instid0(VALU_DEP_3) | instskip(NEXT) | instid1(VALU_DEP_1)
	v_pk_add_f16 v16, v49, v16
	v_pk_add_f16 v16, v16, v17
	s_delay_alu instid0(VALU_DEP_1) | instskip(NEXT) | instid1(VALU_DEP_1)
	v_lshrrev_b32_e32 v17, 16, v16
	v_add_f16_e32 v16, v16, v17
	s_delay_alu instid0(VALU_DEP_1) | instskip(SKIP_3) | instid1(SALU_CYCLE_1)
	v_add_f16_e32 v16, v16, v24
	global_store_b16 v[0:1], v16, off
	s_or_b32 exec_lo, exec_lo, s0
	s_and_b32 s1, s1, s8
	s_and_saveexec_b32 s0, s1
	s_cbranch_execz .LBB298_158
.LBB298_169:
	v_cmp_ne_u32_e32 vcc_lo, 1, v59
	v_lshlrev_b64 v[0:1], 1, v[26:27]
	s_cbranch_vccnz .LBB298_171
; %bb.170:
	s_delay_alu instid0(VALU_DEP_1) | instskip(NEXT) | instid1(VALU_DEP_2)
	v_add_co_u32 v16, vcc_lo, v22, v0
	v_add_co_ci_u32_e32 v17, vcc_lo, v23, v1, vcc_lo
	flat_load_u16 v16, v[16:17]
	s_waitcnt vmcnt(0) lgkmcnt(0)
	v_mul_f16_e32 v16, s19, v16
	s_branch .LBB298_172
.LBB298_171:
	v_mov_b32_e32 v16, 0
.LBB298_172:
	v_pk_max_f16 v17, v2, v2
	v_pk_max_f16 v18, v18, v18
	;; [unrolled: 1-line block ×4, first 2 shown]
	v_add_co_u32 v0, vcc_lo, v20, v0
	s_delay_alu instid0(VALU_DEP_4) | instskip(SKIP_1) | instid1(VALU_DEP_4)
	v_pk_min_f16 v17, v18, v17
	v_add_co_ci_u32_e32 v1, vcc_lo, v21, v1, vcc_lo
	v_pk_min_f16 v18, v19, v24
	s_delay_alu instid0(VALU_DEP_3) | instskip(NEXT) | instid1(VALU_DEP_1)
	v_pk_add_f16 v17, v48, v17
	v_pk_add_f16 v17, v17, v18
	s_delay_alu instid0(VALU_DEP_1) | instskip(NEXT) | instid1(VALU_DEP_1)
	v_lshrrev_b32_e32 v18, 16, v17
	v_add_f16_e32 v17, v17, v18
	s_delay_alu instid0(VALU_DEP_1) | instskip(SKIP_3) | instid1(SALU_CYCLE_1)
	v_add_f16_e32 v16, v17, v16
	global_store_b16 v[0:1], v16, off
	s_or_b32 exec_lo, exec_lo, s0
	s_and_b32 s1, s2, s8
	s_and_saveexec_b32 s0, s1
	s_cbranch_execz .LBB298_159
.LBB298_173:
	v_cmp_ne_u32_e32 vcc_lo, 1, v59
	v_lshlrev_b64 v[0:1], 1, v[28:29]
	s_cbranch_vccnz .LBB298_175
; %bb.174:
	s_delay_alu instid0(VALU_DEP_1) | instskip(NEXT) | instid1(VALU_DEP_2)
	v_add_co_u32 v16, vcc_lo, v22, v0
	v_add_co_ci_u32_e32 v17, vcc_lo, v23, v1, vcc_lo
	flat_load_u16 v16, v[16:17]
	s_waitcnt vmcnt(0) lgkmcnt(0)
	v_mul_f16_e32 v16, s19, v16
	s_branch .LBB298_176
.LBB298_175:
	v_mov_b32_e32 v16, 0
.LBB298_176:
	v_pk_max_f16 v17, v2, v2
	v_pk_max_f16 v12, v12, v12
	;; [unrolled: 1-line block ×4, first 2 shown]
	v_add_co_u32 v0, vcc_lo, v20, v0
	s_delay_alu instid0(VALU_DEP_4) | instskip(SKIP_1) | instid1(VALU_DEP_4)
	v_pk_min_f16 v12, v12, v17
	v_add_co_ci_u32_e32 v1, vcc_lo, v21, v1, vcc_lo
	v_pk_min_f16 v13, v13, v18
	s_delay_alu instid0(VALU_DEP_3) | instskip(NEXT) | instid1(VALU_DEP_1)
	v_pk_add_f16 v12, v47, v12
	v_pk_add_f16 v12, v12, v13
	s_delay_alu instid0(VALU_DEP_1) | instskip(NEXT) | instid1(VALU_DEP_1)
	v_lshrrev_b32_e32 v13, 16, v12
	v_add_f16_e32 v12, v12, v13
	s_delay_alu instid0(VALU_DEP_1) | instskip(SKIP_3) | instid1(SALU_CYCLE_1)
	v_add_f16_e32 v12, v12, v16
	global_store_b16 v[0:1], v12, off
	s_or_b32 exec_lo, exec_lo, s0
	s_and_b32 s1, s3, s8
	s_and_saveexec_b32 s0, s1
	s_cbranch_execz .LBB298_160
.LBB298_177:
	v_cmp_ne_u32_e32 vcc_lo, 1, v59
	v_lshlrev_b64 v[0:1], 1, v[30:31]
	s_cbranch_vccnz .LBB298_179
; %bb.178:
	s_delay_alu instid0(VALU_DEP_1) | instskip(NEXT) | instid1(VALU_DEP_2)
	v_add_co_u32 v12, vcc_lo, v22, v0
	v_add_co_ci_u32_e32 v13, vcc_lo, v23, v1, vcc_lo
	flat_load_u16 v12, v[12:13]
	s_waitcnt vmcnt(0) lgkmcnt(0)
	v_mul_f16_e32 v12, s19, v12
	s_branch .LBB298_180
.LBB298_179:
	v_mov_b32_e32 v12, 0
.LBB298_180:
	v_pk_max_f16 v13, v2, v2
	v_pk_max_f16 v14, v14, v14
	;; [unrolled: 1-line block ×4, first 2 shown]
	v_add_co_u32 v0, vcc_lo, v20, v0
	s_delay_alu instid0(VALU_DEP_4) | instskip(SKIP_1) | instid1(VALU_DEP_4)
	v_pk_min_f16 v13, v14, v13
	v_add_co_ci_u32_e32 v1, vcc_lo, v21, v1, vcc_lo
	v_pk_min_f16 v14, v15, v16
	s_delay_alu instid0(VALU_DEP_3) | instskip(NEXT) | instid1(VALU_DEP_1)
	v_pk_add_f16 v13, v46, v13
	v_pk_add_f16 v13, v13, v14
	s_delay_alu instid0(VALU_DEP_1) | instskip(NEXT) | instid1(VALU_DEP_1)
	v_lshrrev_b32_e32 v14, 16, v13
	v_add_f16_e32 v13, v13, v14
	s_delay_alu instid0(VALU_DEP_1) | instskip(SKIP_3) | instid1(SALU_CYCLE_1)
	v_add_f16_e32 v12, v13, v12
	global_store_b16 v[0:1], v12, off
	s_or_b32 exec_lo, exec_lo, s0
	s_and_b32 s1, s4, s8
	s_and_saveexec_b32 s0, s1
	s_cbranch_execz .LBB298_161
.LBB298_181:
	v_cmp_ne_u32_e32 vcc_lo, 1, v59
	v_lshlrev_b64 v[0:1], 1, v[32:33]
	s_cbranch_vccnz .LBB298_183
; %bb.182:
	s_delay_alu instid0(VALU_DEP_1) | instskip(NEXT) | instid1(VALU_DEP_2)
	v_add_co_u32 v12, vcc_lo, v22, v0
	v_add_co_ci_u32_e32 v13, vcc_lo, v23, v1, vcc_lo
	flat_load_u16 v12, v[12:13]
	s_waitcnt vmcnt(0) lgkmcnt(0)
	v_mul_f16_e32 v12, s19, v12
	s_branch .LBB298_184
.LBB298_183:
	v_mov_b32_e32 v12, 0
.LBB298_184:
	v_pk_max_f16 v13, v2, v2
	v_pk_max_f16 v8, v8, v8
	;; [unrolled: 1-line block ×4, first 2 shown]
	v_add_co_u32 v0, vcc_lo, v20, v0
	s_delay_alu instid0(VALU_DEP_4) | instskip(SKIP_1) | instid1(VALU_DEP_4)
	v_pk_min_f16 v8, v8, v13
	v_add_co_ci_u32_e32 v1, vcc_lo, v21, v1, vcc_lo
	v_pk_min_f16 v9, v9, v14
	s_delay_alu instid0(VALU_DEP_3) | instskip(NEXT) | instid1(VALU_DEP_1)
	v_pk_add_f16 v8, v45, v8
	v_pk_add_f16 v8, v8, v9
	s_delay_alu instid0(VALU_DEP_1) | instskip(NEXT) | instid1(VALU_DEP_1)
	v_lshrrev_b32_e32 v9, 16, v8
	v_add_f16_e32 v8, v8, v9
	s_delay_alu instid0(VALU_DEP_1) | instskip(SKIP_3) | instid1(SALU_CYCLE_1)
	v_add_f16_e32 v8, v8, v12
	global_store_b16 v[0:1], v8, off
	s_or_b32 exec_lo, exec_lo, s0
	s_and_b32 s1, s5, s8
	s_and_saveexec_b32 s0, s1
	s_cbranch_execz .LBB298_162
.LBB298_185:
	v_cmp_ne_u32_e32 vcc_lo, 1, v59
	v_lshlrev_b64 v[0:1], 1, v[34:35]
	s_cbranch_vccnz .LBB298_187
; %bb.186:
	s_delay_alu instid0(VALU_DEP_1) | instskip(NEXT) | instid1(VALU_DEP_2)
	v_add_co_u32 v8, vcc_lo, v22, v0
	v_add_co_ci_u32_e32 v9, vcc_lo, v23, v1, vcc_lo
	flat_load_u16 v8, v[8:9]
	s_waitcnt vmcnt(0) lgkmcnt(0)
	v_mul_f16_e32 v8, s19, v8
	s_branch .LBB298_188
.LBB298_187:
	v_mov_b32_e32 v8, 0
.LBB298_188:
	v_pk_max_f16 v9, v2, v2
	v_pk_max_f16 v10, v10, v10
	;; [unrolled: 1-line block ×4, first 2 shown]
	v_add_co_u32 v0, vcc_lo, v20, v0
	s_delay_alu instid0(VALU_DEP_4) | instskip(SKIP_1) | instid1(VALU_DEP_4)
	v_pk_min_f16 v9, v10, v9
	v_add_co_ci_u32_e32 v1, vcc_lo, v21, v1, vcc_lo
	v_pk_min_f16 v10, v11, v12
	s_delay_alu instid0(VALU_DEP_3) | instskip(NEXT) | instid1(VALU_DEP_1)
	v_pk_add_f16 v9, v44, v9
	v_pk_add_f16 v9, v9, v10
	s_delay_alu instid0(VALU_DEP_1) | instskip(NEXT) | instid1(VALU_DEP_1)
	v_lshrrev_b32_e32 v10, 16, v9
	v_add_f16_e32 v9, v9, v10
	s_delay_alu instid0(VALU_DEP_1) | instskip(SKIP_3) | instid1(SALU_CYCLE_1)
	v_add_f16_e32 v8, v9, v8
	global_store_b16 v[0:1], v8, off
	s_or_b32 exec_lo, exec_lo, s0
	s_and_b32 s1, s6, s8
	s_and_saveexec_b32 s0, s1
	s_cbranch_execz .LBB298_163
.LBB298_189:
	v_cmp_ne_u32_e32 vcc_lo, 1, v59
	v_lshlrev_b64 v[0:1], 1, v[36:37]
	s_cbranch_vccnz .LBB298_191
; %bb.190:
	s_delay_alu instid0(VALU_DEP_1) | instskip(NEXT) | instid1(VALU_DEP_2)
	v_add_co_u32 v8, vcc_lo, v22, v0
	v_add_co_ci_u32_e32 v9, vcc_lo, v23, v1, vcc_lo
	flat_load_u16 v8, v[8:9]
	s_waitcnt vmcnt(0) lgkmcnt(0)
	v_mul_f16_e32 v8, s19, v8
	s_branch .LBB298_192
.LBB298_191:
	v_mov_b32_e32 v8, 0
.LBB298_192:
	v_pk_max_f16 v9, v2, v2
	v_pk_max_f16 v4, v4, v4
	;; [unrolled: 1-line block ×4, first 2 shown]
	v_add_co_u32 v0, vcc_lo, v20, v0
	s_delay_alu instid0(VALU_DEP_4) | instskip(SKIP_1) | instid1(VALU_DEP_4)
	v_pk_min_f16 v4, v4, v9
	v_add_co_ci_u32_e32 v1, vcc_lo, v21, v1, vcc_lo
	v_pk_min_f16 v5, v5, v10
	s_delay_alu instid0(VALU_DEP_3) | instskip(NEXT) | instid1(VALU_DEP_1)
	v_pk_add_f16 v4, v43, v4
	v_pk_add_f16 v4, v4, v5
	s_delay_alu instid0(VALU_DEP_1) | instskip(NEXT) | instid1(VALU_DEP_1)
	v_lshrrev_b32_e32 v5, 16, v4
	v_add_f16_e32 v4, v4, v5
	s_delay_alu instid0(VALU_DEP_1) | instskip(SKIP_3) | instid1(SALU_CYCLE_1)
	v_add_f16_e32 v4, v4, v8
	global_store_b16 v[0:1], v4, off
	s_or_b32 exec_lo, exec_lo, s0
	s_and_b32 s0, s7, s8
	s_and_saveexec_b32 s1, s0
	s_cbranch_execz .LBB298_164
.LBB298_193:
	v_cmp_ne_u32_e32 vcc_lo, 1, v59
	v_lshlrev_b64 v[0:1], 1, v[38:39]
	s_cbranch_vccnz .LBB298_195
; %bb.194:
	s_delay_alu instid0(VALU_DEP_1) | instskip(NEXT) | instid1(VALU_DEP_2)
	v_add_co_u32 v4, vcc_lo, v22, v0
	v_add_co_ci_u32_e32 v5, vcc_lo, v23, v1, vcc_lo
	flat_load_u16 v4, v[4:5]
	s_waitcnt vmcnt(0) lgkmcnt(0)
	v_mul_f16_e32 v4, s19, v4
	s_branch .LBB298_196
.LBB298_195:
	v_mov_b32_e32 v4, 0
.LBB298_196:
	v_pk_max_f16 v2, v2, v2
	v_pk_max_f16 v5, v6, v6
	;; [unrolled: 1-line block ×4, first 2 shown]
	v_add_co_u32 v0, vcc_lo, v20, v0
	s_delay_alu instid0(VALU_DEP_4) | instskip(SKIP_1) | instid1(VALU_DEP_4)
	v_pk_min_f16 v2, v5, v2
	v_add_co_ci_u32_e32 v1, vcc_lo, v21, v1, vcc_lo
	v_pk_min_f16 v3, v6, v3
	s_delay_alu instid0(VALU_DEP_3) | instskip(NEXT) | instid1(VALU_DEP_1)
	v_pk_add_f16 v2, v42, v2
	v_pk_add_f16 v2, v2, v3
	s_delay_alu instid0(VALU_DEP_1) | instskip(NEXT) | instid1(VALU_DEP_1)
	v_lshrrev_b32_e32 v3, 16, v2
	v_add_f16_e32 v2, v2, v3
	s_delay_alu instid0(VALU_DEP_1)
	v_add_f16_e32 v2, v2, v4
	global_store_b16 v[0:1], v2, off
	s_nop 0
	s_sendmsg sendmsg(MSG_DEALLOC_VGPRS)
	s_endpgm
	.section	.rodata,"a",@progbits
	.p2align	6, 0x0
	.amdhsa_kernel _ZN12_GLOBAL__N_120geam_min_plus_kernelIDF16_Dv2_DF16_S1_Li8ELi32ELi64ELi128ELi4ELi64ELi4ELi64ELi4ELc78ELc84ELb1ELb1ELb0EDF16_KDF16_DF16_EEviiiT16_PT17_ilS5_ilS3_S5_ilPT18_ili26rocblas_geam_ex_operation_
		.amdhsa_group_segment_fixed_size 3072
		.amdhsa_private_segment_fixed_size 0
		.amdhsa_kernarg_size 128
		.amdhsa_user_sgpr_count 14
		.amdhsa_user_sgpr_dispatch_ptr 0
		.amdhsa_user_sgpr_queue_ptr 0
		.amdhsa_user_sgpr_kernarg_segment_ptr 1
		.amdhsa_user_sgpr_dispatch_id 0
		.amdhsa_user_sgpr_private_segment_size 0
		.amdhsa_wavefront_size32 1
		.amdhsa_uses_dynamic_stack 0
		.amdhsa_enable_private_segment 0
		.amdhsa_system_sgpr_workgroup_id_x 1
		.amdhsa_system_sgpr_workgroup_id_y 0
		.amdhsa_system_sgpr_workgroup_id_z 1
		.amdhsa_system_sgpr_workgroup_info 0
		.amdhsa_system_vgpr_workitem_id 1
		.amdhsa_next_free_vgpr 127
		.amdhsa_next_free_sgpr 29
		.amdhsa_reserve_vcc 1
		.amdhsa_float_round_mode_32 0
		.amdhsa_float_round_mode_16_64 0
		.amdhsa_float_denorm_mode_32 3
		.amdhsa_float_denorm_mode_16_64 3
		.amdhsa_dx10_clamp 1
		.amdhsa_ieee_mode 1
		.amdhsa_fp16_overflow 0
		.amdhsa_workgroup_processor_mode 1
		.amdhsa_memory_ordered 1
		.amdhsa_forward_progress 0
		.amdhsa_shared_vgpr_count 0
		.amdhsa_exception_fp_ieee_invalid_op 0
		.amdhsa_exception_fp_denorm_src 0
		.amdhsa_exception_fp_ieee_div_zero 0
		.amdhsa_exception_fp_ieee_overflow 0
		.amdhsa_exception_fp_ieee_underflow 0
		.amdhsa_exception_fp_ieee_inexact 0
		.amdhsa_exception_int_div_zero 0
	.end_amdhsa_kernel
	.section	.text._ZN12_GLOBAL__N_120geam_min_plus_kernelIDF16_Dv2_DF16_S1_Li8ELi32ELi64ELi128ELi4ELi64ELi4ELi64ELi4ELc78ELc84ELb1ELb1ELb0EDF16_KDF16_DF16_EEviiiT16_PT17_ilS5_ilS3_S5_ilPT18_ili26rocblas_geam_ex_operation_,"axG",@progbits,_ZN12_GLOBAL__N_120geam_min_plus_kernelIDF16_Dv2_DF16_S1_Li8ELi32ELi64ELi128ELi4ELi64ELi4ELi64ELi4ELc78ELc84ELb1ELb1ELb0EDF16_KDF16_DF16_EEviiiT16_PT17_ilS5_ilS3_S5_ilPT18_ili26rocblas_geam_ex_operation_,comdat
.Lfunc_end298:
	.size	_ZN12_GLOBAL__N_120geam_min_plus_kernelIDF16_Dv2_DF16_S1_Li8ELi32ELi64ELi128ELi4ELi64ELi4ELi64ELi4ELc78ELc84ELb1ELb1ELb0EDF16_KDF16_DF16_EEviiiT16_PT17_ilS5_ilS3_S5_ilPT18_ili26rocblas_geam_ex_operation_, .Lfunc_end298-_ZN12_GLOBAL__N_120geam_min_plus_kernelIDF16_Dv2_DF16_S1_Li8ELi32ELi64ELi128ELi4ELi64ELi4ELi64ELi4ELc78ELc84ELb1ELb1ELb0EDF16_KDF16_DF16_EEviiiT16_PT17_ilS5_ilS3_S5_ilPT18_ili26rocblas_geam_ex_operation_
                                        ; -- End function
	.section	.AMDGPU.csdata,"",@progbits
; Kernel info:
; codeLenInByte = 12772
; NumSgprs: 31
; NumVgprs: 127
; ScratchSize: 0
; MemoryBound: 0
; FloatMode: 240
; IeeeMode: 1
; LDSByteSize: 3072 bytes/workgroup (compile time only)
; SGPRBlocks: 3
; VGPRBlocks: 15
; NumSGPRsForWavesPerEU: 31
; NumVGPRsForWavesPerEU: 127
; Occupancy: 10
; WaveLimiterHint : 0
; COMPUTE_PGM_RSRC2:SCRATCH_EN: 0
; COMPUTE_PGM_RSRC2:USER_SGPR: 14
; COMPUTE_PGM_RSRC2:TRAP_HANDLER: 0
; COMPUTE_PGM_RSRC2:TGID_X_EN: 1
; COMPUTE_PGM_RSRC2:TGID_Y_EN: 0
; COMPUTE_PGM_RSRC2:TGID_Z_EN: 1
; COMPUTE_PGM_RSRC2:TIDIG_COMP_CNT: 1
	.section	.text._ZN12_GLOBAL__N_120geam_min_plus_kernelIDF16_Dv2_DF16_S1_Li8ELi32ELi64ELi128ELi4ELi64ELi4ELi64ELi4ELc78ELc84ELb0ELb1ELb0EDF16_KDF16_DF16_EEviiiT16_PT17_ilS5_ilS3_S5_ilPT18_ili26rocblas_geam_ex_operation_,"axG",@progbits,_ZN12_GLOBAL__N_120geam_min_plus_kernelIDF16_Dv2_DF16_S1_Li8ELi32ELi64ELi128ELi4ELi64ELi4ELi64ELi4ELc78ELc84ELb0ELb1ELb0EDF16_KDF16_DF16_EEviiiT16_PT17_ilS5_ilS3_S5_ilPT18_ili26rocblas_geam_ex_operation_,comdat
	.globl	_ZN12_GLOBAL__N_120geam_min_plus_kernelIDF16_Dv2_DF16_S1_Li8ELi32ELi64ELi128ELi4ELi64ELi4ELi64ELi4ELc78ELc84ELb0ELb1ELb0EDF16_KDF16_DF16_EEviiiT16_PT17_ilS5_ilS3_S5_ilPT18_ili26rocblas_geam_ex_operation_ ; -- Begin function _ZN12_GLOBAL__N_120geam_min_plus_kernelIDF16_Dv2_DF16_S1_Li8ELi32ELi64ELi128ELi4ELi64ELi4ELi64ELi4ELc78ELc84ELb0ELb1ELb0EDF16_KDF16_DF16_EEviiiT16_PT17_ilS5_ilS3_S5_ilPT18_ili26rocblas_geam_ex_operation_
	.p2align	8
	.type	_ZN12_GLOBAL__N_120geam_min_plus_kernelIDF16_Dv2_DF16_S1_Li8ELi32ELi64ELi128ELi4ELi64ELi4ELi64ELi4ELc78ELc84ELb0ELb1ELb0EDF16_KDF16_DF16_EEviiiT16_PT17_ilS5_ilS3_S5_ilPT18_ili26rocblas_geam_ex_operation_,@function
_ZN12_GLOBAL__N_120geam_min_plus_kernelIDF16_Dv2_DF16_S1_Li8ELi32ELi64ELi128ELi4ELi64ELi4ELi64ELi4ELc78ELc84ELb0ELb1ELb0EDF16_KDF16_DF16_EEviiiT16_PT17_ilS5_ilS3_S5_ilPT18_ili26rocblas_geam_ex_operation_: ; @_ZN12_GLOBAL__N_120geam_min_plus_kernelIDF16_Dv2_DF16_S1_Li8ELi32ELi64ELi128ELi4ELi64ELi4ELi64ELi4ELc78ELc84ELb0ELb1ELb0EDF16_KDF16_DF16_EEviiiT16_PT17_ilS5_ilS3_S5_ilPT18_ili26rocblas_geam_ex_operation_
; %bb.0:
	s_clause 0x1
	s_load_b128 s[16:19], s[0:1], 0x0
	s_load_b128 s[4:7], s[0:1], 0x20
	s_waitcnt lgkmcnt(0)
	v_cmp_eq_f16_e64 s2, s19, 0
	v_cmp_neq_f16_e64 s25, s19, 0
	s_delay_alu instid0(VALU_DEP_2)
	s_and_b32 vcc_lo, exec_lo, s2
	s_cbranch_vccnz .LBB299_3
; %bb.1:
	s_load_b64 s[8:9], s[0:1], 0x10
	s_mul_i32 s3, s15, s5
	s_mul_hi_u32 s5, s15, s4
	s_mul_i32 s4, s15, s4
	s_add_i32 s5, s5, s3
	s_delay_alu instid0(SALU_CYCLE_1)
	s_lshl_b64 s[4:5], s[4:5], 1
	s_waitcnt lgkmcnt(0)
	s_add_u32 s12, s8, s4
	s_addc_u32 s13, s9, s5
	s_and_not1_b32 vcc_lo, exec_lo, s2
	s_cbranch_vccnz .LBB299_4
.LBB299_2:
	s_mov_b32 s24, 0
	s_mov_b64 s[8:9], 0
	s_cbranch_execz .LBB299_5
	s_branch .LBB299_6
.LBB299_3:
	s_mov_b64 s[12:13], 0
	s_and_not1_b32 vcc_lo, exec_lo, s2
	s_cbranch_vccz .LBB299_2
.LBB299_4:
	s_mov_b32 s24, -1
                                        ; implicit-def: $sgpr8_sgpr9
.LBB299_5:
	s_load_b64 s[2:3], s[0:1], 0x38
	s_mov_b32 s24, 0
	s_waitcnt lgkmcnt(0)
	s_mul_i32 s3, s15, s3
	s_mul_hi_u32 s4, s15, s2
	s_mul_i32 s2, s15, s2
	s_add_i32 s3, s4, s3
	s_delay_alu instid0(SALU_CYCLE_1) | instskip(NEXT) | instid1(SALU_CYCLE_1)
	s_lshl_b64 s[2:3], s[2:3], 1
	s_add_u32 s8, s6, s2
	s_addc_u32 s9, s7, s3
.LBB299_6:
	s_clause 0x1
	s_load_b32 s22, s[0:1], 0x40
	s_load_b128 s[4:7], s[0:1], 0x58
	s_waitcnt lgkmcnt(0)
	v_cmp_eq_f16_e64 s2, s22, 0
	v_cmp_neq_f16_e64 s23, s22, 0
	s_delay_alu instid0(VALU_DEP_2)
	s_and_b32 vcc_lo, exec_lo, s2
	s_cbranch_vccnz .LBB299_8
; %bb.7:
	s_load_b64 s[2:3], s[0:1], 0x48
	s_mul_i32 s5, s15, s5
	s_mul_hi_u32 s10, s15, s4
	s_delay_alu instid0(SALU_CYCLE_1) | instskip(SKIP_3) | instid1(SALU_CYCLE_1)
	s_add_i32 s5, s10, s5
	s_mul_i32 s10, s24, s4
	s_mul_i32 s4, s15, s4
	s_add_i32 s5, s5, s10
	s_lshl_b64 s[4:5], s[4:5], 1
	s_waitcnt lgkmcnt(0)
	s_add_u32 s10, s2, s4
	s_addc_u32 s11, s3, s5
	s_branch .LBB299_9
.LBB299_8:
	s_mov_b64 s[10:11], 0
.LBB299_9:
	s_add_i32 s2, s16, -1
	s_load_b32 s20, s[0:1], 0x18
	s_ashr_i32 s3, s2, 31
	v_dual_mov_b32 v9, 0 :: v_dual_and_b32 v30, 0x3ff, v0
	s_lshr_b32 s3, s3, 26
	v_bfe_u32 v31, v0, 10, 10
	s_add_i32 s2, s2, s3
	v_mov_b32_e32 v8, 0
	s_ashr_i32 s2, s2, 6
	s_delay_alu instid0(SALU_CYCLE_1) | instskip(SKIP_2) | instid1(VALU_DEP_1)
	s_add_i32 s4, s2, 1
	s_not_b32 s2, s2
	v_cvt_f32_u32_e32 v1, s4
	v_rcp_iflag_f32_e32 v1, v1
	s_waitcnt lgkmcnt(0)
	s_ashr_i32 s21, s20, 31
	s_waitcnt_depctr 0xfff
	v_mul_f32_e32 v1, 0x4f7ffffe, v1
	s_delay_alu instid0(VALU_DEP_1) | instskip(NEXT) | instid1(VALU_DEP_1)
	v_cvt_u32_f32_e32 v1, v1
	v_readfirstlane_b32 s3, v1
	v_lshl_add_u32 v1, v31, 3, v30
	s_delay_alu instid0(VALU_DEP_2) | instskip(NEXT) | instid1(VALU_DEP_1)
	s_mul_i32 s2, s2, s3
	v_and_b32_e32 v7, 63, v1
	s_mul_hi_u32 s2, s3, s2
	v_lshrrev_b32_e32 v32, 6, v1
	s_add_i32 s3, s3, s2
	s_delay_alu instid0(SALU_CYCLE_1) | instskip(NEXT) | instid1(SALU_CYCLE_1)
	s_mul_hi_u32 s2, s14, s3
	s_mul_i32 s3, s2, s4
	s_add_i32 s5, s2, 1
	s_sub_i32 s3, s14, s3
	s_delay_alu instid0(SALU_CYCLE_1)
	s_sub_i32 s26, s3, s4
	s_cmp_ge_u32 s3, s4
	s_cselect_b32 s2, s5, s2
	s_cselect_b32 s3, s26, s3
	s_add_i32 s5, s2, 1
	s_cmp_ge_u32 s3, s4
	s_cselect_b32 s3, s5, s2
	s_delay_alu instid0(SALU_CYCLE_1) | instskip(NEXT) | instid1(SALU_CYCLE_1)
	s_mul_i32 s2, s3, s4
	s_sub_i32 s2, s14, s2
	s_delay_alu instid0(SALU_CYCLE_1) | instskip(SKIP_2) | instid1(VALU_DEP_1)
	s_lshl_b32 s14, s2, 6
	v_cmp_gt_i32_e64 s2, s18, v32
	v_or_b32_e32 v0, s14, v7
	v_cmp_gt_i32_e32 vcc_lo, s16, v0
	v_ashrrev_i32_e32 v1, 31, v0
	s_delay_alu instid0(VALU_DEP_4) | instskip(NEXT) | instid1(SALU_CYCLE_1)
	s_and_b32 s2, s2, vcc_lo
	s_and_b32 s2, s25, s2
	s_delay_alu instid0(SALU_CYCLE_1)
	s_and_saveexec_b32 s4, s2
	s_cbranch_execz .LBB299_11
; %bb.10:
	v_mad_i64_i32 v[2:3], null, s20, v32, 0
	v_lshlrev_b64 v[4:5], 1, v[0:1]
	s_delay_alu instid0(VALU_DEP_2) | instskip(NEXT) | instid1(VALU_DEP_1)
	v_lshlrev_b64 v[2:3], 1, v[2:3]
	v_add_co_u32 v2, s2, s12, v2
	s_delay_alu instid0(VALU_DEP_1) | instskip(NEXT) | instid1(VALU_DEP_2)
	v_add_co_ci_u32_e64 v3, s2, s13, v3, s2
	v_add_co_u32 v2, s2, v2, v4
	s_delay_alu instid0(VALU_DEP_1)
	v_add_co_ci_u32_e64 v3, s2, v3, v5, s2
	flat_load_u16 v2, v[2:3]
	s_waitcnt vmcnt(0) lgkmcnt(0)
	v_mul_f16_e32 v9, s19, v2
.LBB299_11:
	s_or_b32 exec_lo, exec_lo, s4
	s_load_b32 s27, s[0:1], 0x30
	s_add_i32 s28, s18, -1
	s_lshl_b32 s26, s3, 7
	v_min_i32_e32 v2, s28, v32
	v_cmp_le_i32_e64 s4, s18, v32
	s_xor_b32 s29, s25, -1
	s_waitcnt lgkmcnt(0)
	s_delay_alu instid0(VALU_DEP_2) | instskip(SKIP_1) | instid1(VALU_DEP_1)
	v_mad_i64_i32 v[3:4], null, s27, v2, 0
	v_or_b32_e32 v2, s26, v7
	v_cmp_le_i32_e64 s2, s17, v2
	s_delay_alu instid0(VALU_DEP_3) | instskip(NEXT) | instid1(VALU_DEP_2)
	v_lshlrev_b64 v[3:4], 1, v[3:4]
	s_or_b32 s5, s4, s2
	s_delay_alu instid0(VALU_DEP_1) | instskip(NEXT) | instid1(VALU_DEP_1)
	v_add_co_u32 v5, s3, s8, v3
	v_add_co_ci_u32_e64 v6, s3, s9, v4, s3
	v_ashrrev_i32_e32 v3, 31, v2
	s_or_b32 s3, s5, s29
	s_delay_alu instid0(SALU_CYCLE_1) | instskip(NEXT) | instid1(SALU_CYCLE_1)
	s_xor_b32 s3, s3, -1
	s_and_saveexec_b32 s5, s3
	s_cbranch_execz .LBB299_13
; %bb.12:
	v_lshlrev_b64 v[10:11], 1, v[2:3]
	s_delay_alu instid0(VALU_DEP_1) | instskip(NEXT) | instid1(VALU_DEP_1)
	v_add_co_u32 v10, s3, v5, v10
	v_add_co_ci_u32_e64 v11, s3, v6, v11, s3
	flat_load_u16 v4, v[10:11]
	s_waitcnt vmcnt(0) lgkmcnt(0)
	v_mul_f16_e32 v8, s19, v4
.LBB299_13:
	s_or_b32 exec_lo, exec_lo, s5
	v_or_b32_e32 v4, 64, v2
	v_mov_b32_e32 v10, 0
	s_delay_alu instid0(VALU_DEP_2) | instskip(SKIP_1) | instid1(VALU_DEP_2)
	v_cmp_le_i32_e64 s3, s17, v4
	v_mov_b32_e32 v4, 0
	s_or_b32 s4, s4, s3
	s_delay_alu instid0(SALU_CYCLE_1) | instskip(NEXT) | instid1(SALU_CYCLE_1)
	s_or_b32 s4, s4, s29
	s_xor_b32 s4, s4, -1
	s_delay_alu instid0(SALU_CYCLE_1)
	s_and_saveexec_b32 s5, s4
	s_cbranch_execz .LBB299_15
; %bb.14:
	v_lshlrev_b64 v[10:11], 1, v[2:3]
	s_delay_alu instid0(VALU_DEP_1) | instskip(NEXT) | instid1(VALU_DEP_1)
	v_add_co_u32 v5, s4, v5, v10
	v_add_co_ci_u32_e64 v6, s4, v6, v11, s4
	flat_load_u16 v5, v[5:6] offset:128
	s_waitcnt vmcnt(0) lgkmcnt(0)
	v_mul_f16_e32 v10, s19, v5
.LBB299_15:
	s_or_b32 exec_lo, exec_lo, s5
	v_add_nc_u32_e32 v5, 4, v32
	s_delay_alu instid0(VALU_DEP_1) | instskip(NEXT) | instid1(VALU_DEP_1)
	v_cmp_gt_i32_e64 s4, s18, v5
	s_and_b32 s4, vcc_lo, s4
	s_delay_alu instid0(SALU_CYCLE_1) | instskip(NEXT) | instid1(SALU_CYCLE_1)
	s_and_b32 s4, s25, s4
	s_and_saveexec_b32 s5, s4
	s_cbranch_execz .LBB299_17
; %bb.16:
	v_mad_u64_u32 v[11:12], null, s20, v5, 0
	s_delay_alu instid0(VALU_DEP_1) | instskip(NEXT) | instid1(VALU_DEP_1)
	v_mov_b32_e32 v4, v12
	v_mad_u64_u32 v[12:13], null, s21, v5, v[4:5]
	v_lshlrev_b64 v[13:14], 1, v[0:1]
	s_delay_alu instid0(VALU_DEP_2) | instskip(NEXT) | instid1(VALU_DEP_1)
	v_lshlrev_b64 v[11:12], 1, v[11:12]
	v_add_co_u32 v4, s4, s12, v11
	s_delay_alu instid0(VALU_DEP_1) | instskip(NEXT) | instid1(VALU_DEP_2)
	v_add_co_ci_u32_e64 v6, s4, s13, v12, s4
	v_add_co_u32 v11, s4, v4, v13
	s_delay_alu instid0(VALU_DEP_1)
	v_add_co_ci_u32_e64 v12, s4, v6, v14, s4
	flat_load_u16 v4, v[11:12]
	s_waitcnt vmcnt(0) lgkmcnt(0)
	v_mul_f16_e32 v4, s19, v4
.LBB299_17:
	s_or_b32 exec_lo, exec_lo, s5
	v_min_i32_e32 v6, s28, v5
	v_cmp_le_i32_e64 s4, s18, v5
	v_mov_b32_e32 v5, 0
	s_delay_alu instid0(VALU_DEP_3) | instskip(SKIP_1) | instid1(VALU_DEP_4)
	v_mad_i64_i32 v[11:12], null, s27, v6, 0
	v_mov_b32_e32 v6, 0
	s_or_b32 s30, s2, s4
	s_delay_alu instid0(VALU_DEP_2) | instskip(NEXT) | instid1(VALU_DEP_1)
	v_lshlrev_b64 v[11:12], 1, v[11:12]
	v_add_co_u32 v11, s5, s8, v11
	s_delay_alu instid0(VALU_DEP_1) | instskip(SKIP_1) | instid1(SALU_CYCLE_1)
	v_add_co_ci_u32_e64 v12, s5, s9, v12, s5
	s_or_b32 s5, s30, s29
	s_xor_b32 s5, s5, -1
	s_delay_alu instid0(SALU_CYCLE_1)
	s_and_saveexec_b32 s30, s5
	s_cbranch_execz .LBB299_19
; %bb.18:
	v_lshlrev_b64 v[13:14], 1, v[2:3]
	s_delay_alu instid0(VALU_DEP_1) | instskip(NEXT) | instid1(VALU_DEP_1)
	v_add_co_u32 v13, s5, v11, v13
	v_add_co_ci_u32_e64 v14, s5, v12, v14, s5
	flat_load_u16 v6, v[13:14]
	s_waitcnt vmcnt(0) lgkmcnt(0)
	v_mul_f16_e32 v6, s19, v6
.LBB299_19:
	s_or_b32 exec_lo, exec_lo, s30
	s_or_b32 s4, s3, s4
	s_delay_alu instid0(SALU_CYCLE_1) | instskip(NEXT) | instid1(SALU_CYCLE_1)
	s_or_b32 s4, s4, s29
	s_xor_b32 s4, s4, -1
	s_delay_alu instid0(SALU_CYCLE_1)
	s_and_saveexec_b32 s5, s4
	s_cbranch_execz .LBB299_21
; %bb.20:
	v_lshlrev_b64 v[13:14], 1, v[2:3]
	s_delay_alu instid0(VALU_DEP_1) | instskip(NEXT) | instid1(VALU_DEP_1)
	v_add_co_u32 v11, s4, v11, v13
	v_add_co_ci_u32_e64 v12, s4, v12, v14, s4
	flat_load_u16 v5, v[11:12] offset:128
	s_waitcnt vmcnt(0) lgkmcnt(0)
	v_mul_f16_e32 v5, s19, v5
.LBB299_21:
	s_or_b32 exec_lo, exec_lo, s5
	v_lshlrev_b32_e32 v11, 1, v32
	v_lshlrev_b32_e32 v34, 3, v30
	v_lshlrev_b32_e32 v33, 3, v31
	s_mov_b32 s30, 0
	s_cmp_lt_i32 s18, 9
	v_lshl_add_u32 v35, v7, 3, v11
	v_add_nc_u32_e32 v27, 0x800, v34
	ds_store_b16 v35, v8
	ds_store_b16 v35, v9 offset:2048
	ds_store_b16 v35, v10 offset:512
	s_waitcnt lgkmcnt(0)
	s_barrier
	buffer_gl0_inv
	ds_load_2addr_b64 v[7:10], v33 offset1:32
	ds_load_2addr_b64 v[11:14], v27 offset0:48 offset1:56
	ds_load_2addr_b64 v[15:18], v33 offset0:64 offset1:96
	ds_load_2addr_b64 v[19:22], v27 offset1:8
	ds_load_2addr_b64 v[23:26], v27 offset0:16 offset1:24
	ds_load_2addr_b64 v[37:40], v27 offset0:32 offset1:40
	ds_store_b16 v35, v6 offset:1024
	ds_store_b16 v35, v4 offset:2560
	;; [unrolled: 1-line block ×3, first 2 shown]
	s_waitcnt lgkmcnt(0)
	s_barrier
	buffer_gl0_inv
	v_pk_max_f16 v7, v7, v7
	v_pk_max_f16 v9, v9, v9
	;; [unrolled: 1-line block ×8, first 2 shown]
	v_pk_min_f16 v48, v23, v15
	v_pk_min_f16 v49, v25, v9
	v_pk_max_f16 v19, v19, v19
	v_pk_max_f16 v21, v21, v21
	v_pk_min_f16 v27, v13, v7
	v_pk_add_f16 v51, v48, 0
	v_pk_min_f16 v48, v25, v7
	v_pk_min_f16 v50, v25, v15
	v_pk_add_f16 v53, v49, 0
	v_pk_min_f16 v49, v37, v9
	v_pk_max_f16 v39, v39, v39
	v_pk_add_f16 v52, v48, 0
	v_pk_min_f16 v48, v37, v7
	v_pk_max_f16 v11, v11, v11
	v_pk_max_f16 v8, v8, v8
	;; [unrolled: 1-line block ×3, first 2 shown]
	v_pk_min_f16 v28, v13, v9
	v_pk_add_f16 v59, v48, 0
	v_pk_min_f16 v48, v37, v15
	v_pk_min_f16 v37, v37, v17
	;; [unrolled: 1-line block ×9, first 2 shown]
	v_pk_add_f16 v27, v27, 0
	v_pk_min_f16 v45, v21, v15
	v_pk_min_f16 v21, v21, v17
	;; [unrolled: 1-line block ×6, first 2 shown]
	v_pk_add_f16 v54, v50, 0
	v_pk_add_f16 v60, v49, 0
	v_pk_min_f16 v49, v39, v7
	v_pk_min_f16 v50, v39, v9
	v_pk_add_f16 v66, v37, 0
	v_pk_min_f16 v37, v39, v15
	v_pk_min_f16 v39, v39, v17
	;; [unrolled: 1-line block ×6, first 2 shown]
	v_pk_max_f16 v10, v10, v10
	v_pk_min_f16 v13, v13, v17
	v_pk_min_f16 v17, v14, v8
	v_pk_add_f16 v28, v28, 0
	v_pk_add_f16 v72, v37, 0
	v_pk_max_f16 v16, v16, v16
	v_pk_min_f16 v37, v14, v10
	v_pk_max_f16 v20, v20, v20
	v_pk_add_f16 v68, v27, v17
	v_pk_max_f16 v17, v18, v18
	v_pk_add_f16 v36, v36, 0
	v_pk_add_f16 v19, v19, 0
	;; [unrolled: 1-line block ×3, first 2 shown]
	v_pk_min_f16 v18, v20, v8
	v_pk_min_f16 v27, v20, v10
	;; [unrolled: 1-line block ×4, first 2 shown]
	v_pk_max_f16 v22, v22, v22
	v_pk_add_f16 v41, v41, 0
	v_pk_add_f16 v43, v43, 0
	;; [unrolled: 1-line block ×8, first 2 shown]
	v_pk_min_f16 v18, v22, v8
	v_pk_min_f16 v19, v22, v10
	;; [unrolled: 1-line block ×4, first 2 shown]
	v_pk_max_f16 v24, v24, v24
	v_pk_add_f16 v29, v29, 0
	v_pk_add_f16 v46, v46, 0
	;; [unrolled: 1-line block ×6, first 2 shown]
	v_pk_min_f16 v39, v14, v16
	v_pk_add_f16 v67, v41, v27
	v_pk_add_f16 v41, v43, v18
	;; [unrolled: 1-line block ×5, first 2 shown]
	v_pk_min_f16 v18, v24, v8
	v_pk_min_f16 v19, v24, v10
	;; [unrolled: 1-line block ×4, first 2 shown]
	v_pk_max_f16 v22, v26, v26
	v_pk_add_f16 v25, v25, 0
	v_pk_add_f16 v71, v50, 0
	;; [unrolled: 1-line block ×7, first 2 shown]
	v_pk_min_f16 v18, v22, v8
	v_pk_min_f16 v19, v22, v10
	;; [unrolled: 1-line block ×4, first 2 shown]
	v_pk_max_f16 v22, v38, v38
	v_pk_add_f16 v37, v52, v18
	v_pk_add_f16 v63, v53, v19
	;; [unrolled: 1-line block ×4, first 2 shown]
	v_pk_min_f16 v18, v22, v8
	v_pk_min_f16 v19, v22, v10
	;; [unrolled: 1-line block ×4, first 2 shown]
	v_pk_max_f16 v22, v40, v40
	v_pk_max_f16 v12, v12, v12
	v_pk_add_f16 v42, v42, 0
	v_pk_add_f16 v7, v7, 0
	;; [unrolled: 1-line block ×10, first 2 shown]
	v_pk_min_f16 v18, v22, v8
	v_pk_min_f16 v19, v22, v10
	;; [unrolled: 1-line block ×9, first 2 shown]
	v_pk_add_f16 v57, v42, v28
	v_pk_add_f16 v38, v70, v18
	;; [unrolled: 1-line block ×10, first 2 shown]
	s_cbranch_scc1 .LBB299_36
; %bb.22:
	v_add_nc_u32_e32 v4, v33, v30
	v_lshlrev_b64 v[0:1], 1, v[0:1]
	v_lshlrev_b64 v[28:29], 1, v[2:3]
	v_or_b32_e32 v59, 0x800, v35
	v_add_nc_u32_e32 v66, 0x800, v34
	v_lshrrev_b32_e32 v4, 6, v4
	v_add_nc_u32_e32 v70, 0xa00, v35
	v_add_co_u32 v73, s4, s12, v0
	v_or_b32_e32 v71, 0x400, v35
	s_delay_alu instid0(VALU_DEP_4) | instskip(SKIP_3) | instid1(VALU_DEP_4)
	v_add_nc_u32_e32 v6, 12, v4
	v_add_nc_u32_e32 v8, 8, v4
	v_lshl_add_u32 v72, v30, 3, 0xa00
	v_add_co_ci_u32_e64 v74, s4, s13, v1, s4
	v_mad_i64_i32 v[4:5], null, v6, s20, 0
	s_delay_alu instid0(VALU_DEP_4) | instskip(SKIP_3) | instid1(VALU_DEP_3)
	v_mad_i64_i32 v[6:7], null, v8, s20, 0
	v_add_nc_u32_e32 v75, 0x400, v33
	s_add_i32 s31, s18, -8
	s_lshl_b64 s[12:13], s[20:21], 4
	v_lshlrev_b64 v[24:25], 1, v[4:5]
	s_delay_alu instid0(VALU_DEP_3)
	v_lshlrev_b64 v[26:27], 1, v[6:7]
	s_branch .LBB299_24
.LBB299_23:                             ;   in Loop: Header=BB299_24 Depth=1
	s_or_b32 exec_lo, exec_lo, s5
	v_pk_add_f16 v8, v41, v8
	v_pk_add_f16 v41, v65, v81
	;; [unrolled: 1-line block ×26, first 2 shown]
	ds_load_2addr_b64 v[37:40], v66 offset0:48 offset1:56
	ds_load_2addr_b64 v[41:44], v33 offset1:32
	v_pk_add_f16 v9, v47, v9
	ds_load_2addr_b64 v[45:48], v33 offset0:64 offset1:96
	v_pk_add_f16 v6, v62, v6
	v_pk_add_f16 v62, v52, v95
	;; [unrolled: 1-line block ×5, first 2 shown]
	ds_load_2addr_b64 v[49:52], v66 offset1:8
	v_pk_add_f16 v53, v53, v91
	v_pk_add_f16 v61, v61, v94
	;; [unrolled: 1-line block ×10, first 2 shown]
	s_waitcnt lgkmcnt(3)
	v_pk_max_f16 v39, v39, v39
	s_waitcnt lgkmcnt(2)
	v_pk_max_f16 v41, v41, v41
	v_pk_max_f16 v43, v43, v43
	s_waitcnt lgkmcnt(1)
	v_pk_max_f16 v45, v45, v45
	v_pk_add_f16 v57, v57, v3
	v_pk_add_f16 v58, v58, v7
	;; [unrolled: 1-line block ×6, first 2 shown]
	v_pk_min_f16 v4, v39, v41
	v_pk_min_f16 v5, v39, v43
	;; [unrolled: 1-line block ×3, first 2 shown]
	ds_load_2addr_b64 v[0:3], v66 offset0:16 offset1:24
	s_waitcnt lgkmcnt(1)
	v_pk_max_f16 v7, v49, v49
	v_pk_max_f16 v47, v47, v47
	v_pk_add_f16 v14, v14, v110
	v_pk_add_f16 v18, v18, v111
	v_pk_add_f16 v20, v20, v112
	v_pk_add_f16 v22, v22, v113
	v_pk_add_f16 v49, v69, v4
	v_pk_add_f16 v12, v12, v5
	v_pk_add_f16 v16, v16, v6
	v_pk_min_f16 v4, v7, v41
	v_pk_min_f16 v5, v7, v43
	;; [unrolled: 1-line block ×4, first 2 shown]
	v_pk_max_f16 v51, v51, v51
	v_pk_add_f16 v14, v14, v4
	v_pk_add_f16 v18, v18, v5
	;; [unrolled: 1-line block ×4, first 2 shown]
	ds_load_2addr_b64 v[4:7], v66 offset0:32 offset1:40
	v_pk_add_f16 v8, v8, v114
	v_pk_add_f16 v13, v62, v13
	;; [unrolled: 1-line block ×4, first 2 shown]
	v_pk_min_f16 v62, v51, v41
	v_pk_min_f16 v63, v51, v43
	;; [unrolled: 1-line block ×3, first 2 shown]
	s_waitcnt lgkmcnt(1)
	v_pk_max_f16 v0, v0, v0
	v_pk_add_f16 v10, v10, v119
	v_pk_add_f16 v21, v65, v21
	;; [unrolled: 1-line block ×5, first 2 shown]
	v_pk_min_f16 v64, v0, v41
	v_pk_min_f16 v65, v0, v43
	;; [unrolled: 1-line block ×4, first 2 shown]
	v_pk_max_f16 v2, v2, v2
	v_pk_add_f16 v36, v36, v90
	v_pk_add_f16 v55, v55, v101
	v_pk_add_f16 v10, v10, v65
	v_pk_add_f16 v0, v9, v0
	v_pk_min_f16 v9, v2, v41
	v_pk_min_f16 v65, v2, v43
	s_waitcnt lgkmcnt(0)
	v_pk_max_f16 v4, v4, v4
	v_pk_add_f16 v56, v56, v103
	v_pk_add_f16 v36, v36, v104
	;; [unrolled: 1-line block ×3, first 2 shown]
	v_pk_min_f16 v67, v2, v45
	v_pk_min_f16 v2, v2, v47
	v_pk_add_f16 v9, v23, v9
	v_pk_add_f16 v23, v55, v65
	v_pk_min_f16 v55, v4, v41
	v_pk_max_f16 v6, v6, v6
	v_pk_add_f16 v2, v56, v2
	v_pk_min_f16 v56, v4, v43
	v_pk_max_f16 v37, v37, v37
	v_pk_add_f16 v36, v36, v55
	v_pk_min_f16 v55, v4, v45
	v_pk_min_f16 v65, v6, v43
	v_pk_add_f16 v80, v84, v56
	v_pk_min_f16 v56, v6, v41
	v_pk_min_f16 v41, v37, v41
	;; [unrolled: 3-line block ×3, first 2 shown]
	v_pk_min_f16 v43, v37, v43
	v_pk_min_f16 v45, v37, v45
	v_pk_max_f16 v40, v40, v40
	v_pk_min_f16 v51, v51, v47
	v_pk_add_f16 v6, v15, v6
	v_pk_add_f16 v15, v17, v41
	;; [unrolled: 1-line block ×3, first 2 shown]
	v_pk_max_f16 v43, v44, v44
	v_pk_add_f16 v64, v82, v64
	v_pk_add_f16 v19, v21, v45
	v_pk_min_f16 v21, v37, v47
	v_pk_max_f16 v42, v42, v42
	v_pk_min_f16 v37, v39, v47
	v_pk_max_f16 v82, v46, v46
	v_pk_min_f16 v41, v40, v43
	v_pk_add_f16 v51, v81, v51
	v_pk_add_f16 v81, v58, v56
	v_pk_min_f16 v39, v40, v42
	v_pk_add_f16 v83, v61, v37
	v_pk_min_f16 v37, v40, v82
	v_pk_max_f16 v44, v50, v50
	v_pk_add_f16 v58, v12, v41
	v_pk_max_f16 v12, v48, v48
	v_pk_add_f16 v68, v49, v39
	v_pk_add_f16 v50, v16, v37
	v_pk_min_f16 v16, v44, v42
	v_pk_min_f16 v37, v44, v43
	;; [unrolled: 1-line block ×4, first 2 shown]
	v_pk_max_f16 v44, v52, v52
	v_pk_add_f16 v54, v54, v88
	v_pk_add_f16 v69, v14, v16
	v_pk_max_f16 v1, v1, v1
	v_pk_min_f16 v4, v4, v47
	v_pk_min_f16 v14, v44, v42
	;; [unrolled: 1-line block ×3, first 2 shown]
	v_pk_add_f16 v54, v54, v102
	v_pk_add_f16 v11, v11, v65
	;; [unrolled: 1-line block ×5, first 2 shown]
	v_pk_min_f16 v8, v1, v42
	v_pk_min_f16 v14, v1, v43
	;; [unrolled: 1-line block ×4, first 2 shown]
	v_pk_max_f16 v3, v3, v3
	v_pk_add_f16 v54, v54, v67
	v_pk_add_f16 v4, v57, v4
	;; [unrolled: 1-line block ×4, first 2 shown]
	v_pk_min_f16 v18, v44, v82
	v_pk_add_f16 v39, v64, v8
	v_pk_add_f16 v47, v0, v1
	v_pk_min_f16 v0, v3, v42
	v_pk_min_f16 v1, v3, v43
	;; [unrolled: 1-line block ×4, first 2 shown]
	v_pk_max_f16 v5, v5, v5
	v_pk_add_f16 v56, v63, v18
	v_pk_add_f16 v37, v9, v0
	;; [unrolled: 1-line block ×4, first 2 shown]
	v_pk_min_f16 v0, v5, v42
	v_pk_min_f16 v1, v5, v43
	;; [unrolled: 1-line block ×4, first 2 shown]
	v_pk_max_f16 v5, v7, v7
	v_pk_add_f16 v13, v13, v55
	v_pk_add_f16 v36, v36, v0
	;; [unrolled: 1-line block ×5, first 2 shown]
	v_pk_min_f16 v0, v5, v42
	v_pk_min_f16 v1, v5, v43
	;; [unrolled: 1-line block ×4, first 2 shown]
	v_pk_max_f16 v4, v38, v38
	v_pk_add_f16 v21, v60, v21
	v_pk_min_f16 v20, v44, v12
	v_pk_add_f16 v38, v81, v0
	v_pk_add_f16 v61, v11, v1
	;; [unrolled: 1-line block ×4, first 2 shown]
	v_pk_min_f16 v0, v4, v42
	v_pk_min_f16 v1, v4, v43
	;; [unrolled: 1-line block ×5, first 2 shown]
	v_add_co_u32 v73, s4, v73, s12
	v_pk_add_f16 v48, v51, v20
	v_pk_add_f16 v64, v10, v14
	;; [unrolled: 1-line block ×9, first 2 shown]
	v_add_co_ci_u32_e64 v74, s4, s13, v74, s4
	s_add_i32 s30, s30, 8
	ds_store_b16 v70, v76
	ds_store_b16 v71, v78
	ds_store_b16 v71, v77 offset:512
	s_cmp_ge_i32 s30, s31
	s_waitcnt lgkmcnt(0)
	s_barrier
	buffer_gl0_inv
	s_cbranch_scc1 .LBB299_36
.LBB299_24:                             ; =>This Inner Loop Header: Depth=1
	v_dual_mov_b32 v78, 0 :: v_dual_add_nc_u32 v77, s30, v32
	s_delay_alu instid0(VALU_DEP_1) | instskip(NEXT) | instid1(VALU_DEP_1)
	v_dual_mov_b32 v79, 0 :: v_dual_add_nc_u32 v0, 8, v77
	v_cmp_gt_i32_e64 s4, s18, v0
	s_delay_alu instid0(VALU_DEP_1) | instskip(NEXT) | instid1(SALU_CYCLE_1)
	s_and_b32 s4, vcc_lo, s4
	s_and_b32 s4, s25, s4
	s_delay_alu instid0(SALU_CYCLE_1)
	s_and_saveexec_b32 s5, s4
	s_cbranch_execz .LBB299_26
; %bb.25:                               ;   in Loop: Header=BB299_24 Depth=1
	v_add_co_u32 v1, s4, v73, v26
	s_delay_alu instid0(VALU_DEP_1)
	v_add_co_ci_u32_e64 v2, s4, v74, v27, s4
	flat_load_u16 v1, v[1:2]
	s_waitcnt vmcnt(0) lgkmcnt(0)
	v_mul_f16_e32 v79, s19, v1
.LBB299_26:                             ;   in Loop: Header=BB299_24 Depth=1
	s_or_b32 exec_lo, exec_lo, s5
	v_min_i32_e32 v3, s28, v0
	v_cmp_le_i32_e64 s4, s18, v0
	s_delay_alu instid0(VALU_DEP_2) | instskip(NEXT) | instid1(VALU_DEP_2)
	v_mad_i64_i32 v[1:2], null, v3, s27, 0
	s_or_b32 s20, s2, s4
	s_delay_alu instid0(VALU_DEP_1) | instskip(NEXT) | instid1(VALU_DEP_1)
	v_lshlrev_b64 v[0:1], 1, v[1:2]
	v_add_co_u32 v0, s5, s8, v0
	s_delay_alu instid0(VALU_DEP_1) | instskip(SKIP_1) | instid1(SALU_CYCLE_1)
	v_add_co_ci_u32_e64 v1, s5, s9, v1, s5
	s_or_b32 s5, s20, s29
	s_xor_b32 s5, s5, -1
	s_delay_alu instid0(SALU_CYCLE_1)
	s_and_saveexec_b32 s20, s5
	s_cbranch_execz .LBB299_28
; %bb.27:                               ;   in Loop: Header=BB299_24 Depth=1
	v_add_co_u32 v2, s5, v0, v28
	s_delay_alu instid0(VALU_DEP_1)
	v_add_co_ci_u32_e64 v3, s5, v1, v29, s5
	flat_load_u16 v2, v[2:3]
	s_waitcnt vmcnt(0) lgkmcnt(0)
	v_mul_f16_e32 v78, s19, v2
.LBB299_28:                             ;   in Loop: Header=BB299_24 Depth=1
	s_or_b32 exec_lo, exec_lo, s20
	s_or_b32 s4, s3, s4
	v_mov_b32_e32 v76, 0
	v_mov_b32_e32 v80, 0
	s_or_b32 s4, s4, s29
	s_delay_alu instid0(SALU_CYCLE_1) | instskip(NEXT) | instid1(SALU_CYCLE_1)
	s_xor_b32 s4, s4, -1
	s_and_saveexec_b32 s5, s4
	s_cbranch_execz .LBB299_30
; %bb.29:                               ;   in Loop: Header=BB299_24 Depth=1
	v_add_co_u32 v0, s4, v0, v28
	s_delay_alu instid0(VALU_DEP_1)
	v_add_co_ci_u32_e64 v1, s4, v1, v29, s4
	flat_load_u16 v0, v[0:1] offset:128
	s_waitcnt vmcnt(0) lgkmcnt(0)
	v_mul_f16_e32 v80, s19, v0
.LBB299_30:                             ;   in Loop: Header=BB299_24 Depth=1
	s_or_b32 exec_lo, exec_lo, s5
	ds_load_2addr_b64 v[0:3], v72 offset0:48 offset1:56
	ds_load_2addr_b64 v[12:15], v75 offset0:64 offset1:96
	ds_load_2addr_b64 v[20:23], v75 offset1:32
	ds_load_2addr_b64 v[16:19], v72 offset1:8
	ds_load_2addr_b64 v[8:11], v72 offset0:16 offset1:24
	ds_load_2addr_b64 v[4:7], v72 offset0:32 offset1:40
	v_add_nc_u32_e32 v77, 12, v77
	ds_store_b16 v59, v79
	ds_store_b16 v35, v78
	ds_store_b16 v35, v80 offset:512
	s_waitcnt lgkmcnt(0)
	s_barrier
	buffer_gl0_inv
	v_cmp_gt_i32_e64 s4, s18, v77
	s_delay_alu instid0(VALU_DEP_1) | instskip(NEXT) | instid1(SALU_CYCLE_1)
	s_and_b32 s4, vcc_lo, s4
	s_and_b32 s4, s25, s4
	s_delay_alu instid0(SALU_CYCLE_1)
	s_and_saveexec_b32 s5, s4
	s_cbranch_execz .LBB299_32
; %bb.31:                               ;   in Loop: Header=BB299_24 Depth=1
	v_add_co_u32 v78, s4, v73, v24
	s_delay_alu instid0(VALU_DEP_1)
	v_add_co_ci_u32_e64 v79, s4, v74, v25, s4
	flat_load_u16 v76, v[78:79]
	s_waitcnt vmcnt(0) lgkmcnt(0)
	v_mul_f16_e32 v76, s19, v76
.LBB299_32:                             ;   in Loop: Header=BB299_24 Depth=1
	s_or_b32 exec_lo, exec_lo, s5
	v_min_i32_e32 v80, s28, v77
	v_cmp_le_i32_e64 s4, s18, v77
	v_mov_b32_e32 v77, 0
	s_delay_alu instid0(VALU_DEP_3) | instskip(NEXT) | instid1(VALU_DEP_3)
	v_mad_i64_i32 v[78:79], null, v80, s27, 0
	s_or_b32 s20, s2, s4
	s_delay_alu instid0(VALU_DEP_1) | instskip(SKIP_1) | instid1(VALU_DEP_2)
	v_lshlrev_b64 v[79:80], 1, v[78:79]
	v_mov_b32_e32 v78, 0
	v_add_co_u32 v79, s5, s8, v79
	s_delay_alu instid0(VALU_DEP_1) | instskip(SKIP_1) | instid1(SALU_CYCLE_1)
	v_add_co_ci_u32_e64 v80, s5, s9, v80, s5
	s_or_b32 s5, s20, s29
	s_xor_b32 s5, s5, -1
	s_delay_alu instid0(SALU_CYCLE_1)
	s_and_saveexec_b32 s20, s5
	s_cbranch_execz .LBB299_34
; %bb.33:                               ;   in Loop: Header=BB299_24 Depth=1
	v_add_co_u32 v81, s5, v79, v28
	s_delay_alu instid0(VALU_DEP_1)
	v_add_co_ci_u32_e64 v82, s5, v80, v29, s5
	flat_load_u16 v78, v[81:82]
	s_waitcnt vmcnt(0) lgkmcnt(0)
	v_mul_f16_e32 v78, s19, v78
.LBB299_34:                             ;   in Loop: Header=BB299_24 Depth=1
	s_or_b32 exec_lo, exec_lo, s20
	v_pk_max_f16 v101, v2, v2
	v_pk_max_f16 v97, v20, v20
	v_pk_max_f16 v98, v22, v22
	v_pk_max_f16 v99, v12, v12
	v_pk_max_f16 v22, v16, v16
	v_pk_max_f16 v102, v14, v14
	v_pk_max_f16 v83, v18, v18
	v_pk_max_f16 v86, v8, v8
	v_pk_max_f16 v89, v10, v10
	v_pk_max_f16 v92, v4, v4
	v_pk_max_f16 v96, v6, v6
	v_pk_max_f16 v0, v0, v0
	v_pk_min_f16 v2, v101, v97
	v_pk_min_f16 v12, v101, v98
	;; [unrolled: 1-line block ×25, first 2 shown]
	v_pk_max_f16 v121, v3, v3
	v_pk_max_f16 v21, v21, v21
	;; [unrolled: 1-line block ×9, first 2 shown]
	v_pk_min_f16 v110, v0, v21
	v_pk_min_f16 v111, v0, v122
	;; [unrolled: 1-line block ×4, first 2 shown]
	v_pk_max_f16 v0, v9, v9
	v_pk_min_f16 v114, v3, v21
	v_pk_min_f16 v115, v3, v122
	;; [unrolled: 1-line block ×4, first 2 shown]
	v_pk_max_f16 v3, v11, v11
	v_pk_max_f16 v1, v1, v1
	s_or_b32 s4, s3, s4
	v_pk_min_f16 v22, v22, v102
	v_pk_min_f16 v83, v83, v102
	;; [unrolled: 1-line block ×31, first 2 shown]
	s_or_b32 s4, s4, s29
	s_delay_alu instid0(SALU_CYCLE_1) | instskip(NEXT) | instid1(SALU_CYCLE_1)
	s_xor_b32 s4, s4, -1
	s_and_saveexec_b32 s5, s4
	s_cbranch_execz .LBB299_23
; %bb.35:                               ;   in Loop: Header=BB299_24 Depth=1
	v_add_co_u32 v79, s4, v79, v28
	s_delay_alu instid0(VALU_DEP_1)
	v_add_co_ci_u32_e64 v80, s4, v80, v29, s4
	flat_load_u16 v77, v[79:80] offset:128
	s_waitcnt vmcnt(0) lgkmcnt(0)
	v_mul_f16_e32 v77, s19, v77
	s_branch .LBB299_23
.LBB299_36:
	s_clause 0x2
	s_load_b64 s[2:3], s[0:1], 0x70
	s_load_b32 s12, s[0:1], 0x50
	s_load_b32 s9, s[0:1], 0x68
	v_add_nc_u32_e32 v66, s26, v31
	v_add_nc_u32_e32 v8, 0x800, v34
	ds_load_2addr_b64 v[0:3], v33 offset0:192 offset1:224
	ds_load_2addr_b64 v[20:23], v33 offset0:128 offset1:160
	v_add_nc_u32_e32 v24, s14, v30
	ds_load_2addr_b64 v[4:7], v8 offset0:112 offset1:120
	ds_load_2addr_b64 v[16:19], v8 offset0:64 offset1:72
	;; [unrolled: 1-line block ×4, first 2 shown]
	v_cmp_gt_i32_e64 s8, s17, v66
	v_cndmask_b32_e64 v59, 0, 1, s23
	s_waitcnt lgkmcnt(0)
	s_mul_i32 s0, s15, s3
	v_mad_i64_i32 v[25:26], null, v66, s12, 0
	v_mad_i64_i32 v[27:28], null, v66, s9, 0
	s_mul_hi_u32 s1, s15, s2
	s_mul_i32 s3, s24, s2
	s_add_i32 s1, s1, s0
	s_mul_i32 s0, s15, s2
	s_delay_alu instid0(VALU_DEP_2) | instskip(SKIP_1) | instid1(VALU_DEP_2)
	v_lshlrev_b64 v[25:26], 1, v[25:26]
	s_add_i32 s1, s1, s3
	v_lshlrev_b64 v[27:28], 1, v[27:28]
	s_lshl_b64 s[0:1], s[0:1], 1
	s_delay_alu instid0(SALU_CYCLE_1) | instskip(NEXT) | instid1(VALU_DEP_2)
	s_add_u32 s13, s6, s0
	v_add_co_u32 v72, vcc_lo, s10, v25
	v_add_co_ci_u32_e32 v73, vcc_lo, s11, v26, vcc_lo
	s_addc_u32 s14, s7, s1
	v_add_co_u32 v70, vcc_lo, s13, v27
	v_cmp_gt_i32_e64 s0, s16, v24
	v_add_co_ci_u32_e32 v71, vcc_lo, s14, v28, vcc_lo
	v_ashrrev_i32_e32 v25, 31, v24
	s_delay_alu instid0(VALU_DEP_3) | instskip(NEXT) | instid1(SALU_CYCLE_1)
	s_and_b32 s2, s0, s8
	s_and_saveexec_b32 s1, s2
	s_cbranch_execz .LBB299_41
; %bb.37:
	s_delay_alu instid0(VALU_DEP_1)
	v_lshlrev_b64 v[26:27], 1, v[24:25]
	s_and_not1_b32 vcc_lo, exec_lo, s23
	s_cbranch_vccnz .LBB299_39
; %bb.38:
	s_delay_alu instid0(VALU_DEP_1) | instskip(NEXT) | instid1(VALU_DEP_2)
	v_add_co_u32 v28, vcc_lo, v72, v26
	v_add_co_ci_u32_e32 v29, vcc_lo, v73, v27, vcc_lo
	flat_load_u16 v28, v[28:29]
	s_waitcnt vmcnt(0) lgkmcnt(0)
	v_mul_f16_e32 v28, s22, v28
	s_branch .LBB299_40
.LBB299_39:
	v_mov_b32_e32 v28, 0
.LBB299_40:
	v_pk_max_f16 v29, v20, v20
	v_pk_max_f16 v30, v16, v16
	;; [unrolled: 1-line block ×4, first 2 shown]
	v_add_co_u32 v26, vcc_lo, v70, v26
	s_delay_alu instid0(VALU_DEP_4) | instskip(SKIP_1) | instid1(VALU_DEP_4)
	v_pk_min_f16 v29, v30, v29
	v_add_co_ci_u32_e32 v27, vcc_lo, v71, v27, vcc_lo
	v_pk_min_f16 v30, v32, v31
	s_delay_alu instid0(VALU_DEP_3) | instskip(NEXT) | instid1(VALU_DEP_1)
	v_pk_add_f16 v29, v69, v29
	v_pk_add_f16 v29, v29, v30
	s_delay_alu instid0(VALU_DEP_1) | instskip(NEXT) | instid1(VALU_DEP_1)
	v_lshrrev_b32_e32 v30, 16, v29
	v_add_f16_e32 v29, v29, v30
	s_delay_alu instid0(VALU_DEP_1)
	v_add_f16_e32 v28, v29, v28
	global_store_b16 v[26:27], v28, off
.LBB299_41:
	s_or_b32 exec_lo, exec_lo, s1
	v_add_nc_u32_e32 v26, 8, v24
	s_delay_alu instid0(VALU_DEP_1) | instskip(SKIP_1) | instid1(VALU_DEP_2)
	v_cmp_gt_i32_e64 s1, s16, v26
	v_ashrrev_i32_e32 v27, 31, v26
	s_and_b32 s3, s1, s8
	s_delay_alu instid0(SALU_CYCLE_1)
	s_and_saveexec_b32 s2, s3
	s_cbranch_execz .LBB299_46
; %bb.42:
	v_cmp_ne_u32_e32 vcc_lo, 1, v59
	v_lshlrev_b64 v[28:29], 1, v[26:27]
	s_cbranch_vccnz .LBB299_44
; %bb.43:
	s_delay_alu instid0(VALU_DEP_1) | instskip(NEXT) | instid1(VALU_DEP_2)
	v_add_co_u32 v30, vcc_lo, v72, v28
	v_add_co_ci_u32_e32 v31, vcc_lo, v73, v29, vcc_lo
	flat_load_u16 v30, v[30:31]
	s_waitcnt vmcnt(0) lgkmcnt(0)
	v_mul_f16_e32 v30, s22, v30
	s_branch .LBB299_45
.LBB299_44:
	v_mov_b32_e32 v30, 0
.LBB299_45:
	v_pk_max_f16 v31, v20, v20
	v_pk_max_f16 v32, v18, v18
	v_pk_max_f16 v33, v21, v21
	v_pk_max_f16 v34, v19, v19
	v_add_co_u32 v28, vcc_lo, v70, v28
	s_delay_alu instid0(VALU_DEP_4) | instskip(SKIP_1) | instid1(VALU_DEP_4)
	v_pk_min_f16 v31, v32, v31
	v_add_co_ci_u32_e32 v29, vcc_lo, v71, v29, vcc_lo
	v_pk_min_f16 v32, v34, v33
	s_delay_alu instid0(VALU_DEP_3) | instskip(NEXT) | instid1(VALU_DEP_1)
	v_pk_add_f16 v31, v41, v31
	v_pk_add_f16 v31, v31, v32
	s_delay_alu instid0(VALU_DEP_1) | instskip(NEXT) | instid1(VALU_DEP_1)
	v_lshrrev_b32_e32 v32, 16, v31
	v_add_f16_e32 v31, v31, v32
	s_delay_alu instid0(VALU_DEP_1)
	v_add_f16_e32 v30, v31, v30
	global_store_b16 v[28:29], v30, off
.LBB299_46:
	s_or_b32 exec_lo, exec_lo, s2
	v_add_nc_u32_e32 v28, 16, v24
	s_delay_alu instid0(VALU_DEP_1) | instskip(SKIP_1) | instid1(VALU_DEP_2)
	v_cmp_gt_i32_e64 s2, s16, v28
	v_ashrrev_i32_e32 v29, 31, v28
	s_and_b32 s4, s2, s8
	s_delay_alu instid0(SALU_CYCLE_1)
	s_and_saveexec_b32 s3, s4
	s_cbranch_execz .LBB299_51
; %bb.47:
	v_cmp_ne_u32_e32 vcc_lo, 1, v59
	v_lshlrev_b64 v[30:31], 1, v[28:29]
	s_cbranch_vccnz .LBB299_49
; %bb.48:
	s_delay_alu instid0(VALU_DEP_1) | instskip(NEXT) | instid1(VALU_DEP_2)
	v_add_co_u32 v32, vcc_lo, v72, v30
	v_add_co_ci_u32_e32 v33, vcc_lo, v73, v31, vcc_lo
	flat_load_u16 v32, v[32:33]
	s_waitcnt vmcnt(0) lgkmcnt(0)
	v_mul_f16_e32 v32, s22, v32
	s_branch .LBB299_50
.LBB299_49:
	v_mov_b32_e32 v32, 0
.LBB299_50:
	v_pk_max_f16 v33, v20, v20
	v_pk_max_f16 v34, v12, v12
	v_pk_max_f16 v35, v21, v21
	v_pk_max_f16 v41, v13, v13
	v_add_co_u32 v30, vcc_lo, v70, v30
	s_delay_alu instid0(VALU_DEP_4) | instskip(SKIP_1) | instid1(VALU_DEP_4)
	v_pk_min_f16 v33, v34, v33
	v_add_co_ci_u32_e32 v31, vcc_lo, v71, v31, vcc_lo
	v_pk_min_f16 v34, v41, v35
	s_delay_alu instid0(VALU_DEP_3) | instskip(NEXT) | instid1(VALU_DEP_1)
	v_pk_add_f16 v33, v39, v33
	v_pk_add_f16 v33, v33, v34
	s_delay_alu instid0(VALU_DEP_1) | instskip(NEXT) | instid1(VALU_DEP_1)
	v_lshrrev_b32_e32 v34, 16, v33
	v_add_f16_e32 v33, v33, v34
	s_delay_alu instid0(VALU_DEP_1)
	v_add_f16_e32 v32, v33, v32
	global_store_b16 v[30:31], v32, off
.LBB299_51:
	;; [unrolled: 43-line block ×6, first 2 shown]
	s_or_b32 exec_lo, exec_lo, s7
	v_add_nc_u32_e32 v38, 56, v24
	s_delay_alu instid0(VALU_DEP_1) | instskip(SKIP_1) | instid1(VALU_DEP_2)
	v_cmp_gt_i32_e64 s7, s16, v38
	v_ashrrev_i32_e32 v39, 31, v38
	s_and_b32 s15, s7, s8
	s_delay_alu instid0(SALU_CYCLE_1)
	s_and_saveexec_b32 s8, s15
	s_cbranch_execz .LBB299_76
; %bb.72:
	v_cmp_ne_u32_e32 vcc_lo, 1, v59
	v_lshlrev_b64 v[40:41], 1, v[38:39]
	s_cbranch_vccnz .LBB299_74
; %bb.73:
	s_delay_alu instid0(VALU_DEP_1) | instskip(NEXT) | instid1(VALU_DEP_2)
	v_add_co_u32 v72, vcc_lo, v72, v40
	v_add_co_ci_u32_e32 v73, vcc_lo, v73, v41, vcc_lo
	flat_load_u16 v69, v[72:73]
	s_waitcnt vmcnt(0) lgkmcnt(0)
	v_mul_f16_e32 v69, s22, v69
	s_branch .LBB299_75
.LBB299_74:
	v_mov_b32_e32 v69, 0
.LBB299_75:
	v_pk_max_f16 v20, v20, v20
	v_pk_max_f16 v72, v6, v6
	;; [unrolled: 1-line block ×4, first 2 shown]
	s_delay_alu instid0(VALU_DEP_3) | instskip(NEXT) | instid1(VALU_DEP_2)
	v_pk_min_f16 v20, v72, v20
	v_pk_min_f16 v21, v73, v21
	s_delay_alu instid0(VALU_DEP_2) | instskip(NEXT) | instid1(VALU_DEP_1)
	v_pk_add_f16 v20, v68, v20
	v_pk_add_f16 v20, v20, v21
	s_delay_alu instid0(VALU_DEP_1) | instskip(NEXT) | instid1(VALU_DEP_1)
	v_lshrrev_b32_e32 v21, 16, v20
	v_add_f16_e32 v20, v20, v21
	s_delay_alu instid0(VALU_DEP_1)
	v_add_f16_e32 v68, v20, v69
	v_add_co_u32 v20, vcc_lo, v70, v40
	v_add_co_ci_u32_e32 v21, vcc_lo, v71, v41, vcc_lo
	global_store_b16 v[20:21], v68, off
.LBB299_76:
	s_or_b32 exec_lo, exec_lo, s8
	v_add_nc_u32_e32 v68, 32, v66
	s_delay_alu instid0(VALU_DEP_1) | instskip(SKIP_2) | instid1(VALU_DEP_3)
	v_mad_i64_i32 v[20:21], null, v68, s12, 0
	v_mad_i64_i32 v[40:41], null, v68, s9, 0
	v_cmp_gt_i32_e64 s8, s17, v68
	v_lshlrev_b64 v[20:21], 1, v[20:21]
	s_delay_alu instid0(VALU_DEP_2) | instskip(NEXT) | instid1(VALU_DEP_3)
	s_and_b32 s16, s0, s8
	v_lshlrev_b64 v[40:41], 1, v[40:41]
	s_delay_alu instid0(VALU_DEP_2) | instskip(NEXT) | instid1(VALU_DEP_3)
	v_add_co_u32 v68, vcc_lo, s10, v20
	v_add_co_ci_u32_e32 v69, vcc_lo, s11, v21, vcc_lo
	s_delay_alu instid0(VALU_DEP_3) | instskip(NEXT) | instid1(VALU_DEP_4)
	v_add_co_u32 v40, vcc_lo, s13, v40
	v_add_co_ci_u32_e32 v41, vcc_lo, s14, v41, vcc_lo
	s_and_saveexec_b32 s15, s16
	s_cbranch_execnz .LBB299_84
; %bb.77:
	s_or_b32 exec_lo, exec_lo, s15
	s_and_b32 s16, s1, s8
	s_delay_alu instid0(SALU_CYCLE_1)
	s_and_saveexec_b32 s15, s16
	s_cbranch_execnz .LBB299_88
.LBB299_78:
	s_or_b32 exec_lo, exec_lo, s15
	s_and_b32 s16, s2, s8
	s_delay_alu instid0(SALU_CYCLE_1)
	s_and_saveexec_b32 s15, s16
	s_cbranch_execnz .LBB299_92
.LBB299_79:
	s_or_b32 exec_lo, exec_lo, s15
	s_and_b32 s16, s3, s8
	s_delay_alu instid0(SALU_CYCLE_1)
	s_and_saveexec_b32 s15, s16
	s_cbranch_execnz .LBB299_96
.LBB299_80:
	s_or_b32 exec_lo, exec_lo, s15
	s_and_b32 s16, s4, s8
	s_delay_alu instid0(SALU_CYCLE_1)
	s_and_saveexec_b32 s15, s16
	s_cbranch_execnz .LBB299_100
.LBB299_81:
	s_or_b32 exec_lo, exec_lo, s15
	s_and_b32 s16, s5, s8
	s_delay_alu instid0(SALU_CYCLE_1)
	s_and_saveexec_b32 s15, s16
	s_cbranch_execnz .LBB299_104
.LBB299_82:
	s_or_b32 exec_lo, exec_lo, s15
	s_and_b32 s16, s6, s8
	s_delay_alu instid0(SALU_CYCLE_1)
	s_and_saveexec_b32 s15, s16
	s_cbranch_execnz .LBB299_108
.LBB299_83:
	s_or_b32 exec_lo, exec_lo, s15
	s_and_b32 s15, s7, s8
	s_delay_alu instid0(SALU_CYCLE_1)
	s_and_saveexec_b32 s8, s15
	s_cbranch_execnz .LBB299_112
	s_branch .LBB299_116
.LBB299_84:
	v_cmp_ne_u32_e32 vcc_lo, 1, v59
	v_lshlrev_b64 v[20:21], 1, v[24:25]
	s_cbranch_vccnz .LBB299_86
; %bb.85:
	s_delay_alu instid0(VALU_DEP_1) | instskip(NEXT) | instid1(VALU_DEP_2)
	v_add_co_u32 v70, vcc_lo, v68, v20
	v_add_co_ci_u32_e32 v71, vcc_lo, v69, v21, vcc_lo
	flat_load_u16 v70, v[70:71]
	s_waitcnt vmcnt(0) lgkmcnt(0)
	v_mul_f16_e32 v70, s22, v70
	s_branch .LBB299_87
.LBB299_86:
	v_mov_b32_e32 v70, 0
.LBB299_87:
	v_pk_max_f16 v71, v22, v22
	v_pk_max_f16 v72, v16, v16
	;; [unrolled: 1-line block ×4, first 2 shown]
	v_add_co_u32 v20, vcc_lo, v40, v20
	s_delay_alu instid0(VALU_DEP_4) | instskip(SKIP_1) | instid1(VALU_DEP_4)
	v_pk_min_f16 v71, v72, v71
	v_add_co_ci_u32_e32 v21, vcc_lo, v41, v21, vcc_lo
	v_pk_min_f16 v72, v74, v73
	s_delay_alu instid0(VALU_DEP_3) | instskip(NEXT) | instid1(VALU_DEP_1)
	v_pk_add_f16 v67, v67, v71
	v_pk_add_f16 v67, v67, v72
	s_delay_alu instid0(VALU_DEP_1) | instskip(NEXT) | instid1(VALU_DEP_1)
	v_lshrrev_b32_e32 v71, 16, v67
	v_add_f16_e32 v67, v67, v71
	s_delay_alu instid0(VALU_DEP_1) | instskip(SKIP_3) | instid1(SALU_CYCLE_1)
	v_add_f16_e32 v67, v67, v70
	global_store_b16 v[20:21], v67, off
	s_or_b32 exec_lo, exec_lo, s15
	s_and_b32 s16, s1, s8
	s_and_saveexec_b32 s15, s16
	s_cbranch_execz .LBB299_78
.LBB299_88:
	v_cmp_ne_u32_e32 vcc_lo, 1, v59
	v_lshlrev_b64 v[20:21], 1, v[26:27]
	s_cbranch_vccnz .LBB299_90
; %bb.89:
	s_delay_alu instid0(VALU_DEP_1) | instskip(NEXT) | instid1(VALU_DEP_2)
	v_add_co_u32 v70, vcc_lo, v68, v20
	v_add_co_ci_u32_e32 v71, vcc_lo, v69, v21, vcc_lo
	flat_load_u16 v67, v[70:71]
	s_waitcnt vmcnt(0) lgkmcnt(0)
	v_mul_f16_e32 v67, s22, v67
	s_branch .LBB299_91
.LBB299_90:
	v_mov_b32_e32 v67, 0
.LBB299_91:
	v_pk_max_f16 v70, v22, v22
	v_pk_max_f16 v71, v18, v18
	;; [unrolled: 1-line block ×4, first 2 shown]
	v_add_co_u32 v20, vcc_lo, v40, v20
	s_delay_alu instid0(VALU_DEP_4) | instskip(SKIP_1) | instid1(VALU_DEP_4)
	v_pk_min_f16 v70, v71, v70
	v_add_co_ci_u32_e32 v21, vcc_lo, v41, v21, vcc_lo
	v_pk_min_f16 v71, v73, v72
	s_delay_alu instid0(VALU_DEP_3) | instskip(NEXT) | instid1(VALU_DEP_1)
	v_pk_add_f16 v65, v65, v70
	v_pk_add_f16 v65, v65, v71
	s_delay_alu instid0(VALU_DEP_1) | instskip(NEXT) | instid1(VALU_DEP_1)
	v_lshrrev_b32_e32 v70, 16, v65
	v_add_f16_e32 v65, v65, v70
	s_delay_alu instid0(VALU_DEP_1) | instskip(SKIP_3) | instid1(SALU_CYCLE_1)
	v_add_f16_e32 v65, v65, v67
	global_store_b16 v[20:21], v65, off
	s_or_b32 exec_lo, exec_lo, s15
	s_and_b32 s16, s2, s8
	s_and_saveexec_b32 s15, s16
	s_cbranch_execz .LBB299_79
.LBB299_92:
	v_cmp_ne_u32_e32 vcc_lo, 1, v59
	v_lshlrev_b64 v[20:21], 1, v[28:29]
	s_cbranch_vccnz .LBB299_94
; %bb.93:
	s_delay_alu instid0(VALU_DEP_1) | instskip(NEXT) | instid1(VALU_DEP_2)
	v_add_co_u32 v70, vcc_lo, v68, v20
	v_add_co_ci_u32_e32 v71, vcc_lo, v69, v21, vcc_lo
	flat_load_u16 v65, v[70:71]
	s_waitcnt vmcnt(0) lgkmcnt(0)
	v_mul_f16_e32 v65, s22, v65
	s_branch .LBB299_95
.LBB299_94:
	v_mov_b32_e32 v65, 0
.LBB299_95:
	v_pk_max_f16 v67, v22, v22
	v_pk_max_f16 v70, v12, v12
	;; [unrolled: 1-line block ×4, first 2 shown]
	v_add_co_u32 v20, vcc_lo, v40, v20
	s_delay_alu instid0(VALU_DEP_4) | instskip(SKIP_1) | instid1(VALU_DEP_4)
	v_pk_min_f16 v67, v70, v67
	v_add_co_ci_u32_e32 v21, vcc_lo, v41, v21, vcc_lo
	v_pk_min_f16 v70, v72, v71
	s_delay_alu instid0(VALU_DEP_3) | instskip(NEXT) | instid1(VALU_DEP_1)
	v_pk_add_f16 v64, v64, v67
	v_pk_add_f16 v64, v64, v70
	s_delay_alu instid0(VALU_DEP_1) | instskip(NEXT) | instid1(VALU_DEP_1)
	v_lshrrev_b32_e32 v67, 16, v64
	v_add_f16_e32 v64, v64, v67
	s_delay_alu instid0(VALU_DEP_1) | instskip(SKIP_3) | instid1(SALU_CYCLE_1)
	v_add_f16_e32 v64, v64, v65
	global_store_b16 v[20:21], v64, off
	s_or_b32 exec_lo, exec_lo, s15
	s_and_b32 s16, s3, s8
	s_and_saveexec_b32 s15, s16
	s_cbranch_execz .LBB299_80
.LBB299_96:
	v_cmp_ne_u32_e32 vcc_lo, 1, v59
	v_lshlrev_b64 v[20:21], 1, v[30:31]
	s_cbranch_vccnz .LBB299_98
; %bb.97:
	s_delay_alu instid0(VALU_DEP_1) | instskip(NEXT) | instid1(VALU_DEP_2)
	v_add_co_u32 v64, vcc_lo, v68, v20
	v_add_co_ci_u32_e32 v65, vcc_lo, v69, v21, vcc_lo
	flat_load_u16 v64, v[64:65]
	s_waitcnt vmcnt(0) lgkmcnt(0)
	v_mul_f16_e32 v64, s22, v64
	s_branch .LBB299_99
.LBB299_98:
	v_mov_b32_e32 v64, 0
.LBB299_99:
	v_pk_max_f16 v65, v22, v22
	v_pk_max_f16 v67, v14, v14
	v_pk_max_f16 v70, v23, v23
	v_pk_max_f16 v71, v15, v15
	v_add_co_u32 v20, vcc_lo, v40, v20
	s_delay_alu instid0(VALU_DEP_4) | instskip(SKIP_1) | instid1(VALU_DEP_4)
	v_pk_min_f16 v65, v67, v65
	v_add_co_ci_u32_e32 v21, vcc_lo, v41, v21, vcc_lo
	v_pk_min_f16 v67, v71, v70
	s_delay_alu instid0(VALU_DEP_3) | instskip(NEXT) | instid1(VALU_DEP_1)
	v_pk_add_f16 v63, v63, v65
	v_pk_add_f16 v63, v63, v67
	s_delay_alu instid0(VALU_DEP_1) | instskip(NEXT) | instid1(VALU_DEP_1)
	v_lshrrev_b32_e32 v65, 16, v63
	v_add_f16_e32 v63, v63, v65
	s_delay_alu instid0(VALU_DEP_1) | instskip(SKIP_3) | instid1(SALU_CYCLE_1)
	v_add_f16_e32 v63, v63, v64
	global_store_b16 v[20:21], v63, off
	s_or_b32 exec_lo, exec_lo, s15
	s_and_b32 s16, s4, s8
	s_and_saveexec_b32 s15, s16
	s_cbranch_execz .LBB299_81
.LBB299_100:
	v_cmp_ne_u32_e32 vcc_lo, 1, v59
	v_lshlrev_b64 v[20:21], 1, v[32:33]
	s_cbranch_vccnz .LBB299_102
; %bb.101:
	s_delay_alu instid0(VALU_DEP_1) | instskip(NEXT) | instid1(VALU_DEP_2)
	v_add_co_u32 v63, vcc_lo, v68, v20
	v_add_co_ci_u32_e32 v64, vcc_lo, v69, v21, vcc_lo
	flat_load_u16 v63, v[63:64]
	s_waitcnt vmcnt(0) lgkmcnt(0)
	v_mul_f16_e32 v63, s22, v63
	s_branch .LBB299_103
.LBB299_102:
	v_mov_b32_e32 v63, 0
.LBB299_103:
	v_pk_max_f16 v64, v22, v22
	v_pk_max_f16 v65, v8, v8
	;; [unrolled: 1-line block ×4, first 2 shown]
	v_add_co_u32 v20, vcc_lo, v40, v20
	s_delay_alu instid0(VALU_DEP_4) | instskip(SKIP_1) | instid1(VALU_DEP_4)
	v_pk_min_f16 v64, v65, v64
	v_add_co_ci_u32_e32 v21, vcc_lo, v41, v21, vcc_lo
	v_pk_min_f16 v65, v70, v67
	s_delay_alu instid0(VALU_DEP_3) | instskip(NEXT) | instid1(VALU_DEP_1)
	v_pk_add_f16 v62, v62, v64
	v_pk_add_f16 v62, v62, v65
	s_delay_alu instid0(VALU_DEP_1) | instskip(NEXT) | instid1(VALU_DEP_1)
	v_lshrrev_b32_e32 v64, 16, v62
	v_add_f16_e32 v62, v62, v64
	s_delay_alu instid0(VALU_DEP_1) | instskip(SKIP_3) | instid1(SALU_CYCLE_1)
	v_add_f16_e32 v62, v62, v63
	global_store_b16 v[20:21], v62, off
	s_or_b32 exec_lo, exec_lo, s15
	s_and_b32 s16, s5, s8
	s_and_saveexec_b32 s15, s16
	s_cbranch_execz .LBB299_82
.LBB299_104:
	v_cmp_ne_u32_e32 vcc_lo, 1, v59
	v_lshlrev_b64 v[20:21], 1, v[34:35]
	s_cbranch_vccnz .LBB299_106
; %bb.105:
	s_delay_alu instid0(VALU_DEP_1) | instskip(NEXT) | instid1(VALU_DEP_2)
	v_add_co_u32 v62, vcc_lo, v68, v20
	v_add_co_ci_u32_e32 v63, vcc_lo, v69, v21, vcc_lo
	flat_load_u16 v62, v[62:63]
	s_waitcnt vmcnt(0) lgkmcnt(0)
	v_mul_f16_e32 v62, s22, v62
	s_branch .LBB299_107
.LBB299_106:
	v_mov_b32_e32 v62, 0
.LBB299_107:
	v_pk_max_f16 v63, v22, v22
	v_pk_max_f16 v64, v10, v10
	;; [unrolled: 1-line block ×4, first 2 shown]
	v_add_co_u32 v20, vcc_lo, v40, v20
	s_delay_alu instid0(VALU_DEP_4) | instskip(SKIP_1) | instid1(VALU_DEP_4)
	v_pk_min_f16 v63, v64, v63
	v_add_co_ci_u32_e32 v21, vcc_lo, v41, v21, vcc_lo
	v_pk_min_f16 v64, v67, v65
	s_delay_alu instid0(VALU_DEP_3) | instskip(NEXT) | instid1(VALU_DEP_1)
	v_pk_add_f16 v61, v61, v63
	v_pk_add_f16 v61, v61, v64
	s_delay_alu instid0(VALU_DEP_1) | instskip(NEXT) | instid1(VALU_DEP_1)
	v_lshrrev_b32_e32 v63, 16, v61
	v_add_f16_e32 v61, v61, v63
	s_delay_alu instid0(VALU_DEP_1) | instskip(SKIP_3) | instid1(SALU_CYCLE_1)
	v_add_f16_e32 v61, v61, v62
	global_store_b16 v[20:21], v61, off
	s_or_b32 exec_lo, exec_lo, s15
	s_and_b32 s16, s6, s8
	s_and_saveexec_b32 s15, s16
	s_cbranch_execz .LBB299_83
.LBB299_108:
	v_cmp_ne_u32_e32 vcc_lo, 1, v59
	v_lshlrev_b64 v[20:21], 1, v[36:37]
	s_cbranch_vccnz .LBB299_110
; %bb.109:
	s_delay_alu instid0(VALU_DEP_1) | instskip(NEXT) | instid1(VALU_DEP_2)
	v_add_co_u32 v61, vcc_lo, v68, v20
	v_add_co_ci_u32_e32 v62, vcc_lo, v69, v21, vcc_lo
	flat_load_u16 v61, v[61:62]
	s_waitcnt vmcnt(0) lgkmcnt(0)
	v_mul_f16_e32 v61, s22, v61
	s_branch .LBB299_111
.LBB299_110:
	v_mov_b32_e32 v61, 0
.LBB299_111:
	v_pk_max_f16 v62, v22, v22
	v_pk_max_f16 v63, v4, v4
	;; [unrolled: 1-line block ×4, first 2 shown]
	v_add_co_u32 v20, vcc_lo, v40, v20
	s_delay_alu instid0(VALU_DEP_4) | instskip(SKIP_1) | instid1(VALU_DEP_4)
	v_pk_min_f16 v62, v63, v62
	v_add_co_ci_u32_e32 v21, vcc_lo, v41, v21, vcc_lo
	v_pk_min_f16 v63, v65, v64
	s_delay_alu instid0(VALU_DEP_3) | instskip(NEXT) | instid1(VALU_DEP_1)
	v_pk_add_f16 v60, v60, v62
	v_pk_add_f16 v60, v60, v63
	s_delay_alu instid0(VALU_DEP_1) | instskip(NEXT) | instid1(VALU_DEP_1)
	v_lshrrev_b32_e32 v62, 16, v60
	v_add_f16_e32 v60, v60, v62
	s_delay_alu instid0(VALU_DEP_1) | instskip(SKIP_3) | instid1(SALU_CYCLE_1)
	v_add_f16_e32 v60, v60, v61
	global_store_b16 v[20:21], v60, off
	s_or_b32 exec_lo, exec_lo, s15
	s_and_b32 s15, s7, s8
	s_and_saveexec_b32 s8, s15
	s_cbranch_execz .LBB299_116
.LBB299_112:
	v_cmp_ne_u32_e32 vcc_lo, 1, v59
	v_lshlrev_b64 v[20:21], 1, v[38:39]
	s_cbranch_vccnz .LBB299_114
; %bb.113:
	s_delay_alu instid0(VALU_DEP_1) | instskip(NEXT) | instid1(VALU_DEP_2)
	v_add_co_u32 v60, vcc_lo, v68, v20
	v_add_co_ci_u32_e32 v61, vcc_lo, v69, v21, vcc_lo
	flat_load_u16 v60, v[60:61]
	s_waitcnt vmcnt(0) lgkmcnt(0)
	v_mul_f16_e32 v60, s22, v60
	s_branch .LBB299_115
.LBB299_114:
	v_mov_b32_e32 v60, 0
.LBB299_115:
	v_pk_max_f16 v22, v22, v22
	v_pk_max_f16 v61, v6, v6
	;; [unrolled: 1-line block ×4, first 2 shown]
	v_add_co_u32 v20, vcc_lo, v40, v20
	s_delay_alu instid0(VALU_DEP_4) | instskip(SKIP_1) | instid1(VALU_DEP_4)
	v_pk_min_f16 v22, v61, v22
	v_add_co_ci_u32_e32 v21, vcc_lo, v41, v21, vcc_lo
	v_pk_min_f16 v23, v62, v23
	s_delay_alu instid0(VALU_DEP_3) | instskip(NEXT) | instid1(VALU_DEP_1)
	v_pk_add_f16 v22, v58, v22
	v_pk_add_f16 v22, v22, v23
	s_delay_alu instid0(VALU_DEP_1) | instskip(NEXT) | instid1(VALU_DEP_1)
	v_lshrrev_b32_e32 v23, 16, v22
	v_add_f16_e32 v22, v22, v23
	s_delay_alu instid0(VALU_DEP_1)
	v_add_f16_e32 v22, v22, v60
	global_store_b16 v[20:21], v22, off
.LBB299_116:
	s_or_b32 exec_lo, exec_lo, s8
	v_add_nc_u32_e32 v40, 64, v66
	s_delay_alu instid0(VALU_DEP_1) | instskip(SKIP_2) | instid1(VALU_DEP_3)
	v_mad_i64_i32 v[20:21], null, v40, s12, 0
	v_mad_i64_i32 v[22:23], null, v40, s9, 0
	v_cmp_gt_i32_e64 s8, s17, v40
	v_lshlrev_b64 v[20:21], 1, v[20:21]
	s_delay_alu instid0(VALU_DEP_2) | instskip(NEXT) | instid1(VALU_DEP_3)
	s_and_b32 s16, s0, s8
	v_lshlrev_b64 v[22:23], 1, v[22:23]
	s_delay_alu instid0(VALU_DEP_2) | instskip(NEXT) | instid1(VALU_DEP_3)
	v_add_co_u32 v40, vcc_lo, s10, v20
	v_add_co_ci_u32_e32 v41, vcc_lo, s11, v21, vcc_lo
	s_delay_alu instid0(VALU_DEP_3) | instskip(NEXT) | instid1(VALU_DEP_4)
	v_add_co_u32 v22, vcc_lo, s13, v22
	v_add_co_ci_u32_e32 v23, vcc_lo, s14, v23, vcc_lo
	s_and_saveexec_b32 s15, s16
	s_cbranch_execnz .LBB299_124
; %bb.117:
	s_or_b32 exec_lo, exec_lo, s15
	s_and_b32 s16, s1, s8
	s_delay_alu instid0(SALU_CYCLE_1)
	s_and_saveexec_b32 s15, s16
	s_cbranch_execnz .LBB299_128
.LBB299_118:
	s_or_b32 exec_lo, exec_lo, s15
	s_and_b32 s16, s2, s8
	s_delay_alu instid0(SALU_CYCLE_1)
	s_and_saveexec_b32 s15, s16
	s_cbranch_execnz .LBB299_132
.LBB299_119:
	s_or_b32 exec_lo, exec_lo, s15
	s_and_b32 s16, s3, s8
	s_delay_alu instid0(SALU_CYCLE_1)
	s_and_saveexec_b32 s15, s16
	s_cbranch_execnz .LBB299_136
.LBB299_120:
	s_or_b32 exec_lo, exec_lo, s15
	s_and_b32 s16, s4, s8
	s_delay_alu instid0(SALU_CYCLE_1)
	s_and_saveexec_b32 s15, s16
	s_cbranch_execnz .LBB299_140
.LBB299_121:
	s_or_b32 exec_lo, exec_lo, s15
	s_and_b32 s16, s5, s8
	s_delay_alu instid0(SALU_CYCLE_1)
	s_and_saveexec_b32 s15, s16
	s_cbranch_execnz .LBB299_144
.LBB299_122:
	s_or_b32 exec_lo, exec_lo, s15
	s_and_b32 s16, s6, s8
	s_delay_alu instid0(SALU_CYCLE_1)
	s_and_saveexec_b32 s15, s16
	s_cbranch_execnz .LBB299_148
.LBB299_123:
	s_or_b32 exec_lo, exec_lo, s15
	s_and_b32 s15, s7, s8
	s_delay_alu instid0(SALU_CYCLE_1)
	s_and_saveexec_b32 s8, s15
	s_cbranch_execnz .LBB299_152
	s_branch .LBB299_156
.LBB299_124:
	v_cmp_ne_u32_e32 vcc_lo, 1, v59
	v_lshlrev_b64 v[20:21], 1, v[24:25]
	s_cbranch_vccnz .LBB299_126
; %bb.125:
	s_delay_alu instid0(VALU_DEP_1) | instskip(NEXT) | instid1(VALU_DEP_2)
	v_add_co_u32 v60, vcc_lo, v40, v20
	v_add_co_ci_u32_e32 v61, vcc_lo, v41, v21, vcc_lo
	flat_load_u16 v58, v[60:61]
	s_waitcnt vmcnt(0) lgkmcnt(0)
	v_mul_f16_e32 v58, s22, v58
	s_branch .LBB299_127
.LBB299_126:
	v_mov_b32_e32 v58, 0
.LBB299_127:
	v_pk_max_f16 v60, v0, v0
	v_pk_max_f16 v61, v16, v16
	;; [unrolled: 1-line block ×4, first 2 shown]
	v_add_co_u32 v20, vcc_lo, v22, v20
	s_delay_alu instid0(VALU_DEP_4) | instskip(SKIP_1) | instid1(VALU_DEP_4)
	v_pk_min_f16 v60, v61, v60
	v_add_co_ci_u32_e32 v21, vcc_lo, v23, v21, vcc_lo
	v_pk_min_f16 v61, v63, v62
	s_delay_alu instid0(VALU_DEP_3) | instskip(NEXT) | instid1(VALU_DEP_1)
	v_pk_add_f16 v57, v57, v60
	v_pk_add_f16 v57, v57, v61
	s_delay_alu instid0(VALU_DEP_1) | instskip(NEXT) | instid1(VALU_DEP_1)
	v_lshrrev_b32_e32 v60, 16, v57
	v_add_f16_e32 v57, v57, v60
	s_delay_alu instid0(VALU_DEP_1) | instskip(SKIP_3) | instid1(SALU_CYCLE_1)
	v_add_f16_e32 v57, v57, v58
	global_store_b16 v[20:21], v57, off
	s_or_b32 exec_lo, exec_lo, s15
	s_and_b32 s16, s1, s8
	s_and_saveexec_b32 s15, s16
	s_cbranch_execz .LBB299_118
.LBB299_128:
	v_cmp_ne_u32_e32 vcc_lo, 1, v59
	v_lshlrev_b64 v[20:21], 1, v[26:27]
	s_cbranch_vccnz .LBB299_130
; %bb.129:
	s_delay_alu instid0(VALU_DEP_1) | instskip(NEXT) | instid1(VALU_DEP_2)
	v_add_co_u32 v57, vcc_lo, v40, v20
	v_add_co_ci_u32_e32 v58, vcc_lo, v41, v21, vcc_lo
	flat_load_u16 v57, v[57:58]
	s_waitcnt vmcnt(0) lgkmcnt(0)
	v_mul_f16_e32 v57, s22, v57
	s_branch .LBB299_131
.LBB299_130:
	v_mov_b32_e32 v57, 0
.LBB299_131:
	v_pk_max_f16 v58, v0, v0
	v_pk_max_f16 v60, v18, v18
	;; [unrolled: 1-line block ×4, first 2 shown]
	v_add_co_u32 v20, vcc_lo, v22, v20
	s_delay_alu instid0(VALU_DEP_4) | instskip(SKIP_1) | instid1(VALU_DEP_4)
	v_pk_min_f16 v58, v60, v58
	v_add_co_ci_u32_e32 v21, vcc_lo, v23, v21, vcc_lo
	v_pk_min_f16 v60, v62, v61
	s_delay_alu instid0(VALU_DEP_3) | instskip(NEXT) | instid1(VALU_DEP_1)
	v_pk_add_f16 v56, v56, v58
	v_pk_add_f16 v56, v56, v60
	s_delay_alu instid0(VALU_DEP_1) | instskip(NEXT) | instid1(VALU_DEP_1)
	v_lshrrev_b32_e32 v58, 16, v56
	v_add_f16_e32 v56, v56, v58
	s_delay_alu instid0(VALU_DEP_1) | instskip(SKIP_3) | instid1(SALU_CYCLE_1)
	v_add_f16_e32 v56, v56, v57
	global_store_b16 v[20:21], v56, off
	s_or_b32 exec_lo, exec_lo, s15
	s_and_b32 s16, s2, s8
	s_and_saveexec_b32 s15, s16
	s_cbranch_execz .LBB299_119
.LBB299_132:
	v_cmp_ne_u32_e32 vcc_lo, 1, v59
	v_lshlrev_b64 v[20:21], 1, v[28:29]
	s_cbranch_vccnz .LBB299_134
; %bb.133:
	s_delay_alu instid0(VALU_DEP_1) | instskip(NEXT) | instid1(VALU_DEP_2)
	v_add_co_u32 v56, vcc_lo, v40, v20
	v_add_co_ci_u32_e32 v57, vcc_lo, v41, v21, vcc_lo
	flat_load_u16 v56, v[56:57]
	s_waitcnt vmcnt(0) lgkmcnt(0)
	v_mul_f16_e32 v56, s22, v56
	s_branch .LBB299_135
.LBB299_134:
	v_mov_b32_e32 v56, 0
.LBB299_135:
	v_pk_max_f16 v57, v0, v0
	v_pk_max_f16 v58, v12, v12
	;; [unrolled: 1-line block ×4, first 2 shown]
	v_add_co_u32 v20, vcc_lo, v22, v20
	s_delay_alu instid0(VALU_DEP_4) | instskip(SKIP_1) | instid1(VALU_DEP_4)
	v_pk_min_f16 v57, v58, v57
	v_add_co_ci_u32_e32 v21, vcc_lo, v23, v21, vcc_lo
	v_pk_min_f16 v58, v61, v60
	s_delay_alu instid0(VALU_DEP_3) | instskip(NEXT) | instid1(VALU_DEP_1)
	v_pk_add_f16 v55, v55, v57
	v_pk_add_f16 v55, v55, v58
	s_delay_alu instid0(VALU_DEP_1) | instskip(NEXT) | instid1(VALU_DEP_1)
	v_lshrrev_b32_e32 v57, 16, v55
	v_add_f16_e32 v55, v55, v57
	s_delay_alu instid0(VALU_DEP_1) | instskip(SKIP_3) | instid1(SALU_CYCLE_1)
	v_add_f16_e32 v55, v55, v56
	global_store_b16 v[20:21], v55, off
	s_or_b32 exec_lo, exec_lo, s15
	s_and_b32 s16, s3, s8
	s_and_saveexec_b32 s15, s16
	s_cbranch_execz .LBB299_120
.LBB299_136:
	v_cmp_ne_u32_e32 vcc_lo, 1, v59
	v_lshlrev_b64 v[20:21], 1, v[30:31]
	s_cbranch_vccnz .LBB299_138
; %bb.137:
	s_delay_alu instid0(VALU_DEP_1) | instskip(NEXT) | instid1(VALU_DEP_2)
	v_add_co_u32 v55, vcc_lo, v40, v20
	v_add_co_ci_u32_e32 v56, vcc_lo, v41, v21, vcc_lo
	flat_load_u16 v55, v[55:56]
	s_waitcnt vmcnt(0) lgkmcnt(0)
	v_mul_f16_e32 v55, s22, v55
	s_branch .LBB299_139
.LBB299_138:
	v_mov_b32_e32 v55, 0
.LBB299_139:
	v_pk_max_f16 v56, v0, v0
	v_pk_max_f16 v57, v14, v14
	v_pk_max_f16 v58, v1, v1
	v_pk_max_f16 v60, v15, v15
	v_add_co_u32 v20, vcc_lo, v22, v20
	s_delay_alu instid0(VALU_DEP_4) | instskip(SKIP_1) | instid1(VALU_DEP_4)
	v_pk_min_f16 v56, v57, v56
	v_add_co_ci_u32_e32 v21, vcc_lo, v23, v21, vcc_lo
	v_pk_min_f16 v57, v60, v58
	s_delay_alu instid0(VALU_DEP_3) | instskip(NEXT) | instid1(VALU_DEP_1)
	v_pk_add_f16 v54, v54, v56
	v_pk_add_f16 v54, v54, v57
	s_delay_alu instid0(VALU_DEP_1) | instskip(NEXT) | instid1(VALU_DEP_1)
	v_lshrrev_b32_e32 v56, 16, v54
	v_add_f16_e32 v54, v54, v56
	s_delay_alu instid0(VALU_DEP_1) | instskip(SKIP_3) | instid1(SALU_CYCLE_1)
	v_add_f16_e32 v54, v54, v55
	global_store_b16 v[20:21], v54, off
	s_or_b32 exec_lo, exec_lo, s15
	s_and_b32 s16, s4, s8
	s_and_saveexec_b32 s15, s16
	s_cbranch_execz .LBB299_121
.LBB299_140:
	v_cmp_ne_u32_e32 vcc_lo, 1, v59
	v_lshlrev_b64 v[20:21], 1, v[32:33]
	s_cbranch_vccnz .LBB299_142
; %bb.141:
	s_delay_alu instid0(VALU_DEP_1) | instskip(NEXT) | instid1(VALU_DEP_2)
	v_add_co_u32 v54, vcc_lo, v40, v20
	v_add_co_ci_u32_e32 v55, vcc_lo, v41, v21, vcc_lo
	flat_load_u16 v54, v[54:55]
	s_waitcnt vmcnt(0) lgkmcnt(0)
	v_mul_f16_e32 v54, s22, v54
	s_branch .LBB299_143
.LBB299_142:
	v_mov_b32_e32 v54, 0
.LBB299_143:
	v_pk_max_f16 v55, v0, v0
	v_pk_max_f16 v56, v8, v8
	;; [unrolled: 1-line block ×4, first 2 shown]
	v_add_co_u32 v20, vcc_lo, v22, v20
	s_delay_alu instid0(VALU_DEP_4) | instskip(SKIP_1) | instid1(VALU_DEP_4)
	v_pk_min_f16 v55, v56, v55
	v_add_co_ci_u32_e32 v21, vcc_lo, v23, v21, vcc_lo
	v_pk_min_f16 v56, v58, v57
	s_delay_alu instid0(VALU_DEP_3) | instskip(NEXT) | instid1(VALU_DEP_1)
	v_pk_add_f16 v53, v53, v55
	v_pk_add_f16 v53, v53, v56
	s_delay_alu instid0(VALU_DEP_1) | instskip(NEXT) | instid1(VALU_DEP_1)
	v_lshrrev_b32_e32 v55, 16, v53
	v_add_f16_e32 v53, v53, v55
	s_delay_alu instid0(VALU_DEP_1) | instskip(SKIP_3) | instid1(SALU_CYCLE_1)
	v_add_f16_e32 v53, v53, v54
	global_store_b16 v[20:21], v53, off
	s_or_b32 exec_lo, exec_lo, s15
	s_and_b32 s16, s5, s8
	s_and_saveexec_b32 s15, s16
	s_cbranch_execz .LBB299_122
.LBB299_144:
	v_cmp_ne_u32_e32 vcc_lo, 1, v59
	v_lshlrev_b64 v[20:21], 1, v[34:35]
	s_cbranch_vccnz .LBB299_146
; %bb.145:
	s_delay_alu instid0(VALU_DEP_1) | instskip(NEXT) | instid1(VALU_DEP_2)
	v_add_co_u32 v53, vcc_lo, v40, v20
	v_add_co_ci_u32_e32 v54, vcc_lo, v41, v21, vcc_lo
	flat_load_u16 v53, v[53:54]
	s_waitcnt vmcnt(0) lgkmcnt(0)
	v_mul_f16_e32 v53, s22, v53
	s_branch .LBB299_147
.LBB299_146:
	v_mov_b32_e32 v53, 0
.LBB299_147:
	v_pk_max_f16 v54, v0, v0
	v_pk_max_f16 v55, v10, v10
	;; [unrolled: 1-line block ×4, first 2 shown]
	v_add_co_u32 v20, vcc_lo, v22, v20
	s_delay_alu instid0(VALU_DEP_4) | instskip(SKIP_1) | instid1(VALU_DEP_4)
	v_pk_min_f16 v54, v55, v54
	v_add_co_ci_u32_e32 v21, vcc_lo, v23, v21, vcc_lo
	v_pk_min_f16 v55, v57, v56
	s_delay_alu instid0(VALU_DEP_3) | instskip(NEXT) | instid1(VALU_DEP_1)
	v_pk_add_f16 v52, v52, v54
	v_pk_add_f16 v52, v52, v55
	s_delay_alu instid0(VALU_DEP_1) | instskip(NEXT) | instid1(VALU_DEP_1)
	v_lshrrev_b32_e32 v54, 16, v52
	v_add_f16_e32 v52, v52, v54
	s_delay_alu instid0(VALU_DEP_1) | instskip(SKIP_3) | instid1(SALU_CYCLE_1)
	v_add_f16_e32 v52, v52, v53
	global_store_b16 v[20:21], v52, off
	s_or_b32 exec_lo, exec_lo, s15
	s_and_b32 s16, s6, s8
	s_and_saveexec_b32 s15, s16
	s_cbranch_execz .LBB299_123
.LBB299_148:
	v_cmp_ne_u32_e32 vcc_lo, 1, v59
	v_lshlrev_b64 v[20:21], 1, v[36:37]
	s_cbranch_vccnz .LBB299_150
; %bb.149:
	s_delay_alu instid0(VALU_DEP_1) | instskip(NEXT) | instid1(VALU_DEP_2)
	v_add_co_u32 v52, vcc_lo, v40, v20
	v_add_co_ci_u32_e32 v53, vcc_lo, v41, v21, vcc_lo
	flat_load_u16 v52, v[52:53]
	s_waitcnt vmcnt(0) lgkmcnt(0)
	v_mul_f16_e32 v52, s22, v52
	s_branch .LBB299_151
.LBB299_150:
	v_mov_b32_e32 v52, 0
.LBB299_151:
	v_pk_max_f16 v53, v0, v0
	v_pk_max_f16 v54, v4, v4
	;; [unrolled: 1-line block ×4, first 2 shown]
	v_add_co_u32 v20, vcc_lo, v22, v20
	s_delay_alu instid0(VALU_DEP_4) | instskip(SKIP_1) | instid1(VALU_DEP_4)
	v_pk_min_f16 v53, v54, v53
	v_add_co_ci_u32_e32 v21, vcc_lo, v23, v21, vcc_lo
	v_pk_min_f16 v54, v56, v55
	s_delay_alu instid0(VALU_DEP_3) | instskip(NEXT) | instid1(VALU_DEP_1)
	v_pk_add_f16 v51, v51, v53
	v_pk_add_f16 v51, v51, v54
	s_delay_alu instid0(VALU_DEP_1) | instskip(NEXT) | instid1(VALU_DEP_1)
	v_lshrrev_b32_e32 v53, 16, v51
	v_add_f16_e32 v51, v51, v53
	s_delay_alu instid0(VALU_DEP_1) | instskip(SKIP_3) | instid1(SALU_CYCLE_1)
	v_add_f16_e32 v51, v51, v52
	global_store_b16 v[20:21], v51, off
	s_or_b32 exec_lo, exec_lo, s15
	s_and_b32 s15, s7, s8
	s_and_saveexec_b32 s8, s15
	s_cbranch_execz .LBB299_156
.LBB299_152:
	v_cmp_ne_u32_e32 vcc_lo, 1, v59
	v_lshlrev_b64 v[20:21], 1, v[38:39]
	s_cbranch_vccnz .LBB299_154
; %bb.153:
	s_delay_alu instid0(VALU_DEP_1) | instskip(NEXT) | instid1(VALU_DEP_2)
	v_add_co_u32 v40, vcc_lo, v40, v20
	v_add_co_ci_u32_e32 v41, vcc_lo, v41, v21, vcc_lo
	flat_load_u16 v40, v[40:41]
	s_waitcnt vmcnt(0) lgkmcnt(0)
	v_mul_f16_e32 v40, s22, v40
	s_branch .LBB299_155
.LBB299_154:
	v_mov_b32_e32 v40, 0
.LBB299_155:
	v_pk_max_f16 v0, v0, v0
	v_pk_max_f16 v41, v6, v6
	;; [unrolled: 1-line block ×4, first 2 shown]
	s_delay_alu instid0(VALU_DEP_3) | instskip(NEXT) | instid1(VALU_DEP_2)
	v_pk_min_f16 v0, v41, v0
	v_pk_min_f16 v1, v51, v1
	s_delay_alu instid0(VALU_DEP_2) | instskip(NEXT) | instid1(VALU_DEP_1)
	v_pk_add_f16 v0, v50, v0
	v_pk_add_f16 v0, v0, v1
	s_delay_alu instid0(VALU_DEP_1) | instskip(NEXT) | instid1(VALU_DEP_1)
	v_lshrrev_b32_e32 v1, 16, v0
	v_add_f16_e32 v0, v0, v1
	s_delay_alu instid0(VALU_DEP_1)
	v_add_f16_e32 v40, v0, v40
	v_add_co_u32 v0, vcc_lo, v22, v20
	v_add_co_ci_u32_e32 v1, vcc_lo, v23, v21, vcc_lo
	global_store_b16 v[0:1], v40, off
.LBB299_156:
	s_or_b32 exec_lo, exec_lo, s8
	v_add_nc_u32_e32 v22, 0x60, v66
	s_delay_alu instid0(VALU_DEP_1) | instskip(SKIP_2) | instid1(VALU_DEP_3)
	v_mad_i64_i32 v[0:1], null, v22, s12, 0
	v_mad_i64_i32 v[20:21], null, v22, s9, 0
	v_cmp_gt_i32_e64 s8, s17, v22
	v_lshlrev_b64 v[0:1], 1, v[0:1]
	s_delay_alu instid0(VALU_DEP_2) | instskip(NEXT) | instid1(VALU_DEP_3)
	s_and_b32 s9, s0, s8
	v_lshlrev_b64 v[20:21], 1, v[20:21]
	s_delay_alu instid0(VALU_DEP_2) | instskip(NEXT) | instid1(VALU_DEP_3)
	v_add_co_u32 v22, vcc_lo, s10, v0
	v_add_co_ci_u32_e32 v23, vcc_lo, s11, v1, vcc_lo
	s_delay_alu instid0(VALU_DEP_3) | instskip(NEXT) | instid1(VALU_DEP_4)
	v_add_co_u32 v20, vcc_lo, s13, v20
	v_add_co_ci_u32_e32 v21, vcc_lo, s14, v21, vcc_lo
	s_and_saveexec_b32 s0, s9
	s_cbranch_execnz .LBB299_165
; %bb.157:
	s_or_b32 exec_lo, exec_lo, s0
	s_and_b32 s1, s1, s8
	s_delay_alu instid0(SALU_CYCLE_1)
	s_and_saveexec_b32 s0, s1
	s_cbranch_execnz .LBB299_169
.LBB299_158:
	s_or_b32 exec_lo, exec_lo, s0
	s_and_b32 s1, s2, s8
	s_delay_alu instid0(SALU_CYCLE_1)
	s_and_saveexec_b32 s0, s1
	s_cbranch_execnz .LBB299_173
.LBB299_159:
	s_or_b32 exec_lo, exec_lo, s0
	s_and_b32 s1, s3, s8
	s_delay_alu instid0(SALU_CYCLE_1)
	s_and_saveexec_b32 s0, s1
	s_cbranch_execnz .LBB299_177
.LBB299_160:
	s_or_b32 exec_lo, exec_lo, s0
	s_and_b32 s1, s4, s8
	s_delay_alu instid0(SALU_CYCLE_1)
	s_and_saveexec_b32 s0, s1
	s_cbranch_execnz .LBB299_181
.LBB299_161:
	s_or_b32 exec_lo, exec_lo, s0
	s_and_b32 s1, s5, s8
	s_delay_alu instid0(SALU_CYCLE_1)
	s_and_saveexec_b32 s0, s1
	s_cbranch_execnz .LBB299_185
.LBB299_162:
	s_or_b32 exec_lo, exec_lo, s0
	s_and_b32 s1, s6, s8
	s_delay_alu instid0(SALU_CYCLE_1)
	s_and_saveexec_b32 s0, s1
	s_cbranch_execnz .LBB299_189
.LBB299_163:
	s_or_b32 exec_lo, exec_lo, s0
	s_and_b32 s0, s7, s8
	s_delay_alu instid0(SALU_CYCLE_1)
	s_and_saveexec_b32 s1, s0
	s_cbranch_execnz .LBB299_193
.LBB299_164:
	s_nop 0
	s_sendmsg sendmsg(MSG_DEALLOC_VGPRS)
	s_endpgm
.LBB299_165:
	v_cmp_ne_u32_e32 vcc_lo, 1, v59
	v_lshlrev_b64 v[0:1], 1, v[24:25]
	s_cbranch_vccnz .LBB299_167
; %bb.166:
	s_delay_alu instid0(VALU_DEP_1) | instskip(NEXT) | instid1(VALU_DEP_2)
	v_add_co_u32 v24, vcc_lo, v22, v0
	v_add_co_ci_u32_e32 v25, vcc_lo, v23, v1, vcc_lo
	flat_load_u16 v24, v[24:25]
	s_waitcnt vmcnt(0) lgkmcnt(0)
	v_mul_f16_e32 v24, s22, v24
	s_branch .LBB299_168
.LBB299_167:
	v_mov_b32_e32 v24, 0
.LBB299_168:
	v_pk_max_f16 v25, v2, v2
	v_pk_max_f16 v16, v16, v16
	;; [unrolled: 1-line block ×4, first 2 shown]
	v_add_co_u32 v0, vcc_lo, v20, v0
	s_delay_alu instid0(VALU_DEP_4) | instskip(SKIP_1) | instid1(VALU_DEP_4)
	v_pk_min_f16 v16, v16, v25
	v_add_co_ci_u32_e32 v1, vcc_lo, v21, v1, vcc_lo
	v_pk_min_f16 v17, v17, v40
	s_delay_alu instid0(VALU_DEP_3) | instskip(NEXT) | instid1(VALU_DEP_1)
	v_pk_add_f16 v16, v49, v16
	v_pk_add_f16 v16, v16, v17
	s_delay_alu instid0(VALU_DEP_1) | instskip(NEXT) | instid1(VALU_DEP_1)
	v_lshrrev_b32_e32 v17, 16, v16
	v_add_f16_e32 v16, v16, v17
	s_delay_alu instid0(VALU_DEP_1) | instskip(SKIP_3) | instid1(SALU_CYCLE_1)
	v_add_f16_e32 v16, v16, v24
	global_store_b16 v[0:1], v16, off
	s_or_b32 exec_lo, exec_lo, s0
	s_and_b32 s1, s1, s8
	s_and_saveexec_b32 s0, s1
	s_cbranch_execz .LBB299_158
.LBB299_169:
	v_cmp_ne_u32_e32 vcc_lo, 1, v59
	v_lshlrev_b64 v[0:1], 1, v[26:27]
	s_cbranch_vccnz .LBB299_171
; %bb.170:
	s_delay_alu instid0(VALU_DEP_1) | instskip(NEXT) | instid1(VALU_DEP_2)
	v_add_co_u32 v16, vcc_lo, v22, v0
	v_add_co_ci_u32_e32 v17, vcc_lo, v23, v1, vcc_lo
	flat_load_u16 v16, v[16:17]
	s_waitcnt vmcnt(0) lgkmcnt(0)
	v_mul_f16_e32 v16, s22, v16
	s_branch .LBB299_172
.LBB299_171:
	v_mov_b32_e32 v16, 0
.LBB299_172:
	v_pk_max_f16 v17, v2, v2
	v_pk_max_f16 v18, v18, v18
	;; [unrolled: 1-line block ×4, first 2 shown]
	v_add_co_u32 v0, vcc_lo, v20, v0
	s_delay_alu instid0(VALU_DEP_4) | instskip(SKIP_1) | instid1(VALU_DEP_4)
	v_pk_min_f16 v17, v18, v17
	v_add_co_ci_u32_e32 v1, vcc_lo, v21, v1, vcc_lo
	v_pk_min_f16 v18, v19, v24
	s_delay_alu instid0(VALU_DEP_3) | instskip(NEXT) | instid1(VALU_DEP_1)
	v_pk_add_f16 v17, v48, v17
	v_pk_add_f16 v17, v17, v18
	s_delay_alu instid0(VALU_DEP_1) | instskip(NEXT) | instid1(VALU_DEP_1)
	v_lshrrev_b32_e32 v18, 16, v17
	v_add_f16_e32 v17, v17, v18
	s_delay_alu instid0(VALU_DEP_1) | instskip(SKIP_3) | instid1(SALU_CYCLE_1)
	v_add_f16_e32 v16, v17, v16
	global_store_b16 v[0:1], v16, off
	s_or_b32 exec_lo, exec_lo, s0
	s_and_b32 s1, s2, s8
	s_and_saveexec_b32 s0, s1
	s_cbranch_execz .LBB299_159
.LBB299_173:
	v_cmp_ne_u32_e32 vcc_lo, 1, v59
	v_lshlrev_b64 v[0:1], 1, v[28:29]
	s_cbranch_vccnz .LBB299_175
; %bb.174:
	s_delay_alu instid0(VALU_DEP_1) | instskip(NEXT) | instid1(VALU_DEP_2)
	v_add_co_u32 v16, vcc_lo, v22, v0
	v_add_co_ci_u32_e32 v17, vcc_lo, v23, v1, vcc_lo
	flat_load_u16 v16, v[16:17]
	s_waitcnt vmcnt(0) lgkmcnt(0)
	v_mul_f16_e32 v16, s22, v16
	s_branch .LBB299_176
.LBB299_175:
	v_mov_b32_e32 v16, 0
.LBB299_176:
	v_pk_max_f16 v17, v2, v2
	v_pk_max_f16 v12, v12, v12
	;; [unrolled: 1-line block ×4, first 2 shown]
	v_add_co_u32 v0, vcc_lo, v20, v0
	s_delay_alu instid0(VALU_DEP_4) | instskip(SKIP_1) | instid1(VALU_DEP_4)
	v_pk_min_f16 v12, v12, v17
	v_add_co_ci_u32_e32 v1, vcc_lo, v21, v1, vcc_lo
	v_pk_min_f16 v13, v13, v18
	s_delay_alu instid0(VALU_DEP_3) | instskip(NEXT) | instid1(VALU_DEP_1)
	v_pk_add_f16 v12, v47, v12
	v_pk_add_f16 v12, v12, v13
	s_delay_alu instid0(VALU_DEP_1) | instskip(NEXT) | instid1(VALU_DEP_1)
	v_lshrrev_b32_e32 v13, 16, v12
	v_add_f16_e32 v12, v12, v13
	s_delay_alu instid0(VALU_DEP_1) | instskip(SKIP_3) | instid1(SALU_CYCLE_1)
	v_add_f16_e32 v12, v12, v16
	global_store_b16 v[0:1], v12, off
	s_or_b32 exec_lo, exec_lo, s0
	s_and_b32 s1, s3, s8
	s_and_saveexec_b32 s0, s1
	s_cbranch_execz .LBB299_160
.LBB299_177:
	v_cmp_ne_u32_e32 vcc_lo, 1, v59
	v_lshlrev_b64 v[0:1], 1, v[30:31]
	s_cbranch_vccnz .LBB299_179
; %bb.178:
	s_delay_alu instid0(VALU_DEP_1) | instskip(NEXT) | instid1(VALU_DEP_2)
	v_add_co_u32 v12, vcc_lo, v22, v0
	v_add_co_ci_u32_e32 v13, vcc_lo, v23, v1, vcc_lo
	flat_load_u16 v12, v[12:13]
	s_waitcnt vmcnt(0) lgkmcnt(0)
	v_mul_f16_e32 v12, s22, v12
	s_branch .LBB299_180
.LBB299_179:
	v_mov_b32_e32 v12, 0
.LBB299_180:
	v_pk_max_f16 v13, v2, v2
	v_pk_max_f16 v14, v14, v14
	;; [unrolled: 1-line block ×4, first 2 shown]
	v_add_co_u32 v0, vcc_lo, v20, v0
	s_delay_alu instid0(VALU_DEP_4) | instskip(SKIP_1) | instid1(VALU_DEP_4)
	v_pk_min_f16 v13, v14, v13
	v_add_co_ci_u32_e32 v1, vcc_lo, v21, v1, vcc_lo
	v_pk_min_f16 v14, v15, v16
	s_delay_alu instid0(VALU_DEP_3) | instskip(NEXT) | instid1(VALU_DEP_1)
	v_pk_add_f16 v13, v46, v13
	v_pk_add_f16 v13, v13, v14
	s_delay_alu instid0(VALU_DEP_1) | instskip(NEXT) | instid1(VALU_DEP_1)
	v_lshrrev_b32_e32 v14, 16, v13
	v_add_f16_e32 v13, v13, v14
	s_delay_alu instid0(VALU_DEP_1) | instskip(SKIP_3) | instid1(SALU_CYCLE_1)
	v_add_f16_e32 v12, v13, v12
	global_store_b16 v[0:1], v12, off
	s_or_b32 exec_lo, exec_lo, s0
	s_and_b32 s1, s4, s8
	s_and_saveexec_b32 s0, s1
	s_cbranch_execz .LBB299_161
.LBB299_181:
	v_cmp_ne_u32_e32 vcc_lo, 1, v59
	v_lshlrev_b64 v[0:1], 1, v[32:33]
	s_cbranch_vccnz .LBB299_183
; %bb.182:
	s_delay_alu instid0(VALU_DEP_1) | instskip(NEXT) | instid1(VALU_DEP_2)
	v_add_co_u32 v12, vcc_lo, v22, v0
	v_add_co_ci_u32_e32 v13, vcc_lo, v23, v1, vcc_lo
	flat_load_u16 v12, v[12:13]
	s_waitcnt vmcnt(0) lgkmcnt(0)
	v_mul_f16_e32 v12, s22, v12
	s_branch .LBB299_184
.LBB299_183:
	v_mov_b32_e32 v12, 0
.LBB299_184:
	v_pk_max_f16 v13, v2, v2
	v_pk_max_f16 v8, v8, v8
	;; [unrolled: 1-line block ×4, first 2 shown]
	v_add_co_u32 v0, vcc_lo, v20, v0
	s_delay_alu instid0(VALU_DEP_4) | instskip(SKIP_1) | instid1(VALU_DEP_4)
	v_pk_min_f16 v8, v8, v13
	v_add_co_ci_u32_e32 v1, vcc_lo, v21, v1, vcc_lo
	v_pk_min_f16 v9, v9, v14
	s_delay_alu instid0(VALU_DEP_3) | instskip(NEXT) | instid1(VALU_DEP_1)
	v_pk_add_f16 v8, v45, v8
	v_pk_add_f16 v8, v8, v9
	s_delay_alu instid0(VALU_DEP_1) | instskip(NEXT) | instid1(VALU_DEP_1)
	v_lshrrev_b32_e32 v9, 16, v8
	v_add_f16_e32 v8, v8, v9
	s_delay_alu instid0(VALU_DEP_1) | instskip(SKIP_3) | instid1(SALU_CYCLE_1)
	v_add_f16_e32 v8, v8, v12
	global_store_b16 v[0:1], v8, off
	s_or_b32 exec_lo, exec_lo, s0
	s_and_b32 s1, s5, s8
	s_and_saveexec_b32 s0, s1
	s_cbranch_execz .LBB299_162
.LBB299_185:
	v_cmp_ne_u32_e32 vcc_lo, 1, v59
	v_lshlrev_b64 v[0:1], 1, v[34:35]
	s_cbranch_vccnz .LBB299_187
; %bb.186:
	s_delay_alu instid0(VALU_DEP_1) | instskip(NEXT) | instid1(VALU_DEP_2)
	v_add_co_u32 v8, vcc_lo, v22, v0
	v_add_co_ci_u32_e32 v9, vcc_lo, v23, v1, vcc_lo
	flat_load_u16 v8, v[8:9]
	s_waitcnt vmcnt(0) lgkmcnt(0)
	v_mul_f16_e32 v8, s22, v8
	s_branch .LBB299_188
.LBB299_187:
	v_mov_b32_e32 v8, 0
.LBB299_188:
	v_pk_max_f16 v9, v2, v2
	v_pk_max_f16 v10, v10, v10
	;; [unrolled: 1-line block ×4, first 2 shown]
	v_add_co_u32 v0, vcc_lo, v20, v0
	s_delay_alu instid0(VALU_DEP_4) | instskip(SKIP_1) | instid1(VALU_DEP_4)
	v_pk_min_f16 v9, v10, v9
	v_add_co_ci_u32_e32 v1, vcc_lo, v21, v1, vcc_lo
	v_pk_min_f16 v10, v11, v12
	s_delay_alu instid0(VALU_DEP_3) | instskip(NEXT) | instid1(VALU_DEP_1)
	v_pk_add_f16 v9, v44, v9
	v_pk_add_f16 v9, v9, v10
	s_delay_alu instid0(VALU_DEP_1) | instskip(NEXT) | instid1(VALU_DEP_1)
	v_lshrrev_b32_e32 v10, 16, v9
	v_add_f16_e32 v9, v9, v10
	s_delay_alu instid0(VALU_DEP_1) | instskip(SKIP_3) | instid1(SALU_CYCLE_1)
	v_add_f16_e32 v8, v9, v8
	global_store_b16 v[0:1], v8, off
	s_or_b32 exec_lo, exec_lo, s0
	s_and_b32 s1, s6, s8
	s_and_saveexec_b32 s0, s1
	s_cbranch_execz .LBB299_163
.LBB299_189:
	v_cmp_ne_u32_e32 vcc_lo, 1, v59
	v_lshlrev_b64 v[0:1], 1, v[36:37]
	s_cbranch_vccnz .LBB299_191
; %bb.190:
	s_delay_alu instid0(VALU_DEP_1) | instskip(NEXT) | instid1(VALU_DEP_2)
	v_add_co_u32 v8, vcc_lo, v22, v0
	v_add_co_ci_u32_e32 v9, vcc_lo, v23, v1, vcc_lo
	flat_load_u16 v8, v[8:9]
	s_waitcnt vmcnt(0) lgkmcnt(0)
	v_mul_f16_e32 v8, s22, v8
	s_branch .LBB299_192
.LBB299_191:
	v_mov_b32_e32 v8, 0
.LBB299_192:
	v_pk_max_f16 v9, v2, v2
	v_pk_max_f16 v4, v4, v4
	v_pk_max_f16 v10, v3, v3
	v_pk_max_f16 v5, v5, v5
	v_add_co_u32 v0, vcc_lo, v20, v0
	s_delay_alu instid0(VALU_DEP_4) | instskip(SKIP_1) | instid1(VALU_DEP_4)
	v_pk_min_f16 v4, v4, v9
	v_add_co_ci_u32_e32 v1, vcc_lo, v21, v1, vcc_lo
	v_pk_min_f16 v5, v5, v10
	s_delay_alu instid0(VALU_DEP_3) | instskip(NEXT) | instid1(VALU_DEP_1)
	v_pk_add_f16 v4, v43, v4
	v_pk_add_f16 v4, v4, v5
	s_delay_alu instid0(VALU_DEP_1) | instskip(NEXT) | instid1(VALU_DEP_1)
	v_lshrrev_b32_e32 v5, 16, v4
	v_add_f16_e32 v4, v4, v5
	s_delay_alu instid0(VALU_DEP_1) | instskip(SKIP_3) | instid1(SALU_CYCLE_1)
	v_add_f16_e32 v4, v4, v8
	global_store_b16 v[0:1], v4, off
	s_or_b32 exec_lo, exec_lo, s0
	s_and_b32 s0, s7, s8
	s_and_saveexec_b32 s1, s0
	s_cbranch_execz .LBB299_164
.LBB299_193:
	v_cmp_ne_u32_e32 vcc_lo, 1, v59
	v_lshlrev_b64 v[0:1], 1, v[38:39]
	s_cbranch_vccnz .LBB299_195
; %bb.194:
	s_delay_alu instid0(VALU_DEP_1) | instskip(NEXT) | instid1(VALU_DEP_2)
	v_add_co_u32 v4, vcc_lo, v22, v0
	v_add_co_ci_u32_e32 v5, vcc_lo, v23, v1, vcc_lo
	flat_load_u16 v4, v[4:5]
	s_waitcnt vmcnt(0) lgkmcnt(0)
	v_mul_f16_e32 v4, s22, v4
	s_branch .LBB299_196
.LBB299_195:
	v_mov_b32_e32 v4, 0
.LBB299_196:
	v_pk_max_f16 v2, v2, v2
	v_pk_max_f16 v5, v6, v6
	;; [unrolled: 1-line block ×4, first 2 shown]
	v_add_co_u32 v0, vcc_lo, v20, v0
	s_delay_alu instid0(VALU_DEP_4) | instskip(SKIP_1) | instid1(VALU_DEP_4)
	v_pk_min_f16 v2, v5, v2
	v_add_co_ci_u32_e32 v1, vcc_lo, v21, v1, vcc_lo
	v_pk_min_f16 v3, v6, v3
	s_delay_alu instid0(VALU_DEP_3) | instskip(NEXT) | instid1(VALU_DEP_1)
	v_pk_add_f16 v2, v42, v2
	v_pk_add_f16 v2, v2, v3
	s_delay_alu instid0(VALU_DEP_1) | instskip(NEXT) | instid1(VALU_DEP_1)
	v_lshrrev_b32_e32 v3, 16, v2
	v_add_f16_e32 v2, v2, v3
	s_delay_alu instid0(VALU_DEP_1)
	v_add_f16_e32 v2, v2, v4
	global_store_b16 v[0:1], v2, off
	s_nop 0
	s_sendmsg sendmsg(MSG_DEALLOC_VGPRS)
	s_endpgm
	.section	.rodata,"a",@progbits
	.p2align	6, 0x0
	.amdhsa_kernel _ZN12_GLOBAL__N_120geam_min_plus_kernelIDF16_Dv2_DF16_S1_Li8ELi32ELi64ELi128ELi4ELi64ELi4ELi64ELi4ELc78ELc84ELb0ELb1ELb0EDF16_KDF16_DF16_EEviiiT16_PT17_ilS5_ilS3_S5_ilPT18_ili26rocblas_geam_ex_operation_
		.amdhsa_group_segment_fixed_size 3072
		.amdhsa_private_segment_fixed_size 0
		.amdhsa_kernarg_size 128
		.amdhsa_user_sgpr_count 14
		.amdhsa_user_sgpr_dispatch_ptr 0
		.amdhsa_user_sgpr_queue_ptr 0
		.amdhsa_user_sgpr_kernarg_segment_ptr 1
		.amdhsa_user_sgpr_dispatch_id 0
		.amdhsa_user_sgpr_private_segment_size 0
		.amdhsa_wavefront_size32 1
		.amdhsa_uses_dynamic_stack 0
		.amdhsa_enable_private_segment 0
		.amdhsa_system_sgpr_workgroup_id_x 1
		.amdhsa_system_sgpr_workgroup_id_y 0
		.amdhsa_system_sgpr_workgroup_id_z 1
		.amdhsa_system_sgpr_workgroup_info 0
		.amdhsa_system_vgpr_workitem_id 1
		.amdhsa_next_free_vgpr 125
		.amdhsa_next_free_sgpr 32
		.amdhsa_reserve_vcc 1
		.amdhsa_float_round_mode_32 0
		.amdhsa_float_round_mode_16_64 0
		.amdhsa_float_denorm_mode_32 3
		.amdhsa_float_denorm_mode_16_64 3
		.amdhsa_dx10_clamp 1
		.amdhsa_ieee_mode 1
		.amdhsa_fp16_overflow 0
		.amdhsa_workgroup_processor_mode 1
		.amdhsa_memory_ordered 1
		.amdhsa_forward_progress 0
		.amdhsa_shared_vgpr_count 0
		.amdhsa_exception_fp_ieee_invalid_op 0
		.amdhsa_exception_fp_denorm_src 0
		.amdhsa_exception_fp_ieee_div_zero 0
		.amdhsa_exception_fp_ieee_overflow 0
		.amdhsa_exception_fp_ieee_underflow 0
		.amdhsa_exception_fp_ieee_inexact 0
		.amdhsa_exception_int_div_zero 0
	.end_amdhsa_kernel
	.section	.text._ZN12_GLOBAL__N_120geam_min_plus_kernelIDF16_Dv2_DF16_S1_Li8ELi32ELi64ELi128ELi4ELi64ELi4ELi64ELi4ELc78ELc84ELb0ELb1ELb0EDF16_KDF16_DF16_EEviiiT16_PT17_ilS5_ilS3_S5_ilPT18_ili26rocblas_geam_ex_operation_,"axG",@progbits,_ZN12_GLOBAL__N_120geam_min_plus_kernelIDF16_Dv2_DF16_S1_Li8ELi32ELi64ELi128ELi4ELi64ELi4ELi64ELi4ELc78ELc84ELb0ELb1ELb0EDF16_KDF16_DF16_EEviiiT16_PT17_ilS5_ilS3_S5_ilPT18_ili26rocblas_geam_ex_operation_,comdat
.Lfunc_end299:
	.size	_ZN12_GLOBAL__N_120geam_min_plus_kernelIDF16_Dv2_DF16_S1_Li8ELi32ELi64ELi128ELi4ELi64ELi4ELi64ELi4ELc78ELc84ELb0ELb1ELb0EDF16_KDF16_DF16_EEviiiT16_PT17_ilS5_ilS3_S5_ilPT18_ili26rocblas_geam_ex_operation_, .Lfunc_end299-_ZN12_GLOBAL__N_120geam_min_plus_kernelIDF16_Dv2_DF16_S1_Li8ELi32ELi64ELi128ELi4ELi64ELi4ELi64ELi4ELc78ELc84ELb0ELb1ELb0EDF16_KDF16_DF16_EEviiiT16_PT17_ilS5_ilS3_S5_ilPT18_ili26rocblas_geam_ex_operation_
                                        ; -- End function
	.section	.AMDGPU.csdata,"",@progbits
; Kernel info:
; codeLenInByte = 13004
; NumSgprs: 34
; NumVgprs: 125
; ScratchSize: 0
; MemoryBound: 0
; FloatMode: 240
; IeeeMode: 1
; LDSByteSize: 3072 bytes/workgroup (compile time only)
; SGPRBlocks: 4
; VGPRBlocks: 15
; NumSGPRsForWavesPerEU: 34
; NumVGPRsForWavesPerEU: 125
; Occupancy: 10
; WaveLimiterHint : 0
; COMPUTE_PGM_RSRC2:SCRATCH_EN: 0
; COMPUTE_PGM_RSRC2:USER_SGPR: 14
; COMPUTE_PGM_RSRC2:TRAP_HANDLER: 0
; COMPUTE_PGM_RSRC2:TGID_X_EN: 1
; COMPUTE_PGM_RSRC2:TGID_Y_EN: 0
; COMPUTE_PGM_RSRC2:TGID_Z_EN: 1
; COMPUTE_PGM_RSRC2:TIDIG_COMP_CNT: 1
	.section	.text._ZN12_GLOBAL__N_120geam_min_plus_kernelIDF16_Dv2_DF16_S1_Li8ELi32ELi64ELi128ELi4ELi4ELi64ELi64ELi4ELc84ELc84ELb0ELb0ELb0EPKDF16_S2_DF16_EEviiiT16_PT17_ilS6_ilS4_S6_ilPT18_ili26rocblas_geam_ex_operation_,"axG",@progbits,_ZN12_GLOBAL__N_120geam_min_plus_kernelIDF16_Dv2_DF16_S1_Li8ELi32ELi64ELi128ELi4ELi4ELi64ELi64ELi4ELc84ELc84ELb0ELb0ELb0EPKDF16_S2_DF16_EEviiiT16_PT17_ilS6_ilS4_S6_ilPT18_ili26rocblas_geam_ex_operation_,comdat
	.globl	_ZN12_GLOBAL__N_120geam_min_plus_kernelIDF16_Dv2_DF16_S1_Li8ELi32ELi64ELi128ELi4ELi4ELi64ELi64ELi4ELc84ELc84ELb0ELb0ELb0EPKDF16_S2_DF16_EEviiiT16_PT17_ilS6_ilS4_S6_ilPT18_ili26rocblas_geam_ex_operation_ ; -- Begin function _ZN12_GLOBAL__N_120geam_min_plus_kernelIDF16_Dv2_DF16_S1_Li8ELi32ELi64ELi128ELi4ELi4ELi64ELi64ELi4ELc84ELc84ELb0ELb0ELb0EPKDF16_S2_DF16_EEviiiT16_PT17_ilS6_ilS4_S6_ilPT18_ili26rocblas_geam_ex_operation_
	.p2align	8
	.type	_ZN12_GLOBAL__N_120geam_min_plus_kernelIDF16_Dv2_DF16_S1_Li8ELi32ELi64ELi128ELi4ELi4ELi64ELi64ELi4ELc84ELc84ELb0ELb0ELb0EPKDF16_S2_DF16_EEviiiT16_PT17_ilS6_ilS4_S6_ilPT18_ili26rocblas_geam_ex_operation_,@function
_ZN12_GLOBAL__N_120geam_min_plus_kernelIDF16_Dv2_DF16_S1_Li8ELi32ELi64ELi128ELi4ELi4ELi64ELi64ELi4ELc84ELc84ELb0ELb0ELb0EPKDF16_S2_DF16_EEviiiT16_PT17_ilS6_ilS4_S6_ilPT18_ili26rocblas_geam_ex_operation_: ; @_ZN12_GLOBAL__N_120geam_min_plus_kernelIDF16_Dv2_DF16_S1_Li8ELi32ELi64ELi128ELi4ELi4ELi64ELi64ELi4ELc84ELc84ELb0ELb0ELb0EPKDF16_S2_DF16_EEviiiT16_PT17_ilS6_ilS4_S6_ilPT18_ili26rocblas_geam_ex_operation_
; %bb.0:
	s_clause 0x1
	s_load_b128 s[8:11], s[0:1], 0x10
	s_load_b128 s[4:7], s[0:1], 0x28
	s_mov_b32 s12, s15
	s_mov_b32 s13, 0
	v_mov_b32_e32 v1, 0
	s_lshl_b64 s[2:3], s[12:13], 1
	s_mov_b64 s[20:21], 0
	s_waitcnt lgkmcnt(0)
	s_add_u32 s8, s8, s2
	s_addc_u32 s9, s9, s3
	global_load_u16 v49, v1, s[8:9]
	s_clause 0x1
	s_load_b128 s[16:19], s[0:1], 0x40
	s_load_b64 s[8:9], s[0:1], 0x50
	s_waitcnt lgkmcnt(0)
	s_add_u32 s22, s18, s2
	s_addc_u32 s23, s19, s3
	s_mov_b64 s[18:19], 0
	s_waitcnt vmcnt(0)
	v_cmp_eq_f16_e32 vcc_lo, 0, v49
	v_cmp_neq_f16_e64 s2, 0, v49
	s_cbranch_vccnz .LBB300_2
; %bb.1:
	s_mul_i32 s3, s12, s5
	s_mul_hi_u32 s5, s12, s4
	s_mul_i32 s4, s12, s4
	s_add_i32 s5, s5, s3
	s_delay_alu instid0(SALU_CYCLE_1) | instskip(NEXT) | instid1(SALU_CYCLE_1)
	s_lshl_b64 s[4:5], s[4:5], 1
	s_add_u32 s20, s10, s4
	s_addc_u32 s21, s11, s5
.LBB300_2:
	global_load_u16 v30, v1, s[22:23]
	v_cndmask_b32_e64 v1, 0, 1, s2
	s_and_not1_b32 vcc_lo, exec_lo, s2
	s_delay_alu instid0(VALU_DEP_1)
	v_cmp_ne_u32_e64 s3, 1, v1
	s_cbranch_vccnz .LBB300_4
; %bb.3:
	s_mul_i32 s2, s12, s17
	s_mul_hi_u32 s4, s12, s16
	s_delay_alu instid0(SALU_CYCLE_1) | instskip(SKIP_1) | instid1(SALU_CYCLE_1)
	s_add_i32 s5, s4, s2
	s_mul_i32 s4, s12, s16
	s_lshl_b64 s[4:5], s[4:5], 1
	s_delay_alu instid0(SALU_CYCLE_1)
	s_add_u32 s18, s6, s4
	s_addc_u32 s19, s7, s5
.LBB300_4:
	s_load_b128 s[4:7], s[0:1], 0x60
	s_waitcnt vmcnt(0)
	v_cmp_eq_f16_e32 vcc_lo, 0, v30
	s_and_b32 s2, exec_lo, vcc_lo
	s_delay_alu instid0(SALU_CYCLE_1)
	s_mov_b32 vcc_lo, s2
	s_cbranch_vccnz .LBB300_6
; %bb.5:
	s_waitcnt lgkmcnt(0)
	s_mul_i32 s5, s12, s5
	s_mul_hi_u32 s10, s12, s4
	s_mul_i32 s4, s12, s4
	s_add_i32 s5, s10, s5
	s_delay_alu instid0(SALU_CYCLE_1) | instskip(NEXT) | instid1(SALU_CYCLE_1)
	s_lshl_b64 s[4:5], s[4:5], 1
	s_add_u32 s8, s8, s4
	s_addc_u32 s9, s9, s5
	s_branch .LBB300_7
.LBB300_6:
	s_mov_b64 s[8:9], 0
.LBB300_7:
	s_waitcnt lgkmcnt(0)
	s_clause 0x1
	s_load_b32 s4, s[0:1], 0x0
	s_load_b32 s13, s[0:1], 0x20
	v_and_b32_e32 v48, 0x3ff, v0
	v_bfe_u32 v50, v0, 10, 10
	s_delay_alu instid0(VALU_DEP_2) | instskip(NEXT) | instid1(VALU_DEP_1)
	v_and_b32_e32 v0, 3, v48
	v_lshlrev_b32_e32 v2, 1, v0
	s_waitcnt lgkmcnt(0)
	s_add_i32 s4, s4, -1
	s_delay_alu instid0(SALU_CYCLE_1) | instskip(NEXT) | instid1(SALU_CYCLE_1)
	s_ashr_i32 s5, s4, 31
	s_lshr_b32 s5, s5, 26
	s_delay_alu instid0(SALU_CYCLE_1) | instskip(NEXT) | instid1(SALU_CYCLE_1)
	s_add_i32 s4, s4, s5
	s_ashr_i32 s4, s4, 6
	s_delay_alu instid0(SALU_CYCLE_1) | instskip(SKIP_2) | instid1(VALU_DEP_1)
	s_add_i32 s10, s4, 1
	s_not_b32 s4, s4
	v_cvt_f32_u32_e32 v1, s10
	v_rcp_iflag_f32_e32 v1, v1
	s_waitcnt_depctr 0xfff
	v_mul_f32_e32 v1, 0x4f7ffffe, v1
	s_delay_alu instid0(VALU_DEP_1) | instskip(NEXT) | instid1(VALU_DEP_1)
	v_cvt_u32_f32_e32 v1, v1
	v_readfirstlane_b32 s5, v1
	v_lshl_add_u32 v1, v50, 3, v48
	s_delay_alu instid0(VALU_DEP_2) | instskip(NEXT) | instid1(VALU_DEP_1)
	s_mul_i32 s4, s4, s5
	v_lshrrev_b32_e32 v8, 2, v1
	s_mul_hi_u32 s4, s5, s4
	s_delay_alu instid0(SALU_CYCLE_1) | instskip(NEXT) | instid1(SALU_CYCLE_1)
	s_add_i32 s5, s5, s4
	s_mul_hi_u32 s4, s14, s5
	s_delay_alu instid0(SALU_CYCLE_1) | instskip(SKIP_2) | instid1(SALU_CYCLE_1)
	s_mul_i32 s5, s4, s10
	s_add_i32 s11, s4, 1
	s_sub_i32 s5, s14, s5
	s_sub_i32 s15, s5, s10
	s_cmp_ge_u32 s5, s10
	s_cselect_b32 s4, s11, s4
	s_cselect_b32 s5, s15, s5
	s_add_i32 s11, s4, 1
	s_cmp_ge_u32 s5, s10
	s_cselect_b32 s5, s11, s4
	s_and_b32 vcc_lo, exec_lo, s3
	s_mul_i32 s4, s5, s10
	s_delay_alu instid0(SALU_CYCLE_1) | instskip(NEXT) | instid1(SALU_CYCLE_1)
	s_sub_i32 s4, s14, s4
	s_lshl_b32 s10, s4, 6
	s_delay_alu instid0(SALU_CYCLE_1)
	v_add_nc_u32_e32 v3, s10, v8
	s_cbranch_vccnz .LBB300_9
; %bb.8:
	s_delay_alu instid0(VALU_DEP_1) | instskip(NEXT) | instid1(VALU_DEP_1)
	v_mad_i64_i32 v[4:5], null, v3, s13, 0
	v_lshlrev_b64 v[4:5], 1, v[4:5]
	s_delay_alu instid0(VALU_DEP_1) | instskip(NEXT) | instid1(VALU_DEP_2)
	v_add_co_u32 v0, vcc_lo, s20, v4
	v_add_co_ci_u32_e32 v5, vcc_lo, s21, v5, vcc_lo
	s_delay_alu instid0(VALU_DEP_2) | instskip(NEXT) | instid1(VALU_DEP_2)
	v_add_co_u32 v4, vcc_lo, v0, v2
	v_add_co_ci_u32_e32 v5, vcc_lo, 0, v5, vcc_lo
	flat_load_u16 v0, v[4:5]
	s_waitcnt vmcnt(0) lgkmcnt(0)
	v_mul_f16_e32 v9, v49, v0
	s_branch .LBB300_10
.LBB300_9:
	v_mov_b32_e32 v9, 0
.LBB300_10:
	s_load_b32 s4, s[0:1], 0x38
	v_and_b32_e32 v5, 63, v1
	s_lshl_b32 s11, s5, 7
	v_lshrrev_b32_e32 v4, 6, v1
	s_and_b32 vcc_lo, exec_lo, s3
	s_delay_alu instid0(VALU_DEP_2) | instskip(NEXT) | instid1(VALU_DEP_1)
	v_or_b32_e32 v0, s11, v5
	v_ashrrev_i32_e32 v1, 31, v0
	s_waitcnt lgkmcnt(0)
	s_ashr_i32 s5, s4, 31
	s_cbranch_vccnz .LBB300_14
; %bb.11:
	v_mad_i64_i32 v[6:7], null, s4, v4, 0
	v_lshlrev_b64 v[10:11], 1, v[0:1]
	s_delay_alu instid0(VALU_DEP_2) | instskip(NEXT) | instid1(VALU_DEP_1)
	v_lshlrev_b64 v[6:7], 1, v[6:7]
	v_add_co_u32 v6, vcc_lo, s18, v6
	s_delay_alu instid0(VALU_DEP_2) | instskip(NEXT) | instid1(VALU_DEP_2)
	v_add_co_ci_u32_e32 v7, vcc_lo, s19, v7, vcc_lo
	v_add_co_u32 v6, vcc_lo, v6, v10
	s_delay_alu instid0(VALU_DEP_2)
	v_add_co_ci_u32_e32 v7, vcc_lo, v7, v11, vcc_lo
	s_clause 0x1
	flat_load_u16 v10, v[6:7]
	flat_load_u16 v6, v[6:7] offset:128
	s_waitcnt vmcnt(1) lgkmcnt(1)
	v_mul_f16_e32 v10, v49, v10
	s_waitcnt vmcnt(0) lgkmcnt(0)
	v_mul_f16_e32 v11, v49, v6
	s_and_b32 vcc_lo, exec_lo, s3
	s_cbranch_vccnz .LBB300_15
.LBB300_12:
	v_mad_i64_i32 v[6:7], null, v3, s13, 0
	s_delay_alu instid0(VALU_DEP_1) | instskip(NEXT) | instid1(VALU_DEP_1)
	v_lshlrev_b64 v[6:7], 1, v[6:7]
	v_add_co_u32 v6, vcc_lo, s20, v6
	s_delay_alu instid0(VALU_DEP_2) | instskip(NEXT) | instid1(VALU_DEP_2)
	v_add_co_ci_u32_e32 v7, vcc_lo, s21, v7, vcc_lo
	v_add_co_u32 v6, vcc_lo, v6, v2
	s_delay_alu instid0(VALU_DEP_2)
	v_add_co_ci_u32_e32 v7, vcc_lo, 0, v7, vcc_lo
	flat_load_u16 v6, v[6:7] offset:8
	s_waitcnt vmcnt(0) lgkmcnt(0)
	v_mul_f16_e32 v6, v49, v6
	s_and_b32 vcc_lo, exec_lo, s3
	s_cbranch_vccnz .LBB300_16
.LBB300_13:
	v_add_nc_u32_e32 v7, 4, v4
	v_lshlrev_b64 v[0:1], 1, v[0:1]
	s_delay_alu instid0(VALU_DEP_2) | instskip(NEXT) | instid1(VALU_DEP_1)
	v_mad_i64_i32 v[12:13], null, s4, v7, 0
	v_lshlrev_b64 v[12:13], 1, v[12:13]
	s_delay_alu instid0(VALU_DEP_1) | instskip(NEXT) | instid1(VALU_DEP_2)
	v_add_co_u32 v7, vcc_lo, s18, v12
	v_add_co_ci_u32_e32 v12, vcc_lo, s19, v13, vcc_lo
	s_delay_alu instid0(VALU_DEP_2) | instskip(NEXT) | instid1(VALU_DEP_2)
	v_add_co_u32 v0, vcc_lo, v7, v0
	v_add_co_ci_u32_e32 v1, vcc_lo, v12, v1, vcc_lo
	s_clause 0x1
	flat_load_u16 v7, v[0:1]
	flat_load_u16 v0, v[0:1] offset:128
	s_waitcnt vmcnt(1) lgkmcnt(1)
	v_mul_f16_e32 v1, v49, v7
	s_waitcnt vmcnt(0) lgkmcnt(0)
	v_mul_f16_e32 v7, v49, v0
	s_branch .LBB300_17
.LBB300_14:
	v_dual_mov_b32 v10, 0 :: v_dual_mov_b32 v11, 0
	s_and_b32 vcc_lo, exec_lo, s3
	s_cbranch_vccz .LBB300_12
.LBB300_15:
	v_mov_b32_e32 v6, 0
	s_and_b32 vcc_lo, exec_lo, s3
	s_cbranch_vccz .LBB300_13
.LBB300_16:
	v_mov_b32_e32 v1, 0
	v_mov_b32_e32 v7, 0
.LBB300_17:
	v_lshlrev_b32_e32 v0, 1, v4
	v_lshlrev_b32_e32 v51, 3, v48
	;; [unrolled: 1-line block ×3, first 2 shown]
	s_load_b32 s14, s[0:1], 0x8
	s_delay_alu instid0(VALU_DEP_3)
	v_lshl_add_u32 v61, v5, 3, v0
	v_lshl_or_b32 v0, v8, 3, v2
	v_add_nc_u32_e32 v28, 0x800, v51
	ds_store_b16 v61, v10
	ds_store_b16 v0, v9 offset:2048
	ds_store_b16 v61, v11 offset:512
	s_waitcnt lgkmcnt(0)
	s_barrier
	buffer_gl0_inv
	ds_load_2addr_b64 v[8:11], v52 offset1:32
	ds_load_2addr_b64 v[12:15], v28 offset0:48 offset1:56
	ds_load_2addr_b64 v[16:19], v52 offset0:64 offset1:96
	ds_load_2addr_b64 v[20:23], v28 offset1:8
	ds_load_2addr_b64 v[24:27], v28 offset0:16 offset1:24
	ds_load_2addr_b64 v[31:34], v28 offset0:32 offset1:40
	ds_store_b16 v61, v1 offset:1024
	ds_store_b16 v0, v6 offset:2560
	;; [unrolled: 1-line block ×3, first 2 shown]
	s_waitcnt lgkmcnt(0)
	s_barrier
	buffer_gl0_inv
	s_cmp_lt_i32 s14, 9
	v_pk_max_f16 v8, v8, v8
	v_pk_max_f16 v10, v10, v10
	;; [unrolled: 1-line block ×8, first 2 shown]
	v_pk_min_f16 v39, v22, v8
	v_pk_max_f16 v20, v20, v20
	v_pk_min_f16 v45, v26, v10
	v_pk_max_f16 v18, v18, v18
	v_pk_min_f16 v28, v14, v8
	v_pk_add_f16 v42, v39, 0
	v_pk_min_f16 v39, v24, v8
	v_pk_min_f16 v46, v26, v16
	v_pk_add_f16 v55, v45, 0
	v_pk_min_f16 v45, v31, v10
	v_pk_max_f16 v33, v33, v33
	v_pk_add_f16 v53, v39, 0
	v_pk_min_f16 v39, v26, v8
	v_pk_max_f16 v12, v12, v12
	v_pk_max_f16 v9, v9, v9
	;; [unrolled: 1-line block ×3, first 2 shown]
	v_pk_min_f16 v29, v14, v10
	v_pk_add_f16 v54, v39, 0
	v_pk_min_f16 v39, v31, v8
	v_pk_min_f16 v35, v14, v16
	;; [unrolled: 1-line block ×5, first 2 shown]
	v_pk_add_f16 v63, v39, 0
	v_pk_min_f16 v39, v31, v16
	v_pk_min_f16 v20, v20, v18
	v_pk_add_f16 v28, v28, 0
	v_pk_min_f16 v40, v22, v10
	v_pk_min_f16 v41, v22, v16
	;; [unrolled: 1-line block ×7, first 2 shown]
	v_pk_add_f16 v62, v46, 0
	v_pk_min_f16 v31, v31, v18
	v_pk_add_f16 v69, v45, 0
	v_pk_min_f16 v45, v33, v8
	v_pk_min_f16 v46, v33, v10
	v_pk_add_f16 v70, v39, 0
	v_pk_min_f16 v39, v33, v16
	v_pk_min_f16 v33, v33, v18
	;; [unrolled: 1-line block ×6, first 2 shown]
	v_pk_max_f16 v11, v11, v11
	v_pk_min_f16 v14, v14, v18
	v_pk_min_f16 v18, v15, v9
	v_pk_add_f16 v29, v29, 0
	v_pk_add_f16 v74, v33, 0
	v_pk_max_f16 v17, v17, v17
	v_pk_min_f16 v33, v15, v11
	v_pk_max_f16 v21, v21, v21
	v_pk_add_f16 v60, v18, v28
	v_pk_max_f16 v18, v19, v19
	v_pk_add_f16 v36, v36, 0
	v_pk_add_f16 v38, v38, 0
	;; [unrolled: 1-line block ×4, first 2 shown]
	v_pk_min_f16 v19, v21, v9
	v_pk_min_f16 v28, v21, v11
	;; [unrolled: 1-line block ×4, first 2 shown]
	v_pk_max_f16 v23, v23, v23
	v_pk_add_f16 v37, v37, 0
	v_pk_add_f16 v40, v40, 0
	;; [unrolled: 1-line block ×8, first 2 shown]
	v_pk_min_f16 v19, v23, v9
	v_pk_min_f16 v20, v23, v11
	;; [unrolled: 1-line block ×4, first 2 shown]
	v_pk_max_f16 v25, v25, v25
	v_pk_add_f16 v43, v43, 0
	v_pk_add_f16 v44, v44, 0
	;; [unrolled: 1-line block ×9, first 2 shown]
	v_pk_min_f16 v19, v25, v9
	v_pk_min_f16 v20, v25, v11
	;; [unrolled: 1-line block ×4, first 2 shown]
	v_pk_max_f16 v23, v27, v27
	v_pk_add_f16 v35, v35, 0
	v_pk_add_f16 v26, v26, 0
	;; [unrolled: 1-line block ×3, first 2 shown]
	v_pk_min_f16 v39, v15, v17
	v_pk_add_f16 v66, v19, v53
	v_pk_add_f16 v57, v20, v43
	;; [unrolled: 1-line block ×4, first 2 shown]
	v_pk_min_f16 v19, v23, v9
	v_pk_min_f16 v20, v23, v11
	v_pk_min_f16 v21, v23, v17
	v_pk_min_f16 v22, v23, v18
	v_pk_max_f16 v23, v32, v32
	v_pk_add_f16 v31, v31, 0
	v_pk_add_f16 v39, v39, v35
	;; [unrolled: 1-line block ×6, first 2 shown]
	v_pk_min_f16 v19, v23, v9
	v_pk_min_f16 v20, v23, v11
	;; [unrolled: 1-line block ×4, first 2 shown]
	v_pk_max_f16 v23, v34, v34
	v_pk_max_f16 v13, v13, v13
	v_pk_add_f16 v8, v8, 0
	v_pk_add_f16 v10, v10, 0
	v_pk_add_f16 v16, v16, 0
	v_pk_add_f16 v12, v12, 0
	v_pk_add_f16 v14, v14, 0
	v_pk_add_f16 v64, v19, v63
	v_pk_add_f16 v55, v20, v69
	v_pk_add_f16 v42, v21, v70
	v_pk_add_f16 v33, v22, v31
	v_pk_min_f16 v19, v23, v9
	v_pk_min_f16 v20, v23, v11
	;; [unrolled: 1-line block ×9, first 2 shown]
	v_pk_add_f16 v63, v19, v71
	v_pk_add_f16 v54, v20, v72
	;; [unrolled: 1-line block ×9, first 2 shown]
	s_cbranch_scc1 .LBB300_31
; %bb.18:
	v_mad_i64_i32 v[7:8], null, s13, v3, 0
	v_add_nc_u32_e32 v5, s11, v5
	v_add_nc_u32_e32 v1, 12, v4
	;; [unrolled: 1-line block ×5, first 2 shown]
	v_ashrrev_i32_e32 v6, 31, v5
	v_mad_i64_i32 v[9:10], null, v1, s4, 0
	v_lshlrev_b64 v[0:1], 1, v[7:8]
	v_add_nc_u32_e32 v70, 0x800, v51
	s_delay_alu instid0(VALU_DEP_4)
	v_lshlrev_b64 v[5:6], 1, v[5:6]
	v_or_b32_e32 v72, 0x400, v61
	v_lshl_add_u32 v73, v48, 3, 0xa00
	v_lshl_add_u32 v74, v50, 3, 0x400
	v_add_co_u32 v2, vcc_lo, v0, v2
	v_add_co_ci_u32_e32 v4, vcc_lo, 0, v1, vcc_lo
	v_add_co_u32 v75, vcc_lo, s18, v5
	v_mad_i64_i32 v[0:1], null, v3, s4, 0
	v_add_co_ci_u32_e32 v76, vcc_lo, s19, v6, vcc_lo
	v_add_co_u32 v2, vcc_lo, v2, s20
	v_add_co_ci_u32_e32 v3, vcc_lo, s21, v4, vcc_lo
	v_lshlrev_b64 v[24:25], 1, v[9:10]
	s_delay_alu instid0(VALU_DEP_3) | instskip(SKIP_1) | instid1(VALU_DEP_4)
	v_add_co_u32 v28, vcc_lo, v2, 16
	v_lshlrev_b64 v[26:27], 1, v[0:1]
	v_add_co_ci_u32_e32 v29, vcc_lo, 0, v3, vcc_lo
	s_add_i32 s13, s14, -8
	s_lshl_b64 s[4:5], s[4:5], 4
	s_mov_b32 s14, 0
	s_branch .LBB300_21
.LBB300_19:                             ;   in Loop: Header=BB300_21 Depth=1
	v_add_co_u32 v0, vcc_lo, v75, v24
	v_add_co_ci_u32_e32 v1, vcc_lo, v76, v25, vcc_lo
	s_clause 0x1
	flat_load_u16 v120, v[0:1]
	flat_load_u16 v1, v[0:1] offset:128
	s_waitcnt vmcnt(1) lgkmcnt(1)
	v_mul_f16_e32 v0, v49, v120
	s_waitcnt vmcnt(0) lgkmcnt(0)
	v_mul_f16_e32 v1, v49, v1
.LBB300_20:                             ;   in Loop: Header=BB300_21 Depth=1
	v_pk_add_f16 v16, v16, v39
	v_pk_add_f16 v22, v22, v38
	;; [unrolled: 1-line block ×30, first 2 shown]
	ds_load_2addr_b64 v[31:34], v70 offset0:48 offset1:56
	ds_load_2addr_b64 v[35:38], v52 offset1:32
	ds_load_2addr_b64 v[39:42], v52 offset0:64 offset1:96
	v_pk_add_f16 v81, v117, v45
	v_pk_add_f16 v82, v119, v44
	;; [unrolled: 1-line block ×4, first 2 shown]
	ds_load_2addr_b64 v[43:46], v70 offset1:8
	v_pk_add_f16 v8, v8, v67
	v_pk_add_f16 v54, v92, v54
	;; [unrolled: 1-line block ×12, first 2 shown]
	s_waitcnt lgkmcnt(3)
	v_pk_max_f16 v33, v33, v33
	s_waitcnt lgkmcnt(2)
	v_pk_max_f16 v35, v35, v35
	v_pk_max_f16 v37, v37, v37
	s_waitcnt lgkmcnt(1)
	v_pk_max_f16 v39, v39, v39
	v_pk_add_f16 v15, v15, v54
	v_pk_add_f16 v54, v7, v65
	;; [unrolled: 1-line block ×3, first 2 shown]
	v_pk_min_f16 v6, v33, v35
	v_pk_min_f16 v7, v33, v37
	;; [unrolled: 1-line block ×3, first 2 shown]
	ds_load_2addr_b64 v[2:5], v70 offset0:16 offset1:24
	s_waitcnt lgkmcnt(1)
	v_pk_max_f16 v9, v43, v43
	v_pk_max_f16 v41, v41, v41
	v_pk_add_f16 v14, v109, v14
	v_pk_add_f16 v18, v110, v18
	v_pk_add_f16 v20, v111, v20
	v_pk_add_f16 v22, v112, v22
	v_pk_add_f16 v43, v6, v67
	v_pk_add_f16 v12, v7, v12
	v_pk_add_f16 v16, v8, v16
	v_pk_min_f16 v6, v9, v35
	v_pk_min_f16 v7, v9, v37
	;; [unrolled: 1-line block ×4, first 2 shown]
	v_pk_add_f16 v62, v95, v62
	v_pk_add_f16 v14, v6, v14
	;; [unrolled: 1-line block ×5, first 2 shown]
	ds_load_2addr_b64 v[6:9], v70 offset0:32 offset1:40
	v_pk_max_f16 v45, v45, v45
	v_pk_add_f16 v17, v17, v60
	v_pk_add_f16 v19, v19, v63
	;; [unrolled: 1-line block ×3, first 2 shown]
	s_waitcnt lgkmcnt(1)
	v_pk_max_f16 v2, v2, v2
	v_pk_min_f16 v60, v45, v35
	v_pk_min_f16 v62, v45, v37
	;; [unrolled: 1-line block ×4, first 2 shown]
	v_pk_max_f16 v4, v4, v4
	v_pk_add_f16 v53, v96, v53
	v_pk_add_f16 v47, v100, v47
	;; [unrolled: 1-line block ×4, first 2 shown]
	v_pk_min_f16 v45, v2, v35
	v_pk_add_f16 v10, v118, v10
	v_pk_add_f16 v57, v103, v57
	;; [unrolled: 1-line block ×5, first 2 shown]
	v_pk_min_f16 v45, v4, v37
	s_waitcnt lgkmcnt(0)
	v_pk_max_f16 v6, v6, v6
	v_pk_add_f16 v64, v60, v68
	v_pk_min_f16 v60, v2, v37
	v_pk_min_f16 v66, v2, v39
	;; [unrolled: 1-line block ×3, first 2 shown]
	v_pk_add_f16 v80, v45, v47
	v_pk_min_f16 v45, v6, v35
	v_pk_add_f16 v56, v102, v56
	v_pk_add_f16 v63, v63, v79
	;; [unrolled: 1-line block ×5, first 2 shown]
	v_pk_min_f16 v11, v4, v35
	v_pk_min_f16 v60, v4, v39
	;; [unrolled: 1-line block ×4, first 2 shown]
	v_pk_max_f16 v8, v8, v8
	v_pk_add_f16 v82, v45, v57
	v_pk_min_f16 v45, v6, v39
	v_pk_max_f16 v31, v31, v31
	v_pk_add_f16 v11, v11, v83
	v_pk_add_f16 v81, v60, v84
	;; [unrolled: 1-line block ×4, first 2 shown]
	v_pk_min_f16 v47, v8, v35
	v_pk_min_f16 v56, v8, v37
	v_pk_add_f16 v84, v45, v55
	v_pk_min_f16 v45, v8, v39
	v_pk_min_f16 v8, v8, v41
	;; [unrolled: 1-line block ×5, first 2 shown]
	v_pk_max_f16 v34, v34, v34
	v_pk_max_f16 v85, v38, v38
	v_pk_add_f16 v8, v8, v19
	v_pk_add_f16 v19, v35, v21
	;; [unrolled: 1-line block ×4, first 2 shown]
	v_pk_max_f16 v53, v36, v36
	v_pk_min_f16 v33, v33, v41
	v_pk_max_f16 v40, v40, v40
	v_pk_min_f16 v36, v34, v85
	v_pk_add_f16 v13, v47, v13
	v_pk_min_f16 v35, v34, v53
	v_pk_add_f16 v86, v33, v59
	v_pk_min_f16 v33, v34, v40
	v_pk_max_f16 v37, v44, v44
	v_pk_add_f16 v47, v36, v12
	v_pk_max_f16 v12, v42, v42
	v_pk_add_f16 v60, v35, v43
	v_pk_add_f16 v39, v33, v16
	v_pk_min_f16 v16, v37, v53
	v_pk_min_f16 v33, v37, v85
	;; [unrolled: 1-line block ×4, first 2 shown]
	v_pk_max_f16 v37, v46, v46
	v_pk_min_f16 v6, v6, v41
	v_pk_add_f16 v68, v16, v14
	v_pk_add_f16 v59, v33, v18
	v_pk_max_f16 v3, v3, v3
	v_pk_min_f16 v14, v37, v53
	v_pk_min_f16 v16, v37, v85
	;; [unrolled: 1-line block ×3, first 2 shown]
	v_pk_add_f16 v6, v6, v58
	v_pk_add_f16 v17, v45, v17
	;; [unrolled: 1-line block ×5, first 2 shown]
	v_pk_min_f16 v14, v3, v53
	v_pk_min_f16 v16, v3, v85
	v_pk_min_f16 v18, v3, v40
	v_pk_min_f16 v3, v3, v12
	v_pk_max_f16 v5, v5, v5
	v_pk_add_f16 v46, v35, v20
	v_pk_add_f16 v38, v36, v22
	v_pk_min_f16 v20, v37, v12
	v_pk_add_f16 v57, v16, v10
	v_pk_add_f16 v36, v3, v2
	v_pk_min_f16 v2, v5, v53
	v_pk_min_f16 v3, v5, v85
	;; [unrolled: 1-line block ×4, first 2 shown]
	v_pk_max_f16 v7, v7, v7
	v_pk_add_f16 v15, v56, v15
	v_pk_add_f16 v37, v20, v65
	;; [unrolled: 1-line block ×5, first 2 shown]
	v_pk_min_f16 v2, v7, v53
	v_pk_min_f16 v3, v7, v85
	v_pk_min_f16 v4, v7, v40
	v_pk_min_f16 v5, v7, v12
	v_pk_max_f16 v7, v9, v9
	v_pk_min_f16 v31, v31, v41
	v_pk_add_f16 v64, v2, v82
	v_pk_add_f16 v55, v3, v83
	;; [unrolled: 1-line block ×4, first 2 shown]
	v_pk_min_f16 v2, v7, v53
	v_pk_min_f16 v3, v7, v85
	;; [unrolled: 1-line block ×4, first 2 shown]
	v_pk_max_f16 v6, v32, v32
	v_pk_add_f16 v31, v31, v54
	v_pk_add_f16 v63, v2, v13
	;; [unrolled: 1-line block ×5, first 2 shown]
	v_pk_min_f16 v2, v6, v53
	v_pk_min_f16 v3, v6, v85
	;; [unrolled: 1-line block ×5, first 2 shown]
	v_add_co_u32 v75, vcc_lo, v75, s4
	v_add_co_ci_u32_e32 v76, vcc_lo, s5, v76, vcc_lo
	v_add_co_u32 v28, vcc_lo, v28, 16
	v_pk_add_f16 v66, v14, v78
	v_pk_add_f16 v44, v18, v79
	;; [unrolled: 1-line block ×8, first 2 shown]
	v_add_co_ci_u32_e32 v29, vcc_lo, 0, v29, vcc_lo
	s_add_i32 s14, s14, 8
	ds_store_b16 v71, v77
	ds_store_b16 v72, v0
	ds_store_b16 v72, v1 offset:512
	s_cmp_ge_i32 s14, s13
	s_waitcnt lgkmcnt(0)
	s_barrier
	buffer_gl0_inv
	s_cbranch_scc1 .LBB300_31
.LBB300_21:                             ; =>This Inner Loop Header: Depth=1
	v_mov_b32_e32 v77, 0
	s_and_b32 vcc_lo, exec_lo, s3
	s_cbranch_vccnz .LBB300_23
; %bb.22:                               ;   in Loop: Header=BB300_21 Depth=1
	flat_load_u16 v0, v[28:29]
	s_waitcnt vmcnt(0) lgkmcnt(0)
	v_mul_f16_e32 v77, v49, v0
.LBB300_23:                             ;   in Loop: Header=BB300_21 Depth=1
	s_and_b32 vcc_lo, exec_lo, s3
	s_cbranch_vccnz .LBB300_25
; %bb.24:                               ;   in Loop: Header=BB300_21 Depth=1
	v_add_co_u32 v0, vcc_lo, v75, v26
	v_add_co_ci_u32_e32 v1, vcc_lo, v76, v27, vcc_lo
	s_clause 0x1
	flat_load_u16 v2, v[0:1]
	flat_load_u16 v0, v[0:1] offset:128
	s_waitcnt vmcnt(1) lgkmcnt(1)
	v_mul_f16_e32 v78, v49, v2
	s_waitcnt vmcnt(0) lgkmcnt(0)
	v_mul_f16_e32 v79, v49, v0
	s_branch .LBB300_26
.LBB300_25:                             ;   in Loop: Header=BB300_21 Depth=1
	v_dual_mov_b32 v78, 0 :: v_dual_mov_b32 v79, 0
.LBB300_26:                             ;   in Loop: Header=BB300_21 Depth=1
	ds_load_2addr_b64 v[0:3], v73 offset0:48 offset1:56
	ds_load_2addr_b64 v[12:15], v74 offset0:64 offset1:96
	ds_load_2addr_b64 v[20:23], v74 offset1:32
	ds_load_2addr_b64 v[16:19], v73 offset1:8
	ds_load_2addr_b64 v[8:11], v73 offset0:16 offset1:24
	ds_load_2addr_b64 v[4:7], v73 offset0:32 offset1:40
	s_and_b32 vcc_lo, exec_lo, s3
	ds_store_b16 v69, v77
	ds_store_b16 v61, v78
	ds_store_b16 v61, v79 offset:512
	s_waitcnt lgkmcnt(0)
	s_barrier
	buffer_gl0_inv
	s_cbranch_vccnz .LBB300_28
; %bb.27:                               ;   in Loop: Header=BB300_21 Depth=1
	flat_load_u16 v77, v[28:29] offset:8
	s_waitcnt vmcnt(0) lgkmcnt(0)
	v_mul_f16_e32 v77, v49, v77
	s_branch .LBB300_29
.LBB300_28:                             ;   in Loop: Header=BB300_21 Depth=1
	v_mov_b32_e32 v77, 0
.LBB300_29:                             ;   in Loop: Header=BB300_21 Depth=1
	v_pk_max_f16 v90, v2, v2
	v_pk_max_f16 v95, v20, v20
	v_pk_max_f16 v96, v22, v22
	v_pk_max_f16 v97, v12, v12
	v_pk_max_f16 v22, v16, v16
	v_pk_max_f16 v99, v14, v14
	v_pk_max_f16 v80, v18, v18
	v_pk_max_f16 v83, v8, v8
	v_pk_max_f16 v86, v10, v10
	v_pk_max_f16 v89, v4, v4
	v_pk_max_f16 v94, v6, v6
	v_pk_max_f16 v0, v0, v0
	v_pk_min_f16 v2, v90, v95
	v_pk_min_f16 v12, v90, v96
	;; [unrolled: 1-line block ×25, first 2 shown]
	v_pk_max_f16 v0, v3, v3
	v_pk_max_f16 v21, v21, v21
	;; [unrolled: 1-line block ×9, first 2 shown]
	v_pk_min_f16 v109, v3, v21
	v_pk_min_f16 v110, v3, v23
	;; [unrolled: 1-line block ×4, first 2 shown]
	v_pk_max_f16 v3, v9, v9
	v_pk_max_f16 v9, v11, v11
	;; [unrolled: 1-line block ×3, first 2 shown]
	v_pk_min_f16 v22, v22, v99
	v_pk_min_f16 v80, v80, v99
	;; [unrolled: 1-line block ×35, first 2 shown]
	s_and_b32 vcc_lo, exec_lo, s3
	s_cbranch_vccz .LBB300_19
; %bb.30:                               ;   in Loop: Header=BB300_21 Depth=1
	v_dual_mov_b32 v0, 0 :: v_dual_mov_b32 v1, 0
	s_branch .LBB300_20
.LBB300_31:
	s_load_b32 s5, s[0:1], 0x58
	v_add_nc_u32_e32 v25, s11, v50
	v_add_nc_u32_e32 v22, s10, v48
	v_mov_b32_e32 v48, 0
	ds_load_b64 v[0:1], v52 offset:1024
	ds_load_b64 v[2:3], v51 offset:2560
	v_cmp_neq_f16_e64 s3, 0, v30
	v_ashrrev_i32_e32 v23, 31, v22
	v_mov_b32_e32 v20, 0
	s_delay_alu instid0(VALU_DEP_3) | instskip(NEXT) | instid1(VALU_DEP_2)
	s_and_b32 vcc_lo, exec_lo, s3
	v_lshlrev_b64 v[16:17], 1, v[22:23]
	s_waitcnt lgkmcnt(0)
	v_mad_i64_i32 v[4:5], null, v25, s5, 0
	s_delay_alu instid0(VALU_DEP_1) | instskip(NEXT) | instid1(VALU_DEP_1)
	v_lshlrev_b64 v[4:5], 1, v[4:5]
	v_add_co_u32 v69, s4, s8, v4
	s_delay_alu instid0(VALU_DEP_1)
	v_add_co_ci_u32_e64 v70, s4, s9, v5, s4
	s_cbranch_vccz .LBB300_33
; %bb.32:
	s_delay_alu instid0(VALU_DEP_2) | instskip(NEXT) | instid1(VALU_DEP_2)
	v_add_co_u32 v4, vcc_lo, v69, v16
	v_add_co_ci_u32_e32 v5, vcc_lo, v70, v17, vcc_lo
	flat_load_u16 v4, v[4:5]
	s_waitcnt vmcnt(0) lgkmcnt(0)
	v_mul_f16_e32 v20, v30, v4
.LBB300_33:
	s_clause 0x1
	s_load_b32 s4, s[0:1], 0x70
	s_load_b64 s[10:11], s[0:1], 0x78
	v_pk_max_f16 v72, v0, v0
	v_pk_max_f16 v26, v2, v2
	;; [unrolled: 1-line block ×4, first 2 shown]
	v_add_nc_u32_e32 v5, 0x800, v51
	ds_load_b64 v[23:24], v51 offset:3008
	ds_load_b64 v[18:19], v52 offset:1792
	v_pk_min_f16 v4, v26, v72
	ds_load_2addr_b64 v[0:3], v52 offset0:160 offset1:192
	v_pk_min_f16 v21, v27, v71
	v_cndmask_b32_e64 v51, 0, 1, s3
	v_add_nc_u32_e32 v28, 8, v22
	v_pk_add_f16 v29, v4, v68
	ds_load_2addr_b64 v[12:15], v5 offset0:72 offset1:80
	ds_load_2addr_b64 v[8:11], v5 offset0:88 offset1:96
	;; [unrolled: 1-line block ×3, first 2 shown]
	v_cmp_ne_u32_e64 s0, 1, v51
	v_pk_add_f16 v21, v21, v29
	v_ashrrev_i32_e32 v29, 31, v28
	s_waitcnt lgkmcnt(0)
	v_mad_i64_i32 v[49:50], null, v25, s4, 0
	s_mul_i32 s1, s12, s11
	s_mul_hi_u32 s11, s12, s10
	s_mul_i32 s10, s12, s10
	s_add_i32 s11, s11, s1
	v_lshrrev_b32_e32 v51, 16, v21
	s_lshl_b64 s[10:11], s[10:11], 1
	s_delay_alu instid0(VALU_DEP_2) | instskip(SKIP_3) | instid1(VALU_DEP_2)
	v_lshlrev_b64 v[49:50], 1, v[49:50]
	s_add_u32 s1, s6, s10
	s_addc_u32 s6, s7, s11
	v_add_f16_e32 v21, v21, v51
	v_add_co_u32 v68, vcc_lo, s1, v49
	s_delay_alu instid0(VALU_DEP_3) | instskip(NEXT) | instid1(VALU_DEP_3)
	v_add_co_ci_u32_e32 v73, vcc_lo, s6, v50, vcc_lo
	v_add_f16_e32 v51, v21, v20
	s_delay_alu instid0(VALU_DEP_3) | instskip(SKIP_1) | instid1(VALU_DEP_4)
	v_add_co_u32 v49, vcc_lo, v68, v16
	v_lshlrev_b64 v[20:21], 1, v[28:29]
	v_add_co_ci_u32_e32 v50, vcc_lo, v73, v17, vcc_lo
	s_and_not1_b32 vcc_lo, exec_lo, s3
	global_store_b16 v[49:50], v51, off
	s_cbranch_vccnz .LBB300_35
; %bb.34:
	v_add_co_u32 v28, vcc_lo, v69, v20
	v_add_co_ci_u32_e32 v29, vcc_lo, v70, v21, vcc_lo
	flat_load_u16 v28, v[28:29]
	s_waitcnt vmcnt(0) lgkmcnt(0)
	v_mul_f16_e32 v48, v30, v28
.LBB300_35:
	v_pk_max_f16 v28, v12, v12
	v_pk_max_f16 v29, v13, v13
	v_add_co_u32 v74, vcc_lo, v68, v20
	v_add_co_ci_u32_e32 v75, vcc_lo, v73, v21, vcc_lo
	s_delay_alu instid0(VALU_DEP_4) | instskip(NEXT) | instid1(VALU_DEP_4)
	v_pk_min_f16 v12, v28, v72
	v_pk_min_f16 v13, v29, v71
	v_mov_b32_e32 v52, 0
	s_and_b32 vcc_lo, exec_lo, s0
	s_delay_alu instid0(VALU_DEP_3) | instskip(NEXT) | instid1(VALU_DEP_1)
	v_pk_add_f16 v12, v12, v67
	v_pk_add_f16 v49, v13, v12
	v_add_nc_u32_e32 v12, 16, v22
	s_delay_alu instid0(VALU_DEP_2) | instskip(NEXT) | instid1(VALU_DEP_2)
	v_lshrrev_b32_e32 v50, 16, v49
	v_ashrrev_i32_e32 v13, 31, v12
	s_delay_alu instid0(VALU_DEP_2) | instskip(NEXT) | instid1(VALU_DEP_2)
	v_add_f16_e32 v49, v49, v50
	v_lshlrev_b64 v[12:13], 1, v[12:13]
	v_mov_b32_e32 v50, 0
	s_delay_alu instid0(VALU_DEP_3)
	v_add_f16_e32 v48, v49, v48
	global_store_b16 v[74:75], v48, off
	s_cbranch_vccnz .LBB300_37
; %bb.36:
	v_add_co_u32 v48, vcc_lo, v69, v12
	v_add_co_ci_u32_e32 v49, vcc_lo, v70, v13, vcc_lo
	flat_load_u16 v48, v[48:49]
	s_waitcnt vmcnt(0) lgkmcnt(0)
	v_mul_f16_e32 v50, v30, v48
.LBB300_37:
	v_pk_max_f16 v48, v14, v14
	v_pk_max_f16 v49, v15, v15
	s_delay_alu instid0(VALU_DEP_2) | instskip(NEXT) | instid1(VALU_DEP_2)
	v_pk_min_f16 v14, v48, v72
	v_pk_min_f16 v15, v49, v71
	s_delay_alu instid0(VALU_DEP_2) | instskip(SKIP_2) | instid1(VALU_DEP_3)
	v_pk_add_f16 v14, v14, v66
	v_add_co_u32 v66, vcc_lo, v68, v12
	v_add_co_ci_u32_e32 v67, vcc_lo, v73, v13, vcc_lo
	v_pk_add_f16 v51, v15, v14
	v_add_nc_u32_e32 v14, 24, v22
	s_and_b32 vcc_lo, exec_lo, s0
	s_delay_alu instid0(VALU_DEP_2) | instskip(NEXT) | instid1(VALU_DEP_2)
	v_lshrrev_b32_e32 v61, 16, v51
	v_ashrrev_i32_e32 v15, 31, v14
	s_delay_alu instid0(VALU_DEP_2) | instskip(NEXT) | instid1(VALU_DEP_2)
	v_add_f16_e32 v51, v51, v61
	v_lshlrev_b64 v[14:15], 1, v[14:15]
	s_delay_alu instid0(VALU_DEP_2)
	v_add_f16_e32 v50, v51, v50
	global_store_b16 v[66:67], v50, off
	s_cbranch_vccnz .LBB300_39
; %bb.38:
	v_add_co_u32 v50, vcc_lo, v69, v14
	v_add_co_ci_u32_e32 v51, vcc_lo, v70, v15, vcc_lo
	flat_load_u16 v50, v[50:51]
	s_waitcnt vmcnt(0) lgkmcnt(0)
	v_mul_f16_e32 v52, v30, v50
.LBB300_39:
	v_pk_max_f16 v50, v8, v8
	v_pk_max_f16 v51, v9, v9
	v_add_co_u32 v74, vcc_lo, v68, v14
	v_add_co_ci_u32_e32 v75, vcc_lo, v73, v15, vcc_lo
	s_delay_alu instid0(VALU_DEP_4) | instskip(NEXT) | instid1(VALU_DEP_4)
	v_pk_min_f16 v8, v50, v72
	v_pk_min_f16 v9, v51, v71
	v_mov_b32_e32 v66, 0
	s_and_b32 vcc_lo, exec_lo, s0
	s_delay_alu instid0(VALU_DEP_3) | instskip(NEXT) | instid1(VALU_DEP_1)
	v_pk_add_f16 v8, v8, v65
	v_pk_add_f16 v61, v9, v8
	v_add_nc_u32_e32 v8, 32, v22
	s_delay_alu instid0(VALU_DEP_2) | instskip(NEXT) | instid1(VALU_DEP_1)
	v_lshrrev_b32_e32 v65, 16, v61
	v_add_f16_e32 v61, v61, v65
	v_mov_b32_e32 v65, 0
	s_delay_alu instid0(VALU_DEP_4) | instskip(NEXT) | instid1(VALU_DEP_3)
	v_ashrrev_i32_e32 v9, 31, v8
	v_add_f16_e32 v52, v61, v52
	s_delay_alu instid0(VALU_DEP_2)
	v_lshlrev_b64 v[8:9], 1, v[8:9]
	global_store_b16 v[74:75], v52, off
	s_cbranch_vccnz .LBB300_41
; %bb.40:
	v_add_co_u32 v74, vcc_lo, v69, v8
	v_add_co_ci_u32_e32 v75, vcc_lo, v70, v9, vcc_lo
	flat_load_u16 v52, v[74:75]
	s_waitcnt vmcnt(0) lgkmcnt(0)
	v_mul_f16_e32 v65, v30, v52
.LBB300_41:
	v_pk_max_f16 v52, v10, v10
	v_pk_max_f16 v61, v11, v11
	v_add_co_u32 v74, vcc_lo, v68, v8
	v_add_co_ci_u32_e32 v75, vcc_lo, v73, v9, vcc_lo
	s_delay_alu instid0(VALU_DEP_4) | instskip(NEXT) | instid1(VALU_DEP_4)
	v_pk_min_f16 v10, v52, v72
	v_pk_min_f16 v11, v61, v71
	s_and_b32 vcc_lo, exec_lo, s0
	s_delay_alu instid0(VALU_DEP_2) | instskip(NEXT) | instid1(VALU_DEP_1)
	v_pk_add_f16 v10, v10, v64
	v_pk_add_f16 v64, v11, v10
	v_add_nc_u32_e32 v10, 40, v22
	s_delay_alu instid0(VALU_DEP_2) | instskip(NEXT) | instid1(VALU_DEP_2)
	v_lshrrev_b32_e32 v67, 16, v64
	v_ashrrev_i32_e32 v11, 31, v10
	s_delay_alu instid0(VALU_DEP_2) | instskip(NEXT) | instid1(VALU_DEP_2)
	v_add_f16_e32 v64, v64, v67
	v_lshlrev_b64 v[10:11], 1, v[10:11]
	s_delay_alu instid0(VALU_DEP_2)
	v_add_f16_e32 v64, v64, v65
	global_store_b16 v[74:75], v64, off
	s_cbranch_vccnz .LBB300_43
; %bb.42:
	v_add_co_u32 v64, vcc_lo, v69, v10
	v_add_co_ci_u32_e32 v65, vcc_lo, v70, v11, vcc_lo
	flat_load_u16 v64, v[64:65]
	s_waitcnt vmcnt(0) lgkmcnt(0)
	v_mul_f16_e32 v66, v30, v64
.LBB300_43:
	v_pk_max_f16 v64, v4, v4
	v_pk_max_f16 v65, v5, v5
	v_add_co_u32 v75, vcc_lo, v68, v10
	v_add_co_ci_u32_e32 v76, vcc_lo, v73, v11, vcc_lo
	s_delay_alu instid0(VALU_DEP_4) | instskip(NEXT) | instid1(VALU_DEP_4)
	v_pk_min_f16 v4, v64, v72
	v_pk_min_f16 v5, v65, v71
	v_mov_b32_e32 v74, 0
	s_and_b32 vcc_lo, exec_lo, s0
	s_delay_alu instid0(VALU_DEP_3) | instskip(NEXT) | instid1(VALU_DEP_1)
	v_pk_add_f16 v4, v4, v63
	v_pk_add_f16 v63, v5, v4
	v_add_nc_u32_e32 v4, 48, v22
	s_delay_alu instid0(VALU_DEP_2) | instskip(NEXT) | instid1(VALU_DEP_1)
	v_lshrrev_b32_e32 v67, 16, v63
	v_add_f16_e32 v63, v63, v67
	v_mov_b32_e32 v67, 0
	s_delay_alu instid0(VALU_DEP_4) | instskip(NEXT) | instid1(VALU_DEP_3)
	v_ashrrev_i32_e32 v5, 31, v4
	v_add_f16_e32 v63, v63, v66
	s_delay_alu instid0(VALU_DEP_2)
	v_lshlrev_b64 v[4:5], 1, v[4:5]
	global_store_b16 v[75:76], v63, off
	s_cbranch_vccnz .LBB300_45
; %bb.44:
	v_add_co_u32 v74, vcc_lo, v69, v4
	v_add_co_ci_u32_e32 v75, vcc_lo, v70, v5, vcc_lo
	flat_load_u16 v63, v[74:75]
	s_waitcnt vmcnt(0) lgkmcnt(0)
	v_mul_f16_e32 v74, v30, v63
.LBB300_45:
	v_pk_max_f16 v63, v6, v6
	v_pk_max_f16 v66, v7, v7
	v_add_co_u32 v75, vcc_lo, v68, v4
	v_add_co_ci_u32_e32 v76, vcc_lo, v73, v5, vcc_lo
	s_delay_alu instid0(VALU_DEP_4) | instskip(NEXT) | instid1(VALU_DEP_4)
	v_pk_min_f16 v6, v63, v72
	v_pk_min_f16 v7, v66, v71
	s_and_b32 vcc_lo, exec_lo, s0
	s_delay_alu instid0(VALU_DEP_2) | instskip(NEXT) | instid1(VALU_DEP_1)
	v_pk_add_f16 v6, v6, v62
	v_pk_add_f16 v62, v7, v6
	v_add_nc_u32_e32 v6, 56, v22
	s_delay_alu instid0(VALU_DEP_2) | instskip(NEXT) | instid1(VALU_DEP_2)
	v_lshrrev_b32_e32 v22, 16, v62
	v_ashrrev_i32_e32 v7, 31, v6
	s_delay_alu instid0(VALU_DEP_2) | instskip(NEXT) | instid1(VALU_DEP_2)
	v_add_f16_e32 v22, v62, v22
	v_lshlrev_b64 v[6:7], 1, v[6:7]
	s_delay_alu instid0(VALU_DEP_2)
	v_add_f16_e32 v22, v22, v74
	global_store_b16 v[75:76], v22, off
	s_cbranch_vccnz .LBB300_47
; %bb.46:
	v_add_co_u32 v69, vcc_lo, v69, v6
	v_add_co_ci_u32_e32 v70, vcc_lo, v70, v7, vcc_lo
	flat_load_u16 v22, v[69:70]
	s_waitcnt vmcnt(0) lgkmcnt(0)
	v_mul_f16_e32 v67, v30, v22
.LBB300_47:
	v_pk_max_f16 v22, v23, v23
	v_pk_max_f16 v23, v24, v24
	v_add_nc_u32_e32 v69, 32, v25
	s_delay_alu instid0(VALU_DEP_3) | instskip(NEXT) | instid1(VALU_DEP_3)
	v_pk_min_f16 v24, v22, v72
	v_pk_min_f16 v62, v23, v71
	v_add_co_u32 v72, vcc_lo, v68, v6
	v_mov_b32_e32 v68, 0
	s_delay_alu instid0(VALU_DEP_4) | instskip(SKIP_2) | instid1(VALU_DEP_3)
	v_pk_add_f16 v24, v24, v60
	v_mad_i64_i32 v[70:71], null, v69, s5, 0
	v_add_co_ci_u32_e32 v73, vcc_lo, v73, v7, vcc_lo
	v_pk_add_f16 v24, v62, v24
	s_delay_alu instid0(VALU_DEP_3) | instskip(NEXT) | instid1(VALU_DEP_2)
	v_lshlrev_b64 v[70:71], 1, v[70:71]
	v_lshrrev_b32_e32 v60, 16, v24
	s_delay_alu instid0(VALU_DEP_1) | instskip(NEXT) | instid1(VALU_DEP_3)
	v_add_f16_e32 v62, v24, v60
	v_add_co_u32 v24, vcc_lo, s8, v70
	s_delay_alu instid0(VALU_DEP_4) | instskip(NEXT) | instid1(VALU_DEP_3)
	v_add_co_ci_u32_e32 v60, vcc_lo, s9, v71, vcc_lo
	v_add_f16_e32 v62, v62, v67
	v_mov_b32_e32 v67, 0
	s_and_b32 vcc_lo, exec_lo, s0
	global_store_b16 v[72:73], v62, off
	s_cbranch_vccnz .LBB300_49
; %bb.48:
	v_add_co_u32 v70, vcc_lo, v24, v16
	v_add_co_ci_u32_e32 v71, vcc_lo, v60, v17, vcc_lo
	flat_load_u16 v62, v[70:71]
	s_waitcnt vmcnt(0) lgkmcnt(0)
	v_mul_f16_e32 v68, v30, v62
.LBB300_49:
	v_pk_max_f16 v62, v0, v0
	v_pk_max_f16 v0, v1, v1
	v_mad_i64_i32 v[70:71], null, v69, s4, 0
	s_delay_alu instid0(VALU_DEP_3) | instskip(NEXT) | instid1(VALU_DEP_3)
	v_pk_min_f16 v1, v26, v62
	v_pk_min_f16 v72, v27, v0
	s_delay_alu instid0(VALU_DEP_3) | instskip(NEXT) | instid1(VALU_DEP_3)
	v_lshlrev_b64 v[69:70], 1, v[70:71]
	v_pk_add_f16 v1, v1, v59
	s_delay_alu instid0(VALU_DEP_1) | instskip(NEXT) | instid1(VALU_DEP_1)
	v_pk_add_f16 v1, v72, v1
	v_lshrrev_b32_e32 v59, 16, v1
	s_delay_alu instid0(VALU_DEP_1) | instskip(SKIP_2) | instid1(VALU_DEP_3)
	v_add_f16_e32 v71, v1, v59
	v_add_co_u32 v1, vcc_lo, s1, v69
	v_add_co_ci_u32_e32 v59, vcc_lo, s6, v70, vcc_lo
	v_add_f16_e32 v70, v71, v68
	s_delay_alu instid0(VALU_DEP_3) | instskip(NEXT) | instid1(VALU_DEP_3)
	v_add_co_u32 v68, vcc_lo, v1, v16
	v_add_co_ci_u32_e32 v69, vcc_lo, v59, v17, vcc_lo
	s_and_b32 vcc_lo, exec_lo, s0
	global_store_b16 v[68:69], v70, off
	s_cbranch_vccnz .LBB300_51
; %bb.50:
	v_add_co_u32 v67, vcc_lo, v24, v20
	v_add_co_ci_u32_e32 v68, vcc_lo, v60, v21, vcc_lo
	flat_load_u16 v67, v[67:68]
	s_waitcnt vmcnt(0) lgkmcnt(0)
	v_mul_f16_e32 v67, v30, v67
.LBB300_51:
	v_pk_min_f16 v68, v28, v62
	v_pk_min_f16 v69, v29, v0
	s_delay_alu instid0(VALU_DEP_2) | instskip(NEXT) | instid1(VALU_DEP_1)
	v_pk_add_f16 v58, v68, v58
	v_pk_add_f16 v58, v69, v58
	s_delay_alu instid0(VALU_DEP_1) | instskip(NEXT) | instid1(VALU_DEP_1)
	v_lshrrev_b32_e32 v68, 16, v58
	v_add_f16_e32 v58, v58, v68
	v_add_co_u32 v68, vcc_lo, v1, v20
	v_add_co_ci_u32_e32 v69, vcc_lo, v59, v21, vcc_lo
	s_delay_alu instid0(VALU_DEP_3)
	v_add_f16_e32 v70, v58, v67
	v_dual_mov_b32 v58, 0 :: v_dual_mov_b32 v67, 0
	s_and_b32 vcc_lo, exec_lo, s0
	global_store_b16 v[68:69], v70, off
	s_cbranch_vccnz .LBB300_53
; %bb.52:
	v_add_co_u32 v67, vcc_lo, v24, v12
	v_add_co_ci_u32_e32 v68, vcc_lo, v60, v13, vcc_lo
	flat_load_u16 v67, v[67:68]
	s_waitcnt vmcnt(0) lgkmcnt(0)
	v_mul_f16_e32 v67, v30, v67
.LBB300_53:
	v_pk_min_f16 v68, v48, v62
	v_pk_min_f16 v69, v49, v0
	s_delay_alu instid0(VALU_DEP_2) | instskip(NEXT) | instid1(VALU_DEP_1)
	v_pk_add_f16 v57, v68, v57
	v_pk_add_f16 v57, v69, v57
	s_delay_alu instid0(VALU_DEP_1) | instskip(NEXT) | instid1(VALU_DEP_1)
	v_lshrrev_b32_e32 v68, 16, v57
	v_add_f16_e32 v57, v57, v68
	s_delay_alu instid0(VALU_DEP_1)
	v_add_f16_e32 v57, v57, v67
	v_add_co_u32 v67, vcc_lo, v1, v12
	v_add_co_ci_u32_e32 v68, vcc_lo, v59, v13, vcc_lo
	s_and_b32 vcc_lo, exec_lo, s0
	global_store_b16 v[67:68], v57, off
	s_cbranch_vccnz .LBB300_55
; %bb.54:
	v_add_co_u32 v57, vcc_lo, v24, v14
	v_add_co_ci_u32_e32 v58, vcc_lo, v60, v15, vcc_lo
	flat_load_u16 v57, v[57:58]
	s_waitcnt vmcnt(0) lgkmcnt(0)
	v_mul_f16_e32 v58, v30, v57
.LBB300_55:
	v_pk_min_f16 v57, v50, v62
	v_pk_min_f16 v67, v51, v0
	s_delay_alu instid0(VALU_DEP_2) | instskip(NEXT) | instid1(VALU_DEP_1)
	v_pk_add_f16 v56, v57, v56
	v_pk_add_f16 v56, v67, v56
	v_add_co_u32 v67, vcc_lo, v1, v14
	v_add_co_ci_u32_e32 v68, vcc_lo, v59, v15, vcc_lo
	s_delay_alu instid0(VALU_DEP_3) | instskip(SKIP_1) | instid1(VALU_DEP_1)
	v_lshrrev_b32_e32 v57, 16, v56
	s_and_b32 vcc_lo, exec_lo, s0
	v_add_f16_e32 v56, v56, v57
	v_mov_b32_e32 v57, 0
	s_delay_alu instid0(VALU_DEP_2)
	v_add_f16_e32 v58, v56, v58
	v_mov_b32_e32 v56, 0
	global_store_b16 v[67:68], v58, off
	s_cbranch_vccnz .LBB300_57
; %bb.56:
	v_add_co_u32 v57, vcc_lo, v24, v8
	v_add_co_ci_u32_e32 v58, vcc_lo, v60, v9, vcc_lo
	flat_load_u16 v57, v[57:58]
	s_waitcnt vmcnt(0) lgkmcnt(0)
	v_mul_f16_e32 v57, v30, v57
.LBB300_57:
	v_pk_min_f16 v58, v52, v62
	v_pk_min_f16 v67, v61, v0
	s_delay_alu instid0(VALU_DEP_2) | instskip(NEXT) | instid1(VALU_DEP_1)
	v_pk_add_f16 v55, v58, v55
	v_pk_add_f16 v55, v67, v55
	s_delay_alu instid0(VALU_DEP_1) | instskip(NEXT) | instid1(VALU_DEP_1)
	v_lshrrev_b32_e32 v58, 16, v55
	v_add_f16_e32 v55, v55, v58
	s_delay_alu instid0(VALU_DEP_1)
	v_add_f16_e32 v55, v55, v57
	v_add_co_u32 v57, vcc_lo, v1, v8
	v_add_co_ci_u32_e32 v58, vcc_lo, v59, v9, vcc_lo
	s_and_b32 vcc_lo, exec_lo, s0
	global_store_b16 v[57:58], v55, off
	s_cbranch_vccnz .LBB300_59
; %bb.58:
	v_add_co_u32 v55, vcc_lo, v24, v10
	v_add_co_ci_u32_e32 v56, vcc_lo, v60, v11, vcc_lo
	flat_load_u16 v55, v[55:56]
	s_waitcnt vmcnt(0) lgkmcnt(0)
	v_mul_f16_e32 v56, v30, v55
.LBB300_59:
	v_pk_min_f16 v55, v64, v62
	v_pk_min_f16 v57, v65, v0
	s_delay_alu instid0(VALU_DEP_2) | instskip(NEXT) | instid1(VALU_DEP_1)
	v_pk_add_f16 v54, v55, v54
	v_pk_add_f16 v54, v57, v54
	v_add_co_u32 v57, vcc_lo, v1, v10
	v_add_co_ci_u32_e32 v58, vcc_lo, v59, v11, vcc_lo
	s_delay_alu instid0(VALU_DEP_3) | instskip(SKIP_1) | instid1(VALU_DEP_1)
	v_lshrrev_b32_e32 v55, 16, v54
	s_and_b32 vcc_lo, exec_lo, s0
	v_add_f16_e32 v54, v54, v55
	v_mov_b32_e32 v55, 0
	s_delay_alu instid0(VALU_DEP_2)
	v_add_f16_e32 v56, v54, v56
	v_mov_b32_e32 v54, 0
	global_store_b16 v[57:58], v56, off
	s_cbranch_vccnz .LBB300_61
; %bb.60:
	v_add_co_u32 v55, vcc_lo, v24, v4
	v_add_co_ci_u32_e32 v56, vcc_lo, v60, v5, vcc_lo
	flat_load_u16 v55, v[55:56]
	s_waitcnt vmcnt(0) lgkmcnt(0)
	v_mul_f16_e32 v55, v30, v55
.LBB300_61:
	v_pk_min_f16 v56, v63, v62
	v_pk_min_f16 v57, v66, v0
	s_delay_alu instid0(VALU_DEP_2) | instskip(NEXT) | instid1(VALU_DEP_1)
	v_pk_add_f16 v53, v56, v53
	v_pk_add_f16 v53, v57, v53
	s_delay_alu instid0(VALU_DEP_1) | instskip(NEXT) | instid1(VALU_DEP_1)
	v_lshrrev_b32_e32 v56, 16, v53
	v_add_f16_e32 v53, v53, v56
	s_delay_alu instid0(VALU_DEP_1)
	v_add_f16_e32 v53, v53, v55
	v_add_co_u32 v55, vcc_lo, v1, v4
	v_add_co_ci_u32_e32 v56, vcc_lo, v59, v5, vcc_lo
	s_and_b32 vcc_lo, exec_lo, s0
	global_store_b16 v[55:56], v53, off
	s_cbranch_vccnz .LBB300_63
; %bb.62:
	v_add_co_u32 v53, vcc_lo, v24, v6
	v_add_co_ci_u32_e32 v54, vcc_lo, v60, v7, vcc_lo
	flat_load_u16 v24, v[53:54]
	s_waitcnt vmcnt(0) lgkmcnt(0)
	v_mul_f16_e32 v54, v30, v24
.LBB300_63:
	v_pk_min_f16 v24, v22, v62
	v_pk_min_f16 v0, v23, v0
	v_add_nc_u32_e32 v55, 64, v25
	v_add_co_u32 v58, vcc_lo, v1, v6
	s_delay_alu instid0(VALU_DEP_4) | instskip(SKIP_2) | instid1(VALU_DEP_3)
	v_pk_add_f16 v24, v24, v47
	v_add_co_ci_u32_e32 v59, vcc_lo, v59, v7, vcc_lo
	v_mov_b32_e32 v53, 0
	v_pk_add_f16 v0, v0, v24
	s_delay_alu instid0(VALU_DEP_1) | instskip(NEXT) | instid1(VALU_DEP_1)
	v_lshrrev_b32_e32 v24, 16, v0
	v_add_f16_e32 v0, v0, v24
	s_delay_alu instid0(VALU_DEP_1) | instskip(SKIP_4) | instid1(VALU_DEP_1)
	v_add_f16_e32 v0, v0, v54
	v_mov_b32_e32 v54, 0
	v_mad_i64_i32 v[56:57], null, v55, s5, 0
	global_store_b16 v[58:59], v0, off
	v_lshlrev_b64 v[56:57], 1, v[56:57]
	v_add_co_u32 v1, vcc_lo, s8, v56
	s_delay_alu instid0(VALU_DEP_2)
	v_add_co_ci_u32_e32 v24, vcc_lo, s9, v57, vcc_lo
	s_and_b32 vcc_lo, exec_lo, s0
	s_cbranch_vccnz .LBB300_65
; %bb.64:
	s_delay_alu instid0(VALU_DEP_2) | instskip(NEXT) | instid1(VALU_DEP_2)
	v_add_co_u32 v56, vcc_lo, v1, v16
	v_add_co_ci_u32_e32 v57, vcc_lo, v24, v17, vcc_lo
	flat_load_u16 v0, v[56:57]
	s_waitcnt vmcnt(0) lgkmcnt(0)
	v_mul_f16_e32 v54, v30, v0
.LBB300_65:
	v_pk_max_f16 v47, v2, v2
	v_pk_max_f16 v0, v3, v3
	s_delay_alu instid0(VALU_DEP_2) | instskip(NEXT) | instid1(VALU_DEP_2)
	v_pk_min_f16 v2, v26, v47
	v_pk_min_f16 v56, v27, v0
	s_delay_alu instid0(VALU_DEP_2) | instskip(SKIP_1) | instid1(VALU_DEP_2)
	v_pk_add_f16 v46, v2, v46
	v_mad_i64_i32 v[2:3], null, v55, s4, 0
	v_pk_add_f16 v46, v56, v46
	s_delay_alu instid0(VALU_DEP_2) | instskip(NEXT) | instid1(VALU_DEP_2)
	v_lshlrev_b64 v[2:3], 1, v[2:3]
	v_lshrrev_b32_e32 v55, 16, v46
	s_delay_alu instid0(VALU_DEP_2) | instskip(NEXT) | instid1(VALU_DEP_2)
	v_add_co_u32 v2, vcc_lo, s1, v2
	v_add_f16_e32 v46, v46, v55
	s_delay_alu instid0(VALU_DEP_4) | instskip(NEXT) | instid1(VALU_DEP_2)
	v_add_co_ci_u32_e32 v3, vcc_lo, s6, v3, vcc_lo
	v_add_f16_e32 v46, v46, v54
	s_delay_alu instid0(VALU_DEP_4) | instskip(NEXT) | instid1(VALU_DEP_3)
	v_add_co_u32 v54, vcc_lo, v2, v16
	v_add_co_ci_u32_e32 v55, vcc_lo, v3, v17, vcc_lo
	s_and_b32 vcc_lo, exec_lo, s0
	global_store_b16 v[54:55], v46, off
	s_cbranch_vccnz .LBB300_67
; %bb.66:
	v_add_co_u32 v53, vcc_lo, v1, v20
	v_add_co_ci_u32_e32 v54, vcc_lo, v24, v21, vcc_lo
	flat_load_u16 v46, v[53:54]
	s_waitcnt vmcnt(0) lgkmcnt(0)
	v_mul_f16_e32 v53, v30, v46
.LBB300_67:
	v_pk_min_f16 v46, v28, v47
	v_pk_min_f16 v54, v29, v0
	s_delay_alu instid0(VALU_DEP_2) | instskip(NEXT) | instid1(VALU_DEP_1)
	v_pk_add_f16 v45, v46, v45
	v_pk_add_f16 v45, v54, v45
	v_add_co_u32 v54, vcc_lo, v2, v20
	v_add_co_ci_u32_e32 v55, vcc_lo, v3, v21, vcc_lo
	s_delay_alu instid0(VALU_DEP_3) | instskip(SKIP_1) | instid1(VALU_DEP_1)
	v_lshrrev_b32_e32 v46, 16, v45
	s_and_b32 vcc_lo, exec_lo, s0
	v_add_f16_e32 v45, v45, v46
	v_mov_b32_e32 v46, 0
	s_delay_alu instid0(VALU_DEP_2)
	v_add_f16_e32 v53, v45, v53
	v_mov_b32_e32 v45, 0
	global_store_b16 v[54:55], v53, off
	s_cbranch_vccnz .LBB300_69
; %bb.68:
	v_add_co_u32 v53, vcc_lo, v1, v12
	v_add_co_ci_u32_e32 v54, vcc_lo, v24, v13, vcc_lo
	flat_load_u16 v46, v[53:54]
	s_waitcnt vmcnt(0) lgkmcnt(0)
	v_mul_f16_e32 v46, v30, v46
.LBB300_69:
	v_pk_min_f16 v53, v48, v47
	v_pk_min_f16 v54, v49, v0
	s_delay_alu instid0(VALU_DEP_2) | instskip(NEXT) | instid1(VALU_DEP_1)
	v_pk_add_f16 v44, v53, v44
	v_pk_add_f16 v44, v54, v44
	s_delay_alu instid0(VALU_DEP_1) | instskip(NEXT) | instid1(VALU_DEP_1)
	v_lshrrev_b32_e32 v53, 16, v44
	v_add_f16_e32 v44, v44, v53
	v_add_co_u32 v53, vcc_lo, v2, v12
	v_add_co_ci_u32_e32 v54, vcc_lo, v3, v13, vcc_lo
	s_delay_alu instid0(VALU_DEP_3)
	v_add_f16_e32 v44, v44, v46
	s_and_b32 vcc_lo, exec_lo, s0
	global_store_b16 v[53:54], v44, off
	s_cbranch_vccnz .LBB300_71
; %bb.70:
	v_add_co_u32 v44, vcc_lo, v1, v14
	v_add_co_ci_u32_e32 v45, vcc_lo, v24, v15, vcc_lo
	flat_load_u16 v44, v[44:45]
	s_waitcnt vmcnt(0) lgkmcnt(0)
	v_mul_f16_e32 v45, v30, v44
.LBB300_71:
	v_pk_min_f16 v44, v50, v47
	v_pk_min_f16 v46, v51, v0
	v_add_co_u32 v53, vcc_lo, v2, v14
	v_add_co_ci_u32_e32 v54, vcc_lo, v3, v15, vcc_lo
	s_delay_alu instid0(VALU_DEP_4) | instskip(SKIP_1) | instid1(VALU_DEP_1)
	v_pk_add_f16 v43, v44, v43
	s_and_b32 vcc_lo, exec_lo, s0
	v_pk_add_f16 v43, v46, v43
	s_delay_alu instid0(VALU_DEP_1) | instskip(NEXT) | instid1(VALU_DEP_1)
	v_lshrrev_b32_e32 v44, 16, v43
	v_add_f16_e32 v43, v43, v44
	v_mov_b32_e32 v44, 0
	s_delay_alu instid0(VALU_DEP_2)
	v_add_f16_e32 v45, v43, v45
	v_mov_b32_e32 v43, 0
	global_store_b16 v[53:54], v45, off
	s_cbranch_vccnz .LBB300_73
; %bb.72:
	v_add_co_u32 v44, vcc_lo, v1, v8
	v_add_co_ci_u32_e32 v45, vcc_lo, v24, v9, vcc_lo
	flat_load_u16 v44, v[44:45]
	s_waitcnt vmcnt(0) lgkmcnt(0)
	v_mul_f16_e32 v44, v30, v44
.LBB300_73:
	v_pk_min_f16 v45, v52, v47
	v_pk_min_f16 v46, v61, v0
	s_delay_alu instid0(VALU_DEP_2) | instskip(NEXT) | instid1(VALU_DEP_1)
	v_pk_add_f16 v42, v45, v42
	v_pk_add_f16 v42, v46, v42
	s_delay_alu instid0(VALU_DEP_1) | instskip(NEXT) | instid1(VALU_DEP_1)
	v_lshrrev_b32_e32 v45, 16, v42
	v_add_f16_e32 v42, v42, v45
	s_delay_alu instid0(VALU_DEP_1)
	v_add_f16_e32 v42, v42, v44
	v_add_co_u32 v44, vcc_lo, v2, v8
	v_add_co_ci_u32_e32 v45, vcc_lo, v3, v9, vcc_lo
	s_and_b32 vcc_lo, exec_lo, s0
	global_store_b16 v[44:45], v42, off
	s_cbranch_vccnz .LBB300_75
; %bb.74:
	v_add_co_u32 v42, vcc_lo, v1, v10
	v_add_co_ci_u32_e32 v43, vcc_lo, v24, v11, vcc_lo
	flat_load_u16 v42, v[42:43]
	s_waitcnt vmcnt(0) lgkmcnt(0)
	v_mul_f16_e32 v43, v30, v42
.LBB300_75:
	v_pk_min_f16 v42, v64, v47
	v_pk_min_f16 v44, v65, v0
	s_delay_alu instid0(VALU_DEP_2) | instskip(NEXT) | instid1(VALU_DEP_1)
	v_pk_add_f16 v41, v42, v41
	v_pk_add_f16 v41, v44, v41
	v_add_co_u32 v44, vcc_lo, v2, v10
	v_add_co_ci_u32_e32 v45, vcc_lo, v3, v11, vcc_lo
	s_delay_alu instid0(VALU_DEP_3) | instskip(SKIP_1) | instid1(VALU_DEP_1)
	v_lshrrev_b32_e32 v42, 16, v41
	s_and_b32 vcc_lo, exec_lo, s0
	v_add_f16_e32 v41, v41, v42
	v_mov_b32_e32 v42, 0
	s_delay_alu instid0(VALU_DEP_2)
	v_add_f16_e32 v43, v41, v43
	v_mov_b32_e32 v41, 0
	global_store_b16 v[44:45], v43, off
	s_cbranch_vccnz .LBB300_77
; %bb.76:
	v_add_co_u32 v42, vcc_lo, v1, v4
	v_add_co_ci_u32_e32 v43, vcc_lo, v24, v5, vcc_lo
	flat_load_u16 v42, v[42:43]
	s_waitcnt vmcnt(0) lgkmcnt(0)
	v_mul_f16_e32 v42, v30, v42
.LBB300_77:
	v_pk_min_f16 v43, v63, v47
	v_pk_min_f16 v44, v66, v0
	s_delay_alu instid0(VALU_DEP_2) | instskip(NEXT) | instid1(VALU_DEP_1)
	v_pk_add_f16 v40, v43, v40
	v_pk_add_f16 v40, v44, v40
	s_delay_alu instid0(VALU_DEP_1) | instskip(NEXT) | instid1(VALU_DEP_1)
	v_lshrrev_b32_e32 v43, 16, v40
	v_add_f16_e32 v40, v40, v43
	s_delay_alu instid0(VALU_DEP_1)
	v_add_f16_e32 v40, v40, v42
	v_add_co_u32 v42, vcc_lo, v2, v4
	v_add_co_ci_u32_e32 v43, vcc_lo, v3, v5, vcc_lo
	s_and_b32 vcc_lo, exec_lo, s0
	global_store_b16 v[42:43], v40, off
	s_cbranch_vccnz .LBB300_79
; %bb.78:
	v_add_co_u32 v40, vcc_lo, v1, v6
	v_add_co_ci_u32_e32 v41, vcc_lo, v24, v7, vcc_lo
	flat_load_u16 v1, v[40:41]
	s_waitcnt vmcnt(0) lgkmcnt(0)
	v_mul_f16_e32 v41, v30, v1
.LBB300_79:
	v_pk_min_f16 v1, v22, v47
	v_pk_min_f16 v24, v23, v0
	v_add_nc_u32_e32 v25, 0x60, v25
	v_add_co_u32 v2, vcc_lo, v2, v6
	s_delay_alu instid0(VALU_DEP_4) | instskip(SKIP_1) | instid1(VALU_DEP_2)
	v_pk_add_f16 v39, v1, v39
	v_add_co_ci_u32_e32 v3, vcc_lo, v3, v7, vcc_lo
	v_pk_add_f16 v24, v24, v39
	s_delay_alu instid0(VALU_DEP_1) | instskip(NEXT) | instid1(VALU_DEP_1)
	v_lshrrev_b32_e32 v39, 16, v24
	v_add_f16_e32 v24, v24, v39
	v_mov_b32_e32 v39, 0
	s_delay_alu instid0(VALU_DEP_2) | instskip(SKIP_4) | instid1(VALU_DEP_1)
	v_add_f16_e32 v40, v24, v41
	v_mov_b32_e32 v24, 0
	v_mad_i64_i32 v[0:1], null, v25, s5, 0
	global_store_b16 v[2:3], v40, off
	v_lshlrev_b64 v[0:1], 1, v[0:1]
	v_add_co_u32 v0, vcc_lo, s8, v0
	s_delay_alu instid0(VALU_DEP_2)
	v_add_co_ci_u32_e32 v1, vcc_lo, s9, v1, vcc_lo
	s_and_b32 vcc_lo, exec_lo, s0
	s_cbranch_vccnz .LBB300_81
; %bb.80:
	s_delay_alu instid0(VALU_DEP_2) | instskip(NEXT) | instid1(VALU_DEP_2)
	v_add_co_u32 v2, vcc_lo, v0, v16
	v_add_co_ci_u32_e32 v3, vcc_lo, v1, v17, vcc_lo
	flat_load_u16 v2, v[2:3]
	s_waitcnt vmcnt(0) lgkmcnt(0)
	v_mul_f16_e32 v39, v30, v2
.LBB300_81:
	v_pk_max_f16 v2, v18, v18
	v_pk_max_f16 v3, v19, v19
	s_delay_alu instid0(VALU_DEP_2) | instskip(NEXT) | instid1(VALU_DEP_2)
	v_pk_min_f16 v18, v26, v2
	v_pk_min_f16 v26, v27, v3
	s_delay_alu instid0(VALU_DEP_2) | instskip(SKIP_1) | instid1(VALU_DEP_2)
	v_pk_add_f16 v27, v18, v38
	v_mad_i64_i32 v[18:19], null, v25, s4, 0
	v_pk_add_f16 v25, v26, v27
	s_delay_alu instid0(VALU_DEP_2) | instskip(NEXT) | instid1(VALU_DEP_2)
	v_lshlrev_b64 v[18:19], 1, v[18:19]
	v_lshrrev_b32_e32 v26, 16, v25
	s_delay_alu instid0(VALU_DEP_2) | instskip(NEXT) | instid1(VALU_DEP_2)
	v_add_co_u32 v18, vcc_lo, s1, v18
	v_add_f16_e32 v25, v25, v26
	s_delay_alu instid0(VALU_DEP_4) | instskip(NEXT) | instid1(VALU_DEP_3)
	v_add_co_ci_u32_e32 v19, vcc_lo, s6, v19, vcc_lo
	v_add_co_u32 v16, vcc_lo, v18, v16
	s_delay_alu instid0(VALU_DEP_3) | instskip(NEXT) | instid1(VALU_DEP_3)
	v_add_f16_e32 v25, v25, v39
	v_add_co_ci_u32_e32 v17, vcc_lo, v19, v17, vcc_lo
	s_and_b32 vcc_lo, exec_lo, s0
	global_store_b16 v[16:17], v25, off
	s_cbranch_vccnz .LBB300_83
; %bb.82:
	v_add_co_u32 v16, vcc_lo, v0, v20
	v_add_co_ci_u32_e32 v17, vcc_lo, v1, v21, vcc_lo
	flat_load_u16 v16, v[16:17]
	s_waitcnt vmcnt(0) lgkmcnt(0)
	v_mul_f16_e32 v24, v30, v16
.LBB300_83:
	v_pk_min_f16 v16, v28, v2
	v_pk_min_f16 v17, v29, v3
	v_add_co_u32 v20, vcc_lo, v18, v20
	v_add_co_ci_u32_e32 v21, vcc_lo, v19, v21, vcc_lo
	s_delay_alu instid0(VALU_DEP_4) | instskip(SKIP_1) | instid1(VALU_DEP_1)
	v_pk_add_f16 v16, v16, v37
	s_and_b32 vcc_lo, exec_lo, s0
	v_pk_add_f16 v16, v17, v16
	s_delay_alu instid0(VALU_DEP_1) | instskip(NEXT) | instid1(VALU_DEP_1)
	v_lshrrev_b32_e32 v17, 16, v16
	v_add_f16_e32 v16, v16, v17
	v_mov_b32_e32 v17, 0
	s_delay_alu instid0(VALU_DEP_2)
	v_add_f16_e32 v24, v16, v24
	v_mov_b32_e32 v16, 0
	global_store_b16 v[20:21], v24, off
	s_cbranch_vccnz .LBB300_85
; %bb.84:
	v_add_co_u32 v20, vcc_lo, v0, v12
	v_add_co_ci_u32_e32 v21, vcc_lo, v1, v13, vcc_lo
	flat_load_u16 v17, v[20:21]
	s_waitcnt vmcnt(0) lgkmcnt(0)
	v_mul_f16_e32 v17, v30, v17
.LBB300_85:
	v_pk_min_f16 v20, v48, v2
	v_pk_min_f16 v21, v49, v3
	v_add_co_u32 v12, vcc_lo, v18, v12
	v_add_co_ci_u32_e32 v13, vcc_lo, v19, v13, vcc_lo
	s_delay_alu instid0(VALU_DEP_4) | instskip(SKIP_1) | instid1(VALU_DEP_1)
	v_pk_add_f16 v20, v20, v36
	s_and_b32 vcc_lo, exec_lo, s0
	v_pk_add_f16 v20, v21, v20
	s_delay_alu instid0(VALU_DEP_1) | instskip(NEXT) | instid1(VALU_DEP_1)
	v_lshrrev_b32_e32 v21, 16, v20
	v_add_f16_e32 v20, v20, v21
	s_delay_alu instid0(VALU_DEP_1)
	v_add_f16_e32 v17, v20, v17
	global_store_b16 v[12:13], v17, off
	s_cbranch_vccnz .LBB300_87
; %bb.86:
	v_add_co_u32 v12, vcc_lo, v0, v14
	v_add_co_ci_u32_e32 v13, vcc_lo, v1, v15, vcc_lo
	flat_load_u16 v12, v[12:13]
	s_waitcnt vmcnt(0) lgkmcnt(0)
	v_mul_f16_e32 v16, v30, v12
.LBB300_87:
	v_pk_min_f16 v12, v50, v2
	v_pk_min_f16 v13, v51, v3
	v_add_co_u32 v14, vcc_lo, v18, v14
	v_add_co_ci_u32_e32 v15, vcc_lo, v19, v15, vcc_lo
	s_delay_alu instid0(VALU_DEP_4) | instskip(SKIP_1) | instid1(VALU_DEP_1)
	v_pk_add_f16 v12, v12, v35
	s_and_b32 vcc_lo, exec_lo, s0
	v_pk_add_f16 v12, v13, v12
	s_delay_alu instid0(VALU_DEP_1) | instskip(NEXT) | instid1(VALU_DEP_1)
	v_lshrrev_b32_e32 v13, 16, v12
	v_add_f16_e32 v12, v12, v13
	v_mov_b32_e32 v13, 0
	s_delay_alu instid0(VALU_DEP_2)
	v_add_f16_e32 v16, v12, v16
	v_mov_b32_e32 v12, 0
	global_store_b16 v[14:15], v16, off
	s_cbranch_vccnz .LBB300_89
; %bb.88:
	v_add_co_u32 v13, vcc_lo, v0, v8
	v_add_co_ci_u32_e32 v14, vcc_lo, v1, v9, vcc_lo
	flat_load_u16 v13, v[13:14]
	s_waitcnt vmcnt(0) lgkmcnt(0)
	v_mul_f16_e32 v13, v30, v13
.LBB300_89:
	v_pk_min_f16 v14, v52, v2
	v_pk_min_f16 v15, v61, v3
	v_add_co_u32 v8, vcc_lo, v18, v8
	v_add_co_ci_u32_e32 v9, vcc_lo, v19, v9, vcc_lo
	s_delay_alu instid0(VALU_DEP_4) | instskip(SKIP_1) | instid1(VALU_DEP_1)
	v_pk_add_f16 v14, v14, v33
	s_and_b32 vcc_lo, exec_lo, s0
	v_pk_add_f16 v14, v15, v14
	s_delay_alu instid0(VALU_DEP_1) | instskip(NEXT) | instid1(VALU_DEP_1)
	v_lshrrev_b32_e32 v15, 16, v14
	v_add_f16_e32 v14, v14, v15
	s_delay_alu instid0(VALU_DEP_1)
	v_add_f16_e32 v13, v14, v13
	global_store_b16 v[8:9], v13, off
	s_cbranch_vccnz .LBB300_91
; %bb.90:
	v_add_co_u32 v8, vcc_lo, v0, v10
	v_add_co_ci_u32_e32 v9, vcc_lo, v1, v11, vcc_lo
	flat_load_u16 v8, v[8:9]
	s_waitcnt vmcnt(0) lgkmcnt(0)
	v_mul_f16_e32 v12, v30, v8
.LBB300_91:
	v_pk_min_f16 v8, v64, v2
	v_pk_min_f16 v9, v65, v3
	;; [unrolled: 1-line block ×3, first 2 shown]
	s_delay_alu instid0(VALU_DEP_3) | instskip(NEXT) | instid1(VALU_DEP_2)
	v_pk_add_f16 v8, v8, v32
	v_pk_add_f16 v13, v13, v34
	s_delay_alu instid0(VALU_DEP_2) | instskip(SKIP_1) | instid1(VALU_DEP_2)
	v_pk_add_f16 v8, v9, v8
	v_pk_min_f16 v9, v66, v3
	v_lshrrev_b32_e32 v14, 16, v8
	s_delay_alu instid0(VALU_DEP_2) | instskip(SKIP_2) | instid1(VALU_DEP_4)
	v_pk_add_f16 v13, v9, v13
	v_add_co_u32 v9, vcc_lo, v18, v10
	v_add_co_ci_u32_e32 v10, vcc_lo, v19, v11, vcc_lo
	v_add_f16_e32 v8, v8, v14
	s_delay_alu instid0(VALU_DEP_4) | instskip(SKIP_1) | instid1(VALU_DEP_2)
	v_lshrrev_b32_e32 v11, 16, v13
	s_mov_b32 vcc_lo, s2
	v_add_f16_e32 v12, v8, v12
	s_delay_alu instid0(VALU_DEP_2)
	v_add_f16_e32 v8, v13, v11
	global_store_b16 v[9:10], v12, off
	s_cbranch_vccz .LBB300_94
; %bb.92:
	v_add_co_u32 v9, vcc_lo, v18, v4
	v_add_f16_e32 v11, 0, v8
	v_add_co_ci_u32_e32 v10, vcc_lo, v19, v5, vcc_lo
	s_mov_b32 s0, 0
	global_store_b16 v[9:10], v11, off
	s_cbranch_execz .LBB300_95
; %bb.93:
	v_mov_b32_e32 v0, s0
	s_branch .LBB300_96
.LBB300_94:
	s_mov_b32 s0, -1
.LBB300_95:
	v_add_co_u32 v9, vcc_lo, v0, v4
	v_add_co_ci_u32_e32 v10, vcc_lo, v1, v5, vcc_lo
	v_add_co_u32 v4, vcc_lo, v18, v4
	v_add_co_ci_u32_e32 v5, vcc_lo, v19, v5, vcc_lo
	flat_load_u16 v9, v[9:10]
	v_add_co_u32 v0, vcc_lo, v0, v6
	v_add_co_ci_u32_e32 v1, vcc_lo, v1, v7, vcc_lo
	s_waitcnt vmcnt(0) lgkmcnt(0)
	v_fmac_f16_e32 v8, v30, v9
	global_store_b16 v[4:5], v8, off
	flat_load_u16 v0, v[0:1]
	s_waitcnt vmcnt(0) lgkmcnt(0)
	v_mul_f16_e32 v0, v30, v0
.LBB300_96:
	v_pk_min_f16 v1, v22, v2
	v_pk_min_f16 v2, v23, v3
	s_delay_alu instid0(VALU_DEP_2) | instskip(NEXT) | instid1(VALU_DEP_1)
	v_pk_add_f16 v1, v1, v31
	v_pk_add_f16 v1, v2, v1
	s_delay_alu instid0(VALU_DEP_1) | instskip(NEXT) | instid1(VALU_DEP_1)
	v_lshrrev_b32_e32 v2, 16, v1
	v_add_f16_e32 v1, v1, v2
	s_delay_alu instid0(VALU_DEP_1)
	v_add_f16_e32 v2, v1, v0
	v_add_co_u32 v0, vcc_lo, v18, v6
	v_add_co_ci_u32_e32 v1, vcc_lo, v19, v7, vcc_lo
	global_store_b16 v[0:1], v2, off
	s_nop 0
	s_sendmsg sendmsg(MSG_DEALLOC_VGPRS)
	s_endpgm
	.section	.rodata,"a",@progbits
	.p2align	6, 0x0
	.amdhsa_kernel _ZN12_GLOBAL__N_120geam_min_plus_kernelIDF16_Dv2_DF16_S1_Li8ELi32ELi64ELi128ELi4ELi4ELi64ELi64ELi4ELc84ELc84ELb0ELb0ELb0EPKDF16_S2_DF16_EEviiiT16_PT17_ilS6_ilS4_S6_ilPT18_ili26rocblas_geam_ex_operation_
		.amdhsa_group_segment_fixed_size 3072
		.amdhsa_private_segment_fixed_size 0
		.amdhsa_kernarg_size 136
		.amdhsa_user_sgpr_count 14
		.amdhsa_user_sgpr_dispatch_ptr 0
		.amdhsa_user_sgpr_queue_ptr 0
		.amdhsa_user_sgpr_kernarg_segment_ptr 1
		.amdhsa_user_sgpr_dispatch_id 0
		.amdhsa_user_sgpr_private_segment_size 0
		.amdhsa_wavefront_size32 1
		.amdhsa_uses_dynamic_stack 0
		.amdhsa_enable_private_segment 0
		.amdhsa_system_sgpr_workgroup_id_x 1
		.amdhsa_system_sgpr_workgroup_id_y 0
		.amdhsa_system_sgpr_workgroup_id_z 1
		.amdhsa_system_sgpr_workgroup_info 0
		.amdhsa_system_vgpr_workitem_id 1
		.amdhsa_next_free_vgpr 122
		.amdhsa_next_free_sgpr 24
		.amdhsa_reserve_vcc 1
		.amdhsa_float_round_mode_32 0
		.amdhsa_float_round_mode_16_64 0
		.amdhsa_float_denorm_mode_32 3
		.amdhsa_float_denorm_mode_16_64 3
		.amdhsa_dx10_clamp 1
		.amdhsa_ieee_mode 1
		.amdhsa_fp16_overflow 0
		.amdhsa_workgroup_processor_mode 1
		.amdhsa_memory_ordered 1
		.amdhsa_forward_progress 0
		.amdhsa_shared_vgpr_count 0
		.amdhsa_exception_fp_ieee_invalid_op 0
		.amdhsa_exception_fp_denorm_src 0
		.amdhsa_exception_fp_ieee_div_zero 0
		.amdhsa_exception_fp_ieee_overflow 0
		.amdhsa_exception_fp_ieee_underflow 0
		.amdhsa_exception_fp_ieee_inexact 0
		.amdhsa_exception_int_div_zero 0
	.end_amdhsa_kernel
	.section	.text._ZN12_GLOBAL__N_120geam_min_plus_kernelIDF16_Dv2_DF16_S1_Li8ELi32ELi64ELi128ELi4ELi4ELi64ELi64ELi4ELc84ELc84ELb0ELb0ELb0EPKDF16_S2_DF16_EEviiiT16_PT17_ilS6_ilS4_S6_ilPT18_ili26rocblas_geam_ex_operation_,"axG",@progbits,_ZN12_GLOBAL__N_120geam_min_plus_kernelIDF16_Dv2_DF16_S1_Li8ELi32ELi64ELi128ELi4ELi4ELi64ELi64ELi4ELc84ELc84ELb0ELb0ELb0EPKDF16_S2_DF16_EEviiiT16_PT17_ilS6_ilS4_S6_ilPT18_ili26rocblas_geam_ex_operation_,comdat
.Lfunc_end300:
	.size	_ZN12_GLOBAL__N_120geam_min_plus_kernelIDF16_Dv2_DF16_S1_Li8ELi32ELi64ELi128ELi4ELi4ELi64ELi64ELi4ELc84ELc84ELb0ELb0ELb0EPKDF16_S2_DF16_EEviiiT16_PT17_ilS6_ilS4_S6_ilPT18_ili26rocblas_geam_ex_operation_, .Lfunc_end300-_ZN12_GLOBAL__N_120geam_min_plus_kernelIDF16_Dv2_DF16_S1_Li8ELi32ELi64ELi128ELi4ELi4ELi64ELi64ELi4ELc84ELc84ELb0ELb0ELb0EPKDF16_S2_DF16_EEviiiT16_PT17_ilS6_ilS4_S6_ilPT18_ili26rocblas_geam_ex_operation_
                                        ; -- End function
	.section	.AMDGPU.csdata,"",@progbits
; Kernel info:
; codeLenInByte = 10036
; NumSgprs: 26
; NumVgprs: 122
; ScratchSize: 0
; MemoryBound: 0
; FloatMode: 240
; IeeeMode: 1
; LDSByteSize: 3072 bytes/workgroup (compile time only)
; SGPRBlocks: 3
; VGPRBlocks: 15
; NumSGPRsForWavesPerEU: 26
; NumVGPRsForWavesPerEU: 122
; Occupancy: 10
; WaveLimiterHint : 1
; COMPUTE_PGM_RSRC2:SCRATCH_EN: 0
; COMPUTE_PGM_RSRC2:USER_SGPR: 14
; COMPUTE_PGM_RSRC2:TRAP_HANDLER: 0
; COMPUTE_PGM_RSRC2:TGID_X_EN: 1
; COMPUTE_PGM_RSRC2:TGID_Y_EN: 0
; COMPUTE_PGM_RSRC2:TGID_Z_EN: 1
; COMPUTE_PGM_RSRC2:TIDIG_COMP_CNT: 1
	.section	.text._ZN12_GLOBAL__N_120geam_min_plus_kernelIDF16_Dv2_DF16_S1_Li8ELi32ELi64ELi128ELi4ELi4ELi64ELi64ELi4ELc84ELc84ELb1ELb0ELb0EDF16_KDF16_DF16_EEviiiT16_PT17_ilS5_ilS3_S5_ilPT18_ili26rocblas_geam_ex_operation_,"axG",@progbits,_ZN12_GLOBAL__N_120geam_min_plus_kernelIDF16_Dv2_DF16_S1_Li8ELi32ELi64ELi128ELi4ELi4ELi64ELi64ELi4ELc84ELc84ELb1ELb0ELb0EDF16_KDF16_DF16_EEviiiT16_PT17_ilS5_ilS3_S5_ilPT18_ili26rocblas_geam_ex_operation_,comdat
	.globl	_ZN12_GLOBAL__N_120geam_min_plus_kernelIDF16_Dv2_DF16_S1_Li8ELi32ELi64ELi128ELi4ELi4ELi64ELi64ELi4ELc84ELc84ELb1ELb0ELb0EDF16_KDF16_DF16_EEviiiT16_PT17_ilS5_ilS3_S5_ilPT18_ili26rocblas_geam_ex_operation_ ; -- Begin function _ZN12_GLOBAL__N_120geam_min_plus_kernelIDF16_Dv2_DF16_S1_Li8ELi32ELi64ELi128ELi4ELi4ELi64ELi64ELi4ELc84ELc84ELb1ELb0ELb0EDF16_KDF16_DF16_EEviiiT16_PT17_ilS5_ilS3_S5_ilPT18_ili26rocblas_geam_ex_operation_
	.p2align	8
	.type	_ZN12_GLOBAL__N_120geam_min_plus_kernelIDF16_Dv2_DF16_S1_Li8ELi32ELi64ELi128ELi4ELi4ELi64ELi64ELi4ELc84ELc84ELb1ELb0ELb0EDF16_KDF16_DF16_EEviiiT16_PT17_ilS5_ilS3_S5_ilPT18_ili26rocblas_geam_ex_operation_,@function
_ZN12_GLOBAL__N_120geam_min_plus_kernelIDF16_Dv2_DF16_S1_Li8ELi32ELi64ELi128ELi4ELi4ELi64ELi64ELi4ELc84ELc84ELb1ELb0ELb0EDF16_KDF16_DF16_EEviiiT16_PT17_ilS5_ilS3_S5_ilPT18_ili26rocblas_geam_ex_operation_: ; @_ZN12_GLOBAL__N_120geam_min_plus_kernelIDF16_Dv2_DF16_S1_Li8ELi32ELi64ELi128ELi4ELi4ELi64ELi64ELi4ELc84ELc84ELb1ELb0ELb0EDF16_KDF16_DF16_EEviiiT16_PT17_ilS5_ilS3_S5_ilPT18_ili26rocblas_geam_ex_operation_
; %bb.0:
	s_clause 0x1
	s_load_b64 s[8:9], s[0:1], 0x8
	s_load_b128 s[4:7], s[0:1], 0x20
	s_waitcnt lgkmcnt(0)
	v_cmp_eq_f16_e64 s2, s9, 0
	s_delay_alu instid0(VALU_DEP_1)
	s_and_b32 vcc_lo, exec_lo, s2
	s_cbranch_vccnz .LBB301_3
; %bb.1:
	s_load_b64 s[10:11], s[0:1], 0x10
	s_mul_i32 s3, s15, s5
	s_mul_hi_u32 s5, s15, s4
	s_mul_i32 s4, s15, s4
	s_add_i32 s5, s5, s3
	s_delay_alu instid0(SALU_CYCLE_1)
	s_lshl_b64 s[4:5], s[4:5], 1
	s_waitcnt lgkmcnt(0)
	s_add_u32 s10, s10, s4
	s_addc_u32 s11, s11, s5
	s_and_not1_b32 vcc_lo, exec_lo, s2
	s_cbranch_vccnz .LBB301_4
.LBB301_2:
	s_mov_b32 s19, 0
	s_mov_b64 s[12:13], 0
	s_cbranch_execz .LBB301_5
	s_branch .LBB301_6
.LBB301_3:
	s_mov_b64 s[10:11], 0
	s_and_not1_b32 vcc_lo, exec_lo, s2
	s_cbranch_vccz .LBB301_2
.LBB301_4:
	s_mov_b32 s19, -1
                                        ; implicit-def: $sgpr12_sgpr13
.LBB301_5:
	s_load_b64 s[2:3], s[0:1], 0x38
	s_mov_b32 s19, 0
	s_waitcnt lgkmcnt(0)
	s_mul_i32 s3, s15, s3
	s_mul_hi_u32 s4, s15, s2
	s_mul_i32 s2, s15, s2
	s_add_i32 s3, s4, s3
	s_delay_alu instid0(SALU_CYCLE_1) | instskip(NEXT) | instid1(SALU_CYCLE_1)
	s_lshl_b64 s[2:3], s[2:3], 1
	s_add_u32 s12, s6, s2
	s_addc_u32 s13, s7, s3
.LBB301_6:
	s_clause 0x1
	s_load_b32 s18, s[0:1], 0x40
	s_load_b128 s[4:7], s[0:1], 0x58
	s_waitcnt lgkmcnt(0)
	v_cmp_eq_f16_e64 s2, s18, 0
	s_delay_alu instid0(VALU_DEP_1) | instskip(NEXT) | instid1(SALU_CYCLE_1)
	s_and_b32 s2, exec_lo, s2
	s_mov_b32 vcc_lo, s2
	s_cbranch_vccnz .LBB301_8
; %bb.7:
	s_load_b64 s[16:17], s[0:1], 0x48
	s_mul_i32 s3, s15, s5
	s_mul_hi_u32 s5, s15, s4
	s_delay_alu instid0(SALU_CYCLE_1) | instskip(SKIP_3) | instid1(SALU_CYCLE_1)
	s_add_i32 s3, s5, s3
	s_mul_i32 s5, s19, s4
	s_mul_i32 s4, s15, s4
	s_add_i32 s5, s3, s5
	s_lshl_b64 s[4:5], s[4:5], 1
	s_waitcnt lgkmcnt(0)
	s_add_u32 s4, s16, s4
	s_addc_u32 s5, s17, s5
	s_branch .LBB301_9
.LBB301_8:
	s_mov_b64 s[4:5], 0
.LBB301_9:
	s_clause 0x2
	s_load_b32 s3, s[0:1], 0x0
	s_load_b32 s9, s[0:1], 0x18
	;; [unrolled: 1-line block ×3, first 2 shown]
	v_bfe_u32 v8, v0, 10, 10
	v_and_b32_e32 v7, 0x3ff, v0
	s_delay_alu instid0(VALU_DEP_2) | instskip(NEXT) | instid1(VALU_DEP_2)
	v_lshlrev_b32_e32 v6, 3, v8
	v_and_b32_e32 v5, 3, v7
	s_delay_alu instid0(VALU_DEP_2) | instskip(NEXT) | instid1(VALU_DEP_2)
	v_add_nc_u32_e32 v2, v6, v7
	v_lshlrev_b32_e32 v5, 1, v5
	s_delay_alu instid0(VALU_DEP_2)
	v_lshrrev_b32_e32 v15, 2, v2
	v_lshrrev_b32_e32 v4, 6, v2
	s_waitcnt lgkmcnt(0)
	s_add_i32 s3, s3, -1
	v_and_b32_e32 v16, 63, v2
	s_ashr_i32 s17, s3, 31
	s_delay_alu instid0(SALU_CYCLE_1) | instskip(SKIP_2) | instid1(SALU_CYCLE_1)
	s_lshr_b32 s17, s17, 26
	v_add_nc_u32_e32 v17, 4, v4
	s_add_i32 s3, s3, s17
	s_ashr_i32 s3, s3, 6
	s_delay_alu instid0(SALU_CYCLE_1) | instskip(SKIP_2) | instid1(VALU_DEP_1)
	s_add_i32 s17, s3, 1
	s_not_b32 s3, s3
	v_cvt_f32_u32_e32 v1, s17
	v_rcp_iflag_f32_e32 v1, v1
	s_waitcnt_depctr 0xfff
	v_mul_f32_e32 v1, 0x4f7ffffe, v1
	s_delay_alu instid0(VALU_DEP_1) | instskip(NEXT) | instid1(VALU_DEP_1)
	v_cvt_u32_f32_e32 v1, v1
	v_readfirstlane_b32 s20, v1
	v_mad_i64_i32 v[0:1], null, s16, v4, 0
	s_delay_alu instid0(VALU_DEP_2) | instskip(NEXT) | instid1(SALU_CYCLE_1)
	s_mul_i32 s3, s3, s20
	s_mul_hi_u32 s3, s20, s3
	s_delay_alu instid0(SALU_CYCLE_1) | instskip(NEXT) | instid1(VALU_DEP_1)
	s_add_i32 s20, s20, s3
	v_lshlrev_b64 v[11:12], 1, v[0:1]
	s_mul_hi_u32 s3, s14, s20
	s_delay_alu instid0(SALU_CYCLE_1) | instskip(SKIP_2) | instid1(VALU_DEP_1)
	s_mul_i32 s20, s3, s17
	s_add_i32 s21, s3, 1
	s_sub_i32 s20, s14, s20
	v_add_co_u32 v11, vcc_lo, s12, v11
	s_sub_i32 s22, s20, s17
	s_cmp_ge_u32 s20, s17
	v_add_co_ci_u32_e32 v12, vcc_lo, s13, v12, vcc_lo
	s_cselect_b32 s3, s21, s3
	s_cselect_b32 s20, s22, s20
	s_add_i32 s21, s3, 1
	s_cmp_ge_u32 s20, s17
	s_cselect_b32 s20, s21, s3
	s_delay_alu instid0(SALU_CYCLE_1) | instskip(NEXT) | instid1(SALU_CYCLE_1)
	s_mul_i32 s3, s20, s17
	s_sub_i32 s3, s14, s3
	s_lshl_b32 s14, s20, 7
	s_lshl_b32 s3, s3, 6
	s_cmp_lt_i32 s8, 9
	v_add_nc_u32_e32 v9, s3, v15
	s_delay_alu instid0(VALU_DEP_1) | instskip(SKIP_1) | instid1(VALU_DEP_1)
	v_mad_i64_i32 v[2:3], null, v9, s9, 0
	v_or_b32_e32 v9, s14, v16
	v_ashrrev_i32_e32 v10, 31, v9
	s_delay_alu instid0(VALU_DEP_3) | instskip(NEXT) | instid1(VALU_DEP_2)
	v_lshlrev_b64 v[0:1], 1, v[2:3]
	v_lshlrev_b64 v[2:3], 1, v[9:10]
	s_delay_alu instid0(VALU_DEP_2) | instskip(NEXT) | instid1(VALU_DEP_3)
	v_add_co_u32 v13, vcc_lo, s10, v0
	v_add_co_ci_u32_e32 v14, vcc_lo, s11, v1, vcc_lo
	s_delay_alu instid0(VALU_DEP_3) | instskip(NEXT) | instid1(VALU_DEP_4)
	v_add_co_u32 v9, vcc_lo, v11, v2
	v_add_co_ci_u32_e32 v10, vcc_lo, v12, v3, vcc_lo
	s_delay_alu instid0(VALU_DEP_4) | instskip(NEXT) | instid1(VALU_DEP_4)
	v_add_co_u32 v11, vcc_lo, v13, v5
	v_add_co_ci_u32_e32 v12, vcc_lo, 0, v14, vcc_lo
	v_mad_i64_i32 v[13:14], null, s16, v17, 0
	flat_load_u16 v17, v[9:10]
	flat_load_u16 v18, v[11:12]
	flat_load_u16 v19, v[9:10] offset:128
	v_lshlrev_b64 v[9:10], 1, v[13:14]
	v_lshl_or_b32 v14, v15, 3, v5
	s_delay_alu instid0(VALU_DEP_2) | instskip(NEXT) | instid1(VALU_DEP_3)
	v_add_co_u32 v9, vcc_lo, s12, v9
	v_add_co_ci_u32_e32 v10, vcc_lo, s13, v10, vcc_lo
	s_delay_alu instid0(VALU_DEP_2) | instskip(NEXT) | instid1(VALU_DEP_2)
	v_add_co_u32 v9, vcc_lo, v9, v2
	v_add_co_ci_u32_e32 v10, vcc_lo, v10, v3, vcc_lo
	flat_load_u16 v13, v[9:10]
	flat_load_u16 v12, v[11:12] offset:8
	flat_load_u16 v56, v[9:10] offset:128
	v_lshlrev_b32_e32 v10, 1, v4
	v_lshlrev_b32_e32 v9, 3, v7
	s_delay_alu instid0(VALU_DEP_2) | instskip(NEXT) | instid1(VALU_DEP_2)
	v_lshl_add_u32 v10, v16, 3, v10
	v_add_nc_u32_e32 v11, 0x800, v9
	s_waitcnt vmcnt(5) lgkmcnt(5)
	ds_store_b16 v10, v17
	s_waitcnt vmcnt(4) lgkmcnt(5)
	ds_store_b16 v14, v18 offset:2048
	s_waitcnt vmcnt(3) lgkmcnt(5)
	ds_store_b16 v10, v19 offset:512
	s_waitcnt vmcnt(0) lgkmcnt(0)
	s_barrier
	buffer_gl0_inv
	ds_load_2addr_b64 v[15:18], v6 offset1:32
	ds_load_2addr_b64 v[19:22], v11 offset0:48 offset1:56
	ds_load_2addr_b64 v[23:26], v6 offset0:64 offset1:96
	ds_load_2addr_b64 v[27:30], v11 offset1:8
	ds_load_2addr_b64 v[31:34], v11 offset0:16 offset1:24
	ds_load_2addr_b64 v[35:38], v11 offset0:32 offset1:40
	s_waitcnt lgkmcnt(5)
	v_pk_max_f16 v11, v15, v15
	v_pk_max_f16 v15, v17, v17
	s_waitcnt lgkmcnt(3)
	v_pk_max_f16 v17, v23, v23
	ds_store_b16 v10, v13 offset:1024
	v_pk_max_f16 v13, v21, v21
	s_waitcnt lgkmcnt(3)
	v_pk_max_f16 v21, v27, v27
	v_pk_max_f16 v23, v25, v25
	;; [unrolled: 1-line block ×3, first 2 shown]
	s_waitcnt lgkmcnt(2)
	v_pk_max_f16 v27, v31, v31
	v_pk_max_f16 v29, v33, v33
	s_waitcnt lgkmcnt(1)
	v_pk_max_f16 v31, v35, v35
	v_pk_max_f16 v33, v37, v37
	;; [unrolled: 1-line block ×15, first 2 shown]
	v_pk_min_f16 v37, v13, v11
	v_pk_min_f16 v38, v13, v15
	;; [unrolled: 1-line block ×64, first 2 shown]
	v_pk_add_f16 v26, v37, 0
	v_pk_add_f16 v32, v38, 0
	;; [unrolled: 1-line block ×64, first 2 shown]
	ds_store_b16 v14, v12 offset:2560
	ds_store_b16 v10, v56 offset:1536
	s_waitcnt lgkmcnt(0)
	s_barrier
	buffer_gl0_inv
	s_cbranch_scc1 .LBB301_12
; %bb.10:
	v_add_nc_u32_e32 v18, 12, v4
	v_add_nc_u32_e32 v4, 8, v4
	;; [unrolled: 1-line block ×5, first 2 shown]
	v_mad_i64_i32 v[20:21], null, v18, s16, 0
	v_add_co_u32 v18, vcc_lo, s12, v2
	v_add_co_ci_u32_e32 v19, vcc_lo, s13, v3, vcc_lo
	v_mad_i64_i32 v[2:3], null, v4, s16, 0
	v_add_co_u32 v4, vcc_lo, v0, v5
	v_add_co_ci_u32_e32 v5, vcc_lo, 0, v1, vcc_lo
	v_lshlrev_b64 v[0:1], 1, v[20:21]
	s_delay_alu instid0(VALU_DEP_3) | instskip(NEXT) | instid1(VALU_DEP_3)
	v_add_co_u32 v4, vcc_lo, v4, s10
	v_add_co_ci_u32_e32 v5, vcc_lo, s11, v5, vcc_lo
	v_lshlrev_b64 v[2:3], 1, v[2:3]
	s_delay_alu instid0(VALU_DEP_3)
	v_add_co_u32 v4, vcc_lo, v4, 16
	v_or_b32_e32 v15, 0x400, v10
	v_lshl_add_u32 v16, v7, 3, 0xa00
	v_add_nc_u32_e32 v17, 0x400, v6
	v_add_co_ci_u32_e32 v5, vcc_lo, 0, v5, vcc_lo
	s_ashr_i32 s17, s16, 31
	s_add_i32 s10, s8, -8
	s_lshl_b64 s[8:9], s[16:17], 4
	s_mov_b32 s11, 0
.LBB301_11:                             ; =>This Inner Loop Header: Depth=1
	v_add_co_u32 v20, vcc_lo, v18, v2
	v_add_co_ci_u32_e32 v21, vcc_lo, v19, v3, vcc_lo
	v_add_co_u32 v76, vcc_lo, v18, v0
	flat_load_u16 v24, v[4:5]
	s_clause 0x1
	flat_load_u16 v78, v[20:21]
	flat_load_u16 v79, v[20:21] offset:128
	v_add_co_ci_u32_e32 v77, vcc_lo, v19, v1, vcc_lo
	ds_load_2addr_b64 v[20:23], v16 offset0:48 offset1:56
	ds_load_2addr_b64 v[56:59], v17 offset1:32
	ds_load_2addr_b64 v[60:63], v17 offset0:64 offset1:96
	ds_load_2addr_b64 v[64:67], v16 offset1:8
	ds_load_2addr_b64 v[68:71], v16 offset0:16 offset1:24
	ds_load_2addr_b64 v[72:75], v16 offset0:32 offset1:40
	v_add_co_u32 v18, vcc_lo, v18, s8
	v_add_co_ci_u32_e32 v19, vcc_lo, s9, v19, vcc_lo
	s_add_i32 s11, s11, 8
	s_waitcnt vmcnt(2) lgkmcnt(8)
	ds_store_b16 v12, v24
	s_waitcnt vmcnt(1) lgkmcnt(8)
	ds_store_b16 v10, v78
	s_waitcnt vmcnt(0) lgkmcnt(8)
	ds_store_b16 v10, v79 offset:512
	s_waitcnt lgkmcnt(0)
	s_barrier
	buffer_gl0_inv
	flat_load_u16 v78, v[4:5] offset:8
	s_clause 0x1
	flat_load_u16 v79, v[76:77]
	flat_load_u16 v76, v[76:77] offset:128
	v_pk_max_f16 v22, v22, v22
	v_pk_max_f16 v56, v56, v56
	;; [unrolled: 1-line block ×24, first 2 shown]
	v_pk_min_f16 v75, v64, v56
	v_pk_min_f16 v77, v64, v58
	;; [unrolled: 1-line block ×64, first 2 shown]
	v_pk_add_f16 v41, v97, v41
	v_pk_add_f16 v33, v98, v33
	;; [unrolled: 1-line block ×42, first 2 shown]
	ds_load_2addr_b64 v[20:23], v6 offset1:32
	ds_load_2addr_b64 v[24:27], v13 offset0:48 offset1:56
	ds_load_2addr_b64 v[28:31], v6 offset0:64 offset1:96
	ds_load_2addr_b64 v[32:35], v13 offset1:8
	ds_load_2addr_b64 v[36:39], v13 offset0:16 offset1:24
	ds_load_2addr_b64 v[40:43], v13 offset0:32 offset1:40
	v_pk_add_f16 v49, v96, v49
	v_pk_add_f16 v48, v77, v48
	;; [unrolled: 1-line block ×14, first 2 shown]
	s_waitcnt lgkmcnt(5)
	v_pk_max_f16 v20, v20, v20
	s_waitcnt lgkmcnt(4)
	v_pk_max_f16 v26, v26, v26
	v_pk_max_f16 v22, v22, v22
	s_waitcnt lgkmcnt(3)
	v_pk_max_f16 v28, v28, v28
	s_waitcnt lgkmcnt(2)
	v_pk_max_f16 v32, v32, v32
	v_pk_max_f16 v30, v30, v30
	;; [unrolled: 1-line block ×3, first 2 shown]
	s_waitcnt lgkmcnt(1)
	v_pk_max_f16 v36, v36, v36
	v_pk_max_f16 v38, v38, v38
	s_waitcnt lgkmcnt(0)
	v_pk_max_f16 v40, v40, v40
	v_pk_max_f16 v42, v42, v42
	;; [unrolled: 1-line block ×3, first 2 shown]
	v_pk_add_f16 v47, v102, v47
	v_pk_add_f16 v54, v104, v54
	;; [unrolled: 1-line block ×8, first 2 shown]
	v_pk_max_f16 v21, v21, v21
	v_pk_max_f16 v23, v23, v23
	;; [unrolled: 1-line block ×12, first 2 shown]
	v_pk_min_f16 v75, v32, v20
	v_pk_min_f16 v77, v32, v22
	;; [unrolled: 1-line block ×64, first 2 shown]
	v_pk_add_f16 v27, v96, v49
	v_pk_add_f16 v29, v97, v56
	;; [unrolled: 1-line block ×32, first 2 shown]
	v_add_co_u32 v4, vcc_lo, v4, 16
	v_add_co_ci_u32_e32 v5, vcc_lo, 0, v5, vcc_lo
	v_pk_add_f16 v49, v33, v27
	v_pk_add_f16 v41, v39, v29
	;; [unrolled: 1-line block ×32, first 2 shown]
	s_cmp_ge_i32 s11, s10
	s_waitcnt vmcnt(2)
	ds_store_b16 v14, v78
	s_waitcnt vmcnt(1)
	ds_store_b16 v15, v79
	s_waitcnt vmcnt(0)
	ds_store_b16 v15, v76 offset:512
	s_waitcnt lgkmcnt(0)
	s_barrier
	buffer_gl0_inv
	s_cbranch_scc0 .LBB301_11
.LBB301_12:
	s_load_b32 s8, s[0:1], 0x50
	v_dual_mov_b32 v61, 0 :: v_dual_add_nc_u32 v56, s14, v8
	ds_load_b64 v[0:1], v6 offset:1024
	ds_load_b64 v[2:3], v9 offset:2560
	v_add_nc_u32_e32 v22, s3, v7
	v_cmp_neq_f16_e64 s9, s18, 0
	v_mov_b32_e32 v20, 0
	s_delay_alu instid0(VALU_DEP_3) | instskip(NEXT) | instid1(VALU_DEP_3)
	v_ashrrev_i32_e32 v23, 31, v22
	s_and_b32 vcc_lo, exec_lo, s9
	s_delay_alu instid0(VALU_DEP_1) | instskip(SKIP_2) | instid1(VALU_DEP_1)
	v_lshlrev_b64 v[16:17], 1, v[22:23]
	s_waitcnt lgkmcnt(0)
	v_mad_i64_i32 v[4:5], null, v56, s8, 0
	v_lshlrev_b64 v[4:5], 1, v[4:5]
	s_delay_alu instid0(VALU_DEP_1) | instskip(NEXT) | instid1(VALU_DEP_1)
	v_add_co_u32 v66, s3, s4, v4
	v_add_co_ci_u32_e64 v67, s3, s5, v5, s3
	s_cbranch_vccz .LBB301_14
; %bb.13:
	s_delay_alu instid0(VALU_DEP_2) | instskip(NEXT) | instid1(VALU_DEP_2)
	v_add_co_u32 v4, vcc_lo, v66, v16
	v_add_co_ci_u32_e32 v5, vcc_lo, v67, v17, vcc_lo
	flat_load_u16 v4, v[4:5]
	s_waitcnt vmcnt(0) lgkmcnt(0)
	v_mul_f16_e32 v20, s18, v4
.LBB301_14:
	s_clause 0x1
	s_load_b64 s[10:11], s[0:1], 0x70
	s_load_b32 s1, s[0:1], 0x68
	v_pk_max_f16 v69, v0, v0
	v_pk_max_f16 v57, v2, v2
	;; [unrolled: 1-line block ×4, first 2 shown]
	v_add_nc_u32_e32 v4, 0x800, v9
	ds_load_b64 v[23:24], v9 offset:3008
	ds_load_b64 v[18:19], v6 offset:1792
	v_pk_min_f16 v0, v57, v69
	v_add_nc_u32_e32 v59, 8, v22
	v_pk_min_f16 v5, v58, v68
	s_delay_alu instid0(VALU_DEP_3)
	v_pk_add_f16 v7, v0, v11
	ds_load_2addr_b64 v[0:3], v6 offset0:160 offset1:192
	ds_load_2addr_b64 v[12:15], v4 offset0:72 offset1:80
	;; [unrolled: 1-line block ×3, first 2 shown]
	v_ashrrev_i32_e32 v60, 31, v59
	v_pk_add_f16 v21, v5, v7
	ds_load_2addr_b64 v[4:7], v4 offset0:104 offset1:112
	s_waitcnt lgkmcnt(0)
	s_mul_i32 s0, s15, s11
	v_mad_i64_i32 v[62:63], null, v56, s1, 0
	s_mul_hi_u32 s3, s15, s10
	s_mul_i32 s11, s19, s10
	s_add_i32 s0, s3, s0
	s_mul_i32 s10, s15, s10
	s_add_i32 s11, s0, s11
	v_lshrrev_b32_e32 v64, 16, v21
	s_delay_alu instid0(VALU_DEP_2) | instskip(SKIP_1) | instid1(SALU_CYCLE_1)
	v_lshlrev_b64 v[62:63], 1, v[62:63]
	s_lshl_b64 s[10:11], s[10:11], 1
	s_add_u32 s3, s6, s10
	s_addc_u32 s6, s7, s11
	v_add_f16_e32 v21, v21, v64
	s_delay_alu instid0(VALU_DEP_2) | instskip(SKIP_2) | instid1(VALU_DEP_3)
	v_add_co_u32 v70, vcc_lo, s3, v62
	v_cndmask_b32_e64 v64, 0, 1, s9
	v_add_co_ci_u32_e32 v71, vcc_lo, s6, v63, vcc_lo
	v_add_co_u32 v62, vcc_lo, v70, v16
	v_add_f16_e32 v65, v21, v20
	v_lshlrev_b64 v[20:21], 1, v[59:60]
	v_cmp_ne_u32_e64 s0, 1, v64
	v_add_co_ci_u32_e32 v63, vcc_lo, v71, v17, vcc_lo
	s_and_not1_b32 vcc_lo, exec_lo, s9
	global_store_b16 v[62:63], v65, off
	s_cbranch_vccnz .LBB301_16
; %bb.15:
	v_add_co_u32 v59, vcc_lo, v66, v20
	v_add_co_ci_u32_e32 v60, vcc_lo, v67, v21, vcc_lo
	flat_load_u16 v59, v[59:60]
	s_waitcnt vmcnt(0) lgkmcnt(0)
	v_mul_f16_e32 v61, s18, v59
.LBB301_16:
	v_pk_max_f16 v59, v12, v12
	v_pk_max_f16 v60, v13, v13
	v_add_co_u32 v64, vcc_lo, v70, v20
	v_add_co_ci_u32_e32 v65, vcc_lo, v71, v21, vcc_lo
	s_delay_alu instid0(VALU_DEP_4) | instskip(NEXT) | instid1(VALU_DEP_4)
	v_pk_min_f16 v12, v59, v69
	v_pk_min_f16 v13, v60, v68
	s_and_b32 vcc_lo, exec_lo, s0
	v_mov_b32_e32 v63, 0
	s_delay_alu instid0(VALU_DEP_3) | instskip(NEXT) | instid1(VALU_DEP_1)
	v_pk_add_f16 v12, v12, v55
	v_pk_add_f16 v55, v13, v12
	v_add_nc_u32_e32 v12, 16, v22
	s_delay_alu instid0(VALU_DEP_2) | instskip(NEXT) | instid1(VALU_DEP_2)
	v_lshrrev_b32_e32 v62, 16, v55
	v_ashrrev_i32_e32 v13, 31, v12
	s_delay_alu instid0(VALU_DEP_2) | instskip(NEXT) | instid1(VALU_DEP_2)
	v_add_f16_e32 v55, v55, v62
	v_lshlrev_b64 v[12:13], 1, v[12:13]
	v_mov_b32_e32 v62, 0
	s_delay_alu instid0(VALU_DEP_3)
	v_add_f16_e32 v55, v55, v61
	global_store_b16 v[64:65], v55, off
	s_cbranch_vccnz .LBB301_18
; %bb.17:
	v_add_co_u32 v61, vcc_lo, v66, v12
	v_add_co_ci_u32_e32 v62, vcc_lo, v67, v13, vcc_lo
	flat_load_u16 v55, v[61:62]
	s_waitcnt vmcnt(0) lgkmcnt(0)
	v_mul_f16_e32 v62, s18, v55
.LBB301_18:
	v_pk_max_f16 v55, v14, v14
	v_pk_max_f16 v61, v15, v15
	s_delay_alu instid0(VALU_DEP_2) | instskip(NEXT) | instid1(VALU_DEP_2)
	v_pk_min_f16 v14, v55, v69
	v_pk_min_f16 v15, v61, v68
	s_delay_alu instid0(VALU_DEP_2) | instskip(NEXT) | instid1(VALU_DEP_1)
	v_pk_add_f16 v14, v14, v54
	v_pk_add_f16 v54, v15, v14
	v_add_nc_u32_e32 v14, 24, v22
	s_delay_alu instid0(VALU_DEP_2) | instskip(NEXT) | instid1(VALU_DEP_2)
	v_lshrrev_b32_e32 v64, 16, v54
	v_ashrrev_i32_e32 v15, 31, v14
	s_delay_alu instid0(VALU_DEP_2) | instskip(SKIP_1) | instid1(VALU_DEP_3)
	v_add_f16_e32 v54, v54, v64
	v_add_co_u32 v64, vcc_lo, v70, v12
	v_lshlrev_b64 v[14:15], 1, v[14:15]
	v_add_co_ci_u32_e32 v65, vcc_lo, v71, v13, vcc_lo
	s_delay_alu instid0(VALU_DEP_4)
	v_add_f16_e32 v54, v54, v62
	s_and_b32 vcc_lo, exec_lo, s0
	global_store_b16 v[64:65], v54, off
	s_cbranch_vccnz .LBB301_20
; %bb.19:
	v_add_co_u32 v62, vcc_lo, v66, v14
	v_add_co_ci_u32_e32 v63, vcc_lo, v67, v15, vcc_lo
	flat_load_u16 v54, v[62:63]
	s_waitcnt vmcnt(0) lgkmcnt(0)
	v_mul_f16_e32 v63, s18, v54
.LBB301_20:
	v_pk_max_f16 v54, v8, v8
	v_pk_max_f16 v62, v9, v9
	v_add_co_u32 v72, vcc_lo, v70, v14
	v_add_co_ci_u32_e32 v73, vcc_lo, v71, v15, vcc_lo
	s_delay_alu instid0(VALU_DEP_4) | instskip(NEXT) | instid1(VALU_DEP_4)
	v_pk_min_f16 v8, v54, v69
	v_pk_min_f16 v9, v62, v68
	s_and_b32 vcc_lo, exec_lo, s0
	v_mov_b32_e32 v65, 0
	s_delay_alu instid0(VALU_DEP_3) | instskip(NEXT) | instid1(VALU_DEP_1)
	v_pk_add_f16 v8, v8, v53
	v_pk_add_f16 v53, v9, v8
	v_add_nc_u32_e32 v8, 32, v22
	s_delay_alu instid0(VALU_DEP_2) | instskip(NEXT) | instid1(VALU_DEP_2)
	v_lshrrev_b32_e32 v64, 16, v53
	v_ashrrev_i32_e32 v9, 31, v8
	s_delay_alu instid0(VALU_DEP_2) | instskip(NEXT) | instid1(VALU_DEP_2)
	v_add_f16_e32 v53, v53, v64
	v_lshlrev_b64 v[8:9], 1, v[8:9]
	v_mov_b32_e32 v64, 0
	s_delay_alu instid0(VALU_DEP_3)
	v_add_f16_e32 v53, v53, v63
	global_store_b16 v[72:73], v53, off
	s_cbranch_vccnz .LBB301_22
; %bb.21:
	v_add_co_u32 v63, vcc_lo, v66, v8
	v_add_co_ci_u32_e32 v64, vcc_lo, v67, v9, vcc_lo
	flat_load_u16 v53, v[63:64]
	s_waitcnt vmcnt(0) lgkmcnt(0)
	v_mul_f16_e32 v64, s18, v53
.LBB301_22:
	v_pk_max_f16 v53, v10, v10
	v_pk_max_f16 v63, v11, v11
	s_delay_alu instid0(VALU_DEP_2) | instskip(NEXT) | instid1(VALU_DEP_2)
	v_pk_min_f16 v10, v53, v69
	v_pk_min_f16 v11, v63, v68
	s_delay_alu instid0(VALU_DEP_2) | instskip(NEXT) | instid1(VALU_DEP_1)
	v_pk_add_f16 v10, v10, v52
	v_pk_add_f16 v52, v11, v10
	v_add_nc_u32_e32 v10, 40, v22
	s_delay_alu instid0(VALU_DEP_2) | instskip(NEXT) | instid1(VALU_DEP_2)
	v_lshrrev_b32_e32 v72, 16, v52
	v_ashrrev_i32_e32 v11, 31, v10
	s_delay_alu instid0(VALU_DEP_2) | instskip(SKIP_1) | instid1(VALU_DEP_3)
	v_add_f16_e32 v52, v52, v72
	v_add_co_u32 v72, vcc_lo, v70, v8
	v_lshlrev_b64 v[10:11], 1, v[10:11]
	v_add_co_ci_u32_e32 v73, vcc_lo, v71, v9, vcc_lo
	s_delay_alu instid0(VALU_DEP_4)
	v_add_f16_e32 v52, v52, v64
	s_and_b32 vcc_lo, exec_lo, s0
	global_store_b16 v[72:73], v52, off
	s_cbranch_vccnz .LBB301_24
; %bb.23:
	v_add_co_u32 v64, vcc_lo, v66, v10
	v_add_co_ci_u32_e32 v65, vcc_lo, v67, v11, vcc_lo
	flat_load_u16 v52, v[64:65]
	s_waitcnt vmcnt(0) lgkmcnt(0)
	v_mul_f16_e32 v65, s18, v52
.LBB301_24:
	v_pk_max_f16 v52, v4, v4
	v_pk_max_f16 v64, v5, v5
	v_add_co_u32 v74, vcc_lo, v70, v10
	v_add_co_ci_u32_e32 v75, vcc_lo, v71, v11, vcc_lo
	s_delay_alu instid0(VALU_DEP_4) | instskip(NEXT) | instid1(VALU_DEP_4)
	v_pk_min_f16 v4, v52, v69
	v_pk_min_f16 v5, v64, v68
	s_and_b32 vcc_lo, exec_lo, s0
	v_mov_b32_e32 v73, 0
	s_delay_alu instid0(VALU_DEP_3) | instskip(NEXT) | instid1(VALU_DEP_1)
	v_pk_add_f16 v4, v4, v51
	v_pk_add_f16 v51, v5, v4
	v_add_nc_u32_e32 v4, 48, v22
	s_delay_alu instid0(VALU_DEP_2) | instskip(NEXT) | instid1(VALU_DEP_2)
	v_lshrrev_b32_e32 v72, 16, v51
	v_ashrrev_i32_e32 v5, 31, v4
	s_delay_alu instid0(VALU_DEP_2) | instskip(NEXT) | instid1(VALU_DEP_2)
	v_add_f16_e32 v51, v51, v72
	v_lshlrev_b64 v[4:5], 1, v[4:5]
	v_mov_b32_e32 v72, 0
	s_delay_alu instid0(VALU_DEP_3)
	v_add_f16_e32 v51, v51, v65
	global_store_b16 v[74:75], v51, off
	s_cbranch_vccnz .LBB301_26
; %bb.25:
	v_add_co_u32 v73, vcc_lo, v66, v4
	v_add_co_ci_u32_e32 v74, vcc_lo, v67, v5, vcc_lo
	flat_load_u16 v51, v[73:74]
	s_waitcnt vmcnt(0) lgkmcnt(0)
	v_mul_f16_e32 v73, s18, v51
.LBB301_26:
	v_pk_max_f16 v51, v6, v6
	v_pk_max_f16 v65, v7, v7
	v_add_co_u32 v74, vcc_lo, v70, v4
	v_add_co_ci_u32_e32 v75, vcc_lo, v71, v5, vcc_lo
	s_delay_alu instid0(VALU_DEP_4) | instskip(NEXT) | instid1(VALU_DEP_4)
	v_pk_min_f16 v6, v51, v69
	v_pk_min_f16 v7, v65, v68
	s_and_b32 vcc_lo, exec_lo, s0
	s_delay_alu instid0(VALU_DEP_2) | instskip(NEXT) | instid1(VALU_DEP_1)
	v_pk_add_f16 v6, v6, v50
	v_pk_add_f16 v50, v7, v6
	v_add_nc_u32_e32 v6, 56, v22
	s_delay_alu instid0(VALU_DEP_2) | instskip(NEXT) | instid1(VALU_DEP_2)
	v_lshrrev_b32_e32 v22, 16, v50
	v_ashrrev_i32_e32 v7, 31, v6
	s_delay_alu instid0(VALU_DEP_2) | instskip(NEXT) | instid1(VALU_DEP_2)
	v_add_f16_e32 v22, v50, v22
	v_lshlrev_b64 v[6:7], 1, v[6:7]
	s_delay_alu instid0(VALU_DEP_2)
	v_add_f16_e32 v22, v22, v73
	global_store_b16 v[74:75], v22, off
	s_cbranch_vccnz .LBB301_28
; %bb.27:
	v_add_co_u32 v66, vcc_lo, v66, v6
	v_add_co_ci_u32_e32 v67, vcc_lo, v67, v7, vcc_lo
	flat_load_u16 v22, v[66:67]
	s_waitcnt vmcnt(0) lgkmcnt(0)
	v_mul_f16_e32 v72, s18, v22
.LBB301_28:
	v_pk_max_f16 v22, v23, v23
	v_pk_max_f16 v23, v24, v24
	v_add_nc_u32_e32 v67, 32, v56
	s_delay_alu instid0(VALU_DEP_3) | instskip(NEXT) | instid1(VALU_DEP_3)
	v_pk_min_f16 v24, v22, v69
	v_pk_min_f16 v66, v23, v68
	v_add_co_u32 v69, vcc_lo, v70, v6
	v_add_co_ci_u32_e32 v70, vcc_lo, v71, v7, vcc_lo
	s_delay_alu instid0(VALU_DEP_4) | instskip(SKIP_2) | instid1(VALU_DEP_3)
	v_pk_add_f16 v24, v24, v49
	v_mad_i64_i32 v[49:50], null, v67, s8, 0
	v_mov_b32_e32 v68, 0
	v_pk_add_f16 v24, v66, v24
	s_delay_alu instid0(VALU_DEP_3) | instskip(NEXT) | instid1(VALU_DEP_2)
	v_lshlrev_b64 v[49:50], 1, v[49:50]
	v_lshrrev_b32_e32 v66, 16, v24
	s_delay_alu instid0(VALU_DEP_1) | instskip(NEXT) | instid1(VALU_DEP_3)
	v_add_f16_e32 v66, v24, v66
	v_add_co_u32 v24, vcc_lo, s4, v49
	s_delay_alu instid0(VALU_DEP_4) | instskip(NEXT) | instid1(VALU_DEP_3)
	v_add_co_ci_u32_e32 v49, vcc_lo, s5, v50, vcc_lo
	v_add_f16_e32 v50, v66, v72
	v_mov_b32_e32 v66, 0
	s_and_b32 vcc_lo, exec_lo, s0
	global_store_b16 v[69:70], v50, off
	s_cbranch_vccnz .LBB301_30
; %bb.29:
	v_add_co_u32 v68, vcc_lo, v24, v16
	v_add_co_ci_u32_e32 v69, vcc_lo, v49, v17, vcc_lo
	flat_load_u16 v50, v[68:69]
	s_waitcnt vmcnt(0) lgkmcnt(0)
	v_mul_f16_e32 v68, s18, v50
.LBB301_30:
	v_pk_max_f16 v50, v0, v0
	v_pk_max_f16 v0, v1, v1
	v_mad_i64_i32 v[69:70], null, v67, s1, 0
	s_delay_alu instid0(VALU_DEP_3) | instskip(NEXT) | instid1(VALU_DEP_3)
	v_pk_min_f16 v1, v57, v50
	v_pk_min_f16 v71, v58, v0
	s_delay_alu instid0(VALU_DEP_3) | instskip(NEXT) | instid1(VALU_DEP_3)
	v_lshlrev_b64 v[69:70], 1, v[69:70]
	v_pk_add_f16 v1, v1, v48
	s_delay_alu instid0(VALU_DEP_1) | instskip(NEXT) | instid1(VALU_DEP_1)
	v_pk_add_f16 v1, v71, v1
	v_lshrrev_b32_e32 v48, 16, v1
	s_delay_alu instid0(VALU_DEP_1) | instskip(SKIP_2) | instid1(VALU_DEP_3)
	v_add_f16_e32 v67, v1, v48
	v_add_co_u32 v1, vcc_lo, s3, v69
	v_add_co_ci_u32_e32 v48, vcc_lo, s6, v70, vcc_lo
	v_add_f16_e32 v69, v67, v68
	s_delay_alu instid0(VALU_DEP_3) | instskip(NEXT) | instid1(VALU_DEP_3)
	v_add_co_u32 v67, vcc_lo, v1, v16
	v_add_co_ci_u32_e32 v68, vcc_lo, v48, v17, vcc_lo
	s_and_b32 vcc_lo, exec_lo, s0
	global_store_b16 v[67:68], v69, off
	s_cbranch_vccnz .LBB301_32
; %bb.31:
	v_add_co_u32 v66, vcc_lo, v24, v20
	v_add_co_ci_u32_e32 v67, vcc_lo, v49, v21, vcc_lo
	flat_load_u16 v66, v[66:67]
	s_waitcnt vmcnt(0) lgkmcnt(0)
	v_mul_f16_e32 v66, s18, v66
.LBB301_32:
	v_pk_min_f16 v67, v59, v50
	v_pk_min_f16 v68, v60, v0
	s_delay_alu instid0(VALU_DEP_2) | instskip(NEXT) | instid1(VALU_DEP_1)
	v_pk_add_f16 v47, v67, v47
	v_pk_add_f16 v47, v68, v47
	s_delay_alu instid0(VALU_DEP_1) | instskip(NEXT) | instid1(VALU_DEP_1)
	v_lshrrev_b32_e32 v67, 16, v47
	v_add_f16_e32 v47, v47, v67
	v_add_co_u32 v67, vcc_lo, v1, v20
	v_add_co_ci_u32_e32 v68, vcc_lo, v48, v21, vcc_lo
	s_delay_alu instid0(VALU_DEP_3)
	v_add_f16_e32 v69, v47, v66
	v_dual_mov_b32 v47, 0 :: v_dual_mov_b32 v66, 0
	s_and_b32 vcc_lo, exec_lo, s0
	global_store_b16 v[67:68], v69, off
	s_cbranch_vccnz .LBB301_34
; %bb.33:
	v_add_co_u32 v66, vcc_lo, v24, v12
	v_add_co_ci_u32_e32 v67, vcc_lo, v49, v13, vcc_lo
	flat_load_u16 v66, v[66:67]
	s_waitcnt vmcnt(0) lgkmcnt(0)
	v_mul_f16_e32 v66, s18, v66
.LBB301_34:
	v_pk_min_f16 v67, v55, v50
	v_pk_min_f16 v68, v61, v0
	s_delay_alu instid0(VALU_DEP_2) | instskip(NEXT) | instid1(VALU_DEP_1)
	v_pk_add_f16 v46, v67, v46
	v_pk_add_f16 v46, v68, v46
	s_delay_alu instid0(VALU_DEP_1) | instskip(NEXT) | instid1(VALU_DEP_1)
	v_lshrrev_b32_e32 v67, 16, v46
	v_add_f16_e32 v46, v46, v67
	s_delay_alu instid0(VALU_DEP_1)
	v_add_f16_e32 v46, v46, v66
	v_add_co_u32 v66, vcc_lo, v1, v12
	v_add_co_ci_u32_e32 v67, vcc_lo, v48, v13, vcc_lo
	s_and_b32 vcc_lo, exec_lo, s0
	global_store_b16 v[66:67], v46, off
	s_cbranch_vccnz .LBB301_36
; %bb.35:
	v_add_co_u32 v46, vcc_lo, v24, v14
	v_add_co_ci_u32_e32 v47, vcc_lo, v49, v15, vcc_lo
	flat_load_u16 v46, v[46:47]
	s_waitcnt vmcnt(0) lgkmcnt(0)
	v_mul_f16_e32 v47, s18, v46
.LBB301_36:
	v_pk_min_f16 v46, v54, v50
	v_pk_min_f16 v66, v62, v0
	s_delay_alu instid0(VALU_DEP_2) | instskip(NEXT) | instid1(VALU_DEP_1)
	v_pk_add_f16 v45, v46, v45
	v_pk_add_f16 v45, v66, v45
	v_add_co_u32 v66, vcc_lo, v1, v14
	v_add_co_ci_u32_e32 v67, vcc_lo, v48, v15, vcc_lo
	s_delay_alu instid0(VALU_DEP_3) | instskip(SKIP_1) | instid1(VALU_DEP_1)
	v_lshrrev_b32_e32 v46, 16, v45
	s_and_b32 vcc_lo, exec_lo, s0
	v_add_f16_e32 v45, v45, v46
	v_mov_b32_e32 v46, 0
	s_delay_alu instid0(VALU_DEP_2)
	v_add_f16_e32 v47, v45, v47
	v_mov_b32_e32 v45, 0
	global_store_b16 v[66:67], v47, off
	s_cbranch_vccnz .LBB301_38
; %bb.37:
	v_add_co_u32 v46, vcc_lo, v24, v8
	v_add_co_ci_u32_e32 v47, vcc_lo, v49, v9, vcc_lo
	flat_load_u16 v46, v[46:47]
	s_waitcnt vmcnt(0) lgkmcnt(0)
	v_mul_f16_e32 v46, s18, v46
.LBB301_38:
	v_pk_min_f16 v47, v53, v50
	v_pk_min_f16 v66, v63, v0
	s_delay_alu instid0(VALU_DEP_2) | instskip(NEXT) | instid1(VALU_DEP_1)
	v_pk_add_f16 v44, v47, v44
	v_pk_add_f16 v44, v66, v44
	s_delay_alu instid0(VALU_DEP_1) | instskip(NEXT) | instid1(VALU_DEP_1)
	v_lshrrev_b32_e32 v47, 16, v44
	v_add_f16_e32 v44, v44, v47
	s_delay_alu instid0(VALU_DEP_1)
	v_add_f16_e32 v44, v44, v46
	v_add_co_u32 v46, vcc_lo, v1, v8
	v_add_co_ci_u32_e32 v47, vcc_lo, v48, v9, vcc_lo
	s_and_b32 vcc_lo, exec_lo, s0
	global_store_b16 v[46:47], v44, off
	s_cbranch_vccnz .LBB301_40
; %bb.39:
	v_add_co_u32 v44, vcc_lo, v24, v10
	v_add_co_ci_u32_e32 v45, vcc_lo, v49, v11, vcc_lo
	flat_load_u16 v44, v[44:45]
	s_waitcnt vmcnt(0) lgkmcnt(0)
	v_mul_f16_e32 v45, s18, v44
.LBB301_40:
	v_pk_min_f16 v44, v52, v50
	v_pk_min_f16 v46, v64, v0
	s_delay_alu instid0(VALU_DEP_2) | instskip(NEXT) | instid1(VALU_DEP_1)
	v_pk_add_f16 v43, v44, v43
	v_pk_add_f16 v43, v46, v43
	v_add_co_u32 v46, vcc_lo, v1, v10
	v_add_co_ci_u32_e32 v47, vcc_lo, v48, v11, vcc_lo
	s_delay_alu instid0(VALU_DEP_3) | instskip(SKIP_1) | instid1(VALU_DEP_1)
	v_lshrrev_b32_e32 v44, 16, v43
	s_and_b32 vcc_lo, exec_lo, s0
	v_add_f16_e32 v43, v43, v44
	v_mov_b32_e32 v44, 0
	s_delay_alu instid0(VALU_DEP_2)
	v_add_f16_e32 v45, v43, v45
	v_mov_b32_e32 v43, 0
	global_store_b16 v[46:47], v45, off
	s_cbranch_vccnz .LBB301_42
; %bb.41:
	v_add_co_u32 v44, vcc_lo, v24, v4
	v_add_co_ci_u32_e32 v45, vcc_lo, v49, v5, vcc_lo
	flat_load_u16 v44, v[44:45]
	s_waitcnt vmcnt(0) lgkmcnt(0)
	v_mul_f16_e32 v44, s18, v44
.LBB301_42:
	v_pk_min_f16 v45, v51, v50
	v_pk_min_f16 v46, v65, v0
	s_delay_alu instid0(VALU_DEP_2) | instskip(NEXT) | instid1(VALU_DEP_1)
	v_pk_add_f16 v42, v45, v42
	v_pk_add_f16 v42, v46, v42
	s_delay_alu instid0(VALU_DEP_1) | instskip(NEXT) | instid1(VALU_DEP_1)
	v_lshrrev_b32_e32 v45, 16, v42
	v_add_f16_e32 v42, v42, v45
	s_delay_alu instid0(VALU_DEP_1)
	v_add_f16_e32 v42, v42, v44
	v_add_co_u32 v44, vcc_lo, v1, v4
	v_add_co_ci_u32_e32 v45, vcc_lo, v48, v5, vcc_lo
	s_and_b32 vcc_lo, exec_lo, s0
	global_store_b16 v[44:45], v42, off
	s_cbranch_vccnz .LBB301_44
; %bb.43:
	v_add_co_u32 v42, vcc_lo, v24, v6
	v_add_co_ci_u32_e32 v43, vcc_lo, v49, v7, vcc_lo
	flat_load_u16 v24, v[42:43]
	s_waitcnt vmcnt(0) lgkmcnt(0)
	v_mul_f16_e32 v43, s18, v24
.LBB301_44:
	v_pk_min_f16 v24, v22, v50
	v_pk_min_f16 v0, v23, v0
	v_add_nc_u32_e32 v44, 64, v56
	v_add_co_u32 v45, vcc_lo, v1, v6
	s_delay_alu instid0(VALU_DEP_4) | instskip(SKIP_1) | instid1(VALU_DEP_2)
	v_pk_add_f16 v24, v24, v41
	v_add_co_ci_u32_e32 v46, vcc_lo, v48, v7, vcc_lo
	v_pk_add_f16 v0, v0, v24
	s_delay_alu instid0(VALU_DEP_1) | instskip(NEXT) | instid1(VALU_DEP_1)
	v_lshrrev_b32_e32 v24, 16, v0
	v_add_f16_e32 v0, v0, v24
	s_delay_alu instid0(VALU_DEP_1) | instskip(SKIP_4) | instid1(VALU_DEP_1)
	v_add_f16_e32 v0, v0, v43
	v_mov_b32_e32 v43, 0
	v_mad_i64_i32 v[41:42], null, v44, s8, 0
	global_store_b16 v[45:46], v0, off
	v_lshlrev_b64 v[41:42], 1, v[41:42]
	v_add_co_u32 v1, vcc_lo, s4, v41
	s_delay_alu instid0(VALU_DEP_2)
	v_add_co_ci_u32_e32 v24, vcc_lo, s5, v42, vcc_lo
	v_mov_b32_e32 v42, 0
	s_and_b32 vcc_lo, exec_lo, s0
	s_cbranch_vccnz .LBB301_46
; %bb.45:
	v_add_co_u32 v45, vcc_lo, v1, v16
	v_add_co_ci_u32_e32 v46, vcc_lo, v24, v17, vcc_lo
	flat_load_u16 v0, v[45:46]
	s_waitcnt vmcnt(0) lgkmcnt(0)
	v_mul_f16_e32 v43, s18, v0
.LBB301_46:
	v_pk_max_f16 v41, v2, v2
	v_pk_max_f16 v0, v3, v3
	s_delay_alu instid0(VALU_DEP_2) | instskip(NEXT) | instid1(VALU_DEP_2)
	v_pk_min_f16 v2, v57, v41
	v_pk_min_f16 v45, v58, v0
	s_delay_alu instid0(VALU_DEP_2) | instskip(SKIP_1) | instid1(VALU_DEP_2)
	v_pk_add_f16 v40, v2, v40
	v_mad_i64_i32 v[2:3], null, v44, s1, 0
	v_pk_add_f16 v40, v45, v40
	s_delay_alu instid0(VALU_DEP_2) | instskip(NEXT) | instid1(VALU_DEP_2)
	v_lshlrev_b64 v[2:3], 1, v[2:3]
	v_lshrrev_b32_e32 v44, 16, v40
	s_delay_alu instid0(VALU_DEP_2) | instskip(NEXT) | instid1(VALU_DEP_2)
	v_add_co_u32 v2, vcc_lo, s3, v2
	v_add_f16_e32 v40, v40, v44
	s_delay_alu instid0(VALU_DEP_4) | instskip(NEXT) | instid1(VALU_DEP_2)
	v_add_co_ci_u32_e32 v3, vcc_lo, s6, v3, vcc_lo
	v_add_f16_e32 v40, v40, v43
	s_delay_alu instid0(VALU_DEP_4) | instskip(NEXT) | instid1(VALU_DEP_3)
	v_add_co_u32 v43, vcc_lo, v2, v16
	v_add_co_ci_u32_e32 v44, vcc_lo, v3, v17, vcc_lo
	s_and_b32 vcc_lo, exec_lo, s0
	global_store_b16 v[43:44], v40, off
	s_cbranch_vccnz .LBB301_48
; %bb.47:
	v_add_co_u32 v42, vcc_lo, v1, v20
	v_add_co_ci_u32_e32 v43, vcc_lo, v24, v21, vcc_lo
	flat_load_u16 v40, v[42:43]
	s_waitcnt vmcnt(0) lgkmcnt(0)
	v_mul_f16_e32 v42, s18, v40
.LBB301_48:
	v_pk_min_f16 v40, v59, v41
	v_pk_min_f16 v43, v60, v0
	s_delay_alu instid0(VALU_DEP_2) | instskip(NEXT) | instid1(VALU_DEP_1)
	v_pk_add_f16 v39, v40, v39
	v_pk_add_f16 v39, v43, v39
	v_add_co_u32 v43, vcc_lo, v2, v20
	v_add_co_ci_u32_e32 v44, vcc_lo, v3, v21, vcc_lo
	s_delay_alu instid0(VALU_DEP_3) | instskip(SKIP_1) | instid1(VALU_DEP_1)
	v_lshrrev_b32_e32 v40, 16, v39
	s_and_b32 vcc_lo, exec_lo, s0
	v_add_f16_e32 v39, v39, v40
	v_mov_b32_e32 v40, 0
	s_delay_alu instid0(VALU_DEP_2)
	v_add_f16_e32 v42, v39, v42
	v_mov_b32_e32 v39, 0
	global_store_b16 v[43:44], v42, off
	s_cbranch_vccnz .LBB301_50
; %bb.49:
	v_add_co_u32 v42, vcc_lo, v1, v12
	v_add_co_ci_u32_e32 v43, vcc_lo, v24, v13, vcc_lo
	flat_load_u16 v40, v[42:43]
	s_waitcnt vmcnt(0) lgkmcnt(0)
	v_mul_f16_e32 v40, s18, v40
.LBB301_50:
	v_pk_min_f16 v42, v55, v41
	v_pk_min_f16 v43, v61, v0
	s_delay_alu instid0(VALU_DEP_2) | instskip(NEXT) | instid1(VALU_DEP_1)
	v_pk_add_f16 v38, v42, v38
	v_pk_add_f16 v38, v43, v38
	s_delay_alu instid0(VALU_DEP_1) | instskip(NEXT) | instid1(VALU_DEP_1)
	v_lshrrev_b32_e32 v42, 16, v38
	v_add_f16_e32 v38, v38, v42
	v_add_co_u32 v42, vcc_lo, v2, v12
	v_add_co_ci_u32_e32 v43, vcc_lo, v3, v13, vcc_lo
	s_delay_alu instid0(VALU_DEP_3)
	v_add_f16_e32 v38, v38, v40
	s_and_b32 vcc_lo, exec_lo, s0
	global_store_b16 v[42:43], v38, off
	s_cbranch_vccnz .LBB301_52
; %bb.51:
	v_add_co_u32 v38, vcc_lo, v1, v14
	v_add_co_ci_u32_e32 v39, vcc_lo, v24, v15, vcc_lo
	flat_load_u16 v38, v[38:39]
	s_waitcnt vmcnt(0) lgkmcnt(0)
	v_mul_f16_e32 v39, s18, v38
.LBB301_52:
	v_pk_min_f16 v38, v54, v41
	v_pk_min_f16 v40, v62, v0
	v_add_co_u32 v42, vcc_lo, v2, v14
	v_add_co_ci_u32_e32 v43, vcc_lo, v3, v15, vcc_lo
	s_delay_alu instid0(VALU_DEP_4) | instskip(SKIP_1) | instid1(VALU_DEP_1)
	v_pk_add_f16 v37, v38, v37
	s_and_b32 vcc_lo, exec_lo, s0
	v_pk_add_f16 v37, v40, v37
	s_delay_alu instid0(VALU_DEP_1) | instskip(NEXT) | instid1(VALU_DEP_1)
	v_lshrrev_b32_e32 v38, 16, v37
	v_add_f16_e32 v37, v37, v38
	v_mov_b32_e32 v38, 0
	s_delay_alu instid0(VALU_DEP_2)
	v_add_f16_e32 v39, v37, v39
	v_mov_b32_e32 v37, 0
	global_store_b16 v[42:43], v39, off
	s_cbranch_vccnz .LBB301_54
; %bb.53:
	v_add_co_u32 v38, vcc_lo, v1, v8
	v_add_co_ci_u32_e32 v39, vcc_lo, v24, v9, vcc_lo
	flat_load_u16 v38, v[38:39]
	s_waitcnt vmcnt(0) lgkmcnt(0)
	v_mul_f16_e32 v38, s18, v38
.LBB301_54:
	v_pk_min_f16 v39, v53, v41
	v_pk_min_f16 v40, v63, v0
	s_delay_alu instid0(VALU_DEP_2) | instskip(NEXT) | instid1(VALU_DEP_1)
	v_pk_add_f16 v36, v39, v36
	v_pk_add_f16 v36, v40, v36
	s_delay_alu instid0(VALU_DEP_1) | instskip(NEXT) | instid1(VALU_DEP_1)
	v_lshrrev_b32_e32 v39, 16, v36
	v_add_f16_e32 v36, v36, v39
	s_delay_alu instid0(VALU_DEP_1)
	v_add_f16_e32 v36, v36, v38
	v_add_co_u32 v38, vcc_lo, v2, v8
	v_add_co_ci_u32_e32 v39, vcc_lo, v3, v9, vcc_lo
	s_and_b32 vcc_lo, exec_lo, s0
	global_store_b16 v[38:39], v36, off
	s_cbranch_vccnz .LBB301_56
; %bb.55:
	v_add_co_u32 v36, vcc_lo, v1, v10
	v_add_co_ci_u32_e32 v37, vcc_lo, v24, v11, vcc_lo
	flat_load_u16 v36, v[36:37]
	s_waitcnt vmcnt(0) lgkmcnt(0)
	v_mul_f16_e32 v37, s18, v36
.LBB301_56:
	v_pk_min_f16 v36, v52, v41
	v_pk_min_f16 v38, v64, v0
	s_delay_alu instid0(VALU_DEP_2) | instskip(NEXT) | instid1(VALU_DEP_1)
	v_pk_add_f16 v35, v36, v35
	v_pk_add_f16 v35, v38, v35
	v_add_co_u32 v38, vcc_lo, v2, v10
	v_add_co_ci_u32_e32 v39, vcc_lo, v3, v11, vcc_lo
	s_delay_alu instid0(VALU_DEP_3) | instskip(SKIP_1) | instid1(VALU_DEP_1)
	v_lshrrev_b32_e32 v36, 16, v35
	s_and_b32 vcc_lo, exec_lo, s0
	v_add_f16_e32 v35, v35, v36
	v_mov_b32_e32 v36, 0
	s_delay_alu instid0(VALU_DEP_2)
	v_add_f16_e32 v37, v35, v37
	v_mov_b32_e32 v35, 0
	global_store_b16 v[38:39], v37, off
	s_cbranch_vccnz .LBB301_58
; %bb.57:
	v_add_co_u32 v36, vcc_lo, v1, v4
	v_add_co_ci_u32_e32 v37, vcc_lo, v24, v5, vcc_lo
	flat_load_u16 v36, v[36:37]
	s_waitcnt vmcnt(0) lgkmcnt(0)
	v_mul_f16_e32 v36, s18, v36
.LBB301_58:
	v_pk_min_f16 v37, v51, v41
	v_pk_min_f16 v38, v65, v0
	s_delay_alu instid0(VALU_DEP_2) | instskip(NEXT) | instid1(VALU_DEP_1)
	v_pk_add_f16 v34, v37, v34
	v_pk_add_f16 v34, v38, v34
	s_delay_alu instid0(VALU_DEP_1) | instskip(NEXT) | instid1(VALU_DEP_1)
	v_lshrrev_b32_e32 v37, 16, v34
	v_add_f16_e32 v34, v34, v37
	s_delay_alu instid0(VALU_DEP_1)
	v_add_f16_e32 v34, v34, v36
	v_add_co_u32 v36, vcc_lo, v2, v4
	v_add_co_ci_u32_e32 v37, vcc_lo, v3, v5, vcc_lo
	s_and_b32 vcc_lo, exec_lo, s0
	global_store_b16 v[36:37], v34, off
	s_cbranch_vccnz .LBB301_60
; %bb.59:
	v_add_co_u32 v34, vcc_lo, v1, v6
	v_add_co_ci_u32_e32 v35, vcc_lo, v24, v7, vcc_lo
	flat_load_u16 v1, v[34:35]
	s_waitcnt vmcnt(0) lgkmcnt(0)
	v_mul_f16_e32 v35, s18, v1
.LBB301_60:
	v_pk_min_f16 v1, v22, v41
	v_pk_min_f16 v24, v23, v0
	v_add_nc_u32_e32 v34, 0x60, v56
	v_add_co_u32 v2, vcc_lo, v2, v6
	s_delay_alu instid0(VALU_DEP_4) | instskip(SKIP_1) | instid1(VALU_DEP_2)
	v_pk_add_f16 v33, v1, v33
	v_add_co_ci_u32_e32 v3, vcc_lo, v3, v7, vcc_lo
	v_pk_add_f16 v24, v24, v33
	s_delay_alu instid0(VALU_DEP_1) | instskip(NEXT) | instid1(VALU_DEP_1)
	v_lshrrev_b32_e32 v33, 16, v24
	v_add_f16_e32 v24, v24, v33
	v_mov_b32_e32 v33, 0
	v_mad_i64_i32 v[0:1], null, v34, s8, 0
	s_delay_alu instid0(VALU_DEP_3) | instskip(SKIP_1) | instid1(VALU_DEP_3)
	v_add_f16_e32 v35, v24, v35
	v_mov_b32_e32 v24, 0
	v_lshlrev_b64 v[0:1], 1, v[0:1]
	global_store_b16 v[2:3], v35, off
	v_add_co_u32 v0, vcc_lo, s4, v0
	v_add_co_ci_u32_e32 v1, vcc_lo, s5, v1, vcc_lo
	s_and_b32 vcc_lo, exec_lo, s0
	s_cbranch_vccnz .LBB301_62
; %bb.61:
	s_delay_alu instid0(VALU_DEP_2) | instskip(NEXT) | instid1(VALU_DEP_2)
	v_add_co_u32 v2, vcc_lo, v0, v16
	v_add_co_ci_u32_e32 v3, vcc_lo, v1, v17, vcc_lo
	flat_load_u16 v2, v[2:3]
	s_waitcnt vmcnt(0) lgkmcnt(0)
	v_mul_f16_e32 v33, s18, v2
.LBB301_62:
	v_pk_max_f16 v2, v18, v18
	v_pk_max_f16 v3, v19, v19
	s_delay_alu instid0(VALU_DEP_2) | instskip(NEXT) | instid1(VALU_DEP_2)
	v_pk_min_f16 v18, v57, v2
	v_pk_min_f16 v35, v58, v3
	s_delay_alu instid0(VALU_DEP_2) | instskip(SKIP_1) | instid1(VALU_DEP_2)
	v_pk_add_f16 v32, v18, v32
	v_mad_i64_i32 v[18:19], null, v34, s1, 0
	v_pk_add_f16 v32, v35, v32
	s_delay_alu instid0(VALU_DEP_2) | instskip(NEXT) | instid1(VALU_DEP_2)
	v_lshlrev_b64 v[18:19], 1, v[18:19]
	v_lshrrev_b32_e32 v34, 16, v32
	s_delay_alu instid0(VALU_DEP_2) | instskip(NEXT) | instid1(VALU_DEP_2)
	v_add_co_u32 v18, vcc_lo, s3, v18
	v_add_f16_e32 v32, v32, v34
	s_delay_alu instid0(VALU_DEP_4) | instskip(NEXT) | instid1(VALU_DEP_3)
	v_add_co_ci_u32_e32 v19, vcc_lo, s6, v19, vcc_lo
	v_add_co_u32 v16, vcc_lo, v18, v16
	s_delay_alu instid0(VALU_DEP_3) | instskip(NEXT) | instid1(VALU_DEP_3)
	v_add_f16_e32 v32, v32, v33
	v_add_co_ci_u32_e32 v17, vcc_lo, v19, v17, vcc_lo
	s_and_b32 vcc_lo, exec_lo, s0
	global_store_b16 v[16:17], v32, off
	s_cbranch_vccnz .LBB301_64
; %bb.63:
	v_add_co_u32 v16, vcc_lo, v0, v20
	v_add_co_ci_u32_e32 v17, vcc_lo, v1, v21, vcc_lo
	flat_load_u16 v16, v[16:17]
	s_waitcnt vmcnt(0) lgkmcnt(0)
	v_mul_f16_e32 v24, s18, v16
.LBB301_64:
	v_pk_min_f16 v16, v59, v2
	v_pk_min_f16 v17, v60, v3
	v_add_co_u32 v20, vcc_lo, v18, v20
	v_add_co_ci_u32_e32 v21, vcc_lo, v19, v21, vcc_lo
	s_delay_alu instid0(VALU_DEP_4) | instskip(SKIP_1) | instid1(VALU_DEP_1)
	v_pk_add_f16 v16, v16, v31
	s_and_b32 vcc_lo, exec_lo, s0
	v_pk_add_f16 v16, v17, v16
	s_delay_alu instid0(VALU_DEP_1) | instskip(NEXT) | instid1(VALU_DEP_1)
	v_lshrrev_b32_e32 v17, 16, v16
	v_add_f16_e32 v16, v16, v17
	v_mov_b32_e32 v17, 0
	s_delay_alu instid0(VALU_DEP_2)
	v_add_f16_e32 v24, v16, v24
	v_mov_b32_e32 v16, 0
	global_store_b16 v[20:21], v24, off
	s_cbranch_vccnz .LBB301_66
; %bb.65:
	v_add_co_u32 v20, vcc_lo, v0, v12
	v_add_co_ci_u32_e32 v21, vcc_lo, v1, v13, vcc_lo
	flat_load_u16 v17, v[20:21]
	s_waitcnt vmcnt(0) lgkmcnt(0)
	v_mul_f16_e32 v17, s18, v17
.LBB301_66:
	v_pk_min_f16 v20, v55, v2
	v_pk_min_f16 v21, v61, v3
	v_add_co_u32 v12, vcc_lo, v18, v12
	v_add_co_ci_u32_e32 v13, vcc_lo, v19, v13, vcc_lo
	s_delay_alu instid0(VALU_DEP_4) | instskip(SKIP_1) | instid1(VALU_DEP_1)
	v_pk_add_f16 v20, v20, v30
	s_and_b32 vcc_lo, exec_lo, s0
	v_pk_add_f16 v20, v21, v20
	s_delay_alu instid0(VALU_DEP_1) | instskip(NEXT) | instid1(VALU_DEP_1)
	v_lshrrev_b32_e32 v21, 16, v20
	v_add_f16_e32 v20, v20, v21
	s_delay_alu instid0(VALU_DEP_1)
	v_add_f16_e32 v17, v20, v17
	global_store_b16 v[12:13], v17, off
	s_cbranch_vccnz .LBB301_68
; %bb.67:
	v_add_co_u32 v12, vcc_lo, v0, v14
	v_add_co_ci_u32_e32 v13, vcc_lo, v1, v15, vcc_lo
	flat_load_u16 v12, v[12:13]
	s_waitcnt vmcnt(0) lgkmcnt(0)
	v_mul_f16_e32 v16, s18, v12
.LBB301_68:
	v_pk_min_f16 v12, v54, v2
	v_pk_min_f16 v13, v62, v3
	v_add_co_u32 v14, vcc_lo, v18, v14
	v_add_co_ci_u32_e32 v15, vcc_lo, v19, v15, vcc_lo
	s_delay_alu instid0(VALU_DEP_4) | instskip(SKIP_1) | instid1(VALU_DEP_1)
	v_pk_add_f16 v12, v12, v29
	s_and_b32 vcc_lo, exec_lo, s0
	v_pk_add_f16 v12, v13, v12
	s_delay_alu instid0(VALU_DEP_1) | instskip(NEXT) | instid1(VALU_DEP_1)
	v_lshrrev_b32_e32 v13, 16, v12
	v_add_f16_e32 v12, v12, v13
	v_mov_b32_e32 v13, 0
	s_delay_alu instid0(VALU_DEP_2)
	v_add_f16_e32 v16, v12, v16
	v_mov_b32_e32 v12, 0
	global_store_b16 v[14:15], v16, off
	s_cbranch_vccnz .LBB301_70
; %bb.69:
	v_add_co_u32 v13, vcc_lo, v0, v8
	v_add_co_ci_u32_e32 v14, vcc_lo, v1, v9, vcc_lo
	flat_load_u16 v13, v[13:14]
	s_waitcnt vmcnt(0) lgkmcnt(0)
	v_mul_f16_e32 v13, s18, v13
.LBB301_70:
	v_pk_min_f16 v14, v53, v2
	v_pk_min_f16 v15, v63, v3
	v_add_co_u32 v8, vcc_lo, v18, v8
	v_add_co_ci_u32_e32 v9, vcc_lo, v19, v9, vcc_lo
	s_delay_alu instid0(VALU_DEP_4) | instskip(SKIP_1) | instid1(VALU_DEP_1)
	v_pk_add_f16 v14, v14, v28
	s_and_b32 vcc_lo, exec_lo, s0
	v_pk_add_f16 v14, v15, v14
	s_delay_alu instid0(VALU_DEP_1) | instskip(NEXT) | instid1(VALU_DEP_1)
	v_lshrrev_b32_e32 v15, 16, v14
	v_add_f16_e32 v14, v14, v15
	s_delay_alu instid0(VALU_DEP_1)
	v_add_f16_e32 v13, v14, v13
	global_store_b16 v[8:9], v13, off
	s_cbranch_vccnz .LBB301_72
; %bb.71:
	v_add_co_u32 v8, vcc_lo, v0, v10
	v_add_co_ci_u32_e32 v9, vcc_lo, v1, v11, vcc_lo
	flat_load_u16 v8, v[8:9]
	s_waitcnt vmcnt(0) lgkmcnt(0)
	v_mul_f16_e32 v12, s18, v8
.LBB301_72:
	v_pk_min_f16 v8, v52, v2
	v_pk_min_f16 v9, v64, v3
	v_pk_min_f16 v13, v51, v2
	s_delay_alu instid0(VALU_DEP_3) | instskip(NEXT) | instid1(VALU_DEP_2)
	v_pk_add_f16 v8, v8, v27
	v_pk_add_f16 v13, v13, v26
	s_delay_alu instid0(VALU_DEP_2) | instskip(SKIP_1) | instid1(VALU_DEP_2)
	v_pk_add_f16 v8, v9, v8
	v_pk_min_f16 v9, v65, v3
	v_lshrrev_b32_e32 v14, 16, v8
	s_delay_alu instid0(VALU_DEP_2) | instskip(SKIP_2) | instid1(VALU_DEP_4)
	v_pk_add_f16 v13, v9, v13
	v_add_co_u32 v9, vcc_lo, v18, v10
	v_add_co_ci_u32_e32 v10, vcc_lo, v19, v11, vcc_lo
	v_add_f16_e32 v8, v8, v14
	s_delay_alu instid0(VALU_DEP_4) | instskip(SKIP_1) | instid1(VALU_DEP_2)
	v_lshrrev_b32_e32 v11, 16, v13
	s_mov_b32 vcc_lo, s2
	v_add_f16_e32 v12, v8, v12
	s_delay_alu instid0(VALU_DEP_2)
	v_add_f16_e32 v8, v13, v11
	global_store_b16 v[9:10], v12, off
	s_cbranch_vccz .LBB301_75
; %bb.73:
	v_add_co_u32 v9, vcc_lo, v18, v4
	v_add_f16_e32 v11, 0, v8
	v_add_co_ci_u32_e32 v10, vcc_lo, v19, v5, vcc_lo
	s_mov_b32 s0, 0
	global_store_b16 v[9:10], v11, off
	s_cbranch_execz .LBB301_76
; %bb.74:
	v_mov_b32_e32 v0, s0
	s_branch .LBB301_77
.LBB301_75:
	s_mov_b32 s0, -1
.LBB301_76:
	v_add_co_u32 v9, vcc_lo, v0, v4
	v_add_co_ci_u32_e32 v10, vcc_lo, v1, v5, vcc_lo
	v_add_co_u32 v4, vcc_lo, v18, v4
	v_add_co_ci_u32_e32 v5, vcc_lo, v19, v5, vcc_lo
	flat_load_u16 v9, v[9:10]
	v_add_co_u32 v0, vcc_lo, v0, v6
	v_add_co_ci_u32_e32 v1, vcc_lo, v1, v7, vcc_lo
	s_waitcnt vmcnt(0) lgkmcnt(0)
	v_fmac_f16_e32 v8, s18, v9
	global_store_b16 v[4:5], v8, off
	flat_load_u16 v0, v[0:1]
	s_waitcnt vmcnt(0) lgkmcnt(0)
	v_mul_f16_e32 v0, s18, v0
.LBB301_77:
	v_pk_min_f16 v1, v22, v2
	v_pk_min_f16 v2, v23, v3
	s_delay_alu instid0(VALU_DEP_2) | instskip(NEXT) | instid1(VALU_DEP_1)
	v_pk_add_f16 v1, v1, v25
	v_pk_add_f16 v1, v2, v1
	s_delay_alu instid0(VALU_DEP_1) | instskip(NEXT) | instid1(VALU_DEP_1)
	v_lshrrev_b32_e32 v2, 16, v1
	v_add_f16_e32 v1, v1, v2
	s_delay_alu instid0(VALU_DEP_1)
	v_add_f16_e32 v2, v1, v0
	v_add_co_u32 v0, vcc_lo, v18, v6
	v_add_co_ci_u32_e32 v1, vcc_lo, v19, v7, vcc_lo
	global_store_b16 v[0:1], v2, off
	s_nop 0
	s_sendmsg sendmsg(MSG_DEALLOC_VGPRS)
	s_endpgm
	.section	.rodata,"a",@progbits
	.p2align	6, 0x0
	.amdhsa_kernel _ZN12_GLOBAL__N_120geam_min_plus_kernelIDF16_Dv2_DF16_S1_Li8ELi32ELi64ELi128ELi4ELi4ELi64ELi64ELi4ELc84ELc84ELb1ELb0ELb0EDF16_KDF16_DF16_EEviiiT16_PT17_ilS5_ilS3_S5_ilPT18_ili26rocblas_geam_ex_operation_
		.amdhsa_group_segment_fixed_size 3072
		.amdhsa_private_segment_fixed_size 0
		.amdhsa_kernarg_size 128
		.amdhsa_user_sgpr_count 14
		.amdhsa_user_sgpr_dispatch_ptr 0
		.amdhsa_user_sgpr_queue_ptr 0
		.amdhsa_user_sgpr_kernarg_segment_ptr 1
		.amdhsa_user_sgpr_dispatch_id 0
		.amdhsa_user_sgpr_private_segment_size 0
		.amdhsa_wavefront_size32 1
		.amdhsa_uses_dynamic_stack 0
		.amdhsa_enable_private_segment 0
		.amdhsa_system_sgpr_workgroup_id_x 1
		.amdhsa_system_sgpr_workgroup_id_y 0
		.amdhsa_system_sgpr_workgroup_id_z 1
		.amdhsa_system_sgpr_workgroup_info 0
		.amdhsa_system_vgpr_workitem_id 1
		.amdhsa_next_free_vgpr 122
		.amdhsa_next_free_sgpr 23
		.amdhsa_reserve_vcc 1
		.amdhsa_float_round_mode_32 0
		.amdhsa_float_round_mode_16_64 0
		.amdhsa_float_denorm_mode_32 3
		.amdhsa_float_denorm_mode_16_64 3
		.amdhsa_dx10_clamp 1
		.amdhsa_ieee_mode 1
		.amdhsa_fp16_overflow 0
		.amdhsa_workgroup_processor_mode 1
		.amdhsa_memory_ordered 1
		.amdhsa_forward_progress 0
		.amdhsa_shared_vgpr_count 0
		.amdhsa_exception_fp_ieee_invalid_op 0
		.amdhsa_exception_fp_denorm_src 0
		.amdhsa_exception_fp_ieee_div_zero 0
		.amdhsa_exception_fp_ieee_overflow 0
		.amdhsa_exception_fp_ieee_underflow 0
		.amdhsa_exception_fp_ieee_inexact 0
		.amdhsa_exception_int_div_zero 0
	.end_amdhsa_kernel
	.section	.text._ZN12_GLOBAL__N_120geam_min_plus_kernelIDF16_Dv2_DF16_S1_Li8ELi32ELi64ELi128ELi4ELi4ELi64ELi64ELi4ELc84ELc84ELb1ELb0ELb0EDF16_KDF16_DF16_EEviiiT16_PT17_ilS5_ilS3_S5_ilPT18_ili26rocblas_geam_ex_operation_,"axG",@progbits,_ZN12_GLOBAL__N_120geam_min_plus_kernelIDF16_Dv2_DF16_S1_Li8ELi32ELi64ELi128ELi4ELi4ELi64ELi64ELi4ELc84ELc84ELb1ELb0ELb0EDF16_KDF16_DF16_EEviiiT16_PT17_ilS5_ilS3_S5_ilPT18_ili26rocblas_geam_ex_operation_,comdat
.Lfunc_end301:
	.size	_ZN12_GLOBAL__N_120geam_min_plus_kernelIDF16_Dv2_DF16_S1_Li8ELi32ELi64ELi128ELi4ELi4ELi64ELi64ELi4ELc84ELc84ELb1ELb0ELb0EDF16_KDF16_DF16_EEviiiT16_PT17_ilS5_ilS3_S5_ilPT18_ili26rocblas_geam_ex_operation_, .Lfunc_end301-_ZN12_GLOBAL__N_120geam_min_plus_kernelIDF16_Dv2_DF16_S1_Li8ELi32ELi64ELi128ELi4ELi4ELi64ELi64ELi4ELc84ELc84ELb1ELb0ELb0EDF16_KDF16_DF16_EEviiiT16_PT17_ilS5_ilS3_S5_ilPT18_ili26rocblas_geam_ex_operation_
                                        ; -- End function
	.section	.AMDGPU.csdata,"",@progbits
; Kernel info:
; codeLenInByte = 9696
; NumSgprs: 25
; NumVgprs: 122
; ScratchSize: 0
; MemoryBound: 0
; FloatMode: 240
; IeeeMode: 1
; LDSByteSize: 3072 bytes/workgroup (compile time only)
; SGPRBlocks: 3
; VGPRBlocks: 15
; NumSGPRsForWavesPerEU: 25
; NumVGPRsForWavesPerEU: 122
; Occupancy: 10
; WaveLimiterHint : 1
; COMPUTE_PGM_RSRC2:SCRATCH_EN: 0
; COMPUTE_PGM_RSRC2:USER_SGPR: 14
; COMPUTE_PGM_RSRC2:TRAP_HANDLER: 0
; COMPUTE_PGM_RSRC2:TGID_X_EN: 1
; COMPUTE_PGM_RSRC2:TGID_Y_EN: 0
; COMPUTE_PGM_RSRC2:TGID_Z_EN: 1
; COMPUTE_PGM_RSRC2:TIDIG_COMP_CNT: 1
	.section	.text._ZN12_GLOBAL__N_120geam_min_plus_kernelIDF16_Dv2_DF16_S1_Li8ELi32ELi64ELi128ELi4ELi4ELi64ELi64ELi4ELc84ELc84ELb0ELb0ELb0EDF16_KDF16_DF16_EEviiiT16_PT17_ilS5_ilS3_S5_ilPT18_ili26rocblas_geam_ex_operation_,"axG",@progbits,_ZN12_GLOBAL__N_120geam_min_plus_kernelIDF16_Dv2_DF16_S1_Li8ELi32ELi64ELi128ELi4ELi4ELi64ELi64ELi4ELc84ELc84ELb0ELb0ELb0EDF16_KDF16_DF16_EEviiiT16_PT17_ilS5_ilS3_S5_ilPT18_ili26rocblas_geam_ex_operation_,comdat
	.globl	_ZN12_GLOBAL__N_120geam_min_plus_kernelIDF16_Dv2_DF16_S1_Li8ELi32ELi64ELi128ELi4ELi4ELi64ELi64ELi4ELc84ELc84ELb0ELb0ELb0EDF16_KDF16_DF16_EEviiiT16_PT17_ilS5_ilS3_S5_ilPT18_ili26rocblas_geam_ex_operation_ ; -- Begin function _ZN12_GLOBAL__N_120geam_min_plus_kernelIDF16_Dv2_DF16_S1_Li8ELi32ELi64ELi128ELi4ELi4ELi64ELi64ELi4ELc84ELc84ELb0ELb0ELb0EDF16_KDF16_DF16_EEviiiT16_PT17_ilS5_ilS3_S5_ilPT18_ili26rocblas_geam_ex_operation_
	.p2align	8
	.type	_ZN12_GLOBAL__N_120geam_min_plus_kernelIDF16_Dv2_DF16_S1_Li8ELi32ELi64ELi128ELi4ELi4ELi64ELi64ELi4ELc84ELc84ELb0ELb0ELb0EDF16_KDF16_DF16_EEviiiT16_PT17_ilS5_ilS3_S5_ilPT18_ili26rocblas_geam_ex_operation_,@function
_ZN12_GLOBAL__N_120geam_min_plus_kernelIDF16_Dv2_DF16_S1_Li8ELi32ELi64ELi128ELi4ELi4ELi64ELi64ELi4ELc84ELc84ELb0ELb0ELb0EDF16_KDF16_DF16_EEviiiT16_PT17_ilS5_ilS3_S5_ilPT18_ili26rocblas_geam_ex_operation_: ; @_ZN12_GLOBAL__N_120geam_min_plus_kernelIDF16_Dv2_DF16_S1_Li8ELi32ELi64ELi128ELi4ELi4ELi64ELi64ELi4ELc84ELc84ELb0ELb0ELb0EDF16_KDF16_DF16_EEviiiT16_PT17_ilS5_ilS3_S5_ilPT18_ili26rocblas_geam_ex_operation_
; %bb.0:
	s_clause 0x1
	s_load_b64 s[8:9], s[0:1], 0x8
	s_load_b128 s[4:7], s[0:1], 0x20
	s_waitcnt lgkmcnt(0)
	v_cmp_eq_f16_e64 s2, s9, 0
	s_delay_alu instid0(VALU_DEP_1)
	s_and_b32 vcc_lo, exec_lo, s2
	s_cbranch_vccnz .LBB302_3
; %bb.1:
	s_load_b64 s[10:11], s[0:1], 0x10
	s_mul_i32 s3, s15, s5
	s_mul_hi_u32 s5, s15, s4
	s_mul_i32 s4, s15, s4
	s_add_i32 s5, s5, s3
	s_delay_alu instid0(SALU_CYCLE_1)
	s_lshl_b64 s[4:5], s[4:5], 1
	s_waitcnt lgkmcnt(0)
	s_add_u32 s10, s10, s4
	s_addc_u32 s11, s11, s5
	s_and_not1_b32 vcc_lo, exec_lo, s2
	s_cbranch_vccnz .LBB302_4
.LBB302_2:
	s_mov_b32 s19, 0
	s_mov_b64 s[12:13], 0
	s_cbranch_execz .LBB302_5
	s_branch .LBB302_6
.LBB302_3:
	s_mov_b64 s[10:11], 0
	s_and_not1_b32 vcc_lo, exec_lo, s2
	s_cbranch_vccz .LBB302_2
.LBB302_4:
	s_mov_b32 s19, -1
                                        ; implicit-def: $sgpr12_sgpr13
.LBB302_5:
	s_load_b64 s[2:3], s[0:1], 0x38
	s_mov_b32 s19, 0
	s_waitcnt lgkmcnt(0)
	s_mul_i32 s3, s15, s3
	s_mul_hi_u32 s4, s15, s2
	s_mul_i32 s2, s15, s2
	s_add_i32 s3, s4, s3
	s_delay_alu instid0(SALU_CYCLE_1) | instskip(NEXT) | instid1(SALU_CYCLE_1)
	s_lshl_b64 s[2:3], s[2:3], 1
	s_add_u32 s12, s6, s2
	s_addc_u32 s13, s7, s3
.LBB302_6:
	s_clause 0x1
	s_load_b32 s18, s[0:1], 0x40
	s_load_b128 s[4:7], s[0:1], 0x58
	v_cmp_neq_f16_e64 s16, s9, 0
	s_waitcnt lgkmcnt(0)
	v_cmp_eq_f16_e64 s2, s18, 0
	s_delay_alu instid0(VALU_DEP_1) | instskip(NEXT) | instid1(SALU_CYCLE_1)
	s_and_b32 s2, exec_lo, s2
	s_mov_b32 vcc_lo, s2
	s_cbranch_vccnz .LBB302_8
; %bb.7:
	s_load_b64 s[20:21], s[0:1], 0x48
	s_mul_i32 s3, s15, s5
	s_mul_hi_u32 s5, s15, s4
	s_delay_alu instid0(SALU_CYCLE_1) | instskip(SKIP_3) | instid1(SALU_CYCLE_1)
	s_add_i32 s3, s5, s3
	s_mul_i32 s5, s19, s4
	s_mul_i32 s4, s15, s4
	s_add_i32 s5, s3, s5
	s_lshl_b64 s[4:5], s[4:5], 1
	s_waitcnt lgkmcnt(0)
	s_add_u32 s4, s20, s4
	s_addc_u32 s5, s21, s5
	s_branch .LBB302_9
.LBB302_8:
	s_mov_b64 s[4:5], 0
.LBB302_9:
	s_clause 0x1
	s_load_b32 s3, s[0:1], 0x0
	s_load_b32 s21, s[0:1], 0x18
	v_and_b32_e32 v47, 0x3ff, v0
	v_bfe_u32 v48, v0, 10, 10
	v_cndmask_b32_e64 v0, 0, 1, s16
	s_delay_alu instid0(VALU_DEP_3) | instskip(NEXT) | instid1(VALU_DEP_1)
	v_and_b32_e32 v2, 3, v47
	v_lshlrev_b32_e32 v2, 1, v2
	s_waitcnt lgkmcnt(0)
	s_add_i32 s3, s3, -1
	s_delay_alu instid0(SALU_CYCLE_1) | instskip(NEXT) | instid1(SALU_CYCLE_1)
	s_ashr_i32 s17, s3, 31
	s_lshr_b32 s17, s17, 26
	s_delay_alu instid0(SALU_CYCLE_1) | instskip(NEXT) | instid1(SALU_CYCLE_1)
	s_add_i32 s3, s3, s17
	s_ashr_i32 s3, s3, 6
	s_delay_alu instid0(SALU_CYCLE_1) | instskip(SKIP_2) | instid1(VALU_DEP_1)
	s_add_i32 s20, s3, 1
	s_not_b32 s3, s3
	v_cvt_f32_u32_e32 v1, s20
	v_rcp_iflag_f32_e32 v1, v1
	s_waitcnt_depctr 0xfff
	v_mul_f32_e32 v1, 0x4f7ffffe, v1
	s_delay_alu instid0(VALU_DEP_1) | instskip(NEXT) | instid1(VALU_DEP_1)
	v_cvt_u32_f32_e32 v1, v1
	v_readfirstlane_b32 s17, v1
	v_lshl_add_u32 v1, v48, 3, v47
	s_delay_alu instid0(VALU_DEP_2) | instskip(NEXT) | instid1(VALU_DEP_1)
	s_mul_i32 s3, s3, s17
	v_lshrrev_b32_e32 v8, 2, v1
	s_mul_hi_u32 s3, s17, s3
	s_delay_alu instid0(SALU_CYCLE_1) | instskip(NEXT) | instid1(SALU_CYCLE_1)
	s_add_i32 s17, s17, s3
	s_mul_hi_u32 s3, s14, s17
	s_delay_alu instid0(SALU_CYCLE_1) | instskip(SKIP_2) | instid1(SALU_CYCLE_1)
	s_mul_i32 s17, s3, s20
	s_add_i32 s22, s3, 1
	s_sub_i32 s17, s14, s17
	s_sub_i32 s23, s17, s20
	s_cmp_ge_u32 s17, s20
	s_cselect_b32 s3, s22, s3
	s_cselect_b32 s17, s23, s17
	s_add_i32 s22, s3, 1
	s_cmp_ge_u32 s17, s20
	s_cselect_b32 s17, s22, s3
	s_and_not1_b32 vcc_lo, exec_lo, s16
	s_mul_i32 s3, s17, s20
	s_delay_alu instid0(SALU_CYCLE_1) | instskip(SKIP_2) | instid1(SALU_CYCLE_1)
	s_sub_i32 s14, s14, s3
	v_cmp_ne_u32_e64 s3, 1, v0
	s_lshl_b32 s14, s14, 6
	v_add_nc_u32_e32 v3, s14, v8
	s_cbranch_vccnz .LBB302_11
; %bb.10:
	s_delay_alu instid0(VALU_DEP_1) | instskip(NEXT) | instid1(VALU_DEP_1)
	v_mad_i64_i32 v[4:5], null, v3, s21, 0
	v_lshlrev_b64 v[4:5], 1, v[4:5]
	s_delay_alu instid0(VALU_DEP_1) | instskip(NEXT) | instid1(VALU_DEP_2)
	v_add_co_u32 v0, vcc_lo, s10, v4
	v_add_co_ci_u32_e32 v5, vcc_lo, s11, v5, vcc_lo
	s_delay_alu instid0(VALU_DEP_2) | instskip(NEXT) | instid1(VALU_DEP_2)
	v_add_co_u32 v4, vcc_lo, v0, v2
	v_add_co_ci_u32_e32 v5, vcc_lo, 0, v5, vcc_lo
	flat_load_u16 v0, v[4:5]
	s_waitcnt vmcnt(0) lgkmcnt(0)
	v_mul_f16_e32 v9, s9, v0
	s_branch .LBB302_12
.LBB302_11:
	v_mov_b32_e32 v9, 0
.LBB302_12:
	s_load_b32 s16, s[0:1], 0x30
	v_and_b32_e32 v5, 63, v1
	s_lshl_b32 s20, s17, 7
	v_lshrrev_b32_e32 v4, 6, v1
	s_and_b32 vcc_lo, exec_lo, s3
	s_delay_alu instid0(VALU_DEP_2) | instskip(NEXT) | instid1(VALU_DEP_1)
	v_or_b32_e32 v0, s20, v5
	v_ashrrev_i32_e32 v1, 31, v0
	s_waitcnt lgkmcnt(0)
	s_ashr_i32 s17, s16, 31
	s_cbranch_vccnz .LBB302_16
; %bb.13:
	v_mad_i64_i32 v[6:7], null, s16, v4, 0
	v_lshlrev_b64 v[10:11], 1, v[0:1]
	s_delay_alu instid0(VALU_DEP_2) | instskip(NEXT) | instid1(VALU_DEP_1)
	v_lshlrev_b64 v[6:7], 1, v[6:7]
	v_add_co_u32 v6, vcc_lo, s12, v6
	s_delay_alu instid0(VALU_DEP_2) | instskip(NEXT) | instid1(VALU_DEP_2)
	v_add_co_ci_u32_e32 v7, vcc_lo, s13, v7, vcc_lo
	v_add_co_u32 v6, vcc_lo, v6, v10
	s_delay_alu instid0(VALU_DEP_2)
	v_add_co_ci_u32_e32 v7, vcc_lo, v7, v11, vcc_lo
	s_clause 0x1
	flat_load_u16 v10, v[6:7]
	flat_load_u16 v6, v[6:7] offset:128
	s_waitcnt vmcnt(1) lgkmcnt(1)
	v_mul_f16_e32 v10, s9, v10
	s_waitcnt vmcnt(0) lgkmcnt(0)
	v_mul_f16_e32 v11, s9, v6
	s_and_b32 vcc_lo, exec_lo, s3
	s_cbranch_vccnz .LBB302_17
.LBB302_14:
	v_mad_i64_i32 v[6:7], null, v3, s21, 0
	s_delay_alu instid0(VALU_DEP_1) | instskip(NEXT) | instid1(VALU_DEP_1)
	v_lshlrev_b64 v[6:7], 1, v[6:7]
	v_add_co_u32 v6, vcc_lo, s10, v6
	s_delay_alu instid0(VALU_DEP_2) | instskip(NEXT) | instid1(VALU_DEP_2)
	v_add_co_ci_u32_e32 v7, vcc_lo, s11, v7, vcc_lo
	v_add_co_u32 v6, vcc_lo, v6, v2
	s_delay_alu instid0(VALU_DEP_2)
	v_add_co_ci_u32_e32 v7, vcc_lo, 0, v7, vcc_lo
	flat_load_u16 v6, v[6:7] offset:8
	s_waitcnt vmcnt(0) lgkmcnt(0)
	v_mul_f16_e32 v6, s9, v6
	s_and_b32 vcc_lo, exec_lo, s3
	s_cbranch_vccnz .LBB302_18
.LBB302_15:
	v_add_nc_u32_e32 v7, 4, v4
	v_lshlrev_b64 v[0:1], 1, v[0:1]
	s_delay_alu instid0(VALU_DEP_2) | instskip(NEXT) | instid1(VALU_DEP_1)
	v_mad_i64_i32 v[12:13], null, s16, v7, 0
	v_lshlrev_b64 v[12:13], 1, v[12:13]
	s_delay_alu instid0(VALU_DEP_1) | instskip(NEXT) | instid1(VALU_DEP_2)
	v_add_co_u32 v7, vcc_lo, s12, v12
	v_add_co_ci_u32_e32 v12, vcc_lo, s13, v13, vcc_lo
	s_delay_alu instid0(VALU_DEP_2) | instskip(NEXT) | instid1(VALU_DEP_2)
	v_add_co_u32 v0, vcc_lo, v7, v0
	v_add_co_ci_u32_e32 v1, vcc_lo, v12, v1, vcc_lo
	s_clause 0x1
	flat_load_u16 v7, v[0:1]
	flat_load_u16 v0, v[0:1] offset:128
	s_waitcnt vmcnt(1) lgkmcnt(1)
	v_mul_f16_e32 v1, s9, v7
	s_waitcnt vmcnt(0) lgkmcnt(0)
	v_mul_f16_e32 v7, s9, v0
	s_branch .LBB302_19
.LBB302_16:
	v_dual_mov_b32 v10, 0 :: v_dual_mov_b32 v11, 0
	s_and_b32 vcc_lo, exec_lo, s3
	s_cbranch_vccz .LBB302_14
.LBB302_17:
	v_mov_b32_e32 v6, 0
	s_and_b32 vcc_lo, exec_lo, s3
	s_cbranch_vccz .LBB302_15
.LBB302_18:
	v_mov_b32_e32 v1, 0
	v_mov_b32_e32 v7, 0
.LBB302_19:
	v_lshlrev_b32_e32 v0, 1, v4
	v_lshlrev_b32_e32 v50, 3, v47
	;; [unrolled: 1-line block ×3, first 2 shown]
	s_cmp_lt_i32 s8, 9
	s_delay_alu instid0(VALU_DEP_3)
	v_lshl_add_u32 v59, v5, 3, v0
	v_lshl_or_b32 v0, v8, 3, v2
	v_add_nc_u32_e32 v28, 0x800, v50
	ds_store_b16 v59, v10
	ds_store_b16 v0, v9 offset:2048
	ds_store_b16 v59, v11 offset:512
	s_waitcnt lgkmcnt(0)
	s_barrier
	buffer_gl0_inv
	ds_load_2addr_b64 v[8:11], v49 offset1:32
	ds_load_2addr_b64 v[12:15], v28 offset0:48 offset1:56
	ds_load_2addr_b64 v[16:19], v49 offset0:64 offset1:96
	ds_load_2addr_b64 v[20:23], v28 offset1:8
	ds_load_2addr_b64 v[24:27], v28 offset0:16 offset1:24
	ds_load_2addr_b64 v[28:31], v28 offset0:32 offset1:40
	ds_store_b16 v59, v1 offset:1024
	ds_store_b16 v0, v6 offset:2560
	;; [unrolled: 1-line block ×3, first 2 shown]
	s_waitcnt lgkmcnt(0)
	s_barrier
	buffer_gl0_inv
	v_pk_max_f16 v8, v8, v8
	v_pk_max_f16 v10, v10, v10
	;; [unrolled: 1-line block ×8, first 2 shown]
	v_pk_min_f16 v38, v22, v8
	v_pk_max_f16 v20, v20, v20
	v_pk_min_f16 v44, v26, v10
	v_pk_max_f16 v18, v18, v18
	v_pk_min_f16 v32, v14, v8
	v_pk_add_f16 v41, v38, 0
	v_pk_min_f16 v38, v24, v8
	v_pk_min_f16 v45, v26, v16
	v_pk_add_f16 v53, v44, 0
	v_pk_min_f16 v44, v28, v10
	v_pk_max_f16 v30, v30, v30
	v_pk_add_f16 v51, v38, 0
	v_pk_min_f16 v38, v26, v8
	v_pk_max_f16 v12, v12, v12
	v_pk_max_f16 v9, v9, v9
	;; [unrolled: 1-line block ×3, first 2 shown]
	v_pk_min_f16 v33, v14, v10
	v_pk_add_f16 v52, v38, 0
	v_pk_min_f16 v38, v28, v8
	v_pk_min_f16 v34, v14, v16
	;; [unrolled: 1-line block ×5, first 2 shown]
	v_pk_add_f16 v61, v38, 0
	v_pk_min_f16 v38, v28, v16
	v_pk_min_f16 v20, v20, v18
	;; [unrolled: 1-line block ×3, first 2 shown]
	v_pk_add_f16 v32, v32, 0
	v_pk_min_f16 v40, v22, v16
	v_pk_min_f16 v22, v22, v18
	;; [unrolled: 1-line block ×6, first 2 shown]
	v_pk_add_f16 v60, v45, 0
	v_pk_min_f16 v28, v28, v18
	v_pk_add_f16 v67, v44, 0
	v_pk_min_f16 v44, v30, v8
	v_pk_min_f16 v45, v30, v10
	v_pk_add_f16 v68, v38, 0
	v_pk_min_f16 v38, v30, v16
	v_pk_min_f16 v30, v30, v18
	;; [unrolled: 1-line block ×6, first 2 shown]
	v_pk_max_f16 v11, v11, v11
	v_pk_min_f16 v14, v14, v18
	v_pk_min_f16 v18, v15, v9
	v_pk_add_f16 v33, v33, 0
	v_pk_add_f16 v71, v38, 0
	v_pk_max_f16 v17, v17, v17
	v_pk_min_f16 v38, v15, v11
	v_pk_max_f16 v21, v21, v21
	v_pk_add_f16 v58, v18, v32
	v_pk_max_f16 v18, v19, v19
	v_pk_add_f16 v35, v35, 0
	v_pk_add_f16 v37, v37, 0
	;; [unrolled: 1-line block ×4, first 2 shown]
	v_pk_min_f16 v19, v21, v9
	v_pk_min_f16 v32, v21, v11
	;; [unrolled: 1-line block ×4, first 2 shown]
	v_pk_max_f16 v23, v23, v23
	v_pk_add_f16 v34, v34, 0
	v_pk_add_f16 v36, v36, 0
	;; [unrolled: 1-line block ×7, first 2 shown]
	v_pk_min_f16 v44, v15, v17
	v_pk_add_f16 v66, v19, v35
	v_pk_add_f16 v45, v33, v37
	;; [unrolled: 1-line block ×3, first 2 shown]
	v_pk_min_f16 v19, v23, v9
	v_pk_min_f16 v20, v23, v11
	v_pk_min_f16 v21, v23, v17
	v_pk_min_f16 v23, v23, v18
	v_pk_max_f16 v25, v25, v25
	v_pk_add_f16 v42, v42, 0
	v_pk_add_f16 v43, v43, 0
	v_pk_add_f16 v24, v24, 0
	v_pk_add_f16 v38, v44, v34
	v_pk_add_f16 v57, v32, v36
	v_pk_add_f16 v65, v19, v41
	v_pk_add_f16 v56, v20, v39
	v_pk_add_f16 v44, v21, v40
	v_pk_add_f16 v36, v23, v22
	v_pk_min_f16 v19, v25, v9
	v_pk_min_f16 v20, v25, v11
	;; [unrolled: 1-line block ×4, first 2 shown]
	v_pk_max_f16 v23, v27, v27
	v_pk_add_f16 v26, v26, 0
	v_pk_add_f16 v64, v19, v51
	;; [unrolled: 1-line block ×5, first 2 shown]
	v_pk_min_f16 v19, v23, v9
	v_pk_min_f16 v20, v23, v11
	;; [unrolled: 1-line block ×4, first 2 shown]
	v_pk_max_f16 v23, v29, v29
	v_pk_add_f16 v28, v28, 0
	v_pk_add_f16 v63, v19, v52
	;; [unrolled: 1-line block ×5, first 2 shown]
	v_pk_min_f16 v19, v23, v9
	v_pk_min_f16 v20, v23, v11
	;; [unrolled: 1-line block ×4, first 2 shown]
	v_pk_max_f16 v23, v31, v31
	v_pk_max_f16 v13, v13, v13
	v_pk_add_f16 v30, v30, 0
	v_pk_add_f16 v8, v8, 0
	;; [unrolled: 1-line block ×10, first 2 shown]
	v_pk_min_f16 v19, v23, v9
	v_pk_min_f16 v20, v23, v11
	;; [unrolled: 1-line block ×9, first 2 shown]
	v_pk_add_f16 v61, v19, v69
	v_pk_add_f16 v52, v20, v70
	;; [unrolled: 1-line block ×9, first 2 shown]
	s_cbranch_scc1 .LBB302_33
; %bb.20:
	v_mad_i64_i32 v[7:8], null, s21, v3, 0
	v_add_nc_u32_e32 v5, s20, v5
	v_add_nc_u32_e32 v1, 12, v4
	;; [unrolled: 1-line block ×5, first 2 shown]
	v_ashrrev_i32_e32 v6, 31, v5
	v_mad_i64_i32 v[9:10], null, v1, s16, 0
	v_lshlrev_b64 v[0:1], 1, v[7:8]
	v_add_nc_u32_e32 v68, 0x800, v50
	s_delay_alu instid0(VALU_DEP_4)
	v_lshlrev_b64 v[5:6], 1, v[5:6]
	v_or_b32_e32 v70, 0x400, v59
	v_lshl_add_u32 v71, v47, 3, 0xa00
	v_lshl_add_u32 v72, v48, 3, 0x400
	v_add_co_u32 v2, vcc_lo, v0, v2
	v_add_co_ci_u32_e32 v4, vcc_lo, 0, v1, vcc_lo
	v_add_co_u32 v73, vcc_lo, s12, v5
	v_mad_i64_i32 v[0:1], null, v3, s16, 0
	v_add_co_ci_u32_e32 v74, vcc_lo, s13, v6, vcc_lo
	v_add_co_u32 v2, vcc_lo, v2, s10
	v_add_co_ci_u32_e32 v3, vcc_lo, s11, v4, vcc_lo
	v_lshlrev_b64 v[24:25], 1, v[9:10]
	s_delay_alu instid0(VALU_DEP_3) | instskip(SKIP_1) | instid1(VALU_DEP_4)
	v_add_co_u32 v28, vcc_lo, v2, 16
	v_lshlrev_b64 v[26:27], 1, v[0:1]
	v_add_co_ci_u32_e32 v29, vcc_lo, 0, v3, vcc_lo
	s_add_i32 s8, s8, -8
	s_lshl_b64 s[10:11], s[16:17], 4
	s_mov_b32 s12, 0
	s_branch .LBB302_23
.LBB302_21:                             ;   in Loop: Header=BB302_23 Depth=1
	v_add_co_u32 v0, vcc_lo, v73, v24
	v_add_co_ci_u32_e32 v1, vcc_lo, v74, v25, vcc_lo
	s_clause 0x1
	flat_load_u16 v118, v[0:1]
	flat_load_u16 v1, v[0:1] offset:128
	s_waitcnt vmcnt(1) lgkmcnt(1)
	v_mul_f16_e32 v0, s9, v118
	s_waitcnt vmcnt(0) lgkmcnt(0)
	v_mul_f16_e32 v1, s9, v1
.LBB302_22:                             ;   in Loop: Header=BB302_23 Depth=1
	v_pk_add_f16 v16, v16, v38
	v_pk_add_f16 v22, v22, v37
	;; [unrolled: 1-line block ×30, first 2 shown]
	ds_load_2addr_b64 v[30:33], v68 offset0:48 offset1:56
	ds_load_2addr_b64 v[34:37], v49 offset1:32
	ds_load_2addr_b64 v[38:41], v49 offset0:64 offset1:96
	v_pk_add_f16 v79, v115, v44
	v_pk_add_f16 v80, v117, v43
	;; [unrolled: 1-line block ×4, first 2 shown]
	ds_load_2addr_b64 v[42:45], v68 offset1:8
	v_pk_add_f16 v8, v8, v65
	v_pk_add_f16 v52, v90, v52
	;; [unrolled: 1-line block ×12, first 2 shown]
	s_waitcnt lgkmcnt(3)
	v_pk_max_f16 v32, v32, v32
	s_waitcnt lgkmcnt(2)
	v_pk_max_f16 v34, v34, v34
	v_pk_max_f16 v36, v36, v36
	s_waitcnt lgkmcnt(1)
	v_pk_max_f16 v38, v38, v38
	v_pk_add_f16 v15, v15, v52
	v_pk_add_f16 v52, v7, v63
	v_pk_add_f16 v57, v9, v64
	v_pk_min_f16 v6, v32, v34
	v_pk_min_f16 v7, v32, v36
	;; [unrolled: 1-line block ×3, first 2 shown]
	ds_load_2addr_b64 v[2:5], v68 offset0:16 offset1:24
	s_waitcnt lgkmcnt(1)
	v_pk_max_f16 v9, v42, v42
	v_pk_max_f16 v40, v40, v40
	v_pk_add_f16 v14, v107, v14
	v_pk_add_f16 v18, v108, v18
	v_pk_add_f16 v20, v109, v20
	v_pk_add_f16 v22, v110, v22
	v_pk_add_f16 v42, v6, v65
	v_pk_add_f16 v12, v7, v12
	v_pk_add_f16 v16, v8, v16
	v_pk_min_f16 v6, v9, v34
	v_pk_min_f16 v7, v9, v36
	;; [unrolled: 1-line block ×4, first 2 shown]
	v_pk_add_f16 v60, v93, v60
	v_pk_add_f16 v14, v6, v14
	;; [unrolled: 1-line block ×5, first 2 shown]
	ds_load_2addr_b64 v[6:9], v68 offset0:32 offset1:40
	v_pk_max_f16 v44, v44, v44
	v_pk_add_f16 v17, v17, v58
	v_pk_add_f16 v19, v19, v61
	;; [unrolled: 1-line block ×3, first 2 shown]
	s_waitcnt lgkmcnt(1)
	v_pk_max_f16 v2, v2, v2
	v_pk_min_f16 v58, v44, v34
	v_pk_min_f16 v60, v44, v36
	;; [unrolled: 1-line block ×4, first 2 shown]
	v_pk_max_f16 v4, v4, v4
	v_pk_add_f16 v51, v94, v51
	v_pk_add_f16 v46, v98, v46
	v_pk_add_f16 v60, v60, v76
	v_pk_add_f16 v63, v44, v78
	v_pk_min_f16 v44, v2, v34
	v_pk_add_f16 v10, v116, v10
	v_pk_add_f16 v55, v101, v55
	;; [unrolled: 1-line block ×5, first 2 shown]
	v_pk_min_f16 v44, v4, v36
	s_waitcnt lgkmcnt(0)
	v_pk_max_f16 v6, v6, v6
	v_pk_add_f16 v62, v58, v66
	v_pk_min_f16 v58, v2, v36
	v_pk_min_f16 v64, v2, v38
	;; [unrolled: 1-line block ×3, first 2 shown]
	v_pk_add_f16 v78, v44, v46
	v_pk_min_f16 v44, v6, v34
	v_pk_add_f16 v54, v100, v54
	v_pk_add_f16 v61, v61, v77
	;; [unrolled: 1-line block ×5, first 2 shown]
	v_pk_min_f16 v11, v4, v34
	v_pk_min_f16 v58, v4, v38
	;; [unrolled: 1-line block ×4, first 2 shown]
	v_pk_max_f16 v8, v8, v8
	v_pk_add_f16 v80, v44, v55
	v_pk_min_f16 v44, v6, v38
	v_pk_max_f16 v30, v30, v30
	v_pk_add_f16 v11, v11, v81
	v_pk_add_f16 v79, v58, v82
	;; [unrolled: 1-line block ×4, first 2 shown]
	v_pk_min_f16 v46, v8, v34
	v_pk_min_f16 v54, v8, v36
	v_pk_add_f16 v82, v44, v53
	v_pk_min_f16 v44, v8, v38
	v_pk_min_f16 v8, v8, v40
	;; [unrolled: 1-line block ×5, first 2 shown]
	v_pk_max_f16 v33, v33, v33
	v_pk_max_f16 v83, v37, v37
	v_pk_add_f16 v8, v8, v19
	v_pk_add_f16 v19, v34, v21
	;; [unrolled: 1-line block ×4, first 2 shown]
	v_pk_max_f16 v51, v35, v35
	v_pk_min_f16 v32, v32, v40
	v_pk_max_f16 v39, v39, v39
	v_pk_min_f16 v35, v33, v83
	v_pk_add_f16 v13, v46, v13
	v_pk_min_f16 v34, v33, v51
	v_pk_add_f16 v84, v32, v57
	v_pk_min_f16 v32, v33, v39
	v_pk_max_f16 v36, v43, v43
	v_pk_add_f16 v46, v35, v12
	v_pk_max_f16 v12, v41, v41
	v_pk_add_f16 v58, v34, v42
	v_pk_add_f16 v38, v32, v16
	v_pk_min_f16 v16, v36, v51
	v_pk_min_f16 v32, v36, v83
	;; [unrolled: 1-line block ×4, first 2 shown]
	v_pk_max_f16 v36, v45, v45
	v_pk_min_f16 v6, v6, v40
	v_pk_add_f16 v66, v16, v14
	v_pk_add_f16 v57, v32, v18
	v_pk_max_f16 v3, v3, v3
	v_pk_min_f16 v14, v36, v51
	v_pk_min_f16 v16, v36, v83
	;; [unrolled: 1-line block ×3, first 2 shown]
	v_pk_add_f16 v6, v6, v56
	v_pk_add_f16 v17, v44, v17
	;; [unrolled: 1-line block ×5, first 2 shown]
	v_pk_min_f16 v14, v3, v51
	v_pk_min_f16 v16, v3, v83
	;; [unrolled: 1-line block ×4, first 2 shown]
	v_pk_max_f16 v5, v5, v5
	v_pk_add_f16 v45, v34, v20
	v_pk_add_f16 v37, v35, v22
	v_pk_min_f16 v20, v36, v12
	v_pk_add_f16 v55, v16, v10
	v_pk_add_f16 v35, v3, v2
	v_pk_min_f16 v2, v5, v51
	v_pk_min_f16 v3, v5, v83
	v_pk_min_f16 v10, v5, v39
	v_pk_min_f16 v5, v5, v12
	v_pk_max_f16 v7, v7, v7
	v_pk_add_f16 v15, v54, v15
	v_pk_add_f16 v36, v20, v63
	;; [unrolled: 1-line block ×5, first 2 shown]
	v_pk_min_f16 v2, v7, v51
	v_pk_min_f16 v3, v7, v83
	;; [unrolled: 1-line block ×4, first 2 shown]
	v_pk_max_f16 v7, v9, v9
	v_pk_min_f16 v30, v30, v40
	v_pk_add_f16 v62, v2, v80
	v_pk_add_f16 v53, v3, v81
	;; [unrolled: 1-line block ×4, first 2 shown]
	v_pk_min_f16 v2, v7, v51
	v_pk_min_f16 v3, v7, v83
	v_pk_min_f16 v4, v7, v39
	v_pk_min_f16 v5, v7, v12
	v_pk_max_f16 v6, v31, v31
	v_pk_add_f16 v30, v30, v52
	v_pk_add_f16 v61, v2, v13
	;; [unrolled: 1-line block ×5, first 2 shown]
	v_pk_min_f16 v2, v6, v51
	v_pk_min_f16 v3, v6, v83
	;; [unrolled: 1-line block ×5, first 2 shown]
	v_add_co_u32 v73, vcc_lo, v73, s10
	v_add_co_ci_u32_e32 v74, vcc_lo, s11, v74, vcc_lo
	v_add_co_u32 v28, vcc_lo, v28, 16
	v_pk_add_f16 v64, v14, v76
	v_pk_add_f16 v43, v18, v77
	;; [unrolled: 1-line block ×8, first 2 shown]
	v_add_co_ci_u32_e32 v29, vcc_lo, 0, v29, vcc_lo
	s_add_i32 s12, s12, 8
	ds_store_b16 v69, v75
	ds_store_b16 v70, v0
	ds_store_b16 v70, v1 offset:512
	s_cmp_ge_i32 s12, s8
	s_waitcnt lgkmcnt(0)
	s_barrier
	buffer_gl0_inv
	s_cbranch_scc1 .LBB302_33
.LBB302_23:                             ; =>This Inner Loop Header: Depth=1
	v_mov_b32_e32 v75, 0
	s_and_b32 vcc_lo, exec_lo, s3
	s_cbranch_vccnz .LBB302_25
; %bb.24:                               ;   in Loop: Header=BB302_23 Depth=1
	flat_load_u16 v0, v[28:29]
	s_waitcnt vmcnt(0) lgkmcnt(0)
	v_mul_f16_e32 v75, s9, v0
.LBB302_25:                             ;   in Loop: Header=BB302_23 Depth=1
	s_and_b32 vcc_lo, exec_lo, s3
	s_cbranch_vccnz .LBB302_27
; %bb.26:                               ;   in Loop: Header=BB302_23 Depth=1
	v_add_co_u32 v0, vcc_lo, v73, v26
	v_add_co_ci_u32_e32 v1, vcc_lo, v74, v27, vcc_lo
	s_clause 0x1
	flat_load_u16 v2, v[0:1]
	flat_load_u16 v0, v[0:1] offset:128
	s_waitcnt vmcnt(1) lgkmcnt(1)
	v_mul_f16_e32 v76, s9, v2
	s_waitcnt vmcnt(0) lgkmcnt(0)
	v_mul_f16_e32 v77, s9, v0
	s_branch .LBB302_28
.LBB302_27:                             ;   in Loop: Header=BB302_23 Depth=1
	v_dual_mov_b32 v76, 0 :: v_dual_mov_b32 v77, 0
.LBB302_28:                             ;   in Loop: Header=BB302_23 Depth=1
	ds_load_2addr_b64 v[0:3], v71 offset0:48 offset1:56
	ds_load_2addr_b64 v[12:15], v72 offset0:64 offset1:96
	ds_load_2addr_b64 v[20:23], v72 offset1:32
	ds_load_2addr_b64 v[16:19], v71 offset1:8
	ds_load_2addr_b64 v[8:11], v71 offset0:16 offset1:24
	ds_load_2addr_b64 v[4:7], v71 offset0:32 offset1:40
	s_and_b32 vcc_lo, exec_lo, s3
	ds_store_b16 v67, v75
	ds_store_b16 v59, v76
	ds_store_b16 v59, v77 offset:512
	s_waitcnt lgkmcnt(0)
	s_barrier
	buffer_gl0_inv
	s_cbranch_vccnz .LBB302_30
; %bb.29:                               ;   in Loop: Header=BB302_23 Depth=1
	flat_load_u16 v75, v[28:29] offset:8
	s_waitcnt vmcnt(0) lgkmcnt(0)
	v_mul_f16_e32 v75, s9, v75
	s_branch .LBB302_31
.LBB302_30:                             ;   in Loop: Header=BB302_23 Depth=1
	v_mov_b32_e32 v75, 0
.LBB302_31:                             ;   in Loop: Header=BB302_23 Depth=1
	v_pk_max_f16 v88, v2, v2
	v_pk_max_f16 v93, v20, v20
	;; [unrolled: 1-line block ×12, first 2 shown]
	v_pk_min_f16 v2, v88, v93
	v_pk_min_f16 v12, v88, v94
	;; [unrolled: 1-line block ×25, first 2 shown]
	v_pk_max_f16 v0, v3, v3
	v_pk_max_f16 v21, v21, v21
	;; [unrolled: 1-line block ×9, first 2 shown]
	v_pk_min_f16 v107, v3, v21
	v_pk_min_f16 v108, v3, v23
	v_pk_min_f16 v109, v3, v118
	v_pk_min_f16 v110, v3, v119
	v_pk_max_f16 v3, v9, v9
	v_pk_max_f16 v9, v11, v11
	;; [unrolled: 1-line block ×3, first 2 shown]
	v_pk_min_f16 v22, v22, v97
	v_pk_min_f16 v78, v78, v97
	;; [unrolled: 1-line block ×35, first 2 shown]
	s_and_b32 vcc_lo, exec_lo, s3
	s_cbranch_vccz .LBB302_21
; %bb.32:                               ;   in Loop: Header=BB302_23 Depth=1
	v_dual_mov_b32 v0, 0 :: v_dual_mov_b32 v1, 0
	s_branch .LBB302_22
.LBB302_33:
	s_load_b32 s8, s[0:1], 0x50
	v_dual_mov_b32 v20, 0 :: v_dual_add_nc_u32 v25, s20, v48
	ds_load_b64 v[0:1], v49 offset:1024
	ds_load_b64 v[2:3], v50 offset:2560
	v_dual_mov_b32 v47, 0 :: v_dual_add_nc_u32 v22, s14, v47
	v_cmp_neq_f16_e64 s9, s18, 0
	s_delay_alu instid0(VALU_DEP_2) | instskip(NEXT) | instid1(VALU_DEP_2)
	v_ashrrev_i32_e32 v23, 31, v22
	s_and_b32 vcc_lo, exec_lo, s9
	s_delay_alu instid0(VALU_DEP_1) | instskip(SKIP_2) | instid1(VALU_DEP_1)
	v_lshlrev_b64 v[16:17], 1, v[22:23]
	s_waitcnt lgkmcnt(0)
	v_mad_i64_i32 v[4:5], null, v25, s8, 0
	v_lshlrev_b64 v[4:5], 1, v[4:5]
	s_delay_alu instid0(VALU_DEP_1) | instskip(NEXT) | instid1(VALU_DEP_1)
	v_add_co_u32 v67, s3, s4, v4
	v_add_co_ci_u32_e64 v68, s3, s5, v5, s3
	s_cbranch_vccz .LBB302_35
; %bb.34:
	s_delay_alu instid0(VALU_DEP_2) | instskip(NEXT) | instid1(VALU_DEP_2)
	v_add_co_u32 v4, vcc_lo, v67, v16
	v_add_co_ci_u32_e32 v5, vcc_lo, v68, v17, vcc_lo
	flat_load_u16 v4, v[4:5]
	s_waitcnt vmcnt(0) lgkmcnt(0)
	v_mul_f16_e32 v20, s18, v4
.LBB302_35:
	s_clause 0x1
	s_load_b64 s[10:11], s[0:1], 0x70
	s_load_b32 s1, s[0:1], 0x68
	v_pk_max_f16 v70, v0, v0
	v_pk_max_f16 v26, v2, v2
	v_pk_max_f16 v69, v1, v1
	v_pk_max_f16 v27, v3, v3
	ds_load_b64 v[23:24], v50 offset:3008
	ds_load_b64 v[18:19], v49 offset:1792
	v_add_nc_u32_e32 v4, 0x800, v50
	v_pk_min_f16 v0, v26, v70
	v_add_nc_u32_e32 v28, 8, v22
	v_pk_min_f16 v5, v27, v69
	s_delay_alu instid0(VALU_DEP_3)
	v_pk_add_f16 v6, v0, v66
	ds_load_2addr_b64 v[0:3], v49 offset0:160 offset1:192
	ds_load_2addr_b64 v[12:15], v4 offset0:72 offset1:80
	;; [unrolled: 1-line block ×3, first 2 shown]
	v_ashrrev_i32_e32 v29, 31, v28
	v_pk_add_f16 v21, v5, v6
	ds_load_2addr_b64 v[4:7], v4 offset0:104 offset1:112
	s_waitcnt lgkmcnt(0)
	s_mul_i32 s0, s15, s11
	v_mad_i64_i32 v[48:49], null, v25, s1, 0
	s_mul_hi_u32 s3, s15, s10
	s_mul_i32 s11, s19, s10
	s_add_i32 s0, s3, s0
	s_mul_i32 s10, s15, s10
	s_add_i32 s11, s0, s11
	v_lshrrev_b32_e32 v50, 16, v21
	s_delay_alu instid0(VALU_DEP_2) | instskip(SKIP_1) | instid1(SALU_CYCLE_1)
	v_lshlrev_b64 v[48:49], 1, v[48:49]
	s_lshl_b64 s[10:11], s[10:11], 1
	s_add_u32 s3, s6, s10
	s_addc_u32 s6, s7, s11
	v_add_f16_e32 v21, v21, v50
	s_delay_alu instid0(VALU_DEP_2) | instskip(SKIP_2) | instid1(VALU_DEP_3)
	v_add_co_u32 v66, vcc_lo, s3, v48
	v_cndmask_b32_e64 v50, 0, 1, s9
	v_add_co_ci_u32_e32 v71, vcc_lo, s6, v49, vcc_lo
	v_add_co_u32 v48, vcc_lo, v66, v16
	v_add_f16_e32 v59, v21, v20
	v_lshlrev_b64 v[20:21], 1, v[28:29]
	v_cmp_ne_u32_e64 s0, 1, v50
	v_add_co_ci_u32_e32 v49, vcc_lo, v71, v17, vcc_lo
	s_and_not1_b32 vcc_lo, exec_lo, s9
	global_store_b16 v[48:49], v59, off
	s_cbranch_vccnz .LBB302_37
; %bb.36:
	v_add_co_u32 v28, vcc_lo, v67, v20
	v_add_co_ci_u32_e32 v29, vcc_lo, v68, v21, vcc_lo
	flat_load_u16 v28, v[28:29]
	s_waitcnt vmcnt(0) lgkmcnt(0)
	v_mul_f16_e32 v47, s18, v28
.LBB302_37:
	v_pk_max_f16 v28, v12, v12
	v_pk_max_f16 v29, v13, v13
	v_add_co_u32 v72, vcc_lo, v66, v20
	v_add_co_ci_u32_e32 v73, vcc_lo, v71, v21, vcc_lo
	s_delay_alu instid0(VALU_DEP_4) | instskip(NEXT) | instid1(VALU_DEP_4)
	v_pk_min_f16 v12, v28, v70
	v_pk_min_f16 v13, v29, v69
	s_and_b32 vcc_lo, exec_lo, s0
	v_mov_b32_e32 v59, 0
	s_delay_alu instid0(VALU_DEP_3) | instskip(NEXT) | instid1(VALU_DEP_1)
	v_pk_add_f16 v12, v12, v65
	v_pk_add_f16 v48, v13, v12
	v_add_nc_u32_e32 v12, 16, v22
	s_delay_alu instid0(VALU_DEP_2) | instskip(NEXT) | instid1(VALU_DEP_2)
	v_lshrrev_b32_e32 v49, 16, v48
	v_ashrrev_i32_e32 v13, 31, v12
	s_delay_alu instid0(VALU_DEP_2) | instskip(NEXT) | instid1(VALU_DEP_2)
	v_add_f16_e32 v48, v48, v49
	v_lshlrev_b64 v[12:13], 1, v[12:13]
	v_mov_b32_e32 v49, 0
	s_delay_alu instid0(VALU_DEP_3)
	v_add_f16_e32 v47, v48, v47
	global_store_b16 v[72:73], v47, off
	s_cbranch_vccnz .LBB302_39
; %bb.38:
	v_add_co_u32 v47, vcc_lo, v67, v12
	v_add_co_ci_u32_e32 v48, vcc_lo, v68, v13, vcc_lo
	flat_load_u16 v47, v[47:48]
	s_waitcnt vmcnt(0) lgkmcnt(0)
	v_mul_f16_e32 v49, s18, v47
.LBB302_39:
	v_pk_max_f16 v47, v14, v14
	v_pk_max_f16 v48, v15, v15
	s_delay_alu instid0(VALU_DEP_2) | instskip(NEXT) | instid1(VALU_DEP_2)
	v_pk_min_f16 v14, v47, v70
	v_pk_min_f16 v15, v48, v69
	s_delay_alu instid0(VALU_DEP_2) | instskip(NEXT) | instid1(VALU_DEP_1)
	v_pk_add_f16 v14, v14, v64
	v_pk_add_f16 v50, v15, v14
	v_add_nc_u32_e32 v14, 24, v22
	s_delay_alu instid0(VALU_DEP_2) | instskip(NEXT) | instid1(VALU_DEP_2)
	v_lshrrev_b32_e32 v64, 16, v50
	v_ashrrev_i32_e32 v15, 31, v14
	s_delay_alu instid0(VALU_DEP_2) | instskip(SKIP_1) | instid1(VALU_DEP_3)
	v_add_f16_e32 v50, v50, v64
	v_add_co_u32 v64, vcc_lo, v66, v12
	v_lshlrev_b64 v[14:15], 1, v[14:15]
	v_add_co_ci_u32_e32 v65, vcc_lo, v71, v13, vcc_lo
	s_delay_alu instid0(VALU_DEP_4)
	v_add_f16_e32 v49, v50, v49
	s_and_b32 vcc_lo, exec_lo, s0
	global_store_b16 v[64:65], v49, off
	s_cbranch_vccnz .LBB302_41
; %bb.40:
	v_add_co_u32 v49, vcc_lo, v67, v14
	v_add_co_ci_u32_e32 v50, vcc_lo, v68, v15, vcc_lo
	flat_load_u16 v49, v[49:50]
	s_waitcnt vmcnt(0) lgkmcnt(0)
	v_mul_f16_e32 v59, s18, v49
.LBB302_41:
	v_pk_max_f16 v49, v8, v8
	v_pk_max_f16 v50, v9, v9
	v_add_co_u32 v72, vcc_lo, v66, v14
	v_add_co_ci_u32_e32 v73, vcc_lo, v71, v15, vcc_lo
	s_delay_alu instid0(VALU_DEP_4) | instskip(NEXT) | instid1(VALU_DEP_4)
	v_pk_min_f16 v8, v49, v70
	v_pk_min_f16 v9, v50, v69
	s_and_b32 vcc_lo, exec_lo, s0
	v_mov_b32_e32 v65, 0
	s_delay_alu instid0(VALU_DEP_3) | instskip(NEXT) | instid1(VALU_DEP_1)
	v_pk_add_f16 v8, v8, v63
	v_pk_add_f16 v63, v9, v8
	v_add_nc_u32_e32 v8, 32, v22
	s_delay_alu instid0(VALU_DEP_2) | instskip(NEXT) | instid1(VALU_DEP_2)
	v_lshrrev_b32_e32 v64, 16, v63
	v_ashrrev_i32_e32 v9, 31, v8
	s_delay_alu instid0(VALU_DEP_2) | instskip(NEXT) | instid1(VALU_DEP_2)
	v_add_f16_e32 v63, v63, v64
	v_lshlrev_b64 v[8:9], 1, v[8:9]
	v_mov_b32_e32 v64, 0
	s_delay_alu instid0(VALU_DEP_3)
	v_add_f16_e32 v59, v63, v59
	global_store_b16 v[72:73], v59, off
	s_cbranch_vccnz .LBB302_43
; %bb.42:
	v_add_co_u32 v63, vcc_lo, v67, v8
	v_add_co_ci_u32_e32 v64, vcc_lo, v68, v9, vcc_lo
	flat_load_u16 v59, v[63:64]
	s_waitcnt vmcnt(0) lgkmcnt(0)
	v_mul_f16_e32 v64, s18, v59
.LBB302_43:
	v_pk_max_f16 v59, v10, v10
	v_pk_max_f16 v63, v11, v11
	s_delay_alu instid0(VALU_DEP_2) | instskip(NEXT) | instid1(VALU_DEP_2)
	v_pk_min_f16 v10, v59, v70
	v_pk_min_f16 v11, v63, v69
	s_delay_alu instid0(VALU_DEP_2) | instskip(NEXT) | instid1(VALU_DEP_1)
	v_pk_add_f16 v10, v10, v62
	v_pk_add_f16 v62, v11, v10
	v_add_nc_u32_e32 v10, 40, v22
	s_delay_alu instid0(VALU_DEP_2) | instskip(NEXT) | instid1(VALU_DEP_2)
	v_lshrrev_b32_e32 v72, 16, v62
	v_ashrrev_i32_e32 v11, 31, v10
	s_delay_alu instid0(VALU_DEP_2) | instskip(SKIP_1) | instid1(VALU_DEP_3)
	v_add_f16_e32 v62, v62, v72
	v_add_co_u32 v72, vcc_lo, v66, v8
	v_lshlrev_b64 v[10:11], 1, v[10:11]
	v_add_co_ci_u32_e32 v73, vcc_lo, v71, v9, vcc_lo
	s_delay_alu instid0(VALU_DEP_4)
	v_add_f16_e32 v62, v62, v64
	s_and_b32 vcc_lo, exec_lo, s0
	global_store_b16 v[72:73], v62, off
	s_cbranch_vccnz .LBB302_45
; %bb.44:
	v_add_co_u32 v64, vcc_lo, v67, v10
	v_add_co_ci_u32_e32 v65, vcc_lo, v68, v11, vcc_lo
	flat_load_u16 v62, v[64:65]
	s_waitcnt vmcnt(0) lgkmcnt(0)
	v_mul_f16_e32 v65, s18, v62
.LBB302_45:
	v_pk_max_f16 v62, v4, v4
	v_pk_max_f16 v64, v5, v5
	v_add_co_u32 v74, vcc_lo, v66, v10
	v_add_co_ci_u32_e32 v75, vcc_lo, v71, v11, vcc_lo
	s_delay_alu instid0(VALU_DEP_4) | instskip(NEXT) | instid1(VALU_DEP_4)
	v_pk_min_f16 v4, v62, v70
	v_pk_min_f16 v5, v64, v69
	s_and_b32 vcc_lo, exec_lo, s0
	v_mov_b32_e32 v73, 0
	s_delay_alu instid0(VALU_DEP_3) | instskip(NEXT) | instid1(VALU_DEP_1)
	v_pk_add_f16 v4, v4, v61
	v_pk_add_f16 v61, v5, v4
	v_add_nc_u32_e32 v4, 48, v22
	s_delay_alu instid0(VALU_DEP_2) | instskip(NEXT) | instid1(VALU_DEP_2)
	v_lshrrev_b32_e32 v72, 16, v61
	v_ashrrev_i32_e32 v5, 31, v4
	s_delay_alu instid0(VALU_DEP_2) | instskip(NEXT) | instid1(VALU_DEP_2)
	v_add_f16_e32 v61, v61, v72
	v_lshlrev_b64 v[4:5], 1, v[4:5]
	v_mov_b32_e32 v72, 0
	s_delay_alu instid0(VALU_DEP_3)
	v_add_f16_e32 v61, v61, v65
	global_store_b16 v[74:75], v61, off
	s_cbranch_vccnz .LBB302_47
; %bb.46:
	v_add_co_u32 v73, vcc_lo, v67, v4
	v_add_co_ci_u32_e32 v74, vcc_lo, v68, v5, vcc_lo
	flat_load_u16 v61, v[73:74]
	s_waitcnt vmcnt(0) lgkmcnt(0)
	v_mul_f16_e32 v73, s18, v61
.LBB302_47:
	v_pk_max_f16 v61, v6, v6
	v_pk_max_f16 v65, v7, v7
	v_add_co_u32 v74, vcc_lo, v66, v4
	v_add_co_ci_u32_e32 v75, vcc_lo, v71, v5, vcc_lo
	s_delay_alu instid0(VALU_DEP_4) | instskip(NEXT) | instid1(VALU_DEP_4)
	v_pk_min_f16 v6, v61, v70
	v_pk_min_f16 v7, v65, v69
	s_and_b32 vcc_lo, exec_lo, s0
	s_delay_alu instid0(VALU_DEP_2) | instskip(NEXT) | instid1(VALU_DEP_1)
	v_pk_add_f16 v6, v6, v60
	v_pk_add_f16 v60, v7, v6
	v_add_nc_u32_e32 v6, 56, v22
	s_delay_alu instid0(VALU_DEP_2) | instskip(NEXT) | instid1(VALU_DEP_2)
	v_lshrrev_b32_e32 v22, 16, v60
	v_ashrrev_i32_e32 v7, 31, v6
	s_delay_alu instid0(VALU_DEP_2) | instskip(NEXT) | instid1(VALU_DEP_2)
	v_add_f16_e32 v22, v60, v22
	v_lshlrev_b64 v[6:7], 1, v[6:7]
	s_delay_alu instid0(VALU_DEP_2)
	v_add_f16_e32 v22, v22, v73
	global_store_b16 v[74:75], v22, off
	s_cbranch_vccnz .LBB302_49
; %bb.48:
	v_add_co_u32 v67, vcc_lo, v67, v6
	v_add_co_ci_u32_e32 v68, vcc_lo, v68, v7, vcc_lo
	flat_load_u16 v22, v[67:68]
	s_waitcnt vmcnt(0) lgkmcnt(0)
	v_mul_f16_e32 v72, s18, v22
.LBB302_49:
	v_pk_max_f16 v22, v23, v23
	v_pk_max_f16 v23, v24, v24
	v_add_nc_u32_e32 v67, 32, v25
	s_delay_alu instid0(VALU_DEP_3) | instskip(NEXT) | instid1(VALU_DEP_3)
	v_pk_min_f16 v24, v22, v70
	v_pk_min_f16 v60, v23, v69
	v_add_co_u32 v70, vcc_lo, v66, v6
	v_mov_b32_e32 v66, 0
	s_delay_alu instid0(VALU_DEP_4) | instskip(SKIP_2) | instid1(VALU_DEP_3)
	v_pk_add_f16 v24, v24, v58
	v_mad_i64_i32 v[68:69], null, v67, s8, 0
	v_add_co_ci_u32_e32 v71, vcc_lo, v71, v7, vcc_lo
	v_pk_add_f16 v24, v60, v24
	s_delay_alu instid0(VALU_DEP_3) | instskip(NEXT) | instid1(VALU_DEP_2)
	v_lshlrev_b64 v[68:69], 1, v[68:69]
	v_lshrrev_b32_e32 v58, 16, v24
	s_delay_alu instid0(VALU_DEP_1) | instskip(NEXT) | instid1(VALU_DEP_3)
	v_add_f16_e32 v60, v24, v58
	v_add_co_u32 v24, vcc_lo, s4, v68
	s_delay_alu instid0(VALU_DEP_4) | instskip(NEXT) | instid1(VALU_DEP_3)
	v_add_co_ci_u32_e32 v58, vcc_lo, s5, v69, vcc_lo
	v_add_f16_e32 v60, v60, v72
	v_mov_b32_e32 v68, 0
	s_and_b32 vcc_lo, exec_lo, s0
	global_store_b16 v[70:71], v60, off
	s_cbranch_vccnz .LBB302_51
; %bb.50:
	v_add_co_u32 v68, vcc_lo, v24, v16
	v_add_co_ci_u32_e32 v69, vcc_lo, v58, v17, vcc_lo
	flat_load_u16 v60, v[68:69]
	s_waitcnt vmcnt(0) lgkmcnt(0)
	v_mul_f16_e32 v68, s18, v60
.LBB302_51:
	v_pk_max_f16 v60, v0, v0
	v_pk_max_f16 v0, v1, v1
	v_mad_i64_i32 v[69:70], null, v67, s1, 0
	s_delay_alu instid0(VALU_DEP_3) | instskip(NEXT) | instid1(VALU_DEP_3)
	v_pk_min_f16 v1, v26, v60
	v_pk_min_f16 v71, v27, v0
	s_delay_alu instid0(VALU_DEP_3) | instskip(NEXT) | instid1(VALU_DEP_3)
	v_lshlrev_b64 v[69:70], 1, v[69:70]
	v_pk_add_f16 v1, v1, v57
	s_delay_alu instid0(VALU_DEP_1) | instskip(NEXT) | instid1(VALU_DEP_1)
	v_pk_add_f16 v1, v71, v1
	v_lshrrev_b32_e32 v57, 16, v1
	s_delay_alu instid0(VALU_DEP_1) | instskip(SKIP_2) | instid1(VALU_DEP_3)
	v_add_f16_e32 v67, v1, v57
	v_add_co_u32 v1, vcc_lo, s3, v69
	v_add_co_ci_u32_e32 v57, vcc_lo, s6, v70, vcc_lo
	v_add_f16_e32 v69, v67, v68
	s_delay_alu instid0(VALU_DEP_3) | instskip(NEXT) | instid1(VALU_DEP_3)
	v_add_co_u32 v67, vcc_lo, v1, v16
	v_add_co_ci_u32_e32 v68, vcc_lo, v57, v17, vcc_lo
	s_and_b32 vcc_lo, exec_lo, s0
	global_store_b16 v[67:68], v69, off
	s_cbranch_vccnz .LBB302_53
; %bb.52:
	v_add_co_u32 v66, vcc_lo, v24, v20
	v_add_co_ci_u32_e32 v67, vcc_lo, v58, v21, vcc_lo
	flat_load_u16 v66, v[66:67]
	s_waitcnt vmcnt(0) lgkmcnt(0)
	v_mul_f16_e32 v66, s18, v66
.LBB302_53:
	v_pk_min_f16 v67, v28, v60
	v_pk_min_f16 v68, v29, v0
	s_delay_alu instid0(VALU_DEP_2) | instskip(NEXT) | instid1(VALU_DEP_1)
	v_pk_add_f16 v56, v67, v56
	v_pk_add_f16 v56, v68, v56
	s_delay_alu instid0(VALU_DEP_1) | instskip(NEXT) | instid1(VALU_DEP_1)
	v_lshrrev_b32_e32 v67, 16, v56
	v_add_f16_e32 v56, v56, v67
	v_add_co_u32 v67, vcc_lo, v1, v20
	v_add_co_ci_u32_e32 v68, vcc_lo, v57, v21, vcc_lo
	s_delay_alu instid0(VALU_DEP_3)
	v_add_f16_e32 v69, v56, v66
	v_mov_b32_e32 v56, 0
	v_mov_b32_e32 v66, 0
	s_and_b32 vcc_lo, exec_lo, s0
	global_store_b16 v[67:68], v69, off
	s_cbranch_vccnz .LBB302_55
; %bb.54:
	v_add_co_u32 v66, vcc_lo, v24, v12
	v_add_co_ci_u32_e32 v67, vcc_lo, v58, v13, vcc_lo
	flat_load_u16 v66, v[66:67]
	s_waitcnt vmcnt(0) lgkmcnt(0)
	v_mul_f16_e32 v66, s18, v66
.LBB302_55:
	v_pk_min_f16 v67, v47, v60
	v_pk_min_f16 v68, v48, v0
	s_delay_alu instid0(VALU_DEP_2) | instskip(NEXT) | instid1(VALU_DEP_1)
	v_pk_add_f16 v55, v67, v55
	v_pk_add_f16 v55, v68, v55
	s_delay_alu instid0(VALU_DEP_1) | instskip(NEXT) | instid1(VALU_DEP_1)
	v_lshrrev_b32_e32 v67, 16, v55
	v_add_f16_e32 v55, v55, v67
	s_delay_alu instid0(VALU_DEP_1)
	v_add_f16_e32 v55, v55, v66
	v_add_co_u32 v66, vcc_lo, v1, v12
	v_add_co_ci_u32_e32 v67, vcc_lo, v57, v13, vcc_lo
	s_and_b32 vcc_lo, exec_lo, s0
	global_store_b16 v[66:67], v55, off
	s_cbranch_vccnz .LBB302_57
; %bb.56:
	v_add_co_u32 v55, vcc_lo, v24, v14
	v_add_co_ci_u32_e32 v56, vcc_lo, v58, v15, vcc_lo
	flat_load_u16 v55, v[55:56]
	s_waitcnt vmcnt(0) lgkmcnt(0)
	v_mul_f16_e32 v56, s18, v55
.LBB302_57:
	v_pk_min_f16 v55, v49, v60
	v_pk_min_f16 v66, v50, v0
	s_delay_alu instid0(VALU_DEP_2) | instskip(NEXT) | instid1(VALU_DEP_1)
	v_pk_add_f16 v54, v55, v54
	v_pk_add_f16 v54, v66, v54
	v_add_co_u32 v66, vcc_lo, v1, v14
	v_add_co_ci_u32_e32 v67, vcc_lo, v57, v15, vcc_lo
	s_delay_alu instid0(VALU_DEP_3) | instskip(SKIP_1) | instid1(VALU_DEP_1)
	v_lshrrev_b32_e32 v55, 16, v54
	s_and_b32 vcc_lo, exec_lo, s0
	v_add_f16_e32 v54, v54, v55
	v_mov_b32_e32 v55, 0
	s_delay_alu instid0(VALU_DEP_2)
	v_add_f16_e32 v56, v54, v56
	v_mov_b32_e32 v54, 0
	global_store_b16 v[66:67], v56, off
	s_cbranch_vccnz .LBB302_59
; %bb.58:
	v_add_co_u32 v55, vcc_lo, v24, v8
	v_add_co_ci_u32_e32 v56, vcc_lo, v58, v9, vcc_lo
	flat_load_u16 v55, v[55:56]
	s_waitcnt vmcnt(0) lgkmcnt(0)
	v_mul_f16_e32 v55, s18, v55
.LBB302_59:
	v_pk_min_f16 v56, v59, v60
	v_pk_min_f16 v66, v63, v0
	s_delay_alu instid0(VALU_DEP_2) | instskip(NEXT) | instid1(VALU_DEP_1)
	v_pk_add_f16 v53, v56, v53
	v_pk_add_f16 v53, v66, v53
	s_delay_alu instid0(VALU_DEP_1) | instskip(NEXT) | instid1(VALU_DEP_1)
	v_lshrrev_b32_e32 v56, 16, v53
	v_add_f16_e32 v53, v53, v56
	s_delay_alu instid0(VALU_DEP_1)
	v_add_f16_e32 v53, v53, v55
	v_add_co_u32 v55, vcc_lo, v1, v8
	v_add_co_ci_u32_e32 v56, vcc_lo, v57, v9, vcc_lo
	s_and_b32 vcc_lo, exec_lo, s0
	global_store_b16 v[55:56], v53, off
	s_cbranch_vccnz .LBB302_61
; %bb.60:
	v_add_co_u32 v53, vcc_lo, v24, v10
	v_add_co_ci_u32_e32 v54, vcc_lo, v58, v11, vcc_lo
	flat_load_u16 v53, v[53:54]
	s_waitcnt vmcnt(0) lgkmcnt(0)
	v_mul_f16_e32 v54, s18, v53
.LBB302_61:
	v_pk_min_f16 v53, v62, v60
	v_pk_min_f16 v55, v64, v0
	s_delay_alu instid0(VALU_DEP_2) | instskip(NEXT) | instid1(VALU_DEP_1)
	v_pk_add_f16 v52, v53, v52
	v_pk_add_f16 v52, v55, v52
	v_add_co_u32 v55, vcc_lo, v1, v10
	v_add_co_ci_u32_e32 v56, vcc_lo, v57, v11, vcc_lo
	s_delay_alu instid0(VALU_DEP_3) | instskip(SKIP_1) | instid1(VALU_DEP_1)
	v_lshrrev_b32_e32 v53, 16, v52
	s_and_b32 vcc_lo, exec_lo, s0
	v_add_f16_e32 v52, v52, v53
	v_mov_b32_e32 v53, 0
	s_delay_alu instid0(VALU_DEP_2)
	v_add_f16_e32 v54, v52, v54
	v_mov_b32_e32 v52, 0
	global_store_b16 v[55:56], v54, off
	s_cbranch_vccnz .LBB302_63
; %bb.62:
	v_add_co_u32 v53, vcc_lo, v24, v4
	v_add_co_ci_u32_e32 v54, vcc_lo, v58, v5, vcc_lo
	flat_load_u16 v53, v[53:54]
	s_waitcnt vmcnt(0) lgkmcnt(0)
	v_mul_f16_e32 v53, s18, v53
.LBB302_63:
	v_pk_min_f16 v54, v61, v60
	v_pk_min_f16 v55, v65, v0
	s_delay_alu instid0(VALU_DEP_2) | instskip(NEXT) | instid1(VALU_DEP_1)
	v_pk_add_f16 v51, v54, v51
	v_pk_add_f16 v51, v55, v51
	s_delay_alu instid0(VALU_DEP_1) | instskip(NEXT) | instid1(VALU_DEP_1)
	v_lshrrev_b32_e32 v54, 16, v51
	v_add_f16_e32 v51, v51, v54
	s_delay_alu instid0(VALU_DEP_1)
	v_add_f16_e32 v51, v51, v53
	v_add_co_u32 v53, vcc_lo, v1, v4
	v_add_co_ci_u32_e32 v54, vcc_lo, v57, v5, vcc_lo
	s_and_b32 vcc_lo, exec_lo, s0
	global_store_b16 v[53:54], v51, off
	s_cbranch_vccnz .LBB302_65
; %bb.64:
	v_add_co_u32 v51, vcc_lo, v24, v6
	v_add_co_ci_u32_e32 v52, vcc_lo, v58, v7, vcc_lo
	flat_load_u16 v24, v[51:52]
	s_waitcnt vmcnt(0) lgkmcnt(0)
	v_mul_f16_e32 v52, s18, v24
.LBB302_65:
	v_pk_min_f16 v24, v22, v60
	v_pk_min_f16 v0, v23, v0
	v_add_nc_u32_e32 v53, 64, v25
	v_add_co_u32 v56, vcc_lo, v1, v6
	s_delay_alu instid0(VALU_DEP_4) | instskip(SKIP_2) | instid1(VALU_DEP_3)
	v_pk_add_f16 v24, v24, v46
	v_add_co_ci_u32_e32 v57, vcc_lo, v57, v7, vcc_lo
	v_mov_b32_e32 v51, 0
	v_pk_add_f16 v0, v0, v24
	s_delay_alu instid0(VALU_DEP_1) | instskip(NEXT) | instid1(VALU_DEP_1)
	v_lshrrev_b32_e32 v24, 16, v0
	v_add_f16_e32 v0, v0, v24
	s_delay_alu instid0(VALU_DEP_1) | instskip(SKIP_4) | instid1(VALU_DEP_1)
	v_add_f16_e32 v0, v0, v52
	v_mov_b32_e32 v52, 0
	v_mad_i64_i32 v[54:55], null, v53, s8, 0
	global_store_b16 v[56:57], v0, off
	v_lshlrev_b64 v[54:55], 1, v[54:55]
	v_add_co_u32 v1, vcc_lo, s4, v54
	s_delay_alu instid0(VALU_DEP_2)
	v_add_co_ci_u32_e32 v24, vcc_lo, s5, v55, vcc_lo
	s_and_b32 vcc_lo, exec_lo, s0
	s_cbranch_vccnz .LBB302_67
; %bb.66:
	s_delay_alu instid0(VALU_DEP_2) | instskip(NEXT) | instid1(VALU_DEP_2)
	v_add_co_u32 v54, vcc_lo, v1, v16
	v_add_co_ci_u32_e32 v55, vcc_lo, v24, v17, vcc_lo
	flat_load_u16 v0, v[54:55]
	s_waitcnt vmcnt(0) lgkmcnt(0)
	v_mul_f16_e32 v52, s18, v0
.LBB302_67:
	v_pk_max_f16 v46, v2, v2
	v_pk_max_f16 v0, v3, v3
	s_delay_alu instid0(VALU_DEP_2) | instskip(NEXT) | instid1(VALU_DEP_2)
	v_pk_min_f16 v2, v26, v46
	v_pk_min_f16 v54, v27, v0
	s_delay_alu instid0(VALU_DEP_2) | instskip(SKIP_1) | instid1(VALU_DEP_2)
	v_pk_add_f16 v45, v2, v45
	v_mad_i64_i32 v[2:3], null, v53, s1, 0
	v_pk_add_f16 v45, v54, v45
	s_delay_alu instid0(VALU_DEP_2) | instskip(NEXT) | instid1(VALU_DEP_2)
	v_lshlrev_b64 v[2:3], 1, v[2:3]
	v_lshrrev_b32_e32 v53, 16, v45
	s_delay_alu instid0(VALU_DEP_2) | instskip(NEXT) | instid1(VALU_DEP_2)
	v_add_co_u32 v2, vcc_lo, s3, v2
	v_add_f16_e32 v45, v45, v53
	s_delay_alu instid0(VALU_DEP_4) | instskip(NEXT) | instid1(VALU_DEP_2)
	v_add_co_ci_u32_e32 v3, vcc_lo, s6, v3, vcc_lo
	v_add_f16_e32 v45, v45, v52
	s_delay_alu instid0(VALU_DEP_4) | instskip(NEXT) | instid1(VALU_DEP_3)
	v_add_co_u32 v52, vcc_lo, v2, v16
	v_add_co_ci_u32_e32 v53, vcc_lo, v3, v17, vcc_lo
	s_and_b32 vcc_lo, exec_lo, s0
	global_store_b16 v[52:53], v45, off
	s_cbranch_vccnz .LBB302_69
; %bb.68:
	v_add_co_u32 v51, vcc_lo, v1, v20
	v_add_co_ci_u32_e32 v52, vcc_lo, v24, v21, vcc_lo
	flat_load_u16 v45, v[51:52]
	s_waitcnt vmcnt(0) lgkmcnt(0)
	v_mul_f16_e32 v51, s18, v45
.LBB302_69:
	v_pk_min_f16 v45, v28, v46
	v_pk_min_f16 v52, v29, v0
	s_delay_alu instid0(VALU_DEP_2) | instskip(NEXT) | instid1(VALU_DEP_1)
	v_pk_add_f16 v44, v45, v44
	v_pk_add_f16 v44, v52, v44
	v_add_co_u32 v52, vcc_lo, v2, v20
	v_add_co_ci_u32_e32 v53, vcc_lo, v3, v21, vcc_lo
	s_delay_alu instid0(VALU_DEP_3) | instskip(SKIP_1) | instid1(VALU_DEP_1)
	v_lshrrev_b32_e32 v45, 16, v44
	s_and_b32 vcc_lo, exec_lo, s0
	v_add_f16_e32 v44, v44, v45
	v_mov_b32_e32 v45, 0
	s_delay_alu instid0(VALU_DEP_2)
	v_add_f16_e32 v51, v44, v51
	v_mov_b32_e32 v44, 0
	global_store_b16 v[52:53], v51, off
	s_cbranch_vccnz .LBB302_71
; %bb.70:
	v_add_co_u32 v51, vcc_lo, v1, v12
	v_add_co_ci_u32_e32 v52, vcc_lo, v24, v13, vcc_lo
	flat_load_u16 v45, v[51:52]
	s_waitcnt vmcnt(0) lgkmcnt(0)
	v_mul_f16_e32 v45, s18, v45
.LBB302_71:
	v_pk_min_f16 v51, v47, v46
	v_pk_min_f16 v52, v48, v0
	s_delay_alu instid0(VALU_DEP_2) | instskip(NEXT) | instid1(VALU_DEP_1)
	v_pk_add_f16 v43, v51, v43
	v_pk_add_f16 v43, v52, v43
	s_delay_alu instid0(VALU_DEP_1) | instskip(NEXT) | instid1(VALU_DEP_1)
	v_lshrrev_b32_e32 v51, 16, v43
	v_add_f16_e32 v43, v43, v51
	v_add_co_u32 v51, vcc_lo, v2, v12
	v_add_co_ci_u32_e32 v52, vcc_lo, v3, v13, vcc_lo
	s_delay_alu instid0(VALU_DEP_3)
	v_add_f16_e32 v43, v43, v45
	s_and_b32 vcc_lo, exec_lo, s0
	global_store_b16 v[51:52], v43, off
	s_cbranch_vccnz .LBB302_73
; %bb.72:
	v_add_co_u32 v43, vcc_lo, v1, v14
	v_add_co_ci_u32_e32 v44, vcc_lo, v24, v15, vcc_lo
	flat_load_u16 v43, v[43:44]
	s_waitcnt vmcnt(0) lgkmcnt(0)
	v_mul_f16_e32 v44, s18, v43
.LBB302_73:
	v_pk_min_f16 v43, v49, v46
	v_pk_min_f16 v45, v50, v0
	v_add_co_u32 v51, vcc_lo, v2, v14
	v_add_co_ci_u32_e32 v52, vcc_lo, v3, v15, vcc_lo
	s_delay_alu instid0(VALU_DEP_4) | instskip(SKIP_1) | instid1(VALU_DEP_1)
	v_pk_add_f16 v42, v43, v42
	s_and_b32 vcc_lo, exec_lo, s0
	v_pk_add_f16 v42, v45, v42
	s_delay_alu instid0(VALU_DEP_1) | instskip(NEXT) | instid1(VALU_DEP_1)
	v_lshrrev_b32_e32 v43, 16, v42
	v_add_f16_e32 v42, v42, v43
	v_mov_b32_e32 v43, 0
	s_delay_alu instid0(VALU_DEP_2)
	v_add_f16_e32 v44, v42, v44
	v_mov_b32_e32 v42, 0
	global_store_b16 v[51:52], v44, off
	s_cbranch_vccnz .LBB302_75
; %bb.74:
	v_add_co_u32 v43, vcc_lo, v1, v8
	v_add_co_ci_u32_e32 v44, vcc_lo, v24, v9, vcc_lo
	flat_load_u16 v43, v[43:44]
	s_waitcnt vmcnt(0) lgkmcnt(0)
	v_mul_f16_e32 v43, s18, v43
.LBB302_75:
	v_pk_min_f16 v44, v59, v46
	v_pk_min_f16 v45, v63, v0
	s_delay_alu instid0(VALU_DEP_2) | instskip(NEXT) | instid1(VALU_DEP_1)
	v_pk_add_f16 v41, v44, v41
	v_pk_add_f16 v41, v45, v41
	s_delay_alu instid0(VALU_DEP_1) | instskip(NEXT) | instid1(VALU_DEP_1)
	v_lshrrev_b32_e32 v44, 16, v41
	v_add_f16_e32 v41, v41, v44
	s_delay_alu instid0(VALU_DEP_1)
	v_add_f16_e32 v41, v41, v43
	v_add_co_u32 v43, vcc_lo, v2, v8
	v_add_co_ci_u32_e32 v44, vcc_lo, v3, v9, vcc_lo
	s_and_b32 vcc_lo, exec_lo, s0
	global_store_b16 v[43:44], v41, off
	s_cbranch_vccnz .LBB302_77
; %bb.76:
	v_add_co_u32 v41, vcc_lo, v1, v10
	v_add_co_ci_u32_e32 v42, vcc_lo, v24, v11, vcc_lo
	flat_load_u16 v41, v[41:42]
	s_waitcnt vmcnt(0) lgkmcnt(0)
	v_mul_f16_e32 v42, s18, v41
.LBB302_77:
	v_pk_min_f16 v41, v62, v46
	v_pk_min_f16 v43, v64, v0
	s_delay_alu instid0(VALU_DEP_2) | instskip(NEXT) | instid1(VALU_DEP_1)
	v_pk_add_f16 v40, v41, v40
	v_pk_add_f16 v40, v43, v40
	v_add_co_u32 v43, vcc_lo, v2, v10
	v_add_co_ci_u32_e32 v44, vcc_lo, v3, v11, vcc_lo
	s_delay_alu instid0(VALU_DEP_3) | instskip(SKIP_1) | instid1(VALU_DEP_1)
	v_lshrrev_b32_e32 v41, 16, v40
	s_and_b32 vcc_lo, exec_lo, s0
	v_add_f16_e32 v40, v40, v41
	v_mov_b32_e32 v41, 0
	s_delay_alu instid0(VALU_DEP_2)
	v_add_f16_e32 v42, v40, v42
	v_mov_b32_e32 v40, 0
	global_store_b16 v[43:44], v42, off
	s_cbranch_vccnz .LBB302_79
; %bb.78:
	v_add_co_u32 v41, vcc_lo, v1, v4
	v_add_co_ci_u32_e32 v42, vcc_lo, v24, v5, vcc_lo
	flat_load_u16 v41, v[41:42]
	s_waitcnt vmcnt(0) lgkmcnt(0)
	v_mul_f16_e32 v41, s18, v41
.LBB302_79:
	v_pk_min_f16 v42, v61, v46
	v_pk_min_f16 v43, v65, v0
	s_delay_alu instid0(VALU_DEP_2) | instskip(NEXT) | instid1(VALU_DEP_1)
	v_pk_add_f16 v39, v42, v39
	v_pk_add_f16 v39, v43, v39
	s_delay_alu instid0(VALU_DEP_1) | instskip(NEXT) | instid1(VALU_DEP_1)
	v_lshrrev_b32_e32 v42, 16, v39
	v_add_f16_e32 v39, v39, v42
	s_delay_alu instid0(VALU_DEP_1)
	v_add_f16_e32 v39, v39, v41
	v_add_co_u32 v41, vcc_lo, v2, v4
	v_add_co_ci_u32_e32 v42, vcc_lo, v3, v5, vcc_lo
	s_and_b32 vcc_lo, exec_lo, s0
	global_store_b16 v[41:42], v39, off
	s_cbranch_vccnz .LBB302_81
; %bb.80:
	v_add_co_u32 v39, vcc_lo, v1, v6
	v_add_co_ci_u32_e32 v40, vcc_lo, v24, v7, vcc_lo
	flat_load_u16 v1, v[39:40]
	s_waitcnt vmcnt(0) lgkmcnt(0)
	v_mul_f16_e32 v40, s18, v1
.LBB302_81:
	v_pk_min_f16 v1, v22, v46
	v_pk_min_f16 v24, v23, v0
	v_add_nc_u32_e32 v25, 0x60, v25
	v_add_co_u32 v2, vcc_lo, v2, v6
	s_delay_alu instid0(VALU_DEP_4) | instskip(SKIP_1) | instid1(VALU_DEP_2)
	v_pk_add_f16 v38, v1, v38
	v_add_co_ci_u32_e32 v3, vcc_lo, v3, v7, vcc_lo
	v_pk_add_f16 v24, v24, v38
	s_delay_alu instid0(VALU_DEP_1) | instskip(NEXT) | instid1(VALU_DEP_1)
	v_lshrrev_b32_e32 v38, 16, v24
	v_add_f16_e32 v24, v24, v38
	v_mov_b32_e32 v38, 0
	s_delay_alu instid0(VALU_DEP_2) | instskip(SKIP_4) | instid1(VALU_DEP_1)
	v_add_f16_e32 v39, v24, v40
	v_mov_b32_e32 v24, 0
	v_mad_i64_i32 v[0:1], null, v25, s8, 0
	global_store_b16 v[2:3], v39, off
	v_lshlrev_b64 v[0:1], 1, v[0:1]
	v_add_co_u32 v0, vcc_lo, s4, v0
	s_delay_alu instid0(VALU_DEP_2)
	v_add_co_ci_u32_e32 v1, vcc_lo, s5, v1, vcc_lo
	s_and_b32 vcc_lo, exec_lo, s0
	s_cbranch_vccnz .LBB302_83
; %bb.82:
	s_delay_alu instid0(VALU_DEP_2) | instskip(NEXT) | instid1(VALU_DEP_2)
	v_add_co_u32 v2, vcc_lo, v0, v16
	v_add_co_ci_u32_e32 v3, vcc_lo, v1, v17, vcc_lo
	flat_load_u16 v2, v[2:3]
	s_waitcnt vmcnt(0) lgkmcnt(0)
	v_mul_f16_e32 v38, s18, v2
.LBB302_83:
	v_pk_max_f16 v2, v18, v18
	v_pk_max_f16 v3, v19, v19
	s_delay_alu instid0(VALU_DEP_2) | instskip(NEXT) | instid1(VALU_DEP_2)
	v_pk_min_f16 v18, v26, v2
	v_pk_min_f16 v26, v27, v3
	s_delay_alu instid0(VALU_DEP_2) | instskip(SKIP_1) | instid1(VALU_DEP_2)
	v_pk_add_f16 v27, v18, v37
	v_mad_i64_i32 v[18:19], null, v25, s1, 0
	v_pk_add_f16 v25, v26, v27
	s_delay_alu instid0(VALU_DEP_2) | instskip(NEXT) | instid1(VALU_DEP_2)
	v_lshlrev_b64 v[18:19], 1, v[18:19]
	v_lshrrev_b32_e32 v26, 16, v25
	s_delay_alu instid0(VALU_DEP_2) | instskip(NEXT) | instid1(VALU_DEP_2)
	v_add_co_u32 v18, vcc_lo, s3, v18
	v_add_f16_e32 v25, v25, v26
	s_delay_alu instid0(VALU_DEP_4) | instskip(NEXT) | instid1(VALU_DEP_3)
	v_add_co_ci_u32_e32 v19, vcc_lo, s6, v19, vcc_lo
	v_add_co_u32 v16, vcc_lo, v18, v16
	s_delay_alu instid0(VALU_DEP_3) | instskip(NEXT) | instid1(VALU_DEP_3)
	v_add_f16_e32 v25, v25, v38
	v_add_co_ci_u32_e32 v17, vcc_lo, v19, v17, vcc_lo
	s_and_b32 vcc_lo, exec_lo, s0
	global_store_b16 v[16:17], v25, off
	s_cbranch_vccnz .LBB302_85
; %bb.84:
	v_add_co_u32 v16, vcc_lo, v0, v20
	v_add_co_ci_u32_e32 v17, vcc_lo, v1, v21, vcc_lo
	flat_load_u16 v16, v[16:17]
	s_waitcnt vmcnt(0) lgkmcnt(0)
	v_mul_f16_e32 v24, s18, v16
.LBB302_85:
	v_pk_min_f16 v16, v28, v2
	v_pk_min_f16 v17, v29, v3
	v_add_co_u32 v20, vcc_lo, v18, v20
	v_add_co_ci_u32_e32 v21, vcc_lo, v19, v21, vcc_lo
	s_delay_alu instid0(VALU_DEP_4) | instskip(SKIP_1) | instid1(VALU_DEP_1)
	v_pk_add_f16 v16, v16, v36
	s_and_b32 vcc_lo, exec_lo, s0
	v_pk_add_f16 v16, v17, v16
	s_delay_alu instid0(VALU_DEP_1) | instskip(NEXT) | instid1(VALU_DEP_1)
	v_lshrrev_b32_e32 v17, 16, v16
	v_add_f16_e32 v16, v16, v17
	v_mov_b32_e32 v17, 0
	s_delay_alu instid0(VALU_DEP_2)
	v_add_f16_e32 v24, v16, v24
	v_mov_b32_e32 v16, 0
	global_store_b16 v[20:21], v24, off
	s_cbranch_vccnz .LBB302_87
; %bb.86:
	v_add_co_u32 v20, vcc_lo, v0, v12
	v_add_co_ci_u32_e32 v21, vcc_lo, v1, v13, vcc_lo
	flat_load_u16 v17, v[20:21]
	s_waitcnt vmcnt(0) lgkmcnt(0)
	v_mul_f16_e32 v17, s18, v17
.LBB302_87:
	v_pk_min_f16 v20, v47, v2
	v_pk_min_f16 v21, v48, v3
	v_add_co_u32 v12, vcc_lo, v18, v12
	v_add_co_ci_u32_e32 v13, vcc_lo, v19, v13, vcc_lo
	s_delay_alu instid0(VALU_DEP_4) | instskip(SKIP_1) | instid1(VALU_DEP_1)
	v_pk_add_f16 v20, v20, v35
	s_and_b32 vcc_lo, exec_lo, s0
	v_pk_add_f16 v20, v21, v20
	s_delay_alu instid0(VALU_DEP_1) | instskip(NEXT) | instid1(VALU_DEP_1)
	v_lshrrev_b32_e32 v21, 16, v20
	v_add_f16_e32 v20, v20, v21
	s_delay_alu instid0(VALU_DEP_1)
	v_add_f16_e32 v17, v20, v17
	global_store_b16 v[12:13], v17, off
	s_cbranch_vccnz .LBB302_89
; %bb.88:
	v_add_co_u32 v12, vcc_lo, v0, v14
	v_add_co_ci_u32_e32 v13, vcc_lo, v1, v15, vcc_lo
	flat_load_u16 v12, v[12:13]
	s_waitcnt vmcnt(0) lgkmcnt(0)
	v_mul_f16_e32 v16, s18, v12
.LBB302_89:
	v_pk_min_f16 v12, v49, v2
	v_pk_min_f16 v13, v50, v3
	v_add_co_u32 v14, vcc_lo, v18, v14
	v_add_co_ci_u32_e32 v15, vcc_lo, v19, v15, vcc_lo
	s_delay_alu instid0(VALU_DEP_4) | instskip(SKIP_1) | instid1(VALU_DEP_1)
	v_pk_add_f16 v12, v12, v34
	s_and_b32 vcc_lo, exec_lo, s0
	v_pk_add_f16 v12, v13, v12
	s_delay_alu instid0(VALU_DEP_1) | instskip(NEXT) | instid1(VALU_DEP_1)
	v_lshrrev_b32_e32 v13, 16, v12
	v_add_f16_e32 v12, v12, v13
	v_mov_b32_e32 v13, 0
	s_delay_alu instid0(VALU_DEP_2)
	v_add_f16_e32 v16, v12, v16
	v_mov_b32_e32 v12, 0
	global_store_b16 v[14:15], v16, off
	s_cbranch_vccnz .LBB302_91
; %bb.90:
	v_add_co_u32 v13, vcc_lo, v0, v8
	v_add_co_ci_u32_e32 v14, vcc_lo, v1, v9, vcc_lo
	flat_load_u16 v13, v[13:14]
	s_waitcnt vmcnt(0) lgkmcnt(0)
	v_mul_f16_e32 v13, s18, v13
.LBB302_91:
	v_pk_min_f16 v14, v59, v2
	v_pk_min_f16 v15, v63, v3
	v_add_co_u32 v8, vcc_lo, v18, v8
	v_add_co_ci_u32_e32 v9, vcc_lo, v19, v9, vcc_lo
	s_delay_alu instid0(VALU_DEP_4) | instskip(SKIP_1) | instid1(VALU_DEP_1)
	v_pk_add_f16 v14, v14, v32
	s_and_b32 vcc_lo, exec_lo, s0
	v_pk_add_f16 v14, v15, v14
	s_delay_alu instid0(VALU_DEP_1) | instskip(NEXT) | instid1(VALU_DEP_1)
	v_lshrrev_b32_e32 v15, 16, v14
	v_add_f16_e32 v14, v14, v15
	s_delay_alu instid0(VALU_DEP_1)
	v_add_f16_e32 v13, v14, v13
	global_store_b16 v[8:9], v13, off
	s_cbranch_vccnz .LBB302_93
; %bb.92:
	v_add_co_u32 v8, vcc_lo, v0, v10
	v_add_co_ci_u32_e32 v9, vcc_lo, v1, v11, vcc_lo
	flat_load_u16 v8, v[8:9]
	s_waitcnt vmcnt(0) lgkmcnt(0)
	v_mul_f16_e32 v12, s18, v8
.LBB302_93:
	v_pk_min_f16 v8, v62, v2
	v_pk_min_f16 v9, v64, v3
	;; [unrolled: 1-line block ×3, first 2 shown]
	s_delay_alu instid0(VALU_DEP_3) | instskip(NEXT) | instid1(VALU_DEP_2)
	v_pk_add_f16 v8, v8, v31
	v_pk_add_f16 v13, v13, v33
	s_delay_alu instid0(VALU_DEP_2) | instskip(SKIP_1) | instid1(VALU_DEP_2)
	v_pk_add_f16 v8, v9, v8
	v_pk_min_f16 v9, v65, v3
	v_lshrrev_b32_e32 v14, 16, v8
	s_delay_alu instid0(VALU_DEP_2) | instskip(SKIP_2) | instid1(VALU_DEP_4)
	v_pk_add_f16 v13, v9, v13
	v_add_co_u32 v9, vcc_lo, v18, v10
	v_add_co_ci_u32_e32 v10, vcc_lo, v19, v11, vcc_lo
	v_add_f16_e32 v8, v8, v14
	s_delay_alu instid0(VALU_DEP_4) | instskip(SKIP_1) | instid1(VALU_DEP_2)
	v_lshrrev_b32_e32 v11, 16, v13
	s_mov_b32 vcc_lo, s2
	v_add_f16_e32 v12, v8, v12
	s_delay_alu instid0(VALU_DEP_2)
	v_add_f16_e32 v8, v13, v11
	global_store_b16 v[9:10], v12, off
	s_cbranch_vccz .LBB302_96
; %bb.94:
	v_add_co_u32 v9, vcc_lo, v18, v4
	v_add_f16_e32 v11, 0, v8
	v_add_co_ci_u32_e32 v10, vcc_lo, v19, v5, vcc_lo
	s_mov_b32 s0, 0
	global_store_b16 v[9:10], v11, off
	s_cbranch_execz .LBB302_97
; %bb.95:
	v_mov_b32_e32 v0, s0
	s_branch .LBB302_98
.LBB302_96:
	s_mov_b32 s0, -1
.LBB302_97:
	v_add_co_u32 v9, vcc_lo, v0, v4
	v_add_co_ci_u32_e32 v10, vcc_lo, v1, v5, vcc_lo
	v_add_co_u32 v4, vcc_lo, v18, v4
	v_add_co_ci_u32_e32 v5, vcc_lo, v19, v5, vcc_lo
	flat_load_u16 v9, v[9:10]
	v_add_co_u32 v0, vcc_lo, v0, v6
	v_add_co_ci_u32_e32 v1, vcc_lo, v1, v7, vcc_lo
	s_waitcnt vmcnt(0) lgkmcnt(0)
	v_fmac_f16_e32 v8, s18, v9
	global_store_b16 v[4:5], v8, off
	flat_load_u16 v0, v[0:1]
	s_waitcnt vmcnt(0) lgkmcnt(0)
	v_mul_f16_e32 v0, s18, v0
.LBB302_98:
	v_pk_min_f16 v1, v22, v2
	v_pk_min_f16 v2, v23, v3
	s_delay_alu instid0(VALU_DEP_2) | instskip(NEXT) | instid1(VALU_DEP_1)
	v_pk_add_f16 v1, v1, v30
	v_pk_add_f16 v1, v2, v1
	s_delay_alu instid0(VALU_DEP_1) | instskip(NEXT) | instid1(VALU_DEP_1)
	v_lshrrev_b32_e32 v2, 16, v1
	v_add_f16_e32 v1, v1, v2
	s_delay_alu instid0(VALU_DEP_1)
	v_add_f16_e32 v2, v1, v0
	v_add_co_u32 v0, vcc_lo, v18, v6
	v_add_co_ci_u32_e32 v1, vcc_lo, v19, v7, vcc_lo
	global_store_b16 v[0:1], v2, off
	s_nop 0
	s_sendmsg sendmsg(MSG_DEALLOC_VGPRS)
	s_endpgm
	.section	.rodata,"a",@progbits
	.p2align	6, 0x0
	.amdhsa_kernel _ZN12_GLOBAL__N_120geam_min_plus_kernelIDF16_Dv2_DF16_S1_Li8ELi32ELi64ELi128ELi4ELi4ELi64ELi64ELi4ELc84ELc84ELb0ELb0ELb0EDF16_KDF16_DF16_EEviiiT16_PT17_ilS5_ilS3_S5_ilPT18_ili26rocblas_geam_ex_operation_
		.amdhsa_group_segment_fixed_size 3072
		.amdhsa_private_segment_fixed_size 0
		.amdhsa_kernarg_size 128
		.amdhsa_user_sgpr_count 14
		.amdhsa_user_sgpr_dispatch_ptr 0
		.amdhsa_user_sgpr_queue_ptr 0
		.amdhsa_user_sgpr_kernarg_segment_ptr 1
		.amdhsa_user_sgpr_dispatch_id 0
		.amdhsa_user_sgpr_private_segment_size 0
		.amdhsa_wavefront_size32 1
		.amdhsa_uses_dynamic_stack 0
		.amdhsa_enable_private_segment 0
		.amdhsa_system_sgpr_workgroup_id_x 1
		.amdhsa_system_sgpr_workgroup_id_y 0
		.amdhsa_system_sgpr_workgroup_id_z 1
		.amdhsa_system_sgpr_workgroup_info 0
		.amdhsa_system_vgpr_workitem_id 1
		.amdhsa_next_free_vgpr 120
		.amdhsa_next_free_sgpr 24
		.amdhsa_reserve_vcc 1
		.amdhsa_float_round_mode_32 0
		.amdhsa_float_round_mode_16_64 0
		.amdhsa_float_denorm_mode_32 3
		.amdhsa_float_denorm_mode_16_64 3
		.amdhsa_dx10_clamp 1
		.amdhsa_ieee_mode 1
		.amdhsa_fp16_overflow 0
		.amdhsa_workgroup_processor_mode 1
		.amdhsa_memory_ordered 1
		.amdhsa_forward_progress 0
		.amdhsa_shared_vgpr_count 0
		.amdhsa_exception_fp_ieee_invalid_op 0
		.amdhsa_exception_fp_denorm_src 0
		.amdhsa_exception_fp_ieee_div_zero 0
		.amdhsa_exception_fp_ieee_overflow 0
		.amdhsa_exception_fp_ieee_underflow 0
		.amdhsa_exception_fp_ieee_inexact 0
		.amdhsa_exception_int_div_zero 0
	.end_amdhsa_kernel
	.section	.text._ZN12_GLOBAL__N_120geam_min_plus_kernelIDF16_Dv2_DF16_S1_Li8ELi32ELi64ELi128ELi4ELi4ELi64ELi64ELi4ELc84ELc84ELb0ELb0ELb0EDF16_KDF16_DF16_EEviiiT16_PT17_ilS5_ilS3_S5_ilPT18_ili26rocblas_geam_ex_operation_,"axG",@progbits,_ZN12_GLOBAL__N_120geam_min_plus_kernelIDF16_Dv2_DF16_S1_Li8ELi32ELi64ELi128ELi4ELi4ELi64ELi64ELi4ELc84ELc84ELb0ELb0ELb0EDF16_KDF16_DF16_EEviiiT16_PT17_ilS5_ilS3_S5_ilPT18_ili26rocblas_geam_ex_operation_,comdat
.Lfunc_end302:
	.size	_ZN12_GLOBAL__N_120geam_min_plus_kernelIDF16_Dv2_DF16_S1_Li8ELi32ELi64ELi128ELi4ELi4ELi64ELi64ELi4ELc84ELc84ELb0ELb0ELb0EDF16_KDF16_DF16_EEviiiT16_PT17_ilS5_ilS3_S5_ilPT18_ili26rocblas_geam_ex_operation_, .Lfunc_end302-_ZN12_GLOBAL__N_120geam_min_plus_kernelIDF16_Dv2_DF16_S1_Li8ELi32ELi64ELi128ELi4ELi4ELi64ELi64ELi4ELc84ELc84ELb0ELb0ELb0EDF16_KDF16_DF16_EEviiiT16_PT17_ilS5_ilS3_S5_ilPT18_ili26rocblas_geam_ex_operation_
                                        ; -- End function
	.section	.AMDGPU.csdata,"",@progbits
; Kernel info:
; codeLenInByte = 10040
; NumSgprs: 26
; NumVgprs: 120
; ScratchSize: 0
; MemoryBound: 0
; FloatMode: 240
; IeeeMode: 1
; LDSByteSize: 3072 bytes/workgroup (compile time only)
; SGPRBlocks: 3
; VGPRBlocks: 14
; NumSGPRsForWavesPerEU: 26
; NumVGPRsForWavesPerEU: 120
; Occupancy: 12
; WaveLimiterHint : 1
; COMPUTE_PGM_RSRC2:SCRATCH_EN: 0
; COMPUTE_PGM_RSRC2:USER_SGPR: 14
; COMPUTE_PGM_RSRC2:TRAP_HANDLER: 0
; COMPUTE_PGM_RSRC2:TGID_X_EN: 1
; COMPUTE_PGM_RSRC2:TGID_Y_EN: 0
; COMPUTE_PGM_RSRC2:TGID_Z_EN: 1
; COMPUTE_PGM_RSRC2:TIDIG_COMP_CNT: 1
	.section	.text._ZN12_GLOBAL__N_120geam_min_plus_kernelIDF16_Dv2_DF16_S1_Li8ELi32ELi64ELi128ELi4ELi4ELi64ELi64ELi4ELc84ELc84ELb0ELb1ELb0EPKDF16_S2_DF16_EEviiiT16_PT17_ilS6_ilS4_S6_ilPT18_ili26rocblas_geam_ex_operation_,"axG",@progbits,_ZN12_GLOBAL__N_120geam_min_plus_kernelIDF16_Dv2_DF16_S1_Li8ELi32ELi64ELi128ELi4ELi4ELi64ELi64ELi4ELc84ELc84ELb0ELb1ELb0EPKDF16_S2_DF16_EEviiiT16_PT17_ilS6_ilS4_S6_ilPT18_ili26rocblas_geam_ex_operation_,comdat
	.globl	_ZN12_GLOBAL__N_120geam_min_plus_kernelIDF16_Dv2_DF16_S1_Li8ELi32ELi64ELi128ELi4ELi4ELi64ELi64ELi4ELc84ELc84ELb0ELb1ELb0EPKDF16_S2_DF16_EEviiiT16_PT17_ilS6_ilS4_S6_ilPT18_ili26rocblas_geam_ex_operation_ ; -- Begin function _ZN12_GLOBAL__N_120geam_min_plus_kernelIDF16_Dv2_DF16_S1_Li8ELi32ELi64ELi128ELi4ELi4ELi64ELi64ELi4ELc84ELc84ELb0ELb1ELb0EPKDF16_S2_DF16_EEviiiT16_PT17_ilS6_ilS4_S6_ilPT18_ili26rocblas_geam_ex_operation_
	.p2align	8
	.type	_ZN12_GLOBAL__N_120geam_min_plus_kernelIDF16_Dv2_DF16_S1_Li8ELi32ELi64ELi128ELi4ELi4ELi64ELi64ELi4ELc84ELc84ELb0ELb1ELb0EPKDF16_S2_DF16_EEviiiT16_PT17_ilS6_ilS4_S6_ilPT18_ili26rocblas_geam_ex_operation_,@function
_ZN12_GLOBAL__N_120geam_min_plus_kernelIDF16_Dv2_DF16_S1_Li8ELi32ELi64ELi128ELi4ELi4ELi64ELi64ELi4ELc84ELc84ELb0ELb1ELb0EPKDF16_S2_DF16_EEviiiT16_PT17_ilS6_ilS4_S6_ilPT18_ili26rocblas_geam_ex_operation_: ; @_ZN12_GLOBAL__N_120geam_min_plus_kernelIDF16_Dv2_DF16_S1_Li8ELi32ELi64ELi128ELi4ELi4ELi64ELi64ELi4ELc84ELc84ELb0ELb1ELb0EPKDF16_S2_DF16_EEviiiT16_PT17_ilS6_ilS4_S6_ilPT18_ili26rocblas_geam_ex_operation_
; %bb.0:
	s_clause 0x1
	s_load_b128 s[16:19], s[0:1], 0x10
	s_load_b128 s[4:7], s[0:1], 0x40
	s_mov_b32 s20, s15
	s_mov_b32 s21, 0
	v_mov_b32_e32 v1, 0
	s_lshl_b64 s[2:3], s[20:21], 1
	s_load_b128 s[8:11], s[0:1], 0x28
	s_mov_b64 s[22:23], 0
	s_mov_b64 s[24:25], 0
	s_waitcnt lgkmcnt(0)
	s_add_u32 s12, s16, s2
	s_addc_u32 s13, s17, s3
	s_add_u32 s2, s6, s2
	global_load_u16 v30, v1, s[12:13]
	s_addc_u32 s3, s7, s3
	global_load_u16 v42, v1, s[2:3]
	s_load_b64 s[12:13], s[0:1], 0x50
	s_waitcnt vmcnt(1)
	v_cmp_eq_f16_e32 vcc_lo, 0, v30
	v_cmp_neq_f16_e64 s3, 0, v30
	s_cbranch_vccnz .LBB303_2
; %bb.1:
	s_mul_i32 s2, s20, s9
	s_mul_hi_u32 s6, s20, s8
	s_delay_alu instid0(SALU_CYCLE_1) | instskip(SKIP_1) | instid1(SALU_CYCLE_1)
	s_add_i32 s7, s6, s2
	s_mul_i32 s6, s20, s8
	s_lshl_b64 s[6:7], s[6:7], 1
	s_delay_alu instid0(SALU_CYCLE_1)
	s_add_u32 s24, s18, s6
	s_addc_u32 s25, s19, s7
.LBB303_2:
	s_delay_alu instid0(VALU_DEP_1)
	s_and_not1_b32 vcc_lo, exec_lo, s3
	s_cbranch_vccnz .LBB303_4
; %bb.3:
	s_mul_i32 s2, s20, s5
	s_mul_hi_u32 s5, s20, s4
	s_mul_i32 s4, s20, s4
	s_add_i32 s5, s5, s2
	s_delay_alu instid0(SALU_CYCLE_1) | instskip(NEXT) | instid1(SALU_CYCLE_1)
	s_lshl_b64 s[4:5], s[4:5], 1
	s_add_u32 s22, s10, s4
	s_addc_u32 s23, s11, s5
.LBB303_4:
	s_load_b128 s[8:11], s[0:1], 0x60
	s_waitcnt vmcnt(0)
	v_cmp_eq_f16_e32 vcc_lo, 0, v42
	v_cmp_neq_f16_e64 s2, 0, v42
	s_cbranch_vccnz .LBB303_6
; %bb.5:
	s_waitcnt lgkmcnt(0)
	s_mul_i32 s4, s20, s9
	s_mul_hi_u32 s5, s20, s8
	s_delay_alu instid0(SALU_CYCLE_1) | instskip(SKIP_1) | instid1(SALU_CYCLE_1)
	s_add_i32 s5, s5, s4
	s_mul_i32 s4, s20, s8
	s_lshl_b64 s[4:5], s[4:5], 1
	s_delay_alu instid0(SALU_CYCLE_1)
	s_add_u32 s12, s12, s4
	s_addc_u32 s13, s13, s5
	s_branch .LBB303_7
.LBB303_6:
	s_waitcnt lgkmcnt(0)
	s_mov_b64 s[12:13], 0
.LBB303_7:
	s_clause 0x1
	s_load_b128 s[16:19], s[0:1], 0x0
	s_load_b32 s26, s[0:1], 0x20
	v_dual_mov_b32 v9, 0 :: v_dual_and_b32 v28, 0x3ff, v0
	v_bfe_u32 v29, v0, 10, 10
	s_delay_alu instid0(VALU_DEP_2) | instskip(NEXT) | instid1(VALU_DEP_2)
	v_dual_mov_b32 v8, 0 :: v_dual_and_b32 v31, 3, v28
	v_lshl_add_u32 v0, v29, 3, v28
	s_delay_alu instid0(VALU_DEP_2) | instskip(NEXT) | instid1(VALU_DEP_2)
	v_lshlrev_b32_e32 v2, 1, v31
	v_lshrrev_b32_e32 v7, 2, v0
	s_waitcnt lgkmcnt(0)
	s_add_i32 s4, s16, -1
	s_delay_alu instid0(SALU_CYCLE_1) | instskip(NEXT) | instid1(SALU_CYCLE_1)
	s_ashr_i32 s5, s4, 31
	s_lshr_b32 s5, s5, 26
	s_delay_alu instid0(SALU_CYCLE_1) | instskip(NEXT) | instid1(SALU_CYCLE_1)
	s_add_i32 s4, s4, s5
	s_ashr_i32 s4, s4, 6
	s_delay_alu instid0(SALU_CYCLE_1) | instskip(SKIP_2) | instid1(VALU_DEP_1)
	s_add_i32 s6, s4, 1
	s_not_b32 s4, s4
	v_cvt_f32_u32_e32 v1, s6
	v_rcp_iflag_f32_e32 v1, v1
	s_waitcnt_depctr 0xfff
	v_mul_f32_e32 v1, 0x4f7ffffe, v1
	s_delay_alu instid0(VALU_DEP_1) | instskip(NEXT) | instid1(VALU_DEP_1)
	v_cvt_u32_f32_e32 v1, v1
	v_readfirstlane_b32 s5, v1
	s_delay_alu instid0(VALU_DEP_1) | instskip(NEXT) | instid1(SALU_CYCLE_1)
	s_mul_i32 s4, s4, s5
	s_mul_hi_u32 s4, s5, s4
	s_delay_alu instid0(SALU_CYCLE_1) | instskip(NEXT) | instid1(SALU_CYCLE_1)
	s_add_i32 s5, s5, s4
	s_mul_hi_u32 s4, s14, s5
	s_delay_alu instid0(SALU_CYCLE_1) | instskip(SKIP_2) | instid1(SALU_CYCLE_1)
	s_mul_i32 s5, s4, s6
	s_add_i32 s7, s4, 1
	s_sub_i32 s5, s14, s5
	s_sub_i32 s8, s5, s6
	s_cmp_ge_u32 s5, s6
	s_cselect_b32 s4, s7, s4
	s_cselect_b32 s5, s8, s5
	s_add_i32 s7, s4, 1
	s_cmp_ge_u32 s5, s6
	s_cselect_b32 s5, s7, s4
	s_delay_alu instid0(SALU_CYCLE_1) | instskip(NEXT) | instid1(SALU_CYCLE_1)
	s_mul_i32 s4, s5, s6
	s_sub_i32 s4, s14, s4
	s_delay_alu instid0(SALU_CYCLE_1) | instskip(SKIP_2) | instid1(VALU_DEP_1)
	s_lshl_b32 s8, s4, 6
	v_cmp_gt_i32_e64 s4, s18, v31
	v_add_nc_u32_e32 v3, s8, v7
	v_cmp_gt_i32_e32 vcc_lo, s16, v3
	s_delay_alu instid0(VALU_DEP_3) | instskip(NEXT) | instid1(SALU_CYCLE_1)
	s_and_b32 s4, s4, vcc_lo
	s_and_b32 s4, s3, s4
	s_delay_alu instid0(SALU_CYCLE_1)
	s_and_saveexec_b32 s6, s4
	s_cbranch_execz .LBB303_9
; %bb.8:
	v_mad_i64_i32 v[4:5], null, v3, s26, 0
	s_delay_alu instid0(VALU_DEP_1) | instskip(NEXT) | instid1(VALU_DEP_1)
	v_lshlrev_b64 v[4:5], 1, v[4:5]
	v_add_co_u32 v1, s4, s24, v4
	s_delay_alu instid0(VALU_DEP_1) | instskip(NEXT) | instid1(VALU_DEP_2)
	v_add_co_ci_u32_e64 v5, s4, s25, v5, s4
	v_add_co_u32 v4, s4, v1, v2
	s_delay_alu instid0(VALU_DEP_1)
	v_add_co_ci_u32_e64 v5, s4, 0, v5, s4
	flat_load_u16 v1, v[4:5]
	s_waitcnt vmcnt(0) lgkmcnt(0)
	v_mul_f16_e32 v9, v30, v1
.LBB303_9:
	s_or_b32 exec_lo, exec_lo, s6
	s_load_b32 s14, s[0:1], 0x38
	v_lshrrev_b32_e32 v32, 6, v0
	s_add_i32 s15, s18, -1
	v_and_b32_e32 v10, 63, v0
	s_lshl_b32 s9, s5, 7
	s_xor_b32 s19, s3, -1
	v_min_i32_e32 v1, s15, v32
	v_cmp_le_i32_e64 s6, s18, v32
	v_or_b32_e32 v0, s9, v10
	s_delay_alu instid0(VALU_DEP_1) | instskip(NEXT) | instid1(VALU_DEP_1)
	v_cmp_le_i32_e64 s4, s17, v0
	s_or_b32 s7, s4, s6
	s_waitcnt lgkmcnt(0)
	v_mad_i64_i32 v[4:5], null, s14, v1, 0
	v_ashrrev_i32_e32 v1, 31, v0
	s_delay_alu instid0(VALU_DEP_2) | instskip(NEXT) | instid1(VALU_DEP_1)
	v_lshlrev_b64 v[5:6], 1, v[4:5]
	v_add_co_u32 v5, s5, s22, v5
	s_delay_alu instid0(VALU_DEP_1) | instskip(SKIP_1) | instid1(SALU_CYCLE_1)
	v_add_co_ci_u32_e64 v6, s5, s23, v6, s5
	s_or_b32 s5, s7, s19
	s_xor_b32 s5, s5, -1
	s_delay_alu instid0(SALU_CYCLE_1)
	s_and_saveexec_b32 s7, s5
	s_cbranch_execz .LBB303_11
; %bb.10:
	v_lshlrev_b64 v[11:12], 1, v[0:1]
	s_delay_alu instid0(VALU_DEP_1) | instskip(NEXT) | instid1(VALU_DEP_1)
	v_add_co_u32 v11, s5, v5, v11
	v_add_co_ci_u32_e64 v12, s5, v6, v12, s5
	flat_load_u16 v4, v[11:12]
	s_waitcnt vmcnt(0) lgkmcnt(0)
	v_mul_f16_e32 v8, v30, v4
.LBB303_11:
	s_or_b32 exec_lo, exec_lo, s7
	v_or_b32_e32 v4, 64, v0
	v_mov_b32_e32 v11, 0
	s_delay_alu instid0(VALU_DEP_2) | instskip(SKIP_1) | instid1(VALU_DEP_2)
	v_cmp_le_i32_e64 s5, s17, v4
	v_mov_b32_e32 v4, 0
	s_or_b32 s6, s5, s6
	s_delay_alu instid0(SALU_CYCLE_1) | instskip(NEXT) | instid1(SALU_CYCLE_1)
	s_or_b32 s6, s6, s19
	s_xor_b32 s6, s6, -1
	s_delay_alu instid0(SALU_CYCLE_1)
	s_and_saveexec_b32 s7, s6
	s_cbranch_execz .LBB303_13
; %bb.12:
	v_lshlrev_b64 v[11:12], 1, v[0:1]
	s_delay_alu instid0(VALU_DEP_1) | instskip(NEXT) | instid1(VALU_DEP_1)
	v_add_co_u32 v5, s6, v5, v11
	v_add_co_ci_u32_e64 v6, s6, v6, v12, s6
	flat_load_u16 v5, v[5:6] offset:128
	s_waitcnt vmcnt(0) lgkmcnt(0)
	v_mul_f16_e32 v11, v30, v5
.LBB303_13:
	s_or_b32 exec_lo, exec_lo, s7
	v_or_b32_e32 v5, 4, v31
	s_delay_alu instid0(VALU_DEP_1) | instskip(NEXT) | instid1(VALU_DEP_1)
	v_cmp_gt_i32_e64 s6, s18, v5
	s_and_b32 s6, s6, vcc_lo
	s_delay_alu instid0(SALU_CYCLE_1) | instskip(NEXT) | instid1(SALU_CYCLE_1)
	s_and_b32 s6, s3, s6
	s_and_saveexec_b32 s7, s6
	s_cbranch_execz .LBB303_15
; %bb.14:
	v_mad_i64_i32 v[4:5], null, v3, s26, 0
	s_delay_alu instid0(VALU_DEP_1) | instskip(NEXT) | instid1(VALU_DEP_1)
	v_lshlrev_b64 v[4:5], 1, v[4:5]
	v_add_co_u32 v4, s6, s24, v4
	s_delay_alu instid0(VALU_DEP_1) | instskip(NEXT) | instid1(VALU_DEP_2)
	v_add_co_ci_u32_e64 v5, s6, s25, v5, s6
	v_add_co_u32 v4, s6, v4, v2
	s_delay_alu instid0(VALU_DEP_1)
	v_add_co_ci_u32_e64 v5, s6, 0, v5, s6
	flat_load_u16 v4, v[4:5] offset:8
	s_waitcnt vmcnt(0) lgkmcnt(0)
	v_mul_f16_e32 v4, v30, v4
.LBB303_15:
	s_or_b32 exec_lo, exec_lo, s7
	v_add_nc_u32_e32 v12, 4, v32
	s_delay_alu instid0(VALU_DEP_1) | instskip(SKIP_1) | instid1(VALU_DEP_2)
	v_min_i32_e32 v13, s15, v12
	v_cmp_le_i32_e64 s6, s18, v12
	v_mad_i64_i32 v[5:6], null, s14, v13, 0
	s_delay_alu instid0(VALU_DEP_2) | instskip(NEXT) | instid1(VALU_DEP_1)
	s_or_b32 s21, s4, s6
	v_lshlrev_b64 v[12:13], 1, v[5:6]
	v_dual_mov_b32 v5, 0 :: v_dual_mov_b32 v6, 0
	s_delay_alu instid0(VALU_DEP_2) | instskip(NEXT) | instid1(VALU_DEP_1)
	v_add_co_u32 v12, s7, s22, v12
	v_add_co_ci_u32_e64 v13, s7, s23, v13, s7
	s_or_b32 s7, s21, s19
	s_delay_alu instid0(SALU_CYCLE_1) | instskip(NEXT) | instid1(SALU_CYCLE_1)
	s_xor_b32 s7, s7, -1
	s_and_saveexec_b32 s21, s7
	s_cbranch_execz .LBB303_17
; %bb.16:
	v_lshlrev_b64 v[14:15], 1, v[0:1]
	s_delay_alu instid0(VALU_DEP_1) | instskip(NEXT) | instid1(VALU_DEP_1)
	v_add_co_u32 v14, s7, v12, v14
	v_add_co_ci_u32_e64 v15, s7, v13, v15, s7
	flat_load_u16 v6, v[14:15]
	s_waitcnt vmcnt(0) lgkmcnt(0)
	v_mul_f16_e32 v6, v30, v6
.LBB303_17:
	s_or_b32 exec_lo, exec_lo, s21
	s_or_b32 s6, s5, s6
	s_delay_alu instid0(SALU_CYCLE_1) | instskip(NEXT) | instid1(SALU_CYCLE_1)
	s_or_b32 s6, s6, s19
	s_xor_b32 s6, s6, -1
	s_delay_alu instid0(SALU_CYCLE_1)
	s_and_saveexec_b32 s7, s6
	s_cbranch_execz .LBB303_19
; %bb.18:
	v_lshlrev_b64 v[14:15], 1, v[0:1]
	s_delay_alu instid0(VALU_DEP_1) | instskip(NEXT) | instid1(VALU_DEP_1)
	v_add_co_u32 v12, s6, v12, v14
	v_add_co_ci_u32_e64 v13, s6, v13, v15, s6
	flat_load_u16 v5, v[12:13] offset:128
	s_waitcnt vmcnt(0) lgkmcnt(0)
	v_mul_f16_e32 v5, v30, v5
.LBB303_19:
	s_or_b32 exec_lo, exec_lo, s7
	v_lshlrev_b32_e32 v12, 1, v32
	v_lshlrev_b32_e32 v34, 3, v28
	;; [unrolled: 1-line block ×3, first 2 shown]
	v_lshl_or_b32 v7, v7, 3, v2
	s_mov_b32 s21, 0
	v_lshl_add_u32 v35, v10, 3, v12
	v_add_nc_u32_e32 v36, 0x800, v34
	s_cmp_lt_i32 s18, 9
	ds_store_b16 v35, v8
	ds_store_b16 v7, v9 offset:2048
	ds_store_b16 v35, v11 offset:512
	s_waitcnt lgkmcnt(0)
	s_barrier
	buffer_gl0_inv
	ds_load_2addr_b64 v[8:11], v33 offset1:32
	ds_load_2addr_b64 v[12:15], v36 offset0:48 offset1:56
	ds_load_2addr_b64 v[16:19], v33 offset0:64 offset1:96
	ds_load_2addr_b64 v[20:23], v36 offset1:8
	ds_load_2addr_b64 v[24:27], v36 offset0:16 offset1:24
	ds_load_2addr_b64 v[37:40], v36 offset0:32 offset1:40
	ds_store_b16 v35, v6 offset:1024
	ds_store_b16 v7, v4 offset:2560
	;; [unrolled: 1-line block ×3, first 2 shown]
	s_waitcnt lgkmcnt(0)
	s_barrier
	buffer_gl0_inv
	v_pk_max_f16 v8, v8, v8
	v_pk_max_f16 v10, v10, v10
	;; [unrolled: 1-line block ×8, first 2 shown]
	v_pk_min_f16 v50, v24, v8
	v_pk_min_f16 v51, v24, v10
	v_pk_max_f16 v20, v20, v20
	v_pk_max_f16 v22, v22, v22
	v_pk_min_f16 v36, v14, v8
	v_pk_add_f16 v53, v50, 0
	v_pk_min_f16 v50, v26, v8
	v_pk_add_f16 v54, v51, 0
	v_pk_min_f16 v51, v26, v10
	v_pk_max_f16 v39, v39, v39
	v_pk_max_f16 v12, v12, v12
	v_pk_add_f16 v60, v50, 0
	v_pk_min_f16 v50, v37, v8
	v_pk_add_f16 v61, v51, 0
	v_pk_min_f16 v51, v37, v10
	v_pk_max_f16 v9, v9, v9
	v_pk_max_f16 v15, v15, v15
	v_pk_add_f16 v62, v50, 0
	v_pk_min_f16 v50, v37, v16
	v_pk_min_f16 v37, v37, v18
	;; [unrolled: 1-line block ×9, first 2 shown]
	v_pk_add_f16 v36, v36, 0
	v_pk_min_f16 v48, v22, v10
	v_pk_min_f16 v49, v22, v16
	;; [unrolled: 1-line block ×7, first 2 shown]
	v_pk_add_f16 v63, v51, 0
	v_pk_min_f16 v51, v39, v8
	v_pk_min_f16 v56, v39, v10
	v_pk_add_f16 v71, v37, 0
	v_pk_min_f16 v37, v39, v16
	v_pk_min_f16 v39, v39, v18
	;; [unrolled: 1-line block ×6, first 2 shown]
	v_pk_max_f16 v11, v11, v11
	v_pk_min_f16 v14, v14, v18
	v_pk_min_f16 v18, v15, v9
	v_pk_add_f16 v41, v41, 0
	v_pk_add_f16 v74, v37, 0
	v_pk_max_f16 v17, v17, v17
	v_pk_min_f16 v37, v15, v11
	v_pk_max_f16 v21, v21, v21
	v_pk_add_f16 v69, v36, v18
	v_pk_max_f16 v18, v19, v19
	v_pk_add_f16 v44, v44, 0
	v_pk_add_f16 v20, v20, 0
	v_pk_add_f16 v59, v41, v37
	v_pk_min_f16 v19, v21, v9
	v_pk_min_f16 v36, v21, v11
	v_pk_min_f16 v37, v21, v17
	v_pk_min_f16 v21, v21, v18
	v_pk_max_f16 v23, v23, v23
	v_pk_add_f16 v47, v47, 0
	v_pk_add_f16 v48, v48, 0
	;; [unrolled: 1-line block ×7, first 2 shown]
	v_pk_min_f16 v19, v23, v9
	v_pk_min_f16 v20, v23, v11
	;; [unrolled: 1-line block ×4, first 2 shown]
	v_pk_max_f16 v25, v25, v25
	v_pk_add_f16 v43, v43, 0
	v_pk_add_f16 v52, v52, 0
	;; [unrolled: 1-line block ×4, first 2 shown]
	v_pk_min_f16 v39, v15, v17
	v_pk_add_f16 v41, v47, v19
	v_pk_add_f16 v66, v48, v20
	;; [unrolled: 1-line block ×4, first 2 shown]
	v_pk_min_f16 v19, v25, v9
	v_pk_min_f16 v20, v25, v11
	;; [unrolled: 1-line block ×4, first 2 shown]
	v_pk_max_f16 v23, v27, v27
	v_pk_add_f16 v46, v46, 0
	v_pk_add_f16 v55, v55, 0
	;; [unrolled: 1-line block ×10, first 2 shown]
	v_pk_min_f16 v19, v23, v9
	v_pk_min_f16 v20, v23, v11
	;; [unrolled: 1-line block ×4, first 2 shown]
	v_pk_max_f16 v23, v38, v38
	v_pk_add_f16 v45, v45, 0
	v_pk_add_f16 v58, v46, v37
	;; [unrolled: 1-line block ×6, first 2 shown]
	v_pk_min_f16 v19, v23, v9
	v_pk_min_f16 v20, v23, v11
	;; [unrolled: 1-line block ×4, first 2 shown]
	v_pk_max_f16 v23, v40, v40
	v_pk_max_f16 v13, v13, v13
	v_pk_add_f16 v8, v8, 0
	v_pk_add_f16 v10, v10, 0
	;; [unrolled: 1-line block ×10, first 2 shown]
	v_pk_min_f16 v19, v23, v9
	v_pk_min_f16 v20, v23, v11
	;; [unrolled: 1-line block ×9, first 2 shown]
	v_pk_add_f16 v38, v72, v19
	v_pk_add_f16 v62, v73, v20
	;; [unrolled: 1-line block ×9, first 2 shown]
	s_cbranch_scc1 .LBB303_34
; %bb.20:
	v_mad_i64_i32 v[4:5], null, s26, v3, 0
	v_lshlrev_b64 v[24:25], 1, v[0:1]
	v_add_nc_u32_e32 v60, 0x800, v7
	v_add_nc_u32_e32 v67, 0x800, v34
	;; [unrolled: 1-line block ×3, first 2 shown]
	v_or_b32_e32 v72, 0x400, v35
	v_lshl_add_u32 v73, v28, 3, 0xa00
	v_lshlrev_b64 v[3:4], 1, v[4:5]
	v_lshl_add_u32 v74, v29, 3, 0x400
	s_delay_alu instid0(VALU_DEP_2) | instskip(NEXT) | instid1(VALU_DEP_1)
	v_add_co_u32 v2, s6, v3, v2
	v_add_co_ci_u32_e64 v3, s6, 0, v4, s6
	s_delay_alu instid0(VALU_DEP_2) | instskip(NEXT) | instid1(VALU_DEP_1)
	v_add_co_u32 v2, s6, v2, s24
	v_add_co_ci_u32_e64 v3, s6, s25, v3, s6
	s_add_i32 s24, s18, -8
	s_delay_alu instid0(VALU_DEP_2) | instskip(NEXT) | instid1(VALU_DEP_1)
	v_add_co_u32 v26, s6, v2, 24
	v_add_co_ci_u32_e64 v27, s6, 0, v3, s6
	s_branch .LBB303_22
.LBB303_21:                             ;   in Loop: Header=BB303_22 Depth=1
	s_or_b32 exec_lo, exec_lo, s7
	v_pk_add_f16 v22, v50, v22
	v_pk_add_f16 v50, v57, v80
	;; [unrolled: 1-line block ×25, first 2 shown]
	ds_load_2addr_b64 v[37:40], v67 offset0:48 offset1:56
	ds_load_2addr_b64 v[43:46], v33 offset1:32
	v_pk_add_f16 v9, v48, v9
	ds_load_2addr_b64 v[47:50], v33 offset0:64 offset1:96
	v_pk_add_f16 v18, v68, v18
	v_pk_add_f16 v20, v58, v20
	;; [unrolled: 1-line block ×7, first 2 shown]
	ds_load_2addr_b64 v[51:54], v67 offset1:8
	v_pk_add_f16 v62, v62, v92
	v_pk_add_f16 v61, v61, v96
	;; [unrolled: 1-line block ×8, first 2 shown]
	s_waitcnt lgkmcnt(3)
	v_pk_max_f16 v39, v39, v39
	s_waitcnt lgkmcnt(2)
	v_pk_max_f16 v43, v43, v43
	v_pk_max_f16 v45, v45, v45
	s_waitcnt lgkmcnt(1)
	v_pk_max_f16 v47, v47, v47
	v_pk_add_f16 v58, v58, v3
	v_pk_add_f16 v59, v59, v5
	;; [unrolled: 1-line block ×6, first 2 shown]
	v_pk_min_f16 v5, v39, v43
	v_pk_min_f16 v6, v39, v45
	;; [unrolled: 1-line block ×3, first 2 shown]
	ds_load_2addr_b64 v[1:4], v67 offset0:16 offset1:24
	s_waitcnt lgkmcnt(1)
	v_pk_max_f16 v8, v51, v51
	v_pk_max_f16 v49, v49, v49
	v_pk_add_f16 v14, v14, v109
	v_pk_add_f16 v18, v18, v110
	;; [unrolled: 1-line block ×7, first 2 shown]
	v_pk_min_f16 v5, v8, v43
	v_pk_min_f16 v6, v8, v45
	;; [unrolled: 1-line block ×4, first 2 shown]
	v_pk_max_f16 v53, v53, v53
	v_pk_add_f16 v14, v14, v5
	v_pk_add_f16 v18, v18, v6
	;; [unrolled: 1-line block ×4, first 2 shown]
	ds_load_2addr_b64 v[5:8], v67 offset0:32 offset1:40
	v_pk_add_f16 v41, v41, v114
	v_pk_add_f16 v15, v64, v15
	v_pk_min_f16 v64, v53, v45
	s_waitcnt lgkmcnt(1)
	v_pk_max_f16 v1, v1, v1
	v_pk_max_f16 v3, v3, v3
	v_pk_add_f16 v36, v36, v88
	v_pk_add_f16 v56, v56, v100
	v_pk_add_f16 v64, v41, v64
	v_pk_min_f16 v41, v1, v43
	v_pk_add_f16 v17, v65, v17
	v_pk_min_f16 v65, v53, v47
	v_pk_add_f16 v10, v10, v118
	v_pk_add_f16 v36, v36, v103
	;; [unrolled: 1-line block ×3, first 2 shown]
	v_pk_min_f16 v41, v3, v45
	v_pk_add_f16 v19, v66, v19
	v_pk_add_f16 v23, v68, v23
	;; [unrolled: 1-line block ×3, first 2 shown]
	v_pk_min_f16 v66, v1, v45
	s_waitcnt lgkmcnt(0)
	v_pk_max_f16 v5, v5, v5
	v_pk_min_f16 v68, v1, v47
	v_pk_min_f16 v1, v1, v49
	v_pk_add_f16 v79, v56, v41
	v_pk_add_f16 v57, v57, v102
	v_pk_min_f16 v41, v5, v43
	v_pk_add_f16 v11, v63, v11
	v_pk_min_f16 v63, v53, v43
	v_pk_min_f16 v53, v53, v49
	v_pk_add_f16 v10, v10, v66
	v_pk_add_f16 v1, v9, v1
	v_pk_min_f16 v9, v3, v43
	v_pk_min_f16 v66, v3, v47
	;; [unrolled: 1-line block ×4, first 2 shown]
	v_pk_max_f16 v7, v7, v7
	v_pk_add_f16 v36, v36, v41
	v_pk_min_f16 v41, v5, v47
	v_pk_max_f16 v37, v37, v37
	v_pk_add_f16 v53, v80, v53
	v_pk_add_f16 v3, v57, v3
	;; [unrolled: 1-line block ×3, first 2 shown]
	v_pk_min_f16 v56, v7, v43
	v_pk_min_f16 v57, v7, v45
	v_pk_add_f16 v81, v58, v41
	v_pk_min_f16 v41, v7, v47
	v_pk_min_f16 v7, v7, v49
	;; [unrolled: 1-line block ×5, first 2 shown]
	v_pk_max_f16 v40, v40, v40
	v_pk_add_f16 v7, v17, v7
	v_pk_add_f16 v17, v19, v43
	v_pk_max_f16 v43, v44, v44
	v_pk_max_f16 v44, v46, v46
	v_pk_add_f16 v63, v78, v63
	v_pk_add_f16 v78, v82, v68
	v_pk_min_f16 v5, v5, v49
	v_pk_add_f16 v15, v15, v41
	v_pk_add_f16 v19, v21, v45
	;; [unrolled: 1-line block ×3, first 2 shown]
	v_pk_min_f16 v23, v37, v49
	v_pk_min_f16 v37, v39, v49
	v_pk_max_f16 v82, v48, v48
	v_pk_min_f16 v41, v40, v44
	v_pk_add_f16 v9, v83, v9
	v_pk_add_f16 v5, v59, v5
	v_pk_min_f16 v39, v40, v43
	v_pk_add_f16 v83, v62, v37
	v_pk_min_f16 v37, v40, v82
	v_pk_max_f16 v45, v52, v52
	v_pk_add_f16 v59, v12, v41
	v_pk_max_f16 v12, v50, v50
	v_pk_add_f16 v55, v55, v86
	v_pk_add_f16 v69, v51, v39
	;; [unrolled: 1-line block ×3, first 2 shown]
	v_pk_min_f16 v16, v45, v43
	v_pk_min_f16 v37, v45, v44
	;; [unrolled: 1-line block ×4, first 2 shown]
	v_pk_max_f16 v45, v54, v54
	v_pk_add_f16 v55, v55, v101
	v_pk_add_f16 v70, v14, v16
	v_pk_add_f16 v68, v18, v37
	v_pk_max_f16 v2, v2, v2
	v_pk_min_f16 v14, v45, v43
	v_pk_min_f16 v16, v45, v44
	;; [unrolled: 1-line block ×3, first 2 shown]
	v_pk_add_f16 v55, v55, v66
	v_pk_add_f16 v13, v13, v57
	;; [unrolled: 1-line block ×6, first 2 shown]
	v_pk_min_f16 v14, v2, v43
	v_pk_min_f16 v16, v2, v44
	;; [unrolled: 1-line block ×4, first 2 shown]
	v_pk_max_f16 v4, v4, v4
	v_pk_max_f16 v6, v6, v6
	v_pk_add_f16 v65, v10, v16
	v_pk_add_f16 v11, v11, v56
	;; [unrolled: 1-line block ×3, first 2 shown]
	v_pk_min_f16 v1, v4, v43
	v_pk_min_f16 v2, v4, v44
	;; [unrolled: 1-line block ×4, first 2 shown]
	v_pk_add_f16 v58, v20, v39
	v_pk_add_f16 v37, v9, v1
	;; [unrolled: 1-line block ×3, first 2 shown]
	v_pk_min_f16 v1, v6, v43
	v_pk_add_f16 v47, v3, v4
	v_pk_min_f16 v2, v6, v44
	v_pk_min_f16 v3, v6, v82
	;; [unrolled: 1-line block ×3, first 2 shown]
	v_pk_max_f16 v6, v8, v8
	v_pk_min_f16 v20, v45, v12
	v_pk_add_f16 v36, v36, v1
	v_pk_add_f16 v63, v80, v2
	;; [unrolled: 1-line block ×4, first 2 shown]
	v_pk_min_f16 v1, v6, v43
	v_pk_min_f16 v2, v6, v44
	;; [unrolled: 1-line block ×4, first 2 shown]
	v_pk_max_f16 v5, v38, v38
	v_pk_add_f16 v23, v61, v23
	v_pk_add_f16 v49, v53, v20
	;; [unrolled: 1-line block ×6, first 2 shown]
	v_pk_min_f16 v1, v5, v43
	v_pk_min_f16 v2, v5, v44
	;; [unrolled: 1-line block ×5, first 2 shown]
	v_add_co_u32 v26, s6, v26, 16
	v_pk_add_f16 v39, v77, v14
	v_pk_add_f16 v56, v78, v18
	;; [unrolled: 1-line block ×8, first 2 shown]
	v_add_co_ci_u32_e64 v27, s6, 0, v27, s6
	s_add_i32 s21, s21, 8
	ds_store_b16 v71, v75
	ds_store_b16 v72, v76
	ds_store_b16 v72, v0 offset:512
	s_cmp_ge_i32 s21, s24
	s_waitcnt lgkmcnt(0)
	s_barrier
	buffer_gl0_inv
	s_cbranch_scc1 .LBB303_34
.LBB303_22:                             ; =>This Inner Loop Header: Depth=1
	v_dual_mov_b32 v76, 0 :: v_dual_add_nc_u32 v75, s21, v31
	s_delay_alu instid0(VALU_DEP_1) | instskip(NEXT) | instid1(VALU_DEP_1)
	v_add_nc_u32_e32 v0, 8, v75
	v_cmp_gt_i32_e64 s6, s18, v0
	s_delay_alu instid0(VALU_DEP_1) | instskip(NEXT) | instid1(SALU_CYCLE_1)
	s_and_b32 s6, s6, vcc_lo
	s_and_b32 s6, s3, s6
	s_delay_alu instid0(SALU_CYCLE_1)
	s_and_saveexec_b32 s7, s6
	s_cbranch_execz .LBB303_24
; %bb.23:                               ;   in Loop: Header=BB303_22 Depth=1
	v_add_co_u32 v0, s6, -8, v26
	s_delay_alu instid0(VALU_DEP_1)
	v_add_co_ci_u32_e64 v1, s6, -1, v27, s6
	flat_load_u16 v0, v[0:1]
	s_waitcnt vmcnt(0) lgkmcnt(0)
	v_mul_f16_e32 v76, v30, v0
.LBB303_24:                             ;   in Loop: Header=BB303_22 Depth=1
	s_or_b32 exec_lo, exec_lo, s7
	v_dual_mov_b32 v78, 0 :: v_dual_add_nc_u32 v77, s21, v32
	s_delay_alu instid0(VALU_DEP_1) | instskip(NEXT) | instid1(VALU_DEP_1)
	v_dual_mov_b32 v79, 0 :: v_dual_add_nc_u32 v2, 8, v77
	v_min_i32_e32 v3, s15, v2
	v_cmp_le_i32_e64 s6, s18, v2
	s_delay_alu instid0(VALU_DEP_2) | instskip(NEXT) | instid1(VALU_DEP_2)
	v_mad_i64_i32 v[0:1], null, v3, s14, 0
	s_or_b32 s25, s4, s6
	s_delay_alu instid0(VALU_DEP_1) | instskip(NEXT) | instid1(VALU_DEP_1)
	v_lshlrev_b64 v[0:1], 1, v[0:1]
	v_add_co_u32 v0, s7, s22, v0
	s_delay_alu instid0(VALU_DEP_1) | instskip(SKIP_1) | instid1(SALU_CYCLE_1)
	v_add_co_ci_u32_e64 v1, s7, s23, v1, s7
	s_or_b32 s7, s25, s19
	s_xor_b32 s7, s7, -1
	s_delay_alu instid0(SALU_CYCLE_1)
	s_and_saveexec_b32 s25, s7
	s_cbranch_execz .LBB303_26
; %bb.25:                               ;   in Loop: Header=BB303_22 Depth=1
	v_add_co_u32 v2, s7, v0, v24
	s_delay_alu instid0(VALU_DEP_1)
	v_add_co_ci_u32_e64 v3, s7, v1, v25, s7
	flat_load_u16 v2, v[2:3]
	s_waitcnt vmcnt(0) lgkmcnt(0)
	v_mul_f16_e32 v79, v30, v2
.LBB303_26:                             ;   in Loop: Header=BB303_22 Depth=1
	s_or_b32 exec_lo, exec_lo, s25
	s_or_b32 s6, s5, s6
	s_delay_alu instid0(SALU_CYCLE_1) | instskip(NEXT) | instid1(SALU_CYCLE_1)
	s_or_b32 s6, s6, s19
	s_xor_b32 s6, s6, -1
	s_delay_alu instid0(SALU_CYCLE_1)
	s_and_saveexec_b32 s7, s6
	s_cbranch_execz .LBB303_28
; %bb.27:                               ;   in Loop: Header=BB303_22 Depth=1
	v_add_co_u32 v0, s6, v0, v24
	s_delay_alu instid0(VALU_DEP_1)
	v_add_co_ci_u32_e64 v1, s6, v1, v25, s6
	flat_load_u16 v0, v[0:1] offset:128
	s_waitcnt vmcnt(0) lgkmcnt(0)
	v_mul_f16_e32 v78, v30, v0
.LBB303_28:                             ;   in Loop: Header=BB303_22 Depth=1
	s_or_b32 exec_lo, exec_lo, s7
	ds_load_2addr_b64 v[0:3], v73 offset0:48 offset1:56
	ds_load_2addr_b64 v[12:15], v74 offset0:64 offset1:96
	ds_load_2addr_b64 v[20:23], v74 offset1:32
	ds_load_2addr_b64 v[16:19], v73 offset1:8
	ds_load_2addr_b64 v[8:11], v73 offset0:16 offset1:24
	ds_load_2addr_b64 v[4:7], v73 offset0:32 offset1:40
	v_add_nc_u32_e32 v75, 12, v75
	ds_store_b16 v60, v76
	ds_store_b16 v35, v79
	ds_store_b16 v35, v78 offset:512
	v_mov_b32_e32 v76, 0
	s_waitcnt lgkmcnt(0)
	s_barrier
	v_cmp_gt_i32_e64 s6, s18, v75
	v_mov_b32_e32 v75, 0
	buffer_gl0_inv
	s_and_b32 s6, s6, vcc_lo
	s_delay_alu instid0(SALU_CYCLE_1) | instskip(NEXT) | instid1(SALU_CYCLE_1)
	s_and_b32 s7, s3, s6
	s_and_saveexec_b32 s6, s7
	s_cbranch_execz .LBB303_30
; %bb.29:                               ;   in Loop: Header=BB303_22 Depth=1
	flat_load_u16 v75, v[26:27]
	s_waitcnt vmcnt(0) lgkmcnt(0)
	v_mul_f16_e32 v75, v30, v75
.LBB303_30:                             ;   in Loop: Header=BB303_22 Depth=1
	s_or_b32 exec_lo, exec_lo, s6
	v_add_nc_u32_e32 v79, 12, v77
	s_delay_alu instid0(VALU_DEP_1) | instskip(SKIP_1) | instid1(VALU_DEP_2)
	v_min_i32_e32 v80, s15, v79
	v_cmp_le_i32_e64 s6, s18, v79
	v_mad_i64_i32 v[77:78], null, v80, s14, 0
	s_delay_alu instid0(VALU_DEP_2) | instskip(NEXT) | instid1(VALU_DEP_1)
	s_or_b32 s25, s4, s6
	v_lshlrev_b64 v[77:78], 1, v[77:78]
	s_delay_alu instid0(VALU_DEP_1) | instskip(NEXT) | instid1(VALU_DEP_1)
	v_add_co_u32 v77, s7, s22, v77
	v_add_co_ci_u32_e64 v78, s7, s23, v78, s7
	s_or_b32 s7, s25, s19
	s_delay_alu instid0(SALU_CYCLE_1) | instskip(NEXT) | instid1(SALU_CYCLE_1)
	s_xor_b32 s7, s7, -1
	s_and_saveexec_b32 s25, s7
	s_cbranch_execz .LBB303_32
; %bb.31:                               ;   in Loop: Header=BB303_22 Depth=1
	v_add_co_u32 v79, s7, v77, v24
	s_delay_alu instid0(VALU_DEP_1)
	v_add_co_ci_u32_e64 v80, s7, v78, v25, s7
	flat_load_u16 v76, v[79:80]
	s_waitcnt vmcnt(0) lgkmcnt(0)
	v_mul_f16_e32 v76, v30, v76
.LBB303_32:                             ;   in Loop: Header=BB303_22 Depth=1
	s_or_b32 exec_lo, exec_lo, s25
	v_pk_max_f16 v99, v2, v2
	v_pk_max_f16 v95, v20, v20
	;; [unrolled: 1-line block ×12, first 2 shown]
	v_pk_min_f16 v2, v99, v95
	v_pk_min_f16 v12, v99, v96
	;; [unrolled: 1-line block ×25, first 2 shown]
	v_pk_max_f16 v0, v3, v3
	v_pk_max_f16 v21, v21, v21
	;; [unrolled: 1-line block ×9, first 2 shown]
	v_pk_min_f16 v109, v3, v21
	v_pk_min_f16 v110, v3, v23
	;; [unrolled: 1-line block ×4, first 2 shown]
	v_pk_max_f16 v3, v9, v9
	v_pk_max_f16 v7, v7, v7
	;; [unrolled: 1-line block ×3, first 2 shown]
	s_or_b32 s6, s5, s6
	v_pk_min_f16 v22, v22, v100
	v_pk_min_f16 v81, v81, v100
	;; [unrolled: 1-line block ×35, first 2 shown]
	v_mov_b32_e32 v0, 0
	s_or_b32 s6, s6, s19
	s_delay_alu instid0(SALU_CYCLE_1) | instskip(NEXT) | instid1(SALU_CYCLE_1)
	s_xor_b32 s6, s6, -1
	s_and_saveexec_b32 s7, s6
	s_cbranch_execz .LBB303_21
; %bb.33:                               ;   in Loop: Header=BB303_22 Depth=1
	v_add_co_u32 v77, s6, v77, v24
	s_delay_alu instid0(VALU_DEP_1)
	v_add_co_ci_u32_e64 v78, s6, v78, v25, s6
	flat_load_u16 v0, v[77:78] offset:128
	s_waitcnt vmcnt(0) lgkmcnt(0)
	v_mul_f16_e32 v0, v30, v0
	s_branch .LBB303_21
.LBB303_34:
	s_clause 0x2
	s_load_b64 s[4:5], s[0:1], 0x78
	s_load_b32 s15, s[0:1], 0x58
	s_load_b32 s14, s[0:1], 0x70
	v_add_nc_u32_e32 v67, s9, v29
	v_add_nc_u32_e32 v8, 0x800, v34
	ds_load_2addr_b64 v[0:3], v33 offset0:192 offset1:224
	ds_load_2addr_b64 v[20:23], v33 offset0:128 offset1:160
	v_add_nc_u32_e32 v24, s8, v28
	ds_load_2addr_b64 v[4:7], v8 offset0:112 offset1:120
	ds_load_2addr_b64 v[16:19], v8 offset0:64 offset1:72
	;; [unrolled: 1-line block ×4, first 2 shown]
	v_cmp_gt_i32_e64 s8, s17, v67
	v_cndmask_b32_e64 v60, 0, 1, s2
	s_waitcnt lgkmcnt(0)
	s_mul_i32 s1, s20, s5
	v_mad_i64_i32 v[25:26], null, v67, s15, 0
	v_mad_i64_i32 v[27:28], null, v67, s14, 0
	s_mul_hi_u32 s3, s20, s4
	s_mul_i32 s0, s20, s4
	s_add_i32 s1, s3, s1
	s_delay_alu instid0(SALU_CYCLE_1) | instskip(NEXT) | instid1(VALU_DEP_2)
	s_lshl_b64 s[4:5], s[0:1], 1
	v_lshlrev_b64 v[25:26], 1, v[25:26]
	s_delay_alu instid0(VALU_DEP_2) | instskip(SKIP_3) | instid1(VALU_DEP_3)
	v_lshlrev_b64 v[27:28], 1, v[27:28]
	s_add_u32 s9, s10, s4
	v_cmp_gt_i32_e64 s0, s16, v24
	s_addc_u32 s10, s11, s5
	v_add_co_u32 v73, vcc_lo, s12, v25
	v_add_co_ci_u32_e32 v74, vcc_lo, s13, v26, vcc_lo
	v_add_co_u32 v71, vcc_lo, s9, v27
	v_add_co_ci_u32_e32 v72, vcc_lo, s10, v28, vcc_lo
	v_ashrrev_i32_e32 v25, 31, v24
	s_and_b32 s3, s0, s8
	s_delay_alu instid0(SALU_CYCLE_1)
	s_and_saveexec_b32 s1, s3
	s_cbranch_execz .LBB303_39
; %bb.35:
	s_delay_alu instid0(VALU_DEP_1)
	v_lshlrev_b64 v[26:27], 1, v[24:25]
	s_and_not1_b32 vcc_lo, exec_lo, s2
	s_cbranch_vccnz .LBB303_37
; %bb.36:
	s_delay_alu instid0(VALU_DEP_1) | instskip(NEXT) | instid1(VALU_DEP_2)
	v_add_co_u32 v28, vcc_lo, v73, v26
	v_add_co_ci_u32_e32 v29, vcc_lo, v74, v27, vcc_lo
	flat_load_u16 v28, v[28:29]
	s_waitcnt vmcnt(0) lgkmcnt(0)
	v_mul_f16_e32 v28, v42, v28
	s_branch .LBB303_38
.LBB303_37:
	v_mov_b32_e32 v28, 0
.LBB303_38:
	v_pk_max_f16 v29, v20, v20
	v_pk_max_f16 v30, v16, v16
	;; [unrolled: 1-line block ×4, first 2 shown]
	v_add_co_u32 v26, vcc_lo, v71, v26
	s_delay_alu instid0(VALU_DEP_4) | instskip(SKIP_1) | instid1(VALU_DEP_4)
	v_pk_min_f16 v29, v30, v29
	v_add_co_ci_u32_e32 v27, vcc_lo, v72, v27, vcc_lo
	v_pk_min_f16 v30, v32, v31
	s_delay_alu instid0(VALU_DEP_3) | instskip(NEXT) | instid1(VALU_DEP_1)
	v_pk_add_f16 v29, v70, v29
	v_pk_add_f16 v29, v29, v30
	s_delay_alu instid0(VALU_DEP_1) | instskip(NEXT) | instid1(VALU_DEP_1)
	v_lshrrev_b32_e32 v30, 16, v29
	v_add_f16_e32 v29, v29, v30
	s_delay_alu instid0(VALU_DEP_1)
	v_add_f16_e32 v28, v29, v28
	global_store_b16 v[26:27], v28, off
.LBB303_39:
	s_or_b32 exec_lo, exec_lo, s1
	v_add_nc_u32_e32 v26, 8, v24
	s_delay_alu instid0(VALU_DEP_1) | instskip(SKIP_1) | instid1(VALU_DEP_2)
	v_cmp_gt_i32_e64 s1, s16, v26
	v_ashrrev_i32_e32 v27, 31, v26
	s_and_b32 s3, s1, s8
	s_delay_alu instid0(SALU_CYCLE_1)
	s_and_saveexec_b32 s2, s3
	s_cbranch_execz .LBB303_44
; %bb.40:
	v_cmp_ne_u32_e32 vcc_lo, 1, v60
	v_lshlrev_b64 v[28:29], 1, v[26:27]
	s_cbranch_vccnz .LBB303_42
; %bb.41:
	s_delay_alu instid0(VALU_DEP_1) | instskip(NEXT) | instid1(VALU_DEP_2)
	v_add_co_u32 v30, vcc_lo, v73, v28
	v_add_co_ci_u32_e32 v31, vcc_lo, v74, v29, vcc_lo
	flat_load_u16 v30, v[30:31]
	s_waitcnt vmcnt(0) lgkmcnt(0)
	v_mul_f16_e32 v30, v42, v30
	s_branch .LBB303_43
.LBB303_42:
	v_mov_b32_e32 v30, 0
.LBB303_43:
	v_pk_max_f16 v31, v20, v20
	v_pk_max_f16 v32, v18, v18
	v_pk_max_f16 v33, v21, v21
	v_pk_max_f16 v34, v19, v19
	v_add_co_u32 v28, vcc_lo, v71, v28
	s_delay_alu instid0(VALU_DEP_4) | instskip(SKIP_1) | instid1(VALU_DEP_4)
	v_pk_min_f16 v31, v32, v31
	v_add_co_ci_u32_e32 v29, vcc_lo, v72, v29, vcc_lo
	v_pk_min_f16 v32, v34, v33
	s_delay_alu instid0(VALU_DEP_3) | instskip(NEXT) | instid1(VALU_DEP_1)
	v_pk_add_f16 v31, v41, v31
	v_pk_add_f16 v31, v31, v32
	s_delay_alu instid0(VALU_DEP_1) | instskip(NEXT) | instid1(VALU_DEP_1)
	v_lshrrev_b32_e32 v32, 16, v31
	v_add_f16_e32 v31, v31, v32
	s_delay_alu instid0(VALU_DEP_1)
	v_add_f16_e32 v30, v31, v30
	global_store_b16 v[28:29], v30, off
.LBB303_44:
	s_or_b32 exec_lo, exec_lo, s2
	v_add_nc_u32_e32 v28, 16, v24
	s_delay_alu instid0(VALU_DEP_1) | instskip(SKIP_1) | instid1(VALU_DEP_2)
	v_cmp_gt_i32_e64 s2, s16, v28
	v_ashrrev_i32_e32 v29, 31, v28
	s_and_b32 s4, s2, s8
	s_delay_alu instid0(SALU_CYCLE_1)
	s_and_saveexec_b32 s3, s4
	s_cbranch_execz .LBB303_49
; %bb.45:
	v_cmp_ne_u32_e32 vcc_lo, 1, v60
	v_lshlrev_b64 v[30:31], 1, v[28:29]
	s_cbranch_vccnz .LBB303_47
; %bb.46:
	s_delay_alu instid0(VALU_DEP_1) | instskip(NEXT) | instid1(VALU_DEP_2)
	v_add_co_u32 v32, vcc_lo, v73, v30
	v_add_co_ci_u32_e32 v33, vcc_lo, v74, v31, vcc_lo
	flat_load_u16 v32, v[32:33]
	s_waitcnt vmcnt(0) lgkmcnt(0)
	v_mul_f16_e32 v32, v42, v32
	s_branch .LBB303_48
.LBB303_47:
	v_mov_b32_e32 v32, 0
.LBB303_48:
	v_pk_max_f16 v33, v20, v20
	v_pk_max_f16 v34, v12, v12
	v_pk_max_f16 v35, v21, v21
	v_pk_max_f16 v41, v13, v13
	v_add_co_u32 v30, vcc_lo, v71, v30
	s_delay_alu instid0(VALU_DEP_4) | instskip(SKIP_1) | instid1(VALU_DEP_4)
	v_pk_min_f16 v33, v34, v33
	v_add_co_ci_u32_e32 v31, vcc_lo, v72, v31, vcc_lo
	v_pk_min_f16 v34, v41, v35
	s_delay_alu instid0(VALU_DEP_3) | instskip(NEXT) | instid1(VALU_DEP_1)
	v_pk_add_f16 v33, v39, v33
	v_pk_add_f16 v33, v33, v34
	s_delay_alu instid0(VALU_DEP_1) | instskip(NEXT) | instid1(VALU_DEP_1)
	v_lshrrev_b32_e32 v34, 16, v33
	v_add_f16_e32 v33, v33, v34
	s_delay_alu instid0(VALU_DEP_1)
	v_add_f16_e32 v32, v33, v32
	global_store_b16 v[30:31], v32, off
.LBB303_49:
	;; [unrolled: 43-line block ×6, first 2 shown]
	s_or_b32 exec_lo, exec_lo, s7
	v_add_nc_u32_e32 v38, 56, v24
	s_delay_alu instid0(VALU_DEP_1) | instskip(SKIP_1) | instid1(VALU_DEP_2)
	v_cmp_gt_i32_e64 s7, s16, v38
	v_ashrrev_i32_e32 v39, 31, v38
	s_and_b32 s11, s7, s8
	s_delay_alu instid0(SALU_CYCLE_1)
	s_and_saveexec_b32 s8, s11
	s_cbranch_execz .LBB303_74
; %bb.70:
	v_cmp_ne_u32_e32 vcc_lo, 1, v60
	v_lshlrev_b64 v[40:41], 1, v[38:39]
	s_cbranch_vccnz .LBB303_72
; %bb.71:
	s_delay_alu instid0(VALU_DEP_1) | instskip(NEXT) | instid1(VALU_DEP_2)
	v_add_co_u32 v73, vcc_lo, v73, v40
	v_add_co_ci_u32_e32 v74, vcc_lo, v74, v41, vcc_lo
	flat_load_u16 v70, v[73:74]
	s_waitcnt vmcnt(0) lgkmcnt(0)
	v_mul_f16_e32 v70, v42, v70
	s_branch .LBB303_73
.LBB303_72:
	v_mov_b32_e32 v70, 0
.LBB303_73:
	v_pk_max_f16 v20, v20, v20
	v_pk_max_f16 v73, v6, v6
	;; [unrolled: 1-line block ×4, first 2 shown]
	s_delay_alu instid0(VALU_DEP_3) | instskip(NEXT) | instid1(VALU_DEP_2)
	v_pk_min_f16 v20, v73, v20
	v_pk_min_f16 v21, v74, v21
	s_delay_alu instid0(VALU_DEP_2) | instskip(NEXT) | instid1(VALU_DEP_1)
	v_pk_add_f16 v20, v69, v20
	v_pk_add_f16 v20, v20, v21
	s_delay_alu instid0(VALU_DEP_1) | instskip(NEXT) | instid1(VALU_DEP_1)
	v_lshrrev_b32_e32 v21, 16, v20
	v_add_f16_e32 v20, v20, v21
	s_delay_alu instid0(VALU_DEP_1)
	v_add_f16_e32 v69, v20, v70
	v_add_co_u32 v20, vcc_lo, v71, v40
	v_add_co_ci_u32_e32 v21, vcc_lo, v72, v41, vcc_lo
	global_store_b16 v[20:21], v69, off
.LBB303_74:
	s_or_b32 exec_lo, exec_lo, s8
	v_add_nc_u32_e32 v69, 32, v67
	s_delay_alu instid0(VALU_DEP_1) | instskip(SKIP_2) | instid1(VALU_DEP_3)
	v_mad_i64_i32 v[20:21], null, v69, s15, 0
	v_mad_i64_i32 v[40:41], null, v69, s14, 0
	v_cmp_gt_i32_e64 s8, s17, v69
	v_lshlrev_b64 v[20:21], 1, v[20:21]
	s_delay_alu instid0(VALU_DEP_2) | instskip(NEXT) | instid1(VALU_DEP_3)
	s_and_b32 s16, s0, s8
	v_lshlrev_b64 v[40:41], 1, v[40:41]
	s_delay_alu instid0(VALU_DEP_2) | instskip(NEXT) | instid1(VALU_DEP_3)
	v_add_co_u32 v69, vcc_lo, s12, v20
	v_add_co_ci_u32_e32 v70, vcc_lo, s13, v21, vcc_lo
	s_delay_alu instid0(VALU_DEP_3) | instskip(NEXT) | instid1(VALU_DEP_4)
	v_add_co_u32 v40, vcc_lo, s9, v40
	v_add_co_ci_u32_e32 v41, vcc_lo, s10, v41, vcc_lo
	s_and_saveexec_b32 s11, s16
	s_cbranch_execnz .LBB303_82
; %bb.75:
	s_or_b32 exec_lo, exec_lo, s11
	s_and_b32 s16, s1, s8
	s_delay_alu instid0(SALU_CYCLE_1)
	s_and_saveexec_b32 s11, s16
	s_cbranch_execnz .LBB303_86
.LBB303_76:
	s_or_b32 exec_lo, exec_lo, s11
	s_and_b32 s16, s2, s8
	s_delay_alu instid0(SALU_CYCLE_1)
	s_and_saveexec_b32 s11, s16
	s_cbranch_execnz .LBB303_90
.LBB303_77:
	s_or_b32 exec_lo, exec_lo, s11
	s_and_b32 s16, s3, s8
	s_delay_alu instid0(SALU_CYCLE_1)
	s_and_saveexec_b32 s11, s16
	s_cbranch_execnz .LBB303_94
.LBB303_78:
	s_or_b32 exec_lo, exec_lo, s11
	s_and_b32 s16, s4, s8
	s_delay_alu instid0(SALU_CYCLE_1)
	s_and_saveexec_b32 s11, s16
	s_cbranch_execnz .LBB303_98
.LBB303_79:
	s_or_b32 exec_lo, exec_lo, s11
	s_and_b32 s16, s5, s8
	s_delay_alu instid0(SALU_CYCLE_1)
	s_and_saveexec_b32 s11, s16
	s_cbranch_execnz .LBB303_102
.LBB303_80:
	s_or_b32 exec_lo, exec_lo, s11
	s_and_b32 s16, s6, s8
	s_delay_alu instid0(SALU_CYCLE_1)
	s_and_saveexec_b32 s11, s16
	s_cbranch_execnz .LBB303_106
.LBB303_81:
	s_or_b32 exec_lo, exec_lo, s11
	s_and_b32 s11, s7, s8
	s_delay_alu instid0(SALU_CYCLE_1)
	s_and_saveexec_b32 s8, s11
	s_cbranch_execnz .LBB303_110
	s_branch .LBB303_114
.LBB303_82:
	v_cmp_ne_u32_e32 vcc_lo, 1, v60
	v_lshlrev_b64 v[20:21], 1, v[24:25]
	s_cbranch_vccnz .LBB303_84
; %bb.83:
	s_delay_alu instid0(VALU_DEP_1) | instskip(NEXT) | instid1(VALU_DEP_2)
	v_add_co_u32 v71, vcc_lo, v69, v20
	v_add_co_ci_u32_e32 v72, vcc_lo, v70, v21, vcc_lo
	flat_load_u16 v71, v[71:72]
	s_waitcnt vmcnt(0) lgkmcnt(0)
	v_mul_f16_e32 v71, v42, v71
	s_branch .LBB303_85
.LBB303_84:
	v_mov_b32_e32 v71, 0
.LBB303_85:
	v_pk_max_f16 v72, v22, v22
	v_pk_max_f16 v73, v16, v16
	;; [unrolled: 1-line block ×4, first 2 shown]
	v_add_co_u32 v20, vcc_lo, v40, v20
	s_delay_alu instid0(VALU_DEP_4) | instskip(SKIP_1) | instid1(VALU_DEP_4)
	v_pk_min_f16 v72, v73, v72
	v_add_co_ci_u32_e32 v21, vcc_lo, v41, v21, vcc_lo
	v_pk_min_f16 v73, v75, v74
	s_delay_alu instid0(VALU_DEP_3) | instskip(NEXT) | instid1(VALU_DEP_1)
	v_pk_add_f16 v68, v68, v72
	v_pk_add_f16 v68, v68, v73
	s_delay_alu instid0(VALU_DEP_1) | instskip(NEXT) | instid1(VALU_DEP_1)
	v_lshrrev_b32_e32 v72, 16, v68
	v_add_f16_e32 v68, v68, v72
	s_delay_alu instid0(VALU_DEP_1) | instskip(SKIP_3) | instid1(SALU_CYCLE_1)
	v_add_f16_e32 v68, v68, v71
	global_store_b16 v[20:21], v68, off
	s_or_b32 exec_lo, exec_lo, s11
	s_and_b32 s16, s1, s8
	s_and_saveexec_b32 s11, s16
	s_cbranch_execz .LBB303_76
.LBB303_86:
	v_cmp_ne_u32_e32 vcc_lo, 1, v60
	v_lshlrev_b64 v[20:21], 1, v[26:27]
	s_cbranch_vccnz .LBB303_88
; %bb.87:
	s_delay_alu instid0(VALU_DEP_1) | instskip(NEXT) | instid1(VALU_DEP_2)
	v_add_co_u32 v71, vcc_lo, v69, v20
	v_add_co_ci_u32_e32 v72, vcc_lo, v70, v21, vcc_lo
	flat_load_u16 v68, v[71:72]
	s_waitcnt vmcnt(0) lgkmcnt(0)
	v_mul_f16_e32 v68, v42, v68
	s_branch .LBB303_89
.LBB303_88:
	v_mov_b32_e32 v68, 0
.LBB303_89:
	v_pk_max_f16 v71, v22, v22
	v_pk_max_f16 v72, v18, v18
	;; [unrolled: 1-line block ×4, first 2 shown]
	v_add_co_u32 v20, vcc_lo, v40, v20
	s_delay_alu instid0(VALU_DEP_4) | instskip(SKIP_1) | instid1(VALU_DEP_4)
	v_pk_min_f16 v71, v72, v71
	v_add_co_ci_u32_e32 v21, vcc_lo, v41, v21, vcc_lo
	v_pk_min_f16 v72, v74, v73
	s_delay_alu instid0(VALU_DEP_3) | instskip(NEXT) | instid1(VALU_DEP_1)
	v_pk_add_f16 v66, v66, v71
	v_pk_add_f16 v66, v66, v72
	s_delay_alu instid0(VALU_DEP_1) | instskip(NEXT) | instid1(VALU_DEP_1)
	v_lshrrev_b32_e32 v71, 16, v66
	v_add_f16_e32 v66, v66, v71
	s_delay_alu instid0(VALU_DEP_1) | instskip(SKIP_3) | instid1(SALU_CYCLE_1)
	v_add_f16_e32 v66, v66, v68
	global_store_b16 v[20:21], v66, off
	s_or_b32 exec_lo, exec_lo, s11
	s_and_b32 s16, s2, s8
	s_and_saveexec_b32 s11, s16
	s_cbranch_execz .LBB303_77
.LBB303_90:
	v_cmp_ne_u32_e32 vcc_lo, 1, v60
	v_lshlrev_b64 v[20:21], 1, v[28:29]
	s_cbranch_vccnz .LBB303_92
; %bb.91:
	s_delay_alu instid0(VALU_DEP_1) | instskip(NEXT) | instid1(VALU_DEP_2)
	v_add_co_u32 v71, vcc_lo, v69, v20
	v_add_co_ci_u32_e32 v72, vcc_lo, v70, v21, vcc_lo
	flat_load_u16 v66, v[71:72]
	s_waitcnt vmcnt(0) lgkmcnt(0)
	v_mul_f16_e32 v66, v42, v66
	s_branch .LBB303_93
.LBB303_92:
	v_mov_b32_e32 v66, 0
.LBB303_93:
	v_pk_max_f16 v68, v22, v22
	v_pk_max_f16 v71, v12, v12
	;; [unrolled: 1-line block ×4, first 2 shown]
	v_add_co_u32 v20, vcc_lo, v40, v20
	s_delay_alu instid0(VALU_DEP_4) | instskip(SKIP_1) | instid1(VALU_DEP_4)
	v_pk_min_f16 v68, v71, v68
	v_add_co_ci_u32_e32 v21, vcc_lo, v41, v21, vcc_lo
	v_pk_min_f16 v71, v73, v72
	s_delay_alu instid0(VALU_DEP_3) | instskip(NEXT) | instid1(VALU_DEP_1)
	v_pk_add_f16 v65, v65, v68
	v_pk_add_f16 v65, v65, v71
	s_delay_alu instid0(VALU_DEP_1) | instskip(NEXT) | instid1(VALU_DEP_1)
	v_lshrrev_b32_e32 v68, 16, v65
	v_add_f16_e32 v65, v65, v68
	s_delay_alu instid0(VALU_DEP_1) | instskip(SKIP_3) | instid1(SALU_CYCLE_1)
	v_add_f16_e32 v65, v65, v66
	global_store_b16 v[20:21], v65, off
	s_or_b32 exec_lo, exec_lo, s11
	s_and_b32 s16, s3, s8
	s_and_saveexec_b32 s11, s16
	s_cbranch_execz .LBB303_78
.LBB303_94:
	v_cmp_ne_u32_e32 vcc_lo, 1, v60
	v_lshlrev_b64 v[20:21], 1, v[30:31]
	s_cbranch_vccnz .LBB303_96
; %bb.95:
	s_delay_alu instid0(VALU_DEP_1) | instskip(NEXT) | instid1(VALU_DEP_2)
	v_add_co_u32 v65, vcc_lo, v69, v20
	v_add_co_ci_u32_e32 v66, vcc_lo, v70, v21, vcc_lo
	flat_load_u16 v65, v[65:66]
	s_waitcnt vmcnt(0) lgkmcnt(0)
	v_mul_f16_e32 v65, v42, v65
	s_branch .LBB303_97
.LBB303_96:
	v_mov_b32_e32 v65, 0
.LBB303_97:
	v_pk_max_f16 v66, v22, v22
	v_pk_max_f16 v68, v14, v14
	;; [unrolled: 1-line block ×4, first 2 shown]
	v_add_co_u32 v20, vcc_lo, v40, v20
	s_delay_alu instid0(VALU_DEP_4) | instskip(SKIP_1) | instid1(VALU_DEP_4)
	v_pk_min_f16 v66, v68, v66
	v_add_co_ci_u32_e32 v21, vcc_lo, v41, v21, vcc_lo
	v_pk_min_f16 v68, v72, v71
	s_delay_alu instid0(VALU_DEP_3) | instskip(NEXT) | instid1(VALU_DEP_1)
	v_pk_add_f16 v64, v64, v66
	v_pk_add_f16 v64, v64, v68
	s_delay_alu instid0(VALU_DEP_1) | instskip(NEXT) | instid1(VALU_DEP_1)
	v_lshrrev_b32_e32 v66, 16, v64
	v_add_f16_e32 v64, v64, v66
	s_delay_alu instid0(VALU_DEP_1) | instskip(SKIP_3) | instid1(SALU_CYCLE_1)
	v_add_f16_e32 v64, v64, v65
	global_store_b16 v[20:21], v64, off
	s_or_b32 exec_lo, exec_lo, s11
	s_and_b32 s16, s4, s8
	s_and_saveexec_b32 s11, s16
	s_cbranch_execz .LBB303_79
.LBB303_98:
	v_cmp_ne_u32_e32 vcc_lo, 1, v60
	v_lshlrev_b64 v[20:21], 1, v[32:33]
	s_cbranch_vccnz .LBB303_100
; %bb.99:
	s_delay_alu instid0(VALU_DEP_1) | instskip(NEXT) | instid1(VALU_DEP_2)
	v_add_co_u32 v64, vcc_lo, v69, v20
	v_add_co_ci_u32_e32 v65, vcc_lo, v70, v21, vcc_lo
	flat_load_u16 v64, v[64:65]
	s_waitcnt vmcnt(0) lgkmcnt(0)
	v_mul_f16_e32 v64, v42, v64
	s_branch .LBB303_101
.LBB303_100:
	v_mov_b32_e32 v64, 0
.LBB303_101:
	v_pk_max_f16 v65, v22, v22
	v_pk_max_f16 v66, v8, v8
	;; [unrolled: 1-line block ×4, first 2 shown]
	v_add_co_u32 v20, vcc_lo, v40, v20
	s_delay_alu instid0(VALU_DEP_4) | instskip(SKIP_1) | instid1(VALU_DEP_4)
	v_pk_min_f16 v65, v66, v65
	v_add_co_ci_u32_e32 v21, vcc_lo, v41, v21, vcc_lo
	v_pk_min_f16 v66, v71, v68
	s_delay_alu instid0(VALU_DEP_3) | instskip(NEXT) | instid1(VALU_DEP_1)
	v_pk_add_f16 v63, v63, v65
	v_pk_add_f16 v63, v63, v66
	s_delay_alu instid0(VALU_DEP_1) | instskip(NEXT) | instid1(VALU_DEP_1)
	v_lshrrev_b32_e32 v65, 16, v63
	v_add_f16_e32 v63, v63, v65
	s_delay_alu instid0(VALU_DEP_1) | instskip(SKIP_3) | instid1(SALU_CYCLE_1)
	v_add_f16_e32 v63, v63, v64
	global_store_b16 v[20:21], v63, off
	s_or_b32 exec_lo, exec_lo, s11
	s_and_b32 s16, s5, s8
	s_and_saveexec_b32 s11, s16
	s_cbranch_execz .LBB303_80
.LBB303_102:
	v_cmp_ne_u32_e32 vcc_lo, 1, v60
	v_lshlrev_b64 v[20:21], 1, v[34:35]
	s_cbranch_vccnz .LBB303_104
; %bb.103:
	s_delay_alu instid0(VALU_DEP_1) | instskip(NEXT) | instid1(VALU_DEP_2)
	v_add_co_u32 v63, vcc_lo, v69, v20
	v_add_co_ci_u32_e32 v64, vcc_lo, v70, v21, vcc_lo
	flat_load_u16 v63, v[63:64]
	s_waitcnt vmcnt(0) lgkmcnt(0)
	v_mul_f16_e32 v63, v42, v63
	s_branch .LBB303_105
.LBB303_104:
	v_mov_b32_e32 v63, 0
.LBB303_105:
	v_pk_max_f16 v64, v22, v22
	v_pk_max_f16 v65, v10, v10
	;; [unrolled: 1-line block ×4, first 2 shown]
	v_add_co_u32 v20, vcc_lo, v40, v20
	s_delay_alu instid0(VALU_DEP_4) | instskip(SKIP_1) | instid1(VALU_DEP_4)
	v_pk_min_f16 v64, v65, v64
	v_add_co_ci_u32_e32 v21, vcc_lo, v41, v21, vcc_lo
	v_pk_min_f16 v65, v68, v66
	s_delay_alu instid0(VALU_DEP_3) | instskip(NEXT) | instid1(VALU_DEP_1)
	v_pk_add_f16 v62, v62, v64
	v_pk_add_f16 v62, v62, v65
	s_delay_alu instid0(VALU_DEP_1) | instskip(NEXT) | instid1(VALU_DEP_1)
	v_lshrrev_b32_e32 v64, 16, v62
	v_add_f16_e32 v62, v62, v64
	s_delay_alu instid0(VALU_DEP_1) | instskip(SKIP_3) | instid1(SALU_CYCLE_1)
	v_add_f16_e32 v62, v62, v63
	global_store_b16 v[20:21], v62, off
	s_or_b32 exec_lo, exec_lo, s11
	s_and_b32 s16, s6, s8
	s_and_saveexec_b32 s11, s16
	s_cbranch_execz .LBB303_81
.LBB303_106:
	v_cmp_ne_u32_e32 vcc_lo, 1, v60
	v_lshlrev_b64 v[20:21], 1, v[36:37]
	s_cbranch_vccnz .LBB303_108
; %bb.107:
	s_delay_alu instid0(VALU_DEP_1) | instskip(NEXT) | instid1(VALU_DEP_2)
	v_add_co_u32 v62, vcc_lo, v69, v20
	v_add_co_ci_u32_e32 v63, vcc_lo, v70, v21, vcc_lo
	flat_load_u16 v62, v[62:63]
	s_waitcnt vmcnt(0) lgkmcnt(0)
	v_mul_f16_e32 v62, v42, v62
	s_branch .LBB303_109
.LBB303_108:
	v_mov_b32_e32 v62, 0
.LBB303_109:
	v_pk_max_f16 v63, v22, v22
	v_pk_max_f16 v64, v4, v4
	v_pk_max_f16 v65, v23, v23
	v_pk_max_f16 v66, v5, v5
	v_add_co_u32 v20, vcc_lo, v40, v20
	s_delay_alu instid0(VALU_DEP_4) | instskip(SKIP_1) | instid1(VALU_DEP_4)
	v_pk_min_f16 v63, v64, v63
	v_add_co_ci_u32_e32 v21, vcc_lo, v41, v21, vcc_lo
	v_pk_min_f16 v64, v66, v65
	s_delay_alu instid0(VALU_DEP_3) | instskip(NEXT) | instid1(VALU_DEP_1)
	v_pk_add_f16 v61, v61, v63
	v_pk_add_f16 v61, v61, v64
	s_delay_alu instid0(VALU_DEP_1) | instskip(NEXT) | instid1(VALU_DEP_1)
	v_lshrrev_b32_e32 v63, 16, v61
	v_add_f16_e32 v61, v61, v63
	s_delay_alu instid0(VALU_DEP_1) | instskip(SKIP_3) | instid1(SALU_CYCLE_1)
	v_add_f16_e32 v61, v61, v62
	global_store_b16 v[20:21], v61, off
	s_or_b32 exec_lo, exec_lo, s11
	s_and_b32 s11, s7, s8
	s_and_saveexec_b32 s8, s11
	s_cbranch_execz .LBB303_114
.LBB303_110:
	v_cmp_ne_u32_e32 vcc_lo, 1, v60
	v_lshlrev_b64 v[20:21], 1, v[38:39]
	s_cbranch_vccnz .LBB303_112
; %bb.111:
	s_delay_alu instid0(VALU_DEP_1) | instskip(NEXT) | instid1(VALU_DEP_2)
	v_add_co_u32 v61, vcc_lo, v69, v20
	v_add_co_ci_u32_e32 v62, vcc_lo, v70, v21, vcc_lo
	flat_load_u16 v61, v[61:62]
	s_waitcnt vmcnt(0) lgkmcnt(0)
	v_mul_f16_e32 v61, v42, v61
	s_branch .LBB303_113
.LBB303_112:
	v_mov_b32_e32 v61, 0
.LBB303_113:
	v_pk_max_f16 v22, v22, v22
	v_pk_max_f16 v62, v6, v6
	;; [unrolled: 1-line block ×4, first 2 shown]
	v_add_co_u32 v20, vcc_lo, v40, v20
	s_delay_alu instid0(VALU_DEP_4) | instskip(SKIP_1) | instid1(VALU_DEP_4)
	v_pk_min_f16 v22, v62, v22
	v_add_co_ci_u32_e32 v21, vcc_lo, v41, v21, vcc_lo
	v_pk_min_f16 v23, v63, v23
	s_delay_alu instid0(VALU_DEP_3) | instskip(NEXT) | instid1(VALU_DEP_1)
	v_pk_add_f16 v22, v59, v22
	v_pk_add_f16 v22, v22, v23
	s_delay_alu instid0(VALU_DEP_1) | instskip(NEXT) | instid1(VALU_DEP_1)
	v_lshrrev_b32_e32 v23, 16, v22
	v_add_f16_e32 v22, v22, v23
	s_delay_alu instid0(VALU_DEP_1)
	v_add_f16_e32 v22, v22, v61
	global_store_b16 v[20:21], v22, off
.LBB303_114:
	s_or_b32 exec_lo, exec_lo, s8
	v_add_nc_u32_e32 v40, 64, v67
	s_delay_alu instid0(VALU_DEP_1) | instskip(SKIP_2) | instid1(VALU_DEP_3)
	v_mad_i64_i32 v[20:21], null, v40, s15, 0
	v_mad_i64_i32 v[22:23], null, v40, s14, 0
	v_cmp_gt_i32_e64 s8, s17, v40
	v_lshlrev_b64 v[20:21], 1, v[20:21]
	s_delay_alu instid0(VALU_DEP_2) | instskip(NEXT) | instid1(VALU_DEP_3)
	s_and_b32 s16, s0, s8
	v_lshlrev_b64 v[22:23], 1, v[22:23]
	s_delay_alu instid0(VALU_DEP_2) | instskip(NEXT) | instid1(VALU_DEP_3)
	v_add_co_u32 v40, vcc_lo, s12, v20
	v_add_co_ci_u32_e32 v41, vcc_lo, s13, v21, vcc_lo
	s_delay_alu instid0(VALU_DEP_3) | instskip(NEXT) | instid1(VALU_DEP_4)
	v_add_co_u32 v22, vcc_lo, s9, v22
	v_add_co_ci_u32_e32 v23, vcc_lo, s10, v23, vcc_lo
	s_and_saveexec_b32 s11, s16
	s_cbranch_execnz .LBB303_122
; %bb.115:
	s_or_b32 exec_lo, exec_lo, s11
	s_and_b32 s16, s1, s8
	s_delay_alu instid0(SALU_CYCLE_1)
	s_and_saveexec_b32 s11, s16
	s_cbranch_execnz .LBB303_126
.LBB303_116:
	s_or_b32 exec_lo, exec_lo, s11
	s_and_b32 s16, s2, s8
	s_delay_alu instid0(SALU_CYCLE_1)
	s_and_saveexec_b32 s11, s16
	s_cbranch_execnz .LBB303_130
.LBB303_117:
	s_or_b32 exec_lo, exec_lo, s11
	s_and_b32 s16, s3, s8
	s_delay_alu instid0(SALU_CYCLE_1)
	s_and_saveexec_b32 s11, s16
	s_cbranch_execnz .LBB303_134
.LBB303_118:
	s_or_b32 exec_lo, exec_lo, s11
	s_and_b32 s16, s4, s8
	s_delay_alu instid0(SALU_CYCLE_1)
	s_and_saveexec_b32 s11, s16
	s_cbranch_execnz .LBB303_138
.LBB303_119:
	s_or_b32 exec_lo, exec_lo, s11
	s_and_b32 s16, s5, s8
	s_delay_alu instid0(SALU_CYCLE_1)
	s_and_saveexec_b32 s11, s16
	s_cbranch_execnz .LBB303_142
.LBB303_120:
	s_or_b32 exec_lo, exec_lo, s11
	s_and_b32 s16, s6, s8
	s_delay_alu instid0(SALU_CYCLE_1)
	s_and_saveexec_b32 s11, s16
	s_cbranch_execnz .LBB303_146
.LBB303_121:
	s_or_b32 exec_lo, exec_lo, s11
	s_and_b32 s11, s7, s8
	s_delay_alu instid0(SALU_CYCLE_1)
	s_and_saveexec_b32 s8, s11
	s_cbranch_execnz .LBB303_150
	s_branch .LBB303_154
.LBB303_122:
	v_cmp_ne_u32_e32 vcc_lo, 1, v60
	v_lshlrev_b64 v[20:21], 1, v[24:25]
	s_cbranch_vccnz .LBB303_124
; %bb.123:
	s_delay_alu instid0(VALU_DEP_1) | instskip(NEXT) | instid1(VALU_DEP_2)
	v_add_co_u32 v61, vcc_lo, v40, v20
	v_add_co_ci_u32_e32 v62, vcc_lo, v41, v21, vcc_lo
	flat_load_u16 v59, v[61:62]
	s_waitcnt vmcnt(0) lgkmcnt(0)
	v_mul_f16_e32 v59, v42, v59
	s_branch .LBB303_125
.LBB303_124:
	v_mov_b32_e32 v59, 0
.LBB303_125:
	v_pk_max_f16 v61, v0, v0
	v_pk_max_f16 v62, v16, v16
	v_pk_max_f16 v63, v1, v1
	v_pk_max_f16 v64, v17, v17
	v_add_co_u32 v20, vcc_lo, v22, v20
	s_delay_alu instid0(VALU_DEP_4) | instskip(SKIP_1) | instid1(VALU_DEP_4)
	v_pk_min_f16 v61, v62, v61
	v_add_co_ci_u32_e32 v21, vcc_lo, v23, v21, vcc_lo
	v_pk_min_f16 v62, v64, v63
	s_delay_alu instid0(VALU_DEP_3) | instskip(NEXT) | instid1(VALU_DEP_1)
	v_pk_add_f16 v58, v58, v61
	v_pk_add_f16 v58, v58, v62
	s_delay_alu instid0(VALU_DEP_1) | instskip(NEXT) | instid1(VALU_DEP_1)
	v_lshrrev_b32_e32 v61, 16, v58
	v_add_f16_e32 v58, v58, v61
	s_delay_alu instid0(VALU_DEP_1) | instskip(SKIP_3) | instid1(SALU_CYCLE_1)
	v_add_f16_e32 v58, v58, v59
	global_store_b16 v[20:21], v58, off
	s_or_b32 exec_lo, exec_lo, s11
	s_and_b32 s16, s1, s8
	s_and_saveexec_b32 s11, s16
	s_cbranch_execz .LBB303_116
.LBB303_126:
	v_cmp_ne_u32_e32 vcc_lo, 1, v60
	v_lshlrev_b64 v[20:21], 1, v[26:27]
	s_cbranch_vccnz .LBB303_128
; %bb.127:
	s_delay_alu instid0(VALU_DEP_1) | instskip(NEXT) | instid1(VALU_DEP_2)
	v_add_co_u32 v58, vcc_lo, v40, v20
	v_add_co_ci_u32_e32 v59, vcc_lo, v41, v21, vcc_lo
	flat_load_u16 v58, v[58:59]
	s_waitcnt vmcnt(0) lgkmcnt(0)
	v_mul_f16_e32 v58, v42, v58
	s_branch .LBB303_129
.LBB303_128:
	v_mov_b32_e32 v58, 0
.LBB303_129:
	v_pk_max_f16 v59, v0, v0
	v_pk_max_f16 v61, v18, v18
	v_pk_max_f16 v62, v1, v1
	v_pk_max_f16 v63, v19, v19
	v_add_co_u32 v20, vcc_lo, v22, v20
	s_delay_alu instid0(VALU_DEP_4) | instskip(SKIP_1) | instid1(VALU_DEP_4)
	v_pk_min_f16 v59, v61, v59
	v_add_co_ci_u32_e32 v21, vcc_lo, v23, v21, vcc_lo
	v_pk_min_f16 v61, v63, v62
	s_delay_alu instid0(VALU_DEP_3) | instskip(NEXT) | instid1(VALU_DEP_1)
	v_pk_add_f16 v57, v57, v59
	v_pk_add_f16 v57, v57, v61
	s_delay_alu instid0(VALU_DEP_1) | instskip(NEXT) | instid1(VALU_DEP_1)
	v_lshrrev_b32_e32 v59, 16, v57
	v_add_f16_e32 v57, v57, v59
	s_delay_alu instid0(VALU_DEP_1) | instskip(SKIP_3) | instid1(SALU_CYCLE_1)
	v_add_f16_e32 v57, v57, v58
	global_store_b16 v[20:21], v57, off
	s_or_b32 exec_lo, exec_lo, s11
	s_and_b32 s16, s2, s8
	s_and_saveexec_b32 s11, s16
	s_cbranch_execz .LBB303_117
.LBB303_130:
	v_cmp_ne_u32_e32 vcc_lo, 1, v60
	v_lshlrev_b64 v[20:21], 1, v[28:29]
	s_cbranch_vccnz .LBB303_132
; %bb.131:
	s_delay_alu instid0(VALU_DEP_1) | instskip(NEXT) | instid1(VALU_DEP_2)
	v_add_co_u32 v57, vcc_lo, v40, v20
	v_add_co_ci_u32_e32 v58, vcc_lo, v41, v21, vcc_lo
	flat_load_u16 v57, v[57:58]
	s_waitcnt vmcnt(0) lgkmcnt(0)
	v_mul_f16_e32 v57, v42, v57
	s_branch .LBB303_133
.LBB303_132:
	v_mov_b32_e32 v57, 0
.LBB303_133:
	v_pk_max_f16 v58, v0, v0
	v_pk_max_f16 v59, v12, v12
	v_pk_max_f16 v61, v1, v1
	v_pk_max_f16 v62, v13, v13
	v_add_co_u32 v20, vcc_lo, v22, v20
	s_delay_alu instid0(VALU_DEP_4) | instskip(SKIP_1) | instid1(VALU_DEP_4)
	v_pk_min_f16 v58, v59, v58
	v_add_co_ci_u32_e32 v21, vcc_lo, v23, v21, vcc_lo
	v_pk_min_f16 v59, v62, v61
	s_delay_alu instid0(VALU_DEP_3) | instskip(NEXT) | instid1(VALU_DEP_1)
	v_pk_add_f16 v56, v56, v58
	v_pk_add_f16 v56, v56, v59
	s_delay_alu instid0(VALU_DEP_1) | instskip(NEXT) | instid1(VALU_DEP_1)
	v_lshrrev_b32_e32 v58, 16, v56
	v_add_f16_e32 v56, v56, v58
	s_delay_alu instid0(VALU_DEP_1) | instskip(SKIP_3) | instid1(SALU_CYCLE_1)
	v_add_f16_e32 v56, v56, v57
	global_store_b16 v[20:21], v56, off
	s_or_b32 exec_lo, exec_lo, s11
	s_and_b32 s16, s3, s8
	s_and_saveexec_b32 s11, s16
	s_cbranch_execz .LBB303_118
.LBB303_134:
	v_cmp_ne_u32_e32 vcc_lo, 1, v60
	v_lshlrev_b64 v[20:21], 1, v[30:31]
	s_cbranch_vccnz .LBB303_136
; %bb.135:
	s_delay_alu instid0(VALU_DEP_1) | instskip(NEXT) | instid1(VALU_DEP_2)
	v_add_co_u32 v56, vcc_lo, v40, v20
	v_add_co_ci_u32_e32 v57, vcc_lo, v41, v21, vcc_lo
	flat_load_u16 v56, v[56:57]
	s_waitcnt vmcnt(0) lgkmcnt(0)
	v_mul_f16_e32 v56, v42, v56
	s_branch .LBB303_137
.LBB303_136:
	v_mov_b32_e32 v56, 0
.LBB303_137:
	v_pk_max_f16 v57, v0, v0
	v_pk_max_f16 v58, v14, v14
	;; [unrolled: 1-line block ×4, first 2 shown]
	v_add_co_u32 v20, vcc_lo, v22, v20
	s_delay_alu instid0(VALU_DEP_4) | instskip(SKIP_1) | instid1(VALU_DEP_4)
	v_pk_min_f16 v57, v58, v57
	v_add_co_ci_u32_e32 v21, vcc_lo, v23, v21, vcc_lo
	v_pk_min_f16 v58, v61, v59
	s_delay_alu instid0(VALU_DEP_3) | instskip(NEXT) | instid1(VALU_DEP_1)
	v_pk_add_f16 v55, v55, v57
	v_pk_add_f16 v55, v55, v58
	s_delay_alu instid0(VALU_DEP_1) | instskip(NEXT) | instid1(VALU_DEP_1)
	v_lshrrev_b32_e32 v57, 16, v55
	v_add_f16_e32 v55, v55, v57
	s_delay_alu instid0(VALU_DEP_1) | instskip(SKIP_3) | instid1(SALU_CYCLE_1)
	v_add_f16_e32 v55, v55, v56
	global_store_b16 v[20:21], v55, off
	s_or_b32 exec_lo, exec_lo, s11
	s_and_b32 s16, s4, s8
	s_and_saveexec_b32 s11, s16
	s_cbranch_execz .LBB303_119
.LBB303_138:
	v_cmp_ne_u32_e32 vcc_lo, 1, v60
	v_lshlrev_b64 v[20:21], 1, v[32:33]
	s_cbranch_vccnz .LBB303_140
; %bb.139:
	s_delay_alu instid0(VALU_DEP_1) | instskip(NEXT) | instid1(VALU_DEP_2)
	v_add_co_u32 v55, vcc_lo, v40, v20
	v_add_co_ci_u32_e32 v56, vcc_lo, v41, v21, vcc_lo
	flat_load_u16 v55, v[55:56]
	s_waitcnt vmcnt(0) lgkmcnt(0)
	v_mul_f16_e32 v55, v42, v55
	s_branch .LBB303_141
.LBB303_140:
	v_mov_b32_e32 v55, 0
.LBB303_141:
	v_pk_max_f16 v56, v0, v0
	v_pk_max_f16 v57, v8, v8
	;; [unrolled: 1-line block ×4, first 2 shown]
	v_add_co_u32 v20, vcc_lo, v22, v20
	s_delay_alu instid0(VALU_DEP_4) | instskip(SKIP_1) | instid1(VALU_DEP_4)
	v_pk_min_f16 v56, v57, v56
	v_add_co_ci_u32_e32 v21, vcc_lo, v23, v21, vcc_lo
	v_pk_min_f16 v57, v59, v58
	s_delay_alu instid0(VALU_DEP_3) | instskip(NEXT) | instid1(VALU_DEP_1)
	v_pk_add_f16 v54, v54, v56
	v_pk_add_f16 v54, v54, v57
	s_delay_alu instid0(VALU_DEP_1) | instskip(NEXT) | instid1(VALU_DEP_1)
	v_lshrrev_b32_e32 v56, 16, v54
	v_add_f16_e32 v54, v54, v56
	s_delay_alu instid0(VALU_DEP_1) | instskip(SKIP_3) | instid1(SALU_CYCLE_1)
	v_add_f16_e32 v54, v54, v55
	global_store_b16 v[20:21], v54, off
	s_or_b32 exec_lo, exec_lo, s11
	s_and_b32 s16, s5, s8
	s_and_saveexec_b32 s11, s16
	s_cbranch_execz .LBB303_120
.LBB303_142:
	v_cmp_ne_u32_e32 vcc_lo, 1, v60
	v_lshlrev_b64 v[20:21], 1, v[34:35]
	s_cbranch_vccnz .LBB303_144
; %bb.143:
	s_delay_alu instid0(VALU_DEP_1) | instskip(NEXT) | instid1(VALU_DEP_2)
	v_add_co_u32 v54, vcc_lo, v40, v20
	v_add_co_ci_u32_e32 v55, vcc_lo, v41, v21, vcc_lo
	flat_load_u16 v54, v[54:55]
	s_waitcnt vmcnt(0) lgkmcnt(0)
	v_mul_f16_e32 v54, v42, v54
	s_branch .LBB303_145
.LBB303_144:
	v_mov_b32_e32 v54, 0
.LBB303_145:
	v_pk_max_f16 v55, v0, v0
	v_pk_max_f16 v56, v10, v10
	;; [unrolled: 1-line block ×4, first 2 shown]
	v_add_co_u32 v20, vcc_lo, v22, v20
	s_delay_alu instid0(VALU_DEP_4) | instskip(SKIP_1) | instid1(VALU_DEP_4)
	v_pk_min_f16 v55, v56, v55
	v_add_co_ci_u32_e32 v21, vcc_lo, v23, v21, vcc_lo
	v_pk_min_f16 v56, v58, v57
	s_delay_alu instid0(VALU_DEP_3) | instskip(NEXT) | instid1(VALU_DEP_1)
	v_pk_add_f16 v53, v53, v55
	v_pk_add_f16 v53, v53, v56
	s_delay_alu instid0(VALU_DEP_1) | instskip(NEXT) | instid1(VALU_DEP_1)
	v_lshrrev_b32_e32 v55, 16, v53
	v_add_f16_e32 v53, v53, v55
	s_delay_alu instid0(VALU_DEP_1) | instskip(SKIP_3) | instid1(SALU_CYCLE_1)
	v_add_f16_e32 v53, v53, v54
	global_store_b16 v[20:21], v53, off
	s_or_b32 exec_lo, exec_lo, s11
	s_and_b32 s16, s6, s8
	s_and_saveexec_b32 s11, s16
	s_cbranch_execz .LBB303_121
.LBB303_146:
	v_cmp_ne_u32_e32 vcc_lo, 1, v60
	v_lshlrev_b64 v[20:21], 1, v[36:37]
	s_cbranch_vccnz .LBB303_148
; %bb.147:
	s_delay_alu instid0(VALU_DEP_1) | instskip(NEXT) | instid1(VALU_DEP_2)
	v_add_co_u32 v53, vcc_lo, v40, v20
	v_add_co_ci_u32_e32 v54, vcc_lo, v41, v21, vcc_lo
	flat_load_u16 v53, v[53:54]
	s_waitcnt vmcnt(0) lgkmcnt(0)
	v_mul_f16_e32 v53, v42, v53
	s_branch .LBB303_149
.LBB303_148:
	v_mov_b32_e32 v53, 0
.LBB303_149:
	v_pk_max_f16 v54, v0, v0
	v_pk_max_f16 v55, v4, v4
	;; [unrolled: 1-line block ×4, first 2 shown]
	v_add_co_u32 v20, vcc_lo, v22, v20
	s_delay_alu instid0(VALU_DEP_4) | instskip(SKIP_1) | instid1(VALU_DEP_4)
	v_pk_min_f16 v54, v55, v54
	v_add_co_ci_u32_e32 v21, vcc_lo, v23, v21, vcc_lo
	v_pk_min_f16 v55, v57, v56
	s_delay_alu instid0(VALU_DEP_3) | instskip(NEXT) | instid1(VALU_DEP_1)
	v_pk_add_f16 v52, v52, v54
	v_pk_add_f16 v52, v52, v55
	s_delay_alu instid0(VALU_DEP_1) | instskip(NEXT) | instid1(VALU_DEP_1)
	v_lshrrev_b32_e32 v54, 16, v52
	v_add_f16_e32 v52, v52, v54
	s_delay_alu instid0(VALU_DEP_1) | instskip(SKIP_3) | instid1(SALU_CYCLE_1)
	v_add_f16_e32 v52, v52, v53
	global_store_b16 v[20:21], v52, off
	s_or_b32 exec_lo, exec_lo, s11
	s_and_b32 s11, s7, s8
	s_and_saveexec_b32 s8, s11
	s_cbranch_execz .LBB303_154
.LBB303_150:
	v_cmp_ne_u32_e32 vcc_lo, 1, v60
	v_lshlrev_b64 v[20:21], 1, v[38:39]
	s_cbranch_vccnz .LBB303_152
; %bb.151:
	s_delay_alu instid0(VALU_DEP_1) | instskip(NEXT) | instid1(VALU_DEP_2)
	v_add_co_u32 v40, vcc_lo, v40, v20
	v_add_co_ci_u32_e32 v41, vcc_lo, v41, v21, vcc_lo
	flat_load_u16 v40, v[40:41]
	s_waitcnt vmcnt(0) lgkmcnt(0)
	v_mul_f16_e32 v40, v42, v40
	s_branch .LBB303_153
.LBB303_152:
	v_mov_b32_e32 v40, 0
.LBB303_153:
	v_pk_max_f16 v0, v0, v0
	v_pk_max_f16 v41, v6, v6
	;; [unrolled: 1-line block ×4, first 2 shown]
	s_delay_alu instid0(VALU_DEP_3) | instskip(NEXT) | instid1(VALU_DEP_2)
	v_pk_min_f16 v0, v41, v0
	v_pk_min_f16 v1, v52, v1
	s_delay_alu instid0(VALU_DEP_2) | instskip(NEXT) | instid1(VALU_DEP_1)
	v_pk_add_f16 v0, v51, v0
	v_pk_add_f16 v0, v0, v1
	s_delay_alu instid0(VALU_DEP_1) | instskip(NEXT) | instid1(VALU_DEP_1)
	v_lshrrev_b32_e32 v1, 16, v0
	v_add_f16_e32 v0, v0, v1
	s_delay_alu instid0(VALU_DEP_1)
	v_add_f16_e32 v40, v0, v40
	v_add_co_u32 v0, vcc_lo, v22, v20
	v_add_co_ci_u32_e32 v1, vcc_lo, v23, v21, vcc_lo
	global_store_b16 v[0:1], v40, off
.LBB303_154:
	s_or_b32 exec_lo, exec_lo, s8
	v_add_nc_u32_e32 v22, 0x60, v67
	s_delay_alu instid0(VALU_DEP_1) | instskip(SKIP_2) | instid1(VALU_DEP_3)
	v_mad_i64_i32 v[0:1], null, v22, s15, 0
	v_mad_i64_i32 v[20:21], null, v22, s14, 0
	v_cmp_gt_i32_e64 s8, s17, v22
	v_lshlrev_b64 v[0:1], 1, v[0:1]
	s_delay_alu instid0(VALU_DEP_3) | instskip(NEXT) | instid1(VALU_DEP_2)
	v_lshlrev_b64 v[20:21], 1, v[20:21]
	v_add_co_u32 v22, vcc_lo, s12, v0
	s_delay_alu instid0(VALU_DEP_3) | instskip(NEXT) | instid1(VALU_DEP_3)
	v_add_co_ci_u32_e32 v23, vcc_lo, s13, v1, vcc_lo
	v_add_co_u32 v20, vcc_lo, s9, v20
	s_delay_alu instid0(VALU_DEP_4) | instskip(SKIP_1) | instid1(SALU_CYCLE_1)
	v_add_co_ci_u32_e32 v21, vcc_lo, s10, v21, vcc_lo
	s_and_b32 s9, s0, s8
	s_and_saveexec_b32 s0, s9
	s_cbranch_execnz .LBB303_163
; %bb.155:
	s_or_b32 exec_lo, exec_lo, s0
	s_and_b32 s1, s1, s8
	s_delay_alu instid0(SALU_CYCLE_1)
	s_and_saveexec_b32 s0, s1
	s_cbranch_execnz .LBB303_167
.LBB303_156:
	s_or_b32 exec_lo, exec_lo, s0
	s_and_b32 s1, s2, s8
	s_delay_alu instid0(SALU_CYCLE_1)
	s_and_saveexec_b32 s0, s1
	s_cbranch_execnz .LBB303_171
.LBB303_157:
	s_or_b32 exec_lo, exec_lo, s0
	s_and_b32 s1, s3, s8
	s_delay_alu instid0(SALU_CYCLE_1)
	s_and_saveexec_b32 s0, s1
	s_cbranch_execnz .LBB303_175
.LBB303_158:
	s_or_b32 exec_lo, exec_lo, s0
	s_and_b32 s1, s4, s8
	s_delay_alu instid0(SALU_CYCLE_1)
	s_and_saveexec_b32 s0, s1
	s_cbranch_execnz .LBB303_179
.LBB303_159:
	s_or_b32 exec_lo, exec_lo, s0
	s_and_b32 s1, s5, s8
	s_delay_alu instid0(SALU_CYCLE_1)
	s_and_saveexec_b32 s0, s1
	s_cbranch_execnz .LBB303_183
.LBB303_160:
	s_or_b32 exec_lo, exec_lo, s0
	s_and_b32 s1, s6, s8
	s_delay_alu instid0(SALU_CYCLE_1)
	s_and_saveexec_b32 s0, s1
	s_cbranch_execnz .LBB303_187
.LBB303_161:
	s_or_b32 exec_lo, exec_lo, s0
	s_and_b32 s0, s7, s8
	s_delay_alu instid0(SALU_CYCLE_1)
	s_and_saveexec_b32 s1, s0
	s_cbranch_execnz .LBB303_191
.LBB303_162:
	s_nop 0
	s_sendmsg sendmsg(MSG_DEALLOC_VGPRS)
	s_endpgm
.LBB303_163:
	v_cmp_ne_u32_e32 vcc_lo, 1, v60
	v_lshlrev_b64 v[0:1], 1, v[24:25]
	s_cbranch_vccnz .LBB303_165
; %bb.164:
	s_delay_alu instid0(VALU_DEP_1) | instskip(NEXT) | instid1(VALU_DEP_2)
	v_add_co_u32 v24, vcc_lo, v22, v0
	v_add_co_ci_u32_e32 v25, vcc_lo, v23, v1, vcc_lo
	flat_load_u16 v24, v[24:25]
	s_waitcnt vmcnt(0) lgkmcnt(0)
	v_mul_f16_e32 v24, v42, v24
	s_branch .LBB303_166
.LBB303_165:
	v_mov_b32_e32 v24, 0
.LBB303_166:
	v_pk_max_f16 v25, v2, v2
	v_pk_max_f16 v16, v16, v16
	;; [unrolled: 1-line block ×4, first 2 shown]
	v_add_co_u32 v0, vcc_lo, v20, v0
	s_delay_alu instid0(VALU_DEP_4) | instskip(SKIP_1) | instid1(VALU_DEP_4)
	v_pk_min_f16 v16, v16, v25
	v_add_co_ci_u32_e32 v1, vcc_lo, v21, v1, vcc_lo
	v_pk_min_f16 v17, v17, v40
	s_delay_alu instid0(VALU_DEP_3) | instskip(NEXT) | instid1(VALU_DEP_1)
	v_pk_add_f16 v16, v50, v16
	v_pk_add_f16 v16, v16, v17
	s_delay_alu instid0(VALU_DEP_1) | instskip(NEXT) | instid1(VALU_DEP_1)
	v_lshrrev_b32_e32 v17, 16, v16
	v_add_f16_e32 v16, v16, v17
	s_delay_alu instid0(VALU_DEP_1) | instskip(SKIP_3) | instid1(SALU_CYCLE_1)
	v_add_f16_e32 v16, v16, v24
	global_store_b16 v[0:1], v16, off
	s_or_b32 exec_lo, exec_lo, s0
	s_and_b32 s1, s1, s8
	s_and_saveexec_b32 s0, s1
	s_cbranch_execz .LBB303_156
.LBB303_167:
	v_cmp_ne_u32_e32 vcc_lo, 1, v60
	v_lshlrev_b64 v[0:1], 1, v[26:27]
	s_cbranch_vccnz .LBB303_169
; %bb.168:
	s_delay_alu instid0(VALU_DEP_1) | instskip(NEXT) | instid1(VALU_DEP_2)
	v_add_co_u32 v16, vcc_lo, v22, v0
	v_add_co_ci_u32_e32 v17, vcc_lo, v23, v1, vcc_lo
	flat_load_u16 v16, v[16:17]
	s_waitcnt vmcnt(0) lgkmcnt(0)
	v_mul_f16_e32 v16, v42, v16
	s_branch .LBB303_170
.LBB303_169:
	v_mov_b32_e32 v16, 0
.LBB303_170:
	v_pk_max_f16 v17, v2, v2
	v_pk_max_f16 v18, v18, v18
	;; [unrolled: 1-line block ×4, first 2 shown]
	v_add_co_u32 v0, vcc_lo, v20, v0
	s_delay_alu instid0(VALU_DEP_4) | instskip(SKIP_1) | instid1(VALU_DEP_4)
	v_pk_min_f16 v17, v18, v17
	v_add_co_ci_u32_e32 v1, vcc_lo, v21, v1, vcc_lo
	v_pk_min_f16 v18, v19, v24
	s_delay_alu instid0(VALU_DEP_3) | instskip(NEXT) | instid1(VALU_DEP_1)
	v_pk_add_f16 v17, v49, v17
	v_pk_add_f16 v17, v17, v18
	s_delay_alu instid0(VALU_DEP_1) | instskip(NEXT) | instid1(VALU_DEP_1)
	v_lshrrev_b32_e32 v18, 16, v17
	v_add_f16_e32 v17, v17, v18
	s_delay_alu instid0(VALU_DEP_1) | instskip(SKIP_3) | instid1(SALU_CYCLE_1)
	v_add_f16_e32 v16, v17, v16
	global_store_b16 v[0:1], v16, off
	s_or_b32 exec_lo, exec_lo, s0
	s_and_b32 s1, s2, s8
	s_and_saveexec_b32 s0, s1
	s_cbranch_execz .LBB303_157
.LBB303_171:
	v_cmp_ne_u32_e32 vcc_lo, 1, v60
	v_lshlrev_b64 v[0:1], 1, v[28:29]
	s_cbranch_vccnz .LBB303_173
; %bb.172:
	s_delay_alu instid0(VALU_DEP_1) | instskip(NEXT) | instid1(VALU_DEP_2)
	v_add_co_u32 v16, vcc_lo, v22, v0
	v_add_co_ci_u32_e32 v17, vcc_lo, v23, v1, vcc_lo
	flat_load_u16 v16, v[16:17]
	s_waitcnt vmcnt(0) lgkmcnt(0)
	v_mul_f16_e32 v16, v42, v16
	s_branch .LBB303_174
.LBB303_173:
	v_mov_b32_e32 v16, 0
.LBB303_174:
	v_pk_max_f16 v17, v2, v2
	v_pk_max_f16 v12, v12, v12
	;; [unrolled: 1-line block ×4, first 2 shown]
	v_add_co_u32 v0, vcc_lo, v20, v0
	s_delay_alu instid0(VALU_DEP_4) | instskip(SKIP_1) | instid1(VALU_DEP_4)
	v_pk_min_f16 v12, v12, v17
	v_add_co_ci_u32_e32 v1, vcc_lo, v21, v1, vcc_lo
	v_pk_min_f16 v13, v13, v18
	s_delay_alu instid0(VALU_DEP_3) | instskip(NEXT) | instid1(VALU_DEP_1)
	v_pk_add_f16 v12, v48, v12
	v_pk_add_f16 v12, v12, v13
	s_delay_alu instid0(VALU_DEP_1) | instskip(NEXT) | instid1(VALU_DEP_1)
	v_lshrrev_b32_e32 v13, 16, v12
	v_add_f16_e32 v12, v12, v13
	s_delay_alu instid0(VALU_DEP_1) | instskip(SKIP_3) | instid1(SALU_CYCLE_1)
	v_add_f16_e32 v12, v12, v16
	global_store_b16 v[0:1], v12, off
	s_or_b32 exec_lo, exec_lo, s0
	s_and_b32 s1, s3, s8
	s_and_saveexec_b32 s0, s1
	s_cbranch_execz .LBB303_158
.LBB303_175:
	v_cmp_ne_u32_e32 vcc_lo, 1, v60
	v_lshlrev_b64 v[0:1], 1, v[30:31]
	s_cbranch_vccnz .LBB303_177
; %bb.176:
	s_delay_alu instid0(VALU_DEP_1) | instskip(NEXT) | instid1(VALU_DEP_2)
	v_add_co_u32 v12, vcc_lo, v22, v0
	v_add_co_ci_u32_e32 v13, vcc_lo, v23, v1, vcc_lo
	flat_load_u16 v12, v[12:13]
	s_waitcnt vmcnt(0) lgkmcnt(0)
	v_mul_f16_e32 v12, v42, v12
	s_branch .LBB303_178
.LBB303_177:
	v_mov_b32_e32 v12, 0
.LBB303_178:
	v_pk_max_f16 v13, v2, v2
	v_pk_max_f16 v14, v14, v14
	;; [unrolled: 1-line block ×4, first 2 shown]
	v_add_co_u32 v0, vcc_lo, v20, v0
	s_delay_alu instid0(VALU_DEP_4) | instskip(SKIP_1) | instid1(VALU_DEP_4)
	v_pk_min_f16 v13, v14, v13
	v_add_co_ci_u32_e32 v1, vcc_lo, v21, v1, vcc_lo
	v_pk_min_f16 v14, v15, v16
	s_delay_alu instid0(VALU_DEP_3) | instskip(NEXT) | instid1(VALU_DEP_1)
	v_pk_add_f16 v13, v47, v13
	v_pk_add_f16 v13, v13, v14
	s_delay_alu instid0(VALU_DEP_1) | instskip(NEXT) | instid1(VALU_DEP_1)
	v_lshrrev_b32_e32 v14, 16, v13
	v_add_f16_e32 v13, v13, v14
	s_delay_alu instid0(VALU_DEP_1) | instskip(SKIP_3) | instid1(SALU_CYCLE_1)
	v_add_f16_e32 v12, v13, v12
	global_store_b16 v[0:1], v12, off
	s_or_b32 exec_lo, exec_lo, s0
	s_and_b32 s1, s4, s8
	s_and_saveexec_b32 s0, s1
	s_cbranch_execz .LBB303_159
.LBB303_179:
	v_cmp_ne_u32_e32 vcc_lo, 1, v60
	v_lshlrev_b64 v[0:1], 1, v[32:33]
	s_cbranch_vccnz .LBB303_181
; %bb.180:
	s_delay_alu instid0(VALU_DEP_1) | instskip(NEXT) | instid1(VALU_DEP_2)
	v_add_co_u32 v12, vcc_lo, v22, v0
	v_add_co_ci_u32_e32 v13, vcc_lo, v23, v1, vcc_lo
	flat_load_u16 v12, v[12:13]
	s_waitcnt vmcnt(0) lgkmcnt(0)
	v_mul_f16_e32 v12, v42, v12
	s_branch .LBB303_182
.LBB303_181:
	v_mov_b32_e32 v12, 0
.LBB303_182:
	v_pk_max_f16 v13, v2, v2
	v_pk_max_f16 v8, v8, v8
	;; [unrolled: 1-line block ×4, first 2 shown]
	v_add_co_u32 v0, vcc_lo, v20, v0
	s_delay_alu instid0(VALU_DEP_4) | instskip(SKIP_1) | instid1(VALU_DEP_4)
	v_pk_min_f16 v8, v8, v13
	v_add_co_ci_u32_e32 v1, vcc_lo, v21, v1, vcc_lo
	v_pk_min_f16 v9, v9, v14
	s_delay_alu instid0(VALU_DEP_3) | instskip(NEXT) | instid1(VALU_DEP_1)
	v_pk_add_f16 v8, v46, v8
	v_pk_add_f16 v8, v8, v9
	s_delay_alu instid0(VALU_DEP_1) | instskip(NEXT) | instid1(VALU_DEP_1)
	v_lshrrev_b32_e32 v9, 16, v8
	v_add_f16_e32 v8, v8, v9
	s_delay_alu instid0(VALU_DEP_1) | instskip(SKIP_3) | instid1(SALU_CYCLE_1)
	v_add_f16_e32 v8, v8, v12
	global_store_b16 v[0:1], v8, off
	s_or_b32 exec_lo, exec_lo, s0
	s_and_b32 s1, s5, s8
	s_and_saveexec_b32 s0, s1
	s_cbranch_execz .LBB303_160
.LBB303_183:
	v_cmp_ne_u32_e32 vcc_lo, 1, v60
	v_lshlrev_b64 v[0:1], 1, v[34:35]
	s_cbranch_vccnz .LBB303_185
; %bb.184:
	s_delay_alu instid0(VALU_DEP_1) | instskip(NEXT) | instid1(VALU_DEP_2)
	v_add_co_u32 v8, vcc_lo, v22, v0
	v_add_co_ci_u32_e32 v9, vcc_lo, v23, v1, vcc_lo
	flat_load_u16 v8, v[8:9]
	s_waitcnt vmcnt(0) lgkmcnt(0)
	v_mul_f16_e32 v8, v42, v8
	s_branch .LBB303_186
.LBB303_185:
	v_mov_b32_e32 v8, 0
.LBB303_186:
	v_pk_max_f16 v9, v2, v2
	v_pk_max_f16 v10, v10, v10
	v_pk_max_f16 v12, v3, v3
	v_pk_max_f16 v11, v11, v11
	v_add_co_u32 v0, vcc_lo, v20, v0
	s_delay_alu instid0(VALU_DEP_4) | instskip(SKIP_1) | instid1(VALU_DEP_4)
	v_pk_min_f16 v9, v10, v9
	v_add_co_ci_u32_e32 v1, vcc_lo, v21, v1, vcc_lo
	v_pk_min_f16 v10, v11, v12
	s_delay_alu instid0(VALU_DEP_3) | instskip(NEXT) | instid1(VALU_DEP_1)
	v_pk_add_f16 v9, v45, v9
	v_pk_add_f16 v9, v9, v10
	s_delay_alu instid0(VALU_DEP_1) | instskip(NEXT) | instid1(VALU_DEP_1)
	v_lshrrev_b32_e32 v10, 16, v9
	v_add_f16_e32 v9, v9, v10
	s_delay_alu instid0(VALU_DEP_1) | instskip(SKIP_3) | instid1(SALU_CYCLE_1)
	v_add_f16_e32 v8, v9, v8
	global_store_b16 v[0:1], v8, off
	s_or_b32 exec_lo, exec_lo, s0
	s_and_b32 s1, s6, s8
	s_and_saveexec_b32 s0, s1
	s_cbranch_execz .LBB303_161
.LBB303_187:
	v_cmp_ne_u32_e32 vcc_lo, 1, v60
	v_lshlrev_b64 v[0:1], 1, v[36:37]
	s_cbranch_vccnz .LBB303_189
; %bb.188:
	s_delay_alu instid0(VALU_DEP_1) | instskip(NEXT) | instid1(VALU_DEP_2)
	v_add_co_u32 v8, vcc_lo, v22, v0
	v_add_co_ci_u32_e32 v9, vcc_lo, v23, v1, vcc_lo
	flat_load_u16 v8, v[8:9]
	s_waitcnt vmcnt(0) lgkmcnt(0)
	v_mul_f16_e32 v8, v42, v8
	s_branch .LBB303_190
.LBB303_189:
	v_mov_b32_e32 v8, 0
.LBB303_190:
	v_pk_max_f16 v9, v2, v2
	v_pk_max_f16 v4, v4, v4
	;; [unrolled: 1-line block ×4, first 2 shown]
	v_add_co_u32 v0, vcc_lo, v20, v0
	s_delay_alu instid0(VALU_DEP_4) | instskip(SKIP_1) | instid1(VALU_DEP_4)
	v_pk_min_f16 v4, v4, v9
	v_add_co_ci_u32_e32 v1, vcc_lo, v21, v1, vcc_lo
	v_pk_min_f16 v5, v5, v10
	s_delay_alu instid0(VALU_DEP_3) | instskip(NEXT) | instid1(VALU_DEP_1)
	v_pk_add_f16 v4, v44, v4
	v_pk_add_f16 v4, v4, v5
	s_delay_alu instid0(VALU_DEP_1) | instskip(NEXT) | instid1(VALU_DEP_1)
	v_lshrrev_b32_e32 v5, 16, v4
	v_add_f16_e32 v4, v4, v5
	s_delay_alu instid0(VALU_DEP_1) | instskip(SKIP_3) | instid1(SALU_CYCLE_1)
	v_add_f16_e32 v4, v4, v8
	global_store_b16 v[0:1], v4, off
	s_or_b32 exec_lo, exec_lo, s0
	s_and_b32 s0, s7, s8
	s_and_saveexec_b32 s1, s0
	s_cbranch_execz .LBB303_162
.LBB303_191:
	v_cmp_ne_u32_e32 vcc_lo, 1, v60
	v_lshlrev_b64 v[0:1], 1, v[38:39]
	s_cbranch_vccnz .LBB303_193
; %bb.192:
	s_delay_alu instid0(VALU_DEP_1) | instskip(NEXT) | instid1(VALU_DEP_2)
	v_add_co_u32 v4, vcc_lo, v22, v0
	v_add_co_ci_u32_e32 v5, vcc_lo, v23, v1, vcc_lo
	flat_load_u16 v4, v[4:5]
	s_waitcnt vmcnt(0) lgkmcnt(0)
	v_mul_f16_e32 v4, v42, v4
	s_branch .LBB303_194
.LBB303_193:
	v_mov_b32_e32 v4, 0
.LBB303_194:
	v_pk_max_f16 v2, v2, v2
	v_pk_max_f16 v5, v6, v6
	;; [unrolled: 1-line block ×4, first 2 shown]
	v_add_co_u32 v0, vcc_lo, v20, v0
	s_delay_alu instid0(VALU_DEP_4) | instskip(SKIP_1) | instid1(VALU_DEP_4)
	v_pk_min_f16 v2, v5, v2
	v_add_co_ci_u32_e32 v1, vcc_lo, v21, v1, vcc_lo
	v_pk_min_f16 v3, v6, v3
	s_delay_alu instid0(VALU_DEP_3) | instskip(NEXT) | instid1(VALU_DEP_1)
	v_pk_add_f16 v2, v43, v2
	v_pk_add_f16 v2, v2, v3
	s_delay_alu instid0(VALU_DEP_1) | instskip(NEXT) | instid1(VALU_DEP_1)
	v_lshrrev_b32_e32 v3, 16, v2
	v_add_f16_e32 v2, v2, v3
	s_delay_alu instid0(VALU_DEP_1)
	v_add_f16_e32 v2, v2, v4
	global_store_b16 v[0:1], v2, off
	s_nop 0
	s_sendmsg sendmsg(MSG_DEALLOC_VGPRS)
	s_endpgm
	.section	.rodata,"a",@progbits
	.p2align	6, 0x0
	.amdhsa_kernel _ZN12_GLOBAL__N_120geam_min_plus_kernelIDF16_Dv2_DF16_S1_Li8ELi32ELi64ELi128ELi4ELi4ELi64ELi64ELi4ELc84ELc84ELb0ELb1ELb0EPKDF16_S2_DF16_EEviiiT16_PT17_ilS6_ilS4_S6_ilPT18_ili26rocblas_geam_ex_operation_
		.amdhsa_group_segment_fixed_size 3072
		.amdhsa_private_segment_fixed_size 0
		.amdhsa_kernarg_size 136
		.amdhsa_user_sgpr_count 14
		.amdhsa_user_sgpr_dispatch_ptr 0
		.amdhsa_user_sgpr_queue_ptr 0
		.amdhsa_user_sgpr_kernarg_segment_ptr 1
		.amdhsa_user_sgpr_dispatch_id 0
		.amdhsa_user_sgpr_private_segment_size 0
		.amdhsa_wavefront_size32 1
		.amdhsa_uses_dynamic_stack 0
		.amdhsa_enable_private_segment 0
		.amdhsa_system_sgpr_workgroup_id_x 1
		.amdhsa_system_sgpr_workgroup_id_y 0
		.amdhsa_system_sgpr_workgroup_id_z 1
		.amdhsa_system_sgpr_workgroup_info 0
		.amdhsa_system_vgpr_workitem_id 1
		.amdhsa_next_free_vgpr 122
		.amdhsa_next_free_sgpr 27
		.amdhsa_reserve_vcc 1
		.amdhsa_float_round_mode_32 0
		.amdhsa_float_round_mode_16_64 0
		.amdhsa_float_denorm_mode_32 3
		.amdhsa_float_denorm_mode_16_64 3
		.amdhsa_dx10_clamp 1
		.amdhsa_ieee_mode 1
		.amdhsa_fp16_overflow 0
		.amdhsa_workgroup_processor_mode 1
		.amdhsa_memory_ordered 1
		.amdhsa_forward_progress 0
		.amdhsa_shared_vgpr_count 0
		.amdhsa_exception_fp_ieee_invalid_op 0
		.amdhsa_exception_fp_denorm_src 0
		.amdhsa_exception_fp_ieee_div_zero 0
		.amdhsa_exception_fp_ieee_overflow 0
		.amdhsa_exception_fp_ieee_underflow 0
		.amdhsa_exception_fp_ieee_inexact 0
		.amdhsa_exception_int_div_zero 0
	.end_amdhsa_kernel
	.section	.text._ZN12_GLOBAL__N_120geam_min_plus_kernelIDF16_Dv2_DF16_S1_Li8ELi32ELi64ELi128ELi4ELi4ELi64ELi64ELi4ELc84ELc84ELb0ELb1ELb0EPKDF16_S2_DF16_EEviiiT16_PT17_ilS6_ilS4_S6_ilPT18_ili26rocblas_geam_ex_operation_,"axG",@progbits,_ZN12_GLOBAL__N_120geam_min_plus_kernelIDF16_Dv2_DF16_S1_Li8ELi32ELi64ELi128ELi4ELi4ELi64ELi64ELi4ELc84ELc84ELb0ELb1ELb0EPKDF16_S2_DF16_EEviiiT16_PT17_ilS6_ilS4_S6_ilPT18_ili26rocblas_geam_ex_operation_,comdat
.Lfunc_end303:
	.size	_ZN12_GLOBAL__N_120geam_min_plus_kernelIDF16_Dv2_DF16_S1_Li8ELi32ELi64ELi128ELi4ELi4ELi64ELi64ELi4ELc84ELc84ELb0ELb1ELb0EPKDF16_S2_DF16_EEviiiT16_PT17_ilS6_ilS4_S6_ilPT18_ili26rocblas_geam_ex_operation_, .Lfunc_end303-_ZN12_GLOBAL__N_120geam_min_plus_kernelIDF16_Dv2_DF16_S1_Li8ELi32ELi64ELi128ELi4ELi4ELi64ELi64ELi4ELc84ELc84ELb0ELb1ELb0EPKDF16_S2_DF16_EEviiiT16_PT17_ilS6_ilS4_S6_ilPT18_ili26rocblas_geam_ex_operation_
                                        ; -- End function
	.section	.AMDGPU.csdata,"",@progbits
; Kernel info:
; codeLenInByte = 12976
; NumSgprs: 29
; NumVgprs: 122
; ScratchSize: 0
; MemoryBound: 0
; FloatMode: 240
; IeeeMode: 1
; LDSByteSize: 3072 bytes/workgroup (compile time only)
; SGPRBlocks: 3
; VGPRBlocks: 15
; NumSGPRsForWavesPerEU: 29
; NumVGPRsForWavesPerEU: 122
; Occupancy: 10
; WaveLimiterHint : 0
; COMPUTE_PGM_RSRC2:SCRATCH_EN: 0
; COMPUTE_PGM_RSRC2:USER_SGPR: 14
; COMPUTE_PGM_RSRC2:TRAP_HANDLER: 0
; COMPUTE_PGM_RSRC2:TGID_X_EN: 1
; COMPUTE_PGM_RSRC2:TGID_Y_EN: 0
; COMPUTE_PGM_RSRC2:TGID_Z_EN: 1
; COMPUTE_PGM_RSRC2:TIDIG_COMP_CNT: 1
	.section	.text._ZN12_GLOBAL__N_120geam_min_plus_kernelIDF16_Dv2_DF16_S1_Li8ELi32ELi64ELi128ELi4ELi4ELi64ELi64ELi4ELc84ELc84ELb1ELb1ELb0EDF16_KDF16_DF16_EEviiiT16_PT17_ilS5_ilS3_S5_ilPT18_ili26rocblas_geam_ex_operation_,"axG",@progbits,_ZN12_GLOBAL__N_120geam_min_plus_kernelIDF16_Dv2_DF16_S1_Li8ELi32ELi64ELi128ELi4ELi4ELi64ELi64ELi4ELc84ELc84ELb1ELb1ELb0EDF16_KDF16_DF16_EEviiiT16_PT17_ilS5_ilS3_S5_ilPT18_ili26rocblas_geam_ex_operation_,comdat
	.globl	_ZN12_GLOBAL__N_120geam_min_plus_kernelIDF16_Dv2_DF16_S1_Li8ELi32ELi64ELi128ELi4ELi4ELi64ELi64ELi4ELc84ELc84ELb1ELb1ELb0EDF16_KDF16_DF16_EEviiiT16_PT17_ilS5_ilS3_S5_ilPT18_ili26rocblas_geam_ex_operation_ ; -- Begin function _ZN12_GLOBAL__N_120geam_min_plus_kernelIDF16_Dv2_DF16_S1_Li8ELi32ELi64ELi128ELi4ELi4ELi64ELi64ELi4ELc84ELc84ELb1ELb1ELb0EDF16_KDF16_DF16_EEviiiT16_PT17_ilS5_ilS3_S5_ilPT18_ili26rocblas_geam_ex_operation_
	.p2align	8
	.type	_ZN12_GLOBAL__N_120geam_min_plus_kernelIDF16_Dv2_DF16_S1_Li8ELi32ELi64ELi128ELi4ELi4ELi64ELi64ELi4ELc84ELc84ELb1ELb1ELb0EDF16_KDF16_DF16_EEviiiT16_PT17_ilS5_ilS3_S5_ilPT18_ili26rocblas_geam_ex_operation_,@function
_ZN12_GLOBAL__N_120geam_min_plus_kernelIDF16_Dv2_DF16_S1_Li8ELi32ELi64ELi128ELi4ELi4ELi64ELi64ELi4ELc84ELc84ELb1ELb1ELb0EDF16_KDF16_DF16_EEviiiT16_PT17_ilS5_ilS3_S5_ilPT18_ili26rocblas_geam_ex_operation_: ; @_ZN12_GLOBAL__N_120geam_min_plus_kernelIDF16_Dv2_DF16_S1_Li8ELi32ELi64ELi128ELi4ELi4ELi64ELi64ELi4ELc84ELc84ELb1ELb1ELb0EDF16_KDF16_DF16_EEviiiT16_PT17_ilS5_ilS3_S5_ilPT18_ili26rocblas_geam_ex_operation_
; %bb.0:
	s_clause 0x1
	s_load_b128 s[16:19], s[0:1], 0x0
	s_load_b128 s[4:7], s[0:1], 0x20
	s_waitcnt lgkmcnt(0)
	v_cmp_eq_f16_e64 s2, s19, 0
	s_delay_alu instid0(VALU_DEP_1)
	s_and_b32 vcc_lo, exec_lo, s2
	s_cbranch_vccnz .LBB304_3
; %bb.1:
	s_load_b64 s[8:9], s[0:1], 0x10
	s_mul_i32 s3, s15, s5
	s_mul_hi_u32 s5, s15, s4
	s_mul_i32 s4, s15, s4
	s_add_i32 s5, s5, s3
	s_delay_alu instid0(SALU_CYCLE_1)
	s_lshl_b64 s[4:5], s[4:5], 1
	s_waitcnt lgkmcnt(0)
	s_add_u32 s8, s8, s4
	s_addc_u32 s9, s9, s5
	s_and_not1_b32 vcc_lo, exec_lo, s2
	s_cbranch_vccnz .LBB304_4
.LBB304_2:
	s_mov_b32 s23, 0
	s_mov_b64 s[12:13], 0
	s_cbranch_execz .LBB304_5
	s_branch .LBB304_6
.LBB304_3:
	s_mov_b64 s[8:9], 0
	s_and_not1_b32 vcc_lo, exec_lo, s2
	s_cbranch_vccz .LBB304_2
.LBB304_4:
	s_mov_b32 s23, -1
                                        ; implicit-def: $sgpr12_sgpr13
.LBB304_5:
	s_load_b64 s[2:3], s[0:1], 0x38
	s_mov_b32 s23, 0
	s_waitcnt lgkmcnt(0)
	s_mul_i32 s3, s15, s3
	s_mul_hi_u32 s4, s15, s2
	s_mul_i32 s2, s15, s2
	s_add_i32 s3, s4, s3
	s_delay_alu instid0(SALU_CYCLE_1) | instskip(NEXT) | instid1(SALU_CYCLE_1)
	s_lshl_b64 s[2:3], s[2:3], 1
	s_add_u32 s12, s6, s2
	s_addc_u32 s13, s7, s3
.LBB304_6:
	s_clause 0x1
	s_load_b32 s19, s[0:1], 0x40
	s_load_b128 s[4:7], s[0:1], 0x58
	s_waitcnt lgkmcnt(0)
	v_cmp_eq_f16_e64 s2, s19, 0
	v_cmp_neq_f16_e64 s22, s19, 0
	s_delay_alu instid0(VALU_DEP_2)
	s_and_b32 vcc_lo, exec_lo, s2
	s_cbranch_vccnz .LBB304_8
; %bb.7:
	s_load_b64 s[2:3], s[0:1], 0x48
	s_mul_i32 s5, s15, s5
	s_mul_hi_u32 s10, s15, s4
	s_delay_alu instid0(SALU_CYCLE_1) | instskip(SKIP_3) | instid1(SALU_CYCLE_1)
	s_add_i32 s5, s10, s5
	s_mul_i32 s10, s23, s4
	s_mul_i32 s4, s15, s4
	s_add_i32 s5, s5, s10
	s_lshl_b64 s[4:5], s[4:5], 1
	s_waitcnt lgkmcnt(0)
	s_add_u32 s10, s2, s4
	s_addc_u32 s11, s3, s5
	s_branch .LBB304_9
.LBB304_8:
	s_mov_b64 s[10:11], 0
.LBB304_9:
	s_add_i32 s2, s16, -1
	v_dual_mov_b32 v9, 0 :: v_dual_and_b32 v30, 0x3ff, v0
	s_ashr_i32 s3, s2, 31
	v_bfe_u32 v31, v0, 10, 10
	s_lshr_b32 s3, s3, 26
	s_load_b32 s26, s[0:1], 0x18
	s_add_i32 s2, s2, s3
	v_and_b32_e32 v32, 3, v30
	s_ashr_i32 s2, s2, 6
	v_lshl_add_u32 v0, v31, 3, v30
	s_add_i32 s4, s2, 1
	s_not_b32 s2, s2
	v_cvt_f32_u32_e32 v1, s4
	v_lshlrev_b32_e32 v2, 1, v32
	v_lshrrev_b32_e32 v7, 2, v0
	v_mov_b32_e32 v8, 0
	s_delay_alu instid0(VALU_DEP_4) | instskip(SKIP_2) | instid1(VALU_DEP_1)
	v_rcp_iflag_f32_e32 v1, v1
	s_waitcnt_depctr 0xfff
	v_mul_f32_e32 v1, 0x4f7ffffe, v1
	v_cvt_u32_f32_e32 v1, v1
	s_delay_alu instid0(VALU_DEP_1) | instskip(NEXT) | instid1(VALU_DEP_1)
	v_readfirstlane_b32 s3, v1
	s_mul_i32 s2, s2, s3
	s_delay_alu instid0(SALU_CYCLE_1) | instskip(NEXT) | instid1(SALU_CYCLE_1)
	s_mul_hi_u32 s2, s3, s2
	s_add_i32 s3, s3, s2
	s_delay_alu instid0(SALU_CYCLE_1) | instskip(NEXT) | instid1(SALU_CYCLE_1)
	s_mul_hi_u32 s2, s14, s3
	s_mul_i32 s3, s2, s4
	s_add_i32 s5, s2, 1
	s_sub_i32 s3, s14, s3
	s_delay_alu instid0(SALU_CYCLE_1)
	s_sub_i32 s20, s3, s4
	s_cmp_ge_u32 s3, s4
	s_cselect_b32 s2, s5, s2
	s_cselect_b32 s3, s20, s3
	s_add_i32 s5, s2, 1
	s_cmp_ge_u32 s3, s4
	s_cselect_b32 s3, s5, s2
	s_delay_alu instid0(SALU_CYCLE_1) | instskip(NEXT) | instid1(SALU_CYCLE_1)
	s_mul_i32 s2, s3, s4
	s_sub_i32 s2, s14, s2
	s_delay_alu instid0(SALU_CYCLE_1) | instskip(SKIP_2) | instid1(VALU_DEP_1)
	s_lshl_b32 s5, s2, 6
	v_cmp_gt_i32_e64 s2, s18, v32
	v_add_nc_u32_e32 v3, s5, v7
	v_cmp_le_i32_e32 vcc_lo, s16, v3
	s_xor_b32 s24, vcc_lo, -1
	s_delay_alu instid0(VALU_DEP_3) | instid1(SALU_CYCLE_1)
	s_and_b32 s4, s2, s24
	s_delay_alu instid0(SALU_CYCLE_1)
	s_and_saveexec_b32 s2, s4
	s_cbranch_execz .LBB304_11
; %bb.10:
	s_waitcnt lgkmcnt(0)
	v_mad_i64_i32 v[4:5], null, v3, s26, 0
	s_delay_alu instid0(VALU_DEP_1) | instskip(NEXT) | instid1(VALU_DEP_1)
	v_lshlrev_b64 v[4:5], 1, v[4:5]
	v_add_co_u32 v1, vcc_lo, s8, v4
	s_delay_alu instid0(VALU_DEP_2) | instskip(NEXT) | instid1(VALU_DEP_2)
	v_add_co_ci_u32_e32 v5, vcc_lo, s9, v5, vcc_lo
	v_add_co_u32 v4, vcc_lo, v1, v2
	s_delay_alu instid0(VALU_DEP_2)
	v_add_co_ci_u32_e32 v5, vcc_lo, 0, v5, vcc_lo
	flat_load_u16 v9, v[4:5]
.LBB304_11:
	s_or_b32 exec_lo, exec_lo, s2
	s_load_b32 s20, s[0:1], 0x30
	v_lshrrev_b32_e32 v33, 6, v0
	v_and_b32_e32 v10, 63, v0
	s_lshl_b32 s14, s3, 7
	s_delay_alu instid0(VALU_DEP_2) | instskip(NEXT) | instid1(VALU_DEP_2)
	v_cmp_le_i32_e64 s3, s18, v33
	v_or_b32_e32 v0, s14, v10
	s_delay_alu instid0(VALU_DEP_1) | instskip(SKIP_4) | instid1(VALU_DEP_1)
	v_cmp_le_i32_e32 vcc_lo, s17, v0
	v_ashrrev_i32_e32 v1, 31, v0
	s_waitcnt lgkmcnt(0)
	v_mad_i64_i32 v[4:5], null, s20, v33, 0
	s_ashr_i32 s21, s20, 31
	v_lshlrev_b64 v[5:6], 1, v[4:5]
	s_delay_alu instid0(VALU_DEP_1) | instskip(NEXT) | instid1(VALU_DEP_1)
	v_add_co_u32 v5, s2, s12, v5
	v_add_co_ci_u32_e64 v6, s2, s13, v6, s2
	s_or_b32 s2, vcc_lo, s3
	s_delay_alu instid0(SALU_CYCLE_1) | instskip(NEXT) | instid1(SALU_CYCLE_1)
	s_xor_b32 s2, s2, -1
	s_and_saveexec_b32 s4, s2
	s_cbranch_execz .LBB304_13
; %bb.12:
	v_lshlrev_b64 v[11:12], 1, v[0:1]
	s_delay_alu instid0(VALU_DEP_1) | instskip(NEXT) | instid1(VALU_DEP_1)
	v_add_co_u32 v11, s2, v5, v11
	v_add_co_ci_u32_e64 v12, s2, v6, v12, s2
	flat_load_u16 v8, v[11:12]
.LBB304_13:
	s_or_b32 exec_lo, exec_lo, s4
	v_or_b32_e32 v4, 64, v0
	v_mov_b32_e32 v11, 0
	s_delay_alu instid0(VALU_DEP_2) | instskip(SKIP_1) | instid1(VALU_DEP_2)
	v_cmp_le_i32_e64 s2, s17, v4
	v_mov_b32_e32 v4, 0
	s_or_b32 s3, s2, s3
	s_delay_alu instid0(SALU_CYCLE_1) | instskip(NEXT) | instid1(SALU_CYCLE_1)
	s_xor_b32 s3, s3, -1
	s_and_saveexec_b32 s4, s3
	s_cbranch_execz .LBB304_15
; %bb.14:
	v_lshlrev_b64 v[11:12], 1, v[0:1]
	s_delay_alu instid0(VALU_DEP_1) | instskip(NEXT) | instid1(VALU_DEP_1)
	v_add_co_u32 v5, s3, v5, v11
	v_add_co_ci_u32_e64 v6, s3, v6, v12, s3
	flat_load_u16 v11, v[5:6] offset:128
.LBB304_15:
	s_or_b32 exec_lo, exec_lo, s4
	v_or_b32_e32 v5, 4, v32
	s_delay_alu instid0(VALU_DEP_1) | instskip(NEXT) | instid1(VALU_DEP_1)
	v_cmp_gt_i32_e64 s3, s18, v5
	s_and_b32 s3, s3, s24
	s_delay_alu instid0(SALU_CYCLE_1)
	s_and_saveexec_b32 s4, s3
	s_cbranch_execz .LBB304_17
; %bb.16:
	v_mad_i64_i32 v[4:5], null, v3, s26, 0
	s_delay_alu instid0(VALU_DEP_1) | instskip(NEXT) | instid1(VALU_DEP_1)
	v_lshlrev_b64 v[4:5], 1, v[4:5]
	v_add_co_u32 v4, s3, s8, v4
	s_delay_alu instid0(VALU_DEP_1) | instskip(NEXT) | instid1(VALU_DEP_2)
	v_add_co_ci_u32_e64 v5, s3, s9, v5, s3
	v_add_co_u32 v4, s3, v4, v2
	s_delay_alu instid0(VALU_DEP_1)
	v_add_co_ci_u32_e64 v5, s3, 0, v5, s3
	flat_load_u16 v4, v[4:5] offset:8
.LBB304_17:
	s_or_b32 exec_lo, exec_lo, s4
	v_add_nc_u32_e32 v14, 4, v33
	s_delay_alu instid0(VALU_DEP_1) | instskip(NEXT) | instid1(VALU_DEP_1)
	v_mad_i64_i32 v[5:6], null, s20, v14, 0
	v_lshlrev_b64 v[12:13], 1, v[5:6]
	v_mov_b32_e32 v5, 0
	v_cmp_le_i32_e64 s3, s18, v14
	v_mov_b32_e32 v6, 0
	s_delay_alu instid0(VALU_DEP_4) | instskip(NEXT) | instid1(VALU_DEP_1)
	v_add_co_u32 v12, s4, s12, v12
	v_add_co_ci_u32_e64 v13, s4, s13, v13, s4
	s_delay_alu instid0(VALU_DEP_4) | instskip(NEXT) | instid1(SALU_CYCLE_1)
	s_or_b32 s4, vcc_lo, s3
	s_xor_b32 s4, s4, -1
	s_delay_alu instid0(SALU_CYCLE_1)
	s_and_saveexec_b32 s25, s4
	s_cbranch_execz .LBB304_19
; %bb.18:
	v_lshlrev_b64 v[14:15], 1, v[0:1]
	s_delay_alu instid0(VALU_DEP_1) | instskip(NEXT) | instid1(VALU_DEP_1)
	v_add_co_u32 v14, s4, v12, v14
	v_add_co_ci_u32_e64 v15, s4, v13, v15, s4
	flat_load_u16 v6, v[14:15]
.LBB304_19:
	s_or_b32 exec_lo, exec_lo, s25
	s_or_b32 s3, s2, s3
	s_delay_alu instid0(SALU_CYCLE_1) | instskip(NEXT) | instid1(SALU_CYCLE_1)
	s_xor_b32 s3, s3, -1
	s_and_saveexec_b32 s4, s3
	s_cbranch_execz .LBB304_21
; %bb.20:
	v_lshlrev_b64 v[14:15], 1, v[0:1]
	s_delay_alu instid0(VALU_DEP_1) | instskip(NEXT) | instid1(VALU_DEP_1)
	v_add_co_u32 v12, s3, v12, v14
	v_add_co_ci_u32_e64 v13, s3, v13, v15, s3
	flat_load_u16 v5, v[12:13] offset:128
.LBB304_21:
	s_or_b32 exec_lo, exec_lo, s4
	v_lshlrev_b32_e32 v12, 1, v33
	v_lshlrev_b32_e32 v35, 3, v30
	;; [unrolled: 1-line block ×3, first 2 shown]
	v_lshl_or_b32 v7, v7, 3, v2
	s_mov_b32 s25, 0
	v_lshl_add_u32 v36, v10, 3, v12
	v_add_nc_u32_e32 v28, 0x800, v35
	s_cmp_lt_i32 s18, 9
	s_waitcnt vmcnt(0) lgkmcnt(0)
	ds_store_b16 v36, v8
	ds_store_b16 v7, v9 offset:2048
	ds_store_b16 v36, v11 offset:512
	s_waitcnt lgkmcnt(0)
	s_barrier
	buffer_gl0_inv
	ds_load_2addr_b64 v[8:11], v34 offset1:32
	ds_load_2addr_b64 v[12:15], v28 offset0:48 offset1:56
	ds_load_2addr_b64 v[16:19], v34 offset0:64 offset1:96
	ds_load_2addr_b64 v[20:23], v28 offset1:8
	ds_load_2addr_b64 v[24:27], v28 offset0:16 offset1:24
	ds_load_2addr_b64 v[37:40], v28 offset0:32 offset1:40
	ds_store_b16 v36, v6 offset:1024
	ds_store_b16 v7, v4 offset:2560
	;; [unrolled: 1-line block ×3, first 2 shown]
	s_waitcnt lgkmcnt(0)
	s_barrier
	buffer_gl0_inv
	v_pk_max_f16 v8, v8, v8
	v_pk_max_f16 v10, v10, v10
	;; [unrolled: 1-line block ×8, first 2 shown]
	v_pk_min_f16 v48, v24, v8
	v_pk_min_f16 v49, v24, v10
	;; [unrolled: 1-line block ×3, first 2 shown]
	v_pk_max_f16 v20, v20, v20
	v_pk_max_f16 v22, v22, v22
	v_pk_add_f16 v51, v48, 0
	v_pk_min_f16 v48, v26, v8
	v_pk_add_f16 v52, v49, 0
	v_pk_min_f16 v49, v26, v10
	v_pk_min_f16 v28, v14, v8
	v_pk_add_f16 v53, v50, 0
	v_pk_add_f16 v54, v48, 0
	v_pk_min_f16 v48, v37, v8
	v_pk_min_f16 v50, v26, v16
	v_pk_add_f16 v59, v49, 0
	v_pk_min_f16 v49, v37, v10
	v_pk_max_f16 v39, v39, v39
	v_pk_add_f16 v61, v48, 0
	v_pk_min_f16 v48, v37, v16
	v_pk_min_f16 v37, v37, v18
	v_pk_max_f16 v12, v12, v12
	v_pk_max_f16 v9, v9, v9
	;; [unrolled: 1-line block ×3, first 2 shown]
	v_pk_min_f16 v29, v14, v10
	v_pk_min_f16 v41, v14, v16
	;; [unrolled: 1-line block ×7, first 2 shown]
	v_pk_add_f16 v28, v28, 0
	v_pk_min_f16 v46, v22, v10
	v_pk_min_f16 v47, v22, v16
	;; [unrolled: 1-line block ×5, first 2 shown]
	v_pk_add_f16 v60, v50, 0
	v_pk_add_f16 v62, v49, 0
	v_pk_min_f16 v49, v39, v8
	v_pk_min_f16 v50, v39, v10
	v_pk_add_f16 v71, v37, 0
	v_pk_min_f16 v37, v39, v16
	v_pk_min_f16 v39, v39, v18
	;; [unrolled: 1-line block ×6, first 2 shown]
	v_pk_max_f16 v11, v11, v11
	v_pk_min_f16 v14, v14, v18
	v_pk_min_f16 v18, v15, v9
	v_pk_add_f16 v29, v29, 0
	v_pk_add_f16 v74, v37, 0
	v_pk_max_f16 v17, v17, v17
	v_pk_min_f16 v37, v15, v11
	v_pk_max_f16 v21, v21, v21
	v_pk_add_f16 v68, v28, v18
	v_pk_max_f16 v18, v19, v19
	v_pk_add_f16 v42, v42, 0
	v_pk_add_f16 v20, v20, 0
	;; [unrolled: 1-line block ×3, first 2 shown]
	v_pk_min_f16 v19, v21, v9
	v_pk_min_f16 v28, v21, v11
	;; [unrolled: 1-line block ×4, first 2 shown]
	v_pk_max_f16 v23, v23, v23
	v_pk_add_f16 v45, v45, 0
	v_pk_add_f16 v46, v46, 0
	;; [unrolled: 1-line block ×7, first 2 shown]
	v_pk_min_f16 v19, v23, v9
	v_pk_min_f16 v20, v23, v11
	;; [unrolled: 1-line block ×4, first 2 shown]
	v_pk_max_f16 v25, v25, v25
	v_pk_add_f16 v41, v41, 0
	v_pk_add_f16 v24, v24, 0
	v_pk_add_f16 v66, v48, 0
	v_pk_add_f16 v75, v39, 0
	v_pk_min_f16 v39, v15, v17
	v_pk_add_f16 v69, v45, v19
	v_pk_add_f16 v65, v46, v20
	;; [unrolled: 1-line block ×4, first 2 shown]
	v_pk_min_f16 v19, v25, v9
	v_pk_min_f16 v20, v25, v11
	;; [unrolled: 1-line block ×4, first 2 shown]
	v_pk_max_f16 v23, v27, v27
	v_pk_add_f16 v26, v26, 0
	v_pk_add_f16 v73, v50, 0
	;; [unrolled: 1-line block ×7, first 2 shown]
	v_pk_min_f16 v19, v23, v9
	v_pk_min_f16 v20, v23, v11
	;; [unrolled: 1-line block ×4, first 2 shown]
	v_pk_max_f16 v23, v38, v38
	v_pk_add_f16 v39, v54, v19
	v_pk_add_f16 v63, v59, v20
	;; [unrolled: 1-line block ×4, first 2 shown]
	v_pk_min_f16 v19, v23, v9
	v_pk_min_f16 v20, v23, v11
	;; [unrolled: 1-line block ×4, first 2 shown]
	v_pk_max_f16 v23, v40, v40
	v_pk_max_f16 v13, v13, v13
	v_pk_add_f16 v43, v43, 0
	v_pk_add_f16 v44, v44, 0
	;; [unrolled: 1-line block ×11, first 2 shown]
	v_pk_min_f16 v19, v23, v9
	v_pk_min_f16 v20, v23, v11
	;; [unrolled: 1-line block ×9, first 2 shown]
	v_pk_add_f16 v67, v43, v28
	v_pk_add_f16 v57, v44, v29
	;; [unrolled: 1-line block ×11, first 2 shown]
	s_cbranch_scc1 .LBB304_36
; %bb.22:
	v_mad_i64_i32 v[4:5], null, s26, v3, 0
	v_add_nc_u32_e32 v6, 8, v33
	v_lshlrev_b64 v[0:1], 1, v[0:1]
	v_add_nc_u32_e32 v59, 0x800, v7
	v_add_nc_u32_e32 v66, 0x800, v35
	;; [unrolled: 1-line block ×3, first 2 shown]
	v_mad_i64_i32 v[8:9], null, v6, s20, 0
	v_lshlrev_b64 v[3:4], 1, v[4:5]
	v_add_nc_u32_e32 v5, 12, v33
	v_or_b32_e32 v72, 0x400, v36
	v_lshl_add_u32 v73, v30, 3, 0xa00
	v_lshl_add_u32 v74, v31, 3, 0x400
	v_add_co_u32 v6, s3, v3, v2
	s_delay_alu instid0(VALU_DEP_1) | instskip(SKIP_4) | instid1(VALU_DEP_1)
	v_add_co_ci_u32_e64 v4, s3, 0, v4, s3
	v_add_co_u32 v75, s3, s12, v0
	v_mad_i64_i32 v[2:3], null, v5, s20, 0
	v_add_co_ci_u32_e64 v76, s3, s13, v1, s3
	v_add_co_u32 v0, s3, v6, s8
	v_add_co_ci_u32_e64 v1, s3, s9, v4, s3
	v_lshlrev_b64 v[24:25], 1, v[8:9]
	s_delay_alu instid0(VALU_DEP_3) | instskip(SKIP_1) | instid1(VALU_DEP_4)
	v_add_co_u32 v28, s3, v0, 16
	v_lshlrev_b64 v[26:27], 1, v[2:3]
	v_add_co_ci_u32_e64 v29, s3, 0, v1, s3
	s_add_i32 s12, s18, -8
	s_lshl_b64 s[8:9], s[20:21], 4
	s_branch .LBB304_24
.LBB304_23:                             ;   in Loop: Header=BB304_24 Depth=1
	s_or_b32 exec_lo, exec_lo, s4
	v_pk_add_f16 v48, v48, v81
	v_pk_add_f16 v41, v41, v82
	v_pk_add_f16 v47, v47, v84
	v_pk_add_f16 v12, v58, v12
	v_pk_add_f16 v16, v50, v16
	v_pk_add_f16 v14, v70, v14
	v_pk_add_f16 v18, v67, v18
	v_pk_add_f16 v20, v57, v20
	v_pk_add_f16 v22, v49, v22
	v_pk_add_f16 v8, v69, v8
	v_pk_add_f16 v49, v65, v79
	v_pk_add_f16 v50, v56, v80
	v_pk_add_f16 v55, v55, v83
	v_pk_add_f16 v4, v39, v4
	v_pk_add_f16 v56, v63, v85
	v_pk_add_f16 v57, v46, v87
	v_pk_add_f16 v58, v37, v88
	v_pk_add_f16 v6, v62, v6
	v_pk_add_f16 v62, v45, v90
	v_pk_add_f16 v63, v38, v91
	v_pk_add_f16 v65, v44, v94
	v_pk_add_f16 v67, v40, v95
	v_pk_add_f16 v69, v43, v98
	v_pk_add_f16 v70, v42, v104
	v_pk_add_f16 v83, v48, v116
	v_pk_add_f16 v84, v41, v117
	ds_load_2addr_b64 v[37:40], v66 offset0:48 offset1:56
	ds_load_2addr_b64 v[41:44], v34 offset1:32
	v_pk_add_f16 v9, v47, v9
	ds_load_2addr_b64 v[45:48], v34 offset0:64 offset1:96
	v_pk_add_f16 v2, v68, v2
	v_pk_add_f16 v10, v64, v10
	;; [unrolled: 1-line block ×6, first 2 shown]
	ds_load_2addr_b64 v[49:52], v66 offset1:8
	v_pk_add_f16 v53, v53, v89
	v_pk_add_f16 v61, v61, v92
	;; [unrolled: 1-line block ×9, first 2 shown]
	s_waitcnt lgkmcnt(3)
	v_pk_max_f16 v39, v39, v39
	s_waitcnt lgkmcnt(2)
	v_pk_max_f16 v41, v41, v41
	v_pk_max_f16 v43, v43, v43
	s_waitcnt lgkmcnt(1)
	v_pk_max_f16 v45, v45, v45
	v_pk_add_f16 v86, v6, v105
	v_pk_add_f16 v53, v53, v3
	;; [unrolled: 1-line block ×7, first 2 shown]
	v_pk_min_f16 v5, v39, v41
	v_pk_min_f16 v6, v39, v43
	;; [unrolled: 1-line block ×3, first 2 shown]
	ds_load_2addr_b64 v[1:4], v66 offset0:16 offset1:24
	s_waitcnt lgkmcnt(1)
	v_pk_max_f16 v8, v49, v49
	v_pk_max_f16 v47, v47, v47
	v_pk_add_f16 v14, v14, v109
	v_pk_add_f16 v18, v18, v110
	;; [unrolled: 1-line block ×7, first 2 shown]
	v_pk_min_f16 v5, v8, v41
	v_pk_min_f16 v6, v8, v43
	;; [unrolled: 1-line block ×4, first 2 shown]
	v_pk_max_f16 v51, v51, v51
	v_pk_add_f16 v14, v14, v5
	v_pk_add_f16 v18, v18, v6
	;; [unrolled: 1-line block ×4, first 2 shown]
	ds_load_2addr_b64 v[5:8], v66 offset0:32 offset1:40
	v_pk_add_f16 v17, v65, v17
	v_pk_min_f16 v65, v51, v45
	s_waitcnt lgkmcnt(1)
	v_pk_max_f16 v1, v1, v1
	v_pk_add_f16 v11, v63, v11
	v_pk_min_f16 v63, v51, v41
	v_pk_max_f16 v3, v3, v3
	v_pk_add_f16 v79, v82, v65
	v_pk_min_f16 v65, v1, v41
	v_pk_add_f16 v10, v10, v118
	v_pk_add_f16 v56, v56, v100
	;; [unrolled: 1-line block ×5, first 2 shown]
	v_pk_min_f16 v64, v51, v43
	v_pk_add_f16 v63, v80, v63
	v_pk_min_f16 v67, v1, v43
	v_pk_min_f16 v68, v1, v45
	;; [unrolled: 1-line block ×3, first 2 shown]
	v_pk_add_f16 v80, v84, v65
	v_pk_min_f16 v65, v3, v43
	s_waitcnt lgkmcnt(0)
	v_pk_max_f16 v5, v5, v5
	v_pk_add_f16 v57, v57, v102
	v_pk_add_f16 v58, v58, v103
	;; [unrolled: 1-line block ×5, first 2 shown]
	v_pk_min_f16 v9, v3, v41
	v_pk_min_f16 v67, v3, v45
	;; [unrolled: 1-line block ×3, first 2 shown]
	v_pk_add_f16 v81, v56, v65
	v_pk_min_f16 v56, v5, v41
	v_pk_min_f16 v51, v51, v47
	v_pk_max_f16 v7, v7, v7
	v_pk_add_f16 v3, v57, v3
	v_pk_min_f16 v57, v5, v43
	v_pk_add_f16 v82, v58, v56
	v_pk_min_f16 v56, v5, v45
	v_pk_max_f16 v37, v37, v37
	v_pk_add_f16 v51, v83, v51
	v_pk_add_f16 v83, v86, v57
	v_pk_min_f16 v57, v7, v41
	v_pk_min_f16 v58, v7, v43
	v_pk_add_f16 v53, v53, v56
	v_pk_min_f16 v56, v7, v45
	v_pk_min_f16 v7, v7, v47
	;; [unrolled: 1-line block ×5, first 2 shown]
	v_pk_max_f16 v40, v40, v40
	v_pk_add_f16 v7, v17, v7
	v_pk_add_f16 v17, v19, v41
	;; [unrolled: 1-line block ×3, first 2 shown]
	v_pk_max_f16 v43, v44, v44
	v_pk_add_f16 v21, v23, v45
	v_pk_min_f16 v23, v37, v47
	v_pk_max_f16 v42, v42, v42
	v_pk_min_f16 v37, v39, v47
	v_pk_max_f16 v84, v46, v46
	v_pk_min_f16 v41, v40, v43
	v_pk_add_f16 v55, v55, v119
	v_pk_add_f16 v9, v85, v9
	;; [unrolled: 1-line block ×3, first 2 shown]
	v_pk_min_f16 v39, v40, v42
	v_pk_add_f16 v85, v61, v37
	v_pk_min_f16 v37, v40, v84
	v_pk_max_f16 v44, v50, v50
	v_pk_add_f16 v58, v12, v41
	v_pk_max_f16 v12, v48, v48
	v_pk_add_f16 v54, v54, v101
	v_pk_add_f16 v55, v55, v68
	;; [unrolled: 1-line block ×4, first 2 shown]
	v_pk_min_f16 v16, v44, v42
	v_pk_min_f16 v37, v44, v43
	;; [unrolled: 1-line block ×4, first 2 shown]
	v_pk_max_f16 v44, v52, v52
	v_pk_add_f16 v54, v54, v67
	v_pk_add_f16 v70, v14, v16
	;; [unrolled: 1-line block ×3, first 2 shown]
	v_pk_max_f16 v2, v2, v2
	v_pk_min_f16 v14, v44, v42
	v_pk_min_f16 v16, v44, v43
	;; [unrolled: 1-line block ×3, first 2 shown]
	v_pk_add_f16 v15, v15, v56
	v_pk_max_f16 v4, v4, v4
	v_pk_add_f16 v69, v63, v14
	v_pk_add_f16 v65, v64, v16
	;; [unrolled: 1-line block ×3, first 2 shown]
	v_pk_min_f16 v14, v2, v42
	v_pk_min_f16 v16, v2, v43
	;; [unrolled: 1-line block ×5, first 2 shown]
	v_pk_max_f16 v6, v6, v6
	v_pk_add_f16 v64, v10, v16
	v_pk_min_f16 v10, v4, v84
	v_pk_add_f16 v47, v1, v2
	v_pk_min_f16 v1, v4, v42
	v_pk_min_f16 v2, v4, v43
	v_pk_min_f16 v4, v4, v12
	v_pk_add_f16 v5, v62, v5
	v_pk_add_f16 v11, v11, v57
	;; [unrolled: 1-line block ×6, first 2 shown]
	v_pk_min_f16 v1, v6, v42
	v_pk_min_f16 v2, v6, v43
	;; [unrolled: 1-line block ×4, first 2 shown]
	v_pk_max_f16 v6, v8, v8
	v_pk_add_f16 v37, v82, v1
	v_pk_add_f16 v62, v83, v2
	;; [unrolled: 1-line block ×4, first 2 shown]
	v_pk_min_f16 v1, v6, v42
	v_pk_min_f16 v2, v6, v43
	v_pk_min_f16 v3, v6, v84
	v_pk_min_f16 v4, v6, v12
	v_pk_max_f16 v5, v38, v38
	v_pk_add_f16 v23, v60, v23
	v_pk_min_f16 v20, v44, v12
	v_pk_add_f16 v38, v11, v1
	v_pk_add_f16 v61, v13, v2
	;; [unrolled: 1-line block ×4, first 2 shown]
	v_pk_min_f16 v1, v5, v42
	v_pk_min_f16 v2, v5, v43
	;; [unrolled: 1-line block ×5, first 2 shown]
	v_add_co_u32 v75, s3, v75, s8
	s_delay_alu instid0(VALU_DEP_1)
	v_add_co_ci_u32_e64 v76, s3, s9, v76, s3
	v_add_co_u32 v28, s3, v28, 16
	v_pk_add_f16 v49, v22, v41
	v_pk_add_f16 v48, v51, v20
	;; [unrolled: 1-line block ×10, first 2 shown]
	v_add_co_ci_u32_e64 v29, s3, 0, v29, s3
	s_add_i32 s25, s25, 8
	s_waitcnt vmcnt(0)
	ds_store_b16 v71, v77
	ds_store_b16 v72, v78
	ds_store_b16 v72, v0 offset:512
	s_cmp_ge_i32 s25, s12
	s_waitcnt lgkmcnt(0)
	s_barrier
	buffer_gl0_inv
	s_cbranch_scc1 .LBB304_36
.LBB304_24:                             ; =>This Inner Loop Header: Depth=1
	v_dual_mov_b32 v78, 0 :: v_dual_add_nc_u32 v77, s25, v32
	s_delay_alu instid0(VALU_DEP_1) | instskip(NEXT) | instid1(VALU_DEP_1)
	v_add_nc_u32_e32 v0, 8, v77
	v_cmp_gt_i32_e64 s3, s18, v0
	s_delay_alu instid0(VALU_DEP_1) | instskip(NEXT) | instid1(SALU_CYCLE_1)
	s_and_b32 s4, s3, s24
	s_and_saveexec_b32 s3, s4
	s_cbranch_execz .LBB304_26
; %bb.25:                               ;   in Loop: Header=BB304_24 Depth=1
	flat_load_u16 v78, v[28:29]
.LBB304_26:                             ;   in Loop: Header=BB304_24 Depth=1
	s_or_b32 exec_lo, exec_lo, s3
	v_dual_mov_b32 v80, 0 :: v_dual_add_nc_u32 v79, s25, v33
	s_delay_alu instid0(VALU_DEP_1) | instskip(NEXT) | instid1(VALU_DEP_1)
	v_dual_mov_b32 v81, 0 :: v_dual_add_nc_u32 v0, 8, v79
	v_cmp_le_i32_e64 s3, s18, v0
	s_delay_alu instid0(VALU_DEP_1) | instskip(NEXT) | instid1(SALU_CYCLE_1)
	s_or_b32 s4, vcc_lo, s3
	s_xor_b32 s4, s4, -1
	s_delay_alu instid0(SALU_CYCLE_1)
	s_and_saveexec_b32 s13, s4
	s_cbranch_execz .LBB304_28
; %bb.27:                               ;   in Loop: Header=BB304_24 Depth=1
	v_add_co_u32 v0, s4, v75, v24
	s_delay_alu instid0(VALU_DEP_1)
	v_add_co_ci_u32_e64 v1, s4, v76, v25, s4
	flat_load_u16 v81, v[0:1]
.LBB304_28:                             ;   in Loop: Header=BB304_24 Depth=1
	s_or_b32 exec_lo, exec_lo, s13
	s_or_b32 s3, s2, s3
	s_delay_alu instid0(SALU_CYCLE_1) | instskip(NEXT) | instid1(SALU_CYCLE_1)
	s_xor_b32 s3, s3, -1
	s_and_saveexec_b32 s4, s3
	s_cbranch_execz .LBB304_30
; %bb.29:                               ;   in Loop: Header=BB304_24 Depth=1
	v_add_co_u32 v0, s3, v75, v24
	s_delay_alu instid0(VALU_DEP_1)
	v_add_co_ci_u32_e64 v1, s3, v76, v25, s3
	flat_load_u16 v80, v[0:1] offset:128
.LBB304_30:                             ;   in Loop: Header=BB304_24 Depth=1
	s_or_b32 exec_lo, exec_lo, s4
	ds_load_2addr_b64 v[0:3], v73 offset0:48 offset1:56
	ds_load_2addr_b64 v[12:15], v74 offset0:64 offset1:96
	ds_load_2addr_b64 v[20:23], v74 offset1:32
	ds_load_2addr_b64 v[16:19], v73 offset1:8
	ds_load_2addr_b64 v[8:11], v73 offset0:16 offset1:24
	ds_load_2addr_b64 v[4:7], v73 offset0:32 offset1:40
	v_add_nc_u32_e32 v77, 12, v77
	s_waitcnt vmcnt(0) lgkmcnt(6)
	ds_store_b16 v59, v78
	ds_store_b16 v36, v81
	ds_store_b16 v36, v80 offset:512
	v_mov_b32_e32 v78, 0
	s_waitcnt lgkmcnt(0)
	s_barrier
	v_cmp_gt_i32_e64 s3, s18, v77
	v_mov_b32_e32 v77, 0
	buffer_gl0_inv
	s_and_b32 s4, s3, s24
	s_delay_alu instid0(SALU_CYCLE_1)
	s_and_saveexec_b32 s3, s4
	s_cbranch_execz .LBB304_32
; %bb.31:                               ;   in Loop: Header=BB304_24 Depth=1
	flat_load_u16 v77, v[28:29] offset:8
.LBB304_32:                             ;   in Loop: Header=BB304_24 Depth=1
	s_or_b32 exec_lo, exec_lo, s3
	v_add_nc_u32_e32 v79, 12, v79
	s_delay_alu instid0(VALU_DEP_1) | instskip(NEXT) | instid1(VALU_DEP_1)
	v_cmp_le_i32_e64 s3, s18, v79
	s_or_b32 s4, vcc_lo, s3
	s_delay_alu instid0(SALU_CYCLE_1) | instskip(NEXT) | instid1(SALU_CYCLE_1)
	s_xor_b32 s4, s4, -1
	s_and_saveexec_b32 s13, s4
	s_cbranch_execz .LBB304_34
; %bb.33:                               ;   in Loop: Header=BB304_24 Depth=1
	v_add_co_u32 v78, s4, v75, v26
	s_delay_alu instid0(VALU_DEP_1)
	v_add_co_ci_u32_e64 v79, s4, v76, v27, s4
	flat_load_u16 v78, v[78:79]
.LBB304_34:                             ;   in Loop: Header=BB304_24 Depth=1
	s_or_b32 exec_lo, exec_lo, s13
	v_pk_max_f16 v99, v2, v2
	v_pk_max_f16 v95, v20, v20
	;; [unrolled: 1-line block ×12, first 2 shown]
	v_pk_min_f16 v2, v99, v95
	v_pk_min_f16 v12, v99, v96
	;; [unrolled: 1-line block ×25, first 2 shown]
	v_pk_max_f16 v0, v3, v3
	v_pk_max_f16 v21, v21, v21
	;; [unrolled: 1-line block ×9, first 2 shown]
	v_pk_min_f16 v109, v3, v21
	v_pk_min_f16 v110, v3, v23
	;; [unrolled: 1-line block ×4, first 2 shown]
	v_pk_max_f16 v3, v9, v9
	v_pk_max_f16 v7, v7, v7
	;; [unrolled: 1-line block ×3, first 2 shown]
	v_pk_min_f16 v22, v22, v100
	v_pk_min_f16 v81, v81, v100
	v_pk_min_f16 v84, v84, v100
	v_pk_min_f16 v87, v87, v100
	v_pk_min_f16 v90, v90, v100
	v_pk_min_f16 v94, v94, v100
	v_pk_min_f16 v104, v99, v100
	v_pk_min_f16 v106, v0, v21
	v_pk_min_f16 v107, v0, v23
	v_pk_min_f16 v108, v0, v120
	v_pk_min_f16 v113, v13, v21
	v_pk_min_f16 v114, v13, v23
	v_pk_min_f16 v115, v13, v120
	v_pk_min_f16 v116, v13, v121
	v_pk_min_f16 v117, v3, v21
	v_pk_min_f16 v118, v3, v23
	v_pk_min_f16 v119, v3, v120
	v_pk_min_f16 v9, v3, v121
	v_pk_min_f16 v99, v11, v21
	v_pk_min_f16 v100, v11, v23
	v_pk_min_f16 v101, v11, v120
	v_pk_min_f16 v102, v11, v121
	v_pk_min_f16 v103, v5, v21
	v_pk_min_f16 v105, v5, v23
	v_pk_min_f16 v3, v5, v120
	v_pk_min_f16 v5, v5, v121
	v_pk_min_f16 v11, v7, v21
	v_pk_min_f16 v13, v7, v23
	v_pk_min_f16 v15, v7, v120
	v_pk_min_f16 v17, v7, v121
	v_pk_min_f16 v19, v1, v21
	v_pk_min_f16 v21, v1, v23
	v_pk_min_f16 v23, v1, v120
	v_pk_min_f16 v1, v1, v121
	v_pk_min_f16 v7, v0, v121
	v_mov_b32_e32 v0, 0
	s_or_b32 s3, s2, s3
	s_delay_alu instid0(SALU_CYCLE_1) | instskip(NEXT) | instid1(SALU_CYCLE_1)
	s_xor_b32 s3, s3, -1
	s_and_saveexec_b32 s4, s3
	s_cbranch_execz .LBB304_23
; %bb.35:                               ;   in Loop: Header=BB304_24 Depth=1
	v_add_co_u32 v120, s3, v75, v26
	s_delay_alu instid0(VALU_DEP_1)
	v_add_co_ci_u32_e64 v121, s3, v76, v27, s3
	flat_load_u16 v0, v[120:121] offset:128
	s_branch .LBB304_23
.LBB304_36:
	s_clause 0x2
	s_load_b64 s[2:3], s[0:1], 0x70
	s_load_b32 s12, s[0:1], 0x50
	s_load_b32 s9, s[0:1], 0x68
	v_add_nc_u32_e32 v66, s14, v31
	v_add_nc_u32_e32 v8, 0x800, v35
	ds_load_2addr_b64 v[0:3], v34 offset0:192 offset1:224
	ds_load_2addr_b64 v[20:23], v34 offset0:128 offset1:160
	v_add_nc_u32_e32 v24, s5, v30
	ds_load_2addr_b64 v[4:7], v8 offset0:112 offset1:120
	ds_load_2addr_b64 v[16:19], v8 offset0:64 offset1:72
	;; [unrolled: 1-line block ×4, first 2 shown]
	v_cmp_gt_i32_e64 s8, s17, v66
	v_cndmask_b32_e64 v59, 0, 1, s22
	s_waitcnt lgkmcnt(0)
	s_mul_i32 s0, s15, s3
	v_mad_i64_i32 v[25:26], null, v66, s12, 0
	v_mad_i64_i32 v[27:28], null, v66, s9, 0
	s_mul_hi_u32 s1, s15, s2
	s_mul_i32 s3, s23, s2
	s_add_i32 s1, s1, s0
	s_mul_i32 s0, s15, s2
	s_delay_alu instid0(VALU_DEP_2) | instskip(SKIP_1) | instid1(VALU_DEP_2)
	v_lshlrev_b64 v[25:26], 1, v[25:26]
	s_add_i32 s1, s1, s3
	v_lshlrev_b64 v[27:28], 1, v[27:28]
	s_lshl_b64 s[0:1], s[0:1], 1
	s_delay_alu instid0(SALU_CYCLE_1) | instskip(NEXT) | instid1(VALU_DEP_2)
	s_add_u32 s13, s6, s0
	v_add_co_u32 v73, vcc_lo, s10, v25
	v_add_co_ci_u32_e32 v74, vcc_lo, s11, v26, vcc_lo
	s_addc_u32 s14, s7, s1
	v_add_co_u32 v71, vcc_lo, s13, v27
	v_cmp_gt_i32_e64 s0, s16, v24
	v_add_co_ci_u32_e32 v72, vcc_lo, s14, v28, vcc_lo
	v_ashrrev_i32_e32 v25, 31, v24
	s_delay_alu instid0(VALU_DEP_3) | instskip(NEXT) | instid1(SALU_CYCLE_1)
	s_and_b32 s2, s0, s8
	s_and_saveexec_b32 s1, s2
	s_cbranch_execz .LBB304_41
; %bb.37:
	s_delay_alu instid0(VALU_DEP_1)
	v_lshlrev_b64 v[26:27], 1, v[24:25]
	s_and_not1_b32 vcc_lo, exec_lo, s22
	s_cbranch_vccnz .LBB304_39
; %bb.38:
	s_delay_alu instid0(VALU_DEP_1) | instskip(NEXT) | instid1(VALU_DEP_2)
	v_add_co_u32 v28, vcc_lo, v73, v26
	v_add_co_ci_u32_e32 v29, vcc_lo, v74, v27, vcc_lo
	flat_load_u16 v28, v[28:29]
	s_waitcnt vmcnt(0) lgkmcnt(0)
	v_mul_f16_e32 v28, s19, v28
	s_branch .LBB304_40
.LBB304_39:
	v_mov_b32_e32 v28, 0
.LBB304_40:
	v_pk_max_f16 v29, v20, v20
	v_pk_max_f16 v30, v16, v16
	;; [unrolled: 1-line block ×4, first 2 shown]
	v_add_co_u32 v26, vcc_lo, v71, v26
	s_delay_alu instid0(VALU_DEP_4) | instskip(SKIP_1) | instid1(VALU_DEP_4)
	v_pk_min_f16 v29, v30, v29
	v_add_co_ci_u32_e32 v27, vcc_lo, v72, v27, vcc_lo
	v_pk_min_f16 v30, v32, v31
	s_delay_alu instid0(VALU_DEP_3) | instskip(NEXT) | instid1(VALU_DEP_1)
	v_pk_add_f16 v29, v70, v29
	v_pk_add_f16 v29, v29, v30
	s_delay_alu instid0(VALU_DEP_1) | instskip(NEXT) | instid1(VALU_DEP_1)
	v_lshrrev_b32_e32 v30, 16, v29
	v_add_f16_e32 v29, v29, v30
	s_delay_alu instid0(VALU_DEP_1)
	v_add_f16_e32 v28, v29, v28
	global_store_b16 v[26:27], v28, off
.LBB304_41:
	s_or_b32 exec_lo, exec_lo, s1
	v_add_nc_u32_e32 v26, 8, v24
	s_delay_alu instid0(VALU_DEP_1) | instskip(SKIP_1) | instid1(VALU_DEP_2)
	v_cmp_gt_i32_e64 s1, s16, v26
	v_ashrrev_i32_e32 v27, 31, v26
	s_and_b32 s3, s1, s8
	s_delay_alu instid0(SALU_CYCLE_1)
	s_and_saveexec_b32 s2, s3
	s_cbranch_execz .LBB304_46
; %bb.42:
	v_cmp_ne_u32_e32 vcc_lo, 1, v59
	v_lshlrev_b64 v[28:29], 1, v[26:27]
	s_cbranch_vccnz .LBB304_44
; %bb.43:
	s_delay_alu instid0(VALU_DEP_1) | instskip(NEXT) | instid1(VALU_DEP_2)
	v_add_co_u32 v30, vcc_lo, v73, v28
	v_add_co_ci_u32_e32 v31, vcc_lo, v74, v29, vcc_lo
	flat_load_u16 v30, v[30:31]
	s_waitcnt vmcnt(0) lgkmcnt(0)
	v_mul_f16_e32 v30, s19, v30
	s_branch .LBB304_45
.LBB304_44:
	v_mov_b32_e32 v30, 0
.LBB304_45:
	v_pk_max_f16 v31, v20, v20
	v_pk_max_f16 v32, v18, v18
	v_pk_max_f16 v33, v21, v21
	v_pk_max_f16 v34, v19, v19
	v_add_co_u32 v28, vcc_lo, v71, v28
	s_delay_alu instid0(VALU_DEP_4) | instskip(SKIP_1) | instid1(VALU_DEP_4)
	v_pk_min_f16 v31, v32, v31
	v_add_co_ci_u32_e32 v29, vcc_lo, v72, v29, vcc_lo
	v_pk_min_f16 v32, v34, v33
	s_delay_alu instid0(VALU_DEP_3) | instskip(NEXT) | instid1(VALU_DEP_1)
	v_pk_add_f16 v31, v69, v31
	v_pk_add_f16 v31, v31, v32
	s_delay_alu instid0(VALU_DEP_1) | instskip(NEXT) | instid1(VALU_DEP_1)
	v_lshrrev_b32_e32 v32, 16, v31
	v_add_f16_e32 v31, v31, v32
	s_delay_alu instid0(VALU_DEP_1)
	v_add_f16_e32 v30, v31, v30
	global_store_b16 v[28:29], v30, off
.LBB304_46:
	s_or_b32 exec_lo, exec_lo, s2
	v_add_nc_u32_e32 v28, 16, v24
	s_delay_alu instid0(VALU_DEP_1) | instskip(SKIP_1) | instid1(VALU_DEP_2)
	v_cmp_gt_i32_e64 s2, s16, v28
	v_ashrrev_i32_e32 v29, 31, v28
	s_and_b32 s4, s2, s8
	s_delay_alu instid0(SALU_CYCLE_1)
	s_and_saveexec_b32 s3, s4
	s_cbranch_execz .LBB304_51
; %bb.47:
	v_cmp_ne_u32_e32 vcc_lo, 1, v59
	v_lshlrev_b64 v[30:31], 1, v[28:29]
	s_cbranch_vccnz .LBB304_49
; %bb.48:
	s_delay_alu instid0(VALU_DEP_1) | instskip(NEXT) | instid1(VALU_DEP_2)
	v_add_co_u32 v32, vcc_lo, v73, v30
	v_add_co_ci_u32_e32 v33, vcc_lo, v74, v31, vcc_lo
	flat_load_u16 v32, v[32:33]
	s_waitcnt vmcnt(0) lgkmcnt(0)
	v_mul_f16_e32 v32, s19, v32
	s_branch .LBB304_50
.LBB304_49:
	v_mov_b32_e32 v32, 0
.LBB304_50:
	v_pk_max_f16 v33, v20, v20
	v_pk_max_f16 v34, v12, v12
	v_pk_max_f16 v35, v21, v21
	v_pk_max_f16 v36, v13, v13
	v_add_co_u32 v30, vcc_lo, v71, v30
	s_delay_alu instid0(VALU_DEP_4) | instskip(SKIP_1) | instid1(VALU_DEP_4)
	v_pk_min_f16 v33, v34, v33
	v_add_co_ci_u32_e32 v31, vcc_lo, v72, v31, vcc_lo
	v_pk_min_f16 v34, v36, v35
	s_delay_alu instid0(VALU_DEP_3) | instskip(NEXT) | instid1(VALU_DEP_1)
	v_pk_add_f16 v33, v41, v33
	v_pk_add_f16 v33, v33, v34
	s_delay_alu instid0(VALU_DEP_1) | instskip(NEXT) | instid1(VALU_DEP_1)
	v_lshrrev_b32_e32 v34, 16, v33
	v_add_f16_e32 v33, v33, v34
	s_delay_alu instid0(VALU_DEP_1)
	v_add_f16_e32 v32, v33, v32
	global_store_b16 v[30:31], v32, off
.LBB304_51:
	;; [unrolled: 43-line block ×6, first 2 shown]
	s_or_b32 exec_lo, exec_lo, s7
	v_add_nc_u32_e32 v38, 56, v24
	s_delay_alu instid0(VALU_DEP_1) | instskip(SKIP_1) | instid1(VALU_DEP_2)
	v_cmp_gt_i32_e64 s7, s16, v38
	v_ashrrev_i32_e32 v39, 31, v38
	s_and_b32 s15, s7, s8
	s_delay_alu instid0(SALU_CYCLE_1)
	s_and_saveexec_b32 s8, s15
	s_cbranch_execz .LBB304_76
; %bb.72:
	v_cmp_ne_u32_e32 vcc_lo, 1, v59
	v_lshlrev_b64 v[40:41], 1, v[38:39]
	s_cbranch_vccnz .LBB304_74
; %bb.73:
	s_delay_alu instid0(VALU_DEP_1) | instskip(NEXT) | instid1(VALU_DEP_2)
	v_add_co_u32 v69, vcc_lo, v73, v40
	v_add_co_ci_u32_e32 v70, vcc_lo, v74, v41, vcc_lo
	flat_load_u16 v69, v[69:70]
	s_waitcnt vmcnt(0) lgkmcnt(0)
	v_mul_f16_e32 v69, s19, v69
	s_branch .LBB304_75
.LBB304_74:
	v_mov_b32_e32 v69, 0
.LBB304_75:
	v_pk_max_f16 v20, v20, v20
	v_pk_max_f16 v70, v6, v6
	;; [unrolled: 1-line block ×4, first 2 shown]
	s_delay_alu instid0(VALU_DEP_3) | instskip(NEXT) | instid1(VALU_DEP_2)
	v_pk_min_f16 v20, v70, v20
	v_pk_min_f16 v21, v73, v21
	s_delay_alu instid0(VALU_DEP_2) | instskip(NEXT) | instid1(VALU_DEP_1)
	v_pk_add_f16 v20, v68, v20
	v_pk_add_f16 v20, v20, v21
	s_delay_alu instid0(VALU_DEP_1) | instskip(NEXT) | instid1(VALU_DEP_1)
	v_lshrrev_b32_e32 v21, 16, v20
	v_add_f16_e32 v20, v20, v21
	s_delay_alu instid0(VALU_DEP_1)
	v_add_f16_e32 v68, v20, v69
	v_add_co_u32 v20, vcc_lo, v71, v40
	v_add_co_ci_u32_e32 v21, vcc_lo, v72, v41, vcc_lo
	global_store_b16 v[20:21], v68, off
.LBB304_76:
	s_or_b32 exec_lo, exec_lo, s8
	v_add_nc_u32_e32 v68, 32, v66
	s_delay_alu instid0(VALU_DEP_1) | instskip(SKIP_2) | instid1(VALU_DEP_3)
	v_mad_i64_i32 v[20:21], null, v68, s12, 0
	v_mad_i64_i32 v[40:41], null, v68, s9, 0
	v_cmp_gt_i32_e64 s8, s17, v68
	v_lshlrev_b64 v[20:21], 1, v[20:21]
	s_delay_alu instid0(VALU_DEP_2) | instskip(NEXT) | instid1(VALU_DEP_3)
	s_and_b32 s16, s0, s8
	v_lshlrev_b64 v[40:41], 1, v[40:41]
	s_delay_alu instid0(VALU_DEP_2) | instskip(NEXT) | instid1(VALU_DEP_3)
	v_add_co_u32 v68, vcc_lo, s10, v20
	v_add_co_ci_u32_e32 v69, vcc_lo, s11, v21, vcc_lo
	s_delay_alu instid0(VALU_DEP_3) | instskip(NEXT) | instid1(VALU_DEP_4)
	v_add_co_u32 v40, vcc_lo, s13, v40
	v_add_co_ci_u32_e32 v41, vcc_lo, s14, v41, vcc_lo
	s_and_saveexec_b32 s15, s16
	s_cbranch_execnz .LBB304_84
; %bb.77:
	s_or_b32 exec_lo, exec_lo, s15
	s_and_b32 s16, s1, s8
	s_delay_alu instid0(SALU_CYCLE_1)
	s_and_saveexec_b32 s15, s16
	s_cbranch_execnz .LBB304_88
.LBB304_78:
	s_or_b32 exec_lo, exec_lo, s15
	s_and_b32 s16, s2, s8
	s_delay_alu instid0(SALU_CYCLE_1)
	s_and_saveexec_b32 s15, s16
	s_cbranch_execnz .LBB304_92
.LBB304_79:
	s_or_b32 exec_lo, exec_lo, s15
	s_and_b32 s16, s3, s8
	s_delay_alu instid0(SALU_CYCLE_1)
	s_and_saveexec_b32 s15, s16
	s_cbranch_execnz .LBB304_96
.LBB304_80:
	s_or_b32 exec_lo, exec_lo, s15
	s_and_b32 s16, s4, s8
	s_delay_alu instid0(SALU_CYCLE_1)
	s_and_saveexec_b32 s15, s16
	s_cbranch_execnz .LBB304_100
.LBB304_81:
	s_or_b32 exec_lo, exec_lo, s15
	s_and_b32 s16, s5, s8
	s_delay_alu instid0(SALU_CYCLE_1)
	s_and_saveexec_b32 s15, s16
	s_cbranch_execnz .LBB304_104
.LBB304_82:
	s_or_b32 exec_lo, exec_lo, s15
	s_and_b32 s16, s6, s8
	s_delay_alu instid0(SALU_CYCLE_1)
	s_and_saveexec_b32 s15, s16
	s_cbranch_execnz .LBB304_108
.LBB304_83:
	s_or_b32 exec_lo, exec_lo, s15
	s_and_b32 s15, s7, s8
	s_delay_alu instid0(SALU_CYCLE_1)
	s_and_saveexec_b32 s8, s15
	s_cbranch_execnz .LBB304_112
	s_branch .LBB304_116
.LBB304_84:
	v_cmp_ne_u32_e32 vcc_lo, 1, v59
	v_lshlrev_b64 v[20:21], 1, v[24:25]
	s_cbranch_vccnz .LBB304_86
; %bb.85:
	s_delay_alu instid0(VALU_DEP_1) | instskip(NEXT) | instid1(VALU_DEP_2)
	v_add_co_u32 v70, vcc_lo, v68, v20
	v_add_co_ci_u32_e32 v71, vcc_lo, v69, v21, vcc_lo
	flat_load_u16 v70, v[70:71]
	s_waitcnt vmcnt(0) lgkmcnt(0)
	v_mul_f16_e32 v70, s19, v70
	s_branch .LBB304_87
.LBB304_86:
	v_mov_b32_e32 v70, 0
.LBB304_87:
	v_pk_max_f16 v71, v22, v22
	v_pk_max_f16 v72, v16, v16
	;; [unrolled: 1-line block ×4, first 2 shown]
	v_add_co_u32 v20, vcc_lo, v40, v20
	s_delay_alu instid0(VALU_DEP_4) | instskip(SKIP_1) | instid1(VALU_DEP_4)
	v_pk_min_f16 v71, v72, v71
	v_add_co_ci_u32_e32 v21, vcc_lo, v41, v21, vcc_lo
	v_pk_min_f16 v72, v74, v73
	s_delay_alu instid0(VALU_DEP_3) | instskip(NEXT) | instid1(VALU_DEP_1)
	v_pk_add_f16 v67, v67, v71
	v_pk_add_f16 v67, v67, v72
	s_delay_alu instid0(VALU_DEP_1) | instskip(NEXT) | instid1(VALU_DEP_1)
	v_lshrrev_b32_e32 v71, 16, v67
	v_add_f16_e32 v67, v67, v71
	s_delay_alu instid0(VALU_DEP_1) | instskip(SKIP_3) | instid1(SALU_CYCLE_1)
	v_add_f16_e32 v67, v67, v70
	global_store_b16 v[20:21], v67, off
	s_or_b32 exec_lo, exec_lo, s15
	s_and_b32 s16, s1, s8
	s_and_saveexec_b32 s15, s16
	s_cbranch_execz .LBB304_78
.LBB304_88:
	v_cmp_ne_u32_e32 vcc_lo, 1, v59
	v_lshlrev_b64 v[20:21], 1, v[26:27]
	s_cbranch_vccnz .LBB304_90
; %bb.89:
	s_delay_alu instid0(VALU_DEP_1) | instskip(NEXT) | instid1(VALU_DEP_2)
	v_add_co_u32 v70, vcc_lo, v68, v20
	v_add_co_ci_u32_e32 v71, vcc_lo, v69, v21, vcc_lo
	flat_load_u16 v67, v[70:71]
	s_waitcnt vmcnt(0) lgkmcnt(0)
	v_mul_f16_e32 v67, s19, v67
	s_branch .LBB304_91
.LBB304_90:
	v_mov_b32_e32 v67, 0
.LBB304_91:
	v_pk_max_f16 v70, v22, v22
	v_pk_max_f16 v71, v18, v18
	v_pk_max_f16 v72, v23, v23
	v_pk_max_f16 v73, v19, v19
	v_add_co_u32 v20, vcc_lo, v40, v20
	s_delay_alu instid0(VALU_DEP_4) | instskip(SKIP_1) | instid1(VALU_DEP_4)
	v_pk_min_f16 v70, v71, v70
	v_add_co_ci_u32_e32 v21, vcc_lo, v41, v21, vcc_lo
	v_pk_min_f16 v71, v73, v72
	s_delay_alu instid0(VALU_DEP_3) | instskip(NEXT) | instid1(VALU_DEP_1)
	v_pk_add_f16 v65, v65, v70
	v_pk_add_f16 v65, v65, v71
	s_delay_alu instid0(VALU_DEP_1) | instskip(NEXT) | instid1(VALU_DEP_1)
	v_lshrrev_b32_e32 v70, 16, v65
	v_add_f16_e32 v65, v65, v70
	s_delay_alu instid0(VALU_DEP_1) | instskip(SKIP_3) | instid1(SALU_CYCLE_1)
	v_add_f16_e32 v65, v65, v67
	global_store_b16 v[20:21], v65, off
	s_or_b32 exec_lo, exec_lo, s15
	s_and_b32 s16, s2, s8
	s_and_saveexec_b32 s15, s16
	s_cbranch_execz .LBB304_79
.LBB304_92:
	v_cmp_ne_u32_e32 vcc_lo, 1, v59
	v_lshlrev_b64 v[20:21], 1, v[28:29]
	s_cbranch_vccnz .LBB304_94
; %bb.93:
	s_delay_alu instid0(VALU_DEP_1) | instskip(NEXT) | instid1(VALU_DEP_2)
	v_add_co_u32 v70, vcc_lo, v68, v20
	v_add_co_ci_u32_e32 v71, vcc_lo, v69, v21, vcc_lo
	flat_load_u16 v65, v[70:71]
	s_waitcnt vmcnt(0) lgkmcnt(0)
	v_mul_f16_e32 v65, s19, v65
	s_branch .LBB304_95
.LBB304_94:
	v_mov_b32_e32 v65, 0
.LBB304_95:
	v_pk_max_f16 v67, v22, v22
	v_pk_max_f16 v70, v12, v12
	;; [unrolled: 1-line block ×4, first 2 shown]
	v_add_co_u32 v20, vcc_lo, v40, v20
	s_delay_alu instid0(VALU_DEP_4) | instskip(SKIP_1) | instid1(VALU_DEP_4)
	v_pk_min_f16 v67, v70, v67
	v_add_co_ci_u32_e32 v21, vcc_lo, v41, v21, vcc_lo
	v_pk_min_f16 v70, v72, v71
	s_delay_alu instid0(VALU_DEP_3) | instskip(NEXT) | instid1(VALU_DEP_1)
	v_pk_add_f16 v64, v64, v67
	v_pk_add_f16 v64, v64, v70
	s_delay_alu instid0(VALU_DEP_1) | instskip(NEXT) | instid1(VALU_DEP_1)
	v_lshrrev_b32_e32 v67, 16, v64
	v_add_f16_e32 v64, v64, v67
	s_delay_alu instid0(VALU_DEP_1) | instskip(SKIP_3) | instid1(SALU_CYCLE_1)
	v_add_f16_e32 v64, v64, v65
	global_store_b16 v[20:21], v64, off
	s_or_b32 exec_lo, exec_lo, s15
	s_and_b32 s16, s3, s8
	s_and_saveexec_b32 s15, s16
	s_cbranch_execz .LBB304_80
.LBB304_96:
	v_cmp_ne_u32_e32 vcc_lo, 1, v59
	v_lshlrev_b64 v[20:21], 1, v[30:31]
	s_cbranch_vccnz .LBB304_98
; %bb.97:
	s_delay_alu instid0(VALU_DEP_1) | instskip(NEXT) | instid1(VALU_DEP_2)
	v_add_co_u32 v64, vcc_lo, v68, v20
	v_add_co_ci_u32_e32 v65, vcc_lo, v69, v21, vcc_lo
	flat_load_u16 v64, v[64:65]
	s_waitcnt vmcnt(0) lgkmcnt(0)
	v_mul_f16_e32 v64, s19, v64
	s_branch .LBB304_99
.LBB304_98:
	v_mov_b32_e32 v64, 0
.LBB304_99:
	v_pk_max_f16 v65, v22, v22
	v_pk_max_f16 v67, v14, v14
	;; [unrolled: 1-line block ×4, first 2 shown]
	v_add_co_u32 v20, vcc_lo, v40, v20
	s_delay_alu instid0(VALU_DEP_4) | instskip(SKIP_1) | instid1(VALU_DEP_4)
	v_pk_min_f16 v65, v67, v65
	v_add_co_ci_u32_e32 v21, vcc_lo, v41, v21, vcc_lo
	v_pk_min_f16 v67, v71, v70
	s_delay_alu instid0(VALU_DEP_3) | instskip(NEXT) | instid1(VALU_DEP_1)
	v_pk_add_f16 v63, v63, v65
	v_pk_add_f16 v63, v63, v67
	s_delay_alu instid0(VALU_DEP_1) | instskip(NEXT) | instid1(VALU_DEP_1)
	v_lshrrev_b32_e32 v65, 16, v63
	v_add_f16_e32 v63, v63, v65
	s_delay_alu instid0(VALU_DEP_1) | instskip(SKIP_3) | instid1(SALU_CYCLE_1)
	v_add_f16_e32 v63, v63, v64
	global_store_b16 v[20:21], v63, off
	s_or_b32 exec_lo, exec_lo, s15
	s_and_b32 s16, s4, s8
	s_and_saveexec_b32 s15, s16
	s_cbranch_execz .LBB304_81
.LBB304_100:
	v_cmp_ne_u32_e32 vcc_lo, 1, v59
	v_lshlrev_b64 v[20:21], 1, v[32:33]
	s_cbranch_vccnz .LBB304_102
; %bb.101:
	s_delay_alu instid0(VALU_DEP_1) | instskip(NEXT) | instid1(VALU_DEP_2)
	v_add_co_u32 v63, vcc_lo, v68, v20
	v_add_co_ci_u32_e32 v64, vcc_lo, v69, v21, vcc_lo
	flat_load_u16 v63, v[63:64]
	s_waitcnt vmcnt(0) lgkmcnt(0)
	v_mul_f16_e32 v63, s19, v63
	s_branch .LBB304_103
.LBB304_102:
	v_mov_b32_e32 v63, 0
.LBB304_103:
	v_pk_max_f16 v64, v22, v22
	v_pk_max_f16 v65, v8, v8
	;; [unrolled: 1-line block ×4, first 2 shown]
	v_add_co_u32 v20, vcc_lo, v40, v20
	s_delay_alu instid0(VALU_DEP_4) | instskip(SKIP_1) | instid1(VALU_DEP_4)
	v_pk_min_f16 v64, v65, v64
	v_add_co_ci_u32_e32 v21, vcc_lo, v41, v21, vcc_lo
	v_pk_min_f16 v65, v70, v67
	s_delay_alu instid0(VALU_DEP_3) | instskip(NEXT) | instid1(VALU_DEP_1)
	v_pk_add_f16 v62, v62, v64
	v_pk_add_f16 v62, v62, v65
	s_delay_alu instid0(VALU_DEP_1) | instskip(NEXT) | instid1(VALU_DEP_1)
	v_lshrrev_b32_e32 v64, 16, v62
	v_add_f16_e32 v62, v62, v64
	s_delay_alu instid0(VALU_DEP_1) | instskip(SKIP_3) | instid1(SALU_CYCLE_1)
	v_add_f16_e32 v62, v62, v63
	global_store_b16 v[20:21], v62, off
	s_or_b32 exec_lo, exec_lo, s15
	s_and_b32 s16, s5, s8
	s_and_saveexec_b32 s15, s16
	s_cbranch_execz .LBB304_82
.LBB304_104:
	v_cmp_ne_u32_e32 vcc_lo, 1, v59
	v_lshlrev_b64 v[20:21], 1, v[34:35]
	s_cbranch_vccnz .LBB304_106
; %bb.105:
	s_delay_alu instid0(VALU_DEP_1) | instskip(NEXT) | instid1(VALU_DEP_2)
	v_add_co_u32 v62, vcc_lo, v68, v20
	v_add_co_ci_u32_e32 v63, vcc_lo, v69, v21, vcc_lo
	flat_load_u16 v62, v[62:63]
	s_waitcnt vmcnt(0) lgkmcnt(0)
	v_mul_f16_e32 v62, s19, v62
	s_branch .LBB304_107
.LBB304_106:
	v_mov_b32_e32 v62, 0
.LBB304_107:
	v_pk_max_f16 v63, v22, v22
	v_pk_max_f16 v64, v10, v10
	v_pk_max_f16 v65, v23, v23
	v_pk_max_f16 v67, v11, v11
	v_add_co_u32 v20, vcc_lo, v40, v20
	s_delay_alu instid0(VALU_DEP_4) | instskip(SKIP_1) | instid1(VALU_DEP_4)
	v_pk_min_f16 v63, v64, v63
	v_add_co_ci_u32_e32 v21, vcc_lo, v41, v21, vcc_lo
	v_pk_min_f16 v64, v67, v65
	s_delay_alu instid0(VALU_DEP_3) | instskip(NEXT) | instid1(VALU_DEP_1)
	v_pk_add_f16 v61, v61, v63
	v_pk_add_f16 v61, v61, v64
	s_delay_alu instid0(VALU_DEP_1) | instskip(NEXT) | instid1(VALU_DEP_1)
	v_lshrrev_b32_e32 v63, 16, v61
	v_add_f16_e32 v61, v61, v63
	s_delay_alu instid0(VALU_DEP_1) | instskip(SKIP_3) | instid1(SALU_CYCLE_1)
	v_add_f16_e32 v61, v61, v62
	global_store_b16 v[20:21], v61, off
	s_or_b32 exec_lo, exec_lo, s15
	s_and_b32 s16, s6, s8
	s_and_saveexec_b32 s15, s16
	s_cbranch_execz .LBB304_83
.LBB304_108:
	v_cmp_ne_u32_e32 vcc_lo, 1, v59
	v_lshlrev_b64 v[20:21], 1, v[36:37]
	s_cbranch_vccnz .LBB304_110
; %bb.109:
	s_delay_alu instid0(VALU_DEP_1) | instskip(NEXT) | instid1(VALU_DEP_2)
	v_add_co_u32 v61, vcc_lo, v68, v20
	v_add_co_ci_u32_e32 v62, vcc_lo, v69, v21, vcc_lo
	flat_load_u16 v61, v[61:62]
	s_waitcnt vmcnt(0) lgkmcnt(0)
	v_mul_f16_e32 v61, s19, v61
	s_branch .LBB304_111
.LBB304_110:
	v_mov_b32_e32 v61, 0
.LBB304_111:
	v_pk_max_f16 v62, v22, v22
	v_pk_max_f16 v63, v4, v4
	;; [unrolled: 1-line block ×4, first 2 shown]
	v_add_co_u32 v20, vcc_lo, v40, v20
	s_delay_alu instid0(VALU_DEP_4) | instskip(SKIP_1) | instid1(VALU_DEP_4)
	v_pk_min_f16 v62, v63, v62
	v_add_co_ci_u32_e32 v21, vcc_lo, v41, v21, vcc_lo
	v_pk_min_f16 v63, v65, v64
	s_delay_alu instid0(VALU_DEP_3) | instskip(NEXT) | instid1(VALU_DEP_1)
	v_pk_add_f16 v60, v60, v62
	v_pk_add_f16 v60, v60, v63
	s_delay_alu instid0(VALU_DEP_1) | instskip(NEXT) | instid1(VALU_DEP_1)
	v_lshrrev_b32_e32 v62, 16, v60
	v_add_f16_e32 v60, v60, v62
	s_delay_alu instid0(VALU_DEP_1) | instskip(SKIP_3) | instid1(SALU_CYCLE_1)
	v_add_f16_e32 v60, v60, v61
	global_store_b16 v[20:21], v60, off
	s_or_b32 exec_lo, exec_lo, s15
	s_and_b32 s15, s7, s8
	s_and_saveexec_b32 s8, s15
	s_cbranch_execz .LBB304_116
.LBB304_112:
	v_cmp_ne_u32_e32 vcc_lo, 1, v59
	v_lshlrev_b64 v[20:21], 1, v[38:39]
	s_cbranch_vccnz .LBB304_114
; %bb.113:
	s_delay_alu instid0(VALU_DEP_1) | instskip(NEXT) | instid1(VALU_DEP_2)
	v_add_co_u32 v60, vcc_lo, v68, v20
	v_add_co_ci_u32_e32 v61, vcc_lo, v69, v21, vcc_lo
	flat_load_u16 v60, v[60:61]
	s_waitcnt vmcnt(0) lgkmcnt(0)
	v_mul_f16_e32 v60, s19, v60
	s_branch .LBB304_115
.LBB304_114:
	v_mov_b32_e32 v60, 0
.LBB304_115:
	v_pk_max_f16 v22, v22, v22
	v_pk_max_f16 v61, v6, v6
	;; [unrolled: 1-line block ×4, first 2 shown]
	v_add_co_u32 v20, vcc_lo, v40, v20
	s_delay_alu instid0(VALU_DEP_4) | instskip(SKIP_1) | instid1(VALU_DEP_4)
	v_pk_min_f16 v22, v61, v22
	v_add_co_ci_u32_e32 v21, vcc_lo, v41, v21, vcc_lo
	v_pk_min_f16 v23, v62, v23
	s_delay_alu instid0(VALU_DEP_3) | instskip(NEXT) | instid1(VALU_DEP_1)
	v_pk_add_f16 v22, v58, v22
	v_pk_add_f16 v22, v22, v23
	s_delay_alu instid0(VALU_DEP_1) | instskip(NEXT) | instid1(VALU_DEP_1)
	v_lshrrev_b32_e32 v23, 16, v22
	v_add_f16_e32 v22, v22, v23
	s_delay_alu instid0(VALU_DEP_1)
	v_add_f16_e32 v22, v22, v60
	global_store_b16 v[20:21], v22, off
.LBB304_116:
	s_or_b32 exec_lo, exec_lo, s8
	v_add_nc_u32_e32 v40, 64, v66
	s_delay_alu instid0(VALU_DEP_1) | instskip(SKIP_2) | instid1(VALU_DEP_3)
	v_mad_i64_i32 v[20:21], null, v40, s12, 0
	v_mad_i64_i32 v[22:23], null, v40, s9, 0
	v_cmp_gt_i32_e64 s8, s17, v40
	v_lshlrev_b64 v[20:21], 1, v[20:21]
	s_delay_alu instid0(VALU_DEP_2) | instskip(NEXT) | instid1(VALU_DEP_3)
	s_and_b32 s16, s0, s8
	v_lshlrev_b64 v[22:23], 1, v[22:23]
	s_delay_alu instid0(VALU_DEP_2) | instskip(NEXT) | instid1(VALU_DEP_3)
	v_add_co_u32 v40, vcc_lo, s10, v20
	v_add_co_ci_u32_e32 v41, vcc_lo, s11, v21, vcc_lo
	s_delay_alu instid0(VALU_DEP_3) | instskip(NEXT) | instid1(VALU_DEP_4)
	v_add_co_u32 v22, vcc_lo, s13, v22
	v_add_co_ci_u32_e32 v23, vcc_lo, s14, v23, vcc_lo
	s_and_saveexec_b32 s15, s16
	s_cbranch_execnz .LBB304_124
; %bb.117:
	s_or_b32 exec_lo, exec_lo, s15
	s_and_b32 s16, s1, s8
	s_delay_alu instid0(SALU_CYCLE_1)
	s_and_saveexec_b32 s15, s16
	s_cbranch_execnz .LBB304_128
.LBB304_118:
	s_or_b32 exec_lo, exec_lo, s15
	s_and_b32 s16, s2, s8
	s_delay_alu instid0(SALU_CYCLE_1)
	s_and_saveexec_b32 s15, s16
	s_cbranch_execnz .LBB304_132
.LBB304_119:
	s_or_b32 exec_lo, exec_lo, s15
	s_and_b32 s16, s3, s8
	s_delay_alu instid0(SALU_CYCLE_1)
	s_and_saveexec_b32 s15, s16
	s_cbranch_execnz .LBB304_136
.LBB304_120:
	s_or_b32 exec_lo, exec_lo, s15
	s_and_b32 s16, s4, s8
	s_delay_alu instid0(SALU_CYCLE_1)
	s_and_saveexec_b32 s15, s16
	s_cbranch_execnz .LBB304_140
.LBB304_121:
	s_or_b32 exec_lo, exec_lo, s15
	s_and_b32 s16, s5, s8
	s_delay_alu instid0(SALU_CYCLE_1)
	s_and_saveexec_b32 s15, s16
	s_cbranch_execnz .LBB304_144
.LBB304_122:
	s_or_b32 exec_lo, exec_lo, s15
	s_and_b32 s16, s6, s8
	s_delay_alu instid0(SALU_CYCLE_1)
	s_and_saveexec_b32 s15, s16
	s_cbranch_execnz .LBB304_148
.LBB304_123:
	s_or_b32 exec_lo, exec_lo, s15
	s_and_b32 s15, s7, s8
	s_delay_alu instid0(SALU_CYCLE_1)
	s_and_saveexec_b32 s8, s15
	s_cbranch_execnz .LBB304_152
	s_branch .LBB304_156
.LBB304_124:
	v_cmp_ne_u32_e32 vcc_lo, 1, v59
	v_lshlrev_b64 v[20:21], 1, v[24:25]
	s_cbranch_vccnz .LBB304_126
; %bb.125:
	s_delay_alu instid0(VALU_DEP_1) | instskip(NEXT) | instid1(VALU_DEP_2)
	v_add_co_u32 v60, vcc_lo, v40, v20
	v_add_co_ci_u32_e32 v61, vcc_lo, v41, v21, vcc_lo
	flat_load_u16 v58, v[60:61]
	s_waitcnt vmcnt(0) lgkmcnt(0)
	v_mul_f16_e32 v58, s19, v58
	s_branch .LBB304_127
.LBB304_126:
	v_mov_b32_e32 v58, 0
.LBB304_127:
	v_pk_max_f16 v60, v0, v0
	v_pk_max_f16 v61, v16, v16
	;; [unrolled: 1-line block ×4, first 2 shown]
	v_add_co_u32 v20, vcc_lo, v22, v20
	s_delay_alu instid0(VALU_DEP_4) | instskip(SKIP_1) | instid1(VALU_DEP_4)
	v_pk_min_f16 v60, v61, v60
	v_add_co_ci_u32_e32 v21, vcc_lo, v23, v21, vcc_lo
	v_pk_min_f16 v61, v63, v62
	s_delay_alu instid0(VALU_DEP_3) | instskip(NEXT) | instid1(VALU_DEP_1)
	v_pk_add_f16 v57, v57, v60
	v_pk_add_f16 v57, v57, v61
	s_delay_alu instid0(VALU_DEP_1) | instskip(NEXT) | instid1(VALU_DEP_1)
	v_lshrrev_b32_e32 v60, 16, v57
	v_add_f16_e32 v57, v57, v60
	s_delay_alu instid0(VALU_DEP_1) | instskip(SKIP_3) | instid1(SALU_CYCLE_1)
	v_add_f16_e32 v57, v57, v58
	global_store_b16 v[20:21], v57, off
	s_or_b32 exec_lo, exec_lo, s15
	s_and_b32 s16, s1, s8
	s_and_saveexec_b32 s15, s16
	s_cbranch_execz .LBB304_118
.LBB304_128:
	v_cmp_ne_u32_e32 vcc_lo, 1, v59
	v_lshlrev_b64 v[20:21], 1, v[26:27]
	s_cbranch_vccnz .LBB304_130
; %bb.129:
	s_delay_alu instid0(VALU_DEP_1) | instskip(NEXT) | instid1(VALU_DEP_2)
	v_add_co_u32 v57, vcc_lo, v40, v20
	v_add_co_ci_u32_e32 v58, vcc_lo, v41, v21, vcc_lo
	flat_load_u16 v57, v[57:58]
	s_waitcnt vmcnt(0) lgkmcnt(0)
	v_mul_f16_e32 v57, s19, v57
	s_branch .LBB304_131
.LBB304_130:
	v_mov_b32_e32 v57, 0
.LBB304_131:
	v_pk_max_f16 v58, v0, v0
	v_pk_max_f16 v60, v18, v18
	;; [unrolled: 1-line block ×4, first 2 shown]
	v_add_co_u32 v20, vcc_lo, v22, v20
	s_delay_alu instid0(VALU_DEP_4) | instskip(SKIP_1) | instid1(VALU_DEP_4)
	v_pk_min_f16 v58, v60, v58
	v_add_co_ci_u32_e32 v21, vcc_lo, v23, v21, vcc_lo
	v_pk_min_f16 v60, v62, v61
	s_delay_alu instid0(VALU_DEP_3) | instskip(NEXT) | instid1(VALU_DEP_1)
	v_pk_add_f16 v56, v56, v58
	v_pk_add_f16 v56, v56, v60
	s_delay_alu instid0(VALU_DEP_1) | instskip(NEXT) | instid1(VALU_DEP_1)
	v_lshrrev_b32_e32 v58, 16, v56
	v_add_f16_e32 v56, v56, v58
	s_delay_alu instid0(VALU_DEP_1) | instskip(SKIP_3) | instid1(SALU_CYCLE_1)
	v_add_f16_e32 v56, v56, v57
	global_store_b16 v[20:21], v56, off
	s_or_b32 exec_lo, exec_lo, s15
	s_and_b32 s16, s2, s8
	s_and_saveexec_b32 s15, s16
	s_cbranch_execz .LBB304_119
.LBB304_132:
	v_cmp_ne_u32_e32 vcc_lo, 1, v59
	v_lshlrev_b64 v[20:21], 1, v[28:29]
	s_cbranch_vccnz .LBB304_134
; %bb.133:
	s_delay_alu instid0(VALU_DEP_1) | instskip(NEXT) | instid1(VALU_DEP_2)
	v_add_co_u32 v56, vcc_lo, v40, v20
	v_add_co_ci_u32_e32 v57, vcc_lo, v41, v21, vcc_lo
	flat_load_u16 v56, v[56:57]
	s_waitcnt vmcnt(0) lgkmcnt(0)
	v_mul_f16_e32 v56, s19, v56
	s_branch .LBB304_135
.LBB304_134:
	v_mov_b32_e32 v56, 0
.LBB304_135:
	v_pk_max_f16 v57, v0, v0
	v_pk_max_f16 v58, v12, v12
	;; [unrolled: 1-line block ×4, first 2 shown]
	v_add_co_u32 v20, vcc_lo, v22, v20
	s_delay_alu instid0(VALU_DEP_4) | instskip(SKIP_1) | instid1(VALU_DEP_4)
	v_pk_min_f16 v57, v58, v57
	v_add_co_ci_u32_e32 v21, vcc_lo, v23, v21, vcc_lo
	v_pk_min_f16 v58, v61, v60
	s_delay_alu instid0(VALU_DEP_3) | instskip(NEXT) | instid1(VALU_DEP_1)
	v_pk_add_f16 v55, v55, v57
	v_pk_add_f16 v55, v55, v58
	s_delay_alu instid0(VALU_DEP_1) | instskip(NEXT) | instid1(VALU_DEP_1)
	v_lshrrev_b32_e32 v57, 16, v55
	v_add_f16_e32 v55, v55, v57
	s_delay_alu instid0(VALU_DEP_1) | instskip(SKIP_3) | instid1(SALU_CYCLE_1)
	v_add_f16_e32 v55, v55, v56
	global_store_b16 v[20:21], v55, off
	s_or_b32 exec_lo, exec_lo, s15
	s_and_b32 s16, s3, s8
	s_and_saveexec_b32 s15, s16
	s_cbranch_execz .LBB304_120
.LBB304_136:
	v_cmp_ne_u32_e32 vcc_lo, 1, v59
	v_lshlrev_b64 v[20:21], 1, v[30:31]
	s_cbranch_vccnz .LBB304_138
; %bb.137:
	s_delay_alu instid0(VALU_DEP_1) | instskip(NEXT) | instid1(VALU_DEP_2)
	v_add_co_u32 v55, vcc_lo, v40, v20
	v_add_co_ci_u32_e32 v56, vcc_lo, v41, v21, vcc_lo
	flat_load_u16 v55, v[55:56]
	s_waitcnt vmcnt(0) lgkmcnt(0)
	v_mul_f16_e32 v55, s19, v55
	s_branch .LBB304_139
.LBB304_138:
	v_mov_b32_e32 v55, 0
.LBB304_139:
	v_pk_max_f16 v56, v0, v0
	v_pk_max_f16 v57, v14, v14
	;; [unrolled: 1-line block ×4, first 2 shown]
	v_add_co_u32 v20, vcc_lo, v22, v20
	s_delay_alu instid0(VALU_DEP_4) | instskip(SKIP_1) | instid1(VALU_DEP_4)
	v_pk_min_f16 v56, v57, v56
	v_add_co_ci_u32_e32 v21, vcc_lo, v23, v21, vcc_lo
	v_pk_min_f16 v57, v60, v58
	s_delay_alu instid0(VALU_DEP_3) | instskip(NEXT) | instid1(VALU_DEP_1)
	v_pk_add_f16 v54, v54, v56
	v_pk_add_f16 v54, v54, v57
	s_delay_alu instid0(VALU_DEP_1) | instskip(NEXT) | instid1(VALU_DEP_1)
	v_lshrrev_b32_e32 v56, 16, v54
	v_add_f16_e32 v54, v54, v56
	s_delay_alu instid0(VALU_DEP_1) | instskip(SKIP_3) | instid1(SALU_CYCLE_1)
	v_add_f16_e32 v54, v54, v55
	global_store_b16 v[20:21], v54, off
	s_or_b32 exec_lo, exec_lo, s15
	s_and_b32 s16, s4, s8
	s_and_saveexec_b32 s15, s16
	s_cbranch_execz .LBB304_121
.LBB304_140:
	v_cmp_ne_u32_e32 vcc_lo, 1, v59
	v_lshlrev_b64 v[20:21], 1, v[32:33]
	s_cbranch_vccnz .LBB304_142
; %bb.141:
	s_delay_alu instid0(VALU_DEP_1) | instskip(NEXT) | instid1(VALU_DEP_2)
	v_add_co_u32 v54, vcc_lo, v40, v20
	v_add_co_ci_u32_e32 v55, vcc_lo, v41, v21, vcc_lo
	flat_load_u16 v54, v[54:55]
	s_waitcnt vmcnt(0) lgkmcnt(0)
	v_mul_f16_e32 v54, s19, v54
	s_branch .LBB304_143
.LBB304_142:
	v_mov_b32_e32 v54, 0
.LBB304_143:
	v_pk_max_f16 v55, v0, v0
	v_pk_max_f16 v56, v8, v8
	;; [unrolled: 1-line block ×4, first 2 shown]
	v_add_co_u32 v20, vcc_lo, v22, v20
	s_delay_alu instid0(VALU_DEP_4) | instskip(SKIP_1) | instid1(VALU_DEP_4)
	v_pk_min_f16 v55, v56, v55
	v_add_co_ci_u32_e32 v21, vcc_lo, v23, v21, vcc_lo
	v_pk_min_f16 v56, v58, v57
	s_delay_alu instid0(VALU_DEP_3) | instskip(NEXT) | instid1(VALU_DEP_1)
	v_pk_add_f16 v53, v53, v55
	v_pk_add_f16 v53, v53, v56
	s_delay_alu instid0(VALU_DEP_1) | instskip(NEXT) | instid1(VALU_DEP_1)
	v_lshrrev_b32_e32 v55, 16, v53
	v_add_f16_e32 v53, v53, v55
	s_delay_alu instid0(VALU_DEP_1) | instskip(SKIP_3) | instid1(SALU_CYCLE_1)
	v_add_f16_e32 v53, v53, v54
	global_store_b16 v[20:21], v53, off
	s_or_b32 exec_lo, exec_lo, s15
	s_and_b32 s16, s5, s8
	s_and_saveexec_b32 s15, s16
	s_cbranch_execz .LBB304_122
.LBB304_144:
	v_cmp_ne_u32_e32 vcc_lo, 1, v59
	v_lshlrev_b64 v[20:21], 1, v[34:35]
	s_cbranch_vccnz .LBB304_146
; %bb.145:
	s_delay_alu instid0(VALU_DEP_1) | instskip(NEXT) | instid1(VALU_DEP_2)
	v_add_co_u32 v53, vcc_lo, v40, v20
	v_add_co_ci_u32_e32 v54, vcc_lo, v41, v21, vcc_lo
	flat_load_u16 v53, v[53:54]
	s_waitcnt vmcnt(0) lgkmcnt(0)
	v_mul_f16_e32 v53, s19, v53
	s_branch .LBB304_147
.LBB304_146:
	v_mov_b32_e32 v53, 0
.LBB304_147:
	v_pk_max_f16 v54, v0, v0
	v_pk_max_f16 v55, v10, v10
	;; [unrolled: 1-line block ×4, first 2 shown]
	v_add_co_u32 v20, vcc_lo, v22, v20
	s_delay_alu instid0(VALU_DEP_4) | instskip(SKIP_1) | instid1(VALU_DEP_4)
	v_pk_min_f16 v54, v55, v54
	v_add_co_ci_u32_e32 v21, vcc_lo, v23, v21, vcc_lo
	v_pk_min_f16 v55, v57, v56
	s_delay_alu instid0(VALU_DEP_3) | instskip(NEXT) | instid1(VALU_DEP_1)
	v_pk_add_f16 v52, v52, v54
	v_pk_add_f16 v52, v52, v55
	s_delay_alu instid0(VALU_DEP_1) | instskip(NEXT) | instid1(VALU_DEP_1)
	v_lshrrev_b32_e32 v54, 16, v52
	v_add_f16_e32 v52, v52, v54
	s_delay_alu instid0(VALU_DEP_1) | instskip(SKIP_3) | instid1(SALU_CYCLE_1)
	v_add_f16_e32 v52, v52, v53
	global_store_b16 v[20:21], v52, off
	s_or_b32 exec_lo, exec_lo, s15
	s_and_b32 s16, s6, s8
	s_and_saveexec_b32 s15, s16
	s_cbranch_execz .LBB304_123
.LBB304_148:
	v_cmp_ne_u32_e32 vcc_lo, 1, v59
	v_lshlrev_b64 v[20:21], 1, v[36:37]
	s_cbranch_vccnz .LBB304_150
; %bb.149:
	s_delay_alu instid0(VALU_DEP_1) | instskip(NEXT) | instid1(VALU_DEP_2)
	v_add_co_u32 v52, vcc_lo, v40, v20
	v_add_co_ci_u32_e32 v53, vcc_lo, v41, v21, vcc_lo
	flat_load_u16 v52, v[52:53]
	s_waitcnt vmcnt(0) lgkmcnt(0)
	v_mul_f16_e32 v52, s19, v52
	s_branch .LBB304_151
.LBB304_150:
	v_mov_b32_e32 v52, 0
.LBB304_151:
	v_pk_max_f16 v53, v0, v0
	v_pk_max_f16 v54, v4, v4
	;; [unrolled: 1-line block ×4, first 2 shown]
	v_add_co_u32 v20, vcc_lo, v22, v20
	s_delay_alu instid0(VALU_DEP_4) | instskip(SKIP_1) | instid1(VALU_DEP_4)
	v_pk_min_f16 v53, v54, v53
	v_add_co_ci_u32_e32 v21, vcc_lo, v23, v21, vcc_lo
	v_pk_min_f16 v54, v56, v55
	s_delay_alu instid0(VALU_DEP_3) | instskip(NEXT) | instid1(VALU_DEP_1)
	v_pk_add_f16 v51, v51, v53
	v_pk_add_f16 v51, v51, v54
	s_delay_alu instid0(VALU_DEP_1) | instskip(NEXT) | instid1(VALU_DEP_1)
	v_lshrrev_b32_e32 v53, 16, v51
	v_add_f16_e32 v51, v51, v53
	s_delay_alu instid0(VALU_DEP_1) | instskip(SKIP_3) | instid1(SALU_CYCLE_1)
	v_add_f16_e32 v51, v51, v52
	global_store_b16 v[20:21], v51, off
	s_or_b32 exec_lo, exec_lo, s15
	s_and_b32 s15, s7, s8
	s_and_saveexec_b32 s8, s15
	s_cbranch_execz .LBB304_156
.LBB304_152:
	v_cmp_ne_u32_e32 vcc_lo, 1, v59
	v_lshlrev_b64 v[20:21], 1, v[38:39]
	s_cbranch_vccnz .LBB304_154
; %bb.153:
	s_delay_alu instid0(VALU_DEP_1) | instskip(NEXT) | instid1(VALU_DEP_2)
	v_add_co_u32 v40, vcc_lo, v40, v20
	v_add_co_ci_u32_e32 v41, vcc_lo, v41, v21, vcc_lo
	flat_load_u16 v40, v[40:41]
	s_waitcnt vmcnt(0) lgkmcnt(0)
	v_mul_f16_e32 v40, s19, v40
	s_branch .LBB304_155
.LBB304_154:
	v_mov_b32_e32 v40, 0
.LBB304_155:
	v_pk_max_f16 v0, v0, v0
	v_pk_max_f16 v41, v6, v6
	;; [unrolled: 1-line block ×4, first 2 shown]
	s_delay_alu instid0(VALU_DEP_3) | instskip(NEXT) | instid1(VALU_DEP_2)
	v_pk_min_f16 v0, v41, v0
	v_pk_min_f16 v1, v51, v1
	s_delay_alu instid0(VALU_DEP_2) | instskip(NEXT) | instid1(VALU_DEP_1)
	v_pk_add_f16 v0, v50, v0
	v_pk_add_f16 v0, v0, v1
	s_delay_alu instid0(VALU_DEP_1) | instskip(NEXT) | instid1(VALU_DEP_1)
	v_lshrrev_b32_e32 v1, 16, v0
	v_add_f16_e32 v0, v0, v1
	s_delay_alu instid0(VALU_DEP_1)
	v_add_f16_e32 v40, v0, v40
	v_add_co_u32 v0, vcc_lo, v22, v20
	v_add_co_ci_u32_e32 v1, vcc_lo, v23, v21, vcc_lo
	global_store_b16 v[0:1], v40, off
.LBB304_156:
	s_or_b32 exec_lo, exec_lo, s8
	v_add_nc_u32_e32 v22, 0x60, v66
	s_delay_alu instid0(VALU_DEP_1) | instskip(SKIP_2) | instid1(VALU_DEP_3)
	v_mad_i64_i32 v[0:1], null, v22, s12, 0
	v_mad_i64_i32 v[20:21], null, v22, s9, 0
	v_cmp_gt_i32_e64 s8, s17, v22
	v_lshlrev_b64 v[0:1], 1, v[0:1]
	s_delay_alu instid0(VALU_DEP_2) | instskip(NEXT) | instid1(VALU_DEP_3)
	s_and_b32 s9, s0, s8
	v_lshlrev_b64 v[20:21], 1, v[20:21]
	s_delay_alu instid0(VALU_DEP_2) | instskip(NEXT) | instid1(VALU_DEP_3)
	v_add_co_u32 v22, vcc_lo, s10, v0
	v_add_co_ci_u32_e32 v23, vcc_lo, s11, v1, vcc_lo
	s_delay_alu instid0(VALU_DEP_3) | instskip(NEXT) | instid1(VALU_DEP_4)
	v_add_co_u32 v20, vcc_lo, s13, v20
	v_add_co_ci_u32_e32 v21, vcc_lo, s14, v21, vcc_lo
	s_and_saveexec_b32 s0, s9
	s_cbranch_execnz .LBB304_165
; %bb.157:
	s_or_b32 exec_lo, exec_lo, s0
	s_and_b32 s1, s1, s8
	s_delay_alu instid0(SALU_CYCLE_1)
	s_and_saveexec_b32 s0, s1
	s_cbranch_execnz .LBB304_169
.LBB304_158:
	s_or_b32 exec_lo, exec_lo, s0
	s_and_b32 s1, s2, s8
	s_delay_alu instid0(SALU_CYCLE_1)
	s_and_saveexec_b32 s0, s1
	s_cbranch_execnz .LBB304_173
.LBB304_159:
	s_or_b32 exec_lo, exec_lo, s0
	s_and_b32 s1, s3, s8
	s_delay_alu instid0(SALU_CYCLE_1)
	s_and_saveexec_b32 s0, s1
	s_cbranch_execnz .LBB304_177
.LBB304_160:
	s_or_b32 exec_lo, exec_lo, s0
	s_and_b32 s1, s4, s8
	s_delay_alu instid0(SALU_CYCLE_1)
	s_and_saveexec_b32 s0, s1
	s_cbranch_execnz .LBB304_181
.LBB304_161:
	s_or_b32 exec_lo, exec_lo, s0
	s_and_b32 s1, s5, s8
	s_delay_alu instid0(SALU_CYCLE_1)
	s_and_saveexec_b32 s0, s1
	s_cbranch_execnz .LBB304_185
.LBB304_162:
	s_or_b32 exec_lo, exec_lo, s0
	s_and_b32 s1, s6, s8
	s_delay_alu instid0(SALU_CYCLE_1)
	s_and_saveexec_b32 s0, s1
	s_cbranch_execnz .LBB304_189
.LBB304_163:
	s_or_b32 exec_lo, exec_lo, s0
	s_and_b32 s0, s7, s8
	s_delay_alu instid0(SALU_CYCLE_1)
	s_and_saveexec_b32 s1, s0
	s_cbranch_execnz .LBB304_193
.LBB304_164:
	s_nop 0
	s_sendmsg sendmsg(MSG_DEALLOC_VGPRS)
	s_endpgm
.LBB304_165:
	v_cmp_ne_u32_e32 vcc_lo, 1, v59
	v_lshlrev_b64 v[0:1], 1, v[24:25]
	s_cbranch_vccnz .LBB304_167
; %bb.166:
	s_delay_alu instid0(VALU_DEP_1) | instskip(NEXT) | instid1(VALU_DEP_2)
	v_add_co_u32 v24, vcc_lo, v22, v0
	v_add_co_ci_u32_e32 v25, vcc_lo, v23, v1, vcc_lo
	flat_load_u16 v24, v[24:25]
	s_waitcnt vmcnt(0) lgkmcnt(0)
	v_mul_f16_e32 v24, s19, v24
	s_branch .LBB304_168
.LBB304_167:
	v_mov_b32_e32 v24, 0
.LBB304_168:
	v_pk_max_f16 v25, v2, v2
	v_pk_max_f16 v16, v16, v16
	;; [unrolled: 1-line block ×4, first 2 shown]
	v_add_co_u32 v0, vcc_lo, v20, v0
	s_delay_alu instid0(VALU_DEP_4) | instskip(SKIP_1) | instid1(VALU_DEP_4)
	v_pk_min_f16 v16, v16, v25
	v_add_co_ci_u32_e32 v1, vcc_lo, v21, v1, vcc_lo
	v_pk_min_f16 v17, v17, v40
	s_delay_alu instid0(VALU_DEP_3) | instskip(NEXT) | instid1(VALU_DEP_1)
	v_pk_add_f16 v16, v49, v16
	v_pk_add_f16 v16, v16, v17
	s_delay_alu instid0(VALU_DEP_1) | instskip(NEXT) | instid1(VALU_DEP_1)
	v_lshrrev_b32_e32 v17, 16, v16
	v_add_f16_e32 v16, v16, v17
	s_delay_alu instid0(VALU_DEP_1) | instskip(SKIP_3) | instid1(SALU_CYCLE_1)
	v_add_f16_e32 v16, v16, v24
	global_store_b16 v[0:1], v16, off
	s_or_b32 exec_lo, exec_lo, s0
	s_and_b32 s1, s1, s8
	s_and_saveexec_b32 s0, s1
	s_cbranch_execz .LBB304_158
.LBB304_169:
	v_cmp_ne_u32_e32 vcc_lo, 1, v59
	v_lshlrev_b64 v[0:1], 1, v[26:27]
	s_cbranch_vccnz .LBB304_171
; %bb.170:
	s_delay_alu instid0(VALU_DEP_1) | instskip(NEXT) | instid1(VALU_DEP_2)
	v_add_co_u32 v16, vcc_lo, v22, v0
	v_add_co_ci_u32_e32 v17, vcc_lo, v23, v1, vcc_lo
	flat_load_u16 v16, v[16:17]
	s_waitcnt vmcnt(0) lgkmcnt(0)
	v_mul_f16_e32 v16, s19, v16
	s_branch .LBB304_172
.LBB304_171:
	v_mov_b32_e32 v16, 0
.LBB304_172:
	v_pk_max_f16 v17, v2, v2
	v_pk_max_f16 v18, v18, v18
	;; [unrolled: 1-line block ×4, first 2 shown]
	v_add_co_u32 v0, vcc_lo, v20, v0
	s_delay_alu instid0(VALU_DEP_4) | instskip(SKIP_1) | instid1(VALU_DEP_4)
	v_pk_min_f16 v17, v18, v17
	v_add_co_ci_u32_e32 v1, vcc_lo, v21, v1, vcc_lo
	v_pk_min_f16 v18, v19, v24
	s_delay_alu instid0(VALU_DEP_3) | instskip(NEXT) | instid1(VALU_DEP_1)
	v_pk_add_f16 v17, v48, v17
	v_pk_add_f16 v17, v17, v18
	s_delay_alu instid0(VALU_DEP_1) | instskip(NEXT) | instid1(VALU_DEP_1)
	v_lshrrev_b32_e32 v18, 16, v17
	v_add_f16_e32 v17, v17, v18
	s_delay_alu instid0(VALU_DEP_1) | instskip(SKIP_3) | instid1(SALU_CYCLE_1)
	v_add_f16_e32 v16, v17, v16
	global_store_b16 v[0:1], v16, off
	s_or_b32 exec_lo, exec_lo, s0
	s_and_b32 s1, s2, s8
	s_and_saveexec_b32 s0, s1
	s_cbranch_execz .LBB304_159
.LBB304_173:
	v_cmp_ne_u32_e32 vcc_lo, 1, v59
	v_lshlrev_b64 v[0:1], 1, v[28:29]
	s_cbranch_vccnz .LBB304_175
; %bb.174:
	s_delay_alu instid0(VALU_DEP_1) | instskip(NEXT) | instid1(VALU_DEP_2)
	v_add_co_u32 v16, vcc_lo, v22, v0
	v_add_co_ci_u32_e32 v17, vcc_lo, v23, v1, vcc_lo
	flat_load_u16 v16, v[16:17]
	s_waitcnt vmcnt(0) lgkmcnt(0)
	v_mul_f16_e32 v16, s19, v16
	s_branch .LBB304_176
.LBB304_175:
	v_mov_b32_e32 v16, 0
.LBB304_176:
	v_pk_max_f16 v17, v2, v2
	v_pk_max_f16 v12, v12, v12
	;; [unrolled: 1-line block ×4, first 2 shown]
	v_add_co_u32 v0, vcc_lo, v20, v0
	s_delay_alu instid0(VALU_DEP_4) | instskip(SKIP_1) | instid1(VALU_DEP_4)
	v_pk_min_f16 v12, v12, v17
	v_add_co_ci_u32_e32 v1, vcc_lo, v21, v1, vcc_lo
	v_pk_min_f16 v13, v13, v18
	s_delay_alu instid0(VALU_DEP_3) | instskip(NEXT) | instid1(VALU_DEP_1)
	v_pk_add_f16 v12, v47, v12
	v_pk_add_f16 v12, v12, v13
	s_delay_alu instid0(VALU_DEP_1) | instskip(NEXT) | instid1(VALU_DEP_1)
	v_lshrrev_b32_e32 v13, 16, v12
	v_add_f16_e32 v12, v12, v13
	s_delay_alu instid0(VALU_DEP_1) | instskip(SKIP_3) | instid1(SALU_CYCLE_1)
	v_add_f16_e32 v12, v12, v16
	global_store_b16 v[0:1], v12, off
	s_or_b32 exec_lo, exec_lo, s0
	s_and_b32 s1, s3, s8
	s_and_saveexec_b32 s0, s1
	s_cbranch_execz .LBB304_160
.LBB304_177:
	v_cmp_ne_u32_e32 vcc_lo, 1, v59
	v_lshlrev_b64 v[0:1], 1, v[30:31]
	s_cbranch_vccnz .LBB304_179
; %bb.178:
	s_delay_alu instid0(VALU_DEP_1) | instskip(NEXT) | instid1(VALU_DEP_2)
	v_add_co_u32 v12, vcc_lo, v22, v0
	v_add_co_ci_u32_e32 v13, vcc_lo, v23, v1, vcc_lo
	flat_load_u16 v12, v[12:13]
	s_waitcnt vmcnt(0) lgkmcnt(0)
	v_mul_f16_e32 v12, s19, v12
	s_branch .LBB304_180
.LBB304_179:
	v_mov_b32_e32 v12, 0
.LBB304_180:
	v_pk_max_f16 v13, v2, v2
	v_pk_max_f16 v14, v14, v14
	;; [unrolled: 1-line block ×4, first 2 shown]
	v_add_co_u32 v0, vcc_lo, v20, v0
	s_delay_alu instid0(VALU_DEP_4) | instskip(SKIP_1) | instid1(VALU_DEP_4)
	v_pk_min_f16 v13, v14, v13
	v_add_co_ci_u32_e32 v1, vcc_lo, v21, v1, vcc_lo
	v_pk_min_f16 v14, v15, v16
	s_delay_alu instid0(VALU_DEP_3) | instskip(NEXT) | instid1(VALU_DEP_1)
	v_pk_add_f16 v13, v46, v13
	v_pk_add_f16 v13, v13, v14
	s_delay_alu instid0(VALU_DEP_1) | instskip(NEXT) | instid1(VALU_DEP_1)
	v_lshrrev_b32_e32 v14, 16, v13
	v_add_f16_e32 v13, v13, v14
	s_delay_alu instid0(VALU_DEP_1) | instskip(SKIP_3) | instid1(SALU_CYCLE_1)
	v_add_f16_e32 v12, v13, v12
	global_store_b16 v[0:1], v12, off
	s_or_b32 exec_lo, exec_lo, s0
	s_and_b32 s1, s4, s8
	s_and_saveexec_b32 s0, s1
	s_cbranch_execz .LBB304_161
.LBB304_181:
	v_cmp_ne_u32_e32 vcc_lo, 1, v59
	v_lshlrev_b64 v[0:1], 1, v[32:33]
	s_cbranch_vccnz .LBB304_183
; %bb.182:
	s_delay_alu instid0(VALU_DEP_1) | instskip(NEXT) | instid1(VALU_DEP_2)
	v_add_co_u32 v12, vcc_lo, v22, v0
	v_add_co_ci_u32_e32 v13, vcc_lo, v23, v1, vcc_lo
	flat_load_u16 v12, v[12:13]
	s_waitcnt vmcnt(0) lgkmcnt(0)
	v_mul_f16_e32 v12, s19, v12
	s_branch .LBB304_184
.LBB304_183:
	v_mov_b32_e32 v12, 0
.LBB304_184:
	v_pk_max_f16 v13, v2, v2
	v_pk_max_f16 v8, v8, v8
	;; [unrolled: 1-line block ×4, first 2 shown]
	v_add_co_u32 v0, vcc_lo, v20, v0
	s_delay_alu instid0(VALU_DEP_4) | instskip(SKIP_1) | instid1(VALU_DEP_4)
	v_pk_min_f16 v8, v8, v13
	v_add_co_ci_u32_e32 v1, vcc_lo, v21, v1, vcc_lo
	v_pk_min_f16 v9, v9, v14
	s_delay_alu instid0(VALU_DEP_3) | instskip(NEXT) | instid1(VALU_DEP_1)
	v_pk_add_f16 v8, v45, v8
	v_pk_add_f16 v8, v8, v9
	s_delay_alu instid0(VALU_DEP_1) | instskip(NEXT) | instid1(VALU_DEP_1)
	v_lshrrev_b32_e32 v9, 16, v8
	v_add_f16_e32 v8, v8, v9
	s_delay_alu instid0(VALU_DEP_1) | instskip(SKIP_3) | instid1(SALU_CYCLE_1)
	v_add_f16_e32 v8, v8, v12
	global_store_b16 v[0:1], v8, off
	s_or_b32 exec_lo, exec_lo, s0
	s_and_b32 s1, s5, s8
	s_and_saveexec_b32 s0, s1
	s_cbranch_execz .LBB304_162
.LBB304_185:
	v_cmp_ne_u32_e32 vcc_lo, 1, v59
	v_lshlrev_b64 v[0:1], 1, v[34:35]
	s_cbranch_vccnz .LBB304_187
; %bb.186:
	s_delay_alu instid0(VALU_DEP_1) | instskip(NEXT) | instid1(VALU_DEP_2)
	v_add_co_u32 v8, vcc_lo, v22, v0
	v_add_co_ci_u32_e32 v9, vcc_lo, v23, v1, vcc_lo
	flat_load_u16 v8, v[8:9]
	s_waitcnt vmcnt(0) lgkmcnt(0)
	v_mul_f16_e32 v8, s19, v8
	s_branch .LBB304_188
.LBB304_187:
	v_mov_b32_e32 v8, 0
.LBB304_188:
	v_pk_max_f16 v9, v2, v2
	v_pk_max_f16 v10, v10, v10
	;; [unrolled: 1-line block ×4, first 2 shown]
	v_add_co_u32 v0, vcc_lo, v20, v0
	s_delay_alu instid0(VALU_DEP_4) | instskip(SKIP_1) | instid1(VALU_DEP_4)
	v_pk_min_f16 v9, v10, v9
	v_add_co_ci_u32_e32 v1, vcc_lo, v21, v1, vcc_lo
	v_pk_min_f16 v10, v11, v12
	s_delay_alu instid0(VALU_DEP_3) | instskip(NEXT) | instid1(VALU_DEP_1)
	v_pk_add_f16 v9, v44, v9
	v_pk_add_f16 v9, v9, v10
	s_delay_alu instid0(VALU_DEP_1) | instskip(NEXT) | instid1(VALU_DEP_1)
	v_lshrrev_b32_e32 v10, 16, v9
	v_add_f16_e32 v9, v9, v10
	s_delay_alu instid0(VALU_DEP_1) | instskip(SKIP_3) | instid1(SALU_CYCLE_1)
	v_add_f16_e32 v8, v9, v8
	global_store_b16 v[0:1], v8, off
	s_or_b32 exec_lo, exec_lo, s0
	s_and_b32 s1, s6, s8
	s_and_saveexec_b32 s0, s1
	s_cbranch_execz .LBB304_163
.LBB304_189:
	v_cmp_ne_u32_e32 vcc_lo, 1, v59
	v_lshlrev_b64 v[0:1], 1, v[36:37]
	s_cbranch_vccnz .LBB304_191
; %bb.190:
	s_delay_alu instid0(VALU_DEP_1) | instskip(NEXT) | instid1(VALU_DEP_2)
	v_add_co_u32 v8, vcc_lo, v22, v0
	v_add_co_ci_u32_e32 v9, vcc_lo, v23, v1, vcc_lo
	flat_load_u16 v8, v[8:9]
	s_waitcnt vmcnt(0) lgkmcnt(0)
	v_mul_f16_e32 v8, s19, v8
	s_branch .LBB304_192
.LBB304_191:
	v_mov_b32_e32 v8, 0
.LBB304_192:
	v_pk_max_f16 v9, v2, v2
	v_pk_max_f16 v4, v4, v4
	;; [unrolled: 1-line block ×4, first 2 shown]
	v_add_co_u32 v0, vcc_lo, v20, v0
	s_delay_alu instid0(VALU_DEP_4) | instskip(SKIP_1) | instid1(VALU_DEP_4)
	v_pk_min_f16 v4, v4, v9
	v_add_co_ci_u32_e32 v1, vcc_lo, v21, v1, vcc_lo
	v_pk_min_f16 v5, v5, v10
	s_delay_alu instid0(VALU_DEP_3) | instskip(NEXT) | instid1(VALU_DEP_1)
	v_pk_add_f16 v4, v43, v4
	v_pk_add_f16 v4, v4, v5
	s_delay_alu instid0(VALU_DEP_1) | instskip(NEXT) | instid1(VALU_DEP_1)
	v_lshrrev_b32_e32 v5, 16, v4
	v_add_f16_e32 v4, v4, v5
	s_delay_alu instid0(VALU_DEP_1) | instskip(SKIP_3) | instid1(SALU_CYCLE_1)
	v_add_f16_e32 v4, v4, v8
	global_store_b16 v[0:1], v4, off
	s_or_b32 exec_lo, exec_lo, s0
	s_and_b32 s0, s7, s8
	s_and_saveexec_b32 s1, s0
	s_cbranch_execz .LBB304_164
.LBB304_193:
	v_cmp_ne_u32_e32 vcc_lo, 1, v59
	v_lshlrev_b64 v[0:1], 1, v[38:39]
	s_cbranch_vccnz .LBB304_195
; %bb.194:
	s_delay_alu instid0(VALU_DEP_1) | instskip(NEXT) | instid1(VALU_DEP_2)
	v_add_co_u32 v4, vcc_lo, v22, v0
	v_add_co_ci_u32_e32 v5, vcc_lo, v23, v1, vcc_lo
	flat_load_u16 v4, v[4:5]
	s_waitcnt vmcnt(0) lgkmcnt(0)
	v_mul_f16_e32 v4, s19, v4
	s_branch .LBB304_196
.LBB304_195:
	v_mov_b32_e32 v4, 0
.LBB304_196:
	v_pk_max_f16 v2, v2, v2
	v_pk_max_f16 v5, v6, v6
	;; [unrolled: 1-line block ×4, first 2 shown]
	v_add_co_u32 v0, vcc_lo, v20, v0
	s_delay_alu instid0(VALU_DEP_4) | instskip(SKIP_1) | instid1(VALU_DEP_4)
	v_pk_min_f16 v2, v5, v2
	v_add_co_ci_u32_e32 v1, vcc_lo, v21, v1, vcc_lo
	v_pk_min_f16 v3, v6, v3
	s_delay_alu instid0(VALU_DEP_3) | instskip(NEXT) | instid1(VALU_DEP_1)
	v_pk_add_f16 v2, v42, v2
	v_pk_add_f16 v2, v2, v3
	s_delay_alu instid0(VALU_DEP_1) | instskip(NEXT) | instid1(VALU_DEP_1)
	v_lshrrev_b32_e32 v3, 16, v2
	v_add_f16_e32 v2, v2, v3
	s_delay_alu instid0(VALU_DEP_1)
	v_add_f16_e32 v2, v2, v4
	global_store_b16 v[0:1], v2, off
	s_nop 0
	s_sendmsg sendmsg(MSG_DEALLOC_VGPRS)
	s_endpgm
	.section	.rodata,"a",@progbits
	.p2align	6, 0x0
	.amdhsa_kernel _ZN12_GLOBAL__N_120geam_min_plus_kernelIDF16_Dv2_DF16_S1_Li8ELi32ELi64ELi128ELi4ELi4ELi64ELi64ELi4ELc84ELc84ELb1ELb1ELb0EDF16_KDF16_DF16_EEviiiT16_PT17_ilS5_ilS3_S5_ilPT18_ili26rocblas_geam_ex_operation_
		.amdhsa_group_segment_fixed_size 3072
		.amdhsa_private_segment_fixed_size 0
		.amdhsa_kernarg_size 128
		.amdhsa_user_sgpr_count 14
		.amdhsa_user_sgpr_dispatch_ptr 0
		.amdhsa_user_sgpr_queue_ptr 0
		.amdhsa_user_sgpr_kernarg_segment_ptr 1
		.amdhsa_user_sgpr_dispatch_id 0
		.amdhsa_user_sgpr_private_segment_size 0
		.amdhsa_wavefront_size32 1
		.amdhsa_uses_dynamic_stack 0
		.amdhsa_enable_private_segment 0
		.amdhsa_system_sgpr_workgroup_id_x 1
		.amdhsa_system_sgpr_workgroup_id_y 0
		.amdhsa_system_sgpr_workgroup_id_z 1
		.amdhsa_system_sgpr_workgroup_info 0
		.amdhsa_system_vgpr_workitem_id 1
		.amdhsa_next_free_vgpr 122
		.amdhsa_next_free_sgpr 27
		.amdhsa_reserve_vcc 1
		.amdhsa_float_round_mode_32 0
		.amdhsa_float_round_mode_16_64 0
		.amdhsa_float_denorm_mode_32 3
		.amdhsa_float_denorm_mode_16_64 3
		.amdhsa_dx10_clamp 1
		.amdhsa_ieee_mode 1
		.amdhsa_fp16_overflow 0
		.amdhsa_workgroup_processor_mode 1
		.amdhsa_memory_ordered 1
		.amdhsa_forward_progress 0
		.amdhsa_shared_vgpr_count 0
		.amdhsa_exception_fp_ieee_invalid_op 0
		.amdhsa_exception_fp_denorm_src 0
		.amdhsa_exception_fp_ieee_div_zero 0
		.amdhsa_exception_fp_ieee_overflow 0
		.amdhsa_exception_fp_ieee_underflow 0
		.amdhsa_exception_fp_ieee_inexact 0
		.amdhsa_exception_int_div_zero 0
	.end_amdhsa_kernel
	.section	.text._ZN12_GLOBAL__N_120geam_min_plus_kernelIDF16_Dv2_DF16_S1_Li8ELi32ELi64ELi128ELi4ELi4ELi64ELi64ELi4ELc84ELc84ELb1ELb1ELb0EDF16_KDF16_DF16_EEviiiT16_PT17_ilS5_ilS3_S5_ilPT18_ili26rocblas_geam_ex_operation_,"axG",@progbits,_ZN12_GLOBAL__N_120geam_min_plus_kernelIDF16_Dv2_DF16_S1_Li8ELi32ELi64ELi128ELi4ELi4ELi64ELi64ELi4ELc84ELc84ELb1ELb1ELb0EDF16_KDF16_DF16_EEviiiT16_PT17_ilS5_ilS3_S5_ilPT18_ili26rocblas_geam_ex_operation_,comdat
.Lfunc_end304:
	.size	_ZN12_GLOBAL__N_120geam_min_plus_kernelIDF16_Dv2_DF16_S1_Li8ELi32ELi64ELi128ELi4ELi4ELi64ELi64ELi4ELc84ELc84ELb1ELb1ELb0EDF16_KDF16_DF16_EEviiiT16_PT17_ilS5_ilS3_S5_ilPT18_ili26rocblas_geam_ex_operation_, .Lfunc_end304-_ZN12_GLOBAL__N_120geam_min_plus_kernelIDF16_Dv2_DF16_S1_Li8ELi32ELi64ELi128ELi4ELi4ELi64ELi64ELi4ELc84ELc84ELb1ELb1ELb0EDF16_KDF16_DF16_EEviiiT16_PT17_ilS5_ilS3_S5_ilPT18_ili26rocblas_geam_ex_operation_
                                        ; -- End function
	.section	.AMDGPU.csdata,"",@progbits
; Kernel info:
; codeLenInByte = 12768
; NumSgprs: 29
; NumVgprs: 122
; ScratchSize: 0
; MemoryBound: 0
; FloatMode: 240
; IeeeMode: 1
; LDSByteSize: 3072 bytes/workgroup (compile time only)
; SGPRBlocks: 3
; VGPRBlocks: 15
; NumSGPRsForWavesPerEU: 29
; NumVGPRsForWavesPerEU: 122
; Occupancy: 10
; WaveLimiterHint : 0
; COMPUTE_PGM_RSRC2:SCRATCH_EN: 0
; COMPUTE_PGM_RSRC2:USER_SGPR: 14
; COMPUTE_PGM_RSRC2:TRAP_HANDLER: 0
; COMPUTE_PGM_RSRC2:TGID_X_EN: 1
; COMPUTE_PGM_RSRC2:TGID_Y_EN: 0
; COMPUTE_PGM_RSRC2:TGID_Z_EN: 1
; COMPUTE_PGM_RSRC2:TIDIG_COMP_CNT: 1
	.section	.text._ZN12_GLOBAL__N_120geam_min_plus_kernelIDF16_Dv2_DF16_S1_Li8ELi32ELi64ELi128ELi4ELi4ELi64ELi64ELi4ELc84ELc84ELb0ELb1ELb0EDF16_KDF16_DF16_EEviiiT16_PT17_ilS5_ilS3_S5_ilPT18_ili26rocblas_geam_ex_operation_,"axG",@progbits,_ZN12_GLOBAL__N_120geam_min_plus_kernelIDF16_Dv2_DF16_S1_Li8ELi32ELi64ELi128ELi4ELi4ELi64ELi64ELi4ELc84ELc84ELb0ELb1ELb0EDF16_KDF16_DF16_EEviiiT16_PT17_ilS5_ilS3_S5_ilPT18_ili26rocblas_geam_ex_operation_,comdat
	.globl	_ZN12_GLOBAL__N_120geam_min_plus_kernelIDF16_Dv2_DF16_S1_Li8ELi32ELi64ELi128ELi4ELi4ELi64ELi64ELi4ELc84ELc84ELb0ELb1ELb0EDF16_KDF16_DF16_EEviiiT16_PT17_ilS5_ilS3_S5_ilPT18_ili26rocblas_geam_ex_operation_ ; -- Begin function _ZN12_GLOBAL__N_120geam_min_plus_kernelIDF16_Dv2_DF16_S1_Li8ELi32ELi64ELi128ELi4ELi4ELi64ELi64ELi4ELc84ELc84ELb0ELb1ELb0EDF16_KDF16_DF16_EEviiiT16_PT17_ilS5_ilS3_S5_ilPT18_ili26rocblas_geam_ex_operation_
	.p2align	8
	.type	_ZN12_GLOBAL__N_120geam_min_plus_kernelIDF16_Dv2_DF16_S1_Li8ELi32ELi64ELi128ELi4ELi4ELi64ELi64ELi4ELc84ELc84ELb0ELb1ELb0EDF16_KDF16_DF16_EEviiiT16_PT17_ilS5_ilS3_S5_ilPT18_ili26rocblas_geam_ex_operation_,@function
_ZN12_GLOBAL__N_120geam_min_plus_kernelIDF16_Dv2_DF16_S1_Li8ELi32ELi64ELi128ELi4ELi4ELi64ELi64ELi4ELc84ELc84ELb0ELb1ELb0EDF16_KDF16_DF16_EEviiiT16_PT17_ilS5_ilS3_S5_ilPT18_ili26rocblas_geam_ex_operation_: ; @_ZN12_GLOBAL__N_120geam_min_plus_kernelIDF16_Dv2_DF16_S1_Li8ELi32ELi64ELi128ELi4ELi4ELi64ELi64ELi4ELc84ELc84ELb0ELb1ELb0EDF16_KDF16_DF16_EEviiiT16_PT17_ilS5_ilS3_S5_ilPT18_ili26rocblas_geam_ex_operation_
; %bb.0:
	s_clause 0x1
	s_load_b128 s[16:19], s[0:1], 0x0
	s_load_b128 s[4:7], s[0:1], 0x20
	s_waitcnt lgkmcnt(0)
	v_cmp_eq_f16_e64 s2, s19, 0
	v_cmp_neq_f16_e64 s23, s19, 0
	s_delay_alu instid0(VALU_DEP_2)
	s_and_b32 vcc_lo, exec_lo, s2
	s_cbranch_vccnz .LBB305_3
; %bb.1:
	s_load_b64 s[8:9], s[0:1], 0x10
	s_mul_i32 s3, s15, s5
	s_mul_hi_u32 s5, s15, s4
	s_mul_i32 s4, s15, s4
	s_add_i32 s5, s5, s3
	s_delay_alu instid0(SALU_CYCLE_1)
	s_lshl_b64 s[4:5], s[4:5], 1
	s_waitcnt lgkmcnt(0)
	s_add_u32 s12, s8, s4
	s_addc_u32 s13, s9, s5
	s_and_not1_b32 vcc_lo, exec_lo, s2
	s_cbranch_vccnz .LBB305_4
.LBB305_2:
	s_mov_b32 s22, 0
	s_mov_b64 s[8:9], 0
	s_cbranch_execz .LBB305_5
	s_branch .LBB305_6
.LBB305_3:
	s_mov_b64 s[12:13], 0
	s_and_not1_b32 vcc_lo, exec_lo, s2
	s_cbranch_vccz .LBB305_2
.LBB305_4:
	s_mov_b32 s22, -1
                                        ; implicit-def: $sgpr8_sgpr9
.LBB305_5:
	s_load_b64 s[2:3], s[0:1], 0x38
	s_mov_b32 s22, 0
	s_waitcnt lgkmcnt(0)
	s_mul_i32 s3, s15, s3
	s_mul_hi_u32 s4, s15, s2
	s_mul_i32 s2, s15, s2
	s_add_i32 s3, s4, s3
	s_delay_alu instid0(SALU_CYCLE_1) | instskip(NEXT) | instid1(SALU_CYCLE_1)
	s_lshl_b64 s[2:3], s[2:3], 1
	s_add_u32 s8, s6, s2
	s_addc_u32 s9, s7, s3
.LBB305_6:
	s_clause 0x1
	s_load_b32 s20, s[0:1], 0x40
	s_load_b128 s[4:7], s[0:1], 0x58
	s_waitcnt lgkmcnt(0)
	v_cmp_eq_f16_e64 s2, s20, 0
	v_cmp_neq_f16_e64 s21, s20, 0
	s_delay_alu instid0(VALU_DEP_2)
	s_and_b32 vcc_lo, exec_lo, s2
	s_cbranch_vccnz .LBB305_8
; %bb.7:
	s_load_b64 s[2:3], s[0:1], 0x48
	s_mul_i32 s5, s15, s5
	s_mul_hi_u32 s10, s15, s4
	s_delay_alu instid0(SALU_CYCLE_1) | instskip(SKIP_3) | instid1(SALU_CYCLE_1)
	s_add_i32 s5, s10, s5
	s_mul_i32 s10, s22, s4
	s_mul_i32 s4, s15, s4
	s_add_i32 s5, s5, s10
	s_lshl_b64 s[4:5], s[4:5], 1
	s_waitcnt lgkmcnt(0)
	s_add_u32 s10, s2, s4
	s_addc_u32 s11, s3, s5
	s_branch .LBB305_9
.LBB305_8:
	s_mov_b64 s[10:11], 0
.LBB305_9:
	s_add_i32 s2, s16, -1
	v_dual_mov_b32 v9, 0 :: v_dual_and_b32 v28, 0x3ff, v0
	s_ashr_i32 s3, s2, 31
	v_bfe_u32 v29, v0, 10, 10
	s_lshr_b32 s3, s3, 26
	s_load_b32 s29, s[0:1], 0x18
	s_add_i32 s2, s2, s3
	v_and_b32_e32 v30, 3, v28
	s_ashr_i32 s2, s2, 6
	v_lshl_add_u32 v0, v29, 3, v28
	s_add_i32 s4, s2, 1
	s_not_b32 s2, s2
	v_cvt_f32_u32_e32 v1, s4
	v_lshlrev_b32_e32 v2, 1, v30
	v_lshrrev_b32_e32 v7, 2, v0
	v_mov_b32_e32 v8, 0
	s_delay_alu instid0(VALU_DEP_4) | instskip(SKIP_2) | instid1(VALU_DEP_1)
	v_rcp_iflag_f32_e32 v1, v1
	s_waitcnt_depctr 0xfff
	v_mul_f32_e32 v1, 0x4f7ffffe, v1
	v_cvt_u32_f32_e32 v1, v1
	s_delay_alu instid0(VALU_DEP_1) | instskip(NEXT) | instid1(VALU_DEP_1)
	v_readfirstlane_b32 s3, v1
	s_mul_i32 s2, s2, s3
	s_delay_alu instid0(SALU_CYCLE_1) | instskip(NEXT) | instid1(SALU_CYCLE_1)
	s_mul_hi_u32 s2, s3, s2
	s_add_i32 s3, s3, s2
	s_delay_alu instid0(SALU_CYCLE_1) | instskip(NEXT) | instid1(SALU_CYCLE_1)
	s_mul_hi_u32 s2, s14, s3
	s_mul_i32 s3, s2, s4
	s_add_i32 s5, s2, 1
	s_sub_i32 s3, s14, s3
	s_delay_alu instid0(SALU_CYCLE_1)
	s_sub_i32 s24, s3, s4
	s_cmp_ge_u32 s3, s4
	s_cselect_b32 s2, s5, s2
	s_cselect_b32 s3, s24, s3
	s_add_i32 s5, s2, 1
	s_cmp_ge_u32 s3, s4
	s_cselect_b32 s3, s5, s2
	s_delay_alu instid0(SALU_CYCLE_1) | instskip(NEXT) | instid1(SALU_CYCLE_1)
	s_mul_i32 s2, s3, s4
	s_sub_i32 s2, s14, s2
	s_delay_alu instid0(SALU_CYCLE_1) | instskip(SKIP_2) | instid1(VALU_DEP_1)
	s_lshl_b32 s14, s2, 6
	v_cmp_gt_i32_e64 s2, s18, v30
	v_add_nc_u32_e32 v3, s14, v7
	v_cmp_gt_i32_e32 vcc_lo, s16, v3
	s_delay_alu instid0(VALU_DEP_3) | instskip(NEXT) | instid1(SALU_CYCLE_1)
	s_and_b32 s2, s2, vcc_lo
	s_and_b32 s2, s23, s2
	s_delay_alu instid0(SALU_CYCLE_1)
	s_and_saveexec_b32 s4, s2
	s_cbranch_execz .LBB305_11
; %bb.10:
	s_waitcnt lgkmcnt(0)
	v_mad_i64_i32 v[4:5], null, v3, s29, 0
	s_delay_alu instid0(VALU_DEP_1) | instskip(NEXT) | instid1(VALU_DEP_1)
	v_lshlrev_b64 v[4:5], 1, v[4:5]
	v_add_co_u32 v1, s2, s12, v4
	s_delay_alu instid0(VALU_DEP_1) | instskip(NEXT) | instid1(VALU_DEP_2)
	v_add_co_ci_u32_e64 v5, s2, s13, v5, s2
	v_add_co_u32 v4, s2, v1, v2
	s_delay_alu instid0(VALU_DEP_1)
	v_add_co_ci_u32_e64 v5, s2, 0, v5, s2
	flat_load_u16 v1, v[4:5]
	s_waitcnt vmcnt(0) lgkmcnt(0)
	v_mul_f16_e32 v9, s19, v1
.LBB305_11:
	s_or_b32 exec_lo, exec_lo, s4
	s_load_b32 s25, s[0:1], 0x30
	v_lshrrev_b32_e32 v31, 6, v0
	s_add_i32 s26, s18, -1
	v_and_b32_e32 v10, 63, v0
	s_lshl_b32 s24, s3, 7
	s_xor_b32 s27, s23, -1
	v_min_i32_e32 v1, s26, v31
	v_cmp_le_i32_e64 s4, s18, v31
	v_or_b32_e32 v0, s24, v10
	s_delay_alu instid0(VALU_DEP_1) | instskip(NEXT) | instid1(VALU_DEP_1)
	v_cmp_le_i32_e64 s2, s17, v0
	s_or_b32 s5, s2, s4
	s_waitcnt lgkmcnt(0)
	v_mad_i64_i32 v[4:5], null, s25, v1, 0
	v_ashrrev_i32_e32 v1, 31, v0
	s_delay_alu instid0(VALU_DEP_2) | instskip(NEXT) | instid1(VALU_DEP_1)
	v_lshlrev_b64 v[5:6], 1, v[4:5]
	v_add_co_u32 v5, s3, s8, v5
	s_delay_alu instid0(VALU_DEP_1) | instskip(SKIP_1) | instid1(SALU_CYCLE_1)
	v_add_co_ci_u32_e64 v6, s3, s9, v6, s3
	s_or_b32 s3, s5, s27
	s_xor_b32 s3, s3, -1
	s_delay_alu instid0(SALU_CYCLE_1)
	s_and_saveexec_b32 s5, s3
	s_cbranch_execz .LBB305_13
; %bb.12:
	v_lshlrev_b64 v[11:12], 1, v[0:1]
	s_delay_alu instid0(VALU_DEP_1) | instskip(NEXT) | instid1(VALU_DEP_1)
	v_add_co_u32 v11, s3, v5, v11
	v_add_co_ci_u32_e64 v12, s3, v6, v12, s3
	flat_load_u16 v4, v[11:12]
	s_waitcnt vmcnt(0) lgkmcnt(0)
	v_mul_f16_e32 v8, s19, v4
.LBB305_13:
	s_or_b32 exec_lo, exec_lo, s5
	v_or_b32_e32 v4, 64, v0
	v_mov_b32_e32 v11, 0
	s_delay_alu instid0(VALU_DEP_2) | instskip(SKIP_1) | instid1(VALU_DEP_2)
	v_cmp_le_i32_e64 s3, s17, v4
	v_mov_b32_e32 v4, 0
	s_or_b32 s4, s3, s4
	s_delay_alu instid0(SALU_CYCLE_1) | instskip(NEXT) | instid1(SALU_CYCLE_1)
	s_or_b32 s4, s4, s27
	s_xor_b32 s4, s4, -1
	s_delay_alu instid0(SALU_CYCLE_1)
	s_and_saveexec_b32 s5, s4
	s_cbranch_execz .LBB305_15
; %bb.14:
	v_lshlrev_b64 v[11:12], 1, v[0:1]
	s_delay_alu instid0(VALU_DEP_1) | instskip(NEXT) | instid1(VALU_DEP_1)
	v_add_co_u32 v5, s4, v5, v11
	v_add_co_ci_u32_e64 v6, s4, v6, v12, s4
	flat_load_u16 v5, v[5:6] offset:128
	s_waitcnt vmcnt(0) lgkmcnt(0)
	v_mul_f16_e32 v11, s19, v5
.LBB305_15:
	s_or_b32 exec_lo, exec_lo, s5
	v_or_b32_e32 v5, 4, v30
	s_delay_alu instid0(VALU_DEP_1) | instskip(NEXT) | instid1(VALU_DEP_1)
	v_cmp_gt_i32_e64 s4, s18, v5
	s_and_b32 s4, s4, vcc_lo
	s_delay_alu instid0(SALU_CYCLE_1) | instskip(NEXT) | instid1(SALU_CYCLE_1)
	s_and_b32 s4, s23, s4
	s_and_saveexec_b32 s5, s4
	s_cbranch_execz .LBB305_17
; %bb.16:
	v_mad_i64_i32 v[4:5], null, v3, s29, 0
	s_delay_alu instid0(VALU_DEP_1) | instskip(NEXT) | instid1(VALU_DEP_1)
	v_lshlrev_b64 v[4:5], 1, v[4:5]
	v_add_co_u32 v4, s4, s12, v4
	s_delay_alu instid0(VALU_DEP_1) | instskip(NEXT) | instid1(VALU_DEP_2)
	v_add_co_ci_u32_e64 v5, s4, s13, v5, s4
	v_add_co_u32 v4, s4, v4, v2
	s_delay_alu instid0(VALU_DEP_1)
	v_add_co_ci_u32_e64 v5, s4, 0, v5, s4
	flat_load_u16 v4, v[4:5] offset:8
	s_waitcnt vmcnt(0) lgkmcnt(0)
	v_mul_f16_e32 v4, s19, v4
.LBB305_17:
	s_or_b32 exec_lo, exec_lo, s5
	v_add_nc_u32_e32 v12, 4, v31
	s_delay_alu instid0(VALU_DEP_1) | instskip(SKIP_1) | instid1(VALU_DEP_2)
	v_min_i32_e32 v13, s26, v12
	v_cmp_le_i32_e64 s4, s18, v12
	v_mad_i64_i32 v[5:6], null, s25, v13, 0
	s_delay_alu instid0(VALU_DEP_2) | instskip(NEXT) | instid1(VALU_DEP_1)
	s_or_b32 s28, s2, s4
	v_lshlrev_b64 v[12:13], 1, v[5:6]
	v_dual_mov_b32 v5, 0 :: v_dual_mov_b32 v6, 0
	s_delay_alu instid0(VALU_DEP_2) | instskip(NEXT) | instid1(VALU_DEP_1)
	v_add_co_u32 v12, s5, s8, v12
	v_add_co_ci_u32_e64 v13, s5, s9, v13, s5
	s_or_b32 s5, s28, s27
	s_delay_alu instid0(SALU_CYCLE_1) | instskip(NEXT) | instid1(SALU_CYCLE_1)
	s_xor_b32 s5, s5, -1
	s_and_saveexec_b32 s28, s5
	s_cbranch_execz .LBB305_19
; %bb.18:
	v_lshlrev_b64 v[14:15], 1, v[0:1]
	s_delay_alu instid0(VALU_DEP_1) | instskip(NEXT) | instid1(VALU_DEP_1)
	v_add_co_u32 v14, s5, v12, v14
	v_add_co_ci_u32_e64 v15, s5, v13, v15, s5
	flat_load_u16 v6, v[14:15]
	s_waitcnt vmcnt(0) lgkmcnt(0)
	v_mul_f16_e32 v6, s19, v6
.LBB305_19:
	s_or_b32 exec_lo, exec_lo, s28
	s_or_b32 s4, s3, s4
	s_delay_alu instid0(SALU_CYCLE_1) | instskip(NEXT) | instid1(SALU_CYCLE_1)
	s_or_b32 s4, s4, s27
	s_xor_b32 s4, s4, -1
	s_delay_alu instid0(SALU_CYCLE_1)
	s_and_saveexec_b32 s5, s4
	s_cbranch_execz .LBB305_21
; %bb.20:
	v_lshlrev_b64 v[14:15], 1, v[0:1]
	s_delay_alu instid0(VALU_DEP_1) | instskip(NEXT) | instid1(VALU_DEP_1)
	v_add_co_u32 v12, s4, v12, v14
	v_add_co_ci_u32_e64 v13, s4, v13, v15, s4
	flat_load_u16 v5, v[12:13] offset:128
	s_waitcnt vmcnt(0) lgkmcnt(0)
	v_mul_f16_e32 v5, s19, v5
.LBB305_21:
	s_or_b32 exec_lo, exec_lo, s5
	v_lshlrev_b32_e32 v12, 1, v31
	v_lshlrev_b32_e32 v33, 3, v28
	;; [unrolled: 1-line block ×3, first 2 shown]
	v_lshl_or_b32 v7, v7, 3, v2
	s_mov_b32 s28, 0
	v_lshl_add_u32 v34, v10, 3, v12
	v_add_nc_u32_e32 v35, 0x800, v33
	s_cmp_lt_i32 s18, 9
	ds_store_b16 v34, v8
	ds_store_b16 v7, v9 offset:2048
	ds_store_b16 v34, v11 offset:512
	s_waitcnt lgkmcnt(0)
	s_barrier
	buffer_gl0_inv
	ds_load_2addr_b64 v[8:11], v32 offset1:32
	ds_load_2addr_b64 v[12:15], v35 offset0:48 offset1:56
	ds_load_2addr_b64 v[16:19], v32 offset0:64 offset1:96
	ds_load_2addr_b64 v[20:23], v35 offset1:8
	ds_load_2addr_b64 v[24:27], v35 offset0:16 offset1:24
	ds_load_2addr_b64 v[35:38], v35 offset0:32 offset1:40
	ds_store_b16 v34, v6 offset:1024
	ds_store_b16 v7, v4 offset:2560
	;; [unrolled: 1-line block ×3, first 2 shown]
	s_waitcnt lgkmcnt(0)
	s_barrier
	buffer_gl0_inv
	v_pk_max_f16 v8, v8, v8
	v_pk_max_f16 v10, v10, v10
	;; [unrolled: 1-line block ×8, first 2 shown]
	v_pk_min_f16 v48, v24, v8
	v_pk_min_f16 v49, v24, v10
	;; [unrolled: 1-line block ×3, first 2 shown]
	v_pk_max_f16 v20, v20, v20
	v_pk_max_f16 v22, v22, v22
	v_pk_add_f16 v51, v48, 0
	v_pk_min_f16 v48, v26, v8
	v_pk_add_f16 v52, v49, 0
	v_pk_min_f16 v49, v26, v10
	v_pk_min_f16 v39, v14, v8
	v_pk_add_f16 v53, v50, 0
	v_pk_add_f16 v54, v48, 0
	v_pk_min_f16 v48, v35, v8
	v_pk_min_f16 v50, v26, v16
	v_pk_add_f16 v59, v49, 0
	v_pk_min_f16 v49, v35, v10
	v_pk_max_f16 v37, v37, v37
	v_pk_add_f16 v61, v48, 0
	v_pk_min_f16 v48, v35, v16
	v_pk_min_f16 v35, v35, v18
	v_pk_max_f16 v12, v12, v12
	v_pk_max_f16 v9, v9, v9
	;; [unrolled: 1-line block ×3, first 2 shown]
	v_pk_min_f16 v40, v14, v10
	v_pk_min_f16 v41, v14, v16
	;; [unrolled: 1-line block ×7, first 2 shown]
	v_pk_add_f16 v39, v39, 0
	v_pk_min_f16 v46, v22, v10
	v_pk_min_f16 v47, v22, v16
	v_pk_min_f16 v22, v22, v18
	v_pk_min_f16 v24, v24, v18
	v_pk_min_f16 v26, v26, v18
	v_pk_add_f16 v60, v50, 0
	v_pk_add_f16 v62, v49, 0
	v_pk_min_f16 v49, v37, v8
	v_pk_min_f16 v50, v37, v10
	v_pk_add_f16 v69, v35, 0
	v_pk_min_f16 v35, v37, v16
	v_pk_min_f16 v37, v37, v18
	;; [unrolled: 1-line block ×6, first 2 shown]
	v_pk_max_f16 v11, v11, v11
	v_pk_min_f16 v14, v14, v18
	v_pk_max_f16 v17, v17, v17
	v_pk_min_f16 v18, v15, v9
	v_pk_add_f16 v40, v40, 0
	v_pk_add_f16 v41, v41, 0
	;; [unrolled: 1-line block ×4, first 2 shown]
	v_pk_min_f16 v35, v15, v11
	v_pk_min_f16 v37, v15, v17
	v_pk_max_f16 v21, v21, v21
	v_pk_add_f16 v68, v39, v18
	v_pk_max_f16 v18, v19, v19
	v_pk_add_f16 v42, v42, 0
	v_pk_add_f16 v20, v20, 0
	v_pk_add_f16 v71, v50, 0
	v_pk_add_f16 v58, v40, v35
	v_pk_add_f16 v50, v41, v37
	v_pk_min_f16 v19, v21, v9
	v_pk_min_f16 v35, v21, v11
	v_pk_min_f16 v37, v21, v17
	v_pk_min_f16 v21, v21, v18
	v_pk_max_f16 v23, v23, v23
	v_pk_add_f16 v45, v45, 0
	v_pk_add_f16 v46, v46, 0
	v_pk_add_f16 v47, v47, 0
	v_pk_add_f16 v22, v22, 0
	v_pk_add_f16 v70, v49, 0
	v_pk_add_f16 v41, v42, v19
	v_pk_add_f16 v49, v20, v21
	v_pk_min_f16 v19, v23, v9
	v_pk_min_f16 v20, v23, v11
	v_pk_min_f16 v21, v23, v17
	v_pk_min_f16 v23, v23, v18
	v_pk_max_f16 v25, v25, v25
	v_pk_add_f16 v44, v44, 0
	v_pk_add_f16 v24, v24, 0
	;; [unrolled: 12-line block ×4, first 2 shown]
	v_pk_add_f16 v63, v59, v20
	v_pk_add_f16 v54, v60, v21
	;; [unrolled: 1-line block ×3, first 2 shown]
	v_pk_min_f16 v19, v23, v9
	v_pk_min_f16 v20, v23, v11
	;; [unrolled: 1-line block ×4, first 2 shown]
	v_pk_max_f16 v23, v38, v38
	v_pk_max_f16 v13, v13, v13
	v_pk_add_f16 v8, v8, 0
	v_pk_add_f16 v10, v10, 0
	;; [unrolled: 1-line block ×9, first 2 shown]
	v_pk_min_f16 v19, v23, v9
	v_pk_min_f16 v20, v23, v11
	;; [unrolled: 1-line block ×9, first 2 shown]
	v_pk_add_f16 v38, v70, v19
	v_pk_add_f16 v61, v71, v20
	;; [unrolled: 1-line block ×9, first 2 shown]
	s_cbranch_scc1 .LBB305_36
; %bb.22:
	v_mad_i64_i32 v[4:5], null, s29, v3, 0
	v_lshlrev_b64 v[24:25], 1, v[0:1]
	v_add_nc_u32_e32 v59, 0x800, v7
	v_add_nc_u32_e32 v66, 0x800, v33
	;; [unrolled: 1-line block ×3, first 2 shown]
	v_or_b32_e32 v70, 0x400, v34
	v_lshl_add_u32 v71, v28, 3, 0xa00
	v_lshlrev_b64 v[3:4], 1, v[4:5]
	v_lshl_add_u32 v72, v29, 3, 0x400
	s_delay_alu instid0(VALU_DEP_2) | instskip(NEXT) | instid1(VALU_DEP_1)
	v_add_co_u32 v2, s4, v3, v2
	v_add_co_ci_u32_e64 v3, s4, 0, v4, s4
	s_delay_alu instid0(VALU_DEP_2) | instskip(NEXT) | instid1(VALU_DEP_1)
	v_add_co_u32 v2, s4, v2, s12
	v_add_co_ci_u32_e64 v3, s4, s13, v3, s4
	s_add_i32 s12, s18, -8
	s_delay_alu instid0(VALU_DEP_2) | instskip(NEXT) | instid1(VALU_DEP_1)
	v_add_co_u32 v26, s4, v2, 24
	v_add_co_ci_u32_e64 v27, s4, 0, v3, s4
	s_branch .LBB305_24
.LBB305_23:                             ;   in Loop: Header=BB305_24 Depth=1
	s_or_b32 exec_lo, exec_lo, s5
	v_pk_add_f16 v14, v41, v14
	v_pk_add_f16 v8, v39, v8
	;; [unrolled: 1-line block ×26, first 2 shown]
	ds_load_2addr_b64 v[37:40], v66 offset0:48 offset1:56
	ds_load_2addr_b64 v[41:44], v32 offset1:32
	v_pk_add_f16 v9, v47, v9
	ds_load_2addr_b64 v[45:48], v32 offset0:64 offset1:96
	v_pk_add_f16 v12, v58, v12
	v_pk_add_f16 v4, v35, v4
	;; [unrolled: 1-line block ×7, first 2 shown]
	ds_load_2addr_b64 v[49:52], v66 offset1:8
	v_pk_add_f16 v2, v68, v2
	v_pk_add_f16 v53, v53, v87
	;; [unrolled: 1-line block ×8, first 2 shown]
	s_waitcnt lgkmcnt(3)
	v_pk_max_f16 v39, v39, v39
	s_waitcnt lgkmcnt(2)
	v_pk_max_f16 v41, v41, v41
	v_pk_max_f16 v43, v43, v43
	s_waitcnt lgkmcnt(1)
	v_pk_max_f16 v45, v45, v45
	v_pk_add_f16 v82, v6, v103
	v_pk_add_f16 v53, v53, v3
	;; [unrolled: 1-line block ×7, first 2 shown]
	v_pk_min_f16 v5, v39, v41
	v_pk_min_f16 v6, v39, v43
	;; [unrolled: 1-line block ×3, first 2 shown]
	ds_load_2addr_b64 v[1:4], v66 offset0:16 offset1:24
	s_waitcnt lgkmcnt(1)
	v_pk_max_f16 v8, v49, v49
	v_pk_max_f16 v47, v47, v47
	v_pk_add_f16 v14, v14, v107
	v_pk_add_f16 v18, v18, v108
	v_pk_add_f16 v20, v20, v109
	v_pk_add_f16 v22, v22, v110
	v_pk_add_f16 v49, v67, v5
	v_pk_add_f16 v12, v12, v6
	v_pk_add_f16 v16, v16, v7
	v_pk_min_f16 v5, v8, v41
	v_pk_min_f16 v6, v8, v43
	;; [unrolled: 1-line block ×4, first 2 shown]
	v_pk_max_f16 v51, v51, v51
	v_pk_add_f16 v14, v14, v5
	v_pk_add_f16 v18, v18, v6
	;; [unrolled: 1-line block ×4, first 2 shown]
	ds_load_2addr_b64 v[5:8], v66 offset0:32 offset1:40
	v_pk_add_f16 v60, v60, v94
	v_pk_add_f16 v15, v58, v15
	v_pk_min_f16 v58, v51, v41
	s_waitcnt lgkmcnt(1)
	v_pk_max_f16 v1, v1, v1
	v_pk_add_f16 v19, v62, v19
	v_pk_add_f16 v21, v60, v21
	v_pk_min_f16 v60, v51, v43
	v_pk_add_f16 v62, v68, v58
	v_pk_min_f16 v58, v1, v41
	v_pk_max_f16 v3, v3, v3
	v_pk_add_f16 v36, v36, v86
	v_pk_add_f16 v35, v35, v98
	v_pk_add_f16 v17, v61, v17
	v_pk_min_f16 v61, v51, v45
	v_pk_add_f16 v60, v75, v60
	v_pk_add_f16 v75, v78, v58
	v_pk_min_f16 v58, v3, v43
	v_pk_add_f16 v10, v10, v116
	v_pk_add_f16 v36, v36, v101
	s_waitcnt lgkmcnt(0)
	v_pk_max_f16 v5, v5, v5
	v_pk_add_f16 v23, v63, v23
	v_pk_add_f16 v61, v76, v61
	v_pk_min_f16 v63, v1, v43
	v_pk_min_f16 v64, v1, v45
	;; [unrolled: 1-line block ×3, first 2 shown]
	v_pk_add_f16 v76, v35, v58
	v_pk_min_f16 v35, v5, v41
	v_pk_add_f16 v54, v54, v100
	v_pk_add_f16 v10, v10, v63
	;; [unrolled: 1-line block ×4, first 2 shown]
	v_pk_min_f16 v9, v3, v41
	v_pk_min_f16 v64, v3, v45
	;; [unrolled: 1-line block ×3, first 2 shown]
	v_pk_add_f16 v36, v36, v35
	v_pk_min_f16 v35, v5, v45
	v_pk_max_f16 v7, v7, v7
	v_pk_max_f16 v40, v40, v40
	v_pk_add_f16 v3, v54, v3
	v_pk_min_f16 v54, v5, v43
	v_pk_add_f16 v53, v53, v35
	v_pk_max_f16 v35, v37, v37
	v_pk_min_f16 v58, v7, v43
	v_pk_min_f16 v37, v7, v45
	v_pk_add_f16 v78, v82, v54
	v_pk_min_f16 v54, v7, v41
	v_pk_min_f16 v7, v7, v47
	v_pk_min_f16 v41, v35, v41
	v_pk_min_f16 v43, v35, v43
	v_pk_min_f16 v45, v35, v45
	v_pk_max_f16 v79, v46, v46
	v_pk_add_f16 v7, v17, v7
	v_pk_add_f16 v17, v19, v41
	;; [unrolled: 1-line block ×4, first 2 shown]
	v_pk_min_f16 v23, v35, v47
	v_pk_max_f16 v43, v44, v44
	v_pk_min_f16 v35, v39, v47
	v_pk_add_f16 v9, v80, v9
	v_pk_max_f16 v42, v42, v42
	v_pk_max_f16 v41, v50, v50
	v_pk_min_f16 v39, v40, v43
	v_pk_add_f16 v80, v57, v35
	v_pk_min_f16 v35, v40, v79
	v_pk_add_f16 v13, v13, v58
	v_pk_add_f16 v15, v15, v37
	v_pk_min_f16 v37, v40, v42
	v_pk_add_f16 v58, v12, v39
	v_pk_max_f16 v12, v48, v48
	v_pk_add_f16 v50, v16, v35
	v_pk_min_f16 v16, v41, v42
	v_pk_min_f16 v35, v41, v43
	v_pk_max_f16 v44, v52, v52
	v_pk_add_f16 v68, v49, v37
	v_pk_min_f16 v37, v41, v79
	v_pk_min_f16 v39, v41, v12
	v_pk_add_f16 v41, v14, v16
	v_pk_add_f16 v67, v18, v35
	v_pk_min_f16 v14, v44, v42
	v_pk_min_f16 v16, v44, v43
	;; [unrolled: 1-line block ×3, first 2 shown]
	v_pk_max_f16 v2, v2, v2
	v_pk_min_f16 v51, v51, v47
	v_pk_add_f16 v23, v56, v23
	v_pk_add_f16 v49, v22, v39
	;; [unrolled: 1-line block ×5, first 2 shown]
	v_pk_min_f16 v14, v2, v42
	v_pk_min_f16 v16, v2, v43
	;; [unrolled: 1-line block ×4, first 2 shown]
	v_pk_max_f16 v4, v4, v4
	v_pk_add_f16 v51, v77, v51
	v_pk_add_f16 v77, v81, v64
	v_pk_min_f16 v5, v5, v47
	v_pk_add_f16 v64, v10, v16
	v_pk_add_f16 v47, v1, v2
	v_pk_min_f16 v1, v4, v42
	v_pk_min_f16 v2, v4, v43
	;; [unrolled: 1-line block ×4, first 2 shown]
	v_pk_max_f16 v6, v6, v6
	v_pk_add_f16 v5, v55, v5
	v_pk_add_f16 v55, v63, v18
	;; [unrolled: 1-line block ×5, first 2 shown]
	v_pk_min_f16 v1, v6, v42
	v_pk_min_f16 v2, v6, v43
	;; [unrolled: 1-line block ×4, first 2 shown]
	v_pk_max_f16 v6, v8, v8
	v_pk_add_f16 v11, v11, v54
	v_pk_add_f16 v36, v36, v1
	;; [unrolled: 1-line block ×5, first 2 shown]
	v_pk_min_f16 v1, v6, v42
	v_pk_min_f16 v2, v6, v43
	;; [unrolled: 1-line block ×4, first 2 shown]
	v_pk_max_f16 v5, v38, v38
	v_pk_add_f16 v57, v20, v37
	v_pk_min_f16 v20, v44, v12
	v_pk_add_f16 v38, v11, v1
	v_pk_add_f16 v61, v13, v2
	;; [unrolled: 1-line block ×4, first 2 shown]
	v_pk_min_f16 v1, v5, v42
	v_pk_min_f16 v2, v5, v43
	;; [unrolled: 1-line block ×5, first 2 shown]
	v_add_co_u32 v26, s4, v26, 16
	v_pk_add_f16 v48, v51, v20
	v_pk_add_f16 v37, v75, v14
	;; [unrolled: 1-line block ×8, first 2 shown]
	v_add_co_ci_u32_e64 v27, s4, 0, v27, s4
	s_add_i32 s28, s28, 8
	ds_store_b16 v69, v73
	ds_store_b16 v70, v74
	ds_store_b16 v70, v0 offset:512
	s_cmp_ge_i32 s28, s12
	s_waitcnt lgkmcnt(0)
	s_barrier
	buffer_gl0_inv
	s_cbranch_scc1 .LBB305_36
.LBB305_24:                             ; =>This Inner Loop Header: Depth=1
	v_dual_mov_b32 v74, 0 :: v_dual_add_nc_u32 v73, s28, v30
	s_delay_alu instid0(VALU_DEP_1) | instskip(NEXT) | instid1(VALU_DEP_1)
	v_add_nc_u32_e32 v0, 8, v73
	v_cmp_gt_i32_e64 s4, s18, v0
	s_delay_alu instid0(VALU_DEP_1) | instskip(NEXT) | instid1(SALU_CYCLE_1)
	s_and_b32 s4, s4, vcc_lo
	s_and_b32 s4, s23, s4
	s_delay_alu instid0(SALU_CYCLE_1)
	s_and_saveexec_b32 s5, s4
	s_cbranch_execz .LBB305_26
; %bb.25:                               ;   in Loop: Header=BB305_24 Depth=1
	v_add_co_u32 v0, s4, -8, v26
	s_delay_alu instid0(VALU_DEP_1)
	v_add_co_ci_u32_e64 v1, s4, -1, v27, s4
	flat_load_u16 v0, v[0:1]
	s_waitcnt vmcnt(0) lgkmcnt(0)
	v_mul_f16_e32 v74, s19, v0
.LBB305_26:                             ;   in Loop: Header=BB305_24 Depth=1
	s_or_b32 exec_lo, exec_lo, s5
	v_dual_mov_b32 v76, 0 :: v_dual_add_nc_u32 v75, s28, v31
	s_delay_alu instid0(VALU_DEP_1) | instskip(NEXT) | instid1(VALU_DEP_1)
	v_dual_mov_b32 v77, 0 :: v_dual_add_nc_u32 v2, 8, v75
	v_min_i32_e32 v3, s26, v2
	v_cmp_le_i32_e64 s4, s18, v2
	s_delay_alu instid0(VALU_DEP_2) | instskip(NEXT) | instid1(VALU_DEP_2)
	v_mad_i64_i32 v[0:1], null, v3, s25, 0
	s_or_b32 s13, s2, s4
	s_delay_alu instid0(VALU_DEP_1) | instskip(NEXT) | instid1(VALU_DEP_1)
	v_lshlrev_b64 v[0:1], 1, v[0:1]
	v_add_co_u32 v0, s5, s8, v0
	s_delay_alu instid0(VALU_DEP_1) | instskip(SKIP_1) | instid1(SALU_CYCLE_1)
	v_add_co_ci_u32_e64 v1, s5, s9, v1, s5
	s_or_b32 s5, s13, s27
	s_xor_b32 s5, s5, -1
	s_delay_alu instid0(SALU_CYCLE_1)
	s_and_saveexec_b32 s13, s5
	s_cbranch_execz .LBB305_28
; %bb.27:                               ;   in Loop: Header=BB305_24 Depth=1
	v_add_co_u32 v2, s5, v0, v24
	s_delay_alu instid0(VALU_DEP_1)
	v_add_co_ci_u32_e64 v3, s5, v1, v25, s5
	flat_load_u16 v2, v[2:3]
	s_waitcnt vmcnt(0) lgkmcnt(0)
	v_mul_f16_e32 v77, s19, v2
.LBB305_28:                             ;   in Loop: Header=BB305_24 Depth=1
	s_or_b32 exec_lo, exec_lo, s13
	s_or_b32 s4, s3, s4
	s_delay_alu instid0(SALU_CYCLE_1) | instskip(NEXT) | instid1(SALU_CYCLE_1)
	s_or_b32 s4, s4, s27
	s_xor_b32 s4, s4, -1
	s_delay_alu instid0(SALU_CYCLE_1)
	s_and_saveexec_b32 s5, s4
	s_cbranch_execz .LBB305_30
; %bb.29:                               ;   in Loop: Header=BB305_24 Depth=1
	v_add_co_u32 v0, s4, v0, v24
	s_delay_alu instid0(VALU_DEP_1)
	v_add_co_ci_u32_e64 v1, s4, v1, v25, s4
	flat_load_u16 v0, v[0:1] offset:128
	s_waitcnt vmcnt(0) lgkmcnt(0)
	v_mul_f16_e32 v76, s19, v0
.LBB305_30:                             ;   in Loop: Header=BB305_24 Depth=1
	s_or_b32 exec_lo, exec_lo, s5
	ds_load_2addr_b64 v[0:3], v71 offset0:48 offset1:56
	ds_load_2addr_b64 v[12:15], v72 offset0:64 offset1:96
	ds_load_2addr_b64 v[20:23], v72 offset1:32
	ds_load_2addr_b64 v[16:19], v71 offset1:8
	ds_load_2addr_b64 v[8:11], v71 offset0:16 offset1:24
	ds_load_2addr_b64 v[4:7], v71 offset0:32 offset1:40
	v_add_nc_u32_e32 v73, 12, v73
	ds_store_b16 v59, v74
	ds_store_b16 v34, v77
	ds_store_b16 v34, v76 offset:512
	v_mov_b32_e32 v74, 0
	s_waitcnt lgkmcnt(0)
	s_barrier
	v_cmp_gt_i32_e64 s4, s18, v73
	v_mov_b32_e32 v73, 0
	buffer_gl0_inv
	s_and_b32 s4, s4, vcc_lo
	s_delay_alu instid0(SALU_CYCLE_1) | instskip(NEXT) | instid1(SALU_CYCLE_1)
	s_and_b32 s5, s23, s4
	s_and_saveexec_b32 s4, s5
	s_cbranch_execz .LBB305_32
; %bb.31:                               ;   in Loop: Header=BB305_24 Depth=1
	flat_load_u16 v73, v[26:27]
	s_waitcnt vmcnt(0) lgkmcnt(0)
	v_mul_f16_e32 v73, s19, v73
.LBB305_32:                             ;   in Loop: Header=BB305_24 Depth=1
	s_or_b32 exec_lo, exec_lo, s4
	v_add_nc_u32_e32 v77, 12, v75
	s_delay_alu instid0(VALU_DEP_1) | instskip(SKIP_1) | instid1(VALU_DEP_2)
	v_min_i32_e32 v78, s26, v77
	v_cmp_le_i32_e64 s4, s18, v77
	v_mad_i64_i32 v[75:76], null, v78, s25, 0
	s_delay_alu instid0(VALU_DEP_2) | instskip(NEXT) | instid1(VALU_DEP_1)
	s_or_b32 s13, s2, s4
	v_lshlrev_b64 v[75:76], 1, v[75:76]
	s_delay_alu instid0(VALU_DEP_1) | instskip(NEXT) | instid1(VALU_DEP_1)
	v_add_co_u32 v75, s5, s8, v75
	v_add_co_ci_u32_e64 v76, s5, s9, v76, s5
	s_or_b32 s5, s13, s27
	s_delay_alu instid0(SALU_CYCLE_1) | instskip(NEXT) | instid1(SALU_CYCLE_1)
	s_xor_b32 s5, s5, -1
	s_and_saveexec_b32 s13, s5
	s_cbranch_execz .LBB305_34
; %bb.33:                               ;   in Loop: Header=BB305_24 Depth=1
	v_add_co_u32 v77, s5, v75, v24
	s_delay_alu instid0(VALU_DEP_1)
	v_add_co_ci_u32_e64 v78, s5, v76, v25, s5
	flat_load_u16 v74, v[77:78]
	s_waitcnt vmcnt(0) lgkmcnt(0)
	v_mul_f16_e32 v74, s19, v74
.LBB305_34:                             ;   in Loop: Header=BB305_24 Depth=1
	s_or_b32 exec_lo, exec_lo, s13
	v_pk_max_f16 v97, v2, v2
	v_pk_max_f16 v93, v20, v20
	;; [unrolled: 1-line block ×12, first 2 shown]
	v_pk_min_f16 v2, v97, v93
	v_pk_min_f16 v12, v97, v94
	;; [unrolled: 1-line block ×25, first 2 shown]
	v_pk_max_f16 v0, v3, v3
	v_pk_max_f16 v21, v21, v21
	;; [unrolled: 1-line block ×9, first 2 shown]
	v_pk_min_f16 v107, v3, v21
	v_pk_min_f16 v108, v3, v23
	;; [unrolled: 1-line block ×4, first 2 shown]
	v_pk_max_f16 v3, v9, v9
	v_pk_max_f16 v7, v7, v7
	v_pk_max_f16 v1, v1, v1
	s_or_b32 s4, s3, s4
	v_pk_min_f16 v22, v22, v98
	v_pk_min_f16 v79, v79, v98
	;; [unrolled: 1-line block ×35, first 2 shown]
	v_mov_b32_e32 v0, 0
	s_or_b32 s4, s4, s27
	s_delay_alu instid0(SALU_CYCLE_1) | instskip(NEXT) | instid1(SALU_CYCLE_1)
	s_xor_b32 s4, s4, -1
	s_and_saveexec_b32 s5, s4
	s_cbranch_execz .LBB305_23
; %bb.35:                               ;   in Loop: Header=BB305_24 Depth=1
	v_add_co_u32 v75, s4, v75, v24
	s_delay_alu instid0(VALU_DEP_1)
	v_add_co_ci_u32_e64 v76, s4, v76, v25, s4
	flat_load_u16 v0, v[75:76] offset:128
	s_waitcnt vmcnt(0) lgkmcnt(0)
	v_mul_f16_e32 v0, s19, v0
	s_branch .LBB305_23
.LBB305_36:
	s_clause 0x2
	s_load_b64 s[2:3], s[0:1], 0x70
	s_load_b32 s12, s[0:1], 0x50
	s_load_b32 s9, s[0:1], 0x68
	v_add_nc_u32_e32 v66, s24, v29
	v_add_nc_u32_e32 v8, 0x800, v33
	ds_load_2addr_b64 v[0:3], v32 offset0:192 offset1:224
	ds_load_2addr_b64 v[20:23], v32 offset0:128 offset1:160
	v_add_nc_u32_e32 v24, s14, v28
	ds_load_2addr_b64 v[4:7], v8 offset0:112 offset1:120
	ds_load_2addr_b64 v[16:19], v8 offset0:64 offset1:72
	ds_load_2addr_b64 v[12:15], v8 offset0:80 offset1:88
	ds_load_2addr_b64 v[8:11], v8 offset0:96 offset1:104
	v_cmp_gt_i32_e64 s8, s17, v66
	v_cndmask_b32_e64 v59, 0, 1, s21
	s_waitcnt lgkmcnt(0)
	s_mul_i32 s0, s15, s3
	v_mad_i64_i32 v[25:26], null, v66, s12, 0
	v_mad_i64_i32 v[27:28], null, v66, s9, 0
	s_mul_hi_u32 s1, s15, s2
	s_mul_i32 s3, s22, s2
	s_add_i32 s1, s1, s0
	s_mul_i32 s0, s15, s2
	s_delay_alu instid0(VALU_DEP_2) | instskip(SKIP_1) | instid1(VALU_DEP_2)
	v_lshlrev_b64 v[25:26], 1, v[25:26]
	s_add_i32 s1, s1, s3
	v_lshlrev_b64 v[27:28], 1, v[27:28]
	s_lshl_b64 s[0:1], s[0:1], 1
	s_delay_alu instid0(SALU_CYCLE_1) | instskip(NEXT) | instid1(VALU_DEP_2)
	s_add_u32 s13, s6, s0
	v_add_co_u32 v71, vcc_lo, s10, v25
	v_add_co_ci_u32_e32 v72, vcc_lo, s11, v26, vcc_lo
	s_addc_u32 s14, s7, s1
	v_add_co_u32 v69, vcc_lo, s13, v27
	v_cmp_gt_i32_e64 s0, s16, v24
	v_add_co_ci_u32_e32 v70, vcc_lo, s14, v28, vcc_lo
	v_ashrrev_i32_e32 v25, 31, v24
	s_delay_alu instid0(VALU_DEP_3) | instskip(NEXT) | instid1(SALU_CYCLE_1)
	s_and_b32 s2, s0, s8
	s_and_saveexec_b32 s1, s2
	s_cbranch_execz .LBB305_41
; %bb.37:
	s_delay_alu instid0(VALU_DEP_1)
	v_lshlrev_b64 v[26:27], 1, v[24:25]
	s_and_not1_b32 vcc_lo, exec_lo, s21
	s_cbranch_vccnz .LBB305_39
; %bb.38:
	s_delay_alu instid0(VALU_DEP_1) | instskip(NEXT) | instid1(VALU_DEP_2)
	v_add_co_u32 v28, vcc_lo, v71, v26
	v_add_co_ci_u32_e32 v29, vcc_lo, v72, v27, vcc_lo
	flat_load_u16 v28, v[28:29]
	s_waitcnt vmcnt(0) lgkmcnt(0)
	v_mul_f16_e32 v28, s20, v28
	s_branch .LBB305_40
.LBB305_39:
	v_mov_b32_e32 v28, 0
.LBB305_40:
	v_pk_max_f16 v29, v20, v20
	v_pk_max_f16 v30, v16, v16
	;; [unrolled: 1-line block ×4, first 2 shown]
	v_add_co_u32 v26, vcc_lo, v69, v26
	s_delay_alu instid0(VALU_DEP_4) | instskip(SKIP_1) | instid1(VALU_DEP_4)
	v_pk_min_f16 v29, v30, v29
	v_add_co_ci_u32_e32 v27, vcc_lo, v70, v27, vcc_lo
	v_pk_min_f16 v30, v32, v31
	s_delay_alu instid0(VALU_DEP_3) | instskip(NEXT) | instid1(VALU_DEP_1)
	v_pk_add_f16 v29, v41, v29
	v_pk_add_f16 v29, v29, v30
	s_delay_alu instid0(VALU_DEP_1) | instskip(NEXT) | instid1(VALU_DEP_1)
	v_lshrrev_b32_e32 v30, 16, v29
	v_add_f16_e32 v29, v29, v30
	s_delay_alu instid0(VALU_DEP_1)
	v_add_f16_e32 v28, v29, v28
	global_store_b16 v[26:27], v28, off
.LBB305_41:
	s_or_b32 exec_lo, exec_lo, s1
	v_add_nc_u32_e32 v26, 8, v24
	s_delay_alu instid0(VALU_DEP_1) | instskip(SKIP_1) | instid1(VALU_DEP_2)
	v_cmp_gt_i32_e64 s1, s16, v26
	v_ashrrev_i32_e32 v27, 31, v26
	s_and_b32 s3, s1, s8
	s_delay_alu instid0(SALU_CYCLE_1)
	s_and_saveexec_b32 s2, s3
	s_cbranch_execz .LBB305_46
; %bb.42:
	v_cmp_ne_u32_e32 vcc_lo, 1, v59
	v_lshlrev_b64 v[28:29], 1, v[26:27]
	s_cbranch_vccnz .LBB305_44
; %bb.43:
	s_delay_alu instid0(VALU_DEP_1) | instskip(NEXT) | instid1(VALU_DEP_2)
	v_add_co_u32 v30, vcc_lo, v71, v28
	v_add_co_ci_u32_e32 v31, vcc_lo, v72, v29, vcc_lo
	flat_load_u16 v30, v[30:31]
	s_waitcnt vmcnt(0) lgkmcnt(0)
	v_mul_f16_e32 v30, s20, v30
	s_branch .LBB305_45
.LBB305_44:
	v_mov_b32_e32 v30, 0
.LBB305_45:
	v_pk_max_f16 v31, v20, v20
	v_pk_max_f16 v32, v18, v18
	v_pk_max_f16 v33, v21, v21
	v_pk_max_f16 v34, v19, v19
	v_add_co_u32 v28, vcc_lo, v69, v28
	s_delay_alu instid0(VALU_DEP_4) | instskip(SKIP_1) | instid1(VALU_DEP_4)
	v_pk_min_f16 v31, v32, v31
	v_add_co_ci_u32_e32 v29, vcc_lo, v70, v29, vcc_lo
	v_pk_min_f16 v32, v34, v33
	s_delay_alu instid0(VALU_DEP_3) | instskip(NEXT) | instid1(VALU_DEP_1)
	v_pk_add_f16 v31, v39, v31
	v_pk_add_f16 v31, v31, v32
	s_delay_alu instid0(VALU_DEP_1) | instskip(NEXT) | instid1(VALU_DEP_1)
	v_lshrrev_b32_e32 v32, 16, v31
	v_add_f16_e32 v31, v31, v32
	s_delay_alu instid0(VALU_DEP_1)
	v_add_f16_e32 v30, v31, v30
	global_store_b16 v[28:29], v30, off
.LBB305_46:
	s_or_b32 exec_lo, exec_lo, s2
	v_add_nc_u32_e32 v28, 16, v24
	s_delay_alu instid0(VALU_DEP_1) | instskip(SKIP_1) | instid1(VALU_DEP_2)
	v_cmp_gt_i32_e64 s2, s16, v28
	v_ashrrev_i32_e32 v29, 31, v28
	s_and_b32 s4, s2, s8
	s_delay_alu instid0(SALU_CYCLE_1)
	s_and_saveexec_b32 s3, s4
	s_cbranch_execz .LBB305_51
; %bb.47:
	v_cmp_ne_u32_e32 vcc_lo, 1, v59
	v_lshlrev_b64 v[30:31], 1, v[28:29]
	s_cbranch_vccnz .LBB305_49
; %bb.48:
	s_delay_alu instid0(VALU_DEP_1) | instskip(NEXT) | instid1(VALU_DEP_2)
	v_add_co_u32 v32, vcc_lo, v71, v30
	v_add_co_ci_u32_e32 v33, vcc_lo, v72, v31, vcc_lo
	flat_load_u16 v32, v[32:33]
	s_waitcnt vmcnt(0) lgkmcnt(0)
	v_mul_f16_e32 v32, s20, v32
	s_branch .LBB305_50
.LBB305_49:
	v_mov_b32_e32 v32, 0
.LBB305_50:
	v_pk_max_f16 v33, v20, v20
	v_pk_max_f16 v34, v12, v12
	v_pk_max_f16 v39, v21, v21
	v_pk_max_f16 v41, v13, v13
	v_add_co_u32 v30, vcc_lo, v69, v30
	s_delay_alu instid0(VALU_DEP_4) | instskip(SKIP_1) | instid1(VALU_DEP_4)
	v_pk_min_f16 v33, v34, v33
	v_add_co_ci_u32_e32 v31, vcc_lo, v70, v31, vcc_lo
	v_pk_min_f16 v34, v41, v39
	s_delay_alu instid0(VALU_DEP_3) | instskip(NEXT) | instid1(VALU_DEP_1)
	v_pk_add_f16 v33, v37, v33
	v_pk_add_f16 v33, v33, v34
	s_delay_alu instid0(VALU_DEP_1) | instskip(NEXT) | instid1(VALU_DEP_1)
	v_lshrrev_b32_e32 v34, 16, v33
	v_add_f16_e32 v33, v33, v34
	s_delay_alu instid0(VALU_DEP_1)
	v_add_f16_e32 v32, v33, v32
	global_store_b16 v[30:31], v32, off
.LBB305_51:
	;; [unrolled: 43-line block ×6, first 2 shown]
	s_or_b32 exec_lo, exec_lo, s7
	v_add_nc_u32_e32 v38, 56, v24
	s_delay_alu instid0(VALU_DEP_1) | instskip(SKIP_1) | instid1(VALU_DEP_2)
	v_cmp_gt_i32_e64 s7, s16, v38
	v_ashrrev_i32_e32 v39, 31, v38
	s_and_b32 s15, s7, s8
	s_delay_alu instid0(SALU_CYCLE_1)
	s_and_saveexec_b32 s8, s15
	s_cbranch_execz .LBB305_76
; %bb.72:
	v_cmp_ne_u32_e32 vcc_lo, 1, v59
	v_lshlrev_b64 v[40:41], 1, v[38:39]
	s_cbranch_vccnz .LBB305_74
; %bb.73:
	s_delay_alu instid0(VALU_DEP_1) | instskip(NEXT) | instid1(VALU_DEP_2)
	v_add_co_u32 v71, vcc_lo, v71, v40
	v_add_co_ci_u32_e32 v72, vcc_lo, v72, v41, vcc_lo
	flat_load_u16 v71, v[71:72]
	s_waitcnt vmcnt(0) lgkmcnt(0)
	v_mul_f16_e32 v71, s20, v71
	s_branch .LBB305_75
.LBB305_74:
	v_mov_b32_e32 v71, 0
.LBB305_75:
	v_pk_max_f16 v20, v20, v20
	v_pk_max_f16 v72, v6, v6
	;; [unrolled: 1-line block ×4, first 2 shown]
	s_delay_alu instid0(VALU_DEP_3) | instskip(NEXT) | instid1(VALU_DEP_2)
	v_pk_min_f16 v20, v72, v20
	v_pk_min_f16 v21, v73, v21
	s_delay_alu instid0(VALU_DEP_2) | instskip(NEXT) | instid1(VALU_DEP_1)
	v_pk_add_f16 v20, v68, v20
	v_pk_add_f16 v20, v20, v21
	s_delay_alu instid0(VALU_DEP_1) | instskip(NEXT) | instid1(VALU_DEP_1)
	v_lshrrev_b32_e32 v21, 16, v20
	v_add_f16_e32 v20, v20, v21
	s_delay_alu instid0(VALU_DEP_1)
	v_add_f16_e32 v68, v20, v71
	v_add_co_u32 v20, vcc_lo, v69, v40
	v_add_co_ci_u32_e32 v21, vcc_lo, v70, v41, vcc_lo
	global_store_b16 v[20:21], v68, off
.LBB305_76:
	s_or_b32 exec_lo, exec_lo, s8
	v_add_nc_u32_e32 v68, 32, v66
	s_delay_alu instid0(VALU_DEP_1) | instskip(SKIP_2) | instid1(VALU_DEP_3)
	v_mad_i64_i32 v[20:21], null, v68, s12, 0
	v_mad_i64_i32 v[40:41], null, v68, s9, 0
	v_cmp_gt_i32_e64 s8, s17, v68
	v_lshlrev_b64 v[20:21], 1, v[20:21]
	s_delay_alu instid0(VALU_DEP_2) | instskip(NEXT) | instid1(VALU_DEP_3)
	s_and_b32 s16, s0, s8
	v_lshlrev_b64 v[40:41], 1, v[40:41]
	s_delay_alu instid0(VALU_DEP_2) | instskip(NEXT) | instid1(VALU_DEP_3)
	v_add_co_u32 v68, vcc_lo, s10, v20
	v_add_co_ci_u32_e32 v69, vcc_lo, s11, v21, vcc_lo
	s_delay_alu instid0(VALU_DEP_3) | instskip(NEXT) | instid1(VALU_DEP_4)
	v_add_co_u32 v40, vcc_lo, s13, v40
	v_add_co_ci_u32_e32 v41, vcc_lo, s14, v41, vcc_lo
	s_and_saveexec_b32 s15, s16
	s_cbranch_execnz .LBB305_84
; %bb.77:
	s_or_b32 exec_lo, exec_lo, s15
	s_and_b32 s16, s1, s8
	s_delay_alu instid0(SALU_CYCLE_1)
	s_and_saveexec_b32 s15, s16
	s_cbranch_execnz .LBB305_88
.LBB305_78:
	s_or_b32 exec_lo, exec_lo, s15
	s_and_b32 s16, s2, s8
	s_delay_alu instid0(SALU_CYCLE_1)
	s_and_saveexec_b32 s15, s16
	s_cbranch_execnz .LBB305_92
.LBB305_79:
	s_or_b32 exec_lo, exec_lo, s15
	s_and_b32 s16, s3, s8
	s_delay_alu instid0(SALU_CYCLE_1)
	s_and_saveexec_b32 s15, s16
	s_cbranch_execnz .LBB305_96
.LBB305_80:
	s_or_b32 exec_lo, exec_lo, s15
	s_and_b32 s16, s4, s8
	s_delay_alu instid0(SALU_CYCLE_1)
	s_and_saveexec_b32 s15, s16
	s_cbranch_execnz .LBB305_100
.LBB305_81:
	s_or_b32 exec_lo, exec_lo, s15
	s_and_b32 s16, s5, s8
	s_delay_alu instid0(SALU_CYCLE_1)
	s_and_saveexec_b32 s15, s16
	s_cbranch_execnz .LBB305_104
.LBB305_82:
	s_or_b32 exec_lo, exec_lo, s15
	s_and_b32 s16, s6, s8
	s_delay_alu instid0(SALU_CYCLE_1)
	s_and_saveexec_b32 s15, s16
	s_cbranch_execnz .LBB305_108
.LBB305_83:
	s_or_b32 exec_lo, exec_lo, s15
	s_and_b32 s15, s7, s8
	s_delay_alu instid0(SALU_CYCLE_1)
	s_and_saveexec_b32 s8, s15
	s_cbranch_execnz .LBB305_112
	s_branch .LBB305_116
.LBB305_84:
	v_cmp_ne_u32_e32 vcc_lo, 1, v59
	v_lshlrev_b64 v[20:21], 1, v[24:25]
	s_cbranch_vccnz .LBB305_86
; %bb.85:
	s_delay_alu instid0(VALU_DEP_1) | instskip(NEXT) | instid1(VALU_DEP_2)
	v_add_co_u32 v70, vcc_lo, v68, v20
	v_add_co_ci_u32_e32 v71, vcc_lo, v69, v21, vcc_lo
	flat_load_u16 v70, v[70:71]
	s_waitcnt vmcnt(0) lgkmcnt(0)
	v_mul_f16_e32 v70, s20, v70
	s_branch .LBB305_87
.LBB305_86:
	v_mov_b32_e32 v70, 0
.LBB305_87:
	v_pk_max_f16 v71, v22, v22
	v_pk_max_f16 v72, v16, v16
	;; [unrolled: 1-line block ×4, first 2 shown]
	v_add_co_u32 v20, vcc_lo, v40, v20
	s_delay_alu instid0(VALU_DEP_4) | instskip(SKIP_1) | instid1(VALU_DEP_4)
	v_pk_min_f16 v71, v72, v71
	v_add_co_ci_u32_e32 v21, vcc_lo, v41, v21, vcc_lo
	v_pk_min_f16 v72, v74, v73
	s_delay_alu instid0(VALU_DEP_3) | instskip(NEXT) | instid1(VALU_DEP_1)
	v_pk_add_f16 v67, v67, v71
	v_pk_add_f16 v67, v67, v72
	s_delay_alu instid0(VALU_DEP_1) | instskip(NEXT) | instid1(VALU_DEP_1)
	v_lshrrev_b32_e32 v71, 16, v67
	v_add_f16_e32 v67, v67, v71
	s_delay_alu instid0(VALU_DEP_1) | instskip(SKIP_3) | instid1(SALU_CYCLE_1)
	v_add_f16_e32 v67, v67, v70
	global_store_b16 v[20:21], v67, off
	s_or_b32 exec_lo, exec_lo, s15
	s_and_b32 s16, s1, s8
	s_and_saveexec_b32 s15, s16
	s_cbranch_execz .LBB305_78
.LBB305_88:
	v_cmp_ne_u32_e32 vcc_lo, 1, v59
	v_lshlrev_b64 v[20:21], 1, v[26:27]
	s_cbranch_vccnz .LBB305_90
; %bb.89:
	s_delay_alu instid0(VALU_DEP_1) | instskip(NEXT) | instid1(VALU_DEP_2)
	v_add_co_u32 v70, vcc_lo, v68, v20
	v_add_co_ci_u32_e32 v71, vcc_lo, v69, v21, vcc_lo
	flat_load_u16 v67, v[70:71]
	s_waitcnt vmcnt(0) lgkmcnt(0)
	v_mul_f16_e32 v67, s20, v67
	s_branch .LBB305_91
.LBB305_90:
	v_mov_b32_e32 v67, 0
.LBB305_91:
	v_pk_max_f16 v70, v22, v22
	v_pk_max_f16 v71, v18, v18
	;; [unrolled: 1-line block ×4, first 2 shown]
	v_add_co_u32 v20, vcc_lo, v40, v20
	s_delay_alu instid0(VALU_DEP_4) | instskip(SKIP_1) | instid1(VALU_DEP_4)
	v_pk_min_f16 v70, v71, v70
	v_add_co_ci_u32_e32 v21, vcc_lo, v41, v21, vcc_lo
	v_pk_min_f16 v71, v73, v72
	s_delay_alu instid0(VALU_DEP_3) | instskip(NEXT) | instid1(VALU_DEP_1)
	v_pk_add_f16 v65, v65, v70
	v_pk_add_f16 v65, v65, v71
	s_delay_alu instid0(VALU_DEP_1) | instskip(NEXT) | instid1(VALU_DEP_1)
	v_lshrrev_b32_e32 v70, 16, v65
	v_add_f16_e32 v65, v65, v70
	s_delay_alu instid0(VALU_DEP_1) | instskip(SKIP_3) | instid1(SALU_CYCLE_1)
	v_add_f16_e32 v65, v65, v67
	global_store_b16 v[20:21], v65, off
	s_or_b32 exec_lo, exec_lo, s15
	s_and_b32 s16, s2, s8
	s_and_saveexec_b32 s15, s16
	s_cbranch_execz .LBB305_79
.LBB305_92:
	v_cmp_ne_u32_e32 vcc_lo, 1, v59
	v_lshlrev_b64 v[20:21], 1, v[28:29]
	s_cbranch_vccnz .LBB305_94
; %bb.93:
	s_delay_alu instid0(VALU_DEP_1) | instskip(NEXT) | instid1(VALU_DEP_2)
	v_add_co_u32 v70, vcc_lo, v68, v20
	v_add_co_ci_u32_e32 v71, vcc_lo, v69, v21, vcc_lo
	flat_load_u16 v65, v[70:71]
	s_waitcnt vmcnt(0) lgkmcnt(0)
	v_mul_f16_e32 v65, s20, v65
	s_branch .LBB305_95
.LBB305_94:
	v_mov_b32_e32 v65, 0
.LBB305_95:
	v_pk_max_f16 v67, v22, v22
	v_pk_max_f16 v70, v12, v12
	;; [unrolled: 1-line block ×4, first 2 shown]
	v_add_co_u32 v20, vcc_lo, v40, v20
	s_delay_alu instid0(VALU_DEP_4) | instskip(SKIP_1) | instid1(VALU_DEP_4)
	v_pk_min_f16 v67, v70, v67
	v_add_co_ci_u32_e32 v21, vcc_lo, v41, v21, vcc_lo
	v_pk_min_f16 v70, v72, v71
	s_delay_alu instid0(VALU_DEP_3) | instskip(NEXT) | instid1(VALU_DEP_1)
	v_pk_add_f16 v64, v64, v67
	v_pk_add_f16 v64, v64, v70
	s_delay_alu instid0(VALU_DEP_1) | instskip(NEXT) | instid1(VALU_DEP_1)
	v_lshrrev_b32_e32 v67, 16, v64
	v_add_f16_e32 v64, v64, v67
	s_delay_alu instid0(VALU_DEP_1) | instskip(SKIP_3) | instid1(SALU_CYCLE_1)
	v_add_f16_e32 v64, v64, v65
	global_store_b16 v[20:21], v64, off
	s_or_b32 exec_lo, exec_lo, s15
	s_and_b32 s16, s3, s8
	s_and_saveexec_b32 s15, s16
	s_cbranch_execz .LBB305_80
.LBB305_96:
	v_cmp_ne_u32_e32 vcc_lo, 1, v59
	v_lshlrev_b64 v[20:21], 1, v[30:31]
	s_cbranch_vccnz .LBB305_98
; %bb.97:
	s_delay_alu instid0(VALU_DEP_1) | instskip(NEXT) | instid1(VALU_DEP_2)
	v_add_co_u32 v64, vcc_lo, v68, v20
	v_add_co_ci_u32_e32 v65, vcc_lo, v69, v21, vcc_lo
	flat_load_u16 v64, v[64:65]
	s_waitcnt vmcnt(0) lgkmcnt(0)
	v_mul_f16_e32 v64, s20, v64
	s_branch .LBB305_99
.LBB305_98:
	v_mov_b32_e32 v64, 0
.LBB305_99:
	v_pk_max_f16 v65, v22, v22
	v_pk_max_f16 v67, v14, v14
	;; [unrolled: 1-line block ×4, first 2 shown]
	v_add_co_u32 v20, vcc_lo, v40, v20
	s_delay_alu instid0(VALU_DEP_4) | instskip(SKIP_1) | instid1(VALU_DEP_4)
	v_pk_min_f16 v65, v67, v65
	v_add_co_ci_u32_e32 v21, vcc_lo, v41, v21, vcc_lo
	v_pk_min_f16 v67, v71, v70
	s_delay_alu instid0(VALU_DEP_3) | instskip(NEXT) | instid1(VALU_DEP_1)
	v_pk_add_f16 v63, v63, v65
	v_pk_add_f16 v63, v63, v67
	s_delay_alu instid0(VALU_DEP_1) | instskip(NEXT) | instid1(VALU_DEP_1)
	v_lshrrev_b32_e32 v65, 16, v63
	v_add_f16_e32 v63, v63, v65
	s_delay_alu instid0(VALU_DEP_1) | instskip(SKIP_3) | instid1(SALU_CYCLE_1)
	v_add_f16_e32 v63, v63, v64
	global_store_b16 v[20:21], v63, off
	s_or_b32 exec_lo, exec_lo, s15
	s_and_b32 s16, s4, s8
	s_and_saveexec_b32 s15, s16
	s_cbranch_execz .LBB305_81
.LBB305_100:
	v_cmp_ne_u32_e32 vcc_lo, 1, v59
	v_lshlrev_b64 v[20:21], 1, v[32:33]
	s_cbranch_vccnz .LBB305_102
; %bb.101:
	s_delay_alu instid0(VALU_DEP_1) | instskip(NEXT) | instid1(VALU_DEP_2)
	v_add_co_u32 v63, vcc_lo, v68, v20
	v_add_co_ci_u32_e32 v64, vcc_lo, v69, v21, vcc_lo
	flat_load_u16 v63, v[63:64]
	s_waitcnt vmcnt(0) lgkmcnt(0)
	v_mul_f16_e32 v63, s20, v63
	s_branch .LBB305_103
.LBB305_102:
	v_mov_b32_e32 v63, 0
.LBB305_103:
	v_pk_max_f16 v64, v22, v22
	v_pk_max_f16 v65, v8, v8
	;; [unrolled: 1-line block ×4, first 2 shown]
	v_add_co_u32 v20, vcc_lo, v40, v20
	s_delay_alu instid0(VALU_DEP_4) | instskip(SKIP_1) | instid1(VALU_DEP_4)
	v_pk_min_f16 v64, v65, v64
	v_add_co_ci_u32_e32 v21, vcc_lo, v41, v21, vcc_lo
	v_pk_min_f16 v65, v70, v67
	s_delay_alu instid0(VALU_DEP_3) | instskip(NEXT) | instid1(VALU_DEP_1)
	v_pk_add_f16 v62, v62, v64
	v_pk_add_f16 v62, v62, v65
	s_delay_alu instid0(VALU_DEP_1) | instskip(NEXT) | instid1(VALU_DEP_1)
	v_lshrrev_b32_e32 v64, 16, v62
	v_add_f16_e32 v62, v62, v64
	s_delay_alu instid0(VALU_DEP_1) | instskip(SKIP_3) | instid1(SALU_CYCLE_1)
	v_add_f16_e32 v62, v62, v63
	global_store_b16 v[20:21], v62, off
	s_or_b32 exec_lo, exec_lo, s15
	s_and_b32 s16, s5, s8
	s_and_saveexec_b32 s15, s16
	s_cbranch_execz .LBB305_82
.LBB305_104:
	v_cmp_ne_u32_e32 vcc_lo, 1, v59
	v_lshlrev_b64 v[20:21], 1, v[34:35]
	s_cbranch_vccnz .LBB305_106
; %bb.105:
	s_delay_alu instid0(VALU_DEP_1) | instskip(NEXT) | instid1(VALU_DEP_2)
	v_add_co_u32 v62, vcc_lo, v68, v20
	v_add_co_ci_u32_e32 v63, vcc_lo, v69, v21, vcc_lo
	flat_load_u16 v62, v[62:63]
	s_waitcnt vmcnt(0) lgkmcnt(0)
	v_mul_f16_e32 v62, s20, v62
	s_branch .LBB305_107
.LBB305_106:
	v_mov_b32_e32 v62, 0
.LBB305_107:
	v_pk_max_f16 v63, v22, v22
	v_pk_max_f16 v64, v10, v10
	;; [unrolled: 1-line block ×4, first 2 shown]
	v_add_co_u32 v20, vcc_lo, v40, v20
	s_delay_alu instid0(VALU_DEP_4) | instskip(SKIP_1) | instid1(VALU_DEP_4)
	v_pk_min_f16 v63, v64, v63
	v_add_co_ci_u32_e32 v21, vcc_lo, v41, v21, vcc_lo
	v_pk_min_f16 v64, v67, v65
	s_delay_alu instid0(VALU_DEP_3) | instskip(NEXT) | instid1(VALU_DEP_1)
	v_pk_add_f16 v61, v61, v63
	v_pk_add_f16 v61, v61, v64
	s_delay_alu instid0(VALU_DEP_1) | instskip(NEXT) | instid1(VALU_DEP_1)
	v_lshrrev_b32_e32 v63, 16, v61
	v_add_f16_e32 v61, v61, v63
	s_delay_alu instid0(VALU_DEP_1) | instskip(SKIP_3) | instid1(SALU_CYCLE_1)
	v_add_f16_e32 v61, v61, v62
	global_store_b16 v[20:21], v61, off
	s_or_b32 exec_lo, exec_lo, s15
	s_and_b32 s16, s6, s8
	s_and_saveexec_b32 s15, s16
	s_cbranch_execz .LBB305_83
.LBB305_108:
	v_cmp_ne_u32_e32 vcc_lo, 1, v59
	v_lshlrev_b64 v[20:21], 1, v[36:37]
	s_cbranch_vccnz .LBB305_110
; %bb.109:
	s_delay_alu instid0(VALU_DEP_1) | instskip(NEXT) | instid1(VALU_DEP_2)
	v_add_co_u32 v61, vcc_lo, v68, v20
	v_add_co_ci_u32_e32 v62, vcc_lo, v69, v21, vcc_lo
	flat_load_u16 v61, v[61:62]
	s_waitcnt vmcnt(0) lgkmcnt(0)
	v_mul_f16_e32 v61, s20, v61
	s_branch .LBB305_111
.LBB305_110:
	v_mov_b32_e32 v61, 0
.LBB305_111:
	v_pk_max_f16 v62, v22, v22
	v_pk_max_f16 v63, v4, v4
	;; [unrolled: 1-line block ×4, first 2 shown]
	v_add_co_u32 v20, vcc_lo, v40, v20
	s_delay_alu instid0(VALU_DEP_4) | instskip(SKIP_1) | instid1(VALU_DEP_4)
	v_pk_min_f16 v62, v63, v62
	v_add_co_ci_u32_e32 v21, vcc_lo, v41, v21, vcc_lo
	v_pk_min_f16 v63, v65, v64
	s_delay_alu instid0(VALU_DEP_3) | instskip(NEXT) | instid1(VALU_DEP_1)
	v_pk_add_f16 v60, v60, v62
	v_pk_add_f16 v60, v60, v63
	s_delay_alu instid0(VALU_DEP_1) | instskip(NEXT) | instid1(VALU_DEP_1)
	v_lshrrev_b32_e32 v62, 16, v60
	v_add_f16_e32 v60, v60, v62
	s_delay_alu instid0(VALU_DEP_1) | instskip(SKIP_3) | instid1(SALU_CYCLE_1)
	v_add_f16_e32 v60, v60, v61
	global_store_b16 v[20:21], v60, off
	s_or_b32 exec_lo, exec_lo, s15
	s_and_b32 s15, s7, s8
	s_and_saveexec_b32 s8, s15
	s_cbranch_execz .LBB305_116
.LBB305_112:
	v_cmp_ne_u32_e32 vcc_lo, 1, v59
	v_lshlrev_b64 v[20:21], 1, v[38:39]
	s_cbranch_vccnz .LBB305_114
; %bb.113:
	s_delay_alu instid0(VALU_DEP_1) | instskip(NEXT) | instid1(VALU_DEP_2)
	v_add_co_u32 v60, vcc_lo, v68, v20
	v_add_co_ci_u32_e32 v61, vcc_lo, v69, v21, vcc_lo
	flat_load_u16 v60, v[60:61]
	s_waitcnt vmcnt(0) lgkmcnt(0)
	v_mul_f16_e32 v60, s20, v60
	s_branch .LBB305_115
.LBB305_114:
	v_mov_b32_e32 v60, 0
.LBB305_115:
	v_pk_max_f16 v22, v22, v22
	v_pk_max_f16 v61, v6, v6
	;; [unrolled: 1-line block ×4, first 2 shown]
	v_add_co_u32 v20, vcc_lo, v40, v20
	s_delay_alu instid0(VALU_DEP_4) | instskip(SKIP_1) | instid1(VALU_DEP_4)
	v_pk_min_f16 v22, v61, v22
	v_add_co_ci_u32_e32 v21, vcc_lo, v41, v21, vcc_lo
	v_pk_min_f16 v23, v62, v23
	s_delay_alu instid0(VALU_DEP_3) | instskip(NEXT) | instid1(VALU_DEP_1)
	v_pk_add_f16 v22, v58, v22
	v_pk_add_f16 v22, v22, v23
	s_delay_alu instid0(VALU_DEP_1) | instskip(NEXT) | instid1(VALU_DEP_1)
	v_lshrrev_b32_e32 v23, 16, v22
	v_add_f16_e32 v22, v22, v23
	s_delay_alu instid0(VALU_DEP_1)
	v_add_f16_e32 v22, v22, v60
	global_store_b16 v[20:21], v22, off
.LBB305_116:
	s_or_b32 exec_lo, exec_lo, s8
	v_add_nc_u32_e32 v40, 64, v66
	s_delay_alu instid0(VALU_DEP_1) | instskip(SKIP_2) | instid1(VALU_DEP_3)
	v_mad_i64_i32 v[20:21], null, v40, s12, 0
	v_mad_i64_i32 v[22:23], null, v40, s9, 0
	v_cmp_gt_i32_e64 s8, s17, v40
	v_lshlrev_b64 v[20:21], 1, v[20:21]
	s_delay_alu instid0(VALU_DEP_2) | instskip(NEXT) | instid1(VALU_DEP_3)
	s_and_b32 s16, s0, s8
	v_lshlrev_b64 v[22:23], 1, v[22:23]
	s_delay_alu instid0(VALU_DEP_2) | instskip(NEXT) | instid1(VALU_DEP_3)
	v_add_co_u32 v40, vcc_lo, s10, v20
	v_add_co_ci_u32_e32 v41, vcc_lo, s11, v21, vcc_lo
	s_delay_alu instid0(VALU_DEP_3) | instskip(NEXT) | instid1(VALU_DEP_4)
	v_add_co_u32 v22, vcc_lo, s13, v22
	v_add_co_ci_u32_e32 v23, vcc_lo, s14, v23, vcc_lo
	s_and_saveexec_b32 s15, s16
	s_cbranch_execnz .LBB305_124
; %bb.117:
	s_or_b32 exec_lo, exec_lo, s15
	s_and_b32 s16, s1, s8
	s_delay_alu instid0(SALU_CYCLE_1)
	s_and_saveexec_b32 s15, s16
	s_cbranch_execnz .LBB305_128
.LBB305_118:
	s_or_b32 exec_lo, exec_lo, s15
	s_and_b32 s16, s2, s8
	s_delay_alu instid0(SALU_CYCLE_1)
	s_and_saveexec_b32 s15, s16
	s_cbranch_execnz .LBB305_132
.LBB305_119:
	s_or_b32 exec_lo, exec_lo, s15
	s_and_b32 s16, s3, s8
	s_delay_alu instid0(SALU_CYCLE_1)
	s_and_saveexec_b32 s15, s16
	s_cbranch_execnz .LBB305_136
.LBB305_120:
	s_or_b32 exec_lo, exec_lo, s15
	s_and_b32 s16, s4, s8
	s_delay_alu instid0(SALU_CYCLE_1)
	s_and_saveexec_b32 s15, s16
	s_cbranch_execnz .LBB305_140
.LBB305_121:
	s_or_b32 exec_lo, exec_lo, s15
	s_and_b32 s16, s5, s8
	s_delay_alu instid0(SALU_CYCLE_1)
	s_and_saveexec_b32 s15, s16
	s_cbranch_execnz .LBB305_144
.LBB305_122:
	s_or_b32 exec_lo, exec_lo, s15
	s_and_b32 s16, s6, s8
	s_delay_alu instid0(SALU_CYCLE_1)
	s_and_saveexec_b32 s15, s16
	s_cbranch_execnz .LBB305_148
.LBB305_123:
	s_or_b32 exec_lo, exec_lo, s15
	s_and_b32 s15, s7, s8
	s_delay_alu instid0(SALU_CYCLE_1)
	s_and_saveexec_b32 s8, s15
	s_cbranch_execnz .LBB305_152
	s_branch .LBB305_156
.LBB305_124:
	v_cmp_ne_u32_e32 vcc_lo, 1, v59
	v_lshlrev_b64 v[20:21], 1, v[24:25]
	s_cbranch_vccnz .LBB305_126
; %bb.125:
	s_delay_alu instid0(VALU_DEP_1) | instskip(NEXT) | instid1(VALU_DEP_2)
	v_add_co_u32 v60, vcc_lo, v40, v20
	v_add_co_ci_u32_e32 v61, vcc_lo, v41, v21, vcc_lo
	flat_load_u16 v58, v[60:61]
	s_waitcnt vmcnt(0) lgkmcnt(0)
	v_mul_f16_e32 v58, s20, v58
	s_branch .LBB305_127
.LBB305_126:
	v_mov_b32_e32 v58, 0
.LBB305_127:
	v_pk_max_f16 v60, v0, v0
	v_pk_max_f16 v61, v16, v16
	;; [unrolled: 1-line block ×4, first 2 shown]
	v_add_co_u32 v20, vcc_lo, v22, v20
	s_delay_alu instid0(VALU_DEP_4) | instskip(SKIP_1) | instid1(VALU_DEP_4)
	v_pk_min_f16 v60, v61, v60
	v_add_co_ci_u32_e32 v21, vcc_lo, v23, v21, vcc_lo
	v_pk_min_f16 v61, v63, v62
	s_delay_alu instid0(VALU_DEP_3) | instskip(NEXT) | instid1(VALU_DEP_1)
	v_pk_add_f16 v57, v57, v60
	v_pk_add_f16 v57, v57, v61
	s_delay_alu instid0(VALU_DEP_1) | instskip(NEXT) | instid1(VALU_DEP_1)
	v_lshrrev_b32_e32 v60, 16, v57
	v_add_f16_e32 v57, v57, v60
	s_delay_alu instid0(VALU_DEP_1) | instskip(SKIP_3) | instid1(SALU_CYCLE_1)
	v_add_f16_e32 v57, v57, v58
	global_store_b16 v[20:21], v57, off
	s_or_b32 exec_lo, exec_lo, s15
	s_and_b32 s16, s1, s8
	s_and_saveexec_b32 s15, s16
	s_cbranch_execz .LBB305_118
.LBB305_128:
	v_cmp_ne_u32_e32 vcc_lo, 1, v59
	v_lshlrev_b64 v[20:21], 1, v[26:27]
	s_cbranch_vccnz .LBB305_130
; %bb.129:
	s_delay_alu instid0(VALU_DEP_1) | instskip(NEXT) | instid1(VALU_DEP_2)
	v_add_co_u32 v57, vcc_lo, v40, v20
	v_add_co_ci_u32_e32 v58, vcc_lo, v41, v21, vcc_lo
	flat_load_u16 v57, v[57:58]
	s_waitcnt vmcnt(0) lgkmcnt(0)
	v_mul_f16_e32 v57, s20, v57
	s_branch .LBB305_131
.LBB305_130:
	v_mov_b32_e32 v57, 0
.LBB305_131:
	v_pk_max_f16 v58, v0, v0
	v_pk_max_f16 v60, v18, v18
	;; [unrolled: 1-line block ×4, first 2 shown]
	v_add_co_u32 v20, vcc_lo, v22, v20
	s_delay_alu instid0(VALU_DEP_4) | instskip(SKIP_1) | instid1(VALU_DEP_4)
	v_pk_min_f16 v58, v60, v58
	v_add_co_ci_u32_e32 v21, vcc_lo, v23, v21, vcc_lo
	v_pk_min_f16 v60, v62, v61
	s_delay_alu instid0(VALU_DEP_3) | instskip(NEXT) | instid1(VALU_DEP_1)
	v_pk_add_f16 v56, v56, v58
	v_pk_add_f16 v56, v56, v60
	s_delay_alu instid0(VALU_DEP_1) | instskip(NEXT) | instid1(VALU_DEP_1)
	v_lshrrev_b32_e32 v58, 16, v56
	v_add_f16_e32 v56, v56, v58
	s_delay_alu instid0(VALU_DEP_1) | instskip(SKIP_3) | instid1(SALU_CYCLE_1)
	v_add_f16_e32 v56, v56, v57
	global_store_b16 v[20:21], v56, off
	s_or_b32 exec_lo, exec_lo, s15
	s_and_b32 s16, s2, s8
	s_and_saveexec_b32 s15, s16
	s_cbranch_execz .LBB305_119
.LBB305_132:
	v_cmp_ne_u32_e32 vcc_lo, 1, v59
	v_lshlrev_b64 v[20:21], 1, v[28:29]
	s_cbranch_vccnz .LBB305_134
; %bb.133:
	s_delay_alu instid0(VALU_DEP_1) | instskip(NEXT) | instid1(VALU_DEP_2)
	v_add_co_u32 v56, vcc_lo, v40, v20
	v_add_co_ci_u32_e32 v57, vcc_lo, v41, v21, vcc_lo
	flat_load_u16 v56, v[56:57]
	s_waitcnt vmcnt(0) lgkmcnt(0)
	v_mul_f16_e32 v56, s20, v56
	s_branch .LBB305_135
.LBB305_134:
	v_mov_b32_e32 v56, 0
.LBB305_135:
	v_pk_max_f16 v57, v0, v0
	v_pk_max_f16 v58, v12, v12
	v_pk_max_f16 v60, v1, v1
	v_pk_max_f16 v61, v13, v13
	v_add_co_u32 v20, vcc_lo, v22, v20
	s_delay_alu instid0(VALU_DEP_4) | instskip(SKIP_1) | instid1(VALU_DEP_4)
	v_pk_min_f16 v57, v58, v57
	v_add_co_ci_u32_e32 v21, vcc_lo, v23, v21, vcc_lo
	v_pk_min_f16 v58, v61, v60
	s_delay_alu instid0(VALU_DEP_3) | instskip(NEXT) | instid1(VALU_DEP_1)
	v_pk_add_f16 v55, v55, v57
	v_pk_add_f16 v55, v55, v58
	s_delay_alu instid0(VALU_DEP_1) | instskip(NEXT) | instid1(VALU_DEP_1)
	v_lshrrev_b32_e32 v57, 16, v55
	v_add_f16_e32 v55, v55, v57
	s_delay_alu instid0(VALU_DEP_1) | instskip(SKIP_3) | instid1(SALU_CYCLE_1)
	v_add_f16_e32 v55, v55, v56
	global_store_b16 v[20:21], v55, off
	s_or_b32 exec_lo, exec_lo, s15
	s_and_b32 s16, s3, s8
	s_and_saveexec_b32 s15, s16
	s_cbranch_execz .LBB305_120
.LBB305_136:
	v_cmp_ne_u32_e32 vcc_lo, 1, v59
	v_lshlrev_b64 v[20:21], 1, v[30:31]
	s_cbranch_vccnz .LBB305_138
; %bb.137:
	s_delay_alu instid0(VALU_DEP_1) | instskip(NEXT) | instid1(VALU_DEP_2)
	v_add_co_u32 v55, vcc_lo, v40, v20
	v_add_co_ci_u32_e32 v56, vcc_lo, v41, v21, vcc_lo
	flat_load_u16 v55, v[55:56]
	s_waitcnt vmcnt(0) lgkmcnt(0)
	v_mul_f16_e32 v55, s20, v55
	s_branch .LBB305_139
.LBB305_138:
	v_mov_b32_e32 v55, 0
.LBB305_139:
	v_pk_max_f16 v56, v0, v0
	v_pk_max_f16 v57, v14, v14
	;; [unrolled: 1-line block ×4, first 2 shown]
	v_add_co_u32 v20, vcc_lo, v22, v20
	s_delay_alu instid0(VALU_DEP_4) | instskip(SKIP_1) | instid1(VALU_DEP_4)
	v_pk_min_f16 v56, v57, v56
	v_add_co_ci_u32_e32 v21, vcc_lo, v23, v21, vcc_lo
	v_pk_min_f16 v57, v60, v58
	s_delay_alu instid0(VALU_DEP_3) | instskip(NEXT) | instid1(VALU_DEP_1)
	v_pk_add_f16 v54, v54, v56
	v_pk_add_f16 v54, v54, v57
	s_delay_alu instid0(VALU_DEP_1) | instskip(NEXT) | instid1(VALU_DEP_1)
	v_lshrrev_b32_e32 v56, 16, v54
	v_add_f16_e32 v54, v54, v56
	s_delay_alu instid0(VALU_DEP_1) | instskip(SKIP_3) | instid1(SALU_CYCLE_1)
	v_add_f16_e32 v54, v54, v55
	global_store_b16 v[20:21], v54, off
	s_or_b32 exec_lo, exec_lo, s15
	s_and_b32 s16, s4, s8
	s_and_saveexec_b32 s15, s16
	s_cbranch_execz .LBB305_121
.LBB305_140:
	v_cmp_ne_u32_e32 vcc_lo, 1, v59
	v_lshlrev_b64 v[20:21], 1, v[32:33]
	s_cbranch_vccnz .LBB305_142
; %bb.141:
	s_delay_alu instid0(VALU_DEP_1) | instskip(NEXT) | instid1(VALU_DEP_2)
	v_add_co_u32 v54, vcc_lo, v40, v20
	v_add_co_ci_u32_e32 v55, vcc_lo, v41, v21, vcc_lo
	flat_load_u16 v54, v[54:55]
	s_waitcnt vmcnt(0) lgkmcnt(0)
	v_mul_f16_e32 v54, s20, v54
	s_branch .LBB305_143
.LBB305_142:
	v_mov_b32_e32 v54, 0
.LBB305_143:
	v_pk_max_f16 v55, v0, v0
	v_pk_max_f16 v56, v8, v8
	;; [unrolled: 1-line block ×4, first 2 shown]
	v_add_co_u32 v20, vcc_lo, v22, v20
	s_delay_alu instid0(VALU_DEP_4) | instskip(SKIP_1) | instid1(VALU_DEP_4)
	v_pk_min_f16 v55, v56, v55
	v_add_co_ci_u32_e32 v21, vcc_lo, v23, v21, vcc_lo
	v_pk_min_f16 v56, v58, v57
	s_delay_alu instid0(VALU_DEP_3) | instskip(NEXT) | instid1(VALU_DEP_1)
	v_pk_add_f16 v53, v53, v55
	v_pk_add_f16 v53, v53, v56
	s_delay_alu instid0(VALU_DEP_1) | instskip(NEXT) | instid1(VALU_DEP_1)
	v_lshrrev_b32_e32 v55, 16, v53
	v_add_f16_e32 v53, v53, v55
	s_delay_alu instid0(VALU_DEP_1) | instskip(SKIP_3) | instid1(SALU_CYCLE_1)
	v_add_f16_e32 v53, v53, v54
	global_store_b16 v[20:21], v53, off
	s_or_b32 exec_lo, exec_lo, s15
	s_and_b32 s16, s5, s8
	s_and_saveexec_b32 s15, s16
	s_cbranch_execz .LBB305_122
.LBB305_144:
	v_cmp_ne_u32_e32 vcc_lo, 1, v59
	v_lshlrev_b64 v[20:21], 1, v[34:35]
	s_cbranch_vccnz .LBB305_146
; %bb.145:
	s_delay_alu instid0(VALU_DEP_1) | instskip(NEXT) | instid1(VALU_DEP_2)
	v_add_co_u32 v53, vcc_lo, v40, v20
	v_add_co_ci_u32_e32 v54, vcc_lo, v41, v21, vcc_lo
	flat_load_u16 v53, v[53:54]
	s_waitcnt vmcnt(0) lgkmcnt(0)
	v_mul_f16_e32 v53, s20, v53
	s_branch .LBB305_147
.LBB305_146:
	v_mov_b32_e32 v53, 0
.LBB305_147:
	v_pk_max_f16 v54, v0, v0
	v_pk_max_f16 v55, v10, v10
	;; [unrolled: 1-line block ×4, first 2 shown]
	v_add_co_u32 v20, vcc_lo, v22, v20
	s_delay_alu instid0(VALU_DEP_4) | instskip(SKIP_1) | instid1(VALU_DEP_4)
	v_pk_min_f16 v54, v55, v54
	v_add_co_ci_u32_e32 v21, vcc_lo, v23, v21, vcc_lo
	v_pk_min_f16 v55, v57, v56
	s_delay_alu instid0(VALU_DEP_3) | instskip(NEXT) | instid1(VALU_DEP_1)
	v_pk_add_f16 v52, v52, v54
	v_pk_add_f16 v52, v52, v55
	s_delay_alu instid0(VALU_DEP_1) | instskip(NEXT) | instid1(VALU_DEP_1)
	v_lshrrev_b32_e32 v54, 16, v52
	v_add_f16_e32 v52, v52, v54
	s_delay_alu instid0(VALU_DEP_1) | instskip(SKIP_3) | instid1(SALU_CYCLE_1)
	v_add_f16_e32 v52, v52, v53
	global_store_b16 v[20:21], v52, off
	s_or_b32 exec_lo, exec_lo, s15
	s_and_b32 s16, s6, s8
	s_and_saveexec_b32 s15, s16
	s_cbranch_execz .LBB305_123
.LBB305_148:
	v_cmp_ne_u32_e32 vcc_lo, 1, v59
	v_lshlrev_b64 v[20:21], 1, v[36:37]
	s_cbranch_vccnz .LBB305_150
; %bb.149:
	s_delay_alu instid0(VALU_DEP_1) | instskip(NEXT) | instid1(VALU_DEP_2)
	v_add_co_u32 v52, vcc_lo, v40, v20
	v_add_co_ci_u32_e32 v53, vcc_lo, v41, v21, vcc_lo
	flat_load_u16 v52, v[52:53]
	s_waitcnt vmcnt(0) lgkmcnt(0)
	v_mul_f16_e32 v52, s20, v52
	s_branch .LBB305_151
.LBB305_150:
	v_mov_b32_e32 v52, 0
.LBB305_151:
	v_pk_max_f16 v53, v0, v0
	v_pk_max_f16 v54, v4, v4
	;; [unrolled: 1-line block ×4, first 2 shown]
	v_add_co_u32 v20, vcc_lo, v22, v20
	s_delay_alu instid0(VALU_DEP_4) | instskip(SKIP_1) | instid1(VALU_DEP_4)
	v_pk_min_f16 v53, v54, v53
	v_add_co_ci_u32_e32 v21, vcc_lo, v23, v21, vcc_lo
	v_pk_min_f16 v54, v56, v55
	s_delay_alu instid0(VALU_DEP_3) | instskip(NEXT) | instid1(VALU_DEP_1)
	v_pk_add_f16 v51, v51, v53
	v_pk_add_f16 v51, v51, v54
	s_delay_alu instid0(VALU_DEP_1) | instskip(NEXT) | instid1(VALU_DEP_1)
	v_lshrrev_b32_e32 v53, 16, v51
	v_add_f16_e32 v51, v51, v53
	s_delay_alu instid0(VALU_DEP_1) | instskip(SKIP_3) | instid1(SALU_CYCLE_1)
	v_add_f16_e32 v51, v51, v52
	global_store_b16 v[20:21], v51, off
	s_or_b32 exec_lo, exec_lo, s15
	s_and_b32 s15, s7, s8
	s_and_saveexec_b32 s8, s15
	s_cbranch_execz .LBB305_156
.LBB305_152:
	v_cmp_ne_u32_e32 vcc_lo, 1, v59
	v_lshlrev_b64 v[20:21], 1, v[38:39]
	s_cbranch_vccnz .LBB305_154
; %bb.153:
	s_delay_alu instid0(VALU_DEP_1) | instskip(NEXT) | instid1(VALU_DEP_2)
	v_add_co_u32 v40, vcc_lo, v40, v20
	v_add_co_ci_u32_e32 v41, vcc_lo, v41, v21, vcc_lo
	flat_load_u16 v40, v[40:41]
	s_waitcnt vmcnt(0) lgkmcnt(0)
	v_mul_f16_e32 v40, s20, v40
	s_branch .LBB305_155
.LBB305_154:
	v_mov_b32_e32 v40, 0
.LBB305_155:
	v_pk_max_f16 v0, v0, v0
	v_pk_max_f16 v41, v6, v6
	;; [unrolled: 1-line block ×4, first 2 shown]
	s_delay_alu instid0(VALU_DEP_3) | instskip(NEXT) | instid1(VALU_DEP_2)
	v_pk_min_f16 v0, v41, v0
	v_pk_min_f16 v1, v51, v1
	s_delay_alu instid0(VALU_DEP_2) | instskip(NEXT) | instid1(VALU_DEP_1)
	v_pk_add_f16 v0, v50, v0
	v_pk_add_f16 v0, v0, v1
	s_delay_alu instid0(VALU_DEP_1) | instskip(NEXT) | instid1(VALU_DEP_1)
	v_lshrrev_b32_e32 v1, 16, v0
	v_add_f16_e32 v0, v0, v1
	s_delay_alu instid0(VALU_DEP_1)
	v_add_f16_e32 v40, v0, v40
	v_add_co_u32 v0, vcc_lo, v22, v20
	v_add_co_ci_u32_e32 v1, vcc_lo, v23, v21, vcc_lo
	global_store_b16 v[0:1], v40, off
.LBB305_156:
	s_or_b32 exec_lo, exec_lo, s8
	v_add_nc_u32_e32 v22, 0x60, v66
	s_delay_alu instid0(VALU_DEP_1) | instskip(SKIP_2) | instid1(VALU_DEP_3)
	v_mad_i64_i32 v[0:1], null, v22, s12, 0
	v_mad_i64_i32 v[20:21], null, v22, s9, 0
	v_cmp_gt_i32_e64 s8, s17, v22
	v_lshlrev_b64 v[0:1], 1, v[0:1]
	s_delay_alu instid0(VALU_DEP_2) | instskip(NEXT) | instid1(VALU_DEP_3)
	s_and_b32 s9, s0, s8
	v_lshlrev_b64 v[20:21], 1, v[20:21]
	s_delay_alu instid0(VALU_DEP_2) | instskip(NEXT) | instid1(VALU_DEP_3)
	v_add_co_u32 v22, vcc_lo, s10, v0
	v_add_co_ci_u32_e32 v23, vcc_lo, s11, v1, vcc_lo
	s_delay_alu instid0(VALU_DEP_3) | instskip(NEXT) | instid1(VALU_DEP_4)
	v_add_co_u32 v20, vcc_lo, s13, v20
	v_add_co_ci_u32_e32 v21, vcc_lo, s14, v21, vcc_lo
	s_and_saveexec_b32 s0, s9
	s_cbranch_execnz .LBB305_165
; %bb.157:
	s_or_b32 exec_lo, exec_lo, s0
	s_and_b32 s1, s1, s8
	s_delay_alu instid0(SALU_CYCLE_1)
	s_and_saveexec_b32 s0, s1
	s_cbranch_execnz .LBB305_169
.LBB305_158:
	s_or_b32 exec_lo, exec_lo, s0
	s_and_b32 s1, s2, s8
	s_delay_alu instid0(SALU_CYCLE_1)
	s_and_saveexec_b32 s0, s1
	s_cbranch_execnz .LBB305_173
.LBB305_159:
	s_or_b32 exec_lo, exec_lo, s0
	s_and_b32 s1, s3, s8
	s_delay_alu instid0(SALU_CYCLE_1)
	s_and_saveexec_b32 s0, s1
	s_cbranch_execnz .LBB305_177
.LBB305_160:
	s_or_b32 exec_lo, exec_lo, s0
	s_and_b32 s1, s4, s8
	s_delay_alu instid0(SALU_CYCLE_1)
	s_and_saveexec_b32 s0, s1
	s_cbranch_execnz .LBB305_181
.LBB305_161:
	s_or_b32 exec_lo, exec_lo, s0
	s_and_b32 s1, s5, s8
	s_delay_alu instid0(SALU_CYCLE_1)
	s_and_saveexec_b32 s0, s1
	s_cbranch_execnz .LBB305_185
.LBB305_162:
	s_or_b32 exec_lo, exec_lo, s0
	s_and_b32 s1, s6, s8
	s_delay_alu instid0(SALU_CYCLE_1)
	s_and_saveexec_b32 s0, s1
	s_cbranch_execnz .LBB305_189
.LBB305_163:
	s_or_b32 exec_lo, exec_lo, s0
	s_and_b32 s0, s7, s8
	s_delay_alu instid0(SALU_CYCLE_1)
	s_and_saveexec_b32 s1, s0
	s_cbranch_execnz .LBB305_193
.LBB305_164:
	s_nop 0
	s_sendmsg sendmsg(MSG_DEALLOC_VGPRS)
	s_endpgm
.LBB305_165:
	v_cmp_ne_u32_e32 vcc_lo, 1, v59
	v_lshlrev_b64 v[0:1], 1, v[24:25]
	s_cbranch_vccnz .LBB305_167
; %bb.166:
	s_delay_alu instid0(VALU_DEP_1) | instskip(NEXT) | instid1(VALU_DEP_2)
	v_add_co_u32 v24, vcc_lo, v22, v0
	v_add_co_ci_u32_e32 v25, vcc_lo, v23, v1, vcc_lo
	flat_load_u16 v24, v[24:25]
	s_waitcnt vmcnt(0) lgkmcnt(0)
	v_mul_f16_e32 v24, s20, v24
	s_branch .LBB305_168
.LBB305_167:
	v_mov_b32_e32 v24, 0
.LBB305_168:
	v_pk_max_f16 v25, v2, v2
	v_pk_max_f16 v16, v16, v16
	;; [unrolled: 1-line block ×4, first 2 shown]
	v_add_co_u32 v0, vcc_lo, v20, v0
	s_delay_alu instid0(VALU_DEP_4) | instskip(SKIP_1) | instid1(VALU_DEP_4)
	v_pk_min_f16 v16, v16, v25
	v_add_co_ci_u32_e32 v1, vcc_lo, v21, v1, vcc_lo
	v_pk_min_f16 v17, v17, v40
	s_delay_alu instid0(VALU_DEP_3) | instskip(NEXT) | instid1(VALU_DEP_1)
	v_pk_add_f16 v16, v49, v16
	v_pk_add_f16 v16, v16, v17
	s_delay_alu instid0(VALU_DEP_1) | instskip(NEXT) | instid1(VALU_DEP_1)
	v_lshrrev_b32_e32 v17, 16, v16
	v_add_f16_e32 v16, v16, v17
	s_delay_alu instid0(VALU_DEP_1) | instskip(SKIP_3) | instid1(SALU_CYCLE_1)
	v_add_f16_e32 v16, v16, v24
	global_store_b16 v[0:1], v16, off
	s_or_b32 exec_lo, exec_lo, s0
	s_and_b32 s1, s1, s8
	s_and_saveexec_b32 s0, s1
	s_cbranch_execz .LBB305_158
.LBB305_169:
	v_cmp_ne_u32_e32 vcc_lo, 1, v59
	v_lshlrev_b64 v[0:1], 1, v[26:27]
	s_cbranch_vccnz .LBB305_171
; %bb.170:
	s_delay_alu instid0(VALU_DEP_1) | instskip(NEXT) | instid1(VALU_DEP_2)
	v_add_co_u32 v16, vcc_lo, v22, v0
	v_add_co_ci_u32_e32 v17, vcc_lo, v23, v1, vcc_lo
	flat_load_u16 v16, v[16:17]
	s_waitcnt vmcnt(0) lgkmcnt(0)
	v_mul_f16_e32 v16, s20, v16
	s_branch .LBB305_172
.LBB305_171:
	v_mov_b32_e32 v16, 0
.LBB305_172:
	v_pk_max_f16 v17, v2, v2
	v_pk_max_f16 v18, v18, v18
	;; [unrolled: 1-line block ×4, first 2 shown]
	v_add_co_u32 v0, vcc_lo, v20, v0
	s_delay_alu instid0(VALU_DEP_4) | instskip(SKIP_1) | instid1(VALU_DEP_4)
	v_pk_min_f16 v17, v18, v17
	v_add_co_ci_u32_e32 v1, vcc_lo, v21, v1, vcc_lo
	v_pk_min_f16 v18, v19, v24
	s_delay_alu instid0(VALU_DEP_3) | instskip(NEXT) | instid1(VALU_DEP_1)
	v_pk_add_f16 v17, v48, v17
	v_pk_add_f16 v17, v17, v18
	s_delay_alu instid0(VALU_DEP_1) | instskip(NEXT) | instid1(VALU_DEP_1)
	v_lshrrev_b32_e32 v18, 16, v17
	v_add_f16_e32 v17, v17, v18
	s_delay_alu instid0(VALU_DEP_1) | instskip(SKIP_3) | instid1(SALU_CYCLE_1)
	v_add_f16_e32 v16, v17, v16
	global_store_b16 v[0:1], v16, off
	s_or_b32 exec_lo, exec_lo, s0
	s_and_b32 s1, s2, s8
	s_and_saveexec_b32 s0, s1
	s_cbranch_execz .LBB305_159
.LBB305_173:
	v_cmp_ne_u32_e32 vcc_lo, 1, v59
	v_lshlrev_b64 v[0:1], 1, v[28:29]
	s_cbranch_vccnz .LBB305_175
; %bb.174:
	s_delay_alu instid0(VALU_DEP_1) | instskip(NEXT) | instid1(VALU_DEP_2)
	v_add_co_u32 v16, vcc_lo, v22, v0
	v_add_co_ci_u32_e32 v17, vcc_lo, v23, v1, vcc_lo
	flat_load_u16 v16, v[16:17]
	s_waitcnt vmcnt(0) lgkmcnt(0)
	v_mul_f16_e32 v16, s20, v16
	s_branch .LBB305_176
.LBB305_175:
	v_mov_b32_e32 v16, 0
.LBB305_176:
	v_pk_max_f16 v17, v2, v2
	v_pk_max_f16 v12, v12, v12
	;; [unrolled: 1-line block ×4, first 2 shown]
	v_add_co_u32 v0, vcc_lo, v20, v0
	s_delay_alu instid0(VALU_DEP_4) | instskip(SKIP_1) | instid1(VALU_DEP_4)
	v_pk_min_f16 v12, v12, v17
	v_add_co_ci_u32_e32 v1, vcc_lo, v21, v1, vcc_lo
	v_pk_min_f16 v13, v13, v18
	s_delay_alu instid0(VALU_DEP_3) | instskip(NEXT) | instid1(VALU_DEP_1)
	v_pk_add_f16 v12, v47, v12
	v_pk_add_f16 v12, v12, v13
	s_delay_alu instid0(VALU_DEP_1) | instskip(NEXT) | instid1(VALU_DEP_1)
	v_lshrrev_b32_e32 v13, 16, v12
	v_add_f16_e32 v12, v12, v13
	s_delay_alu instid0(VALU_DEP_1) | instskip(SKIP_3) | instid1(SALU_CYCLE_1)
	v_add_f16_e32 v12, v12, v16
	global_store_b16 v[0:1], v12, off
	s_or_b32 exec_lo, exec_lo, s0
	s_and_b32 s1, s3, s8
	s_and_saveexec_b32 s0, s1
	s_cbranch_execz .LBB305_160
.LBB305_177:
	v_cmp_ne_u32_e32 vcc_lo, 1, v59
	v_lshlrev_b64 v[0:1], 1, v[30:31]
	s_cbranch_vccnz .LBB305_179
; %bb.178:
	s_delay_alu instid0(VALU_DEP_1) | instskip(NEXT) | instid1(VALU_DEP_2)
	v_add_co_u32 v12, vcc_lo, v22, v0
	v_add_co_ci_u32_e32 v13, vcc_lo, v23, v1, vcc_lo
	flat_load_u16 v12, v[12:13]
	s_waitcnt vmcnt(0) lgkmcnt(0)
	v_mul_f16_e32 v12, s20, v12
	s_branch .LBB305_180
.LBB305_179:
	v_mov_b32_e32 v12, 0
.LBB305_180:
	v_pk_max_f16 v13, v2, v2
	v_pk_max_f16 v14, v14, v14
	;; [unrolled: 1-line block ×4, first 2 shown]
	v_add_co_u32 v0, vcc_lo, v20, v0
	s_delay_alu instid0(VALU_DEP_4) | instskip(SKIP_1) | instid1(VALU_DEP_4)
	v_pk_min_f16 v13, v14, v13
	v_add_co_ci_u32_e32 v1, vcc_lo, v21, v1, vcc_lo
	v_pk_min_f16 v14, v15, v16
	s_delay_alu instid0(VALU_DEP_3) | instskip(NEXT) | instid1(VALU_DEP_1)
	v_pk_add_f16 v13, v46, v13
	v_pk_add_f16 v13, v13, v14
	s_delay_alu instid0(VALU_DEP_1) | instskip(NEXT) | instid1(VALU_DEP_1)
	v_lshrrev_b32_e32 v14, 16, v13
	v_add_f16_e32 v13, v13, v14
	s_delay_alu instid0(VALU_DEP_1) | instskip(SKIP_3) | instid1(SALU_CYCLE_1)
	v_add_f16_e32 v12, v13, v12
	global_store_b16 v[0:1], v12, off
	s_or_b32 exec_lo, exec_lo, s0
	s_and_b32 s1, s4, s8
	s_and_saveexec_b32 s0, s1
	s_cbranch_execz .LBB305_161
.LBB305_181:
	v_cmp_ne_u32_e32 vcc_lo, 1, v59
	v_lshlrev_b64 v[0:1], 1, v[32:33]
	s_cbranch_vccnz .LBB305_183
; %bb.182:
	s_delay_alu instid0(VALU_DEP_1) | instskip(NEXT) | instid1(VALU_DEP_2)
	v_add_co_u32 v12, vcc_lo, v22, v0
	v_add_co_ci_u32_e32 v13, vcc_lo, v23, v1, vcc_lo
	flat_load_u16 v12, v[12:13]
	s_waitcnt vmcnt(0) lgkmcnt(0)
	v_mul_f16_e32 v12, s20, v12
	s_branch .LBB305_184
.LBB305_183:
	v_mov_b32_e32 v12, 0
.LBB305_184:
	v_pk_max_f16 v13, v2, v2
	v_pk_max_f16 v8, v8, v8
	;; [unrolled: 1-line block ×4, first 2 shown]
	v_add_co_u32 v0, vcc_lo, v20, v0
	s_delay_alu instid0(VALU_DEP_4) | instskip(SKIP_1) | instid1(VALU_DEP_4)
	v_pk_min_f16 v8, v8, v13
	v_add_co_ci_u32_e32 v1, vcc_lo, v21, v1, vcc_lo
	v_pk_min_f16 v9, v9, v14
	s_delay_alu instid0(VALU_DEP_3) | instskip(NEXT) | instid1(VALU_DEP_1)
	v_pk_add_f16 v8, v45, v8
	v_pk_add_f16 v8, v8, v9
	s_delay_alu instid0(VALU_DEP_1) | instskip(NEXT) | instid1(VALU_DEP_1)
	v_lshrrev_b32_e32 v9, 16, v8
	v_add_f16_e32 v8, v8, v9
	s_delay_alu instid0(VALU_DEP_1) | instskip(SKIP_3) | instid1(SALU_CYCLE_1)
	v_add_f16_e32 v8, v8, v12
	global_store_b16 v[0:1], v8, off
	s_or_b32 exec_lo, exec_lo, s0
	s_and_b32 s1, s5, s8
	s_and_saveexec_b32 s0, s1
	s_cbranch_execz .LBB305_162
.LBB305_185:
	v_cmp_ne_u32_e32 vcc_lo, 1, v59
	v_lshlrev_b64 v[0:1], 1, v[34:35]
	s_cbranch_vccnz .LBB305_187
; %bb.186:
	s_delay_alu instid0(VALU_DEP_1) | instskip(NEXT) | instid1(VALU_DEP_2)
	v_add_co_u32 v8, vcc_lo, v22, v0
	v_add_co_ci_u32_e32 v9, vcc_lo, v23, v1, vcc_lo
	flat_load_u16 v8, v[8:9]
	s_waitcnt vmcnt(0) lgkmcnt(0)
	v_mul_f16_e32 v8, s20, v8
	s_branch .LBB305_188
.LBB305_187:
	v_mov_b32_e32 v8, 0
.LBB305_188:
	v_pk_max_f16 v9, v2, v2
	v_pk_max_f16 v10, v10, v10
	;; [unrolled: 1-line block ×4, first 2 shown]
	v_add_co_u32 v0, vcc_lo, v20, v0
	s_delay_alu instid0(VALU_DEP_4) | instskip(SKIP_1) | instid1(VALU_DEP_4)
	v_pk_min_f16 v9, v10, v9
	v_add_co_ci_u32_e32 v1, vcc_lo, v21, v1, vcc_lo
	v_pk_min_f16 v10, v11, v12
	s_delay_alu instid0(VALU_DEP_3) | instskip(NEXT) | instid1(VALU_DEP_1)
	v_pk_add_f16 v9, v44, v9
	v_pk_add_f16 v9, v9, v10
	s_delay_alu instid0(VALU_DEP_1) | instskip(NEXT) | instid1(VALU_DEP_1)
	v_lshrrev_b32_e32 v10, 16, v9
	v_add_f16_e32 v9, v9, v10
	s_delay_alu instid0(VALU_DEP_1) | instskip(SKIP_3) | instid1(SALU_CYCLE_1)
	v_add_f16_e32 v8, v9, v8
	global_store_b16 v[0:1], v8, off
	s_or_b32 exec_lo, exec_lo, s0
	s_and_b32 s1, s6, s8
	s_and_saveexec_b32 s0, s1
	s_cbranch_execz .LBB305_163
.LBB305_189:
	v_cmp_ne_u32_e32 vcc_lo, 1, v59
	v_lshlrev_b64 v[0:1], 1, v[36:37]
	s_cbranch_vccnz .LBB305_191
; %bb.190:
	s_delay_alu instid0(VALU_DEP_1) | instskip(NEXT) | instid1(VALU_DEP_2)
	v_add_co_u32 v8, vcc_lo, v22, v0
	v_add_co_ci_u32_e32 v9, vcc_lo, v23, v1, vcc_lo
	flat_load_u16 v8, v[8:9]
	s_waitcnt vmcnt(0) lgkmcnt(0)
	v_mul_f16_e32 v8, s20, v8
	s_branch .LBB305_192
.LBB305_191:
	v_mov_b32_e32 v8, 0
.LBB305_192:
	v_pk_max_f16 v9, v2, v2
	v_pk_max_f16 v4, v4, v4
	;; [unrolled: 1-line block ×4, first 2 shown]
	v_add_co_u32 v0, vcc_lo, v20, v0
	s_delay_alu instid0(VALU_DEP_4) | instskip(SKIP_1) | instid1(VALU_DEP_4)
	v_pk_min_f16 v4, v4, v9
	v_add_co_ci_u32_e32 v1, vcc_lo, v21, v1, vcc_lo
	v_pk_min_f16 v5, v5, v10
	s_delay_alu instid0(VALU_DEP_3) | instskip(NEXT) | instid1(VALU_DEP_1)
	v_pk_add_f16 v4, v43, v4
	v_pk_add_f16 v4, v4, v5
	s_delay_alu instid0(VALU_DEP_1) | instskip(NEXT) | instid1(VALU_DEP_1)
	v_lshrrev_b32_e32 v5, 16, v4
	v_add_f16_e32 v4, v4, v5
	s_delay_alu instid0(VALU_DEP_1) | instskip(SKIP_3) | instid1(SALU_CYCLE_1)
	v_add_f16_e32 v4, v4, v8
	global_store_b16 v[0:1], v4, off
	s_or_b32 exec_lo, exec_lo, s0
	s_and_b32 s0, s7, s8
	s_and_saveexec_b32 s1, s0
	s_cbranch_execz .LBB305_164
.LBB305_193:
	v_cmp_ne_u32_e32 vcc_lo, 1, v59
	v_lshlrev_b64 v[0:1], 1, v[38:39]
	s_cbranch_vccnz .LBB305_195
; %bb.194:
	s_delay_alu instid0(VALU_DEP_1) | instskip(NEXT) | instid1(VALU_DEP_2)
	v_add_co_u32 v4, vcc_lo, v22, v0
	v_add_co_ci_u32_e32 v5, vcc_lo, v23, v1, vcc_lo
	flat_load_u16 v4, v[4:5]
	s_waitcnt vmcnt(0) lgkmcnt(0)
	v_mul_f16_e32 v4, s20, v4
	s_branch .LBB305_196
.LBB305_195:
	v_mov_b32_e32 v4, 0
.LBB305_196:
	v_pk_max_f16 v2, v2, v2
	v_pk_max_f16 v5, v6, v6
	;; [unrolled: 1-line block ×4, first 2 shown]
	v_add_co_u32 v0, vcc_lo, v20, v0
	s_delay_alu instid0(VALU_DEP_4) | instskip(SKIP_1) | instid1(VALU_DEP_4)
	v_pk_min_f16 v2, v5, v2
	v_add_co_ci_u32_e32 v1, vcc_lo, v21, v1, vcc_lo
	v_pk_min_f16 v3, v6, v3
	s_delay_alu instid0(VALU_DEP_3) | instskip(NEXT) | instid1(VALU_DEP_1)
	v_pk_add_f16 v2, v42, v2
	v_pk_add_f16 v2, v2, v3
	s_delay_alu instid0(VALU_DEP_1) | instskip(NEXT) | instid1(VALU_DEP_1)
	v_lshrrev_b32_e32 v3, 16, v2
	v_add_f16_e32 v2, v2, v3
	s_delay_alu instid0(VALU_DEP_1)
	v_add_f16_e32 v2, v2, v4
	global_store_b16 v[0:1], v2, off
	s_nop 0
	s_sendmsg sendmsg(MSG_DEALLOC_VGPRS)
	s_endpgm
	.section	.rodata,"a",@progbits
	.p2align	6, 0x0
	.amdhsa_kernel _ZN12_GLOBAL__N_120geam_min_plus_kernelIDF16_Dv2_DF16_S1_Li8ELi32ELi64ELi128ELi4ELi4ELi64ELi64ELi4ELc84ELc84ELb0ELb1ELb0EDF16_KDF16_DF16_EEviiiT16_PT17_ilS5_ilS3_S5_ilPT18_ili26rocblas_geam_ex_operation_
		.amdhsa_group_segment_fixed_size 3072
		.amdhsa_private_segment_fixed_size 0
		.amdhsa_kernarg_size 128
		.amdhsa_user_sgpr_count 14
		.amdhsa_user_sgpr_dispatch_ptr 0
		.amdhsa_user_sgpr_queue_ptr 0
		.amdhsa_user_sgpr_kernarg_segment_ptr 1
		.amdhsa_user_sgpr_dispatch_id 0
		.amdhsa_user_sgpr_private_segment_size 0
		.amdhsa_wavefront_size32 1
		.amdhsa_uses_dynamic_stack 0
		.amdhsa_enable_private_segment 0
		.amdhsa_system_sgpr_workgroup_id_x 1
		.amdhsa_system_sgpr_workgroup_id_y 0
		.amdhsa_system_sgpr_workgroup_id_z 1
		.amdhsa_system_sgpr_workgroup_info 0
		.amdhsa_system_vgpr_workitem_id 1
		.amdhsa_next_free_vgpr 120
		.amdhsa_next_free_sgpr 30
		.amdhsa_reserve_vcc 1
		.amdhsa_float_round_mode_32 0
		.amdhsa_float_round_mode_16_64 0
		.amdhsa_float_denorm_mode_32 3
		.amdhsa_float_denorm_mode_16_64 3
		.amdhsa_dx10_clamp 1
		.amdhsa_ieee_mode 1
		.amdhsa_fp16_overflow 0
		.amdhsa_workgroup_processor_mode 1
		.amdhsa_memory_ordered 1
		.amdhsa_forward_progress 0
		.amdhsa_shared_vgpr_count 0
		.amdhsa_exception_fp_ieee_invalid_op 0
		.amdhsa_exception_fp_denorm_src 0
		.amdhsa_exception_fp_ieee_div_zero 0
		.amdhsa_exception_fp_ieee_overflow 0
		.amdhsa_exception_fp_ieee_underflow 0
		.amdhsa_exception_fp_ieee_inexact 0
		.amdhsa_exception_int_div_zero 0
	.end_amdhsa_kernel
	.section	.text._ZN12_GLOBAL__N_120geam_min_plus_kernelIDF16_Dv2_DF16_S1_Li8ELi32ELi64ELi128ELi4ELi4ELi64ELi64ELi4ELc84ELc84ELb0ELb1ELb0EDF16_KDF16_DF16_EEviiiT16_PT17_ilS5_ilS3_S5_ilPT18_ili26rocblas_geam_ex_operation_,"axG",@progbits,_ZN12_GLOBAL__N_120geam_min_plus_kernelIDF16_Dv2_DF16_S1_Li8ELi32ELi64ELi128ELi4ELi4ELi64ELi64ELi4ELc84ELc84ELb0ELb1ELb0EDF16_KDF16_DF16_EEviiiT16_PT17_ilS5_ilS3_S5_ilPT18_ili26rocblas_geam_ex_operation_,comdat
.Lfunc_end305:
	.size	_ZN12_GLOBAL__N_120geam_min_plus_kernelIDF16_Dv2_DF16_S1_Li8ELi32ELi64ELi128ELi4ELi4ELi64ELi64ELi4ELc84ELc84ELb0ELb1ELb0EDF16_KDF16_DF16_EEviiiT16_PT17_ilS5_ilS3_S5_ilPT18_ili26rocblas_geam_ex_operation_, .Lfunc_end305-_ZN12_GLOBAL__N_120geam_min_plus_kernelIDF16_Dv2_DF16_S1_Li8ELi32ELi64ELi128ELi4ELi4ELi64ELi64ELi4ELc84ELc84ELb0ELb1ELb0EDF16_KDF16_DF16_EEviiiT16_PT17_ilS5_ilS3_S5_ilPT18_ili26rocblas_geam_ex_operation_
                                        ; -- End function
	.section	.AMDGPU.csdata,"",@progbits
; Kernel info:
; codeLenInByte = 12976
; NumSgprs: 32
; NumVgprs: 120
; ScratchSize: 0
; MemoryBound: 0
; FloatMode: 240
; IeeeMode: 1
; LDSByteSize: 3072 bytes/workgroup (compile time only)
; SGPRBlocks: 3
; VGPRBlocks: 14
; NumSGPRsForWavesPerEU: 32
; NumVGPRsForWavesPerEU: 120
; Occupancy: 12
; WaveLimiterHint : 0
; COMPUTE_PGM_RSRC2:SCRATCH_EN: 0
; COMPUTE_PGM_RSRC2:USER_SGPR: 14
; COMPUTE_PGM_RSRC2:TRAP_HANDLER: 0
; COMPUTE_PGM_RSRC2:TGID_X_EN: 1
; COMPUTE_PGM_RSRC2:TGID_Y_EN: 0
; COMPUTE_PGM_RSRC2:TGID_Z_EN: 1
; COMPUTE_PGM_RSRC2:TIDIG_COMP_CNT: 1
	.text
	.p2alignl 7, 3214868480
	.fill 96, 4, 3214868480
	.type	__hip_cuid_6fc3537036d750e2,@object ; @__hip_cuid_6fc3537036d750e2
	.section	.bss,"aw",@nobits
	.globl	__hip_cuid_6fc3537036d750e2
__hip_cuid_6fc3537036d750e2:
	.byte	0                               ; 0x0
	.size	__hip_cuid_6fc3537036d750e2, 1

	.ident	"AMD clang version 19.0.0git (https://github.com/RadeonOpenCompute/llvm-project roc-6.4.0 25133 c7fe45cf4b819c5991fe208aaa96edf142730f1d)"
	.section	".note.GNU-stack","",@progbits
	.addrsig
	.addrsig_sym __hip_cuid_6fc3537036d750e2
	.amdgpu_metadata
---
amdhsa.kernels:
  - .args:
      - .offset:         0
        .size:           4
        .value_kind:     by_value
      - .offset:         4
        .size:           4
        .value_kind:     by_value
      - .offset:         8
        .size:           4
        .value_kind:     by_value
      - .address_space:  global
        .offset:         16
        .size:           8
        .value_kind:     global_buffer
      - .offset:         24
        .size:           8
        .value_kind:     by_value
      - .offset:         32
        .size:           4
        .value_kind:     by_value
      - .offset:         40
        .size:           8
        .value_kind:     by_value
      - .address_space:  global
        .offset:         48
        .size:           8
        .value_kind:     global_buffer
      - .offset:         56
        .size:           8
        .value_kind:     by_value
      - .offset:         64
        .size:           4
        .value_kind:     by_value
      - .offset:         72
        .size:           8
        .value_kind:     by_value
    .group_segment_fixed_size: 0
    .kernarg_segment_align: 8
    .kernarg_segment_size: 80
    .language:       OpenCL C
    .language_version:
      - 2
      - 0
    .max_flat_workgroup_size: 1024
    .name:           _ZN12_GLOBAL__N_120geam_ex_scale_kernelILi32ELi32EffPKPKfPKPfEEviiT2_T3_lilT4_lil
    .private_segment_fixed_size: 0
    .sgpr_count:     20
    .sgpr_spill_count: 0
    .symbol:         _ZN12_GLOBAL__N_120geam_ex_scale_kernelILi32ELi32EffPKPKfPKPfEEviiT2_T3_lilT4_lil.kd
    .uniform_work_group_size: 1
    .uses_dynamic_stack: false
    .vgpr_count:     8
    .vgpr_spill_count: 0
    .wavefront_size: 32
    .workgroup_processor_mode: 1
  - .args:
      - .offset:         0
        .size:           4
        .value_kind:     by_value
      - .offset:         4
        .size:           4
        .value_kind:     by_value
      - .address_space:  global
        .offset:         8
        .size:           8
        .value_kind:     global_buffer
      - .address_space:  global
        .offset:         16
        .size:           8
        .value_kind:     global_buffer
      - .offset:         24
        .size:           8
        .value_kind:     by_value
      - .offset:         32
        .size:           4
        .value_kind:     by_value
      - .offset:         40
        .size:           8
        .value_kind:     by_value
      - .address_space:  global
        .offset:         48
        .size:           8
        .value_kind:     global_buffer
      - .offset:         56
        .size:           8
        .value_kind:     by_value
      - .offset:         64
        .size:           4
        .value_kind:     by_value
      - .offset:         72
        .size:           8
        .value_kind:     by_value
    .group_segment_fixed_size: 0
    .kernarg_segment_align: 8
    .kernarg_segment_size: 80
    .language:       OpenCL C
    .language_version:
      - 2
      - 0
    .max_flat_workgroup_size: 1024
    .name:           _ZN12_GLOBAL__N_120geam_ex_scale_kernelILi32ELi32EfPKfPKS2_PKPfEEviiT2_T3_lilT4_lil
    .private_segment_fixed_size: 0
    .sgpr_count:     18
    .sgpr_spill_count: 0
    .symbol:         _ZN12_GLOBAL__N_120geam_ex_scale_kernelILi32ELi32EfPKfPKS2_PKPfEEviiT2_T3_lilT4_lil.kd
    .uniform_work_group_size: 1
    .uses_dynamic_stack: false
    .vgpr_count:     8
    .vgpr_spill_count: 0
    .wavefront_size: 32
    .workgroup_processor_mode: 1
  - .args:
      - .offset:         0
        .size:           4
        .value_kind:     by_value
      - .offset:         4
        .size:           4
        .value_kind:     by_value
      - .offset:         8
        .size:           4
        .value_kind:     by_value
      - .address_space:  global
        .offset:         16
        .size:           8
        .value_kind:     global_buffer
      - .offset:         24
        .size:           8
        .value_kind:     by_value
      - .offset:         32
        .size:           4
        .value_kind:     by_value
      - .offset:         40
        .size:           8
        .value_kind:     by_value
      - .address_space:  global
        .offset:         48
        .size:           8
        .value_kind:     global_buffer
      - .offset:         56
        .size:           8
        .value_kind:     by_value
      - .offset:         64
        .size:           4
        .value_kind:     by_value
      - .offset:         72
        .size:           8
        .value_kind:     by_value
    .group_segment_fixed_size: 0
    .kernarg_segment_align: 8
    .kernarg_segment_size: 80
    .language:       OpenCL C
    .language_version:
      - 2
      - 0
    .max_flat_workgroup_size: 1024
    .name:           _ZN12_GLOBAL__N_120geam_ex_round_kernelILi32ELi32EffPKPKfPKPfEEviiT2_T3_lilT4_lil
    .private_segment_fixed_size: 0
    .sgpr_count:     20
    .sgpr_spill_count: 0
    .symbol:         _ZN12_GLOBAL__N_120geam_ex_round_kernelILi32ELi32EffPKPKfPKPfEEviiT2_T3_lilT4_lil.kd
    .uniform_work_group_size: 1
    .uses_dynamic_stack: false
    .vgpr_count:     8
    .vgpr_spill_count: 0
    .wavefront_size: 32
    .workgroup_processor_mode: 1
  - .args:
      - .offset:         0
        .size:           4
        .value_kind:     by_value
      - .offset:         4
        .size:           4
        .value_kind:     by_value
      - .offset:         8
        .size:           4
        .value_kind:     by_value
      - .address_space:  global
        .offset:         16
        .size:           8
        .value_kind:     global_buffer
      - .address_space:  global
        .offset:         24
        .size:           8
        .value_kind:     global_buffer
      - .offset:         32
        .size:           4
        .value_kind:     by_value
      - .offset:         40
        .size:           8
        .value_kind:     by_value
      - .address_space:  global
        .offset:         48
        .size:           8
        .value_kind:     global_buffer
      - .offset:         56
        .size:           4
        .value_kind:     by_value
      - .offset:         64
        .size:           8
        .value_kind:     by_value
      - .address_space:  global
        .offset:         72
        .size:           8
        .value_kind:     global_buffer
      - .address_space:  global
        .offset:         80
        .size:           8
        .value_kind:     global_buffer
      - .offset:         88
        .size:           4
        .value_kind:     by_value
      - .offset:         96
        .size:           8
        .value_kind:     by_value
      - .address_space:  global
        .offset:         104
        .size:           8
        .value_kind:     global_buffer
      - .offset:         112
        .size:           4
        .value_kind:     by_value
      - .offset:         120
        .size:           8
        .value_kind:     by_value
      - .offset:         128
        .size:           4
        .value_kind:     by_value
      - .offset:         132
        .size:           4
        .value_kind:     by_value
    .group_segment_fixed_size: 10240
    .kernarg_segment_align: 8
    .kernarg_segment_size: 136
    .language:       OpenCL C
    .language_version:
      - 2
      - 0
    .max_flat_workgroup_size: 256
    .name:           _ZN12_GLOBAL__N_120geam_min_plus_kernelIf15HIP_vector_typeIfLj2EEfLi32ELi8ELi256ELi64ELi4ELi64ELi4ELi4ELi64ELc78ELc78ELb0ELb0ELb1EPKfKS4_KPfEEviiiT16_PT17_ilSA_ilS8_SA_ilPT18_ili26rocblas_geam_ex_operation_
    .private_segment_fixed_size: 80
    .sgpr_count:     26
    .sgpr_spill_count: 0
    .symbol:         _ZN12_GLOBAL__N_120geam_min_plus_kernelIf15HIP_vector_typeIfLj2EEfLi32ELi8ELi256ELi64ELi4ELi64ELi4ELi4ELi64ELc78ELc78ELb0ELb0ELb1EPKfKS4_KPfEEviiiT16_PT17_ilSA_ilS8_SA_ilPT18_ili26rocblas_geam_ex_operation_.kd
    .uniform_work_group_size: 1
    .uses_dynamic_stack: false
    .vgpr_count:     256
    .vgpr_spill_count: 24
    .wavefront_size: 32
    .workgroup_processor_mode: 1
  - .args:
      - .offset:         0
        .size:           4
        .value_kind:     by_value
      - .offset:         4
        .size:           4
        .value_kind:     by_value
      - .offset:         8
        .size:           4
        .value_kind:     by_value
      - .offset:         12
        .size:           4
        .value_kind:     by_value
      - .address_space:  global
        .offset:         16
        .size:           8
        .value_kind:     global_buffer
      - .offset:         24
        .size:           4
        .value_kind:     by_value
      - .offset:         32
        .size:           8
        .value_kind:     by_value
      - .address_space:  global
        .offset:         40
        .size:           8
        .value_kind:     global_buffer
      - .offset:         48
        .size:           4
        .value_kind:     by_value
      - .offset:         56
        .size:           8
        .value_kind:     by_value
      - .offset:         64
        .size:           4
        .value_kind:     by_value
      - .address_space:  global
        .offset:         72
        .size:           8
        .value_kind:     global_buffer
      - .offset:         80
        .size:           4
        .value_kind:     by_value
      - .offset:         88
        .size:           8
        .value_kind:     by_value
      - .address_space:  global
        .offset:         96
        .size:           8
        .value_kind:     global_buffer
      - .offset:         104
        .size:           4
        .value_kind:     by_value
      - .offset:         112
        .size:           8
        .value_kind:     by_value
      - .offset:         120
        .size:           4
        .value_kind:     by_value
      - .offset:         124
        .size:           4
        .value_kind:     by_value
    .group_segment_fixed_size: 10240
    .kernarg_segment_align: 8
    .kernarg_segment_size: 128
    .language:       OpenCL C
    .language_version:
      - 2
      - 0
    .max_flat_workgroup_size: 256
    .name:           _ZN12_GLOBAL__N_120geam_min_plus_kernelIf15HIP_vector_typeIfLj2EEfLi32ELi8ELi256ELi64ELi4ELi64ELi4ELi4ELi64ELc78ELc78ELb1ELb0ELb1EfKPKfKPfEEviiiT16_PT17_ilSA_ilS8_SA_ilPT18_ili26rocblas_geam_ex_operation_
    .private_segment_fixed_size: 88
    .sgpr_count:     24
    .sgpr_spill_count: 0
    .symbol:         _ZN12_GLOBAL__N_120geam_min_plus_kernelIf15HIP_vector_typeIfLj2EEfLi32ELi8ELi256ELi64ELi4ELi64ELi4ELi4ELi64ELc78ELc78ELb1ELb0ELb1EfKPKfKPfEEviiiT16_PT17_ilSA_ilS8_SA_ilPT18_ili26rocblas_geam_ex_operation_.kd
    .uniform_work_group_size: 1
    .uses_dynamic_stack: false
    .vgpr_count:     256
    .vgpr_spill_count: 21
    .wavefront_size: 32
    .workgroup_processor_mode: 1
  - .args:
      - .offset:         0
        .size:           4
        .value_kind:     by_value
      - .offset:         4
        .size:           4
        .value_kind:     by_value
      - .offset:         8
        .size:           4
        .value_kind:     by_value
      - .offset:         12
        .size:           4
        .value_kind:     by_value
      - .address_space:  global
        .offset:         16
        .size:           8
        .value_kind:     global_buffer
      - .offset:         24
        .size:           4
        .value_kind:     by_value
      - .offset:         32
        .size:           8
        .value_kind:     by_value
      - .address_space:  global
        .offset:         40
        .size:           8
        .value_kind:     global_buffer
      - .offset:         48
        .size:           4
        .value_kind:     by_value
      - .offset:         56
        .size:           8
        .value_kind:     by_value
      - .offset:         64
        .size:           4
        .value_kind:     by_value
      - .address_space:  global
        .offset:         72
        .size:           8
        .value_kind:     global_buffer
      - .offset:         80
        .size:           4
        .value_kind:     by_value
      - .offset:         88
        .size:           8
        .value_kind:     by_value
      - .address_space:  global
        .offset:         96
        .size:           8
        .value_kind:     global_buffer
      - .offset:         104
        .size:           4
        .value_kind:     by_value
      - .offset:         112
        .size:           8
        .value_kind:     by_value
      - .offset:         120
        .size:           4
        .value_kind:     by_value
      - .offset:         124
        .size:           4
        .value_kind:     by_value
    .group_segment_fixed_size: 10240
    .kernarg_segment_align: 8
    .kernarg_segment_size: 128
    .language:       OpenCL C
    .language_version:
      - 2
      - 0
    .max_flat_workgroup_size: 256
    .name:           _ZN12_GLOBAL__N_120geam_min_plus_kernelIf15HIP_vector_typeIfLj2EEfLi32ELi8ELi256ELi64ELi4ELi64ELi4ELi4ELi64ELc78ELc78ELb0ELb0ELb1EfKPKfKPfEEviiiT16_PT17_ilSA_ilS8_SA_ilPT18_ili26rocblas_geam_ex_operation_
    .private_segment_fixed_size: 80
    .sgpr_count:     26
    .sgpr_spill_count: 0
    .symbol:         _ZN12_GLOBAL__N_120geam_min_plus_kernelIf15HIP_vector_typeIfLj2EEfLi32ELi8ELi256ELi64ELi4ELi64ELi4ELi4ELi64ELc78ELc78ELb0ELb0ELb1EfKPKfKPfEEviiiT16_PT17_ilSA_ilS8_SA_ilPT18_ili26rocblas_geam_ex_operation_.kd
    .uniform_work_group_size: 1
    .uses_dynamic_stack: false
    .vgpr_count:     256
    .vgpr_spill_count: 24
    .wavefront_size: 32
    .workgroup_processor_mode: 1
  - .args:
      - .offset:         0
        .size:           4
        .value_kind:     by_value
      - .offset:         4
        .size:           4
        .value_kind:     by_value
      - .offset:         8
        .size:           4
        .value_kind:     by_value
      - .address_space:  global
        .offset:         16
        .size:           8
        .value_kind:     global_buffer
      - .address_space:  global
        .offset:         24
        .size:           8
        .value_kind:     global_buffer
      - .offset:         32
        .size:           4
        .value_kind:     by_value
      - .offset:         40
        .size:           8
        .value_kind:     by_value
      - .address_space:  global
        .offset:         48
        .size:           8
        .value_kind:     global_buffer
      - .offset:         56
        .size:           4
        .value_kind:     by_value
      - .offset:         64
        .size:           8
        .value_kind:     by_value
      - .address_space:  global
        .offset:         72
        .size:           8
        .value_kind:     global_buffer
      - .address_space:  global
        .offset:         80
        .size:           8
        .value_kind:     global_buffer
      - .offset:         88
        .size:           4
        .value_kind:     by_value
      - .offset:         96
        .size:           8
        .value_kind:     by_value
      - .address_space:  global
        .offset:         104
        .size:           8
        .value_kind:     global_buffer
      - .offset:         112
        .size:           4
        .value_kind:     by_value
      - .offset:         120
        .size:           8
        .value_kind:     by_value
      - .offset:         128
        .size:           4
        .value_kind:     by_value
      - .offset:         132
        .size:           4
        .value_kind:     by_value
    .group_segment_fixed_size: 10240
    .kernarg_segment_align: 8
    .kernarg_segment_size: 136
    .language:       OpenCL C
    .language_version:
      - 2
      - 0
    .max_flat_workgroup_size: 256
    .name:           _ZN12_GLOBAL__N_120geam_min_plus_kernelIf15HIP_vector_typeIfLj2EEfLi32ELi8ELi256ELi64ELi4ELi64ELi4ELi4ELi64ELc78ELc78ELb0ELb1ELb1EPKfKS4_KPfEEviiiT16_PT17_ilSA_ilS8_SA_ilPT18_ili26rocblas_geam_ex_operation_
    .private_segment_fixed_size: 84
    .sgpr_count:     31
    .sgpr_spill_count: 0
    .symbol:         _ZN12_GLOBAL__N_120geam_min_plus_kernelIf15HIP_vector_typeIfLj2EEfLi32ELi8ELi256ELi64ELi4ELi64ELi4ELi4ELi64ELc78ELc78ELb0ELb1ELb1EPKfKS4_KPfEEviiiT16_PT17_ilSA_ilS8_SA_ilPT18_ili26rocblas_geam_ex_operation_.kd
    .uniform_work_group_size: 1
    .uses_dynamic_stack: false
    .vgpr_count:     256
    .vgpr_spill_count: 20
    .wavefront_size: 32
    .workgroup_processor_mode: 1
  - .args:
      - .offset:         0
        .size:           4
        .value_kind:     by_value
      - .offset:         4
        .size:           4
        .value_kind:     by_value
      - .offset:         8
        .size:           4
        .value_kind:     by_value
      - .offset:         12
        .size:           4
        .value_kind:     by_value
      - .address_space:  global
        .offset:         16
        .size:           8
        .value_kind:     global_buffer
      - .offset:         24
        .size:           4
        .value_kind:     by_value
      - .offset:         32
        .size:           8
        .value_kind:     by_value
      - .address_space:  global
        .offset:         40
        .size:           8
        .value_kind:     global_buffer
      - .offset:         48
        .size:           4
        .value_kind:     by_value
      - .offset:         56
        .size:           8
        .value_kind:     by_value
      - .offset:         64
        .size:           4
        .value_kind:     by_value
      - .address_space:  global
        .offset:         72
        .size:           8
        .value_kind:     global_buffer
      - .offset:         80
        .size:           4
        .value_kind:     by_value
      - .offset:         88
        .size:           8
        .value_kind:     by_value
      - .address_space:  global
        .offset:         96
        .size:           8
        .value_kind:     global_buffer
      - .offset:         104
        .size:           4
        .value_kind:     by_value
      - .offset:         112
        .size:           8
        .value_kind:     by_value
      - .offset:         120
        .size:           4
        .value_kind:     by_value
      - .offset:         124
        .size:           4
        .value_kind:     by_value
    .group_segment_fixed_size: 10240
    .kernarg_segment_align: 8
    .kernarg_segment_size: 128
    .language:       OpenCL C
    .language_version:
      - 2
      - 0
    .max_flat_workgroup_size: 256
    .name:           _ZN12_GLOBAL__N_120geam_min_plus_kernelIf15HIP_vector_typeIfLj2EEfLi32ELi8ELi256ELi64ELi4ELi64ELi4ELi4ELi64ELc78ELc78ELb1ELb1ELb1EfKPKfKPfEEviiiT16_PT17_ilSA_ilS8_SA_ilPT18_ili26rocblas_geam_ex_operation_
    .private_segment_fixed_size: 84
    .sgpr_count:     29
    .sgpr_spill_count: 0
    .symbol:         _ZN12_GLOBAL__N_120geam_min_plus_kernelIf15HIP_vector_typeIfLj2EEfLi32ELi8ELi256ELi64ELi4ELi64ELi4ELi4ELi64ELc78ELc78ELb1ELb1ELb1EfKPKfKPfEEviiiT16_PT17_ilSA_ilS8_SA_ilPT18_ili26rocblas_geam_ex_operation_.kd
    .uniform_work_group_size: 1
    .uses_dynamic_stack: false
    .vgpr_count:     256
    .vgpr_spill_count: 20
    .wavefront_size: 32
    .workgroup_processor_mode: 1
  - .args:
      - .offset:         0
        .size:           4
        .value_kind:     by_value
      - .offset:         4
        .size:           4
        .value_kind:     by_value
      - .offset:         8
        .size:           4
        .value_kind:     by_value
      - .offset:         12
        .size:           4
        .value_kind:     by_value
      - .address_space:  global
        .offset:         16
        .size:           8
        .value_kind:     global_buffer
      - .offset:         24
        .size:           4
        .value_kind:     by_value
      - .offset:         32
        .size:           8
        .value_kind:     by_value
      - .address_space:  global
        .offset:         40
        .size:           8
        .value_kind:     global_buffer
      - .offset:         48
        .size:           4
        .value_kind:     by_value
      - .offset:         56
        .size:           8
        .value_kind:     by_value
      - .offset:         64
        .size:           4
        .value_kind:     by_value
      - .address_space:  global
        .offset:         72
        .size:           8
        .value_kind:     global_buffer
      - .offset:         80
        .size:           4
        .value_kind:     by_value
      - .offset:         88
        .size:           8
        .value_kind:     by_value
      - .address_space:  global
        .offset:         96
        .size:           8
        .value_kind:     global_buffer
      - .offset:         104
        .size:           4
        .value_kind:     by_value
      - .offset:         112
        .size:           8
        .value_kind:     by_value
      - .offset:         120
        .size:           4
        .value_kind:     by_value
      - .offset:         124
        .size:           4
        .value_kind:     by_value
    .group_segment_fixed_size: 10240
    .kernarg_segment_align: 8
    .kernarg_segment_size: 128
    .language:       OpenCL C
    .language_version:
      - 2
      - 0
    .max_flat_workgroup_size: 256
    .name:           _ZN12_GLOBAL__N_120geam_min_plus_kernelIf15HIP_vector_typeIfLj2EEfLi32ELi8ELi256ELi64ELi4ELi64ELi4ELi4ELi64ELc78ELc78ELb0ELb1ELb1EfKPKfKPfEEviiiT16_PT17_ilSA_ilS8_SA_ilPT18_ili26rocblas_geam_ex_operation_
    .private_segment_fixed_size: 84
    .sgpr_count:     31
    .sgpr_spill_count: 0
    .symbol:         _ZN12_GLOBAL__N_120geam_min_plus_kernelIf15HIP_vector_typeIfLj2EEfLi32ELi8ELi256ELi64ELi4ELi64ELi4ELi4ELi64ELc78ELc78ELb0ELb1ELb1EfKPKfKPfEEviiiT16_PT17_ilSA_ilS8_SA_ilPT18_ili26rocblas_geam_ex_operation_.kd
    .uniform_work_group_size: 1
    .uses_dynamic_stack: false
    .vgpr_count:     256
    .vgpr_spill_count: 20
    .wavefront_size: 32
    .workgroup_processor_mode: 1
  - .args:
      - .offset:         0
        .size:           4
        .value_kind:     by_value
      - .offset:         4
        .size:           4
        .value_kind:     by_value
      - .offset:         8
        .size:           4
        .value_kind:     by_value
      - .address_space:  global
        .offset:         16
        .size:           8
        .value_kind:     global_buffer
      - .address_space:  global
        .offset:         24
        .size:           8
        .value_kind:     global_buffer
      - .offset:         32
        .size:           4
        .value_kind:     by_value
      - .offset:         40
        .size:           8
        .value_kind:     by_value
      - .address_space:  global
        .offset:         48
        .size:           8
        .value_kind:     global_buffer
      - .offset:         56
        .size:           4
        .value_kind:     by_value
      - .offset:         64
        .size:           8
        .value_kind:     by_value
      - .address_space:  global
        .offset:         72
        .size:           8
        .value_kind:     global_buffer
      - .address_space:  global
        .offset:         80
        .size:           8
        .value_kind:     global_buffer
      - .offset:         88
        .size:           4
        .value_kind:     by_value
      - .offset:         96
        .size:           8
        .value_kind:     by_value
      - .address_space:  global
        .offset:         104
        .size:           8
        .value_kind:     global_buffer
      - .offset:         112
        .size:           4
        .value_kind:     by_value
      - .offset:         120
        .size:           8
        .value_kind:     by_value
      - .offset:         128
        .size:           4
        .value_kind:     by_value
      - .offset:         132
        .size:           4
        .value_kind:     by_value
    .group_segment_fixed_size: 8192
    .kernarg_segment_align: 8
    .kernarg_segment_size: 136
    .language:       OpenCL C
    .language_version:
      - 2
      - 0
    .max_flat_workgroup_size: 256
    .name:           _ZN12_GLOBAL__N_120geam_min_plus_kernelIf15HIP_vector_typeIfLj2EEfLi32ELi8ELi128ELi128ELi4ELi4ELi64ELi4ELi64ELc84ELc78ELb0ELb0ELb1EPKfKS4_KPfEEviiiT16_PT17_ilSA_ilS8_SA_ilPT18_ili26rocblas_geam_ex_operation_
    .private_segment_fixed_size: 76
    .sgpr_count:     26
    .sgpr_spill_count: 0
    .symbol:         _ZN12_GLOBAL__N_120geam_min_plus_kernelIf15HIP_vector_typeIfLj2EEfLi32ELi8ELi128ELi128ELi4ELi4ELi64ELi4ELi64ELc84ELc78ELb0ELb0ELb1EPKfKS4_KPfEEviiiT16_PT17_ilSA_ilS8_SA_ilPT18_ili26rocblas_geam_ex_operation_.kd
    .uniform_work_group_size: 1
    .uses_dynamic_stack: false
    .vgpr_count:     256
    .vgpr_spill_count: 18
    .wavefront_size: 32
    .workgroup_processor_mode: 1
  - .args:
      - .offset:         0
        .size:           4
        .value_kind:     by_value
      - .offset:         4
        .size:           4
        .value_kind:     by_value
      - .offset:         8
        .size:           4
        .value_kind:     by_value
      - .offset:         12
        .size:           4
        .value_kind:     by_value
      - .address_space:  global
        .offset:         16
        .size:           8
        .value_kind:     global_buffer
      - .offset:         24
        .size:           4
        .value_kind:     by_value
      - .offset:         32
        .size:           8
        .value_kind:     by_value
      - .address_space:  global
        .offset:         40
        .size:           8
        .value_kind:     global_buffer
      - .offset:         48
        .size:           4
        .value_kind:     by_value
      - .offset:         56
        .size:           8
        .value_kind:     by_value
      - .offset:         64
        .size:           4
        .value_kind:     by_value
      - .address_space:  global
        .offset:         72
        .size:           8
        .value_kind:     global_buffer
      - .offset:         80
        .size:           4
        .value_kind:     by_value
      - .offset:         88
        .size:           8
        .value_kind:     by_value
      - .address_space:  global
        .offset:         96
        .size:           8
        .value_kind:     global_buffer
      - .offset:         104
        .size:           4
        .value_kind:     by_value
      - .offset:         112
        .size:           8
        .value_kind:     by_value
      - .offset:         120
        .size:           4
        .value_kind:     by_value
      - .offset:         124
        .size:           4
        .value_kind:     by_value
    .group_segment_fixed_size: 8192
    .kernarg_segment_align: 8
    .kernarg_segment_size: 128
    .language:       OpenCL C
    .language_version:
      - 2
      - 0
    .max_flat_workgroup_size: 256
    .name:           _ZN12_GLOBAL__N_120geam_min_plus_kernelIf15HIP_vector_typeIfLj2EEfLi32ELi8ELi128ELi128ELi4ELi4ELi64ELi4ELi64ELc84ELc78ELb1ELb0ELb1EfKPKfKPfEEviiiT16_PT17_ilSA_ilS8_SA_ilPT18_ili26rocblas_geam_ex_operation_
    .private_segment_fixed_size: 92
    .sgpr_count:     24
    .sgpr_spill_count: 0
    .symbol:         _ZN12_GLOBAL__N_120geam_min_plus_kernelIf15HIP_vector_typeIfLj2EEfLi32ELi8ELi128ELi128ELi4ELi4ELi64ELi4ELi64ELc84ELc78ELb1ELb0ELb1EfKPKfKPfEEviiiT16_PT17_ilSA_ilS8_SA_ilPT18_ili26rocblas_geam_ex_operation_.kd
    .uniform_work_group_size: 1
    .uses_dynamic_stack: false
    .vgpr_count:     256
    .vgpr_spill_count: 22
    .wavefront_size: 32
    .workgroup_processor_mode: 1
  - .args:
      - .offset:         0
        .size:           4
        .value_kind:     by_value
      - .offset:         4
        .size:           4
        .value_kind:     by_value
      - .offset:         8
        .size:           4
        .value_kind:     by_value
      - .offset:         12
        .size:           4
        .value_kind:     by_value
      - .address_space:  global
        .offset:         16
        .size:           8
        .value_kind:     global_buffer
      - .offset:         24
        .size:           4
        .value_kind:     by_value
      - .offset:         32
        .size:           8
        .value_kind:     by_value
      - .address_space:  global
        .offset:         40
        .size:           8
        .value_kind:     global_buffer
      - .offset:         48
        .size:           4
        .value_kind:     by_value
      - .offset:         56
        .size:           8
        .value_kind:     by_value
      - .offset:         64
        .size:           4
        .value_kind:     by_value
      - .address_space:  global
        .offset:         72
        .size:           8
        .value_kind:     global_buffer
      - .offset:         80
        .size:           4
        .value_kind:     by_value
      - .offset:         88
        .size:           8
        .value_kind:     by_value
      - .address_space:  global
        .offset:         96
        .size:           8
        .value_kind:     global_buffer
      - .offset:         104
        .size:           4
        .value_kind:     by_value
      - .offset:         112
        .size:           8
        .value_kind:     by_value
      - .offset:         120
        .size:           4
        .value_kind:     by_value
      - .offset:         124
        .size:           4
        .value_kind:     by_value
    .group_segment_fixed_size: 8192
    .kernarg_segment_align: 8
    .kernarg_segment_size: 128
    .language:       OpenCL C
    .language_version:
      - 2
      - 0
    .max_flat_workgroup_size: 256
    .name:           _ZN12_GLOBAL__N_120geam_min_plus_kernelIf15HIP_vector_typeIfLj2EEfLi32ELi8ELi128ELi128ELi4ELi4ELi64ELi4ELi64ELc84ELc78ELb0ELb0ELb1EfKPKfKPfEEviiiT16_PT17_ilSA_ilS8_SA_ilPT18_ili26rocblas_geam_ex_operation_
    .private_segment_fixed_size: 76
    .sgpr_count:     26
    .sgpr_spill_count: 0
    .symbol:         _ZN12_GLOBAL__N_120geam_min_plus_kernelIf15HIP_vector_typeIfLj2EEfLi32ELi8ELi128ELi128ELi4ELi4ELi64ELi4ELi64ELc84ELc78ELb0ELb0ELb1EfKPKfKPfEEviiiT16_PT17_ilSA_ilS8_SA_ilPT18_ili26rocblas_geam_ex_operation_.kd
    .uniform_work_group_size: 1
    .uses_dynamic_stack: false
    .vgpr_count:     256
    .vgpr_spill_count: 18
    .wavefront_size: 32
    .workgroup_processor_mode: 1
  - .args:
      - .offset:         0
        .size:           4
        .value_kind:     by_value
      - .offset:         4
        .size:           4
        .value_kind:     by_value
      - .offset:         8
        .size:           4
        .value_kind:     by_value
      - .address_space:  global
        .offset:         16
        .size:           8
        .value_kind:     global_buffer
      - .address_space:  global
        .offset:         24
        .size:           8
        .value_kind:     global_buffer
      - .offset:         32
        .size:           4
        .value_kind:     by_value
      - .offset:         40
        .size:           8
        .value_kind:     by_value
      - .address_space:  global
        .offset:         48
        .size:           8
        .value_kind:     global_buffer
      - .offset:         56
        .size:           4
        .value_kind:     by_value
      - .offset:         64
        .size:           8
        .value_kind:     by_value
      - .address_space:  global
        .offset:         72
        .size:           8
        .value_kind:     global_buffer
      - .address_space:  global
        .offset:         80
        .size:           8
        .value_kind:     global_buffer
      - .offset:         88
        .size:           4
        .value_kind:     by_value
      - .offset:         96
        .size:           8
        .value_kind:     by_value
      - .address_space:  global
        .offset:         104
        .size:           8
        .value_kind:     global_buffer
      - .offset:         112
        .size:           4
        .value_kind:     by_value
      - .offset:         120
        .size:           8
        .value_kind:     by_value
      - .offset:         128
        .size:           4
        .value_kind:     by_value
      - .offset:         132
        .size:           4
        .value_kind:     by_value
    .group_segment_fixed_size: 8192
    .kernarg_segment_align: 8
    .kernarg_segment_size: 136
    .language:       OpenCL C
    .language_version:
      - 2
      - 0
    .max_flat_workgroup_size: 256
    .name:           _ZN12_GLOBAL__N_120geam_min_plus_kernelIf15HIP_vector_typeIfLj2EEfLi32ELi8ELi128ELi128ELi4ELi4ELi64ELi4ELi64ELc84ELc78ELb0ELb1ELb1EPKfKS4_KPfEEviiiT16_PT17_ilSA_ilS8_SA_ilPT18_ili26rocblas_geam_ex_operation_
    .private_segment_fixed_size: 76
    .sgpr_count:     30
    .sgpr_spill_count: 0
    .symbol:         _ZN12_GLOBAL__N_120geam_min_plus_kernelIf15HIP_vector_typeIfLj2EEfLi32ELi8ELi128ELi128ELi4ELi4ELi64ELi4ELi64ELc84ELc78ELb0ELb1ELb1EPKfKS4_KPfEEviiiT16_PT17_ilSA_ilS8_SA_ilPT18_ili26rocblas_geam_ex_operation_.kd
    .uniform_work_group_size: 1
    .uses_dynamic_stack: false
    .vgpr_count:     256
    .vgpr_spill_count: 18
    .wavefront_size: 32
    .workgroup_processor_mode: 1
  - .args:
      - .offset:         0
        .size:           4
        .value_kind:     by_value
      - .offset:         4
        .size:           4
        .value_kind:     by_value
      - .offset:         8
        .size:           4
        .value_kind:     by_value
      - .offset:         12
        .size:           4
        .value_kind:     by_value
      - .address_space:  global
        .offset:         16
        .size:           8
        .value_kind:     global_buffer
      - .offset:         24
        .size:           4
        .value_kind:     by_value
      - .offset:         32
        .size:           8
        .value_kind:     by_value
      - .address_space:  global
        .offset:         40
        .size:           8
        .value_kind:     global_buffer
      - .offset:         48
        .size:           4
        .value_kind:     by_value
      - .offset:         56
        .size:           8
        .value_kind:     by_value
      - .offset:         64
        .size:           4
        .value_kind:     by_value
      - .address_space:  global
        .offset:         72
        .size:           8
        .value_kind:     global_buffer
      - .offset:         80
        .size:           4
        .value_kind:     by_value
      - .offset:         88
        .size:           8
        .value_kind:     by_value
      - .address_space:  global
        .offset:         96
        .size:           8
        .value_kind:     global_buffer
      - .offset:         104
        .size:           4
        .value_kind:     by_value
      - .offset:         112
        .size:           8
        .value_kind:     by_value
      - .offset:         120
        .size:           4
        .value_kind:     by_value
      - .offset:         124
        .size:           4
        .value_kind:     by_value
    .group_segment_fixed_size: 8192
    .kernarg_segment_align: 8
    .kernarg_segment_size: 128
    .language:       OpenCL C
    .language_version:
      - 2
      - 0
    .max_flat_workgroup_size: 256
    .name:           _ZN12_GLOBAL__N_120geam_min_plus_kernelIf15HIP_vector_typeIfLj2EEfLi32ELi8ELi128ELi128ELi4ELi4ELi64ELi4ELi64ELc84ELc78ELb1ELb1ELb1EfKPKfKPfEEviiiT16_PT17_ilSA_ilS8_SA_ilPT18_ili26rocblas_geam_ex_operation_
    .private_segment_fixed_size: 80
    .sgpr_count:     27
    .sgpr_spill_count: 0
    .symbol:         _ZN12_GLOBAL__N_120geam_min_plus_kernelIf15HIP_vector_typeIfLj2EEfLi32ELi8ELi128ELi128ELi4ELi4ELi64ELi4ELi64ELc84ELc78ELb1ELb1ELb1EfKPKfKPfEEviiiT16_PT17_ilSA_ilS8_SA_ilPT18_ili26rocblas_geam_ex_operation_.kd
    .uniform_work_group_size: 1
    .uses_dynamic_stack: false
    .vgpr_count:     256
    .vgpr_spill_count: 19
    .wavefront_size: 32
    .workgroup_processor_mode: 1
  - .args:
      - .offset:         0
        .size:           4
        .value_kind:     by_value
      - .offset:         4
        .size:           4
        .value_kind:     by_value
      - .offset:         8
        .size:           4
        .value_kind:     by_value
      - .offset:         12
        .size:           4
        .value_kind:     by_value
      - .address_space:  global
        .offset:         16
        .size:           8
        .value_kind:     global_buffer
      - .offset:         24
        .size:           4
        .value_kind:     by_value
      - .offset:         32
        .size:           8
        .value_kind:     by_value
      - .address_space:  global
        .offset:         40
        .size:           8
        .value_kind:     global_buffer
      - .offset:         48
        .size:           4
        .value_kind:     by_value
      - .offset:         56
        .size:           8
        .value_kind:     by_value
      - .offset:         64
        .size:           4
        .value_kind:     by_value
      - .address_space:  global
        .offset:         72
        .size:           8
        .value_kind:     global_buffer
      - .offset:         80
        .size:           4
        .value_kind:     by_value
      - .offset:         88
        .size:           8
        .value_kind:     by_value
      - .address_space:  global
        .offset:         96
        .size:           8
        .value_kind:     global_buffer
      - .offset:         104
        .size:           4
        .value_kind:     by_value
      - .offset:         112
        .size:           8
        .value_kind:     by_value
      - .offset:         120
        .size:           4
        .value_kind:     by_value
      - .offset:         124
        .size:           4
        .value_kind:     by_value
    .group_segment_fixed_size: 8192
    .kernarg_segment_align: 8
    .kernarg_segment_size: 128
    .language:       OpenCL C
    .language_version:
      - 2
      - 0
    .max_flat_workgroup_size: 256
    .name:           _ZN12_GLOBAL__N_120geam_min_plus_kernelIf15HIP_vector_typeIfLj2EEfLi32ELi8ELi128ELi128ELi4ELi4ELi64ELi4ELi64ELc84ELc78ELb0ELb1ELb1EfKPKfKPfEEviiiT16_PT17_ilSA_ilS8_SA_ilPT18_ili26rocblas_geam_ex_operation_
    .private_segment_fixed_size: 76
    .sgpr_count:     30
    .sgpr_spill_count: 0
    .symbol:         _ZN12_GLOBAL__N_120geam_min_plus_kernelIf15HIP_vector_typeIfLj2EEfLi32ELi8ELi128ELi128ELi4ELi4ELi64ELi4ELi64ELc84ELc78ELb0ELb1ELb1EfKPKfKPfEEviiiT16_PT17_ilSA_ilS8_SA_ilPT18_ili26rocblas_geam_ex_operation_.kd
    .uniform_work_group_size: 1
    .uses_dynamic_stack: false
    .vgpr_count:     256
    .vgpr_spill_count: 18
    .wavefront_size: 32
    .workgroup_processor_mode: 1
  - .args:
      - .offset:         0
        .size:           4
        .value_kind:     by_value
      - .offset:         4
        .size:           4
        .value_kind:     by_value
      - .offset:         8
        .size:           4
        .value_kind:     by_value
      - .address_space:  global
        .offset:         16
        .size:           8
        .value_kind:     global_buffer
      - .address_space:  global
        .offset:         24
        .size:           8
        .value_kind:     global_buffer
      - .offset:         32
        .size:           4
        .value_kind:     by_value
      - .offset:         40
        .size:           8
        .value_kind:     by_value
      - .address_space:  global
        .offset:         48
        .size:           8
        .value_kind:     global_buffer
      - .offset:         56
        .size:           4
        .value_kind:     by_value
      - .offset:         64
        .size:           8
        .value_kind:     by_value
      - .address_space:  global
        .offset:         72
        .size:           8
        .value_kind:     global_buffer
      - .address_space:  global
        .offset:         80
        .size:           8
        .value_kind:     global_buffer
      - .offset:         88
        .size:           4
        .value_kind:     by_value
      - .offset:         96
        .size:           8
        .value_kind:     by_value
      - .address_space:  global
        .offset:         104
        .size:           8
        .value_kind:     global_buffer
      - .offset:         112
        .size:           4
        .value_kind:     by_value
      - .offset:         120
        .size:           8
        .value_kind:     by_value
      - .offset:         128
        .size:           4
        .value_kind:     by_value
      - .offset:         132
        .size:           4
        .value_kind:     by_value
    .group_segment_fixed_size: 10240
    .kernarg_segment_align: 8
    .kernarg_segment_size: 136
    .language:       OpenCL C
    .language_version:
      - 2
      - 0
    .max_flat_workgroup_size: 256
    .name:           _ZN12_GLOBAL__N_120geam_min_plus_kernelIf15HIP_vector_typeIfLj2EEfLi8ELi32ELi64ELi256ELi4ELi64ELi4ELi64ELi4ELc78ELc84ELb0ELb0ELb1EPKfKS4_KPfEEviiiT16_PT17_ilSA_ilS8_SA_ilPT18_ili26rocblas_geam_ex_operation_
    .private_segment_fixed_size: 68
    .sgpr_count:     27
    .sgpr_spill_count: 0
    .symbol:         _ZN12_GLOBAL__N_120geam_min_plus_kernelIf15HIP_vector_typeIfLj2EEfLi8ELi32ELi64ELi256ELi4ELi64ELi4ELi64ELi4ELc78ELc84ELb0ELb0ELb1EPKfKS4_KPfEEviiiT16_PT17_ilSA_ilS8_SA_ilPT18_ili26rocblas_geam_ex_operation_.kd
    .uniform_work_group_size: 1
    .uses_dynamic_stack: false
    .vgpr_count:     256
    .vgpr_spill_count: 21
    .wavefront_size: 32
    .workgroup_processor_mode: 1
  - .args:
      - .offset:         0
        .size:           4
        .value_kind:     by_value
      - .offset:         4
        .size:           4
        .value_kind:     by_value
      - .offset:         8
        .size:           4
        .value_kind:     by_value
      - .offset:         12
        .size:           4
        .value_kind:     by_value
      - .address_space:  global
        .offset:         16
        .size:           8
        .value_kind:     global_buffer
      - .offset:         24
        .size:           4
        .value_kind:     by_value
      - .offset:         32
        .size:           8
        .value_kind:     by_value
      - .address_space:  global
        .offset:         40
        .size:           8
        .value_kind:     global_buffer
      - .offset:         48
        .size:           4
        .value_kind:     by_value
      - .offset:         56
        .size:           8
        .value_kind:     by_value
      - .offset:         64
        .size:           4
        .value_kind:     by_value
      - .address_space:  global
        .offset:         72
        .size:           8
        .value_kind:     global_buffer
      - .offset:         80
        .size:           4
        .value_kind:     by_value
      - .offset:         88
        .size:           8
        .value_kind:     by_value
      - .address_space:  global
        .offset:         96
        .size:           8
        .value_kind:     global_buffer
      - .offset:         104
        .size:           4
        .value_kind:     by_value
      - .offset:         112
        .size:           8
        .value_kind:     by_value
      - .offset:         120
        .size:           4
        .value_kind:     by_value
      - .offset:         124
        .size:           4
        .value_kind:     by_value
    .group_segment_fixed_size: 10240
    .kernarg_segment_align: 8
    .kernarg_segment_size: 128
    .language:       OpenCL C
    .language_version:
      - 2
      - 0
    .max_flat_workgroup_size: 256
    .name:           _ZN12_GLOBAL__N_120geam_min_plus_kernelIf15HIP_vector_typeIfLj2EEfLi8ELi32ELi64ELi256ELi4ELi64ELi4ELi64ELi4ELc78ELc84ELb1ELb0ELb1EfKPKfKPfEEviiiT16_PT17_ilSA_ilS8_SA_ilPT18_ili26rocblas_geam_ex_operation_
    .private_segment_fixed_size: 80
    .sgpr_count:     24
    .sgpr_spill_count: 0
    .symbol:         _ZN12_GLOBAL__N_120geam_min_plus_kernelIf15HIP_vector_typeIfLj2EEfLi8ELi32ELi64ELi256ELi4ELi64ELi4ELi64ELi4ELc78ELc84ELb1ELb0ELb1EfKPKfKPfEEviiiT16_PT17_ilSA_ilS8_SA_ilPT18_ili26rocblas_geam_ex_operation_.kd
    .uniform_work_group_size: 1
    .uses_dynamic_stack: false
    .vgpr_count:     256
    .vgpr_spill_count: 19
    .wavefront_size: 32
    .workgroup_processor_mode: 1
  - .args:
      - .offset:         0
        .size:           4
        .value_kind:     by_value
      - .offset:         4
        .size:           4
        .value_kind:     by_value
      - .offset:         8
        .size:           4
        .value_kind:     by_value
      - .offset:         12
        .size:           4
        .value_kind:     by_value
      - .address_space:  global
        .offset:         16
        .size:           8
        .value_kind:     global_buffer
      - .offset:         24
        .size:           4
        .value_kind:     by_value
      - .offset:         32
        .size:           8
        .value_kind:     by_value
      - .address_space:  global
        .offset:         40
        .size:           8
        .value_kind:     global_buffer
      - .offset:         48
        .size:           4
        .value_kind:     by_value
      - .offset:         56
        .size:           8
        .value_kind:     by_value
      - .offset:         64
        .size:           4
        .value_kind:     by_value
      - .address_space:  global
        .offset:         72
        .size:           8
        .value_kind:     global_buffer
      - .offset:         80
        .size:           4
        .value_kind:     by_value
      - .offset:         88
        .size:           8
        .value_kind:     by_value
      - .address_space:  global
        .offset:         96
        .size:           8
        .value_kind:     global_buffer
      - .offset:         104
        .size:           4
        .value_kind:     by_value
      - .offset:         112
        .size:           8
        .value_kind:     by_value
      - .offset:         120
        .size:           4
        .value_kind:     by_value
      - .offset:         124
        .size:           4
        .value_kind:     by_value
    .group_segment_fixed_size: 10240
    .kernarg_segment_align: 8
    .kernarg_segment_size: 128
    .language:       OpenCL C
    .language_version:
      - 2
      - 0
    .max_flat_workgroup_size: 256
    .name:           _ZN12_GLOBAL__N_120geam_min_plus_kernelIf15HIP_vector_typeIfLj2EEfLi8ELi32ELi64ELi256ELi4ELi64ELi4ELi64ELi4ELc78ELc84ELb0ELb0ELb1EfKPKfKPfEEviiiT16_PT17_ilSA_ilS8_SA_ilPT18_ili26rocblas_geam_ex_operation_
    .private_segment_fixed_size: 68
    .sgpr_count:     27
    .sgpr_spill_count: 0
    .symbol:         _ZN12_GLOBAL__N_120geam_min_plus_kernelIf15HIP_vector_typeIfLj2EEfLi8ELi32ELi64ELi256ELi4ELi64ELi4ELi64ELi4ELc78ELc84ELb0ELb0ELb1EfKPKfKPfEEviiiT16_PT17_ilSA_ilS8_SA_ilPT18_ili26rocblas_geam_ex_operation_.kd
    .uniform_work_group_size: 1
    .uses_dynamic_stack: false
    .vgpr_count:     256
    .vgpr_spill_count: 21
    .wavefront_size: 32
    .workgroup_processor_mode: 1
  - .args:
      - .offset:         0
        .size:           4
        .value_kind:     by_value
      - .offset:         4
        .size:           4
        .value_kind:     by_value
      - .offset:         8
        .size:           4
        .value_kind:     by_value
      - .address_space:  global
        .offset:         16
        .size:           8
        .value_kind:     global_buffer
      - .address_space:  global
        .offset:         24
        .size:           8
        .value_kind:     global_buffer
      - .offset:         32
        .size:           4
        .value_kind:     by_value
      - .offset:         40
        .size:           8
        .value_kind:     by_value
      - .address_space:  global
        .offset:         48
        .size:           8
        .value_kind:     global_buffer
      - .offset:         56
        .size:           4
        .value_kind:     by_value
      - .offset:         64
        .size:           8
        .value_kind:     by_value
      - .address_space:  global
        .offset:         72
        .size:           8
        .value_kind:     global_buffer
      - .address_space:  global
        .offset:         80
        .size:           8
        .value_kind:     global_buffer
      - .offset:         88
        .size:           4
        .value_kind:     by_value
      - .offset:         96
        .size:           8
        .value_kind:     by_value
      - .address_space:  global
        .offset:         104
        .size:           8
        .value_kind:     global_buffer
      - .offset:         112
        .size:           4
        .value_kind:     by_value
      - .offset:         120
        .size:           8
        .value_kind:     by_value
      - .offset:         128
        .size:           4
        .value_kind:     by_value
      - .offset:         132
        .size:           4
        .value_kind:     by_value
    .group_segment_fixed_size: 10240
    .kernarg_segment_align: 8
    .kernarg_segment_size: 136
    .language:       OpenCL C
    .language_version:
      - 2
      - 0
    .max_flat_workgroup_size: 256
    .name:           _ZN12_GLOBAL__N_120geam_min_plus_kernelIf15HIP_vector_typeIfLj2EEfLi8ELi32ELi64ELi256ELi4ELi64ELi4ELi64ELi4ELc78ELc84ELb0ELb1ELb1EPKfKS4_KPfEEviiiT16_PT17_ilSA_ilS8_SA_ilPT18_ili26rocblas_geam_ex_operation_
    .private_segment_fixed_size: 144
    .sgpr_count:     34
    .sgpr_spill_count: 0
    .symbol:         _ZN12_GLOBAL__N_120geam_min_plus_kernelIf15HIP_vector_typeIfLj2EEfLi8ELi32ELi64ELi256ELi4ELi64ELi4ELi64ELi4ELc78ELc84ELb0ELb1ELb1EPKfKS4_KPfEEviiiT16_PT17_ilSA_ilS8_SA_ilPT18_ili26rocblas_geam_ex_operation_.kd
    .uniform_work_group_size: 1
    .uses_dynamic_stack: false
    .vgpr_count:     256
    .vgpr_spill_count: 36
    .wavefront_size: 32
    .workgroup_processor_mode: 1
  - .args:
      - .offset:         0
        .size:           4
        .value_kind:     by_value
      - .offset:         4
        .size:           4
        .value_kind:     by_value
      - .offset:         8
        .size:           4
        .value_kind:     by_value
      - .offset:         12
        .size:           4
        .value_kind:     by_value
      - .address_space:  global
        .offset:         16
        .size:           8
        .value_kind:     global_buffer
      - .offset:         24
        .size:           4
        .value_kind:     by_value
      - .offset:         32
        .size:           8
        .value_kind:     by_value
      - .address_space:  global
        .offset:         40
        .size:           8
        .value_kind:     global_buffer
      - .offset:         48
        .size:           4
        .value_kind:     by_value
      - .offset:         56
        .size:           8
        .value_kind:     by_value
      - .offset:         64
        .size:           4
        .value_kind:     by_value
      - .address_space:  global
        .offset:         72
        .size:           8
        .value_kind:     global_buffer
      - .offset:         80
        .size:           4
        .value_kind:     by_value
      - .offset:         88
        .size:           8
        .value_kind:     by_value
      - .address_space:  global
        .offset:         96
        .size:           8
        .value_kind:     global_buffer
      - .offset:         104
        .size:           4
        .value_kind:     by_value
      - .offset:         112
        .size:           8
        .value_kind:     by_value
      - .offset:         120
        .size:           4
        .value_kind:     by_value
      - .offset:         124
        .size:           4
        .value_kind:     by_value
    .group_segment_fixed_size: 10240
    .kernarg_segment_align: 8
    .kernarg_segment_size: 128
    .language:       OpenCL C
    .language_version:
      - 2
      - 0
    .max_flat_workgroup_size: 256
    .name:           _ZN12_GLOBAL__N_120geam_min_plus_kernelIf15HIP_vector_typeIfLj2EEfLi8ELi32ELi64ELi256ELi4ELi64ELi4ELi64ELi4ELc78ELc84ELb1ELb1ELb1EfKPKfKPfEEviiiT16_PT17_ilSA_ilS8_SA_ilPT18_ili26rocblas_geam_ex_operation_
    .private_segment_fixed_size: 144
    .sgpr_count:     30
    .sgpr_spill_count: 0
    .symbol:         _ZN12_GLOBAL__N_120geam_min_plus_kernelIf15HIP_vector_typeIfLj2EEfLi8ELi32ELi64ELi256ELi4ELi64ELi4ELi64ELi4ELc78ELc84ELb1ELb1ELb1EfKPKfKPfEEviiiT16_PT17_ilSA_ilS8_SA_ilPT18_ili26rocblas_geam_ex_operation_.kd
    .uniform_work_group_size: 1
    .uses_dynamic_stack: false
    .vgpr_count:     256
    .vgpr_spill_count: 35
    .wavefront_size: 32
    .workgroup_processor_mode: 1
  - .args:
      - .offset:         0
        .size:           4
        .value_kind:     by_value
      - .offset:         4
        .size:           4
        .value_kind:     by_value
      - .offset:         8
        .size:           4
        .value_kind:     by_value
      - .offset:         12
        .size:           4
        .value_kind:     by_value
      - .address_space:  global
        .offset:         16
        .size:           8
        .value_kind:     global_buffer
      - .offset:         24
        .size:           4
        .value_kind:     by_value
      - .offset:         32
        .size:           8
        .value_kind:     by_value
      - .address_space:  global
        .offset:         40
        .size:           8
        .value_kind:     global_buffer
      - .offset:         48
        .size:           4
        .value_kind:     by_value
      - .offset:         56
        .size:           8
        .value_kind:     by_value
      - .offset:         64
        .size:           4
        .value_kind:     by_value
      - .address_space:  global
        .offset:         72
        .size:           8
        .value_kind:     global_buffer
      - .offset:         80
        .size:           4
        .value_kind:     by_value
      - .offset:         88
        .size:           8
        .value_kind:     by_value
      - .address_space:  global
        .offset:         96
        .size:           8
        .value_kind:     global_buffer
      - .offset:         104
        .size:           4
        .value_kind:     by_value
      - .offset:         112
        .size:           8
        .value_kind:     by_value
      - .offset:         120
        .size:           4
        .value_kind:     by_value
      - .offset:         124
        .size:           4
        .value_kind:     by_value
    .group_segment_fixed_size: 10240
    .kernarg_segment_align: 8
    .kernarg_segment_size: 128
    .language:       OpenCL C
    .language_version:
      - 2
      - 0
    .max_flat_workgroup_size: 256
    .name:           _ZN12_GLOBAL__N_120geam_min_plus_kernelIf15HIP_vector_typeIfLj2EEfLi8ELi32ELi64ELi256ELi4ELi64ELi4ELi64ELi4ELc78ELc84ELb0ELb1ELb1EfKPKfKPfEEviiiT16_PT17_ilSA_ilS8_SA_ilPT18_ili26rocblas_geam_ex_operation_
    .private_segment_fixed_size: 144
    .sgpr_count:     34
    .sgpr_spill_count: 0
    .symbol:         _ZN12_GLOBAL__N_120geam_min_plus_kernelIf15HIP_vector_typeIfLj2EEfLi8ELi32ELi64ELi256ELi4ELi64ELi4ELi64ELi4ELc78ELc84ELb0ELb1ELb1EfKPKfKPfEEviiiT16_PT17_ilSA_ilS8_SA_ilPT18_ili26rocblas_geam_ex_operation_.kd
    .uniform_work_group_size: 1
    .uses_dynamic_stack: false
    .vgpr_count:     256
    .vgpr_spill_count: 36
    .wavefront_size: 32
    .workgroup_processor_mode: 1
  - .args:
      - .offset:         0
        .size:           4
        .value_kind:     by_value
      - .offset:         4
        .size:           4
        .value_kind:     by_value
      - .offset:         8
        .size:           4
        .value_kind:     by_value
      - .address_space:  global
        .offset:         16
        .size:           8
        .value_kind:     global_buffer
      - .address_space:  global
        .offset:         24
        .size:           8
        .value_kind:     global_buffer
      - .offset:         32
        .size:           4
        .value_kind:     by_value
      - .offset:         40
        .size:           8
        .value_kind:     by_value
      - .address_space:  global
        .offset:         48
        .size:           8
        .value_kind:     global_buffer
      - .offset:         56
        .size:           4
        .value_kind:     by_value
      - .offset:         64
        .size:           8
        .value_kind:     by_value
      - .address_space:  global
        .offset:         72
        .size:           8
        .value_kind:     global_buffer
      - .address_space:  global
        .offset:         80
        .size:           8
        .value_kind:     global_buffer
      - .offset:         88
        .size:           4
        .value_kind:     by_value
      - .offset:         96
        .size:           8
        .value_kind:     by_value
      - .address_space:  global
        .offset:         104
        .size:           8
        .value_kind:     global_buffer
      - .offset:         112
        .size:           4
        .value_kind:     by_value
      - .offset:         120
        .size:           8
        .value_kind:     by_value
      - .offset:         128
        .size:           4
        .value_kind:     by_value
      - .offset:         132
        .size:           4
        .value_kind:     by_value
    .group_segment_fixed_size: 10240
    .kernarg_segment_align: 8
    .kernarg_segment_size: 136
    .language:       OpenCL C
    .language_version:
      - 2
      - 0
    .max_flat_workgroup_size: 256
    .name:           _ZN12_GLOBAL__N_120geam_min_plus_kernelIf15HIP_vector_typeIfLj2EEfLi8ELi32ELi64ELi256ELi4ELi4ELi64ELi64ELi4ELc84ELc84ELb0ELb0ELb1EPKfKS4_KPfEEviiiT16_PT17_ilSA_ilS8_SA_ilPT18_ili26rocblas_geam_ex_operation_
    .private_segment_fixed_size: 80
    .sgpr_count:     26
    .sgpr_spill_count: 0
    .symbol:         _ZN12_GLOBAL__N_120geam_min_plus_kernelIf15HIP_vector_typeIfLj2EEfLi8ELi32ELi64ELi256ELi4ELi4ELi64ELi64ELi4ELc84ELc84ELb0ELb0ELb1EPKfKS4_KPfEEviiiT16_PT17_ilSA_ilS8_SA_ilPT18_ili26rocblas_geam_ex_operation_.kd
    .uniform_work_group_size: 1
    .uses_dynamic_stack: false
    .vgpr_count:     256
    .vgpr_spill_count: 24
    .wavefront_size: 32
    .workgroup_processor_mode: 1
  - .args:
      - .offset:         0
        .size:           4
        .value_kind:     by_value
      - .offset:         4
        .size:           4
        .value_kind:     by_value
      - .offset:         8
        .size:           4
        .value_kind:     by_value
      - .offset:         12
        .size:           4
        .value_kind:     by_value
      - .address_space:  global
        .offset:         16
        .size:           8
        .value_kind:     global_buffer
      - .offset:         24
        .size:           4
        .value_kind:     by_value
      - .offset:         32
        .size:           8
        .value_kind:     by_value
      - .address_space:  global
        .offset:         40
        .size:           8
        .value_kind:     global_buffer
      - .offset:         48
        .size:           4
        .value_kind:     by_value
      - .offset:         56
        .size:           8
        .value_kind:     by_value
      - .offset:         64
        .size:           4
        .value_kind:     by_value
      - .address_space:  global
        .offset:         72
        .size:           8
        .value_kind:     global_buffer
      - .offset:         80
        .size:           4
        .value_kind:     by_value
      - .offset:         88
        .size:           8
        .value_kind:     by_value
      - .address_space:  global
        .offset:         96
        .size:           8
        .value_kind:     global_buffer
      - .offset:         104
        .size:           4
        .value_kind:     by_value
      - .offset:         112
        .size:           8
        .value_kind:     by_value
      - .offset:         120
        .size:           4
        .value_kind:     by_value
      - .offset:         124
        .size:           4
        .value_kind:     by_value
    .group_segment_fixed_size: 10240
    .kernarg_segment_align: 8
    .kernarg_segment_size: 128
    .language:       OpenCL C
    .language_version:
      - 2
      - 0
    .max_flat_workgroup_size: 256
    .name:           _ZN12_GLOBAL__N_120geam_min_plus_kernelIf15HIP_vector_typeIfLj2EEfLi8ELi32ELi64ELi256ELi4ELi4ELi64ELi64ELi4ELc84ELc84ELb1ELb0ELb1EfKPKfKPfEEviiiT16_PT17_ilSA_ilS8_SA_ilPT18_ili26rocblas_geam_ex_operation_
    .private_segment_fixed_size: 88
    .sgpr_count:     24
    .sgpr_spill_count: 0
    .symbol:         _ZN12_GLOBAL__N_120geam_min_plus_kernelIf15HIP_vector_typeIfLj2EEfLi8ELi32ELi64ELi256ELi4ELi4ELi64ELi64ELi4ELc84ELc84ELb1ELb0ELb1EfKPKfKPfEEviiiT16_PT17_ilSA_ilS8_SA_ilPT18_ili26rocblas_geam_ex_operation_.kd
    .uniform_work_group_size: 1
    .uses_dynamic_stack: false
    .vgpr_count:     256
    .vgpr_spill_count: 21
    .wavefront_size: 32
    .workgroup_processor_mode: 1
  - .args:
      - .offset:         0
        .size:           4
        .value_kind:     by_value
      - .offset:         4
        .size:           4
        .value_kind:     by_value
      - .offset:         8
        .size:           4
        .value_kind:     by_value
      - .offset:         12
        .size:           4
        .value_kind:     by_value
      - .address_space:  global
        .offset:         16
        .size:           8
        .value_kind:     global_buffer
      - .offset:         24
        .size:           4
        .value_kind:     by_value
      - .offset:         32
        .size:           8
        .value_kind:     by_value
      - .address_space:  global
        .offset:         40
        .size:           8
        .value_kind:     global_buffer
      - .offset:         48
        .size:           4
        .value_kind:     by_value
      - .offset:         56
        .size:           8
        .value_kind:     by_value
      - .offset:         64
        .size:           4
        .value_kind:     by_value
      - .address_space:  global
        .offset:         72
        .size:           8
        .value_kind:     global_buffer
      - .offset:         80
        .size:           4
        .value_kind:     by_value
      - .offset:         88
        .size:           8
        .value_kind:     by_value
      - .address_space:  global
        .offset:         96
        .size:           8
        .value_kind:     global_buffer
      - .offset:         104
        .size:           4
        .value_kind:     by_value
      - .offset:         112
        .size:           8
        .value_kind:     by_value
      - .offset:         120
        .size:           4
        .value_kind:     by_value
      - .offset:         124
        .size:           4
        .value_kind:     by_value
    .group_segment_fixed_size: 10240
    .kernarg_segment_align: 8
    .kernarg_segment_size: 128
    .language:       OpenCL C
    .language_version:
      - 2
      - 0
    .max_flat_workgroup_size: 256
    .name:           _ZN12_GLOBAL__N_120geam_min_plus_kernelIf15HIP_vector_typeIfLj2EEfLi8ELi32ELi64ELi256ELi4ELi4ELi64ELi64ELi4ELc84ELc84ELb0ELb0ELb1EfKPKfKPfEEviiiT16_PT17_ilSA_ilS8_SA_ilPT18_ili26rocblas_geam_ex_operation_
    .private_segment_fixed_size: 80
    .sgpr_count:     26
    .sgpr_spill_count: 0
    .symbol:         _ZN12_GLOBAL__N_120geam_min_plus_kernelIf15HIP_vector_typeIfLj2EEfLi8ELi32ELi64ELi256ELi4ELi4ELi64ELi64ELi4ELc84ELc84ELb0ELb0ELb1EfKPKfKPfEEviiiT16_PT17_ilSA_ilS8_SA_ilPT18_ili26rocblas_geam_ex_operation_.kd
    .uniform_work_group_size: 1
    .uses_dynamic_stack: false
    .vgpr_count:     256
    .vgpr_spill_count: 24
    .wavefront_size: 32
    .workgroup_processor_mode: 1
  - .args:
      - .offset:         0
        .size:           4
        .value_kind:     by_value
      - .offset:         4
        .size:           4
        .value_kind:     by_value
      - .offset:         8
        .size:           4
        .value_kind:     by_value
      - .address_space:  global
        .offset:         16
        .size:           8
        .value_kind:     global_buffer
      - .address_space:  global
        .offset:         24
        .size:           8
        .value_kind:     global_buffer
      - .offset:         32
        .size:           4
        .value_kind:     by_value
      - .offset:         40
        .size:           8
        .value_kind:     by_value
      - .address_space:  global
        .offset:         48
        .size:           8
        .value_kind:     global_buffer
      - .offset:         56
        .size:           4
        .value_kind:     by_value
      - .offset:         64
        .size:           8
        .value_kind:     by_value
      - .address_space:  global
        .offset:         72
        .size:           8
        .value_kind:     global_buffer
      - .address_space:  global
        .offset:         80
        .size:           8
        .value_kind:     global_buffer
      - .offset:         88
        .size:           4
        .value_kind:     by_value
      - .offset:         96
        .size:           8
        .value_kind:     by_value
      - .address_space:  global
        .offset:         104
        .size:           8
        .value_kind:     global_buffer
      - .offset:         112
        .size:           4
        .value_kind:     by_value
      - .offset:         120
        .size:           8
        .value_kind:     by_value
      - .offset:         128
        .size:           4
        .value_kind:     by_value
      - .offset:         132
        .size:           4
        .value_kind:     by_value
    .group_segment_fixed_size: 10240
    .kernarg_segment_align: 8
    .kernarg_segment_size: 136
    .language:       OpenCL C
    .language_version:
      - 2
      - 0
    .max_flat_workgroup_size: 256
    .name:           _ZN12_GLOBAL__N_120geam_min_plus_kernelIf15HIP_vector_typeIfLj2EEfLi8ELi32ELi64ELi256ELi4ELi4ELi64ELi64ELi4ELc84ELc84ELb0ELb1ELb1EPKfKS4_KPfEEviiiT16_PT17_ilSA_ilS8_SA_ilPT18_ili26rocblas_geam_ex_operation_
    .private_segment_fixed_size: 84
    .sgpr_count:     31
    .sgpr_spill_count: 0
    .symbol:         _ZN12_GLOBAL__N_120geam_min_plus_kernelIf15HIP_vector_typeIfLj2EEfLi8ELi32ELi64ELi256ELi4ELi4ELi64ELi64ELi4ELc84ELc84ELb0ELb1ELb1EPKfKS4_KPfEEviiiT16_PT17_ilSA_ilS8_SA_ilPT18_ili26rocblas_geam_ex_operation_.kd
    .uniform_work_group_size: 1
    .uses_dynamic_stack: false
    .vgpr_count:     256
    .vgpr_spill_count: 20
    .wavefront_size: 32
    .workgroup_processor_mode: 1
  - .args:
      - .offset:         0
        .size:           4
        .value_kind:     by_value
      - .offset:         4
        .size:           4
        .value_kind:     by_value
      - .offset:         8
        .size:           4
        .value_kind:     by_value
      - .offset:         12
        .size:           4
        .value_kind:     by_value
      - .address_space:  global
        .offset:         16
        .size:           8
        .value_kind:     global_buffer
      - .offset:         24
        .size:           4
        .value_kind:     by_value
      - .offset:         32
        .size:           8
        .value_kind:     by_value
      - .address_space:  global
        .offset:         40
        .size:           8
        .value_kind:     global_buffer
      - .offset:         48
        .size:           4
        .value_kind:     by_value
      - .offset:         56
        .size:           8
        .value_kind:     by_value
      - .offset:         64
        .size:           4
        .value_kind:     by_value
      - .address_space:  global
        .offset:         72
        .size:           8
        .value_kind:     global_buffer
      - .offset:         80
        .size:           4
        .value_kind:     by_value
      - .offset:         88
        .size:           8
        .value_kind:     by_value
      - .address_space:  global
        .offset:         96
        .size:           8
        .value_kind:     global_buffer
      - .offset:         104
        .size:           4
        .value_kind:     by_value
      - .offset:         112
        .size:           8
        .value_kind:     by_value
      - .offset:         120
        .size:           4
        .value_kind:     by_value
      - .offset:         124
        .size:           4
        .value_kind:     by_value
    .group_segment_fixed_size: 10240
    .kernarg_segment_align: 8
    .kernarg_segment_size: 128
    .language:       OpenCL C
    .language_version:
      - 2
      - 0
    .max_flat_workgroup_size: 256
    .name:           _ZN12_GLOBAL__N_120geam_min_plus_kernelIf15HIP_vector_typeIfLj2EEfLi8ELi32ELi64ELi256ELi4ELi4ELi64ELi64ELi4ELc84ELc84ELb1ELb1ELb1EfKPKfKPfEEviiiT16_PT17_ilSA_ilS8_SA_ilPT18_ili26rocblas_geam_ex_operation_
    .private_segment_fixed_size: 84
    .sgpr_count:     31
    .sgpr_spill_count: 0
    .symbol:         _ZN12_GLOBAL__N_120geam_min_plus_kernelIf15HIP_vector_typeIfLj2EEfLi8ELi32ELi64ELi256ELi4ELi4ELi64ELi64ELi4ELc84ELc84ELb1ELb1ELb1EfKPKfKPfEEviiiT16_PT17_ilSA_ilS8_SA_ilPT18_ili26rocblas_geam_ex_operation_.kd
    .uniform_work_group_size: 1
    .uses_dynamic_stack: false
    .vgpr_count:     256
    .vgpr_spill_count: 20
    .wavefront_size: 32
    .workgroup_processor_mode: 1
  - .args:
      - .offset:         0
        .size:           4
        .value_kind:     by_value
      - .offset:         4
        .size:           4
        .value_kind:     by_value
      - .offset:         8
        .size:           4
        .value_kind:     by_value
      - .offset:         12
        .size:           4
        .value_kind:     by_value
      - .address_space:  global
        .offset:         16
        .size:           8
        .value_kind:     global_buffer
      - .offset:         24
        .size:           4
        .value_kind:     by_value
      - .offset:         32
        .size:           8
        .value_kind:     by_value
      - .address_space:  global
        .offset:         40
        .size:           8
        .value_kind:     global_buffer
      - .offset:         48
        .size:           4
        .value_kind:     by_value
      - .offset:         56
        .size:           8
        .value_kind:     by_value
      - .offset:         64
        .size:           4
        .value_kind:     by_value
      - .address_space:  global
        .offset:         72
        .size:           8
        .value_kind:     global_buffer
      - .offset:         80
        .size:           4
        .value_kind:     by_value
      - .offset:         88
        .size:           8
        .value_kind:     by_value
      - .address_space:  global
        .offset:         96
        .size:           8
        .value_kind:     global_buffer
      - .offset:         104
        .size:           4
        .value_kind:     by_value
      - .offset:         112
        .size:           8
        .value_kind:     by_value
      - .offset:         120
        .size:           4
        .value_kind:     by_value
      - .offset:         124
        .size:           4
        .value_kind:     by_value
    .group_segment_fixed_size: 10240
    .kernarg_segment_align: 8
    .kernarg_segment_size: 128
    .language:       OpenCL C
    .language_version:
      - 2
      - 0
    .max_flat_workgroup_size: 256
    .name:           _ZN12_GLOBAL__N_120geam_min_plus_kernelIf15HIP_vector_typeIfLj2EEfLi8ELi32ELi64ELi256ELi4ELi4ELi64ELi64ELi4ELc84ELc84ELb0ELb1ELb1EfKPKfKPfEEviiiT16_PT17_ilSA_ilS8_SA_ilPT18_ili26rocblas_geam_ex_operation_
    .private_segment_fixed_size: 84
    .sgpr_count:     31
    .sgpr_spill_count: 0
    .symbol:         _ZN12_GLOBAL__N_120geam_min_plus_kernelIf15HIP_vector_typeIfLj2EEfLi8ELi32ELi64ELi256ELi4ELi4ELi64ELi64ELi4ELc84ELc84ELb0ELb1ELb1EfKPKfKPfEEviiiT16_PT17_ilSA_ilS8_SA_ilPT18_ili26rocblas_geam_ex_operation_.kd
    .uniform_work_group_size: 1
    .uses_dynamic_stack: false
    .vgpr_count:     256
    .vgpr_spill_count: 20
    .wavefront_size: 32
    .workgroup_processor_mode: 1
  - .args:
      - .offset:         0
        .size:           4
        .value_kind:     by_value
      - .offset:         4
        .size:           4
        .value_kind:     by_value
      - .offset:         8
        .size:           4
        .value_kind:     by_value
      - .address_space:  global
        .offset:         16
        .size:           8
        .value_kind:     global_buffer
      - .address_space:  global
        .offset:         24
        .size:           8
        .value_kind:     global_buffer
      - .offset:         32
        .size:           4
        .value_kind:     by_value
      - .offset:         40
        .size:           8
        .value_kind:     by_value
      - .address_space:  global
        .offset:         48
        .size:           8
        .value_kind:     global_buffer
      - .offset:         56
        .size:           4
        .value_kind:     by_value
      - .offset:         64
        .size:           8
        .value_kind:     by_value
      - .address_space:  global
        .offset:         72
        .size:           8
        .value_kind:     global_buffer
      - .address_space:  global
        .offset:         80
        .size:           8
        .value_kind:     global_buffer
      - .offset:         88
        .size:           4
        .value_kind:     by_value
      - .offset:         96
        .size:           8
        .value_kind:     by_value
      - .address_space:  global
        .offset:         104
        .size:           8
        .value_kind:     global_buffer
      - .offset:         112
        .size:           4
        .value_kind:     by_value
      - .offset:         120
        .size:           8
        .value_kind:     by_value
      - .offset:         128
        .size:           4
        .value_kind:     by_value
      - .offset:         132
        .size:           4
        .value_kind:     by_value
    .group_segment_fixed_size: 6144
    .kernarg_segment_align: 8
    .kernarg_segment_size: 136
    .language:       OpenCL C
    .language_version:
      - 2
      - 0
    .max_flat_workgroup_size: 256
    .name:           _ZN12_GLOBAL__N_120geam_min_plus_kernelIf15HIP_vector_typeIfLj2EES2_Li8ELi32ELi64ELi128ELi4ELi64ELi4ELi4ELi64ELc78ELc78ELb0ELb0ELb0EPKfKS4_KPfEEviiiT16_PT17_ilSA_ilS8_SA_ilPT18_ili26rocblas_geam_ex_operation_
    .private_segment_fixed_size: 0
    .sgpr_count:     26
    .sgpr_spill_count: 0
    .symbol:         _ZN12_GLOBAL__N_120geam_min_plus_kernelIf15HIP_vector_typeIfLj2EES2_Li8ELi32ELi64ELi128ELi4ELi64ELi4ELi4ELi64ELc78ELc78ELb0ELb0ELb0EPKfKS4_KPfEEviiiT16_PT17_ilSA_ilS8_SA_ilPT18_ili26rocblas_geam_ex_operation_.kd
    .uniform_work_group_size: 1
    .uses_dynamic_stack: false
    .vgpr_count:     228
    .vgpr_spill_count: 0
    .wavefront_size: 32
    .workgroup_processor_mode: 1
  - .args:
      - .offset:         0
        .size:           4
        .value_kind:     by_value
      - .offset:         4
        .size:           4
        .value_kind:     by_value
      - .offset:         8
        .size:           4
        .value_kind:     by_value
      - .offset:         12
        .size:           4
        .value_kind:     by_value
      - .address_space:  global
        .offset:         16
        .size:           8
        .value_kind:     global_buffer
      - .offset:         24
        .size:           4
        .value_kind:     by_value
      - .offset:         32
        .size:           8
        .value_kind:     by_value
      - .address_space:  global
        .offset:         40
        .size:           8
        .value_kind:     global_buffer
      - .offset:         48
        .size:           4
        .value_kind:     by_value
      - .offset:         56
        .size:           8
        .value_kind:     by_value
      - .offset:         64
        .size:           4
        .value_kind:     by_value
      - .address_space:  global
        .offset:         72
        .size:           8
        .value_kind:     global_buffer
      - .offset:         80
        .size:           4
        .value_kind:     by_value
      - .offset:         88
        .size:           8
        .value_kind:     by_value
      - .address_space:  global
        .offset:         96
        .size:           8
        .value_kind:     global_buffer
      - .offset:         104
        .size:           4
        .value_kind:     by_value
      - .offset:         112
        .size:           8
        .value_kind:     by_value
      - .offset:         120
        .size:           4
        .value_kind:     by_value
      - .offset:         124
        .size:           4
        .value_kind:     by_value
    .group_segment_fixed_size: 6144
    .kernarg_segment_align: 8
    .kernarg_segment_size: 128
    .language:       OpenCL C
    .language_version:
      - 2
      - 0
    .max_flat_workgroup_size: 256
    .name:           _ZN12_GLOBAL__N_120geam_min_plus_kernelIf15HIP_vector_typeIfLj2EES2_Li8ELi32ELi64ELi128ELi4ELi64ELi4ELi4ELi64ELc78ELc78ELb1ELb0ELb0EfKPKfKPfEEviiiT16_PT17_ilSA_ilS8_SA_ilPT18_ili26rocblas_geam_ex_operation_
    .private_segment_fixed_size: 0
    .sgpr_count:     24
    .sgpr_spill_count: 0
    .symbol:         _ZN12_GLOBAL__N_120geam_min_plus_kernelIf15HIP_vector_typeIfLj2EES2_Li8ELi32ELi64ELi128ELi4ELi64ELi4ELi4ELi64ELc78ELc78ELb1ELb0ELb0EfKPKfKPfEEviiiT16_PT17_ilSA_ilS8_SA_ilPT18_ili26rocblas_geam_ex_operation_.kd
    .uniform_work_group_size: 1
    .uses_dynamic_stack: false
    .vgpr_count:     224
    .vgpr_spill_count: 0
    .wavefront_size: 32
    .workgroup_processor_mode: 1
  - .args:
      - .offset:         0
        .size:           4
        .value_kind:     by_value
      - .offset:         4
        .size:           4
        .value_kind:     by_value
      - .offset:         8
        .size:           4
        .value_kind:     by_value
      - .offset:         12
        .size:           4
        .value_kind:     by_value
      - .address_space:  global
        .offset:         16
        .size:           8
        .value_kind:     global_buffer
      - .offset:         24
        .size:           4
        .value_kind:     by_value
      - .offset:         32
        .size:           8
        .value_kind:     by_value
      - .address_space:  global
        .offset:         40
        .size:           8
        .value_kind:     global_buffer
      - .offset:         48
        .size:           4
        .value_kind:     by_value
      - .offset:         56
        .size:           8
        .value_kind:     by_value
      - .offset:         64
        .size:           4
        .value_kind:     by_value
      - .address_space:  global
        .offset:         72
        .size:           8
        .value_kind:     global_buffer
      - .offset:         80
        .size:           4
        .value_kind:     by_value
      - .offset:         88
        .size:           8
        .value_kind:     by_value
      - .address_space:  global
        .offset:         96
        .size:           8
        .value_kind:     global_buffer
      - .offset:         104
        .size:           4
        .value_kind:     by_value
      - .offset:         112
        .size:           8
        .value_kind:     by_value
      - .offset:         120
        .size:           4
        .value_kind:     by_value
      - .offset:         124
        .size:           4
        .value_kind:     by_value
    .group_segment_fixed_size: 6144
    .kernarg_segment_align: 8
    .kernarg_segment_size: 128
    .language:       OpenCL C
    .language_version:
      - 2
      - 0
    .max_flat_workgroup_size: 256
    .name:           _ZN12_GLOBAL__N_120geam_min_plus_kernelIf15HIP_vector_typeIfLj2EES2_Li8ELi32ELi64ELi128ELi4ELi64ELi4ELi4ELi64ELc78ELc78ELb0ELb0ELb0EfKPKfKPfEEviiiT16_PT17_ilSA_ilS8_SA_ilPT18_ili26rocblas_geam_ex_operation_
    .private_segment_fixed_size: 0
    .sgpr_count:     26
    .sgpr_spill_count: 0
    .symbol:         _ZN12_GLOBAL__N_120geam_min_plus_kernelIf15HIP_vector_typeIfLj2EES2_Li8ELi32ELi64ELi128ELi4ELi64ELi4ELi4ELi64ELc78ELc78ELb0ELb0ELb0EfKPKfKPfEEviiiT16_PT17_ilSA_ilS8_SA_ilPT18_ili26rocblas_geam_ex_operation_.kd
    .uniform_work_group_size: 1
    .uses_dynamic_stack: false
    .vgpr_count:     228
    .vgpr_spill_count: 0
    .wavefront_size: 32
    .workgroup_processor_mode: 1
  - .args:
      - .offset:         0
        .size:           4
        .value_kind:     by_value
      - .offset:         4
        .size:           4
        .value_kind:     by_value
      - .offset:         8
        .size:           4
        .value_kind:     by_value
      - .address_space:  global
        .offset:         16
        .size:           8
        .value_kind:     global_buffer
      - .address_space:  global
        .offset:         24
        .size:           8
        .value_kind:     global_buffer
      - .offset:         32
        .size:           4
        .value_kind:     by_value
      - .offset:         40
        .size:           8
        .value_kind:     by_value
      - .address_space:  global
        .offset:         48
        .size:           8
        .value_kind:     global_buffer
      - .offset:         56
        .size:           4
        .value_kind:     by_value
      - .offset:         64
        .size:           8
        .value_kind:     by_value
      - .address_space:  global
        .offset:         72
        .size:           8
        .value_kind:     global_buffer
      - .address_space:  global
        .offset:         80
        .size:           8
        .value_kind:     global_buffer
      - .offset:         88
        .size:           4
        .value_kind:     by_value
      - .offset:         96
        .size:           8
        .value_kind:     by_value
      - .address_space:  global
        .offset:         104
        .size:           8
        .value_kind:     global_buffer
      - .offset:         112
        .size:           4
        .value_kind:     by_value
      - .offset:         120
        .size:           8
        .value_kind:     by_value
      - .offset:         128
        .size:           4
        .value_kind:     by_value
      - .offset:         132
        .size:           4
        .value_kind:     by_value
    .group_segment_fixed_size: 6144
    .kernarg_segment_align: 8
    .kernarg_segment_size: 136
    .language:       OpenCL C
    .language_version:
      - 2
      - 0
    .max_flat_workgroup_size: 256
    .name:           _ZN12_GLOBAL__N_120geam_min_plus_kernelIf15HIP_vector_typeIfLj2EES2_Li8ELi32ELi64ELi128ELi4ELi64ELi4ELi4ELi64ELc78ELc78ELb0ELb1ELb0EPKfKS4_KPfEEviiiT16_PT17_ilSA_ilS8_SA_ilPT18_ili26rocblas_geam_ex_operation_
    .private_segment_fixed_size: 0
    .sgpr_count:     31
    .sgpr_spill_count: 0
    .symbol:         _ZN12_GLOBAL__N_120geam_min_plus_kernelIf15HIP_vector_typeIfLj2EES2_Li8ELi32ELi64ELi128ELi4ELi64ELi4ELi4ELi64ELc78ELc78ELb0ELb1ELb0EPKfKS4_KPfEEviiiT16_PT17_ilSA_ilS8_SA_ilPT18_ili26rocblas_geam_ex_operation_.kd
    .uniform_work_group_size: 1
    .uses_dynamic_stack: false
    .vgpr_count:     233
    .vgpr_spill_count: 0
    .wavefront_size: 32
    .workgroup_processor_mode: 1
  - .args:
      - .offset:         0
        .size:           4
        .value_kind:     by_value
      - .offset:         4
        .size:           4
        .value_kind:     by_value
      - .offset:         8
        .size:           4
        .value_kind:     by_value
      - .offset:         12
        .size:           4
        .value_kind:     by_value
      - .address_space:  global
        .offset:         16
        .size:           8
        .value_kind:     global_buffer
      - .offset:         24
        .size:           4
        .value_kind:     by_value
      - .offset:         32
        .size:           8
        .value_kind:     by_value
      - .address_space:  global
        .offset:         40
        .size:           8
        .value_kind:     global_buffer
      - .offset:         48
        .size:           4
        .value_kind:     by_value
      - .offset:         56
        .size:           8
        .value_kind:     by_value
      - .offset:         64
        .size:           4
        .value_kind:     by_value
      - .address_space:  global
        .offset:         72
        .size:           8
        .value_kind:     global_buffer
      - .offset:         80
        .size:           4
        .value_kind:     by_value
      - .offset:         88
        .size:           8
        .value_kind:     by_value
      - .address_space:  global
        .offset:         96
        .size:           8
        .value_kind:     global_buffer
      - .offset:         104
        .size:           4
        .value_kind:     by_value
      - .offset:         112
        .size:           8
        .value_kind:     by_value
      - .offset:         120
        .size:           4
        .value_kind:     by_value
      - .offset:         124
        .size:           4
        .value_kind:     by_value
    .group_segment_fixed_size: 6144
    .kernarg_segment_align: 8
    .kernarg_segment_size: 128
    .language:       OpenCL C
    .language_version:
      - 2
      - 0
    .max_flat_workgroup_size: 256
    .name:           _ZN12_GLOBAL__N_120geam_min_plus_kernelIf15HIP_vector_typeIfLj2EES2_Li8ELi32ELi64ELi128ELi4ELi64ELi4ELi4ELi64ELc78ELc78ELb1ELb1ELb0EfKPKfKPfEEviiiT16_PT17_ilSA_ilS8_SA_ilPT18_ili26rocblas_geam_ex_operation_
    .private_segment_fixed_size: 0
    .sgpr_count:     27
    .sgpr_spill_count: 0
    .symbol:         _ZN12_GLOBAL__N_120geam_min_plus_kernelIf15HIP_vector_typeIfLj2EES2_Li8ELi32ELi64ELi128ELi4ELi64ELi4ELi4ELi64ELc78ELc78ELb1ELb1ELb0EfKPKfKPfEEviiiT16_PT17_ilSA_ilS8_SA_ilPT18_ili26rocblas_geam_ex_operation_.kd
    .uniform_work_group_size: 1
    .uses_dynamic_stack: false
    .vgpr_count:     231
    .vgpr_spill_count: 0
    .wavefront_size: 32
    .workgroup_processor_mode: 1
  - .args:
      - .offset:         0
        .size:           4
        .value_kind:     by_value
      - .offset:         4
        .size:           4
        .value_kind:     by_value
      - .offset:         8
        .size:           4
        .value_kind:     by_value
      - .offset:         12
        .size:           4
        .value_kind:     by_value
      - .address_space:  global
        .offset:         16
        .size:           8
        .value_kind:     global_buffer
      - .offset:         24
        .size:           4
        .value_kind:     by_value
      - .offset:         32
        .size:           8
        .value_kind:     by_value
      - .address_space:  global
        .offset:         40
        .size:           8
        .value_kind:     global_buffer
      - .offset:         48
        .size:           4
        .value_kind:     by_value
      - .offset:         56
        .size:           8
        .value_kind:     by_value
      - .offset:         64
        .size:           4
        .value_kind:     by_value
      - .address_space:  global
        .offset:         72
        .size:           8
        .value_kind:     global_buffer
      - .offset:         80
        .size:           4
        .value_kind:     by_value
      - .offset:         88
        .size:           8
        .value_kind:     by_value
      - .address_space:  global
        .offset:         96
        .size:           8
        .value_kind:     global_buffer
      - .offset:         104
        .size:           4
        .value_kind:     by_value
      - .offset:         112
        .size:           8
        .value_kind:     by_value
      - .offset:         120
        .size:           4
        .value_kind:     by_value
      - .offset:         124
        .size:           4
        .value_kind:     by_value
    .group_segment_fixed_size: 6144
    .kernarg_segment_align: 8
    .kernarg_segment_size: 128
    .language:       OpenCL C
    .language_version:
      - 2
      - 0
    .max_flat_workgroup_size: 256
    .name:           _ZN12_GLOBAL__N_120geam_min_plus_kernelIf15HIP_vector_typeIfLj2EES2_Li8ELi32ELi64ELi128ELi4ELi64ELi4ELi4ELi64ELc78ELc78ELb0ELb1ELb0EfKPKfKPfEEviiiT16_PT17_ilSA_ilS8_SA_ilPT18_ili26rocblas_geam_ex_operation_
    .private_segment_fixed_size: 0
    .sgpr_count:     31
    .sgpr_spill_count: 0
    .symbol:         _ZN12_GLOBAL__N_120geam_min_plus_kernelIf15HIP_vector_typeIfLj2EES2_Li8ELi32ELi64ELi128ELi4ELi64ELi4ELi4ELi64ELc78ELc78ELb0ELb1ELb0EfKPKfKPfEEviiiT16_PT17_ilSA_ilS8_SA_ilPT18_ili26rocblas_geam_ex_operation_.kd
    .uniform_work_group_size: 1
    .uses_dynamic_stack: false
    .vgpr_count:     233
    .vgpr_spill_count: 0
    .wavefront_size: 32
    .workgroup_processor_mode: 1
  - .args:
      - .offset:         0
        .size:           4
        .value_kind:     by_value
      - .offset:         4
        .size:           4
        .value_kind:     by_value
      - .offset:         8
        .size:           4
        .value_kind:     by_value
      - .address_space:  global
        .offset:         16
        .size:           8
        .value_kind:     global_buffer
      - .address_space:  global
        .offset:         24
        .size:           8
        .value_kind:     global_buffer
      - .offset:         32
        .size:           4
        .value_kind:     by_value
      - .offset:         40
        .size:           8
        .value_kind:     by_value
      - .address_space:  global
        .offset:         48
        .size:           8
        .value_kind:     global_buffer
      - .offset:         56
        .size:           4
        .value_kind:     by_value
      - .offset:         64
        .size:           8
        .value_kind:     by_value
      - .address_space:  global
        .offset:         72
        .size:           8
        .value_kind:     global_buffer
      - .address_space:  global
        .offset:         80
        .size:           8
        .value_kind:     global_buffer
      - .offset:         88
        .size:           4
        .value_kind:     by_value
      - .offset:         96
        .size:           8
        .value_kind:     by_value
      - .address_space:  global
        .offset:         104
        .size:           8
        .value_kind:     global_buffer
      - .offset:         112
        .size:           4
        .value_kind:     by_value
      - .offset:         120
        .size:           8
        .value_kind:     by_value
      - .offset:         128
        .size:           4
        .value_kind:     by_value
      - .offset:         132
        .size:           4
        .value_kind:     by_value
    .group_segment_fixed_size: 6144
    .kernarg_segment_align: 8
    .kernarg_segment_size: 136
    .language:       OpenCL C
    .language_version:
      - 2
      - 0
    .max_flat_workgroup_size: 256
    .name:           _ZN12_GLOBAL__N_120geam_min_plus_kernelIf15HIP_vector_typeIfLj2EES2_Li8ELi32ELi64ELi128ELi4ELi4ELi64ELi4ELi64ELc84ELc78ELb0ELb0ELb0EPKfKS4_KPfEEviiiT16_PT17_ilSA_ilS8_SA_ilPT18_ili26rocblas_geam_ex_operation_
    .private_segment_fixed_size: 0
    .sgpr_count:     26
    .sgpr_spill_count: 0
    .symbol:         _ZN12_GLOBAL__N_120geam_min_plus_kernelIf15HIP_vector_typeIfLj2EES2_Li8ELi32ELi64ELi128ELi4ELi4ELi64ELi4ELi64ELc84ELc78ELb0ELb0ELb0EPKfKS4_KPfEEviiiT16_PT17_ilSA_ilS8_SA_ilPT18_ili26rocblas_geam_ex_operation_.kd
    .uniform_work_group_size: 1
    .uses_dynamic_stack: false
    .vgpr_count:     224
    .vgpr_spill_count: 0
    .wavefront_size: 32
    .workgroup_processor_mode: 1
  - .args:
      - .offset:         0
        .size:           4
        .value_kind:     by_value
      - .offset:         4
        .size:           4
        .value_kind:     by_value
      - .offset:         8
        .size:           4
        .value_kind:     by_value
      - .offset:         12
        .size:           4
        .value_kind:     by_value
      - .address_space:  global
        .offset:         16
        .size:           8
        .value_kind:     global_buffer
      - .offset:         24
        .size:           4
        .value_kind:     by_value
      - .offset:         32
        .size:           8
        .value_kind:     by_value
      - .address_space:  global
        .offset:         40
        .size:           8
        .value_kind:     global_buffer
      - .offset:         48
        .size:           4
        .value_kind:     by_value
      - .offset:         56
        .size:           8
        .value_kind:     by_value
      - .offset:         64
        .size:           4
        .value_kind:     by_value
      - .address_space:  global
        .offset:         72
        .size:           8
        .value_kind:     global_buffer
      - .offset:         80
        .size:           4
        .value_kind:     by_value
      - .offset:         88
        .size:           8
        .value_kind:     by_value
      - .address_space:  global
        .offset:         96
        .size:           8
        .value_kind:     global_buffer
      - .offset:         104
        .size:           4
        .value_kind:     by_value
      - .offset:         112
        .size:           8
        .value_kind:     by_value
      - .offset:         120
        .size:           4
        .value_kind:     by_value
      - .offset:         124
        .size:           4
        .value_kind:     by_value
    .group_segment_fixed_size: 6144
    .kernarg_segment_align: 8
    .kernarg_segment_size: 128
    .language:       OpenCL C
    .language_version:
      - 2
      - 0
    .max_flat_workgroup_size: 256
    .name:           _ZN12_GLOBAL__N_120geam_min_plus_kernelIf15HIP_vector_typeIfLj2EES2_Li8ELi32ELi64ELi128ELi4ELi4ELi64ELi4ELi64ELc84ELc78ELb1ELb0ELb0EfKPKfKPfEEviiiT16_PT17_ilSA_ilS8_SA_ilPT18_ili26rocblas_geam_ex_operation_
    .private_segment_fixed_size: 0
    .sgpr_count:     24
    .sgpr_spill_count: 0
    .symbol:         _ZN12_GLOBAL__N_120geam_min_plus_kernelIf15HIP_vector_typeIfLj2EES2_Li8ELi32ELi64ELi128ELi4ELi4ELi64ELi4ELi64ELc84ELc78ELb1ELb0ELb0EfKPKfKPfEEviiiT16_PT17_ilSA_ilS8_SA_ilPT18_ili26rocblas_geam_ex_operation_.kd
    .uniform_work_group_size: 1
    .uses_dynamic_stack: false
    .vgpr_count:     224
    .vgpr_spill_count: 0
    .wavefront_size: 32
    .workgroup_processor_mode: 1
  - .args:
      - .offset:         0
        .size:           4
        .value_kind:     by_value
      - .offset:         4
        .size:           4
        .value_kind:     by_value
      - .offset:         8
        .size:           4
        .value_kind:     by_value
      - .offset:         12
        .size:           4
        .value_kind:     by_value
      - .address_space:  global
        .offset:         16
        .size:           8
        .value_kind:     global_buffer
      - .offset:         24
        .size:           4
        .value_kind:     by_value
      - .offset:         32
        .size:           8
        .value_kind:     by_value
      - .address_space:  global
        .offset:         40
        .size:           8
        .value_kind:     global_buffer
      - .offset:         48
        .size:           4
        .value_kind:     by_value
      - .offset:         56
        .size:           8
        .value_kind:     by_value
      - .offset:         64
        .size:           4
        .value_kind:     by_value
      - .address_space:  global
        .offset:         72
        .size:           8
        .value_kind:     global_buffer
      - .offset:         80
        .size:           4
        .value_kind:     by_value
      - .offset:         88
        .size:           8
        .value_kind:     by_value
      - .address_space:  global
        .offset:         96
        .size:           8
        .value_kind:     global_buffer
      - .offset:         104
        .size:           4
        .value_kind:     by_value
      - .offset:         112
        .size:           8
        .value_kind:     by_value
      - .offset:         120
        .size:           4
        .value_kind:     by_value
      - .offset:         124
        .size:           4
        .value_kind:     by_value
    .group_segment_fixed_size: 6144
    .kernarg_segment_align: 8
    .kernarg_segment_size: 128
    .language:       OpenCL C
    .language_version:
      - 2
      - 0
    .max_flat_workgroup_size: 256
    .name:           _ZN12_GLOBAL__N_120geam_min_plus_kernelIf15HIP_vector_typeIfLj2EES2_Li8ELi32ELi64ELi128ELi4ELi4ELi64ELi4ELi64ELc84ELc78ELb0ELb0ELb0EfKPKfKPfEEviiiT16_PT17_ilSA_ilS8_SA_ilPT18_ili26rocblas_geam_ex_operation_
    .private_segment_fixed_size: 0
    .sgpr_count:     26
    .sgpr_spill_count: 0
    .symbol:         _ZN12_GLOBAL__N_120geam_min_plus_kernelIf15HIP_vector_typeIfLj2EES2_Li8ELi32ELi64ELi128ELi4ELi4ELi64ELi4ELi64ELc84ELc78ELb0ELb0ELb0EfKPKfKPfEEviiiT16_PT17_ilSA_ilS8_SA_ilPT18_ili26rocblas_geam_ex_operation_.kd
    .uniform_work_group_size: 1
    .uses_dynamic_stack: false
    .vgpr_count:     224
    .vgpr_spill_count: 0
    .wavefront_size: 32
    .workgroup_processor_mode: 1
  - .args:
      - .offset:         0
        .size:           4
        .value_kind:     by_value
      - .offset:         4
        .size:           4
        .value_kind:     by_value
      - .offset:         8
        .size:           4
        .value_kind:     by_value
      - .address_space:  global
        .offset:         16
        .size:           8
        .value_kind:     global_buffer
      - .address_space:  global
        .offset:         24
        .size:           8
        .value_kind:     global_buffer
      - .offset:         32
        .size:           4
        .value_kind:     by_value
      - .offset:         40
        .size:           8
        .value_kind:     by_value
      - .address_space:  global
        .offset:         48
        .size:           8
        .value_kind:     global_buffer
      - .offset:         56
        .size:           4
        .value_kind:     by_value
      - .offset:         64
        .size:           8
        .value_kind:     by_value
      - .address_space:  global
        .offset:         72
        .size:           8
        .value_kind:     global_buffer
      - .address_space:  global
        .offset:         80
        .size:           8
        .value_kind:     global_buffer
      - .offset:         88
        .size:           4
        .value_kind:     by_value
      - .offset:         96
        .size:           8
        .value_kind:     by_value
      - .address_space:  global
        .offset:         104
        .size:           8
        .value_kind:     global_buffer
      - .offset:         112
        .size:           4
        .value_kind:     by_value
      - .offset:         120
        .size:           8
        .value_kind:     by_value
      - .offset:         128
        .size:           4
        .value_kind:     by_value
      - .offset:         132
        .size:           4
        .value_kind:     by_value
    .group_segment_fixed_size: 6144
    .kernarg_segment_align: 8
    .kernarg_segment_size: 136
    .language:       OpenCL C
    .language_version:
      - 2
      - 0
    .max_flat_workgroup_size: 256
    .name:           _ZN12_GLOBAL__N_120geam_min_plus_kernelIf15HIP_vector_typeIfLj2EES2_Li8ELi32ELi64ELi128ELi4ELi4ELi64ELi4ELi64ELc84ELc78ELb0ELb1ELb0EPKfKS4_KPfEEviiiT16_PT17_ilSA_ilS8_SA_ilPT18_ili26rocblas_geam_ex_operation_
    .private_segment_fixed_size: 0
    .sgpr_count:     31
    .sgpr_spill_count: 0
    .symbol:         _ZN12_GLOBAL__N_120geam_min_plus_kernelIf15HIP_vector_typeIfLj2EES2_Li8ELi32ELi64ELi128ELi4ELi4ELi64ELi4ELi64ELc84ELc78ELb0ELb1ELb0EPKfKS4_KPfEEviiiT16_PT17_ilSA_ilS8_SA_ilPT18_ili26rocblas_geam_ex_operation_.kd
    .uniform_work_group_size: 1
    .uses_dynamic_stack: false
    .vgpr_count:     227
    .vgpr_spill_count: 0
    .wavefront_size: 32
    .workgroup_processor_mode: 1
  - .args:
      - .offset:         0
        .size:           4
        .value_kind:     by_value
      - .offset:         4
        .size:           4
        .value_kind:     by_value
      - .offset:         8
        .size:           4
        .value_kind:     by_value
      - .offset:         12
        .size:           4
        .value_kind:     by_value
      - .address_space:  global
        .offset:         16
        .size:           8
        .value_kind:     global_buffer
      - .offset:         24
        .size:           4
        .value_kind:     by_value
      - .offset:         32
        .size:           8
        .value_kind:     by_value
      - .address_space:  global
        .offset:         40
        .size:           8
        .value_kind:     global_buffer
      - .offset:         48
        .size:           4
        .value_kind:     by_value
      - .offset:         56
        .size:           8
        .value_kind:     by_value
      - .offset:         64
        .size:           4
        .value_kind:     by_value
      - .address_space:  global
        .offset:         72
        .size:           8
        .value_kind:     global_buffer
      - .offset:         80
        .size:           4
        .value_kind:     by_value
      - .offset:         88
        .size:           8
        .value_kind:     by_value
      - .address_space:  global
        .offset:         96
        .size:           8
        .value_kind:     global_buffer
      - .offset:         104
        .size:           4
        .value_kind:     by_value
      - .offset:         112
        .size:           8
        .value_kind:     by_value
      - .offset:         120
        .size:           4
        .value_kind:     by_value
      - .offset:         124
        .size:           4
        .value_kind:     by_value
    .group_segment_fixed_size: 6144
    .kernarg_segment_align: 8
    .kernarg_segment_size: 128
    .language:       OpenCL C
    .language_version:
      - 2
      - 0
    .max_flat_workgroup_size: 256
    .name:           _ZN12_GLOBAL__N_120geam_min_plus_kernelIf15HIP_vector_typeIfLj2EES2_Li8ELi32ELi64ELi128ELi4ELi4ELi64ELi4ELi64ELc84ELc78ELb1ELb1ELb0EfKPKfKPfEEviiiT16_PT17_ilSA_ilS8_SA_ilPT18_ili26rocblas_geam_ex_operation_
    .private_segment_fixed_size: 0
    .sgpr_count:     28
    .sgpr_spill_count: 0
    .symbol:         _ZN12_GLOBAL__N_120geam_min_plus_kernelIf15HIP_vector_typeIfLj2EES2_Li8ELi32ELi64ELi128ELi4ELi4ELi64ELi4ELi64ELc84ELc78ELb1ELb1ELb0EfKPKfKPfEEviiiT16_PT17_ilSA_ilS8_SA_ilPT18_ili26rocblas_geam_ex_operation_.kd
    .uniform_work_group_size: 1
    .uses_dynamic_stack: false
    .vgpr_count:     226
    .vgpr_spill_count: 0
    .wavefront_size: 32
    .workgroup_processor_mode: 1
  - .args:
      - .offset:         0
        .size:           4
        .value_kind:     by_value
      - .offset:         4
        .size:           4
        .value_kind:     by_value
      - .offset:         8
        .size:           4
        .value_kind:     by_value
      - .offset:         12
        .size:           4
        .value_kind:     by_value
      - .address_space:  global
        .offset:         16
        .size:           8
        .value_kind:     global_buffer
      - .offset:         24
        .size:           4
        .value_kind:     by_value
      - .offset:         32
        .size:           8
        .value_kind:     by_value
      - .address_space:  global
        .offset:         40
        .size:           8
        .value_kind:     global_buffer
      - .offset:         48
        .size:           4
        .value_kind:     by_value
      - .offset:         56
        .size:           8
        .value_kind:     by_value
      - .offset:         64
        .size:           4
        .value_kind:     by_value
      - .address_space:  global
        .offset:         72
        .size:           8
        .value_kind:     global_buffer
      - .offset:         80
        .size:           4
        .value_kind:     by_value
      - .offset:         88
        .size:           8
        .value_kind:     by_value
      - .address_space:  global
        .offset:         96
        .size:           8
        .value_kind:     global_buffer
      - .offset:         104
        .size:           4
        .value_kind:     by_value
      - .offset:         112
        .size:           8
        .value_kind:     by_value
      - .offset:         120
        .size:           4
        .value_kind:     by_value
      - .offset:         124
        .size:           4
        .value_kind:     by_value
    .group_segment_fixed_size: 6144
    .kernarg_segment_align: 8
    .kernarg_segment_size: 128
    .language:       OpenCL C
    .language_version:
      - 2
      - 0
    .max_flat_workgroup_size: 256
    .name:           _ZN12_GLOBAL__N_120geam_min_plus_kernelIf15HIP_vector_typeIfLj2EES2_Li8ELi32ELi64ELi128ELi4ELi4ELi64ELi4ELi64ELc84ELc78ELb0ELb1ELb0EfKPKfKPfEEviiiT16_PT17_ilSA_ilS8_SA_ilPT18_ili26rocblas_geam_ex_operation_
    .private_segment_fixed_size: 0
    .sgpr_count:     31
    .sgpr_spill_count: 0
    .symbol:         _ZN12_GLOBAL__N_120geam_min_plus_kernelIf15HIP_vector_typeIfLj2EES2_Li8ELi32ELi64ELi128ELi4ELi4ELi64ELi4ELi64ELc84ELc78ELb0ELb1ELb0EfKPKfKPfEEviiiT16_PT17_ilSA_ilS8_SA_ilPT18_ili26rocblas_geam_ex_operation_.kd
    .uniform_work_group_size: 1
    .uses_dynamic_stack: false
    .vgpr_count:     227
    .vgpr_spill_count: 0
    .wavefront_size: 32
    .workgroup_processor_mode: 1
  - .args:
      - .offset:         0
        .size:           4
        .value_kind:     by_value
      - .offset:         4
        .size:           4
        .value_kind:     by_value
      - .offset:         8
        .size:           4
        .value_kind:     by_value
      - .address_space:  global
        .offset:         16
        .size:           8
        .value_kind:     global_buffer
      - .address_space:  global
        .offset:         24
        .size:           8
        .value_kind:     global_buffer
      - .offset:         32
        .size:           4
        .value_kind:     by_value
      - .offset:         40
        .size:           8
        .value_kind:     by_value
      - .address_space:  global
        .offset:         48
        .size:           8
        .value_kind:     global_buffer
      - .offset:         56
        .size:           4
        .value_kind:     by_value
      - .offset:         64
        .size:           8
        .value_kind:     by_value
      - .address_space:  global
        .offset:         72
        .size:           8
        .value_kind:     global_buffer
      - .address_space:  global
        .offset:         80
        .size:           8
        .value_kind:     global_buffer
      - .offset:         88
        .size:           4
        .value_kind:     by_value
      - .offset:         96
        .size:           8
        .value_kind:     by_value
      - .address_space:  global
        .offset:         104
        .size:           8
        .value_kind:     global_buffer
      - .offset:         112
        .size:           4
        .value_kind:     by_value
      - .offset:         120
        .size:           8
        .value_kind:     by_value
      - .offset:         128
        .size:           4
        .value_kind:     by_value
      - .offset:         132
        .size:           4
        .value_kind:     by_value
    .group_segment_fixed_size: 6144
    .kernarg_segment_align: 8
    .kernarg_segment_size: 136
    .language:       OpenCL C
    .language_version:
      - 2
      - 0
    .max_flat_workgroup_size: 256
    .name:           _ZN12_GLOBAL__N_120geam_min_plus_kernelIf15HIP_vector_typeIfLj2EES2_Li8ELi32ELi64ELi128ELi4ELi64ELi4ELi64ELi4ELc78ELc84ELb0ELb0ELb0EPKfKS4_KPfEEviiiT16_PT17_ilSA_ilS8_SA_ilPT18_ili26rocblas_geam_ex_operation_
    .private_segment_fixed_size: 0
    .sgpr_count:     26
    .sgpr_spill_count: 0
    .symbol:         _ZN12_GLOBAL__N_120geam_min_plus_kernelIf15HIP_vector_typeIfLj2EES2_Li8ELi32ELi64ELi128ELi4ELi64ELi4ELi64ELi4ELc78ELc84ELb0ELb0ELb0EPKfKS4_KPfEEviiiT16_PT17_ilSA_ilS8_SA_ilPT18_ili26rocblas_geam_ex_operation_.kd
    .uniform_work_group_size: 1
    .uses_dynamic_stack: false
    .vgpr_count:     229
    .vgpr_spill_count: 0
    .wavefront_size: 32
    .workgroup_processor_mode: 1
  - .args:
      - .offset:         0
        .size:           4
        .value_kind:     by_value
      - .offset:         4
        .size:           4
        .value_kind:     by_value
      - .offset:         8
        .size:           4
        .value_kind:     by_value
      - .offset:         12
        .size:           4
        .value_kind:     by_value
      - .address_space:  global
        .offset:         16
        .size:           8
        .value_kind:     global_buffer
      - .offset:         24
        .size:           4
        .value_kind:     by_value
      - .offset:         32
        .size:           8
        .value_kind:     by_value
      - .address_space:  global
        .offset:         40
        .size:           8
        .value_kind:     global_buffer
      - .offset:         48
        .size:           4
        .value_kind:     by_value
      - .offset:         56
        .size:           8
        .value_kind:     by_value
      - .offset:         64
        .size:           4
        .value_kind:     by_value
      - .address_space:  global
        .offset:         72
        .size:           8
        .value_kind:     global_buffer
      - .offset:         80
        .size:           4
        .value_kind:     by_value
      - .offset:         88
        .size:           8
        .value_kind:     by_value
      - .address_space:  global
        .offset:         96
        .size:           8
        .value_kind:     global_buffer
      - .offset:         104
        .size:           4
        .value_kind:     by_value
      - .offset:         112
        .size:           8
        .value_kind:     by_value
      - .offset:         120
        .size:           4
        .value_kind:     by_value
      - .offset:         124
        .size:           4
        .value_kind:     by_value
    .group_segment_fixed_size: 6144
    .kernarg_segment_align: 8
    .kernarg_segment_size: 128
    .language:       OpenCL C
    .language_version:
      - 2
      - 0
    .max_flat_workgroup_size: 256
    .name:           _ZN12_GLOBAL__N_120geam_min_plus_kernelIf15HIP_vector_typeIfLj2EES2_Li8ELi32ELi64ELi128ELi4ELi64ELi4ELi64ELi4ELc78ELc84ELb1ELb0ELb0EfKPKfKPfEEviiiT16_PT17_ilSA_ilS8_SA_ilPT18_ili26rocblas_geam_ex_operation_
    .private_segment_fixed_size: 0
    .sgpr_count:     24
    .sgpr_spill_count: 0
    .symbol:         _ZN12_GLOBAL__N_120geam_min_plus_kernelIf15HIP_vector_typeIfLj2EES2_Li8ELi32ELi64ELi128ELi4ELi64ELi4ELi64ELi4ELc78ELc84ELb1ELb0ELb0EfKPKfKPfEEviiiT16_PT17_ilSA_ilS8_SA_ilPT18_ili26rocblas_geam_ex_operation_.kd
    .uniform_work_group_size: 1
    .uses_dynamic_stack: false
    .vgpr_count:     223
    .vgpr_spill_count: 0
    .wavefront_size: 32
    .workgroup_processor_mode: 1
  - .args:
      - .offset:         0
        .size:           4
        .value_kind:     by_value
      - .offset:         4
        .size:           4
        .value_kind:     by_value
      - .offset:         8
        .size:           4
        .value_kind:     by_value
      - .offset:         12
        .size:           4
        .value_kind:     by_value
      - .address_space:  global
        .offset:         16
        .size:           8
        .value_kind:     global_buffer
      - .offset:         24
        .size:           4
        .value_kind:     by_value
      - .offset:         32
        .size:           8
        .value_kind:     by_value
      - .address_space:  global
        .offset:         40
        .size:           8
        .value_kind:     global_buffer
      - .offset:         48
        .size:           4
        .value_kind:     by_value
      - .offset:         56
        .size:           8
        .value_kind:     by_value
      - .offset:         64
        .size:           4
        .value_kind:     by_value
      - .address_space:  global
        .offset:         72
        .size:           8
        .value_kind:     global_buffer
      - .offset:         80
        .size:           4
        .value_kind:     by_value
      - .offset:         88
        .size:           8
        .value_kind:     by_value
      - .address_space:  global
        .offset:         96
        .size:           8
        .value_kind:     global_buffer
      - .offset:         104
        .size:           4
        .value_kind:     by_value
      - .offset:         112
        .size:           8
        .value_kind:     by_value
      - .offset:         120
        .size:           4
        .value_kind:     by_value
      - .offset:         124
        .size:           4
        .value_kind:     by_value
    .group_segment_fixed_size: 6144
    .kernarg_segment_align: 8
    .kernarg_segment_size: 128
    .language:       OpenCL C
    .language_version:
      - 2
      - 0
    .max_flat_workgroup_size: 256
    .name:           _ZN12_GLOBAL__N_120geam_min_plus_kernelIf15HIP_vector_typeIfLj2EES2_Li8ELi32ELi64ELi128ELi4ELi64ELi4ELi64ELi4ELc78ELc84ELb0ELb0ELb0EfKPKfKPfEEviiiT16_PT17_ilSA_ilS8_SA_ilPT18_ili26rocblas_geam_ex_operation_
    .private_segment_fixed_size: 0
    .sgpr_count:     26
    .sgpr_spill_count: 0
    .symbol:         _ZN12_GLOBAL__N_120geam_min_plus_kernelIf15HIP_vector_typeIfLj2EES2_Li8ELi32ELi64ELi128ELi4ELi64ELi4ELi64ELi4ELc78ELc84ELb0ELb0ELb0EfKPKfKPfEEviiiT16_PT17_ilSA_ilS8_SA_ilPT18_ili26rocblas_geam_ex_operation_.kd
    .uniform_work_group_size: 1
    .uses_dynamic_stack: false
    .vgpr_count:     229
    .vgpr_spill_count: 0
    .wavefront_size: 32
    .workgroup_processor_mode: 1
  - .args:
      - .offset:         0
        .size:           4
        .value_kind:     by_value
      - .offset:         4
        .size:           4
        .value_kind:     by_value
      - .offset:         8
        .size:           4
        .value_kind:     by_value
      - .address_space:  global
        .offset:         16
        .size:           8
        .value_kind:     global_buffer
      - .address_space:  global
        .offset:         24
        .size:           8
        .value_kind:     global_buffer
      - .offset:         32
        .size:           4
        .value_kind:     by_value
      - .offset:         40
        .size:           8
        .value_kind:     by_value
      - .address_space:  global
        .offset:         48
        .size:           8
        .value_kind:     global_buffer
      - .offset:         56
        .size:           4
        .value_kind:     by_value
      - .offset:         64
        .size:           8
        .value_kind:     by_value
      - .address_space:  global
        .offset:         72
        .size:           8
        .value_kind:     global_buffer
      - .address_space:  global
        .offset:         80
        .size:           8
        .value_kind:     global_buffer
      - .offset:         88
        .size:           4
        .value_kind:     by_value
      - .offset:         96
        .size:           8
        .value_kind:     by_value
      - .address_space:  global
        .offset:         104
        .size:           8
        .value_kind:     global_buffer
      - .offset:         112
        .size:           4
        .value_kind:     by_value
      - .offset:         120
        .size:           8
        .value_kind:     by_value
      - .offset:         128
        .size:           4
        .value_kind:     by_value
      - .offset:         132
        .size:           4
        .value_kind:     by_value
    .group_segment_fixed_size: 6144
    .kernarg_segment_align: 8
    .kernarg_segment_size: 136
    .language:       OpenCL C
    .language_version:
      - 2
      - 0
    .max_flat_workgroup_size: 256
    .name:           _ZN12_GLOBAL__N_120geam_min_plus_kernelIf15HIP_vector_typeIfLj2EES2_Li8ELi32ELi64ELi128ELi4ELi64ELi4ELi64ELi4ELc78ELc84ELb0ELb1ELb0EPKfKS4_KPfEEviiiT16_PT17_ilSA_ilS8_SA_ilPT18_ili26rocblas_geam_ex_operation_
    .private_segment_fixed_size: 0
    .sgpr_count:     31
    .sgpr_spill_count: 0
    .symbol:         _ZN12_GLOBAL__N_120geam_min_plus_kernelIf15HIP_vector_typeIfLj2EES2_Li8ELi32ELi64ELi128ELi4ELi64ELi4ELi64ELi4ELc78ELc84ELb0ELb1ELb0EPKfKS4_KPfEEviiiT16_PT17_ilSA_ilS8_SA_ilPT18_ili26rocblas_geam_ex_operation_.kd
    .uniform_work_group_size: 1
    .uses_dynamic_stack: false
    .vgpr_count:     230
    .vgpr_spill_count: 0
    .wavefront_size: 32
    .workgroup_processor_mode: 1
  - .args:
      - .offset:         0
        .size:           4
        .value_kind:     by_value
      - .offset:         4
        .size:           4
        .value_kind:     by_value
      - .offset:         8
        .size:           4
        .value_kind:     by_value
      - .offset:         12
        .size:           4
        .value_kind:     by_value
      - .address_space:  global
        .offset:         16
        .size:           8
        .value_kind:     global_buffer
      - .offset:         24
        .size:           4
        .value_kind:     by_value
      - .offset:         32
        .size:           8
        .value_kind:     by_value
      - .address_space:  global
        .offset:         40
        .size:           8
        .value_kind:     global_buffer
      - .offset:         48
        .size:           4
        .value_kind:     by_value
      - .offset:         56
        .size:           8
        .value_kind:     by_value
      - .offset:         64
        .size:           4
        .value_kind:     by_value
      - .address_space:  global
        .offset:         72
        .size:           8
        .value_kind:     global_buffer
      - .offset:         80
        .size:           4
        .value_kind:     by_value
      - .offset:         88
        .size:           8
        .value_kind:     by_value
      - .address_space:  global
        .offset:         96
        .size:           8
        .value_kind:     global_buffer
      - .offset:         104
        .size:           4
        .value_kind:     by_value
      - .offset:         112
        .size:           8
        .value_kind:     by_value
      - .offset:         120
        .size:           4
        .value_kind:     by_value
      - .offset:         124
        .size:           4
        .value_kind:     by_value
    .group_segment_fixed_size: 6144
    .kernarg_segment_align: 8
    .kernarg_segment_size: 128
    .language:       OpenCL C
    .language_version:
      - 2
      - 0
    .max_flat_workgroup_size: 256
    .name:           _ZN12_GLOBAL__N_120geam_min_plus_kernelIf15HIP_vector_typeIfLj2EES2_Li8ELi32ELi64ELi128ELi4ELi64ELi4ELi64ELi4ELc78ELc84ELb1ELb1ELb0EfKPKfKPfEEviiiT16_PT17_ilSA_ilS8_SA_ilPT18_ili26rocblas_geam_ex_operation_
    .private_segment_fixed_size: 0
    .sgpr_count:     29
    .sgpr_spill_count: 0
    .symbol:         _ZN12_GLOBAL__N_120geam_min_plus_kernelIf15HIP_vector_typeIfLj2EES2_Li8ELi32ELi64ELi128ELi4ELi64ELi4ELi64ELi4ELc78ELc84ELb1ELb1ELb0EfKPKfKPfEEviiiT16_PT17_ilSA_ilS8_SA_ilPT18_ili26rocblas_geam_ex_operation_.kd
    .uniform_work_group_size: 1
    .uses_dynamic_stack: false
    .vgpr_count:     232
    .vgpr_spill_count: 0
    .wavefront_size: 32
    .workgroup_processor_mode: 1
  - .args:
      - .offset:         0
        .size:           4
        .value_kind:     by_value
      - .offset:         4
        .size:           4
        .value_kind:     by_value
      - .offset:         8
        .size:           4
        .value_kind:     by_value
      - .offset:         12
        .size:           4
        .value_kind:     by_value
      - .address_space:  global
        .offset:         16
        .size:           8
        .value_kind:     global_buffer
      - .offset:         24
        .size:           4
        .value_kind:     by_value
      - .offset:         32
        .size:           8
        .value_kind:     by_value
      - .address_space:  global
        .offset:         40
        .size:           8
        .value_kind:     global_buffer
      - .offset:         48
        .size:           4
        .value_kind:     by_value
      - .offset:         56
        .size:           8
        .value_kind:     by_value
      - .offset:         64
        .size:           4
        .value_kind:     by_value
      - .address_space:  global
        .offset:         72
        .size:           8
        .value_kind:     global_buffer
      - .offset:         80
        .size:           4
        .value_kind:     by_value
      - .offset:         88
        .size:           8
        .value_kind:     by_value
      - .address_space:  global
        .offset:         96
        .size:           8
        .value_kind:     global_buffer
      - .offset:         104
        .size:           4
        .value_kind:     by_value
      - .offset:         112
        .size:           8
        .value_kind:     by_value
      - .offset:         120
        .size:           4
        .value_kind:     by_value
      - .offset:         124
        .size:           4
        .value_kind:     by_value
    .group_segment_fixed_size: 6144
    .kernarg_segment_align: 8
    .kernarg_segment_size: 128
    .language:       OpenCL C
    .language_version:
      - 2
      - 0
    .max_flat_workgroup_size: 256
    .name:           _ZN12_GLOBAL__N_120geam_min_plus_kernelIf15HIP_vector_typeIfLj2EES2_Li8ELi32ELi64ELi128ELi4ELi64ELi4ELi64ELi4ELc78ELc84ELb0ELb1ELb0EfKPKfKPfEEviiiT16_PT17_ilSA_ilS8_SA_ilPT18_ili26rocblas_geam_ex_operation_
    .private_segment_fixed_size: 0
    .sgpr_count:     32
    .sgpr_spill_count: 0
    .symbol:         _ZN12_GLOBAL__N_120geam_min_plus_kernelIf15HIP_vector_typeIfLj2EES2_Li8ELi32ELi64ELi128ELi4ELi64ELi4ELi64ELi4ELc78ELc84ELb0ELb1ELb0EfKPKfKPfEEviiiT16_PT17_ilSA_ilS8_SA_ilPT18_ili26rocblas_geam_ex_operation_.kd
    .uniform_work_group_size: 1
    .uses_dynamic_stack: false
    .vgpr_count:     230
    .vgpr_spill_count: 0
    .wavefront_size: 32
    .workgroup_processor_mode: 1
  - .args:
      - .offset:         0
        .size:           4
        .value_kind:     by_value
      - .offset:         4
        .size:           4
        .value_kind:     by_value
      - .offset:         8
        .size:           4
        .value_kind:     by_value
      - .address_space:  global
        .offset:         16
        .size:           8
        .value_kind:     global_buffer
      - .address_space:  global
        .offset:         24
        .size:           8
        .value_kind:     global_buffer
      - .offset:         32
        .size:           4
        .value_kind:     by_value
      - .offset:         40
        .size:           8
        .value_kind:     by_value
      - .address_space:  global
        .offset:         48
        .size:           8
        .value_kind:     global_buffer
      - .offset:         56
        .size:           4
        .value_kind:     by_value
      - .offset:         64
        .size:           8
        .value_kind:     by_value
      - .address_space:  global
        .offset:         72
        .size:           8
        .value_kind:     global_buffer
      - .address_space:  global
        .offset:         80
        .size:           8
        .value_kind:     global_buffer
      - .offset:         88
        .size:           4
        .value_kind:     by_value
      - .offset:         96
        .size:           8
        .value_kind:     by_value
      - .address_space:  global
        .offset:         104
        .size:           8
        .value_kind:     global_buffer
      - .offset:         112
        .size:           4
        .value_kind:     by_value
      - .offset:         120
        .size:           8
        .value_kind:     by_value
      - .offset:         128
        .size:           4
        .value_kind:     by_value
      - .offset:         132
        .size:           4
        .value_kind:     by_value
    .group_segment_fixed_size: 6144
    .kernarg_segment_align: 8
    .kernarg_segment_size: 136
    .language:       OpenCL C
    .language_version:
      - 2
      - 0
    .max_flat_workgroup_size: 256
    .name:           _ZN12_GLOBAL__N_120geam_min_plus_kernelIf15HIP_vector_typeIfLj2EES2_Li8ELi32ELi64ELi128ELi4ELi4ELi64ELi64ELi4ELc84ELc84ELb0ELb0ELb0EPKfKS4_KPfEEviiiT16_PT17_ilSA_ilS8_SA_ilPT18_ili26rocblas_geam_ex_operation_
    .private_segment_fixed_size: 0
    .sgpr_count:     26
    .sgpr_spill_count: 0
    .symbol:         _ZN12_GLOBAL__N_120geam_min_plus_kernelIf15HIP_vector_typeIfLj2EES2_Li8ELi32ELi64ELi128ELi4ELi4ELi64ELi64ELi4ELc84ELc84ELb0ELb0ELb0EPKfKS4_KPfEEviiiT16_PT17_ilSA_ilS8_SA_ilPT18_ili26rocblas_geam_ex_operation_.kd
    .uniform_work_group_size: 1
    .uses_dynamic_stack: false
    .vgpr_count:     225
    .vgpr_spill_count: 0
    .wavefront_size: 32
    .workgroup_processor_mode: 1
  - .args:
      - .offset:         0
        .size:           4
        .value_kind:     by_value
      - .offset:         4
        .size:           4
        .value_kind:     by_value
      - .offset:         8
        .size:           4
        .value_kind:     by_value
      - .offset:         12
        .size:           4
        .value_kind:     by_value
      - .address_space:  global
        .offset:         16
        .size:           8
        .value_kind:     global_buffer
      - .offset:         24
        .size:           4
        .value_kind:     by_value
      - .offset:         32
        .size:           8
        .value_kind:     by_value
      - .address_space:  global
        .offset:         40
        .size:           8
        .value_kind:     global_buffer
      - .offset:         48
        .size:           4
        .value_kind:     by_value
      - .offset:         56
        .size:           8
        .value_kind:     by_value
      - .offset:         64
        .size:           4
        .value_kind:     by_value
      - .address_space:  global
        .offset:         72
        .size:           8
        .value_kind:     global_buffer
      - .offset:         80
        .size:           4
        .value_kind:     by_value
      - .offset:         88
        .size:           8
        .value_kind:     by_value
      - .address_space:  global
        .offset:         96
        .size:           8
        .value_kind:     global_buffer
      - .offset:         104
        .size:           4
        .value_kind:     by_value
      - .offset:         112
        .size:           8
        .value_kind:     by_value
      - .offset:         120
        .size:           4
        .value_kind:     by_value
      - .offset:         124
        .size:           4
        .value_kind:     by_value
    .group_segment_fixed_size: 6144
    .kernarg_segment_align: 8
    .kernarg_segment_size: 128
    .language:       OpenCL C
    .language_version:
      - 2
      - 0
    .max_flat_workgroup_size: 256
    .name:           _ZN12_GLOBAL__N_120geam_min_plus_kernelIf15HIP_vector_typeIfLj2EES2_Li8ELi32ELi64ELi128ELi4ELi4ELi64ELi64ELi4ELc84ELc84ELb1ELb0ELb0EfKPKfKPfEEviiiT16_PT17_ilSA_ilS8_SA_ilPT18_ili26rocblas_geam_ex_operation_
    .private_segment_fixed_size: 0
    .sgpr_count:     24
    .sgpr_spill_count: 0
    .symbol:         _ZN12_GLOBAL__N_120geam_min_plus_kernelIf15HIP_vector_typeIfLj2EES2_Li8ELi32ELi64ELi128ELi4ELi4ELi64ELi64ELi4ELc84ELc84ELb1ELb0ELb0EfKPKfKPfEEviiiT16_PT17_ilSA_ilS8_SA_ilPT18_ili26rocblas_geam_ex_operation_.kd
    .uniform_work_group_size: 1
    .uses_dynamic_stack: false
    .vgpr_count:     224
    .vgpr_spill_count: 0
    .wavefront_size: 32
    .workgroup_processor_mode: 1
  - .args:
      - .offset:         0
        .size:           4
        .value_kind:     by_value
      - .offset:         4
        .size:           4
        .value_kind:     by_value
      - .offset:         8
        .size:           4
        .value_kind:     by_value
      - .offset:         12
        .size:           4
        .value_kind:     by_value
      - .address_space:  global
        .offset:         16
        .size:           8
        .value_kind:     global_buffer
      - .offset:         24
        .size:           4
        .value_kind:     by_value
      - .offset:         32
        .size:           8
        .value_kind:     by_value
      - .address_space:  global
        .offset:         40
        .size:           8
        .value_kind:     global_buffer
      - .offset:         48
        .size:           4
        .value_kind:     by_value
      - .offset:         56
        .size:           8
        .value_kind:     by_value
      - .offset:         64
        .size:           4
        .value_kind:     by_value
      - .address_space:  global
        .offset:         72
        .size:           8
        .value_kind:     global_buffer
      - .offset:         80
        .size:           4
        .value_kind:     by_value
      - .offset:         88
        .size:           8
        .value_kind:     by_value
      - .address_space:  global
        .offset:         96
        .size:           8
        .value_kind:     global_buffer
      - .offset:         104
        .size:           4
        .value_kind:     by_value
      - .offset:         112
        .size:           8
        .value_kind:     by_value
      - .offset:         120
        .size:           4
        .value_kind:     by_value
      - .offset:         124
        .size:           4
        .value_kind:     by_value
    .group_segment_fixed_size: 6144
    .kernarg_segment_align: 8
    .kernarg_segment_size: 128
    .language:       OpenCL C
    .language_version:
      - 2
      - 0
    .max_flat_workgroup_size: 256
    .name:           _ZN12_GLOBAL__N_120geam_min_plus_kernelIf15HIP_vector_typeIfLj2EES2_Li8ELi32ELi64ELi128ELi4ELi4ELi64ELi64ELi4ELc84ELc84ELb0ELb0ELb0EfKPKfKPfEEviiiT16_PT17_ilSA_ilS8_SA_ilPT18_ili26rocblas_geam_ex_operation_
    .private_segment_fixed_size: 0
    .sgpr_count:     26
    .sgpr_spill_count: 0
    .symbol:         _ZN12_GLOBAL__N_120geam_min_plus_kernelIf15HIP_vector_typeIfLj2EES2_Li8ELi32ELi64ELi128ELi4ELi4ELi64ELi64ELi4ELc84ELc84ELb0ELb0ELb0EfKPKfKPfEEviiiT16_PT17_ilSA_ilS8_SA_ilPT18_ili26rocblas_geam_ex_operation_.kd
    .uniform_work_group_size: 1
    .uses_dynamic_stack: false
    .vgpr_count:     225
    .vgpr_spill_count: 0
    .wavefront_size: 32
    .workgroup_processor_mode: 1
  - .args:
      - .offset:         0
        .size:           4
        .value_kind:     by_value
      - .offset:         4
        .size:           4
        .value_kind:     by_value
      - .offset:         8
        .size:           4
        .value_kind:     by_value
      - .address_space:  global
        .offset:         16
        .size:           8
        .value_kind:     global_buffer
      - .address_space:  global
        .offset:         24
        .size:           8
        .value_kind:     global_buffer
      - .offset:         32
        .size:           4
        .value_kind:     by_value
      - .offset:         40
        .size:           8
        .value_kind:     by_value
      - .address_space:  global
        .offset:         48
        .size:           8
        .value_kind:     global_buffer
      - .offset:         56
        .size:           4
        .value_kind:     by_value
      - .offset:         64
        .size:           8
        .value_kind:     by_value
      - .address_space:  global
        .offset:         72
        .size:           8
        .value_kind:     global_buffer
      - .address_space:  global
        .offset:         80
        .size:           8
        .value_kind:     global_buffer
      - .offset:         88
        .size:           4
        .value_kind:     by_value
      - .offset:         96
        .size:           8
        .value_kind:     by_value
      - .address_space:  global
        .offset:         104
        .size:           8
        .value_kind:     global_buffer
      - .offset:         112
        .size:           4
        .value_kind:     by_value
      - .offset:         120
        .size:           8
        .value_kind:     by_value
      - .offset:         128
        .size:           4
        .value_kind:     by_value
      - .offset:         132
        .size:           4
        .value_kind:     by_value
    .group_segment_fixed_size: 6144
    .kernarg_segment_align: 8
    .kernarg_segment_size: 136
    .language:       OpenCL C
    .language_version:
      - 2
      - 0
    .max_flat_workgroup_size: 256
    .name:           _ZN12_GLOBAL__N_120geam_min_plus_kernelIf15HIP_vector_typeIfLj2EES2_Li8ELi32ELi64ELi128ELi4ELi4ELi64ELi64ELi4ELc84ELc84ELb0ELb1ELb0EPKfKS4_KPfEEviiiT16_PT17_ilSA_ilS8_SA_ilPT18_ili26rocblas_geam_ex_operation_
    .private_segment_fixed_size: 0
    .sgpr_count:     30
    .sgpr_spill_count: 0
    .symbol:         _ZN12_GLOBAL__N_120geam_min_plus_kernelIf15HIP_vector_typeIfLj2EES2_Li8ELi32ELi64ELi128ELi4ELi4ELi64ELi64ELi4ELc84ELc84ELb0ELb1ELb0EPKfKS4_KPfEEviiiT16_PT17_ilSA_ilS8_SA_ilPT18_ili26rocblas_geam_ex_operation_.kd
    .uniform_work_group_size: 1
    .uses_dynamic_stack: false
    .vgpr_count:     226
    .vgpr_spill_count: 0
    .wavefront_size: 32
    .workgroup_processor_mode: 1
  - .args:
      - .offset:         0
        .size:           4
        .value_kind:     by_value
      - .offset:         4
        .size:           4
        .value_kind:     by_value
      - .offset:         8
        .size:           4
        .value_kind:     by_value
      - .offset:         12
        .size:           4
        .value_kind:     by_value
      - .address_space:  global
        .offset:         16
        .size:           8
        .value_kind:     global_buffer
      - .offset:         24
        .size:           4
        .value_kind:     by_value
      - .offset:         32
        .size:           8
        .value_kind:     by_value
      - .address_space:  global
        .offset:         40
        .size:           8
        .value_kind:     global_buffer
      - .offset:         48
        .size:           4
        .value_kind:     by_value
      - .offset:         56
        .size:           8
        .value_kind:     by_value
      - .offset:         64
        .size:           4
        .value_kind:     by_value
      - .address_space:  global
        .offset:         72
        .size:           8
        .value_kind:     global_buffer
      - .offset:         80
        .size:           4
        .value_kind:     by_value
      - .offset:         88
        .size:           8
        .value_kind:     by_value
      - .address_space:  global
        .offset:         96
        .size:           8
        .value_kind:     global_buffer
      - .offset:         104
        .size:           4
        .value_kind:     by_value
      - .offset:         112
        .size:           8
        .value_kind:     by_value
      - .offset:         120
        .size:           4
        .value_kind:     by_value
      - .offset:         124
        .size:           4
        .value_kind:     by_value
    .group_segment_fixed_size: 6144
    .kernarg_segment_align: 8
    .kernarg_segment_size: 128
    .language:       OpenCL C
    .language_version:
      - 2
      - 0
    .max_flat_workgroup_size: 256
    .name:           _ZN12_GLOBAL__N_120geam_min_plus_kernelIf15HIP_vector_typeIfLj2EES2_Li8ELi32ELi64ELi128ELi4ELi4ELi64ELi64ELi4ELc84ELc84ELb1ELb1ELb0EfKPKfKPfEEviiiT16_PT17_ilSA_ilS8_SA_ilPT18_ili26rocblas_geam_ex_operation_
    .private_segment_fixed_size: 0
    .sgpr_count:     27
    .sgpr_spill_count: 0
    .symbol:         _ZN12_GLOBAL__N_120geam_min_plus_kernelIf15HIP_vector_typeIfLj2EES2_Li8ELi32ELi64ELi128ELi4ELi4ELi64ELi64ELi4ELc84ELc84ELb1ELb1ELb0EfKPKfKPfEEviiiT16_PT17_ilSA_ilS8_SA_ilPT18_ili26rocblas_geam_ex_operation_.kd
    .uniform_work_group_size: 1
    .uses_dynamic_stack: false
    .vgpr_count:     228
    .vgpr_spill_count: 0
    .wavefront_size: 32
    .workgroup_processor_mode: 1
  - .args:
      - .offset:         0
        .size:           4
        .value_kind:     by_value
      - .offset:         4
        .size:           4
        .value_kind:     by_value
      - .offset:         8
        .size:           4
        .value_kind:     by_value
      - .offset:         12
        .size:           4
        .value_kind:     by_value
      - .address_space:  global
        .offset:         16
        .size:           8
        .value_kind:     global_buffer
      - .offset:         24
        .size:           4
        .value_kind:     by_value
      - .offset:         32
        .size:           8
        .value_kind:     by_value
      - .address_space:  global
        .offset:         40
        .size:           8
        .value_kind:     global_buffer
      - .offset:         48
        .size:           4
        .value_kind:     by_value
      - .offset:         56
        .size:           8
        .value_kind:     by_value
      - .offset:         64
        .size:           4
        .value_kind:     by_value
      - .address_space:  global
        .offset:         72
        .size:           8
        .value_kind:     global_buffer
      - .offset:         80
        .size:           4
        .value_kind:     by_value
      - .offset:         88
        .size:           8
        .value_kind:     by_value
      - .address_space:  global
        .offset:         96
        .size:           8
        .value_kind:     global_buffer
      - .offset:         104
        .size:           4
        .value_kind:     by_value
      - .offset:         112
        .size:           8
        .value_kind:     by_value
      - .offset:         120
        .size:           4
        .value_kind:     by_value
      - .offset:         124
        .size:           4
        .value_kind:     by_value
    .group_segment_fixed_size: 6144
    .kernarg_segment_align: 8
    .kernarg_segment_size: 128
    .language:       OpenCL C
    .language_version:
      - 2
      - 0
    .max_flat_workgroup_size: 256
    .name:           _ZN12_GLOBAL__N_120geam_min_plus_kernelIf15HIP_vector_typeIfLj2EES2_Li8ELi32ELi64ELi128ELi4ELi4ELi64ELi64ELi4ELc84ELc84ELb0ELb1ELb0EfKPKfKPfEEviiiT16_PT17_ilSA_ilS8_SA_ilPT18_ili26rocblas_geam_ex_operation_
    .private_segment_fixed_size: 0
    .sgpr_count:     30
    .sgpr_spill_count: 0
    .symbol:         _ZN12_GLOBAL__N_120geam_min_plus_kernelIf15HIP_vector_typeIfLj2EES2_Li8ELi32ELi64ELi128ELi4ELi4ELi64ELi64ELi4ELc84ELc84ELb0ELb1ELb0EfKPKfKPfEEviiiT16_PT17_ilSA_ilS8_SA_ilPT18_ili26rocblas_geam_ex_operation_.kd
    .uniform_work_group_size: 1
    .uses_dynamic_stack: false
    .vgpr_count:     226
    .vgpr_spill_count: 0
    .wavefront_size: 32
    .workgroup_processor_mode: 1
  - .args:
      - .offset:         0
        .size:           4
        .value_kind:     by_value
      - .offset:         4
        .size:           4
        .value_kind:     by_value
      - .offset:         8
        .size:           4
        .value_kind:     by_value
      - .address_space:  global
        .offset:         16
        .size:           8
        .value_kind:     global_buffer
      - .offset:         24
        .size:           8
        .value_kind:     by_value
      - .offset:         32
        .size:           4
        .value_kind:     by_value
      - .offset:         40
        .size:           8
        .value_kind:     by_value
      - .address_space:  global
        .offset:         48
        .size:           8
        .value_kind:     global_buffer
      - .offset:         56
        .size:           8
        .value_kind:     by_value
      - .offset:         64
        .size:           4
        .value_kind:     by_value
      - .offset:         72
        .size:           8
        .value_kind:     by_value
    .group_segment_fixed_size: 0
    .kernarg_segment_align: 8
    .kernarg_segment_size: 80
    .language:       OpenCL C
    .language_version:
      - 2
      - 0
    .max_flat_workgroup_size: 1024
    .name:           _ZN12_GLOBAL__N_120geam_ex_scale_kernelILi32ELi32EffPKfPfEEviiT2_T3_lilT4_lil
    .private_segment_fixed_size: 0
    .sgpr_count:     22
    .sgpr_spill_count: 0
    .symbol:         _ZN12_GLOBAL__N_120geam_ex_scale_kernelILi32ELi32EffPKfPfEEviiT2_T3_lilT4_lil.kd
    .uniform_work_group_size: 1
    .uses_dynamic_stack: false
    .vgpr_count:     8
    .vgpr_spill_count: 0
    .wavefront_size: 32
    .workgroup_processor_mode: 1
  - .args:
      - .offset:         0
        .size:           4
        .value_kind:     by_value
      - .offset:         4
        .size:           4
        .value_kind:     by_value
      - .address_space:  global
        .offset:         8
        .size:           8
        .value_kind:     global_buffer
      - .address_space:  global
        .offset:         16
        .size:           8
        .value_kind:     global_buffer
      - .offset:         24
        .size:           8
        .value_kind:     by_value
      - .offset:         32
        .size:           4
        .value_kind:     by_value
      - .offset:         40
        .size:           8
        .value_kind:     by_value
      - .address_space:  global
        .offset:         48
        .size:           8
        .value_kind:     global_buffer
      - .offset:         56
        .size:           8
        .value_kind:     by_value
      - .offset:         64
        .size:           4
        .value_kind:     by_value
      - .offset:         72
        .size:           8
        .value_kind:     by_value
    .group_segment_fixed_size: 0
    .kernarg_segment_align: 8
    .kernarg_segment_size: 80
    .language:       OpenCL C
    .language_version:
      - 2
      - 0
    .max_flat_workgroup_size: 1024
    .name:           _ZN12_GLOBAL__N_120geam_ex_scale_kernelILi32ELi32EfPKfS2_PfEEviiT2_T3_lilT4_lil
    .private_segment_fixed_size: 0
    .sgpr_count:     21
    .sgpr_spill_count: 0
    .symbol:         _ZN12_GLOBAL__N_120geam_ex_scale_kernelILi32ELi32EfPKfS2_PfEEviiT2_T3_lilT4_lil.kd
    .uniform_work_group_size: 1
    .uses_dynamic_stack: false
    .vgpr_count:     8
    .vgpr_spill_count: 0
    .wavefront_size: 32
    .workgroup_processor_mode: 1
  - .args:
      - .offset:         0
        .size:           4
        .value_kind:     by_value
      - .offset:         4
        .size:           4
        .value_kind:     by_value
      - .offset:         8
        .size:           4
        .value_kind:     by_value
      - .address_space:  global
        .offset:         16
        .size:           8
        .value_kind:     global_buffer
      - .offset:         24
        .size:           8
        .value_kind:     by_value
      - .offset:         32
        .size:           4
        .value_kind:     by_value
      - .offset:         40
        .size:           8
        .value_kind:     by_value
      - .address_space:  global
        .offset:         48
        .size:           8
        .value_kind:     global_buffer
      - .offset:         56
        .size:           8
        .value_kind:     by_value
      - .offset:         64
        .size:           4
        .value_kind:     by_value
      - .offset:         72
        .size:           8
        .value_kind:     by_value
    .group_segment_fixed_size: 0
    .kernarg_segment_align: 8
    .kernarg_segment_size: 80
    .language:       OpenCL C
    .language_version:
      - 2
      - 0
    .max_flat_workgroup_size: 1024
    .name:           _ZN12_GLOBAL__N_120geam_ex_round_kernelILi32ELi32EffPKfPfEEviiT2_T3_lilT4_lil
    .private_segment_fixed_size: 0
    .sgpr_count:     22
    .sgpr_spill_count: 0
    .symbol:         _ZN12_GLOBAL__N_120geam_ex_round_kernelILi32ELi32EffPKfPfEEviiT2_T3_lilT4_lil.kd
    .uniform_work_group_size: 1
    .uses_dynamic_stack: false
    .vgpr_count:     8
    .vgpr_spill_count: 0
    .wavefront_size: 32
    .workgroup_processor_mode: 1
  - .args:
      - .offset:         0
        .size:           4
        .value_kind:     by_value
      - .offset:         4
        .size:           4
        .value_kind:     by_value
      - .offset:         8
        .size:           4
        .value_kind:     by_value
      - .address_space:  global
        .offset:         16
        .size:           8
        .value_kind:     global_buffer
      - .address_space:  global
        .offset:         24
        .size:           8
        .value_kind:     global_buffer
      - .offset:         32
        .size:           4
        .value_kind:     by_value
      - .offset:         40
        .size:           8
        .value_kind:     by_value
      - .address_space:  global
        .offset:         48
        .size:           8
        .value_kind:     global_buffer
      - .offset:         56
        .size:           4
        .value_kind:     by_value
      - .offset:         64
        .size:           8
        .value_kind:     by_value
      - .address_space:  global
        .offset:         72
        .size:           8
        .value_kind:     global_buffer
      - .address_space:  global
        .offset:         80
        .size:           8
        .value_kind:     global_buffer
      - .offset:         88
        .size:           4
        .value_kind:     by_value
      - .offset:         96
        .size:           8
        .value_kind:     by_value
      - .address_space:  global
        .offset:         104
        .size:           8
        .value_kind:     global_buffer
      - .offset:         112
        .size:           4
        .value_kind:     by_value
      - .offset:         120
        .size:           8
        .value_kind:     by_value
      - .offset:         128
        .size:           4
        .value_kind:     by_value
      - .offset:         132
        .size:           4
        .value_kind:     by_value
    .group_segment_fixed_size: 10240
    .kernarg_segment_align: 8
    .kernarg_segment_size: 136
    .language:       OpenCL C
    .language_version:
      - 2
      - 0
    .max_flat_workgroup_size: 256
    .name:           _ZN12_GLOBAL__N_120geam_min_plus_kernelIf15HIP_vector_typeIfLj2EEfLi32ELi8ELi256ELi64ELi4ELi64ELi4ELi4ELi64ELc78ELc78ELb0ELb0ELb1EPKfS3_fEEviiiT16_PT17_ilS7_ilS5_S7_ilPT18_ili26rocblas_geam_ex_operation_
    .private_segment_fixed_size: 80
    .sgpr_count:     25
    .sgpr_spill_count: 0
    .symbol:         _ZN12_GLOBAL__N_120geam_min_plus_kernelIf15HIP_vector_typeIfLj2EEfLi32ELi8ELi256ELi64ELi4ELi64ELi4ELi4ELi64ELc78ELc78ELb0ELb0ELb1EPKfS3_fEEviiiT16_PT17_ilS7_ilS5_S7_ilPT18_ili26rocblas_geam_ex_operation_.kd
    .uniform_work_group_size: 1
    .uses_dynamic_stack: false
    .vgpr_count:     256
    .vgpr_spill_count: 24
    .wavefront_size: 32
    .workgroup_processor_mode: 1
  - .args:
      - .offset:         0
        .size:           4
        .value_kind:     by_value
      - .offset:         4
        .size:           4
        .value_kind:     by_value
      - .offset:         8
        .size:           4
        .value_kind:     by_value
      - .offset:         12
        .size:           4
        .value_kind:     by_value
      - .address_space:  global
        .offset:         16
        .size:           8
        .value_kind:     global_buffer
      - .offset:         24
        .size:           4
        .value_kind:     by_value
      - .offset:         32
        .size:           8
        .value_kind:     by_value
      - .address_space:  global
        .offset:         40
        .size:           8
        .value_kind:     global_buffer
      - .offset:         48
        .size:           4
        .value_kind:     by_value
      - .offset:         56
        .size:           8
        .value_kind:     by_value
      - .offset:         64
        .size:           4
        .value_kind:     by_value
      - .address_space:  global
        .offset:         72
        .size:           8
        .value_kind:     global_buffer
      - .offset:         80
        .size:           4
        .value_kind:     by_value
      - .offset:         88
        .size:           8
        .value_kind:     by_value
      - .address_space:  global
        .offset:         96
        .size:           8
        .value_kind:     global_buffer
      - .offset:         104
        .size:           4
        .value_kind:     by_value
      - .offset:         112
        .size:           8
        .value_kind:     by_value
      - .offset:         120
        .size:           4
        .value_kind:     by_value
      - .offset:         124
        .size:           4
        .value_kind:     by_value
    .group_segment_fixed_size: 10240
    .kernarg_segment_align: 8
    .kernarg_segment_size: 128
    .language:       OpenCL C
    .language_version:
      - 2
      - 0
    .max_flat_workgroup_size: 256
    .name:           _ZN12_GLOBAL__N_120geam_min_plus_kernelIf15HIP_vector_typeIfLj2EEfLi32ELi8ELi256ELi64ELi4ELi64ELi4ELi4ELi64ELc78ELc78ELb1ELb0ELb1EfKffEEviiiT16_PT17_ilS6_ilS4_S6_ilPT18_ili26rocblas_geam_ex_operation_
    .private_segment_fixed_size: 88
    .sgpr_count:     25
    .sgpr_spill_count: 0
    .symbol:         _ZN12_GLOBAL__N_120geam_min_plus_kernelIf15HIP_vector_typeIfLj2EEfLi32ELi8ELi256ELi64ELi4ELi64ELi4ELi4ELi64ELc78ELc78ELb1ELb0ELb1EfKffEEviiiT16_PT17_ilS6_ilS4_S6_ilPT18_ili26rocblas_geam_ex_operation_.kd
    .uniform_work_group_size: 1
    .uses_dynamic_stack: false
    .vgpr_count:     256
    .vgpr_spill_count: 21
    .wavefront_size: 32
    .workgroup_processor_mode: 1
  - .args:
      - .offset:         0
        .size:           4
        .value_kind:     by_value
      - .offset:         4
        .size:           4
        .value_kind:     by_value
      - .offset:         8
        .size:           4
        .value_kind:     by_value
      - .offset:         12
        .size:           4
        .value_kind:     by_value
      - .address_space:  global
        .offset:         16
        .size:           8
        .value_kind:     global_buffer
      - .offset:         24
        .size:           4
        .value_kind:     by_value
      - .offset:         32
        .size:           8
        .value_kind:     by_value
      - .address_space:  global
        .offset:         40
        .size:           8
        .value_kind:     global_buffer
      - .offset:         48
        .size:           4
        .value_kind:     by_value
      - .offset:         56
        .size:           8
        .value_kind:     by_value
      - .offset:         64
        .size:           4
        .value_kind:     by_value
      - .address_space:  global
        .offset:         72
        .size:           8
        .value_kind:     global_buffer
      - .offset:         80
        .size:           4
        .value_kind:     by_value
      - .offset:         88
        .size:           8
        .value_kind:     by_value
      - .address_space:  global
        .offset:         96
        .size:           8
        .value_kind:     global_buffer
      - .offset:         104
        .size:           4
        .value_kind:     by_value
      - .offset:         112
        .size:           8
        .value_kind:     by_value
      - .offset:         120
        .size:           4
        .value_kind:     by_value
      - .offset:         124
        .size:           4
        .value_kind:     by_value
    .group_segment_fixed_size: 10240
    .kernarg_segment_align: 8
    .kernarg_segment_size: 128
    .language:       OpenCL C
    .language_version:
      - 2
      - 0
    .max_flat_workgroup_size: 256
    .name:           _ZN12_GLOBAL__N_120geam_min_plus_kernelIf15HIP_vector_typeIfLj2EEfLi32ELi8ELi256ELi64ELi4ELi64ELi4ELi4ELi64ELc78ELc78ELb0ELb0ELb1EfKffEEviiiT16_PT17_ilS6_ilS4_S6_ilPT18_ili26rocblas_geam_ex_operation_
    .private_segment_fixed_size: 80
    .sgpr_count:     27
    .sgpr_spill_count: 0
    .symbol:         _ZN12_GLOBAL__N_120geam_min_plus_kernelIf15HIP_vector_typeIfLj2EEfLi32ELi8ELi256ELi64ELi4ELi64ELi4ELi4ELi64ELc78ELc78ELb0ELb0ELb1EfKffEEviiiT16_PT17_ilS6_ilS4_S6_ilPT18_ili26rocblas_geam_ex_operation_.kd
    .uniform_work_group_size: 1
    .uses_dynamic_stack: false
    .vgpr_count:     256
    .vgpr_spill_count: 24
    .wavefront_size: 32
    .workgroup_processor_mode: 1
  - .args:
      - .offset:         0
        .size:           4
        .value_kind:     by_value
      - .offset:         4
        .size:           4
        .value_kind:     by_value
      - .offset:         8
        .size:           4
        .value_kind:     by_value
      - .address_space:  global
        .offset:         16
        .size:           8
        .value_kind:     global_buffer
      - .address_space:  global
        .offset:         24
        .size:           8
        .value_kind:     global_buffer
      - .offset:         32
        .size:           4
        .value_kind:     by_value
      - .offset:         40
        .size:           8
        .value_kind:     by_value
      - .address_space:  global
        .offset:         48
        .size:           8
        .value_kind:     global_buffer
      - .offset:         56
        .size:           4
        .value_kind:     by_value
      - .offset:         64
        .size:           8
        .value_kind:     by_value
      - .address_space:  global
        .offset:         72
        .size:           8
        .value_kind:     global_buffer
      - .address_space:  global
        .offset:         80
        .size:           8
        .value_kind:     global_buffer
      - .offset:         88
        .size:           4
        .value_kind:     by_value
      - .offset:         96
        .size:           8
        .value_kind:     by_value
      - .address_space:  global
        .offset:         104
        .size:           8
        .value_kind:     global_buffer
      - .offset:         112
        .size:           4
        .value_kind:     by_value
      - .offset:         120
        .size:           8
        .value_kind:     by_value
      - .offset:         128
        .size:           4
        .value_kind:     by_value
      - .offset:         132
        .size:           4
        .value_kind:     by_value
    .group_segment_fixed_size: 10240
    .kernarg_segment_align: 8
    .kernarg_segment_size: 136
    .language:       OpenCL C
    .language_version:
      - 2
      - 0
    .max_flat_workgroup_size: 256
    .name:           _ZN12_GLOBAL__N_120geam_min_plus_kernelIf15HIP_vector_typeIfLj2EEfLi32ELi8ELi256ELi64ELi4ELi64ELi4ELi4ELi64ELc78ELc78ELb0ELb1ELb1EPKfS3_fEEviiiT16_PT17_ilS7_ilS5_S7_ilPT18_ili26rocblas_geam_ex_operation_
    .private_segment_fixed_size: 0
    .sgpr_count:     32
    .sgpr_spill_count: 0
    .symbol:         _ZN12_GLOBAL__N_120geam_min_plus_kernelIf15HIP_vector_typeIfLj2EEfLi32ELi8ELi256ELi64ELi4ELi64ELi4ELi4ELi64ELc78ELc78ELb0ELb1ELb1EPKfS3_fEEviiiT16_PT17_ilS7_ilS5_S7_ilPT18_ili26rocblas_geam_ex_operation_.kd
    .uniform_work_group_size: 1
    .uses_dynamic_stack: false
    .vgpr_count:     193
    .vgpr_spill_count: 0
    .wavefront_size: 32
    .workgroup_processor_mode: 1
  - .args:
      - .offset:         0
        .size:           4
        .value_kind:     by_value
      - .offset:         4
        .size:           4
        .value_kind:     by_value
      - .offset:         8
        .size:           4
        .value_kind:     by_value
      - .offset:         12
        .size:           4
        .value_kind:     by_value
      - .address_space:  global
        .offset:         16
        .size:           8
        .value_kind:     global_buffer
      - .offset:         24
        .size:           4
        .value_kind:     by_value
      - .offset:         32
        .size:           8
        .value_kind:     by_value
      - .address_space:  global
        .offset:         40
        .size:           8
        .value_kind:     global_buffer
      - .offset:         48
        .size:           4
        .value_kind:     by_value
      - .offset:         56
        .size:           8
        .value_kind:     by_value
      - .offset:         64
        .size:           4
        .value_kind:     by_value
      - .address_space:  global
        .offset:         72
        .size:           8
        .value_kind:     global_buffer
      - .offset:         80
        .size:           4
        .value_kind:     by_value
      - .offset:         88
        .size:           8
        .value_kind:     by_value
      - .address_space:  global
        .offset:         96
        .size:           8
        .value_kind:     global_buffer
      - .offset:         104
        .size:           4
        .value_kind:     by_value
      - .offset:         112
        .size:           8
        .value_kind:     by_value
      - .offset:         120
        .size:           4
        .value_kind:     by_value
      - .offset:         124
        .size:           4
        .value_kind:     by_value
    .group_segment_fixed_size: 10240
    .kernarg_segment_align: 8
    .kernarg_segment_size: 128
    .language:       OpenCL C
    .language_version:
      - 2
      - 0
    .max_flat_workgroup_size: 256
    .name:           _ZN12_GLOBAL__N_120geam_min_plus_kernelIf15HIP_vector_typeIfLj2EEfLi32ELi8ELi256ELi64ELi4ELi64ELi4ELi4ELi64ELc78ELc78ELb1ELb1ELb1EfKffEEviiiT16_PT17_ilS6_ilS4_S6_ilPT18_ili26rocblas_geam_ex_operation_
    .private_segment_fixed_size: 0
    .sgpr_count:     31
    .sgpr_spill_count: 0
    .symbol:         _ZN12_GLOBAL__N_120geam_min_plus_kernelIf15HIP_vector_typeIfLj2EEfLi32ELi8ELi256ELi64ELi4ELi64ELi4ELi4ELi64ELc78ELc78ELb1ELb1ELb1EfKffEEviiiT16_PT17_ilS6_ilS4_S6_ilPT18_ili26rocblas_geam_ex_operation_.kd
    .uniform_work_group_size: 1
    .uses_dynamic_stack: false
    .vgpr_count:     202
    .vgpr_spill_count: 0
    .wavefront_size: 32
    .workgroup_processor_mode: 1
  - .args:
      - .offset:         0
        .size:           4
        .value_kind:     by_value
      - .offset:         4
        .size:           4
        .value_kind:     by_value
      - .offset:         8
        .size:           4
        .value_kind:     by_value
      - .offset:         12
        .size:           4
        .value_kind:     by_value
      - .address_space:  global
        .offset:         16
        .size:           8
        .value_kind:     global_buffer
      - .offset:         24
        .size:           4
        .value_kind:     by_value
      - .offset:         32
        .size:           8
        .value_kind:     by_value
      - .address_space:  global
        .offset:         40
        .size:           8
        .value_kind:     global_buffer
      - .offset:         48
        .size:           4
        .value_kind:     by_value
      - .offset:         56
        .size:           8
        .value_kind:     by_value
      - .offset:         64
        .size:           4
        .value_kind:     by_value
      - .address_space:  global
        .offset:         72
        .size:           8
        .value_kind:     global_buffer
      - .offset:         80
        .size:           4
        .value_kind:     by_value
      - .offset:         88
        .size:           8
        .value_kind:     by_value
      - .address_space:  global
        .offset:         96
        .size:           8
        .value_kind:     global_buffer
      - .offset:         104
        .size:           4
        .value_kind:     by_value
      - .offset:         112
        .size:           8
        .value_kind:     by_value
      - .offset:         120
        .size:           4
        .value_kind:     by_value
      - .offset:         124
        .size:           4
        .value_kind:     by_value
    .group_segment_fixed_size: 10240
    .kernarg_segment_align: 8
    .kernarg_segment_size: 128
    .language:       OpenCL C
    .language_version:
      - 2
      - 0
    .max_flat_workgroup_size: 256
    .name:           _ZN12_GLOBAL__N_120geam_min_plus_kernelIf15HIP_vector_typeIfLj2EEfLi32ELi8ELi256ELi64ELi4ELi64ELi4ELi4ELi64ELc78ELc78ELb0ELb1ELb1EfKffEEviiiT16_PT17_ilS6_ilS4_S6_ilPT18_ili26rocblas_geam_ex_operation_
    .private_segment_fixed_size: 0
    .sgpr_count:     33
    .sgpr_spill_count: 0
    .symbol:         _ZN12_GLOBAL__N_120geam_min_plus_kernelIf15HIP_vector_typeIfLj2EEfLi32ELi8ELi256ELi64ELi4ELi64ELi4ELi4ELi64ELc78ELc78ELb0ELb1ELb1EfKffEEviiiT16_PT17_ilS6_ilS4_S6_ilPT18_ili26rocblas_geam_ex_operation_.kd
    .uniform_work_group_size: 1
    .uses_dynamic_stack: false
    .vgpr_count:     193
    .vgpr_spill_count: 0
    .wavefront_size: 32
    .workgroup_processor_mode: 1
  - .args:
      - .offset:         0
        .size:           4
        .value_kind:     by_value
      - .offset:         4
        .size:           4
        .value_kind:     by_value
      - .offset:         8
        .size:           4
        .value_kind:     by_value
      - .address_space:  global
        .offset:         16
        .size:           8
        .value_kind:     global_buffer
      - .address_space:  global
        .offset:         24
        .size:           8
        .value_kind:     global_buffer
      - .offset:         32
        .size:           4
        .value_kind:     by_value
      - .offset:         40
        .size:           8
        .value_kind:     by_value
      - .address_space:  global
        .offset:         48
        .size:           8
        .value_kind:     global_buffer
      - .offset:         56
        .size:           4
        .value_kind:     by_value
      - .offset:         64
        .size:           8
        .value_kind:     by_value
      - .address_space:  global
        .offset:         72
        .size:           8
        .value_kind:     global_buffer
      - .address_space:  global
        .offset:         80
        .size:           8
        .value_kind:     global_buffer
      - .offset:         88
        .size:           4
        .value_kind:     by_value
      - .offset:         96
        .size:           8
        .value_kind:     by_value
      - .address_space:  global
        .offset:         104
        .size:           8
        .value_kind:     global_buffer
      - .offset:         112
        .size:           4
        .value_kind:     by_value
      - .offset:         120
        .size:           8
        .value_kind:     by_value
      - .offset:         128
        .size:           4
        .value_kind:     by_value
      - .offset:         132
        .size:           4
        .value_kind:     by_value
    .group_segment_fixed_size: 8192
    .kernarg_segment_align: 8
    .kernarg_segment_size: 136
    .language:       OpenCL C
    .language_version:
      - 2
      - 0
    .max_flat_workgroup_size: 256
    .name:           _ZN12_GLOBAL__N_120geam_min_plus_kernelIf15HIP_vector_typeIfLj2EEfLi32ELi8ELi128ELi128ELi4ELi4ELi64ELi4ELi64ELc84ELc78ELb0ELb0ELb1EPKfS3_fEEviiiT16_PT17_ilS7_ilS5_S7_ilPT18_ili26rocblas_geam_ex_operation_
    .private_segment_fixed_size: 0
    .sgpr_count:     25
    .sgpr_spill_count: 0
    .symbol:         _ZN12_GLOBAL__N_120geam_min_plus_kernelIf15HIP_vector_typeIfLj2EEfLi32ELi8ELi128ELi128ELi4ELi4ELi64ELi4ELi64ELc84ELc78ELb0ELb0ELb1EPKfS3_fEEviiiT16_PT17_ilS7_ilS5_S7_ilPT18_ili26rocblas_geam_ex_operation_.kd
    .uniform_work_group_size: 1
    .uses_dynamic_stack: false
    .vgpr_count:     210
    .vgpr_spill_count: 0
    .wavefront_size: 32
    .workgroup_processor_mode: 1
  - .args:
      - .offset:         0
        .size:           4
        .value_kind:     by_value
      - .offset:         4
        .size:           4
        .value_kind:     by_value
      - .offset:         8
        .size:           4
        .value_kind:     by_value
      - .offset:         12
        .size:           4
        .value_kind:     by_value
      - .address_space:  global
        .offset:         16
        .size:           8
        .value_kind:     global_buffer
      - .offset:         24
        .size:           4
        .value_kind:     by_value
      - .offset:         32
        .size:           8
        .value_kind:     by_value
      - .address_space:  global
        .offset:         40
        .size:           8
        .value_kind:     global_buffer
      - .offset:         48
        .size:           4
        .value_kind:     by_value
      - .offset:         56
        .size:           8
        .value_kind:     by_value
      - .offset:         64
        .size:           4
        .value_kind:     by_value
      - .address_space:  global
        .offset:         72
        .size:           8
        .value_kind:     global_buffer
      - .offset:         80
        .size:           4
        .value_kind:     by_value
      - .offset:         88
        .size:           8
        .value_kind:     by_value
      - .address_space:  global
        .offset:         96
        .size:           8
        .value_kind:     global_buffer
      - .offset:         104
        .size:           4
        .value_kind:     by_value
      - .offset:         112
        .size:           8
        .value_kind:     by_value
      - .offset:         120
        .size:           4
        .value_kind:     by_value
      - .offset:         124
        .size:           4
        .value_kind:     by_value
    .group_segment_fixed_size: 8192
    .kernarg_segment_align: 8
    .kernarg_segment_size: 128
    .language:       OpenCL C
    .language_version:
      - 2
      - 0
    .max_flat_workgroup_size: 256
    .name:           _ZN12_GLOBAL__N_120geam_min_plus_kernelIf15HIP_vector_typeIfLj2EEfLi32ELi8ELi128ELi128ELi4ELi4ELi64ELi4ELi64ELc84ELc78ELb1ELb0ELb1EfKffEEviiiT16_PT17_ilS6_ilS4_S6_ilPT18_ili26rocblas_geam_ex_operation_
    .private_segment_fixed_size: 0
    .sgpr_count:     25
    .sgpr_spill_count: 0
    .symbol:         _ZN12_GLOBAL__N_120geam_min_plus_kernelIf15HIP_vector_typeIfLj2EEfLi32ELi8ELi128ELi128ELi4ELi4ELi64ELi4ELi64ELc84ELc78ELb1ELb0ELb1EfKffEEviiiT16_PT17_ilS6_ilS4_S6_ilPT18_ili26rocblas_geam_ex_operation_.kd
    .uniform_work_group_size: 1
    .uses_dynamic_stack: false
    .vgpr_count:     180
    .vgpr_spill_count: 0
    .wavefront_size: 32
    .workgroup_processor_mode: 1
  - .args:
      - .offset:         0
        .size:           4
        .value_kind:     by_value
      - .offset:         4
        .size:           4
        .value_kind:     by_value
      - .offset:         8
        .size:           4
        .value_kind:     by_value
      - .offset:         12
        .size:           4
        .value_kind:     by_value
      - .address_space:  global
        .offset:         16
        .size:           8
        .value_kind:     global_buffer
      - .offset:         24
        .size:           4
        .value_kind:     by_value
      - .offset:         32
        .size:           8
        .value_kind:     by_value
      - .address_space:  global
        .offset:         40
        .size:           8
        .value_kind:     global_buffer
      - .offset:         48
        .size:           4
        .value_kind:     by_value
      - .offset:         56
        .size:           8
        .value_kind:     by_value
      - .offset:         64
        .size:           4
        .value_kind:     by_value
      - .address_space:  global
        .offset:         72
        .size:           8
        .value_kind:     global_buffer
      - .offset:         80
        .size:           4
        .value_kind:     by_value
      - .offset:         88
        .size:           8
        .value_kind:     by_value
      - .address_space:  global
        .offset:         96
        .size:           8
        .value_kind:     global_buffer
      - .offset:         104
        .size:           4
        .value_kind:     by_value
      - .offset:         112
        .size:           8
        .value_kind:     by_value
      - .offset:         120
        .size:           4
        .value_kind:     by_value
      - .offset:         124
        .size:           4
        .value_kind:     by_value
    .group_segment_fixed_size: 8192
    .kernarg_segment_align: 8
    .kernarg_segment_size: 128
    .language:       OpenCL C
    .language_version:
      - 2
      - 0
    .max_flat_workgroup_size: 256
    .name:           _ZN12_GLOBAL__N_120geam_min_plus_kernelIf15HIP_vector_typeIfLj2EEfLi32ELi8ELi128ELi128ELi4ELi4ELi64ELi4ELi64ELc84ELc78ELb0ELb0ELb1EfKffEEviiiT16_PT17_ilS6_ilS4_S6_ilPT18_ili26rocblas_geam_ex_operation_
    .private_segment_fixed_size: 0
    .sgpr_count:     26
    .sgpr_spill_count: 0
    .symbol:         _ZN12_GLOBAL__N_120geam_min_plus_kernelIf15HIP_vector_typeIfLj2EEfLi32ELi8ELi128ELi128ELi4ELi4ELi64ELi4ELi64ELc84ELc78ELb0ELb0ELb1EfKffEEviiiT16_PT17_ilS6_ilS4_S6_ilPT18_ili26rocblas_geam_ex_operation_.kd
    .uniform_work_group_size: 1
    .uses_dynamic_stack: false
    .vgpr_count:     210
    .vgpr_spill_count: 0
    .wavefront_size: 32
    .workgroup_processor_mode: 1
  - .args:
      - .offset:         0
        .size:           4
        .value_kind:     by_value
      - .offset:         4
        .size:           4
        .value_kind:     by_value
      - .offset:         8
        .size:           4
        .value_kind:     by_value
      - .address_space:  global
        .offset:         16
        .size:           8
        .value_kind:     global_buffer
      - .address_space:  global
        .offset:         24
        .size:           8
        .value_kind:     global_buffer
      - .offset:         32
        .size:           4
        .value_kind:     by_value
      - .offset:         40
        .size:           8
        .value_kind:     by_value
      - .address_space:  global
        .offset:         48
        .size:           8
        .value_kind:     global_buffer
      - .offset:         56
        .size:           4
        .value_kind:     by_value
      - .offset:         64
        .size:           8
        .value_kind:     by_value
      - .address_space:  global
        .offset:         72
        .size:           8
        .value_kind:     global_buffer
      - .address_space:  global
        .offset:         80
        .size:           8
        .value_kind:     global_buffer
      - .offset:         88
        .size:           4
        .value_kind:     by_value
      - .offset:         96
        .size:           8
        .value_kind:     by_value
      - .address_space:  global
        .offset:         104
        .size:           8
        .value_kind:     global_buffer
      - .offset:         112
        .size:           4
        .value_kind:     by_value
      - .offset:         120
        .size:           8
        .value_kind:     by_value
      - .offset:         128
        .size:           4
        .value_kind:     by_value
      - .offset:         132
        .size:           4
        .value_kind:     by_value
    .group_segment_fixed_size: 8192
    .kernarg_segment_align: 8
    .kernarg_segment_size: 136
    .language:       OpenCL C
    .language_version:
      - 2
      - 0
    .max_flat_workgroup_size: 256
    .name:           _ZN12_GLOBAL__N_120geam_min_plus_kernelIf15HIP_vector_typeIfLj2EEfLi32ELi8ELi128ELi128ELi4ELi4ELi64ELi4ELi64ELc84ELc78ELb0ELb1ELb1EPKfS3_fEEviiiT16_PT17_ilS7_ilS5_S7_ilPT18_ili26rocblas_geam_ex_operation_
    .private_segment_fixed_size: 0
    .sgpr_count:     31
    .sgpr_spill_count: 0
    .symbol:         _ZN12_GLOBAL__N_120geam_min_plus_kernelIf15HIP_vector_typeIfLj2EEfLi32ELi8ELi128ELi128ELi4ELi4ELi64ELi4ELi64ELc84ELc78ELb0ELb1ELb1EPKfS3_fEEviiiT16_PT17_ilS7_ilS5_S7_ilPT18_ili26rocblas_geam_ex_operation_.kd
    .uniform_work_group_size: 1
    .uses_dynamic_stack: false
    .vgpr_count:     212
    .vgpr_spill_count: 0
    .wavefront_size: 32
    .workgroup_processor_mode: 1
  - .args:
      - .offset:         0
        .size:           4
        .value_kind:     by_value
      - .offset:         4
        .size:           4
        .value_kind:     by_value
      - .offset:         8
        .size:           4
        .value_kind:     by_value
      - .offset:         12
        .size:           4
        .value_kind:     by_value
      - .address_space:  global
        .offset:         16
        .size:           8
        .value_kind:     global_buffer
      - .offset:         24
        .size:           4
        .value_kind:     by_value
      - .offset:         32
        .size:           8
        .value_kind:     by_value
      - .address_space:  global
        .offset:         40
        .size:           8
        .value_kind:     global_buffer
      - .offset:         48
        .size:           4
        .value_kind:     by_value
      - .offset:         56
        .size:           8
        .value_kind:     by_value
      - .offset:         64
        .size:           4
        .value_kind:     by_value
      - .address_space:  global
        .offset:         72
        .size:           8
        .value_kind:     global_buffer
      - .offset:         80
        .size:           4
        .value_kind:     by_value
      - .offset:         88
        .size:           8
        .value_kind:     by_value
      - .address_space:  global
        .offset:         96
        .size:           8
        .value_kind:     global_buffer
      - .offset:         104
        .size:           4
        .value_kind:     by_value
      - .offset:         112
        .size:           8
        .value_kind:     by_value
      - .offset:         120
        .size:           4
        .value_kind:     by_value
      - .offset:         124
        .size:           4
        .value_kind:     by_value
    .group_segment_fixed_size: 8192
    .kernarg_segment_align: 8
    .kernarg_segment_size: 128
    .language:       OpenCL C
    .language_version:
      - 2
      - 0
    .max_flat_workgroup_size: 256
    .name:           _ZN12_GLOBAL__N_120geam_min_plus_kernelIf15HIP_vector_typeIfLj2EEfLi32ELi8ELi128ELi128ELi4ELi4ELi64ELi4ELi64ELc84ELc78ELb1ELb1ELb1EfKffEEviiiT16_PT17_ilS6_ilS4_S6_ilPT18_ili26rocblas_geam_ex_operation_
    .private_segment_fixed_size: 0
    .sgpr_count:     29
    .sgpr_spill_count: 0
    .symbol:         _ZN12_GLOBAL__N_120geam_min_plus_kernelIf15HIP_vector_typeIfLj2EEfLi32ELi8ELi128ELi128ELi4ELi4ELi64ELi4ELi64ELc84ELc78ELb1ELb1ELb1EfKffEEviiiT16_PT17_ilS6_ilS4_S6_ilPT18_ili26rocblas_geam_ex_operation_.kd
    .uniform_work_group_size: 1
    .uses_dynamic_stack: false
    .vgpr_count:     209
    .vgpr_spill_count: 0
    .wavefront_size: 32
    .workgroup_processor_mode: 1
  - .args:
      - .offset:         0
        .size:           4
        .value_kind:     by_value
      - .offset:         4
        .size:           4
        .value_kind:     by_value
      - .offset:         8
        .size:           4
        .value_kind:     by_value
      - .offset:         12
        .size:           4
        .value_kind:     by_value
      - .address_space:  global
        .offset:         16
        .size:           8
        .value_kind:     global_buffer
      - .offset:         24
        .size:           4
        .value_kind:     by_value
      - .offset:         32
        .size:           8
        .value_kind:     by_value
      - .address_space:  global
        .offset:         40
        .size:           8
        .value_kind:     global_buffer
      - .offset:         48
        .size:           4
        .value_kind:     by_value
      - .offset:         56
        .size:           8
        .value_kind:     by_value
      - .offset:         64
        .size:           4
        .value_kind:     by_value
      - .address_space:  global
        .offset:         72
        .size:           8
        .value_kind:     global_buffer
      - .offset:         80
        .size:           4
        .value_kind:     by_value
      - .offset:         88
        .size:           8
        .value_kind:     by_value
      - .address_space:  global
        .offset:         96
        .size:           8
        .value_kind:     global_buffer
      - .offset:         104
        .size:           4
        .value_kind:     by_value
      - .offset:         112
        .size:           8
        .value_kind:     by_value
      - .offset:         120
        .size:           4
        .value_kind:     by_value
      - .offset:         124
        .size:           4
        .value_kind:     by_value
    .group_segment_fixed_size: 8192
    .kernarg_segment_align: 8
    .kernarg_segment_size: 128
    .language:       OpenCL C
    .language_version:
      - 2
      - 0
    .max_flat_workgroup_size: 256
    .name:           _ZN12_GLOBAL__N_120geam_min_plus_kernelIf15HIP_vector_typeIfLj2EEfLi32ELi8ELi128ELi128ELi4ELi4ELi64ELi4ELi64ELc84ELc78ELb0ELb1ELb1EfKffEEviiiT16_PT17_ilS6_ilS4_S6_ilPT18_ili26rocblas_geam_ex_operation_
    .private_segment_fixed_size: 0
    .sgpr_count:     32
    .sgpr_spill_count: 0
    .symbol:         _ZN12_GLOBAL__N_120geam_min_plus_kernelIf15HIP_vector_typeIfLj2EEfLi32ELi8ELi128ELi128ELi4ELi4ELi64ELi4ELi64ELc84ELc78ELb0ELb1ELb1EfKffEEviiiT16_PT17_ilS6_ilS4_S6_ilPT18_ili26rocblas_geam_ex_operation_.kd
    .uniform_work_group_size: 1
    .uses_dynamic_stack: false
    .vgpr_count:     212
    .vgpr_spill_count: 0
    .wavefront_size: 32
    .workgroup_processor_mode: 1
  - .args:
      - .offset:         0
        .size:           4
        .value_kind:     by_value
      - .offset:         4
        .size:           4
        .value_kind:     by_value
      - .offset:         8
        .size:           4
        .value_kind:     by_value
      - .address_space:  global
        .offset:         16
        .size:           8
        .value_kind:     global_buffer
      - .address_space:  global
        .offset:         24
        .size:           8
        .value_kind:     global_buffer
      - .offset:         32
        .size:           4
        .value_kind:     by_value
      - .offset:         40
        .size:           8
        .value_kind:     by_value
      - .address_space:  global
        .offset:         48
        .size:           8
        .value_kind:     global_buffer
      - .offset:         56
        .size:           4
        .value_kind:     by_value
      - .offset:         64
        .size:           8
        .value_kind:     by_value
      - .address_space:  global
        .offset:         72
        .size:           8
        .value_kind:     global_buffer
      - .address_space:  global
        .offset:         80
        .size:           8
        .value_kind:     global_buffer
      - .offset:         88
        .size:           4
        .value_kind:     by_value
      - .offset:         96
        .size:           8
        .value_kind:     by_value
      - .address_space:  global
        .offset:         104
        .size:           8
        .value_kind:     global_buffer
      - .offset:         112
        .size:           4
        .value_kind:     by_value
      - .offset:         120
        .size:           8
        .value_kind:     by_value
      - .offset:         128
        .size:           4
        .value_kind:     by_value
      - .offset:         132
        .size:           4
        .value_kind:     by_value
    .group_segment_fixed_size: 10240
    .kernarg_segment_align: 8
    .kernarg_segment_size: 136
    .language:       OpenCL C
    .language_version:
      - 2
      - 0
    .max_flat_workgroup_size: 256
    .name:           _ZN12_GLOBAL__N_120geam_min_plus_kernelIf15HIP_vector_typeIfLj2EEfLi8ELi32ELi64ELi256ELi4ELi64ELi4ELi64ELi4ELc78ELc84ELb0ELb0ELb1EPKfS3_fEEviiiT16_PT17_ilS7_ilS5_S7_ilPT18_ili26rocblas_geam_ex_operation_
    .private_segment_fixed_size: 68
    .sgpr_count:     26
    .sgpr_spill_count: 0
    .symbol:         _ZN12_GLOBAL__N_120geam_min_plus_kernelIf15HIP_vector_typeIfLj2EEfLi8ELi32ELi64ELi256ELi4ELi64ELi4ELi64ELi4ELc78ELc84ELb0ELb0ELb1EPKfS3_fEEviiiT16_PT17_ilS7_ilS5_S7_ilPT18_ili26rocblas_geam_ex_operation_.kd
    .uniform_work_group_size: 1
    .uses_dynamic_stack: false
    .vgpr_count:     256
    .vgpr_spill_count: 21
    .wavefront_size: 32
    .workgroup_processor_mode: 1
  - .args:
      - .offset:         0
        .size:           4
        .value_kind:     by_value
      - .offset:         4
        .size:           4
        .value_kind:     by_value
      - .offset:         8
        .size:           4
        .value_kind:     by_value
      - .offset:         12
        .size:           4
        .value_kind:     by_value
      - .address_space:  global
        .offset:         16
        .size:           8
        .value_kind:     global_buffer
      - .offset:         24
        .size:           4
        .value_kind:     by_value
      - .offset:         32
        .size:           8
        .value_kind:     by_value
      - .address_space:  global
        .offset:         40
        .size:           8
        .value_kind:     global_buffer
      - .offset:         48
        .size:           4
        .value_kind:     by_value
      - .offset:         56
        .size:           8
        .value_kind:     by_value
      - .offset:         64
        .size:           4
        .value_kind:     by_value
      - .address_space:  global
        .offset:         72
        .size:           8
        .value_kind:     global_buffer
      - .offset:         80
        .size:           4
        .value_kind:     by_value
      - .offset:         88
        .size:           8
        .value_kind:     by_value
      - .address_space:  global
        .offset:         96
        .size:           8
        .value_kind:     global_buffer
      - .offset:         104
        .size:           4
        .value_kind:     by_value
      - .offset:         112
        .size:           8
        .value_kind:     by_value
      - .offset:         120
        .size:           4
        .value_kind:     by_value
      - .offset:         124
        .size:           4
        .value_kind:     by_value
    .group_segment_fixed_size: 10240
    .kernarg_segment_align: 8
    .kernarg_segment_size: 128
    .language:       OpenCL C
    .language_version:
      - 2
      - 0
    .max_flat_workgroup_size: 256
    .name:           _ZN12_GLOBAL__N_120geam_min_plus_kernelIf15HIP_vector_typeIfLj2EEfLi8ELi32ELi64ELi256ELi4ELi64ELi4ELi64ELi4ELc78ELc84ELb1ELb0ELb1EfKffEEviiiT16_PT17_ilS6_ilS4_S6_ilPT18_ili26rocblas_geam_ex_operation_
    .private_segment_fixed_size: 80
    .sgpr_count:     25
    .sgpr_spill_count: 0
    .symbol:         _ZN12_GLOBAL__N_120geam_min_plus_kernelIf15HIP_vector_typeIfLj2EEfLi8ELi32ELi64ELi256ELi4ELi64ELi4ELi64ELi4ELc78ELc84ELb1ELb0ELb1EfKffEEviiiT16_PT17_ilS6_ilS4_S6_ilPT18_ili26rocblas_geam_ex_operation_.kd
    .uniform_work_group_size: 1
    .uses_dynamic_stack: false
    .vgpr_count:     256
    .vgpr_spill_count: 19
    .wavefront_size: 32
    .workgroup_processor_mode: 1
  - .args:
      - .offset:         0
        .size:           4
        .value_kind:     by_value
      - .offset:         4
        .size:           4
        .value_kind:     by_value
      - .offset:         8
        .size:           4
        .value_kind:     by_value
      - .offset:         12
        .size:           4
        .value_kind:     by_value
      - .address_space:  global
        .offset:         16
        .size:           8
        .value_kind:     global_buffer
      - .offset:         24
        .size:           4
        .value_kind:     by_value
      - .offset:         32
        .size:           8
        .value_kind:     by_value
      - .address_space:  global
        .offset:         40
        .size:           8
        .value_kind:     global_buffer
      - .offset:         48
        .size:           4
        .value_kind:     by_value
      - .offset:         56
        .size:           8
        .value_kind:     by_value
      - .offset:         64
        .size:           4
        .value_kind:     by_value
      - .address_space:  global
        .offset:         72
        .size:           8
        .value_kind:     global_buffer
      - .offset:         80
        .size:           4
        .value_kind:     by_value
      - .offset:         88
        .size:           8
        .value_kind:     by_value
      - .address_space:  global
        .offset:         96
        .size:           8
        .value_kind:     global_buffer
      - .offset:         104
        .size:           4
        .value_kind:     by_value
      - .offset:         112
        .size:           8
        .value_kind:     by_value
      - .offset:         120
        .size:           4
        .value_kind:     by_value
      - .offset:         124
        .size:           4
        .value_kind:     by_value
    .group_segment_fixed_size: 10240
    .kernarg_segment_align: 8
    .kernarg_segment_size: 128
    .language:       OpenCL C
    .language_version:
      - 2
      - 0
    .max_flat_workgroup_size: 256
    .name:           _ZN12_GLOBAL__N_120geam_min_plus_kernelIf15HIP_vector_typeIfLj2EEfLi8ELi32ELi64ELi256ELi4ELi64ELi4ELi64ELi4ELc78ELc84ELb0ELb0ELb1EfKffEEviiiT16_PT17_ilS6_ilS4_S6_ilPT18_ili26rocblas_geam_ex_operation_
    .private_segment_fixed_size: 68
    .sgpr_count:     29
    .sgpr_spill_count: 0
    .symbol:         _ZN12_GLOBAL__N_120geam_min_plus_kernelIf15HIP_vector_typeIfLj2EEfLi8ELi32ELi64ELi256ELi4ELi64ELi4ELi64ELi4ELc78ELc84ELb0ELb0ELb1EfKffEEviiiT16_PT17_ilS6_ilS4_S6_ilPT18_ili26rocblas_geam_ex_operation_.kd
    .uniform_work_group_size: 1
    .uses_dynamic_stack: false
    .vgpr_count:     256
    .vgpr_spill_count: 21
    .wavefront_size: 32
    .workgroup_processor_mode: 1
  - .args:
      - .offset:         0
        .size:           4
        .value_kind:     by_value
      - .offset:         4
        .size:           4
        .value_kind:     by_value
      - .offset:         8
        .size:           4
        .value_kind:     by_value
      - .address_space:  global
        .offset:         16
        .size:           8
        .value_kind:     global_buffer
      - .address_space:  global
        .offset:         24
        .size:           8
        .value_kind:     global_buffer
      - .offset:         32
        .size:           4
        .value_kind:     by_value
      - .offset:         40
        .size:           8
        .value_kind:     by_value
      - .address_space:  global
        .offset:         48
        .size:           8
        .value_kind:     global_buffer
      - .offset:         56
        .size:           4
        .value_kind:     by_value
      - .offset:         64
        .size:           8
        .value_kind:     by_value
      - .address_space:  global
        .offset:         72
        .size:           8
        .value_kind:     global_buffer
      - .address_space:  global
        .offset:         80
        .size:           8
        .value_kind:     global_buffer
      - .offset:         88
        .size:           4
        .value_kind:     by_value
      - .offset:         96
        .size:           8
        .value_kind:     by_value
      - .address_space:  global
        .offset:         104
        .size:           8
        .value_kind:     global_buffer
      - .offset:         112
        .size:           4
        .value_kind:     by_value
      - .offset:         120
        .size:           8
        .value_kind:     by_value
      - .offset:         128
        .size:           4
        .value_kind:     by_value
      - .offset:         132
        .size:           4
        .value_kind:     by_value
    .group_segment_fixed_size: 10240
    .kernarg_segment_align: 8
    .kernarg_segment_size: 136
    .language:       OpenCL C
    .language_version:
      - 2
      - 0
    .max_flat_workgroup_size: 256
    .name:           _ZN12_GLOBAL__N_120geam_min_plus_kernelIf15HIP_vector_typeIfLj2EEfLi8ELi32ELi64ELi256ELi4ELi64ELi4ELi64ELi4ELc78ELc84ELb0ELb1ELb1EPKfS3_fEEviiiT16_PT17_ilS7_ilS5_S7_ilPT18_ili26rocblas_geam_ex_operation_
    .private_segment_fixed_size: 0
    .sgpr_count:     36
    .sgpr_spill_count: 0
    .symbol:         _ZN12_GLOBAL__N_120geam_min_plus_kernelIf15HIP_vector_typeIfLj2EEfLi8ELi32ELi64ELi256ELi4ELi64ELi4ELi64ELi4ELc78ELc84ELb0ELb1ELb1EPKfS3_fEEviiiT16_PT17_ilS7_ilS5_S7_ilPT18_ili26rocblas_geam_ex_operation_.kd
    .uniform_work_group_size: 1
    .uses_dynamic_stack: false
    .vgpr_count:     200
    .vgpr_spill_count: 0
    .wavefront_size: 32
    .workgroup_processor_mode: 1
  - .args:
      - .offset:         0
        .size:           4
        .value_kind:     by_value
      - .offset:         4
        .size:           4
        .value_kind:     by_value
      - .offset:         8
        .size:           4
        .value_kind:     by_value
      - .offset:         12
        .size:           4
        .value_kind:     by_value
      - .address_space:  global
        .offset:         16
        .size:           8
        .value_kind:     global_buffer
      - .offset:         24
        .size:           4
        .value_kind:     by_value
      - .offset:         32
        .size:           8
        .value_kind:     by_value
      - .address_space:  global
        .offset:         40
        .size:           8
        .value_kind:     global_buffer
      - .offset:         48
        .size:           4
        .value_kind:     by_value
      - .offset:         56
        .size:           8
        .value_kind:     by_value
      - .offset:         64
        .size:           4
        .value_kind:     by_value
      - .address_space:  global
        .offset:         72
        .size:           8
        .value_kind:     global_buffer
      - .offset:         80
        .size:           4
        .value_kind:     by_value
      - .offset:         88
        .size:           8
        .value_kind:     by_value
      - .address_space:  global
        .offset:         96
        .size:           8
        .value_kind:     global_buffer
      - .offset:         104
        .size:           4
        .value_kind:     by_value
      - .offset:         112
        .size:           8
        .value_kind:     by_value
      - .offset:         120
        .size:           4
        .value_kind:     by_value
      - .offset:         124
        .size:           4
        .value_kind:     by_value
    .group_segment_fixed_size: 10240
    .kernarg_segment_align: 8
    .kernarg_segment_size: 128
    .language:       OpenCL C
    .language_version:
      - 2
      - 0
    .max_flat_workgroup_size: 256
    .name:           _ZN12_GLOBAL__N_120geam_min_plus_kernelIf15HIP_vector_typeIfLj2EEfLi8ELi32ELi64ELi256ELi4ELi64ELi4ELi64ELi4ELc78ELc84ELb1ELb1ELb1EfKffEEviiiT16_PT17_ilS6_ilS4_S6_ilPT18_ili26rocblas_geam_ex_operation_
    .private_segment_fixed_size: 0
    .sgpr_count:     32
    .sgpr_spill_count: 0
    .symbol:         _ZN12_GLOBAL__N_120geam_min_plus_kernelIf15HIP_vector_typeIfLj2EEfLi8ELi32ELi64ELi256ELi4ELi64ELi4ELi64ELi4ELc78ELc84ELb1ELb1ELb1EfKffEEviiiT16_PT17_ilS6_ilS4_S6_ilPT18_ili26rocblas_geam_ex_operation_.kd
    .uniform_work_group_size: 1
    .uses_dynamic_stack: false
    .vgpr_count:     205
    .vgpr_spill_count: 0
    .wavefront_size: 32
    .workgroup_processor_mode: 1
  - .args:
      - .offset:         0
        .size:           4
        .value_kind:     by_value
      - .offset:         4
        .size:           4
        .value_kind:     by_value
      - .offset:         8
        .size:           4
        .value_kind:     by_value
      - .offset:         12
        .size:           4
        .value_kind:     by_value
      - .address_space:  global
        .offset:         16
        .size:           8
        .value_kind:     global_buffer
      - .offset:         24
        .size:           4
        .value_kind:     by_value
      - .offset:         32
        .size:           8
        .value_kind:     by_value
      - .address_space:  global
        .offset:         40
        .size:           8
        .value_kind:     global_buffer
      - .offset:         48
        .size:           4
        .value_kind:     by_value
      - .offset:         56
        .size:           8
        .value_kind:     by_value
      - .offset:         64
        .size:           4
        .value_kind:     by_value
      - .address_space:  global
        .offset:         72
        .size:           8
        .value_kind:     global_buffer
      - .offset:         80
        .size:           4
        .value_kind:     by_value
      - .offset:         88
        .size:           8
        .value_kind:     by_value
      - .address_space:  global
        .offset:         96
        .size:           8
        .value_kind:     global_buffer
      - .offset:         104
        .size:           4
        .value_kind:     by_value
      - .offset:         112
        .size:           8
        .value_kind:     by_value
      - .offset:         120
        .size:           4
        .value_kind:     by_value
      - .offset:         124
        .size:           4
        .value_kind:     by_value
    .group_segment_fixed_size: 10240
    .kernarg_segment_align: 8
    .kernarg_segment_size: 128
    .language:       OpenCL C
    .language_version:
      - 2
      - 0
    .max_flat_workgroup_size: 256
    .name:           _ZN12_GLOBAL__N_120geam_min_plus_kernelIf15HIP_vector_typeIfLj2EEfLi8ELi32ELi64ELi256ELi4ELi64ELi4ELi64ELi4ELc78ELc84ELb0ELb1ELb1EfKffEEviiiT16_PT17_ilS6_ilS4_S6_ilPT18_ili26rocblas_geam_ex_operation_
    .private_segment_fixed_size: 0
    .sgpr_count:     37
    .sgpr_spill_count: 0
    .symbol:         _ZN12_GLOBAL__N_120geam_min_plus_kernelIf15HIP_vector_typeIfLj2EEfLi8ELi32ELi64ELi256ELi4ELi64ELi4ELi64ELi4ELc78ELc84ELb0ELb1ELb1EfKffEEviiiT16_PT17_ilS6_ilS4_S6_ilPT18_ili26rocblas_geam_ex_operation_.kd
    .uniform_work_group_size: 1
    .uses_dynamic_stack: false
    .vgpr_count:     200
    .vgpr_spill_count: 0
    .wavefront_size: 32
    .workgroup_processor_mode: 1
  - .args:
      - .offset:         0
        .size:           4
        .value_kind:     by_value
      - .offset:         4
        .size:           4
        .value_kind:     by_value
      - .offset:         8
        .size:           4
        .value_kind:     by_value
      - .address_space:  global
        .offset:         16
        .size:           8
        .value_kind:     global_buffer
      - .address_space:  global
        .offset:         24
        .size:           8
        .value_kind:     global_buffer
      - .offset:         32
        .size:           4
        .value_kind:     by_value
      - .offset:         40
        .size:           8
        .value_kind:     by_value
      - .address_space:  global
        .offset:         48
        .size:           8
        .value_kind:     global_buffer
      - .offset:         56
        .size:           4
        .value_kind:     by_value
      - .offset:         64
        .size:           8
        .value_kind:     by_value
      - .address_space:  global
        .offset:         72
        .size:           8
        .value_kind:     global_buffer
      - .address_space:  global
        .offset:         80
        .size:           8
        .value_kind:     global_buffer
      - .offset:         88
        .size:           4
        .value_kind:     by_value
      - .offset:         96
        .size:           8
        .value_kind:     by_value
      - .address_space:  global
        .offset:         104
        .size:           8
        .value_kind:     global_buffer
      - .offset:         112
        .size:           4
        .value_kind:     by_value
      - .offset:         120
        .size:           8
        .value_kind:     by_value
      - .offset:         128
        .size:           4
        .value_kind:     by_value
      - .offset:         132
        .size:           4
        .value_kind:     by_value
    .group_segment_fixed_size: 10240
    .kernarg_segment_align: 8
    .kernarg_segment_size: 136
    .language:       OpenCL C
    .language_version:
      - 2
      - 0
    .max_flat_workgroup_size: 256
    .name:           _ZN12_GLOBAL__N_120geam_min_plus_kernelIf15HIP_vector_typeIfLj2EEfLi8ELi32ELi64ELi256ELi4ELi4ELi64ELi64ELi4ELc84ELc84ELb0ELb0ELb1EPKfS3_fEEviiiT16_PT17_ilS7_ilS5_S7_ilPT18_ili26rocblas_geam_ex_operation_
    .private_segment_fixed_size: 80
    .sgpr_count:     25
    .sgpr_spill_count: 0
    .symbol:         _ZN12_GLOBAL__N_120geam_min_plus_kernelIf15HIP_vector_typeIfLj2EEfLi8ELi32ELi64ELi256ELi4ELi4ELi64ELi64ELi4ELc84ELc84ELb0ELb0ELb1EPKfS3_fEEviiiT16_PT17_ilS7_ilS5_S7_ilPT18_ili26rocblas_geam_ex_operation_.kd
    .uniform_work_group_size: 1
    .uses_dynamic_stack: false
    .vgpr_count:     256
    .vgpr_spill_count: 24
    .wavefront_size: 32
    .workgroup_processor_mode: 1
  - .args:
      - .offset:         0
        .size:           4
        .value_kind:     by_value
      - .offset:         4
        .size:           4
        .value_kind:     by_value
      - .offset:         8
        .size:           4
        .value_kind:     by_value
      - .offset:         12
        .size:           4
        .value_kind:     by_value
      - .address_space:  global
        .offset:         16
        .size:           8
        .value_kind:     global_buffer
      - .offset:         24
        .size:           4
        .value_kind:     by_value
      - .offset:         32
        .size:           8
        .value_kind:     by_value
      - .address_space:  global
        .offset:         40
        .size:           8
        .value_kind:     global_buffer
      - .offset:         48
        .size:           4
        .value_kind:     by_value
      - .offset:         56
        .size:           8
        .value_kind:     by_value
      - .offset:         64
        .size:           4
        .value_kind:     by_value
      - .address_space:  global
        .offset:         72
        .size:           8
        .value_kind:     global_buffer
      - .offset:         80
        .size:           4
        .value_kind:     by_value
      - .offset:         88
        .size:           8
        .value_kind:     by_value
      - .address_space:  global
        .offset:         96
        .size:           8
        .value_kind:     global_buffer
      - .offset:         104
        .size:           4
        .value_kind:     by_value
      - .offset:         112
        .size:           8
        .value_kind:     by_value
      - .offset:         120
        .size:           4
        .value_kind:     by_value
      - .offset:         124
        .size:           4
        .value_kind:     by_value
    .group_segment_fixed_size: 10240
    .kernarg_segment_align: 8
    .kernarg_segment_size: 128
    .language:       OpenCL C
    .language_version:
      - 2
      - 0
    .max_flat_workgroup_size: 256
    .name:           _ZN12_GLOBAL__N_120geam_min_plus_kernelIf15HIP_vector_typeIfLj2EEfLi8ELi32ELi64ELi256ELi4ELi4ELi64ELi64ELi4ELc84ELc84ELb1ELb0ELb1EfKffEEviiiT16_PT17_ilS6_ilS4_S6_ilPT18_ili26rocblas_geam_ex_operation_
    .private_segment_fixed_size: 88
    .sgpr_count:     25
    .sgpr_spill_count: 0
    .symbol:         _ZN12_GLOBAL__N_120geam_min_plus_kernelIf15HIP_vector_typeIfLj2EEfLi8ELi32ELi64ELi256ELi4ELi4ELi64ELi64ELi4ELc84ELc84ELb1ELb0ELb1EfKffEEviiiT16_PT17_ilS6_ilS4_S6_ilPT18_ili26rocblas_geam_ex_operation_.kd
    .uniform_work_group_size: 1
    .uses_dynamic_stack: false
    .vgpr_count:     256
    .vgpr_spill_count: 21
    .wavefront_size: 32
    .workgroup_processor_mode: 1
  - .args:
      - .offset:         0
        .size:           4
        .value_kind:     by_value
      - .offset:         4
        .size:           4
        .value_kind:     by_value
      - .offset:         8
        .size:           4
        .value_kind:     by_value
      - .offset:         12
        .size:           4
        .value_kind:     by_value
      - .address_space:  global
        .offset:         16
        .size:           8
        .value_kind:     global_buffer
      - .offset:         24
        .size:           4
        .value_kind:     by_value
      - .offset:         32
        .size:           8
        .value_kind:     by_value
      - .address_space:  global
        .offset:         40
        .size:           8
        .value_kind:     global_buffer
      - .offset:         48
        .size:           4
        .value_kind:     by_value
      - .offset:         56
        .size:           8
        .value_kind:     by_value
      - .offset:         64
        .size:           4
        .value_kind:     by_value
      - .address_space:  global
        .offset:         72
        .size:           8
        .value_kind:     global_buffer
      - .offset:         80
        .size:           4
        .value_kind:     by_value
      - .offset:         88
        .size:           8
        .value_kind:     by_value
      - .address_space:  global
        .offset:         96
        .size:           8
        .value_kind:     global_buffer
      - .offset:         104
        .size:           4
        .value_kind:     by_value
      - .offset:         112
        .size:           8
        .value_kind:     by_value
      - .offset:         120
        .size:           4
        .value_kind:     by_value
      - .offset:         124
        .size:           4
        .value_kind:     by_value
    .group_segment_fixed_size: 10240
    .kernarg_segment_align: 8
    .kernarg_segment_size: 128
    .language:       OpenCL C
    .language_version:
      - 2
      - 0
    .max_flat_workgroup_size: 256
    .name:           _ZN12_GLOBAL__N_120geam_min_plus_kernelIf15HIP_vector_typeIfLj2EEfLi8ELi32ELi64ELi256ELi4ELi4ELi64ELi64ELi4ELc84ELc84ELb0ELb0ELb1EfKffEEviiiT16_PT17_ilS6_ilS4_S6_ilPT18_ili26rocblas_geam_ex_operation_
    .private_segment_fixed_size: 80
    .sgpr_count:     26
    .sgpr_spill_count: 0
    .symbol:         _ZN12_GLOBAL__N_120geam_min_plus_kernelIf15HIP_vector_typeIfLj2EEfLi8ELi32ELi64ELi256ELi4ELi4ELi64ELi64ELi4ELc84ELc84ELb0ELb0ELb1EfKffEEviiiT16_PT17_ilS6_ilS4_S6_ilPT18_ili26rocblas_geam_ex_operation_.kd
    .uniform_work_group_size: 1
    .uses_dynamic_stack: false
    .vgpr_count:     256
    .vgpr_spill_count: 24
    .wavefront_size: 32
    .workgroup_processor_mode: 1
  - .args:
      - .offset:         0
        .size:           4
        .value_kind:     by_value
      - .offset:         4
        .size:           4
        .value_kind:     by_value
      - .offset:         8
        .size:           4
        .value_kind:     by_value
      - .address_space:  global
        .offset:         16
        .size:           8
        .value_kind:     global_buffer
      - .address_space:  global
        .offset:         24
        .size:           8
        .value_kind:     global_buffer
      - .offset:         32
        .size:           4
        .value_kind:     by_value
      - .offset:         40
        .size:           8
        .value_kind:     by_value
      - .address_space:  global
        .offset:         48
        .size:           8
        .value_kind:     global_buffer
      - .offset:         56
        .size:           4
        .value_kind:     by_value
      - .offset:         64
        .size:           8
        .value_kind:     by_value
      - .address_space:  global
        .offset:         72
        .size:           8
        .value_kind:     global_buffer
      - .address_space:  global
        .offset:         80
        .size:           8
        .value_kind:     global_buffer
      - .offset:         88
        .size:           4
        .value_kind:     by_value
      - .offset:         96
        .size:           8
        .value_kind:     by_value
      - .address_space:  global
        .offset:         104
        .size:           8
        .value_kind:     global_buffer
      - .offset:         112
        .size:           4
        .value_kind:     by_value
      - .offset:         120
        .size:           8
        .value_kind:     by_value
      - .offset:         128
        .size:           4
        .value_kind:     by_value
      - .offset:         132
        .size:           4
        .value_kind:     by_value
    .group_segment_fixed_size: 10240
    .kernarg_segment_align: 8
    .kernarg_segment_size: 136
    .language:       OpenCL C
    .language_version:
      - 2
      - 0
    .max_flat_workgroup_size: 256
    .name:           _ZN12_GLOBAL__N_120geam_min_plus_kernelIf15HIP_vector_typeIfLj2EEfLi8ELi32ELi64ELi256ELi4ELi4ELi64ELi64ELi4ELc84ELc84ELb0ELb1ELb1EPKfS3_fEEviiiT16_PT17_ilS7_ilS5_S7_ilPT18_ili26rocblas_geam_ex_operation_
    .private_segment_fixed_size: 0
    .sgpr_count:     32
    .sgpr_spill_count: 0
    .symbol:         _ZN12_GLOBAL__N_120geam_min_plus_kernelIf15HIP_vector_typeIfLj2EEfLi8ELi32ELi64ELi256ELi4ELi4ELi64ELi64ELi4ELc84ELc84ELb0ELb1ELb1EPKfS3_fEEviiiT16_PT17_ilS7_ilS5_S7_ilPT18_ili26rocblas_geam_ex_operation_.kd
    .uniform_work_group_size: 1
    .uses_dynamic_stack: false
    .vgpr_count:     193
    .vgpr_spill_count: 0
    .wavefront_size: 32
    .workgroup_processor_mode: 1
  - .args:
      - .offset:         0
        .size:           4
        .value_kind:     by_value
      - .offset:         4
        .size:           4
        .value_kind:     by_value
      - .offset:         8
        .size:           4
        .value_kind:     by_value
      - .offset:         12
        .size:           4
        .value_kind:     by_value
      - .address_space:  global
        .offset:         16
        .size:           8
        .value_kind:     global_buffer
      - .offset:         24
        .size:           4
        .value_kind:     by_value
      - .offset:         32
        .size:           8
        .value_kind:     by_value
      - .address_space:  global
        .offset:         40
        .size:           8
        .value_kind:     global_buffer
      - .offset:         48
        .size:           4
        .value_kind:     by_value
      - .offset:         56
        .size:           8
        .value_kind:     by_value
      - .offset:         64
        .size:           4
        .value_kind:     by_value
      - .address_space:  global
        .offset:         72
        .size:           8
        .value_kind:     global_buffer
      - .offset:         80
        .size:           4
        .value_kind:     by_value
      - .offset:         88
        .size:           8
        .value_kind:     by_value
      - .address_space:  global
        .offset:         96
        .size:           8
        .value_kind:     global_buffer
      - .offset:         104
        .size:           4
        .value_kind:     by_value
      - .offset:         112
        .size:           8
        .value_kind:     by_value
      - .offset:         120
        .size:           4
        .value_kind:     by_value
      - .offset:         124
        .size:           4
        .value_kind:     by_value
    .group_segment_fixed_size: 10240
    .kernarg_segment_align: 8
    .kernarg_segment_size: 128
    .language:       OpenCL C
    .language_version:
      - 2
      - 0
    .max_flat_workgroup_size: 256
    .name:           _ZN12_GLOBAL__N_120geam_min_plus_kernelIf15HIP_vector_typeIfLj2EEfLi8ELi32ELi64ELi256ELi4ELi4ELi64ELi64ELi4ELc84ELc84ELb1ELb1ELb1EfKffEEviiiT16_PT17_ilS6_ilS4_S6_ilPT18_ili26rocblas_geam_ex_operation_
    .private_segment_fixed_size: 0
    .sgpr_count:     33
    .sgpr_spill_count: 0
    .symbol:         _ZN12_GLOBAL__N_120geam_min_plus_kernelIf15HIP_vector_typeIfLj2EEfLi8ELi32ELi64ELi256ELi4ELi4ELi64ELi64ELi4ELc84ELc84ELb1ELb1ELb1EfKffEEviiiT16_PT17_ilS6_ilS4_S6_ilPT18_ili26rocblas_geam_ex_operation_.kd
    .uniform_work_group_size: 1
    .uses_dynamic_stack: false
    .vgpr_count:     202
    .vgpr_spill_count: 0
    .wavefront_size: 32
    .workgroup_processor_mode: 1
  - .args:
      - .offset:         0
        .size:           4
        .value_kind:     by_value
      - .offset:         4
        .size:           4
        .value_kind:     by_value
      - .offset:         8
        .size:           4
        .value_kind:     by_value
      - .offset:         12
        .size:           4
        .value_kind:     by_value
      - .address_space:  global
        .offset:         16
        .size:           8
        .value_kind:     global_buffer
      - .offset:         24
        .size:           4
        .value_kind:     by_value
      - .offset:         32
        .size:           8
        .value_kind:     by_value
      - .address_space:  global
        .offset:         40
        .size:           8
        .value_kind:     global_buffer
      - .offset:         48
        .size:           4
        .value_kind:     by_value
      - .offset:         56
        .size:           8
        .value_kind:     by_value
      - .offset:         64
        .size:           4
        .value_kind:     by_value
      - .address_space:  global
        .offset:         72
        .size:           8
        .value_kind:     global_buffer
      - .offset:         80
        .size:           4
        .value_kind:     by_value
      - .offset:         88
        .size:           8
        .value_kind:     by_value
      - .address_space:  global
        .offset:         96
        .size:           8
        .value_kind:     global_buffer
      - .offset:         104
        .size:           4
        .value_kind:     by_value
      - .offset:         112
        .size:           8
        .value_kind:     by_value
      - .offset:         120
        .size:           4
        .value_kind:     by_value
      - .offset:         124
        .size:           4
        .value_kind:     by_value
    .group_segment_fixed_size: 10240
    .kernarg_segment_align: 8
    .kernarg_segment_size: 128
    .language:       OpenCL C
    .language_version:
      - 2
      - 0
    .max_flat_workgroup_size: 256
    .name:           _ZN12_GLOBAL__N_120geam_min_plus_kernelIf15HIP_vector_typeIfLj2EEfLi8ELi32ELi64ELi256ELi4ELi4ELi64ELi64ELi4ELc84ELc84ELb0ELb1ELb1EfKffEEviiiT16_PT17_ilS6_ilS4_S6_ilPT18_ili26rocblas_geam_ex_operation_
    .private_segment_fixed_size: 0
    .sgpr_count:     33
    .sgpr_spill_count: 0
    .symbol:         _ZN12_GLOBAL__N_120geam_min_plus_kernelIf15HIP_vector_typeIfLj2EEfLi8ELi32ELi64ELi256ELi4ELi4ELi64ELi64ELi4ELc84ELc84ELb0ELb1ELb1EfKffEEviiiT16_PT17_ilS6_ilS4_S6_ilPT18_ili26rocblas_geam_ex_operation_.kd
    .uniform_work_group_size: 1
    .uses_dynamic_stack: false
    .vgpr_count:     193
    .vgpr_spill_count: 0
    .wavefront_size: 32
    .workgroup_processor_mode: 1
  - .args:
      - .offset:         0
        .size:           4
        .value_kind:     by_value
      - .offset:         4
        .size:           4
        .value_kind:     by_value
      - .offset:         8
        .size:           4
        .value_kind:     by_value
      - .address_space:  global
        .offset:         16
        .size:           8
        .value_kind:     global_buffer
      - .address_space:  global
        .offset:         24
        .size:           8
        .value_kind:     global_buffer
      - .offset:         32
        .size:           4
        .value_kind:     by_value
      - .offset:         40
        .size:           8
        .value_kind:     by_value
      - .address_space:  global
        .offset:         48
        .size:           8
        .value_kind:     global_buffer
      - .offset:         56
        .size:           4
        .value_kind:     by_value
      - .offset:         64
        .size:           8
        .value_kind:     by_value
      - .address_space:  global
        .offset:         72
        .size:           8
        .value_kind:     global_buffer
      - .address_space:  global
        .offset:         80
        .size:           8
        .value_kind:     global_buffer
      - .offset:         88
        .size:           4
        .value_kind:     by_value
      - .offset:         96
        .size:           8
        .value_kind:     by_value
      - .address_space:  global
        .offset:         104
        .size:           8
        .value_kind:     global_buffer
      - .offset:         112
        .size:           4
        .value_kind:     by_value
      - .offset:         120
        .size:           8
        .value_kind:     by_value
      - .offset:         128
        .size:           4
        .value_kind:     by_value
      - .offset:         132
        .size:           4
        .value_kind:     by_value
    .group_segment_fixed_size: 6144
    .kernarg_segment_align: 8
    .kernarg_segment_size: 136
    .language:       OpenCL C
    .language_version:
      - 2
      - 0
    .max_flat_workgroup_size: 256
    .name:           _ZN12_GLOBAL__N_120geam_min_plus_kernelIf15HIP_vector_typeIfLj2EES2_Li8ELi32ELi64ELi128ELi4ELi64ELi4ELi4ELi64ELc78ELc78ELb0ELb0ELb0EPKfS3_fEEviiiT16_PT17_ilS7_ilS5_S7_ilPT18_ili26rocblas_geam_ex_operation_
    .private_segment_fixed_size: 0
    .sgpr_count:     25
    .sgpr_spill_count: 0
    .symbol:         _ZN12_GLOBAL__N_120geam_min_plus_kernelIf15HIP_vector_typeIfLj2EES2_Li8ELi32ELi64ELi128ELi4ELi64ELi4ELi4ELi64ELc78ELc78ELb0ELb0ELb0EPKfS3_fEEviiiT16_PT17_ilS7_ilS5_S7_ilPT18_ili26rocblas_geam_ex_operation_.kd
    .uniform_work_group_size: 1
    .uses_dynamic_stack: false
    .vgpr_count:     228
    .vgpr_spill_count: 0
    .wavefront_size: 32
    .workgroup_processor_mode: 1
  - .args:
      - .offset:         0
        .size:           4
        .value_kind:     by_value
      - .offset:         4
        .size:           4
        .value_kind:     by_value
      - .offset:         8
        .size:           4
        .value_kind:     by_value
      - .offset:         12
        .size:           4
        .value_kind:     by_value
      - .address_space:  global
        .offset:         16
        .size:           8
        .value_kind:     global_buffer
      - .offset:         24
        .size:           4
        .value_kind:     by_value
      - .offset:         32
        .size:           8
        .value_kind:     by_value
      - .address_space:  global
        .offset:         40
        .size:           8
        .value_kind:     global_buffer
      - .offset:         48
        .size:           4
        .value_kind:     by_value
      - .offset:         56
        .size:           8
        .value_kind:     by_value
      - .offset:         64
        .size:           4
        .value_kind:     by_value
      - .address_space:  global
        .offset:         72
        .size:           8
        .value_kind:     global_buffer
      - .offset:         80
        .size:           4
        .value_kind:     by_value
      - .offset:         88
        .size:           8
        .value_kind:     by_value
      - .address_space:  global
        .offset:         96
        .size:           8
        .value_kind:     global_buffer
      - .offset:         104
        .size:           4
        .value_kind:     by_value
      - .offset:         112
        .size:           8
        .value_kind:     by_value
      - .offset:         120
        .size:           4
        .value_kind:     by_value
      - .offset:         124
        .size:           4
        .value_kind:     by_value
    .group_segment_fixed_size: 6144
    .kernarg_segment_align: 8
    .kernarg_segment_size: 128
    .language:       OpenCL C
    .language_version:
      - 2
      - 0
    .max_flat_workgroup_size: 256
    .name:           _ZN12_GLOBAL__N_120geam_min_plus_kernelIf15HIP_vector_typeIfLj2EES2_Li8ELi32ELi64ELi128ELi4ELi64ELi4ELi4ELi64ELc78ELc78ELb1ELb0ELb0EfKffEEviiiT16_PT17_ilS6_ilS4_S6_ilPT18_ili26rocblas_geam_ex_operation_
    .private_segment_fixed_size: 0
    .sgpr_count:     25
    .sgpr_spill_count: 0
    .symbol:         _ZN12_GLOBAL__N_120geam_min_plus_kernelIf15HIP_vector_typeIfLj2EES2_Li8ELi32ELi64ELi128ELi4ELi64ELi4ELi4ELi64ELc78ELc78ELb1ELb0ELb0EfKffEEviiiT16_PT17_ilS6_ilS4_S6_ilPT18_ili26rocblas_geam_ex_operation_.kd
    .uniform_work_group_size: 1
    .uses_dynamic_stack: false
    .vgpr_count:     170
    .vgpr_spill_count: 0
    .wavefront_size: 32
    .workgroup_processor_mode: 1
  - .args:
      - .offset:         0
        .size:           4
        .value_kind:     by_value
      - .offset:         4
        .size:           4
        .value_kind:     by_value
      - .offset:         8
        .size:           4
        .value_kind:     by_value
      - .offset:         12
        .size:           4
        .value_kind:     by_value
      - .address_space:  global
        .offset:         16
        .size:           8
        .value_kind:     global_buffer
      - .offset:         24
        .size:           4
        .value_kind:     by_value
      - .offset:         32
        .size:           8
        .value_kind:     by_value
      - .address_space:  global
        .offset:         40
        .size:           8
        .value_kind:     global_buffer
      - .offset:         48
        .size:           4
        .value_kind:     by_value
      - .offset:         56
        .size:           8
        .value_kind:     by_value
      - .offset:         64
        .size:           4
        .value_kind:     by_value
      - .address_space:  global
        .offset:         72
        .size:           8
        .value_kind:     global_buffer
      - .offset:         80
        .size:           4
        .value_kind:     by_value
      - .offset:         88
        .size:           8
        .value_kind:     by_value
      - .address_space:  global
        .offset:         96
        .size:           8
        .value_kind:     global_buffer
      - .offset:         104
        .size:           4
        .value_kind:     by_value
      - .offset:         112
        .size:           8
        .value_kind:     by_value
      - .offset:         120
        .size:           4
        .value_kind:     by_value
      - .offset:         124
        .size:           4
        .value_kind:     by_value
    .group_segment_fixed_size: 6144
    .kernarg_segment_align: 8
    .kernarg_segment_size: 128
    .language:       OpenCL C
    .language_version:
      - 2
      - 0
    .max_flat_workgroup_size: 256
    .name:           _ZN12_GLOBAL__N_120geam_min_plus_kernelIf15HIP_vector_typeIfLj2EES2_Li8ELi32ELi64ELi128ELi4ELi64ELi4ELi4ELi64ELc78ELc78ELb0ELb0ELb0EfKffEEviiiT16_PT17_ilS6_ilS4_S6_ilPT18_ili26rocblas_geam_ex_operation_
    .private_segment_fixed_size: 0
    .sgpr_count:     27
    .sgpr_spill_count: 0
    .symbol:         _ZN12_GLOBAL__N_120geam_min_plus_kernelIf15HIP_vector_typeIfLj2EES2_Li8ELi32ELi64ELi128ELi4ELi64ELi4ELi4ELi64ELc78ELc78ELb0ELb0ELb0EfKffEEviiiT16_PT17_ilS6_ilS4_S6_ilPT18_ili26rocblas_geam_ex_operation_.kd
    .uniform_work_group_size: 1
    .uses_dynamic_stack: false
    .vgpr_count:     228
    .vgpr_spill_count: 0
    .wavefront_size: 32
    .workgroup_processor_mode: 1
  - .args:
      - .offset:         0
        .size:           4
        .value_kind:     by_value
      - .offset:         4
        .size:           4
        .value_kind:     by_value
      - .offset:         8
        .size:           4
        .value_kind:     by_value
      - .address_space:  global
        .offset:         16
        .size:           8
        .value_kind:     global_buffer
      - .address_space:  global
        .offset:         24
        .size:           8
        .value_kind:     global_buffer
      - .offset:         32
        .size:           4
        .value_kind:     by_value
      - .offset:         40
        .size:           8
        .value_kind:     by_value
      - .address_space:  global
        .offset:         48
        .size:           8
        .value_kind:     global_buffer
      - .offset:         56
        .size:           4
        .value_kind:     by_value
      - .offset:         64
        .size:           8
        .value_kind:     by_value
      - .address_space:  global
        .offset:         72
        .size:           8
        .value_kind:     global_buffer
      - .address_space:  global
        .offset:         80
        .size:           8
        .value_kind:     global_buffer
      - .offset:         88
        .size:           4
        .value_kind:     by_value
      - .offset:         96
        .size:           8
        .value_kind:     by_value
      - .address_space:  global
        .offset:         104
        .size:           8
        .value_kind:     global_buffer
      - .offset:         112
        .size:           4
        .value_kind:     by_value
      - .offset:         120
        .size:           8
        .value_kind:     by_value
      - .offset:         128
        .size:           4
        .value_kind:     by_value
      - .offset:         132
        .size:           4
        .value_kind:     by_value
    .group_segment_fixed_size: 6144
    .kernarg_segment_align: 8
    .kernarg_segment_size: 136
    .language:       OpenCL C
    .language_version:
      - 2
      - 0
    .max_flat_workgroup_size: 256
    .name:           _ZN12_GLOBAL__N_120geam_min_plus_kernelIf15HIP_vector_typeIfLj2EES2_Li8ELi32ELi64ELi128ELi4ELi64ELi4ELi4ELi64ELc78ELc78ELb0ELb1ELb0EPKfS3_fEEviiiT16_PT17_ilS7_ilS5_S7_ilPT18_ili26rocblas_geam_ex_operation_
    .private_segment_fixed_size: 0
    .sgpr_count:     31
    .sgpr_spill_count: 0
    .symbol:         _ZN12_GLOBAL__N_120geam_min_plus_kernelIf15HIP_vector_typeIfLj2EES2_Li8ELi32ELi64ELi128ELi4ELi64ELi4ELi4ELi64ELc78ELc78ELb0ELb1ELb0EPKfS3_fEEviiiT16_PT17_ilS7_ilS5_S7_ilPT18_ili26rocblas_geam_ex_operation_.kd
    .uniform_work_group_size: 1
    .uses_dynamic_stack: false
    .vgpr_count:     233
    .vgpr_spill_count: 0
    .wavefront_size: 32
    .workgroup_processor_mode: 1
  - .args:
      - .offset:         0
        .size:           4
        .value_kind:     by_value
      - .offset:         4
        .size:           4
        .value_kind:     by_value
      - .offset:         8
        .size:           4
        .value_kind:     by_value
      - .offset:         12
        .size:           4
        .value_kind:     by_value
      - .address_space:  global
        .offset:         16
        .size:           8
        .value_kind:     global_buffer
      - .offset:         24
        .size:           4
        .value_kind:     by_value
      - .offset:         32
        .size:           8
        .value_kind:     by_value
      - .address_space:  global
        .offset:         40
        .size:           8
        .value_kind:     global_buffer
      - .offset:         48
        .size:           4
        .value_kind:     by_value
      - .offset:         56
        .size:           8
        .value_kind:     by_value
      - .offset:         64
        .size:           4
        .value_kind:     by_value
      - .address_space:  global
        .offset:         72
        .size:           8
        .value_kind:     global_buffer
      - .offset:         80
        .size:           4
        .value_kind:     by_value
      - .offset:         88
        .size:           8
        .value_kind:     by_value
      - .address_space:  global
        .offset:         96
        .size:           8
        .value_kind:     global_buffer
      - .offset:         104
        .size:           4
        .value_kind:     by_value
      - .offset:         112
        .size:           8
        .value_kind:     by_value
      - .offset:         120
        .size:           4
        .value_kind:     by_value
      - .offset:         124
        .size:           4
        .value_kind:     by_value
    .group_segment_fixed_size: 6144
    .kernarg_segment_align: 8
    .kernarg_segment_size: 128
    .language:       OpenCL C
    .language_version:
      - 2
      - 0
    .max_flat_workgroup_size: 256
    .name:           _ZN12_GLOBAL__N_120geam_min_plus_kernelIf15HIP_vector_typeIfLj2EES2_Li8ELi32ELi64ELi128ELi4ELi64ELi4ELi4ELi64ELc78ELc78ELb1ELb1ELb0EfKffEEviiiT16_PT17_ilS6_ilS4_S6_ilPT18_ili26rocblas_geam_ex_operation_
    .private_segment_fixed_size: 0
    .sgpr_count:     29
    .sgpr_spill_count: 0
    .symbol:         _ZN12_GLOBAL__N_120geam_min_plus_kernelIf15HIP_vector_typeIfLj2EES2_Li8ELi32ELi64ELi128ELi4ELi64ELi4ELi4ELi64ELc78ELc78ELb1ELb1ELb0EfKffEEviiiT16_PT17_ilS6_ilS4_S6_ilPT18_ili26rocblas_geam_ex_operation_.kd
    .uniform_work_group_size: 1
    .uses_dynamic_stack: false
    .vgpr_count:     231
    .vgpr_spill_count: 0
    .wavefront_size: 32
    .workgroup_processor_mode: 1
  - .args:
      - .offset:         0
        .size:           4
        .value_kind:     by_value
      - .offset:         4
        .size:           4
        .value_kind:     by_value
      - .offset:         8
        .size:           4
        .value_kind:     by_value
      - .offset:         12
        .size:           4
        .value_kind:     by_value
      - .address_space:  global
        .offset:         16
        .size:           8
        .value_kind:     global_buffer
      - .offset:         24
        .size:           4
        .value_kind:     by_value
      - .offset:         32
        .size:           8
        .value_kind:     by_value
      - .address_space:  global
        .offset:         40
        .size:           8
        .value_kind:     global_buffer
      - .offset:         48
        .size:           4
        .value_kind:     by_value
      - .offset:         56
        .size:           8
        .value_kind:     by_value
      - .offset:         64
        .size:           4
        .value_kind:     by_value
      - .address_space:  global
        .offset:         72
        .size:           8
        .value_kind:     global_buffer
      - .offset:         80
        .size:           4
        .value_kind:     by_value
      - .offset:         88
        .size:           8
        .value_kind:     by_value
      - .address_space:  global
        .offset:         96
        .size:           8
        .value_kind:     global_buffer
      - .offset:         104
        .size:           4
        .value_kind:     by_value
      - .offset:         112
        .size:           8
        .value_kind:     by_value
      - .offset:         120
        .size:           4
        .value_kind:     by_value
      - .offset:         124
        .size:           4
        .value_kind:     by_value
    .group_segment_fixed_size: 6144
    .kernarg_segment_align: 8
    .kernarg_segment_size: 128
    .language:       OpenCL C
    .language_version:
      - 2
      - 0
    .max_flat_workgroup_size: 256
    .name:           _ZN12_GLOBAL__N_120geam_min_plus_kernelIf15HIP_vector_typeIfLj2EES2_Li8ELi32ELi64ELi128ELi4ELi64ELi4ELi4ELi64ELc78ELc78ELb0ELb1ELb0EfKffEEviiiT16_PT17_ilS6_ilS4_S6_ilPT18_ili26rocblas_geam_ex_operation_
    .private_segment_fixed_size: 0
    .sgpr_count:     32
    .sgpr_spill_count: 0
    .symbol:         _ZN12_GLOBAL__N_120geam_min_plus_kernelIf15HIP_vector_typeIfLj2EES2_Li8ELi32ELi64ELi128ELi4ELi64ELi4ELi4ELi64ELc78ELc78ELb0ELb1ELb0EfKffEEviiiT16_PT17_ilS6_ilS4_S6_ilPT18_ili26rocblas_geam_ex_operation_.kd
    .uniform_work_group_size: 1
    .uses_dynamic_stack: false
    .vgpr_count:     233
    .vgpr_spill_count: 0
    .wavefront_size: 32
    .workgroup_processor_mode: 1
  - .args:
      - .offset:         0
        .size:           4
        .value_kind:     by_value
      - .offset:         4
        .size:           4
        .value_kind:     by_value
      - .offset:         8
        .size:           4
        .value_kind:     by_value
      - .address_space:  global
        .offset:         16
        .size:           8
        .value_kind:     global_buffer
      - .address_space:  global
        .offset:         24
        .size:           8
        .value_kind:     global_buffer
      - .offset:         32
        .size:           4
        .value_kind:     by_value
      - .offset:         40
        .size:           8
        .value_kind:     by_value
      - .address_space:  global
        .offset:         48
        .size:           8
        .value_kind:     global_buffer
      - .offset:         56
        .size:           4
        .value_kind:     by_value
      - .offset:         64
        .size:           8
        .value_kind:     by_value
      - .address_space:  global
        .offset:         72
        .size:           8
        .value_kind:     global_buffer
      - .address_space:  global
        .offset:         80
        .size:           8
        .value_kind:     global_buffer
      - .offset:         88
        .size:           4
        .value_kind:     by_value
      - .offset:         96
        .size:           8
        .value_kind:     by_value
      - .address_space:  global
        .offset:         104
        .size:           8
        .value_kind:     global_buffer
      - .offset:         112
        .size:           4
        .value_kind:     by_value
      - .offset:         120
        .size:           8
        .value_kind:     by_value
      - .offset:         128
        .size:           4
        .value_kind:     by_value
      - .offset:         132
        .size:           4
        .value_kind:     by_value
    .group_segment_fixed_size: 6144
    .kernarg_segment_align: 8
    .kernarg_segment_size: 136
    .language:       OpenCL C
    .language_version:
      - 2
      - 0
    .max_flat_workgroup_size: 256
    .name:           _ZN12_GLOBAL__N_120geam_min_plus_kernelIf15HIP_vector_typeIfLj2EES2_Li8ELi32ELi64ELi128ELi4ELi4ELi64ELi4ELi64ELc84ELc78ELb0ELb0ELb0EPKfS3_fEEviiiT16_PT17_ilS7_ilS5_S7_ilPT18_ili26rocblas_geam_ex_operation_
    .private_segment_fixed_size: 0
    .sgpr_count:     25
    .sgpr_spill_count: 0
    .symbol:         _ZN12_GLOBAL__N_120geam_min_plus_kernelIf15HIP_vector_typeIfLj2EES2_Li8ELi32ELi64ELi128ELi4ELi4ELi64ELi4ELi64ELc84ELc78ELb0ELb0ELb0EPKfS3_fEEviiiT16_PT17_ilS7_ilS5_S7_ilPT18_ili26rocblas_geam_ex_operation_.kd
    .uniform_work_group_size: 1
    .uses_dynamic_stack: false
    .vgpr_count:     224
    .vgpr_spill_count: 0
    .wavefront_size: 32
    .workgroup_processor_mode: 1
  - .args:
      - .offset:         0
        .size:           4
        .value_kind:     by_value
      - .offset:         4
        .size:           4
        .value_kind:     by_value
      - .offset:         8
        .size:           4
        .value_kind:     by_value
      - .offset:         12
        .size:           4
        .value_kind:     by_value
      - .address_space:  global
        .offset:         16
        .size:           8
        .value_kind:     global_buffer
      - .offset:         24
        .size:           4
        .value_kind:     by_value
      - .offset:         32
        .size:           8
        .value_kind:     by_value
      - .address_space:  global
        .offset:         40
        .size:           8
        .value_kind:     global_buffer
      - .offset:         48
        .size:           4
        .value_kind:     by_value
      - .offset:         56
        .size:           8
        .value_kind:     by_value
      - .offset:         64
        .size:           4
        .value_kind:     by_value
      - .address_space:  global
        .offset:         72
        .size:           8
        .value_kind:     global_buffer
      - .offset:         80
        .size:           4
        .value_kind:     by_value
      - .offset:         88
        .size:           8
        .value_kind:     by_value
      - .address_space:  global
        .offset:         96
        .size:           8
        .value_kind:     global_buffer
      - .offset:         104
        .size:           4
        .value_kind:     by_value
      - .offset:         112
        .size:           8
        .value_kind:     by_value
      - .offset:         120
        .size:           4
        .value_kind:     by_value
      - .offset:         124
        .size:           4
        .value_kind:     by_value
    .group_segment_fixed_size: 6144
    .kernarg_segment_align: 8
    .kernarg_segment_size: 128
    .language:       OpenCL C
    .language_version:
      - 2
      - 0
    .max_flat_workgroup_size: 256
    .name:           _ZN12_GLOBAL__N_120geam_min_plus_kernelIf15HIP_vector_typeIfLj2EES2_Li8ELi32ELi64ELi128ELi4ELi4ELi64ELi4ELi64ELc84ELc78ELb1ELb0ELb0EfKffEEviiiT16_PT17_ilS6_ilS4_S6_ilPT18_ili26rocblas_geam_ex_operation_
    .private_segment_fixed_size: 0
    .sgpr_count:     25
    .sgpr_spill_count: 0
    .symbol:         _ZN12_GLOBAL__N_120geam_min_plus_kernelIf15HIP_vector_typeIfLj2EES2_Li8ELi32ELi64ELi128ELi4ELi4ELi64ELi4ELi64ELc84ELc78ELb1ELb0ELb0EfKffEEviiiT16_PT17_ilS6_ilS4_S6_ilPT18_ili26rocblas_geam_ex_operation_.kd
    .uniform_work_group_size: 1
    .uses_dynamic_stack: false
    .vgpr_count:     168
    .vgpr_spill_count: 0
    .wavefront_size: 32
    .workgroup_processor_mode: 1
  - .args:
      - .offset:         0
        .size:           4
        .value_kind:     by_value
      - .offset:         4
        .size:           4
        .value_kind:     by_value
      - .offset:         8
        .size:           4
        .value_kind:     by_value
      - .offset:         12
        .size:           4
        .value_kind:     by_value
      - .address_space:  global
        .offset:         16
        .size:           8
        .value_kind:     global_buffer
      - .offset:         24
        .size:           4
        .value_kind:     by_value
      - .offset:         32
        .size:           8
        .value_kind:     by_value
      - .address_space:  global
        .offset:         40
        .size:           8
        .value_kind:     global_buffer
      - .offset:         48
        .size:           4
        .value_kind:     by_value
      - .offset:         56
        .size:           8
        .value_kind:     by_value
      - .offset:         64
        .size:           4
        .value_kind:     by_value
      - .address_space:  global
        .offset:         72
        .size:           8
        .value_kind:     global_buffer
      - .offset:         80
        .size:           4
        .value_kind:     by_value
      - .offset:         88
        .size:           8
        .value_kind:     by_value
      - .address_space:  global
        .offset:         96
        .size:           8
        .value_kind:     global_buffer
      - .offset:         104
        .size:           4
        .value_kind:     by_value
      - .offset:         112
        .size:           8
        .value_kind:     by_value
      - .offset:         120
        .size:           4
        .value_kind:     by_value
      - .offset:         124
        .size:           4
        .value_kind:     by_value
    .group_segment_fixed_size: 6144
    .kernarg_segment_align: 8
    .kernarg_segment_size: 128
    .language:       OpenCL C
    .language_version:
      - 2
      - 0
    .max_flat_workgroup_size: 256
    .name:           _ZN12_GLOBAL__N_120geam_min_plus_kernelIf15HIP_vector_typeIfLj2EES2_Li8ELi32ELi64ELi128ELi4ELi4ELi64ELi4ELi64ELc84ELc78ELb0ELb0ELb0EfKffEEviiiT16_PT17_ilS6_ilS4_S6_ilPT18_ili26rocblas_geam_ex_operation_
    .private_segment_fixed_size: 0
    .sgpr_count:     26
    .sgpr_spill_count: 0
    .symbol:         _ZN12_GLOBAL__N_120geam_min_plus_kernelIf15HIP_vector_typeIfLj2EES2_Li8ELi32ELi64ELi128ELi4ELi4ELi64ELi4ELi64ELc84ELc78ELb0ELb0ELb0EfKffEEviiiT16_PT17_ilS6_ilS4_S6_ilPT18_ili26rocblas_geam_ex_operation_.kd
    .uniform_work_group_size: 1
    .uses_dynamic_stack: false
    .vgpr_count:     224
    .vgpr_spill_count: 0
    .wavefront_size: 32
    .workgroup_processor_mode: 1
  - .args:
      - .offset:         0
        .size:           4
        .value_kind:     by_value
      - .offset:         4
        .size:           4
        .value_kind:     by_value
      - .offset:         8
        .size:           4
        .value_kind:     by_value
      - .address_space:  global
        .offset:         16
        .size:           8
        .value_kind:     global_buffer
      - .address_space:  global
        .offset:         24
        .size:           8
        .value_kind:     global_buffer
      - .offset:         32
        .size:           4
        .value_kind:     by_value
      - .offset:         40
        .size:           8
        .value_kind:     by_value
      - .address_space:  global
        .offset:         48
        .size:           8
        .value_kind:     global_buffer
      - .offset:         56
        .size:           4
        .value_kind:     by_value
      - .offset:         64
        .size:           8
        .value_kind:     by_value
      - .address_space:  global
        .offset:         72
        .size:           8
        .value_kind:     global_buffer
      - .address_space:  global
        .offset:         80
        .size:           8
        .value_kind:     global_buffer
      - .offset:         88
        .size:           4
        .value_kind:     by_value
      - .offset:         96
        .size:           8
        .value_kind:     by_value
      - .address_space:  global
        .offset:         104
        .size:           8
        .value_kind:     global_buffer
      - .offset:         112
        .size:           4
        .value_kind:     by_value
      - .offset:         120
        .size:           8
        .value_kind:     by_value
      - .offset:         128
        .size:           4
        .value_kind:     by_value
      - .offset:         132
        .size:           4
        .value_kind:     by_value
    .group_segment_fixed_size: 6144
    .kernarg_segment_align: 8
    .kernarg_segment_size: 136
    .language:       OpenCL C
    .language_version:
      - 2
      - 0
    .max_flat_workgroup_size: 256
    .name:           _ZN12_GLOBAL__N_120geam_min_plus_kernelIf15HIP_vector_typeIfLj2EES2_Li8ELi32ELi64ELi128ELi4ELi4ELi64ELi4ELi64ELc84ELc78ELb0ELb1ELb0EPKfS3_fEEviiiT16_PT17_ilS7_ilS5_S7_ilPT18_ili26rocblas_geam_ex_operation_
    .private_segment_fixed_size: 0
    .sgpr_count:     32
    .sgpr_spill_count: 0
    .symbol:         _ZN12_GLOBAL__N_120geam_min_plus_kernelIf15HIP_vector_typeIfLj2EES2_Li8ELi32ELi64ELi128ELi4ELi4ELi64ELi4ELi64ELc84ELc78ELb0ELb1ELb0EPKfS3_fEEviiiT16_PT17_ilS7_ilS5_S7_ilPT18_ili26rocblas_geam_ex_operation_.kd
    .uniform_work_group_size: 1
    .uses_dynamic_stack: false
    .vgpr_count:     227
    .vgpr_spill_count: 0
    .wavefront_size: 32
    .workgroup_processor_mode: 1
  - .args:
      - .offset:         0
        .size:           4
        .value_kind:     by_value
      - .offset:         4
        .size:           4
        .value_kind:     by_value
      - .offset:         8
        .size:           4
        .value_kind:     by_value
      - .offset:         12
        .size:           4
        .value_kind:     by_value
      - .address_space:  global
        .offset:         16
        .size:           8
        .value_kind:     global_buffer
      - .offset:         24
        .size:           4
        .value_kind:     by_value
      - .offset:         32
        .size:           8
        .value_kind:     by_value
      - .address_space:  global
        .offset:         40
        .size:           8
        .value_kind:     global_buffer
      - .offset:         48
        .size:           4
        .value_kind:     by_value
      - .offset:         56
        .size:           8
        .value_kind:     by_value
      - .offset:         64
        .size:           4
        .value_kind:     by_value
      - .address_space:  global
        .offset:         72
        .size:           8
        .value_kind:     global_buffer
      - .offset:         80
        .size:           4
        .value_kind:     by_value
      - .offset:         88
        .size:           8
        .value_kind:     by_value
      - .address_space:  global
        .offset:         96
        .size:           8
        .value_kind:     global_buffer
      - .offset:         104
        .size:           4
        .value_kind:     by_value
      - .offset:         112
        .size:           8
        .value_kind:     by_value
      - .offset:         120
        .size:           4
        .value_kind:     by_value
      - .offset:         124
        .size:           4
        .value_kind:     by_value
    .group_segment_fixed_size: 6144
    .kernarg_segment_align: 8
    .kernarg_segment_size: 128
    .language:       OpenCL C
    .language_version:
      - 2
      - 0
    .max_flat_workgroup_size: 256
    .name:           _ZN12_GLOBAL__N_120geam_min_plus_kernelIf15HIP_vector_typeIfLj2EES2_Li8ELi32ELi64ELi128ELi4ELi4ELi64ELi4ELi64ELc84ELc78ELb1ELb1ELb0EfKffEEviiiT16_PT17_ilS6_ilS4_S6_ilPT18_ili26rocblas_geam_ex_operation_
    .private_segment_fixed_size: 0
    .sgpr_count:     30
    .sgpr_spill_count: 0
    .symbol:         _ZN12_GLOBAL__N_120geam_min_plus_kernelIf15HIP_vector_typeIfLj2EES2_Li8ELi32ELi64ELi128ELi4ELi4ELi64ELi4ELi64ELc84ELc78ELb1ELb1ELb0EfKffEEviiiT16_PT17_ilS6_ilS4_S6_ilPT18_ili26rocblas_geam_ex_operation_.kd
    .uniform_work_group_size: 1
    .uses_dynamic_stack: false
    .vgpr_count:     226
    .vgpr_spill_count: 0
    .wavefront_size: 32
    .workgroup_processor_mode: 1
  - .args:
      - .offset:         0
        .size:           4
        .value_kind:     by_value
      - .offset:         4
        .size:           4
        .value_kind:     by_value
      - .offset:         8
        .size:           4
        .value_kind:     by_value
      - .offset:         12
        .size:           4
        .value_kind:     by_value
      - .address_space:  global
        .offset:         16
        .size:           8
        .value_kind:     global_buffer
      - .offset:         24
        .size:           4
        .value_kind:     by_value
      - .offset:         32
        .size:           8
        .value_kind:     by_value
      - .address_space:  global
        .offset:         40
        .size:           8
        .value_kind:     global_buffer
      - .offset:         48
        .size:           4
        .value_kind:     by_value
      - .offset:         56
        .size:           8
        .value_kind:     by_value
      - .offset:         64
        .size:           4
        .value_kind:     by_value
      - .address_space:  global
        .offset:         72
        .size:           8
        .value_kind:     global_buffer
      - .offset:         80
        .size:           4
        .value_kind:     by_value
      - .offset:         88
        .size:           8
        .value_kind:     by_value
      - .address_space:  global
        .offset:         96
        .size:           8
        .value_kind:     global_buffer
      - .offset:         104
        .size:           4
        .value_kind:     by_value
      - .offset:         112
        .size:           8
        .value_kind:     by_value
      - .offset:         120
        .size:           4
        .value_kind:     by_value
      - .offset:         124
        .size:           4
        .value_kind:     by_value
    .group_segment_fixed_size: 6144
    .kernarg_segment_align: 8
    .kernarg_segment_size: 128
    .language:       OpenCL C
    .language_version:
      - 2
      - 0
    .max_flat_workgroup_size: 256
    .name:           _ZN12_GLOBAL__N_120geam_min_plus_kernelIf15HIP_vector_typeIfLj2EES2_Li8ELi32ELi64ELi128ELi4ELi4ELi64ELi4ELi64ELc84ELc78ELb0ELb1ELb0EfKffEEviiiT16_PT17_ilS6_ilS4_S6_ilPT18_ili26rocblas_geam_ex_operation_
    .private_segment_fixed_size: 0
    .sgpr_count:     33
    .sgpr_spill_count: 0
    .symbol:         _ZN12_GLOBAL__N_120geam_min_plus_kernelIf15HIP_vector_typeIfLj2EES2_Li8ELi32ELi64ELi128ELi4ELi4ELi64ELi4ELi64ELc84ELc78ELb0ELb1ELb0EfKffEEviiiT16_PT17_ilS6_ilS4_S6_ilPT18_ili26rocblas_geam_ex_operation_.kd
    .uniform_work_group_size: 1
    .uses_dynamic_stack: false
    .vgpr_count:     227
    .vgpr_spill_count: 0
    .wavefront_size: 32
    .workgroup_processor_mode: 1
  - .args:
      - .offset:         0
        .size:           4
        .value_kind:     by_value
      - .offset:         4
        .size:           4
        .value_kind:     by_value
      - .offset:         8
        .size:           4
        .value_kind:     by_value
      - .address_space:  global
        .offset:         16
        .size:           8
        .value_kind:     global_buffer
      - .address_space:  global
        .offset:         24
        .size:           8
        .value_kind:     global_buffer
      - .offset:         32
        .size:           4
        .value_kind:     by_value
      - .offset:         40
        .size:           8
        .value_kind:     by_value
      - .address_space:  global
        .offset:         48
        .size:           8
        .value_kind:     global_buffer
      - .offset:         56
        .size:           4
        .value_kind:     by_value
      - .offset:         64
        .size:           8
        .value_kind:     by_value
      - .address_space:  global
        .offset:         72
        .size:           8
        .value_kind:     global_buffer
      - .address_space:  global
        .offset:         80
        .size:           8
        .value_kind:     global_buffer
      - .offset:         88
        .size:           4
        .value_kind:     by_value
      - .offset:         96
        .size:           8
        .value_kind:     by_value
      - .address_space:  global
        .offset:         104
        .size:           8
        .value_kind:     global_buffer
      - .offset:         112
        .size:           4
        .value_kind:     by_value
      - .offset:         120
        .size:           8
        .value_kind:     by_value
      - .offset:         128
        .size:           4
        .value_kind:     by_value
      - .offset:         132
        .size:           4
        .value_kind:     by_value
    .group_segment_fixed_size: 6144
    .kernarg_segment_align: 8
    .kernarg_segment_size: 136
    .language:       OpenCL C
    .language_version:
      - 2
      - 0
    .max_flat_workgroup_size: 256
    .name:           _ZN12_GLOBAL__N_120geam_min_plus_kernelIf15HIP_vector_typeIfLj2EES2_Li8ELi32ELi64ELi128ELi4ELi64ELi4ELi64ELi4ELc78ELc84ELb0ELb0ELb0EPKfS3_fEEviiiT16_PT17_ilS7_ilS5_S7_ilPT18_ili26rocblas_geam_ex_operation_
    .private_segment_fixed_size: 0
    .sgpr_count:     26
    .sgpr_spill_count: 0
    .symbol:         _ZN12_GLOBAL__N_120geam_min_plus_kernelIf15HIP_vector_typeIfLj2EES2_Li8ELi32ELi64ELi128ELi4ELi64ELi4ELi64ELi4ELc78ELc84ELb0ELb0ELb0EPKfS3_fEEviiiT16_PT17_ilS7_ilS5_S7_ilPT18_ili26rocblas_geam_ex_operation_.kd
    .uniform_work_group_size: 1
    .uses_dynamic_stack: false
    .vgpr_count:     229
    .vgpr_spill_count: 0
    .wavefront_size: 32
    .workgroup_processor_mode: 1
  - .args:
      - .offset:         0
        .size:           4
        .value_kind:     by_value
      - .offset:         4
        .size:           4
        .value_kind:     by_value
      - .offset:         8
        .size:           4
        .value_kind:     by_value
      - .offset:         12
        .size:           4
        .value_kind:     by_value
      - .address_space:  global
        .offset:         16
        .size:           8
        .value_kind:     global_buffer
      - .offset:         24
        .size:           4
        .value_kind:     by_value
      - .offset:         32
        .size:           8
        .value_kind:     by_value
      - .address_space:  global
        .offset:         40
        .size:           8
        .value_kind:     global_buffer
      - .offset:         48
        .size:           4
        .value_kind:     by_value
      - .offset:         56
        .size:           8
        .value_kind:     by_value
      - .offset:         64
        .size:           4
        .value_kind:     by_value
      - .address_space:  global
        .offset:         72
        .size:           8
        .value_kind:     global_buffer
      - .offset:         80
        .size:           4
        .value_kind:     by_value
      - .offset:         88
        .size:           8
        .value_kind:     by_value
      - .address_space:  global
        .offset:         96
        .size:           8
        .value_kind:     global_buffer
      - .offset:         104
        .size:           4
        .value_kind:     by_value
      - .offset:         112
        .size:           8
        .value_kind:     by_value
      - .offset:         120
        .size:           4
        .value_kind:     by_value
      - .offset:         124
        .size:           4
        .value_kind:     by_value
    .group_segment_fixed_size: 6144
    .kernarg_segment_align: 8
    .kernarg_segment_size: 128
    .language:       OpenCL C
    .language_version:
      - 2
      - 0
    .max_flat_workgroup_size: 256
    .name:           _ZN12_GLOBAL__N_120geam_min_plus_kernelIf15HIP_vector_typeIfLj2EES2_Li8ELi32ELi64ELi128ELi4ELi64ELi4ELi64ELi4ELc78ELc84ELb1ELb0ELb0EfKffEEviiiT16_PT17_ilS6_ilS4_S6_ilPT18_ili26rocblas_geam_ex_operation_
    .private_segment_fixed_size: 0
    .sgpr_count:     26
    .sgpr_spill_count: 0
    .symbol:         _ZN12_GLOBAL__N_120geam_min_plus_kernelIf15HIP_vector_typeIfLj2EES2_Li8ELi32ELi64ELi128ELi4ELi64ELi4ELi64ELi4ELc78ELc84ELb1ELb0ELb0EfKffEEviiiT16_PT17_ilS6_ilS4_S6_ilPT18_ili26rocblas_geam_ex_operation_.kd
    .uniform_work_group_size: 1
    .uses_dynamic_stack: false
    .vgpr_count:     223
    .vgpr_spill_count: 0
    .wavefront_size: 32
    .workgroup_processor_mode: 1
  - .args:
      - .offset:         0
        .size:           4
        .value_kind:     by_value
      - .offset:         4
        .size:           4
        .value_kind:     by_value
      - .offset:         8
        .size:           4
        .value_kind:     by_value
      - .offset:         12
        .size:           4
        .value_kind:     by_value
      - .address_space:  global
        .offset:         16
        .size:           8
        .value_kind:     global_buffer
      - .offset:         24
        .size:           4
        .value_kind:     by_value
      - .offset:         32
        .size:           8
        .value_kind:     by_value
      - .address_space:  global
        .offset:         40
        .size:           8
        .value_kind:     global_buffer
      - .offset:         48
        .size:           4
        .value_kind:     by_value
      - .offset:         56
        .size:           8
        .value_kind:     by_value
      - .offset:         64
        .size:           4
        .value_kind:     by_value
      - .address_space:  global
        .offset:         72
        .size:           8
        .value_kind:     global_buffer
      - .offset:         80
        .size:           4
        .value_kind:     by_value
      - .offset:         88
        .size:           8
        .value_kind:     by_value
      - .address_space:  global
        .offset:         96
        .size:           8
        .value_kind:     global_buffer
      - .offset:         104
        .size:           4
        .value_kind:     by_value
      - .offset:         112
        .size:           8
        .value_kind:     by_value
      - .offset:         120
        .size:           4
        .value_kind:     by_value
      - .offset:         124
        .size:           4
        .value_kind:     by_value
    .group_segment_fixed_size: 6144
    .kernarg_segment_align: 8
    .kernarg_segment_size: 128
    .language:       OpenCL C
    .language_version:
      - 2
      - 0
    .max_flat_workgroup_size: 256
    .name:           _ZN12_GLOBAL__N_120geam_min_plus_kernelIf15HIP_vector_typeIfLj2EES2_Li8ELi32ELi64ELi128ELi4ELi64ELi4ELi64ELi4ELc78ELc84ELb0ELb0ELb0EfKffEEviiiT16_PT17_ilS6_ilS4_S6_ilPT18_ili26rocblas_geam_ex_operation_
    .private_segment_fixed_size: 0
    .sgpr_count:     27
    .sgpr_spill_count: 0
    .symbol:         _ZN12_GLOBAL__N_120geam_min_plus_kernelIf15HIP_vector_typeIfLj2EES2_Li8ELi32ELi64ELi128ELi4ELi64ELi4ELi64ELi4ELc78ELc84ELb0ELb0ELb0EfKffEEviiiT16_PT17_ilS6_ilS4_S6_ilPT18_ili26rocblas_geam_ex_operation_.kd
    .uniform_work_group_size: 1
    .uses_dynamic_stack: false
    .vgpr_count:     229
    .vgpr_spill_count: 0
    .wavefront_size: 32
    .workgroup_processor_mode: 1
  - .args:
      - .offset:         0
        .size:           4
        .value_kind:     by_value
      - .offset:         4
        .size:           4
        .value_kind:     by_value
      - .offset:         8
        .size:           4
        .value_kind:     by_value
      - .address_space:  global
        .offset:         16
        .size:           8
        .value_kind:     global_buffer
      - .address_space:  global
        .offset:         24
        .size:           8
        .value_kind:     global_buffer
      - .offset:         32
        .size:           4
        .value_kind:     by_value
      - .offset:         40
        .size:           8
        .value_kind:     by_value
      - .address_space:  global
        .offset:         48
        .size:           8
        .value_kind:     global_buffer
      - .offset:         56
        .size:           4
        .value_kind:     by_value
      - .offset:         64
        .size:           8
        .value_kind:     by_value
      - .address_space:  global
        .offset:         72
        .size:           8
        .value_kind:     global_buffer
      - .address_space:  global
        .offset:         80
        .size:           8
        .value_kind:     global_buffer
      - .offset:         88
        .size:           4
        .value_kind:     by_value
      - .offset:         96
        .size:           8
        .value_kind:     by_value
      - .address_space:  global
        .offset:         104
        .size:           8
        .value_kind:     global_buffer
      - .offset:         112
        .size:           4
        .value_kind:     by_value
      - .offset:         120
        .size:           8
        .value_kind:     by_value
      - .offset:         128
        .size:           4
        .value_kind:     by_value
      - .offset:         132
        .size:           4
        .value_kind:     by_value
    .group_segment_fixed_size: 6144
    .kernarg_segment_align: 8
    .kernarg_segment_size: 136
    .language:       OpenCL C
    .language_version:
      - 2
      - 0
    .max_flat_workgroup_size: 256
    .name:           _ZN12_GLOBAL__N_120geam_min_plus_kernelIf15HIP_vector_typeIfLj2EES2_Li8ELi32ELi64ELi128ELi4ELi64ELi4ELi64ELi4ELc78ELc84ELb0ELb1ELb0EPKfS3_fEEviiiT16_PT17_ilS7_ilS5_S7_ilPT18_ili26rocblas_geam_ex_operation_
    .private_segment_fixed_size: 0
    .sgpr_count:     32
    .sgpr_spill_count: 0
    .symbol:         _ZN12_GLOBAL__N_120geam_min_plus_kernelIf15HIP_vector_typeIfLj2EES2_Li8ELi32ELi64ELi128ELi4ELi64ELi4ELi64ELi4ELc78ELc84ELb0ELb1ELb0EPKfS3_fEEviiiT16_PT17_ilS7_ilS5_S7_ilPT18_ili26rocblas_geam_ex_operation_.kd
    .uniform_work_group_size: 1
    .uses_dynamic_stack: false
    .vgpr_count:     230
    .vgpr_spill_count: 0
    .wavefront_size: 32
    .workgroup_processor_mode: 1
  - .args:
      - .offset:         0
        .size:           4
        .value_kind:     by_value
      - .offset:         4
        .size:           4
        .value_kind:     by_value
      - .offset:         8
        .size:           4
        .value_kind:     by_value
      - .offset:         12
        .size:           4
        .value_kind:     by_value
      - .address_space:  global
        .offset:         16
        .size:           8
        .value_kind:     global_buffer
      - .offset:         24
        .size:           4
        .value_kind:     by_value
      - .offset:         32
        .size:           8
        .value_kind:     by_value
      - .address_space:  global
        .offset:         40
        .size:           8
        .value_kind:     global_buffer
      - .offset:         48
        .size:           4
        .value_kind:     by_value
      - .offset:         56
        .size:           8
        .value_kind:     by_value
      - .offset:         64
        .size:           4
        .value_kind:     by_value
      - .address_space:  global
        .offset:         72
        .size:           8
        .value_kind:     global_buffer
      - .offset:         80
        .size:           4
        .value_kind:     by_value
      - .offset:         88
        .size:           8
        .value_kind:     by_value
      - .address_space:  global
        .offset:         96
        .size:           8
        .value_kind:     global_buffer
      - .offset:         104
        .size:           4
        .value_kind:     by_value
      - .offset:         112
        .size:           8
        .value_kind:     by_value
      - .offset:         120
        .size:           4
        .value_kind:     by_value
      - .offset:         124
        .size:           4
        .value_kind:     by_value
    .group_segment_fixed_size: 6144
    .kernarg_segment_align: 8
    .kernarg_segment_size: 128
    .language:       OpenCL C
    .language_version:
      - 2
      - 0
    .max_flat_workgroup_size: 256
    .name:           _ZN12_GLOBAL__N_120geam_min_plus_kernelIf15HIP_vector_typeIfLj2EES2_Li8ELi32ELi64ELi128ELi4ELi64ELi4ELi64ELi4ELc78ELc84ELb1ELb1ELb0EfKffEEviiiT16_PT17_ilS6_ilS4_S6_ilPT18_ili26rocblas_geam_ex_operation_
    .private_segment_fixed_size: 0
    .sgpr_count:     31
    .sgpr_spill_count: 0
    .symbol:         _ZN12_GLOBAL__N_120geam_min_plus_kernelIf15HIP_vector_typeIfLj2EES2_Li8ELi32ELi64ELi128ELi4ELi64ELi4ELi64ELi4ELc78ELc84ELb1ELb1ELb0EfKffEEviiiT16_PT17_ilS6_ilS4_S6_ilPT18_ili26rocblas_geam_ex_operation_.kd
    .uniform_work_group_size: 1
    .uses_dynamic_stack: false
    .vgpr_count:     232
    .vgpr_spill_count: 0
    .wavefront_size: 32
    .workgroup_processor_mode: 1
  - .args:
      - .offset:         0
        .size:           4
        .value_kind:     by_value
      - .offset:         4
        .size:           4
        .value_kind:     by_value
      - .offset:         8
        .size:           4
        .value_kind:     by_value
      - .offset:         12
        .size:           4
        .value_kind:     by_value
      - .address_space:  global
        .offset:         16
        .size:           8
        .value_kind:     global_buffer
      - .offset:         24
        .size:           4
        .value_kind:     by_value
      - .offset:         32
        .size:           8
        .value_kind:     by_value
      - .address_space:  global
        .offset:         40
        .size:           8
        .value_kind:     global_buffer
      - .offset:         48
        .size:           4
        .value_kind:     by_value
      - .offset:         56
        .size:           8
        .value_kind:     by_value
      - .offset:         64
        .size:           4
        .value_kind:     by_value
      - .address_space:  global
        .offset:         72
        .size:           8
        .value_kind:     global_buffer
      - .offset:         80
        .size:           4
        .value_kind:     by_value
      - .offset:         88
        .size:           8
        .value_kind:     by_value
      - .address_space:  global
        .offset:         96
        .size:           8
        .value_kind:     global_buffer
      - .offset:         104
        .size:           4
        .value_kind:     by_value
      - .offset:         112
        .size:           8
        .value_kind:     by_value
      - .offset:         120
        .size:           4
        .value_kind:     by_value
      - .offset:         124
        .size:           4
        .value_kind:     by_value
    .group_segment_fixed_size: 6144
    .kernarg_segment_align: 8
    .kernarg_segment_size: 128
    .language:       OpenCL C
    .language_version:
      - 2
      - 0
    .max_flat_workgroup_size: 256
    .name:           _ZN12_GLOBAL__N_120geam_min_plus_kernelIf15HIP_vector_typeIfLj2EES2_Li8ELi32ELi64ELi128ELi4ELi64ELi4ELi64ELi4ELc78ELc84ELb0ELb1ELb0EfKffEEviiiT16_PT17_ilS6_ilS4_S6_ilPT18_ili26rocblas_geam_ex_operation_
    .private_segment_fixed_size: 0
    .sgpr_count:     34
    .sgpr_spill_count: 0
    .symbol:         _ZN12_GLOBAL__N_120geam_min_plus_kernelIf15HIP_vector_typeIfLj2EES2_Li8ELi32ELi64ELi128ELi4ELi64ELi4ELi64ELi4ELc78ELc84ELb0ELb1ELb0EfKffEEviiiT16_PT17_ilS6_ilS4_S6_ilPT18_ili26rocblas_geam_ex_operation_.kd
    .uniform_work_group_size: 1
    .uses_dynamic_stack: false
    .vgpr_count:     230
    .vgpr_spill_count: 0
    .wavefront_size: 32
    .workgroup_processor_mode: 1
  - .args:
      - .offset:         0
        .size:           4
        .value_kind:     by_value
      - .offset:         4
        .size:           4
        .value_kind:     by_value
      - .offset:         8
        .size:           4
        .value_kind:     by_value
      - .address_space:  global
        .offset:         16
        .size:           8
        .value_kind:     global_buffer
      - .address_space:  global
        .offset:         24
        .size:           8
        .value_kind:     global_buffer
      - .offset:         32
        .size:           4
        .value_kind:     by_value
      - .offset:         40
        .size:           8
        .value_kind:     by_value
      - .address_space:  global
        .offset:         48
        .size:           8
        .value_kind:     global_buffer
      - .offset:         56
        .size:           4
        .value_kind:     by_value
      - .offset:         64
        .size:           8
        .value_kind:     by_value
      - .address_space:  global
        .offset:         72
        .size:           8
        .value_kind:     global_buffer
      - .address_space:  global
        .offset:         80
        .size:           8
        .value_kind:     global_buffer
      - .offset:         88
        .size:           4
        .value_kind:     by_value
      - .offset:         96
        .size:           8
        .value_kind:     by_value
      - .address_space:  global
        .offset:         104
        .size:           8
        .value_kind:     global_buffer
      - .offset:         112
        .size:           4
        .value_kind:     by_value
      - .offset:         120
        .size:           8
        .value_kind:     by_value
      - .offset:         128
        .size:           4
        .value_kind:     by_value
      - .offset:         132
        .size:           4
        .value_kind:     by_value
    .group_segment_fixed_size: 6144
    .kernarg_segment_align: 8
    .kernarg_segment_size: 136
    .language:       OpenCL C
    .language_version:
      - 2
      - 0
    .max_flat_workgroup_size: 256
    .name:           _ZN12_GLOBAL__N_120geam_min_plus_kernelIf15HIP_vector_typeIfLj2EES2_Li8ELi32ELi64ELi128ELi4ELi4ELi64ELi64ELi4ELc84ELc84ELb0ELb0ELb0EPKfS3_fEEviiiT16_PT17_ilS7_ilS5_S7_ilPT18_ili26rocblas_geam_ex_operation_
    .private_segment_fixed_size: 0
    .sgpr_count:     25
    .sgpr_spill_count: 0
    .symbol:         _ZN12_GLOBAL__N_120geam_min_plus_kernelIf15HIP_vector_typeIfLj2EES2_Li8ELi32ELi64ELi128ELi4ELi4ELi64ELi64ELi4ELc84ELc84ELb0ELb0ELb0EPKfS3_fEEviiiT16_PT17_ilS7_ilS5_S7_ilPT18_ili26rocblas_geam_ex_operation_.kd
    .uniform_work_group_size: 1
    .uses_dynamic_stack: false
    .vgpr_count:     225
    .vgpr_spill_count: 0
    .wavefront_size: 32
    .workgroup_processor_mode: 1
  - .args:
      - .offset:         0
        .size:           4
        .value_kind:     by_value
      - .offset:         4
        .size:           4
        .value_kind:     by_value
      - .offset:         8
        .size:           4
        .value_kind:     by_value
      - .offset:         12
        .size:           4
        .value_kind:     by_value
      - .address_space:  global
        .offset:         16
        .size:           8
        .value_kind:     global_buffer
      - .offset:         24
        .size:           4
        .value_kind:     by_value
      - .offset:         32
        .size:           8
        .value_kind:     by_value
      - .address_space:  global
        .offset:         40
        .size:           8
        .value_kind:     global_buffer
      - .offset:         48
        .size:           4
        .value_kind:     by_value
      - .offset:         56
        .size:           8
        .value_kind:     by_value
      - .offset:         64
        .size:           4
        .value_kind:     by_value
      - .address_space:  global
        .offset:         72
        .size:           8
        .value_kind:     global_buffer
      - .offset:         80
        .size:           4
        .value_kind:     by_value
      - .offset:         88
        .size:           8
        .value_kind:     by_value
      - .address_space:  global
        .offset:         96
        .size:           8
        .value_kind:     global_buffer
      - .offset:         104
        .size:           4
        .value_kind:     by_value
      - .offset:         112
        .size:           8
        .value_kind:     by_value
      - .offset:         120
        .size:           4
        .value_kind:     by_value
      - .offset:         124
        .size:           4
        .value_kind:     by_value
    .group_segment_fixed_size: 6144
    .kernarg_segment_align: 8
    .kernarg_segment_size: 128
    .language:       OpenCL C
    .language_version:
      - 2
      - 0
    .max_flat_workgroup_size: 256
    .name:           _ZN12_GLOBAL__N_120geam_min_plus_kernelIf15HIP_vector_typeIfLj2EES2_Li8ELi32ELi64ELi128ELi4ELi4ELi64ELi64ELi4ELc84ELc84ELb1ELb0ELb0EfKffEEviiiT16_PT17_ilS6_ilS4_S6_ilPT18_ili26rocblas_geam_ex_operation_
    .private_segment_fixed_size: 0
    .sgpr_count:     25
    .sgpr_spill_count: 0
    .symbol:         _ZN12_GLOBAL__N_120geam_min_plus_kernelIf15HIP_vector_typeIfLj2EES2_Li8ELi32ELi64ELi128ELi4ELi4ELi64ELi64ELi4ELc84ELc84ELb1ELb0ELb0EfKffEEviiiT16_PT17_ilS6_ilS4_S6_ilPT18_ili26rocblas_geam_ex_operation_.kd
    .uniform_work_group_size: 1
    .uses_dynamic_stack: false
    .vgpr_count:     224
    .vgpr_spill_count: 0
    .wavefront_size: 32
    .workgroup_processor_mode: 1
  - .args:
      - .offset:         0
        .size:           4
        .value_kind:     by_value
      - .offset:         4
        .size:           4
        .value_kind:     by_value
      - .offset:         8
        .size:           4
        .value_kind:     by_value
      - .offset:         12
        .size:           4
        .value_kind:     by_value
      - .address_space:  global
        .offset:         16
        .size:           8
        .value_kind:     global_buffer
      - .offset:         24
        .size:           4
        .value_kind:     by_value
      - .offset:         32
        .size:           8
        .value_kind:     by_value
      - .address_space:  global
        .offset:         40
        .size:           8
        .value_kind:     global_buffer
      - .offset:         48
        .size:           4
        .value_kind:     by_value
      - .offset:         56
        .size:           8
        .value_kind:     by_value
      - .offset:         64
        .size:           4
        .value_kind:     by_value
      - .address_space:  global
        .offset:         72
        .size:           8
        .value_kind:     global_buffer
      - .offset:         80
        .size:           4
        .value_kind:     by_value
      - .offset:         88
        .size:           8
        .value_kind:     by_value
      - .address_space:  global
        .offset:         96
        .size:           8
        .value_kind:     global_buffer
      - .offset:         104
        .size:           4
        .value_kind:     by_value
      - .offset:         112
        .size:           8
        .value_kind:     by_value
      - .offset:         120
        .size:           4
        .value_kind:     by_value
      - .offset:         124
        .size:           4
        .value_kind:     by_value
    .group_segment_fixed_size: 6144
    .kernarg_segment_align: 8
    .kernarg_segment_size: 128
    .language:       OpenCL C
    .language_version:
      - 2
      - 0
    .max_flat_workgroup_size: 256
    .name:           _ZN12_GLOBAL__N_120geam_min_plus_kernelIf15HIP_vector_typeIfLj2EES2_Li8ELi32ELi64ELi128ELi4ELi4ELi64ELi64ELi4ELc84ELc84ELb0ELb0ELb0EfKffEEviiiT16_PT17_ilS6_ilS4_S6_ilPT18_ili26rocblas_geam_ex_operation_
    .private_segment_fixed_size: 0
    .sgpr_count:     26
    .sgpr_spill_count: 0
    .symbol:         _ZN12_GLOBAL__N_120geam_min_plus_kernelIf15HIP_vector_typeIfLj2EES2_Li8ELi32ELi64ELi128ELi4ELi4ELi64ELi64ELi4ELc84ELc84ELb0ELb0ELb0EfKffEEviiiT16_PT17_ilS6_ilS4_S6_ilPT18_ili26rocblas_geam_ex_operation_.kd
    .uniform_work_group_size: 1
    .uses_dynamic_stack: false
    .vgpr_count:     225
    .vgpr_spill_count: 0
    .wavefront_size: 32
    .workgroup_processor_mode: 1
  - .args:
      - .offset:         0
        .size:           4
        .value_kind:     by_value
      - .offset:         4
        .size:           4
        .value_kind:     by_value
      - .offset:         8
        .size:           4
        .value_kind:     by_value
      - .address_space:  global
        .offset:         16
        .size:           8
        .value_kind:     global_buffer
      - .address_space:  global
        .offset:         24
        .size:           8
        .value_kind:     global_buffer
      - .offset:         32
        .size:           4
        .value_kind:     by_value
      - .offset:         40
        .size:           8
        .value_kind:     by_value
      - .address_space:  global
        .offset:         48
        .size:           8
        .value_kind:     global_buffer
      - .offset:         56
        .size:           4
        .value_kind:     by_value
      - .offset:         64
        .size:           8
        .value_kind:     by_value
      - .address_space:  global
        .offset:         72
        .size:           8
        .value_kind:     global_buffer
      - .address_space:  global
        .offset:         80
        .size:           8
        .value_kind:     global_buffer
      - .offset:         88
        .size:           4
        .value_kind:     by_value
      - .offset:         96
        .size:           8
        .value_kind:     by_value
      - .address_space:  global
        .offset:         104
        .size:           8
        .value_kind:     global_buffer
      - .offset:         112
        .size:           4
        .value_kind:     by_value
      - .offset:         120
        .size:           8
        .value_kind:     by_value
      - .offset:         128
        .size:           4
        .value_kind:     by_value
      - .offset:         132
        .size:           4
        .value_kind:     by_value
    .group_segment_fixed_size: 6144
    .kernarg_segment_align: 8
    .kernarg_segment_size: 136
    .language:       OpenCL C
    .language_version:
      - 2
      - 0
    .max_flat_workgroup_size: 256
    .name:           _ZN12_GLOBAL__N_120geam_min_plus_kernelIf15HIP_vector_typeIfLj2EES2_Li8ELi32ELi64ELi128ELi4ELi4ELi64ELi64ELi4ELc84ELc84ELb0ELb1ELb0EPKfS3_fEEviiiT16_PT17_ilS7_ilS5_S7_ilPT18_ili26rocblas_geam_ex_operation_
    .private_segment_fixed_size: 0
    .sgpr_count:     31
    .sgpr_spill_count: 0
    .symbol:         _ZN12_GLOBAL__N_120geam_min_plus_kernelIf15HIP_vector_typeIfLj2EES2_Li8ELi32ELi64ELi128ELi4ELi4ELi64ELi64ELi4ELc84ELc84ELb0ELb1ELb0EPKfS3_fEEviiiT16_PT17_ilS7_ilS5_S7_ilPT18_ili26rocblas_geam_ex_operation_.kd
    .uniform_work_group_size: 1
    .uses_dynamic_stack: false
    .vgpr_count:     226
    .vgpr_spill_count: 0
    .wavefront_size: 32
    .workgroup_processor_mode: 1
  - .args:
      - .offset:         0
        .size:           4
        .value_kind:     by_value
      - .offset:         4
        .size:           4
        .value_kind:     by_value
      - .offset:         8
        .size:           4
        .value_kind:     by_value
      - .offset:         12
        .size:           4
        .value_kind:     by_value
      - .address_space:  global
        .offset:         16
        .size:           8
        .value_kind:     global_buffer
      - .offset:         24
        .size:           4
        .value_kind:     by_value
      - .offset:         32
        .size:           8
        .value_kind:     by_value
      - .address_space:  global
        .offset:         40
        .size:           8
        .value_kind:     global_buffer
      - .offset:         48
        .size:           4
        .value_kind:     by_value
      - .offset:         56
        .size:           8
        .value_kind:     by_value
      - .offset:         64
        .size:           4
        .value_kind:     by_value
      - .address_space:  global
        .offset:         72
        .size:           8
        .value_kind:     global_buffer
      - .offset:         80
        .size:           4
        .value_kind:     by_value
      - .offset:         88
        .size:           8
        .value_kind:     by_value
      - .address_space:  global
        .offset:         96
        .size:           8
        .value_kind:     global_buffer
      - .offset:         104
        .size:           4
        .value_kind:     by_value
      - .offset:         112
        .size:           8
        .value_kind:     by_value
      - .offset:         120
        .size:           4
        .value_kind:     by_value
      - .offset:         124
        .size:           4
        .value_kind:     by_value
    .group_segment_fixed_size: 6144
    .kernarg_segment_align: 8
    .kernarg_segment_size: 128
    .language:       OpenCL C
    .language_version:
      - 2
      - 0
    .max_flat_workgroup_size: 256
    .name:           _ZN12_GLOBAL__N_120geam_min_plus_kernelIf15HIP_vector_typeIfLj2EES2_Li8ELi32ELi64ELi128ELi4ELi4ELi64ELi64ELi4ELc84ELc84ELb1ELb1ELb0EfKffEEviiiT16_PT17_ilS6_ilS4_S6_ilPT18_ili26rocblas_geam_ex_operation_
    .private_segment_fixed_size: 0
    .sgpr_count:     29
    .sgpr_spill_count: 0
    .symbol:         _ZN12_GLOBAL__N_120geam_min_plus_kernelIf15HIP_vector_typeIfLj2EES2_Li8ELi32ELi64ELi128ELi4ELi4ELi64ELi64ELi4ELc84ELc84ELb1ELb1ELb0EfKffEEviiiT16_PT17_ilS6_ilS4_S6_ilPT18_ili26rocblas_geam_ex_operation_.kd
    .uniform_work_group_size: 1
    .uses_dynamic_stack: false
    .vgpr_count:     228
    .vgpr_spill_count: 0
    .wavefront_size: 32
    .workgroup_processor_mode: 1
  - .args:
      - .offset:         0
        .size:           4
        .value_kind:     by_value
      - .offset:         4
        .size:           4
        .value_kind:     by_value
      - .offset:         8
        .size:           4
        .value_kind:     by_value
      - .offset:         12
        .size:           4
        .value_kind:     by_value
      - .address_space:  global
        .offset:         16
        .size:           8
        .value_kind:     global_buffer
      - .offset:         24
        .size:           4
        .value_kind:     by_value
      - .offset:         32
        .size:           8
        .value_kind:     by_value
      - .address_space:  global
        .offset:         40
        .size:           8
        .value_kind:     global_buffer
      - .offset:         48
        .size:           4
        .value_kind:     by_value
      - .offset:         56
        .size:           8
        .value_kind:     by_value
      - .offset:         64
        .size:           4
        .value_kind:     by_value
      - .address_space:  global
        .offset:         72
        .size:           8
        .value_kind:     global_buffer
      - .offset:         80
        .size:           4
        .value_kind:     by_value
      - .offset:         88
        .size:           8
        .value_kind:     by_value
      - .address_space:  global
        .offset:         96
        .size:           8
        .value_kind:     global_buffer
      - .offset:         104
        .size:           4
        .value_kind:     by_value
      - .offset:         112
        .size:           8
        .value_kind:     by_value
      - .offset:         120
        .size:           4
        .value_kind:     by_value
      - .offset:         124
        .size:           4
        .value_kind:     by_value
    .group_segment_fixed_size: 6144
    .kernarg_segment_align: 8
    .kernarg_segment_size: 128
    .language:       OpenCL C
    .language_version:
      - 2
      - 0
    .max_flat_workgroup_size: 256
    .name:           _ZN12_GLOBAL__N_120geam_min_plus_kernelIf15HIP_vector_typeIfLj2EES2_Li8ELi32ELi64ELi128ELi4ELi4ELi64ELi64ELi4ELc84ELc84ELb0ELb1ELb0EfKffEEviiiT16_PT17_ilS6_ilS4_S6_ilPT18_ili26rocblas_geam_ex_operation_
    .private_segment_fixed_size: 0
    .sgpr_count:     32
    .sgpr_spill_count: 0
    .symbol:         _ZN12_GLOBAL__N_120geam_min_plus_kernelIf15HIP_vector_typeIfLj2EES2_Li8ELi32ELi64ELi128ELi4ELi4ELi64ELi64ELi4ELc84ELc84ELb0ELb1ELb0EfKffEEviiiT16_PT17_ilS6_ilS4_S6_ilPT18_ili26rocblas_geam_ex_operation_.kd
    .uniform_work_group_size: 1
    .uses_dynamic_stack: false
    .vgpr_count:     226
    .vgpr_spill_count: 0
    .wavefront_size: 32
    .workgroup_processor_mode: 1
  - .args:
      - .offset:         0
        .size:           4
        .value_kind:     by_value
      - .offset:         4
        .size:           4
        .value_kind:     by_value
      - .offset:         8
        .size:           8
        .value_kind:     by_value
      - .address_space:  global
        .offset:         16
        .size:           8
        .value_kind:     global_buffer
      - .offset:         24
        .size:           8
        .value_kind:     by_value
      - .offset:         32
        .size:           4
        .value_kind:     by_value
      - .offset:         40
        .size:           8
        .value_kind:     by_value
      - .address_space:  global
        .offset:         48
        .size:           8
        .value_kind:     global_buffer
      - .offset:         56
        .size:           8
        .value_kind:     by_value
      - .offset:         64
        .size:           4
        .value_kind:     by_value
      - .offset:         72
        .size:           8
        .value_kind:     by_value
    .group_segment_fixed_size: 0
    .kernarg_segment_align: 8
    .kernarg_segment_size: 80
    .language:       OpenCL C
    .language_version:
      - 2
      - 0
    .max_flat_workgroup_size: 1024
    .name:           _ZN12_GLOBAL__N_120geam_ex_scale_kernelILi32ELi32EddPKPKdPKPdEEviiT2_T3_lilT4_lil
    .private_segment_fixed_size: 0
    .sgpr_count:     20
    .sgpr_spill_count: 0
    .symbol:         _ZN12_GLOBAL__N_120geam_ex_scale_kernelILi32ELi32EddPKPKdPKPdEEviiT2_T3_lilT4_lil.kd
    .uniform_work_group_size: 1
    .uses_dynamic_stack: false
    .vgpr_count:     9
    .vgpr_spill_count: 0
    .wavefront_size: 32
    .workgroup_processor_mode: 1
  - .args:
      - .offset:         0
        .size:           4
        .value_kind:     by_value
      - .offset:         4
        .size:           4
        .value_kind:     by_value
      - .address_space:  global
        .offset:         8
        .size:           8
        .value_kind:     global_buffer
      - .address_space:  global
        .offset:         16
        .size:           8
        .value_kind:     global_buffer
      - .offset:         24
        .size:           8
        .value_kind:     by_value
      - .offset:         32
        .size:           4
        .value_kind:     by_value
      - .offset:         40
        .size:           8
        .value_kind:     by_value
      - .address_space:  global
        .offset:         48
        .size:           8
        .value_kind:     global_buffer
      - .offset:         56
        .size:           8
        .value_kind:     by_value
      - .offset:         64
        .size:           4
        .value_kind:     by_value
      - .offset:         72
        .size:           8
        .value_kind:     by_value
    .group_segment_fixed_size: 0
    .kernarg_segment_align: 8
    .kernarg_segment_size: 80
    .language:       OpenCL C
    .language_version:
      - 2
      - 0
    .max_flat_workgroup_size: 1024
    .name:           _ZN12_GLOBAL__N_120geam_ex_scale_kernelILi32ELi32EdPKdPKS2_PKPdEEviiT2_T3_lilT4_lil
    .private_segment_fixed_size: 0
    .sgpr_count:     19
    .sgpr_spill_count: 0
    .symbol:         _ZN12_GLOBAL__N_120geam_ex_scale_kernelILi32ELi32EdPKdPKS2_PKPdEEviiT2_T3_lilT4_lil.kd
    .uniform_work_group_size: 1
    .uses_dynamic_stack: false
    .vgpr_count:     9
    .vgpr_spill_count: 0
    .wavefront_size: 32
    .workgroup_processor_mode: 1
  - .args:
      - .offset:         0
        .size:           4
        .value_kind:     by_value
      - .offset:         4
        .size:           4
        .value_kind:     by_value
      - .offset:         8
        .size:           8
        .value_kind:     by_value
      - .address_space:  global
        .offset:         16
        .size:           8
        .value_kind:     global_buffer
      - .offset:         24
        .size:           8
        .value_kind:     by_value
      - .offset:         32
        .size:           4
        .value_kind:     by_value
      - .offset:         40
        .size:           8
        .value_kind:     by_value
      - .address_space:  global
        .offset:         48
        .size:           8
        .value_kind:     global_buffer
      - .offset:         56
        .size:           8
        .value_kind:     by_value
      - .offset:         64
        .size:           4
        .value_kind:     by_value
      - .offset:         72
        .size:           8
        .value_kind:     by_value
    .group_segment_fixed_size: 0
    .kernarg_segment_align: 8
    .kernarg_segment_size: 80
    .language:       OpenCL C
    .language_version:
      - 2
      - 0
    .max_flat_workgroup_size: 1024
    .name:           _ZN12_GLOBAL__N_120geam_ex_round_kernelILi32ELi32EddPKPKdPKPdEEviiT2_T3_lilT4_lil
    .private_segment_fixed_size: 0
    .sgpr_count:     20
    .sgpr_spill_count: 0
    .symbol:         _ZN12_GLOBAL__N_120geam_ex_round_kernelILi32ELi32EddPKPKdPKPdEEviiT2_T3_lilT4_lil.kd
    .uniform_work_group_size: 1
    .uses_dynamic_stack: false
    .vgpr_count:     8
    .vgpr_spill_count: 0
    .wavefront_size: 32
    .workgroup_processor_mode: 1
  - .args:
      - .offset:         0
        .size:           4
        .value_kind:     by_value
      - .offset:         4
        .size:           4
        .value_kind:     by_value
      - .offset:         8
        .size:           4
        .value_kind:     by_value
      - .address_space:  global
        .offset:         16
        .size:           8
        .value_kind:     global_buffer
      - .address_space:  global
        .offset:         24
        .size:           8
        .value_kind:     global_buffer
      - .offset:         32
        .size:           4
        .value_kind:     by_value
      - .offset:         40
        .size:           8
        .value_kind:     by_value
      - .address_space:  global
        .offset:         48
        .size:           8
        .value_kind:     global_buffer
      - .offset:         56
        .size:           4
        .value_kind:     by_value
      - .offset:         64
        .size:           8
        .value_kind:     by_value
      - .address_space:  global
        .offset:         72
        .size:           8
        .value_kind:     global_buffer
      - .address_space:  global
        .offset:         80
        .size:           8
        .value_kind:     global_buffer
      - .offset:         88
        .size:           4
        .value_kind:     by_value
      - .offset:         96
        .size:           8
        .value_kind:     by_value
      - .address_space:  global
        .offset:         104
        .size:           8
        .value_kind:     global_buffer
      - .offset:         112
        .size:           4
        .value_kind:     by_value
      - .offset:         120
        .size:           8
        .value_kind:     by_value
      - .offset:         128
        .size:           4
        .value_kind:     by_value
      - .offset:         132
        .size:           4
        .value_kind:     by_value
    .group_segment_fixed_size: 20480
    .kernarg_segment_align: 8
    .kernarg_segment_size: 136
    .language:       OpenCL C
    .language_version:
      - 2
      - 0
    .max_flat_workgroup_size: 256
    .name:           _ZN12_GLOBAL__N_120geam_min_plus_kernelId15HIP_vector_typeIdLj2EEdLi32ELi8ELi256ELi64ELi4ELi64ELi4ELi4ELi64ELc78ELc78ELb0ELb0ELb1EPKdKS4_KPdEEviiiT16_PT17_ilSA_ilS8_SA_ilPT18_ili26rocblas_geam_ex_operation_
    .private_segment_fixed_size: 400
    .sgpr_count:     28
    .sgpr_spill_count: 0
    .symbol:         _ZN12_GLOBAL__N_120geam_min_plus_kernelId15HIP_vector_typeIdLj2EEdLi32ELi8ELi256ELi64ELi4ELi64ELi4ELi4ELi64ELc78ELc78ELb0ELb0ELb1EPKdKS4_KPdEEviiiT16_PT17_ilSA_ilS8_SA_ilPT18_ili26rocblas_geam_ex_operation_.kd
    .uniform_work_group_size: 1
    .uses_dynamic_stack: false
    .vgpr_count:     256
    .vgpr_spill_count: 369
    .wavefront_size: 32
    .workgroup_processor_mode: 1
  - .args:
      - .offset:         0
        .size:           4
        .value_kind:     by_value
      - .offset:         4
        .size:           4
        .value_kind:     by_value
      - .offset:         8
        .size:           4
        .value_kind:     by_value
      - .offset:         16
        .size:           8
        .value_kind:     by_value
      - .address_space:  global
        .offset:         24
        .size:           8
        .value_kind:     global_buffer
      - .offset:         32
        .size:           4
        .value_kind:     by_value
      - .offset:         40
        .size:           8
        .value_kind:     by_value
      - .address_space:  global
        .offset:         48
        .size:           8
        .value_kind:     global_buffer
      - .offset:         56
        .size:           4
        .value_kind:     by_value
      - .offset:         64
        .size:           8
        .value_kind:     by_value
      - .offset:         72
        .size:           8
        .value_kind:     by_value
      - .address_space:  global
        .offset:         80
        .size:           8
        .value_kind:     global_buffer
      - .offset:         88
        .size:           4
        .value_kind:     by_value
      - .offset:         96
        .size:           8
        .value_kind:     by_value
      - .address_space:  global
        .offset:         104
        .size:           8
        .value_kind:     global_buffer
      - .offset:         112
        .size:           4
        .value_kind:     by_value
      - .offset:         120
        .size:           8
        .value_kind:     by_value
      - .offset:         128
        .size:           4
        .value_kind:     by_value
      - .offset:         132
        .size:           4
        .value_kind:     by_value
    .group_segment_fixed_size: 20480
    .kernarg_segment_align: 8
    .kernarg_segment_size: 136
    .language:       OpenCL C
    .language_version:
      - 2
      - 0
    .max_flat_workgroup_size: 256
    .name:           _ZN12_GLOBAL__N_120geam_min_plus_kernelId15HIP_vector_typeIdLj2EEdLi32ELi8ELi256ELi64ELi4ELi64ELi4ELi4ELi64ELc78ELc78ELb1ELb0ELb1EdKPKdKPdEEviiiT16_PT17_ilSA_ilS8_SA_ilPT18_ili26rocblas_geam_ex_operation_
    .private_segment_fixed_size: 400
    .sgpr_count:     24
    .sgpr_spill_count: 0
    .symbol:         _ZN12_GLOBAL__N_120geam_min_plus_kernelId15HIP_vector_typeIdLj2EEdLi32ELi8ELi256ELi64ELi4ELi64ELi4ELi4ELi64ELc78ELc78ELb1ELb0ELb1EdKPKdKPdEEviiiT16_PT17_ilSA_ilS8_SA_ilPT18_ili26rocblas_geam_ex_operation_.kd
    .uniform_work_group_size: 1
    .uses_dynamic_stack: false
    .vgpr_count:     256
    .vgpr_spill_count: 343
    .wavefront_size: 32
    .workgroup_processor_mode: 1
  - .args:
      - .offset:         0
        .size:           4
        .value_kind:     by_value
      - .offset:         4
        .size:           4
        .value_kind:     by_value
      - .offset:         8
        .size:           4
        .value_kind:     by_value
      - .offset:         16
        .size:           8
        .value_kind:     by_value
      - .address_space:  global
        .offset:         24
        .size:           8
        .value_kind:     global_buffer
      - .offset:         32
        .size:           4
        .value_kind:     by_value
      - .offset:         40
        .size:           8
        .value_kind:     by_value
      - .address_space:  global
        .offset:         48
        .size:           8
        .value_kind:     global_buffer
      - .offset:         56
        .size:           4
        .value_kind:     by_value
      - .offset:         64
        .size:           8
        .value_kind:     by_value
      - .offset:         72
        .size:           8
        .value_kind:     by_value
      - .address_space:  global
        .offset:         80
        .size:           8
        .value_kind:     global_buffer
      - .offset:         88
        .size:           4
        .value_kind:     by_value
      - .offset:         96
        .size:           8
        .value_kind:     by_value
      - .address_space:  global
        .offset:         104
        .size:           8
        .value_kind:     global_buffer
      - .offset:         112
        .size:           4
        .value_kind:     by_value
      - .offset:         120
        .size:           8
        .value_kind:     by_value
      - .offset:         128
        .size:           4
        .value_kind:     by_value
      - .offset:         132
        .size:           4
        .value_kind:     by_value
    .group_segment_fixed_size: 20480
    .kernarg_segment_align: 8
    .kernarg_segment_size: 136
    .language:       OpenCL C
    .language_version:
      - 2
      - 0
    .max_flat_workgroup_size: 256
    .name:           _ZN12_GLOBAL__N_120geam_min_plus_kernelId15HIP_vector_typeIdLj2EEdLi32ELi8ELi256ELi64ELi4ELi64ELi4ELi4ELi64ELc78ELc78ELb0ELb0ELb1EdKPKdKPdEEviiiT16_PT17_ilSA_ilS8_SA_ilPT18_ili26rocblas_geam_ex_operation_
    .private_segment_fixed_size: 404
    .sgpr_count:     26
    .sgpr_spill_count: 0
    .symbol:         _ZN12_GLOBAL__N_120geam_min_plus_kernelId15HIP_vector_typeIdLj2EEdLi32ELi8ELi256ELi64ELi4ELi64ELi4ELi4ELi64ELc78ELc78ELb0ELb0ELb1EdKPKdKPdEEviiiT16_PT17_ilSA_ilS8_SA_ilPT18_ili26rocblas_geam_ex_operation_.kd
    .uniform_work_group_size: 1
    .uses_dynamic_stack: false
    .vgpr_count:     256
    .vgpr_spill_count: 379
    .wavefront_size: 32
    .workgroup_processor_mode: 1
  - .args:
      - .offset:         0
        .size:           4
        .value_kind:     by_value
      - .offset:         4
        .size:           4
        .value_kind:     by_value
      - .offset:         8
        .size:           4
        .value_kind:     by_value
      - .address_space:  global
        .offset:         16
        .size:           8
        .value_kind:     global_buffer
      - .address_space:  global
        .offset:         24
        .size:           8
        .value_kind:     global_buffer
      - .offset:         32
        .size:           4
        .value_kind:     by_value
      - .offset:         40
        .size:           8
        .value_kind:     by_value
      - .address_space:  global
        .offset:         48
        .size:           8
        .value_kind:     global_buffer
      - .offset:         56
        .size:           4
        .value_kind:     by_value
      - .offset:         64
        .size:           8
        .value_kind:     by_value
      - .address_space:  global
        .offset:         72
        .size:           8
        .value_kind:     global_buffer
      - .address_space:  global
        .offset:         80
        .size:           8
        .value_kind:     global_buffer
      - .offset:         88
        .size:           4
        .value_kind:     by_value
      - .offset:         96
        .size:           8
        .value_kind:     by_value
      - .address_space:  global
        .offset:         104
        .size:           8
        .value_kind:     global_buffer
      - .offset:         112
        .size:           4
        .value_kind:     by_value
      - .offset:         120
        .size:           8
        .value_kind:     by_value
      - .offset:         128
        .size:           4
        .value_kind:     by_value
      - .offset:         132
        .size:           4
        .value_kind:     by_value
    .group_segment_fixed_size: 20480
    .kernarg_segment_align: 8
    .kernarg_segment_size: 136
    .language:       OpenCL C
    .language_version:
      - 2
      - 0
    .max_flat_workgroup_size: 256
    .name:           _ZN12_GLOBAL__N_120geam_min_plus_kernelId15HIP_vector_typeIdLj2EEdLi32ELi8ELi256ELi64ELi4ELi64ELi4ELi4ELi64ELc78ELc78ELb0ELb1ELb1EPKdKS4_KPdEEviiiT16_PT17_ilSA_ilS8_SA_ilPT18_ili26rocblas_geam_ex_operation_
    .private_segment_fixed_size: 412
    .sgpr_count:     34
    .sgpr_spill_count: 0
    .symbol:         _ZN12_GLOBAL__N_120geam_min_plus_kernelId15HIP_vector_typeIdLj2EEdLi32ELi8ELi256ELi64ELi4ELi64ELi4ELi4ELi64ELc78ELc78ELb0ELb1ELb1EPKdKS4_KPdEEviiiT16_PT17_ilSA_ilS8_SA_ilPT18_ili26rocblas_geam_ex_operation_.kd
    .uniform_work_group_size: 1
    .uses_dynamic_stack: false
    .vgpr_count:     256
    .vgpr_spill_count: 341
    .wavefront_size: 32
    .workgroup_processor_mode: 1
  - .args:
      - .offset:         0
        .size:           4
        .value_kind:     by_value
      - .offset:         4
        .size:           4
        .value_kind:     by_value
      - .offset:         8
        .size:           4
        .value_kind:     by_value
      - .offset:         16
        .size:           8
        .value_kind:     by_value
      - .address_space:  global
        .offset:         24
        .size:           8
        .value_kind:     global_buffer
      - .offset:         32
        .size:           4
        .value_kind:     by_value
      - .offset:         40
        .size:           8
        .value_kind:     by_value
      - .address_space:  global
        .offset:         48
        .size:           8
        .value_kind:     global_buffer
      - .offset:         56
        .size:           4
        .value_kind:     by_value
      - .offset:         64
        .size:           8
        .value_kind:     by_value
      - .offset:         72
        .size:           8
        .value_kind:     by_value
      - .address_space:  global
        .offset:         80
        .size:           8
        .value_kind:     global_buffer
      - .offset:         88
        .size:           4
        .value_kind:     by_value
      - .offset:         96
        .size:           8
        .value_kind:     by_value
      - .address_space:  global
        .offset:         104
        .size:           8
        .value_kind:     global_buffer
      - .offset:         112
        .size:           4
        .value_kind:     by_value
      - .offset:         120
        .size:           8
        .value_kind:     by_value
      - .offset:         128
        .size:           4
        .value_kind:     by_value
      - .offset:         132
        .size:           4
        .value_kind:     by_value
    .group_segment_fixed_size: 20480
    .kernarg_segment_align: 8
    .kernarg_segment_size: 136
    .language:       OpenCL C
    .language_version:
      - 2
      - 0
    .max_flat_workgroup_size: 256
    .name:           _ZN12_GLOBAL__N_120geam_min_plus_kernelId15HIP_vector_typeIdLj2EEdLi32ELi8ELi256ELi64ELi4ELi64ELi4ELi4ELi64ELc78ELc78ELb1ELb1ELb1EdKPKdKPdEEviiiT16_PT17_ilSA_ilS8_SA_ilPT18_ili26rocblas_geam_ex_operation_
    .private_segment_fixed_size: 400
    .sgpr_count:     32
    .sgpr_spill_count: 0
    .symbol:         _ZN12_GLOBAL__N_120geam_min_plus_kernelId15HIP_vector_typeIdLj2EEdLi32ELi8ELi256ELi64ELi4ELi64ELi4ELi4ELi64ELc78ELc78ELb1ELb1ELb1EdKPKdKPdEEviiiT16_PT17_ilSA_ilS8_SA_ilPT18_ili26rocblas_geam_ex_operation_.kd
    .uniform_work_group_size: 1
    .uses_dynamic_stack: false
    .vgpr_count:     256
    .vgpr_spill_count: 340
    .wavefront_size: 32
    .workgroup_processor_mode: 1
  - .args:
      - .offset:         0
        .size:           4
        .value_kind:     by_value
      - .offset:         4
        .size:           4
        .value_kind:     by_value
      - .offset:         8
        .size:           4
        .value_kind:     by_value
      - .offset:         16
        .size:           8
        .value_kind:     by_value
      - .address_space:  global
        .offset:         24
        .size:           8
        .value_kind:     global_buffer
      - .offset:         32
        .size:           4
        .value_kind:     by_value
      - .offset:         40
        .size:           8
        .value_kind:     by_value
      - .address_space:  global
        .offset:         48
        .size:           8
        .value_kind:     global_buffer
      - .offset:         56
        .size:           4
        .value_kind:     by_value
      - .offset:         64
        .size:           8
        .value_kind:     by_value
      - .offset:         72
        .size:           8
        .value_kind:     by_value
      - .address_space:  global
        .offset:         80
        .size:           8
        .value_kind:     global_buffer
      - .offset:         88
        .size:           4
        .value_kind:     by_value
      - .offset:         96
        .size:           8
        .value_kind:     by_value
      - .address_space:  global
        .offset:         104
        .size:           8
        .value_kind:     global_buffer
      - .offset:         112
        .size:           4
        .value_kind:     by_value
      - .offset:         120
        .size:           8
        .value_kind:     by_value
      - .offset:         128
        .size:           4
        .value_kind:     by_value
      - .offset:         132
        .size:           4
        .value_kind:     by_value
    .group_segment_fixed_size: 20480
    .kernarg_segment_align: 8
    .kernarg_segment_size: 136
    .language:       OpenCL C
    .language_version:
      - 2
      - 0
    .max_flat_workgroup_size: 256
    .name:           _ZN12_GLOBAL__N_120geam_min_plus_kernelId15HIP_vector_typeIdLj2EEdLi32ELi8ELi256ELi64ELi4ELi64ELi4ELi4ELi64ELc78ELc78ELb0ELb1ELb1EdKPKdKPdEEviiiT16_PT17_ilSA_ilS8_SA_ilPT18_ili26rocblas_geam_ex_operation_
    .private_segment_fixed_size: 412
    .sgpr_count:     34
    .sgpr_spill_count: 0
    .symbol:         _ZN12_GLOBAL__N_120geam_min_plus_kernelId15HIP_vector_typeIdLj2EEdLi32ELi8ELi256ELi64ELi4ELi64ELi4ELi4ELi64ELc78ELc78ELb0ELb1ELb1EdKPKdKPdEEviiiT16_PT17_ilSA_ilS8_SA_ilPT18_ili26rocblas_geam_ex_operation_.kd
    .uniform_work_group_size: 1
    .uses_dynamic_stack: false
    .vgpr_count:     256
    .vgpr_spill_count: 341
    .wavefront_size: 32
    .workgroup_processor_mode: 1
  - .args:
      - .offset:         0
        .size:           4
        .value_kind:     by_value
      - .offset:         4
        .size:           4
        .value_kind:     by_value
      - .offset:         8
        .size:           4
        .value_kind:     by_value
      - .address_space:  global
        .offset:         16
        .size:           8
        .value_kind:     global_buffer
      - .address_space:  global
        .offset:         24
        .size:           8
        .value_kind:     global_buffer
      - .offset:         32
        .size:           4
        .value_kind:     by_value
      - .offset:         40
        .size:           8
        .value_kind:     by_value
      - .address_space:  global
        .offset:         48
        .size:           8
        .value_kind:     global_buffer
      - .offset:         56
        .size:           4
        .value_kind:     by_value
      - .offset:         64
        .size:           8
        .value_kind:     by_value
      - .address_space:  global
        .offset:         72
        .size:           8
        .value_kind:     global_buffer
      - .address_space:  global
        .offset:         80
        .size:           8
        .value_kind:     global_buffer
      - .offset:         88
        .size:           4
        .value_kind:     by_value
      - .offset:         96
        .size:           8
        .value_kind:     by_value
      - .address_space:  global
        .offset:         104
        .size:           8
        .value_kind:     global_buffer
      - .offset:         112
        .size:           4
        .value_kind:     by_value
      - .offset:         120
        .size:           8
        .value_kind:     by_value
      - .offset:         128
        .size:           4
        .value_kind:     by_value
      - .offset:         132
        .size:           4
        .value_kind:     by_value
    .group_segment_fixed_size: 16384
    .kernarg_segment_align: 8
    .kernarg_segment_size: 136
    .language:       OpenCL C
    .language_version:
      - 2
      - 0
    .max_flat_workgroup_size: 256
    .name:           _ZN12_GLOBAL__N_120geam_min_plus_kernelId15HIP_vector_typeIdLj2EEdLi32ELi8ELi128ELi128ELi4ELi4ELi64ELi4ELi64ELc84ELc78ELb0ELb0ELb1EPKdKS4_KPdEEviiiT16_PT17_ilSA_ilS8_SA_ilPT18_ili26rocblas_geam_ex_operation_
    .private_segment_fixed_size: 400
    .sgpr_count:     28
    .sgpr_spill_count: 0
    .symbol:         _ZN12_GLOBAL__N_120geam_min_plus_kernelId15HIP_vector_typeIdLj2EEdLi32ELi8ELi128ELi128ELi4ELi4ELi64ELi4ELi64ELc84ELc78ELb0ELb0ELb1EPKdKS4_KPdEEviiiT16_PT17_ilSA_ilS8_SA_ilPT18_ili26rocblas_geam_ex_operation_.kd
    .uniform_work_group_size: 1
    .uses_dynamic_stack: false
    .vgpr_count:     256
    .vgpr_spill_count: 358
    .wavefront_size: 32
    .workgroup_processor_mode: 1
  - .args:
      - .offset:         0
        .size:           4
        .value_kind:     by_value
      - .offset:         4
        .size:           4
        .value_kind:     by_value
      - .offset:         8
        .size:           4
        .value_kind:     by_value
      - .offset:         16
        .size:           8
        .value_kind:     by_value
      - .address_space:  global
        .offset:         24
        .size:           8
        .value_kind:     global_buffer
      - .offset:         32
        .size:           4
        .value_kind:     by_value
      - .offset:         40
        .size:           8
        .value_kind:     by_value
      - .address_space:  global
        .offset:         48
        .size:           8
        .value_kind:     global_buffer
      - .offset:         56
        .size:           4
        .value_kind:     by_value
      - .offset:         64
        .size:           8
        .value_kind:     by_value
      - .offset:         72
        .size:           8
        .value_kind:     by_value
      - .address_space:  global
        .offset:         80
        .size:           8
        .value_kind:     global_buffer
      - .offset:         88
        .size:           4
        .value_kind:     by_value
      - .offset:         96
        .size:           8
        .value_kind:     by_value
      - .address_space:  global
        .offset:         104
        .size:           8
        .value_kind:     global_buffer
      - .offset:         112
        .size:           4
        .value_kind:     by_value
      - .offset:         120
        .size:           8
        .value_kind:     by_value
      - .offset:         128
        .size:           4
        .value_kind:     by_value
      - .offset:         132
        .size:           4
        .value_kind:     by_value
    .group_segment_fixed_size: 16384
    .kernarg_segment_align: 8
    .kernarg_segment_size: 136
    .language:       OpenCL C
    .language_version:
      - 2
      - 0
    .max_flat_workgroup_size: 256
    .name:           _ZN12_GLOBAL__N_120geam_min_plus_kernelId15HIP_vector_typeIdLj2EEdLi32ELi8ELi128ELi128ELi4ELi4ELi64ELi4ELi64ELc84ELc78ELb1ELb0ELb1EdKPKdKPdEEviiiT16_PT17_ilSA_ilS8_SA_ilPT18_ili26rocblas_geam_ex_operation_
    .private_segment_fixed_size: 424
    .sgpr_count:     24
    .sgpr_spill_count: 0
    .symbol:         _ZN12_GLOBAL__N_120geam_min_plus_kernelId15HIP_vector_typeIdLj2EEdLi32ELi8ELi128ELi128ELi4ELi4ELi64ELi4ELi64ELc84ELc78ELb1ELb0ELb1EdKPKdKPdEEviiiT16_PT17_ilSA_ilS8_SA_ilPT18_ili26rocblas_geam_ex_operation_.kd
    .uniform_work_group_size: 1
    .uses_dynamic_stack: false
    .vgpr_count:     256
    .vgpr_spill_count: 343
    .wavefront_size: 32
    .workgroup_processor_mode: 1
  - .args:
      - .offset:         0
        .size:           4
        .value_kind:     by_value
      - .offset:         4
        .size:           4
        .value_kind:     by_value
      - .offset:         8
        .size:           4
        .value_kind:     by_value
      - .offset:         16
        .size:           8
        .value_kind:     by_value
      - .address_space:  global
        .offset:         24
        .size:           8
        .value_kind:     global_buffer
      - .offset:         32
        .size:           4
        .value_kind:     by_value
      - .offset:         40
        .size:           8
        .value_kind:     by_value
      - .address_space:  global
        .offset:         48
        .size:           8
        .value_kind:     global_buffer
      - .offset:         56
        .size:           4
        .value_kind:     by_value
      - .offset:         64
        .size:           8
        .value_kind:     by_value
      - .offset:         72
        .size:           8
        .value_kind:     by_value
      - .address_space:  global
        .offset:         80
        .size:           8
        .value_kind:     global_buffer
      - .offset:         88
        .size:           4
        .value_kind:     by_value
      - .offset:         96
        .size:           8
        .value_kind:     by_value
      - .address_space:  global
        .offset:         104
        .size:           8
        .value_kind:     global_buffer
      - .offset:         112
        .size:           4
        .value_kind:     by_value
      - .offset:         120
        .size:           8
        .value_kind:     by_value
      - .offset:         128
        .size:           4
        .value_kind:     by_value
      - .offset:         132
        .size:           4
        .value_kind:     by_value
    .group_segment_fixed_size: 16384
    .kernarg_segment_align: 8
    .kernarg_segment_size: 136
    .language:       OpenCL C
    .language_version:
      - 2
      - 0
    .max_flat_workgroup_size: 256
    .name:           _ZN12_GLOBAL__N_120geam_min_plus_kernelId15HIP_vector_typeIdLj2EEdLi32ELi8ELi128ELi128ELi4ELi4ELi64ELi4ELi64ELc84ELc78ELb0ELb0ELb1EdKPKdKPdEEviiiT16_PT17_ilSA_ilS8_SA_ilPT18_ili26rocblas_geam_ex_operation_
    .private_segment_fixed_size: 400
    .sgpr_count:     26
    .sgpr_spill_count: 0
    .symbol:         _ZN12_GLOBAL__N_120geam_min_plus_kernelId15HIP_vector_typeIdLj2EEdLi32ELi8ELi128ELi128ELi4ELi4ELi64ELi4ELi64ELc84ELc78ELb0ELb0ELb1EdKPKdKPdEEviiiT16_PT17_ilSA_ilS8_SA_ilPT18_ili26rocblas_geam_ex_operation_.kd
    .uniform_work_group_size: 1
    .uses_dynamic_stack: false
    .vgpr_count:     256
    .vgpr_spill_count: 358
    .wavefront_size: 32
    .workgroup_processor_mode: 1
  - .args:
      - .offset:         0
        .size:           4
        .value_kind:     by_value
      - .offset:         4
        .size:           4
        .value_kind:     by_value
      - .offset:         8
        .size:           4
        .value_kind:     by_value
      - .address_space:  global
        .offset:         16
        .size:           8
        .value_kind:     global_buffer
      - .address_space:  global
        .offset:         24
        .size:           8
        .value_kind:     global_buffer
      - .offset:         32
        .size:           4
        .value_kind:     by_value
      - .offset:         40
        .size:           8
        .value_kind:     by_value
      - .address_space:  global
        .offset:         48
        .size:           8
        .value_kind:     global_buffer
      - .offset:         56
        .size:           4
        .value_kind:     by_value
      - .offset:         64
        .size:           8
        .value_kind:     by_value
      - .address_space:  global
        .offset:         72
        .size:           8
        .value_kind:     global_buffer
      - .address_space:  global
        .offset:         80
        .size:           8
        .value_kind:     global_buffer
      - .offset:         88
        .size:           4
        .value_kind:     by_value
      - .offset:         96
        .size:           8
        .value_kind:     by_value
      - .address_space:  global
        .offset:         104
        .size:           8
        .value_kind:     global_buffer
      - .offset:         112
        .size:           4
        .value_kind:     by_value
      - .offset:         120
        .size:           8
        .value_kind:     by_value
      - .offset:         128
        .size:           4
        .value_kind:     by_value
      - .offset:         132
        .size:           4
        .value_kind:     by_value
    .group_segment_fixed_size: 16384
    .kernarg_segment_align: 8
    .kernarg_segment_size: 136
    .language:       OpenCL C
    .language_version:
      - 2
      - 0
    .max_flat_workgroup_size: 256
    .name:           _ZN12_GLOBAL__N_120geam_min_plus_kernelId15HIP_vector_typeIdLj2EEdLi32ELi8ELi128ELi128ELi4ELi4ELi64ELi4ELi64ELc84ELc78ELb0ELb1ELb1EPKdKS4_KPdEEviiiT16_PT17_ilSA_ilS8_SA_ilPT18_ili26rocblas_geam_ex_operation_
    .private_segment_fixed_size: 416
    .sgpr_count:     33
    .sgpr_spill_count: 0
    .symbol:         _ZN12_GLOBAL__N_120geam_min_plus_kernelId15HIP_vector_typeIdLj2EEdLi32ELi8ELi128ELi128ELi4ELi4ELi64ELi4ELi64ELc84ELc78ELb0ELb1ELb1EPKdKS4_KPdEEviiiT16_PT17_ilSA_ilS8_SA_ilPT18_ili26rocblas_geam_ex_operation_.kd
    .uniform_work_group_size: 1
    .uses_dynamic_stack: false
    .vgpr_count:     256
    .vgpr_spill_count: 342
    .wavefront_size: 32
    .workgroup_processor_mode: 1
  - .args:
      - .offset:         0
        .size:           4
        .value_kind:     by_value
      - .offset:         4
        .size:           4
        .value_kind:     by_value
      - .offset:         8
        .size:           4
        .value_kind:     by_value
      - .offset:         16
        .size:           8
        .value_kind:     by_value
      - .address_space:  global
        .offset:         24
        .size:           8
        .value_kind:     global_buffer
      - .offset:         32
        .size:           4
        .value_kind:     by_value
      - .offset:         40
        .size:           8
        .value_kind:     by_value
      - .address_space:  global
        .offset:         48
        .size:           8
        .value_kind:     global_buffer
      - .offset:         56
        .size:           4
        .value_kind:     by_value
      - .offset:         64
        .size:           8
        .value_kind:     by_value
      - .offset:         72
        .size:           8
        .value_kind:     by_value
      - .address_space:  global
        .offset:         80
        .size:           8
        .value_kind:     global_buffer
      - .offset:         88
        .size:           4
        .value_kind:     by_value
      - .offset:         96
        .size:           8
        .value_kind:     by_value
      - .address_space:  global
        .offset:         104
        .size:           8
        .value_kind:     global_buffer
      - .offset:         112
        .size:           4
        .value_kind:     by_value
      - .offset:         120
        .size:           8
        .value_kind:     by_value
      - .offset:         128
        .size:           4
        .value_kind:     by_value
      - .offset:         132
        .size:           4
        .value_kind:     by_value
    .group_segment_fixed_size: 16384
    .kernarg_segment_align: 8
    .kernarg_segment_size: 136
    .language:       OpenCL C
    .language_version:
      - 2
      - 0
    .max_flat_workgroup_size: 256
    .name:           _ZN12_GLOBAL__N_120geam_min_plus_kernelId15HIP_vector_typeIdLj2EEdLi32ELi8ELi128ELi128ELi4ELi4ELi64ELi4ELi64ELc84ELc78ELb1ELb1ELb1EdKPKdKPdEEviiiT16_PT17_ilSA_ilS8_SA_ilPT18_ili26rocblas_geam_ex_operation_
    .private_segment_fixed_size: 424
    .sgpr_count:     31
    .sgpr_spill_count: 0
    .symbol:         _ZN12_GLOBAL__N_120geam_min_plus_kernelId15HIP_vector_typeIdLj2EEdLi32ELi8ELi128ELi128ELi4ELi4ELi64ELi4ELi64ELc84ELc78ELb1ELb1ELb1EdKPKdKPdEEviiiT16_PT17_ilSA_ilS8_SA_ilPT18_ili26rocblas_geam_ex_operation_.kd
    .uniform_work_group_size: 1
    .uses_dynamic_stack: false
    .vgpr_count:     256
    .vgpr_spill_count: 337
    .wavefront_size: 32
    .workgroup_processor_mode: 1
  - .args:
      - .offset:         0
        .size:           4
        .value_kind:     by_value
      - .offset:         4
        .size:           4
        .value_kind:     by_value
      - .offset:         8
        .size:           4
        .value_kind:     by_value
      - .offset:         16
        .size:           8
        .value_kind:     by_value
      - .address_space:  global
        .offset:         24
        .size:           8
        .value_kind:     global_buffer
      - .offset:         32
        .size:           4
        .value_kind:     by_value
      - .offset:         40
        .size:           8
        .value_kind:     by_value
      - .address_space:  global
        .offset:         48
        .size:           8
        .value_kind:     global_buffer
      - .offset:         56
        .size:           4
        .value_kind:     by_value
      - .offset:         64
        .size:           8
        .value_kind:     by_value
      - .offset:         72
        .size:           8
        .value_kind:     by_value
      - .address_space:  global
        .offset:         80
        .size:           8
        .value_kind:     global_buffer
      - .offset:         88
        .size:           4
        .value_kind:     by_value
      - .offset:         96
        .size:           8
        .value_kind:     by_value
      - .address_space:  global
        .offset:         104
        .size:           8
        .value_kind:     global_buffer
      - .offset:         112
        .size:           4
        .value_kind:     by_value
      - .offset:         120
        .size:           8
        .value_kind:     by_value
      - .offset:         128
        .size:           4
        .value_kind:     by_value
      - .offset:         132
        .size:           4
        .value_kind:     by_value
    .group_segment_fixed_size: 16384
    .kernarg_segment_align: 8
    .kernarg_segment_size: 136
    .language:       OpenCL C
    .language_version:
      - 2
      - 0
    .max_flat_workgroup_size: 256
    .name:           _ZN12_GLOBAL__N_120geam_min_plus_kernelId15HIP_vector_typeIdLj2EEdLi32ELi8ELi128ELi128ELi4ELi4ELi64ELi4ELi64ELc84ELc78ELb0ELb1ELb1EdKPKdKPdEEviiiT16_PT17_ilSA_ilS8_SA_ilPT18_ili26rocblas_geam_ex_operation_
    .private_segment_fixed_size: 416
    .sgpr_count:     33
    .sgpr_spill_count: 0
    .symbol:         _ZN12_GLOBAL__N_120geam_min_plus_kernelId15HIP_vector_typeIdLj2EEdLi32ELi8ELi128ELi128ELi4ELi4ELi64ELi4ELi64ELc84ELc78ELb0ELb1ELb1EdKPKdKPdEEviiiT16_PT17_ilSA_ilS8_SA_ilPT18_ili26rocblas_geam_ex_operation_.kd
    .uniform_work_group_size: 1
    .uses_dynamic_stack: false
    .vgpr_count:     256
    .vgpr_spill_count: 342
    .wavefront_size: 32
    .workgroup_processor_mode: 1
  - .args:
      - .offset:         0
        .size:           4
        .value_kind:     by_value
      - .offset:         4
        .size:           4
        .value_kind:     by_value
      - .offset:         8
        .size:           4
        .value_kind:     by_value
      - .address_space:  global
        .offset:         16
        .size:           8
        .value_kind:     global_buffer
      - .address_space:  global
        .offset:         24
        .size:           8
        .value_kind:     global_buffer
      - .offset:         32
        .size:           4
        .value_kind:     by_value
      - .offset:         40
        .size:           8
        .value_kind:     by_value
      - .address_space:  global
        .offset:         48
        .size:           8
        .value_kind:     global_buffer
      - .offset:         56
        .size:           4
        .value_kind:     by_value
      - .offset:         64
        .size:           8
        .value_kind:     by_value
      - .address_space:  global
        .offset:         72
        .size:           8
        .value_kind:     global_buffer
      - .address_space:  global
        .offset:         80
        .size:           8
        .value_kind:     global_buffer
      - .offset:         88
        .size:           4
        .value_kind:     by_value
      - .offset:         96
        .size:           8
        .value_kind:     by_value
      - .address_space:  global
        .offset:         104
        .size:           8
        .value_kind:     global_buffer
      - .offset:         112
        .size:           4
        .value_kind:     by_value
      - .offset:         120
        .size:           8
        .value_kind:     by_value
      - .offset:         128
        .size:           4
        .value_kind:     by_value
      - .offset:         132
        .size:           4
        .value_kind:     by_value
    .group_segment_fixed_size: 20480
    .kernarg_segment_align: 8
    .kernarg_segment_size: 136
    .language:       OpenCL C
    .language_version:
      - 2
      - 0
    .max_flat_workgroup_size: 256
    .name:           _ZN12_GLOBAL__N_120geam_min_plus_kernelId15HIP_vector_typeIdLj2EEdLi8ELi32ELi64ELi256ELi4ELi64ELi4ELi64ELi4ELc78ELc84ELb0ELb0ELb1EPKdKS4_KPdEEviiiT16_PT17_ilSA_ilS8_SA_ilPT18_ili26rocblas_geam_ex_operation_
    .private_segment_fixed_size: 384
    .sgpr_count:     29
    .sgpr_spill_count: 0
    .symbol:         _ZN12_GLOBAL__N_120geam_min_plus_kernelId15HIP_vector_typeIdLj2EEdLi8ELi32ELi64ELi256ELi4ELi64ELi4ELi64ELi4ELc78ELc84ELb0ELb0ELb1EPKdKS4_KPdEEviiiT16_PT17_ilSA_ilS8_SA_ilPT18_ili26rocblas_geam_ex_operation_.kd
    .uniform_work_group_size: 1
    .uses_dynamic_stack: false
    .vgpr_count:     256
    .vgpr_spill_count: 364
    .wavefront_size: 32
    .workgroup_processor_mode: 1
  - .args:
      - .offset:         0
        .size:           4
        .value_kind:     by_value
      - .offset:         4
        .size:           4
        .value_kind:     by_value
      - .offset:         8
        .size:           4
        .value_kind:     by_value
      - .offset:         16
        .size:           8
        .value_kind:     by_value
      - .address_space:  global
        .offset:         24
        .size:           8
        .value_kind:     global_buffer
      - .offset:         32
        .size:           4
        .value_kind:     by_value
      - .offset:         40
        .size:           8
        .value_kind:     by_value
      - .address_space:  global
        .offset:         48
        .size:           8
        .value_kind:     global_buffer
      - .offset:         56
        .size:           4
        .value_kind:     by_value
      - .offset:         64
        .size:           8
        .value_kind:     by_value
      - .offset:         72
        .size:           8
        .value_kind:     by_value
      - .address_space:  global
        .offset:         80
        .size:           8
        .value_kind:     global_buffer
      - .offset:         88
        .size:           4
        .value_kind:     by_value
      - .offset:         96
        .size:           8
        .value_kind:     by_value
      - .address_space:  global
        .offset:         104
        .size:           8
        .value_kind:     global_buffer
      - .offset:         112
        .size:           4
        .value_kind:     by_value
      - .offset:         120
        .size:           8
        .value_kind:     by_value
      - .offset:         128
        .size:           4
        .value_kind:     by_value
      - .offset:         132
        .size:           4
        .value_kind:     by_value
    .group_segment_fixed_size: 20480
    .kernarg_segment_align: 8
    .kernarg_segment_size: 136
    .language:       OpenCL C
    .language_version:
      - 2
      - 0
    .max_flat_workgroup_size: 256
    .name:           _ZN12_GLOBAL__N_120geam_min_plus_kernelId15HIP_vector_typeIdLj2EEdLi8ELi32ELi64ELi256ELi4ELi64ELi4ELi64ELi4ELc78ELc84ELb1ELb0ELb1EdKPKdKPdEEviiiT16_PT17_ilSA_ilS8_SA_ilPT18_ili26rocblas_geam_ex_operation_
    .private_segment_fixed_size: 396
    .sgpr_count:     25
    .sgpr_spill_count: 0
    .symbol:         _ZN12_GLOBAL__N_120geam_min_plus_kernelId15HIP_vector_typeIdLj2EEdLi8ELi32ELi64ELi256ELi4ELi64ELi4ELi64ELi4ELc78ELc84ELb1ELb0ELb1EdKPKdKPdEEviiiT16_PT17_ilSA_ilS8_SA_ilPT18_ili26rocblas_geam_ex_operation_.kd
    .uniform_work_group_size: 1
    .uses_dynamic_stack: false
    .vgpr_count:     256
    .vgpr_spill_count: 334
    .wavefront_size: 32
    .workgroup_processor_mode: 1
  - .args:
      - .offset:         0
        .size:           4
        .value_kind:     by_value
      - .offset:         4
        .size:           4
        .value_kind:     by_value
      - .offset:         8
        .size:           4
        .value_kind:     by_value
      - .offset:         16
        .size:           8
        .value_kind:     by_value
      - .address_space:  global
        .offset:         24
        .size:           8
        .value_kind:     global_buffer
      - .offset:         32
        .size:           4
        .value_kind:     by_value
      - .offset:         40
        .size:           8
        .value_kind:     by_value
      - .address_space:  global
        .offset:         48
        .size:           8
        .value_kind:     global_buffer
      - .offset:         56
        .size:           4
        .value_kind:     by_value
      - .offset:         64
        .size:           8
        .value_kind:     by_value
      - .offset:         72
        .size:           8
        .value_kind:     by_value
      - .address_space:  global
        .offset:         80
        .size:           8
        .value_kind:     global_buffer
      - .offset:         88
        .size:           4
        .value_kind:     by_value
      - .offset:         96
        .size:           8
        .value_kind:     by_value
      - .address_space:  global
        .offset:         104
        .size:           8
        .value_kind:     global_buffer
      - .offset:         112
        .size:           4
        .value_kind:     by_value
      - .offset:         120
        .size:           8
        .value_kind:     by_value
      - .offset:         128
        .size:           4
        .value_kind:     by_value
      - .offset:         132
        .size:           4
        .value_kind:     by_value
    .group_segment_fixed_size: 20480
    .kernarg_segment_align: 8
    .kernarg_segment_size: 136
    .language:       OpenCL C
    .language_version:
      - 2
      - 0
    .max_flat_workgroup_size: 256
    .name:           _ZN12_GLOBAL__N_120geam_min_plus_kernelId15HIP_vector_typeIdLj2EEdLi8ELi32ELi64ELi256ELi4ELi64ELi4ELi64ELi4ELc78ELc84ELb0ELb0ELb1EdKPKdKPdEEviiiT16_PT17_ilSA_ilS8_SA_ilPT18_ili26rocblas_geam_ex_operation_
    .private_segment_fixed_size: 384
    .sgpr_count:     30
    .sgpr_spill_count: 0
    .symbol:         _ZN12_GLOBAL__N_120geam_min_plus_kernelId15HIP_vector_typeIdLj2EEdLi8ELi32ELi64ELi256ELi4ELi64ELi4ELi64ELi4ELc78ELc84ELb0ELb0ELb1EdKPKdKPdEEviiiT16_PT17_ilSA_ilS8_SA_ilPT18_ili26rocblas_geam_ex_operation_.kd
    .uniform_work_group_size: 1
    .uses_dynamic_stack: false
    .vgpr_count:     256
    .vgpr_spill_count: 364
    .wavefront_size: 32
    .workgroup_processor_mode: 1
  - .args:
      - .offset:         0
        .size:           4
        .value_kind:     by_value
      - .offset:         4
        .size:           4
        .value_kind:     by_value
      - .offset:         8
        .size:           4
        .value_kind:     by_value
      - .address_space:  global
        .offset:         16
        .size:           8
        .value_kind:     global_buffer
      - .address_space:  global
        .offset:         24
        .size:           8
        .value_kind:     global_buffer
      - .offset:         32
        .size:           4
        .value_kind:     by_value
      - .offset:         40
        .size:           8
        .value_kind:     by_value
      - .address_space:  global
        .offset:         48
        .size:           8
        .value_kind:     global_buffer
      - .offset:         56
        .size:           4
        .value_kind:     by_value
      - .offset:         64
        .size:           8
        .value_kind:     by_value
      - .address_space:  global
        .offset:         72
        .size:           8
        .value_kind:     global_buffer
      - .address_space:  global
        .offset:         80
        .size:           8
        .value_kind:     global_buffer
      - .offset:         88
        .size:           4
        .value_kind:     by_value
      - .offset:         96
        .size:           8
        .value_kind:     by_value
      - .address_space:  global
        .offset:         104
        .size:           8
        .value_kind:     global_buffer
      - .offset:         112
        .size:           4
        .value_kind:     by_value
      - .offset:         120
        .size:           8
        .value_kind:     by_value
      - .offset:         128
        .size:           4
        .value_kind:     by_value
      - .offset:         132
        .size:           4
        .value_kind:     by_value
    .group_segment_fixed_size: 20480
    .kernarg_segment_align: 8
    .kernarg_segment_size: 136
    .language:       OpenCL C
    .language_version:
      - 2
      - 0
    .max_flat_workgroup_size: 256
    .name:           _ZN12_GLOBAL__N_120geam_min_plus_kernelId15HIP_vector_typeIdLj2EEdLi8ELi32ELi64ELi256ELi4ELi64ELi4ELi64ELi4ELc78ELc84ELb0ELb1ELb1EPKdKS4_KPdEEviiiT16_PT17_ilSA_ilS8_SA_ilPT18_ili26rocblas_geam_ex_operation_
    .private_segment_fixed_size: 396
    .sgpr_count:     37
    .sgpr_spill_count: 0
    .symbol:         _ZN12_GLOBAL__N_120geam_min_plus_kernelId15HIP_vector_typeIdLj2EEdLi8ELi32ELi64ELi256ELi4ELi64ELi4ELi64ELi4ELc78ELc84ELb0ELb1ELb1EPKdKS4_KPdEEviiiT16_PT17_ilSA_ilS8_SA_ilPT18_ili26rocblas_geam_ex_operation_.kd
    .uniform_work_group_size: 1
    .uses_dynamic_stack: false
    .vgpr_count:     256
    .vgpr_spill_count: 343
    .wavefront_size: 32
    .workgroup_processor_mode: 1
  - .args:
      - .offset:         0
        .size:           4
        .value_kind:     by_value
      - .offset:         4
        .size:           4
        .value_kind:     by_value
      - .offset:         8
        .size:           4
        .value_kind:     by_value
      - .offset:         16
        .size:           8
        .value_kind:     by_value
      - .address_space:  global
        .offset:         24
        .size:           8
        .value_kind:     global_buffer
      - .offset:         32
        .size:           4
        .value_kind:     by_value
      - .offset:         40
        .size:           8
        .value_kind:     by_value
      - .address_space:  global
        .offset:         48
        .size:           8
        .value_kind:     global_buffer
      - .offset:         56
        .size:           4
        .value_kind:     by_value
      - .offset:         64
        .size:           8
        .value_kind:     by_value
      - .offset:         72
        .size:           8
        .value_kind:     by_value
      - .address_space:  global
        .offset:         80
        .size:           8
        .value_kind:     global_buffer
      - .offset:         88
        .size:           4
        .value_kind:     by_value
      - .offset:         96
        .size:           8
        .value_kind:     by_value
      - .address_space:  global
        .offset:         104
        .size:           8
        .value_kind:     global_buffer
      - .offset:         112
        .size:           4
        .value_kind:     by_value
      - .offset:         120
        .size:           8
        .value_kind:     by_value
      - .offset:         128
        .size:           4
        .value_kind:     by_value
      - .offset:         132
        .size:           4
        .value_kind:     by_value
    .group_segment_fixed_size: 20480
    .kernarg_segment_align: 8
    .kernarg_segment_size: 136
    .language:       OpenCL C
    .language_version:
      - 2
      - 0
    .max_flat_workgroup_size: 256
    .name:           _ZN12_GLOBAL__N_120geam_min_plus_kernelId15HIP_vector_typeIdLj2EEdLi8ELi32ELi64ELi256ELi4ELi64ELi4ELi64ELi4ELc78ELc84ELb1ELb1ELb1EdKPKdKPdEEviiiT16_PT17_ilSA_ilS8_SA_ilPT18_ili26rocblas_geam_ex_operation_
    .private_segment_fixed_size: 384
    .sgpr_count:     34
    .sgpr_spill_count: 0
    .symbol:         _ZN12_GLOBAL__N_120geam_min_plus_kernelId15HIP_vector_typeIdLj2EEdLi8ELi32ELi64ELi256ELi4ELi64ELi4ELi64ELi4ELc78ELc84ELb1ELb1ELb1EdKPKdKPdEEviiiT16_PT17_ilSA_ilS8_SA_ilPT18_ili26rocblas_geam_ex_operation_.kd
    .uniform_work_group_size: 1
    .uses_dynamic_stack: false
    .vgpr_count:     256
    .vgpr_spill_count: 337
    .wavefront_size: 32
    .workgroup_processor_mode: 1
  - .args:
      - .offset:         0
        .size:           4
        .value_kind:     by_value
      - .offset:         4
        .size:           4
        .value_kind:     by_value
      - .offset:         8
        .size:           4
        .value_kind:     by_value
      - .offset:         16
        .size:           8
        .value_kind:     by_value
      - .address_space:  global
        .offset:         24
        .size:           8
        .value_kind:     global_buffer
      - .offset:         32
        .size:           4
        .value_kind:     by_value
      - .offset:         40
        .size:           8
        .value_kind:     by_value
      - .address_space:  global
        .offset:         48
        .size:           8
        .value_kind:     global_buffer
      - .offset:         56
        .size:           4
        .value_kind:     by_value
      - .offset:         64
        .size:           8
        .value_kind:     by_value
      - .offset:         72
        .size:           8
        .value_kind:     by_value
      - .address_space:  global
        .offset:         80
        .size:           8
        .value_kind:     global_buffer
      - .offset:         88
        .size:           4
        .value_kind:     by_value
      - .offset:         96
        .size:           8
        .value_kind:     by_value
      - .address_space:  global
        .offset:         104
        .size:           8
        .value_kind:     global_buffer
      - .offset:         112
        .size:           4
        .value_kind:     by_value
      - .offset:         120
        .size:           8
        .value_kind:     by_value
      - .offset:         128
        .size:           4
        .value_kind:     by_value
      - .offset:         132
        .size:           4
        .value_kind:     by_value
    .group_segment_fixed_size: 20480
    .kernarg_segment_align: 8
    .kernarg_segment_size: 136
    .language:       OpenCL C
    .language_version:
      - 2
      - 0
    .max_flat_workgroup_size: 256
    .name:           _ZN12_GLOBAL__N_120geam_min_plus_kernelId15HIP_vector_typeIdLj2EEdLi8ELi32ELi64ELi256ELi4ELi64ELi4ELi64ELi4ELc78ELc84ELb0ELb1ELb1EdKPKdKPdEEviiiT16_PT17_ilSA_ilS8_SA_ilPT18_ili26rocblas_geam_ex_operation_
    .private_segment_fixed_size: 396
    .sgpr_count:     37
    .sgpr_spill_count: 0
    .symbol:         _ZN12_GLOBAL__N_120geam_min_plus_kernelId15HIP_vector_typeIdLj2EEdLi8ELi32ELi64ELi256ELi4ELi64ELi4ELi64ELi4ELc78ELc84ELb0ELb1ELb1EdKPKdKPdEEviiiT16_PT17_ilSA_ilS8_SA_ilPT18_ili26rocblas_geam_ex_operation_.kd
    .uniform_work_group_size: 1
    .uses_dynamic_stack: false
    .vgpr_count:     256
    .vgpr_spill_count: 343
    .wavefront_size: 32
    .workgroup_processor_mode: 1
  - .args:
      - .offset:         0
        .size:           4
        .value_kind:     by_value
      - .offset:         4
        .size:           4
        .value_kind:     by_value
      - .offset:         8
        .size:           4
        .value_kind:     by_value
      - .address_space:  global
        .offset:         16
        .size:           8
        .value_kind:     global_buffer
      - .address_space:  global
        .offset:         24
        .size:           8
        .value_kind:     global_buffer
      - .offset:         32
        .size:           4
        .value_kind:     by_value
      - .offset:         40
        .size:           8
        .value_kind:     by_value
      - .address_space:  global
        .offset:         48
        .size:           8
        .value_kind:     global_buffer
      - .offset:         56
        .size:           4
        .value_kind:     by_value
      - .offset:         64
        .size:           8
        .value_kind:     by_value
      - .address_space:  global
        .offset:         72
        .size:           8
        .value_kind:     global_buffer
      - .address_space:  global
        .offset:         80
        .size:           8
        .value_kind:     global_buffer
      - .offset:         88
        .size:           4
        .value_kind:     by_value
      - .offset:         96
        .size:           8
        .value_kind:     by_value
      - .address_space:  global
        .offset:         104
        .size:           8
        .value_kind:     global_buffer
      - .offset:         112
        .size:           4
        .value_kind:     by_value
      - .offset:         120
        .size:           8
        .value_kind:     by_value
      - .offset:         128
        .size:           4
        .value_kind:     by_value
      - .offset:         132
        .size:           4
        .value_kind:     by_value
    .group_segment_fixed_size: 20480
    .kernarg_segment_align: 8
    .kernarg_segment_size: 136
    .language:       OpenCL C
    .language_version:
      - 2
      - 0
    .max_flat_workgroup_size: 256
    .name:           _ZN12_GLOBAL__N_120geam_min_plus_kernelId15HIP_vector_typeIdLj2EEdLi8ELi32ELi64ELi256ELi4ELi4ELi64ELi64ELi4ELc84ELc84ELb0ELb0ELb1EPKdKS4_KPdEEviiiT16_PT17_ilSA_ilS8_SA_ilPT18_ili26rocblas_geam_ex_operation_
    .private_segment_fixed_size: 400
    .sgpr_count:     28
    .sgpr_spill_count: 0
    .symbol:         _ZN12_GLOBAL__N_120geam_min_plus_kernelId15HIP_vector_typeIdLj2EEdLi8ELi32ELi64ELi256ELi4ELi4ELi64ELi64ELi4ELc84ELc84ELb0ELb0ELb1EPKdKS4_KPdEEviiiT16_PT17_ilSA_ilS8_SA_ilPT18_ili26rocblas_geam_ex_operation_.kd
    .uniform_work_group_size: 1
    .uses_dynamic_stack: false
    .vgpr_count:     256
    .vgpr_spill_count: 375
    .wavefront_size: 32
    .workgroup_processor_mode: 1
  - .args:
      - .offset:         0
        .size:           4
        .value_kind:     by_value
      - .offset:         4
        .size:           4
        .value_kind:     by_value
      - .offset:         8
        .size:           4
        .value_kind:     by_value
      - .offset:         16
        .size:           8
        .value_kind:     by_value
      - .address_space:  global
        .offset:         24
        .size:           8
        .value_kind:     global_buffer
      - .offset:         32
        .size:           4
        .value_kind:     by_value
      - .offset:         40
        .size:           8
        .value_kind:     by_value
      - .address_space:  global
        .offset:         48
        .size:           8
        .value_kind:     global_buffer
      - .offset:         56
        .size:           4
        .value_kind:     by_value
      - .offset:         64
        .size:           8
        .value_kind:     by_value
      - .offset:         72
        .size:           8
        .value_kind:     by_value
      - .address_space:  global
        .offset:         80
        .size:           8
        .value_kind:     global_buffer
      - .offset:         88
        .size:           4
        .value_kind:     by_value
      - .offset:         96
        .size:           8
        .value_kind:     by_value
      - .address_space:  global
        .offset:         104
        .size:           8
        .value_kind:     global_buffer
      - .offset:         112
        .size:           4
        .value_kind:     by_value
      - .offset:         120
        .size:           8
        .value_kind:     by_value
      - .offset:         128
        .size:           4
        .value_kind:     by_value
      - .offset:         132
        .size:           4
        .value_kind:     by_value
    .group_segment_fixed_size: 20480
    .kernarg_segment_align: 8
    .kernarg_segment_size: 136
    .language:       OpenCL C
    .language_version:
      - 2
      - 0
    .max_flat_workgroup_size: 256
    .name:           _ZN12_GLOBAL__N_120geam_min_plus_kernelId15HIP_vector_typeIdLj2EEdLi8ELi32ELi64ELi256ELi4ELi4ELi64ELi64ELi4ELc84ELc84ELb1ELb0ELb1EdKPKdKPdEEviiiT16_PT17_ilSA_ilS8_SA_ilPT18_ili26rocblas_geam_ex_operation_
    .private_segment_fixed_size: 400
    .sgpr_count:     24
    .sgpr_spill_count: 0
    .symbol:         _ZN12_GLOBAL__N_120geam_min_plus_kernelId15HIP_vector_typeIdLj2EEdLi8ELi32ELi64ELi256ELi4ELi4ELi64ELi64ELi4ELc84ELc84ELb1ELb0ELb1EdKPKdKPdEEviiiT16_PT17_ilSA_ilS8_SA_ilPT18_ili26rocblas_geam_ex_operation_.kd
    .uniform_work_group_size: 1
    .uses_dynamic_stack: false
    .vgpr_count:     256
    .vgpr_spill_count: 343
    .wavefront_size: 32
    .workgroup_processor_mode: 1
  - .args:
      - .offset:         0
        .size:           4
        .value_kind:     by_value
      - .offset:         4
        .size:           4
        .value_kind:     by_value
      - .offset:         8
        .size:           4
        .value_kind:     by_value
      - .offset:         16
        .size:           8
        .value_kind:     by_value
      - .address_space:  global
        .offset:         24
        .size:           8
        .value_kind:     global_buffer
      - .offset:         32
        .size:           4
        .value_kind:     by_value
      - .offset:         40
        .size:           8
        .value_kind:     by_value
      - .address_space:  global
        .offset:         48
        .size:           8
        .value_kind:     global_buffer
      - .offset:         56
        .size:           4
        .value_kind:     by_value
      - .offset:         64
        .size:           8
        .value_kind:     by_value
      - .offset:         72
        .size:           8
        .value_kind:     by_value
      - .address_space:  global
        .offset:         80
        .size:           8
        .value_kind:     global_buffer
      - .offset:         88
        .size:           4
        .value_kind:     by_value
      - .offset:         96
        .size:           8
        .value_kind:     by_value
      - .address_space:  global
        .offset:         104
        .size:           8
        .value_kind:     global_buffer
      - .offset:         112
        .size:           4
        .value_kind:     by_value
      - .offset:         120
        .size:           8
        .value_kind:     by_value
      - .offset:         128
        .size:           4
        .value_kind:     by_value
      - .offset:         132
        .size:           4
        .value_kind:     by_value
    .group_segment_fixed_size: 20480
    .kernarg_segment_align: 8
    .kernarg_segment_size: 136
    .language:       OpenCL C
    .language_version:
      - 2
      - 0
    .max_flat_workgroup_size: 256
    .name:           _ZN12_GLOBAL__N_120geam_min_plus_kernelId15HIP_vector_typeIdLj2EEdLi8ELi32ELi64ELi256ELi4ELi4ELi64ELi64ELi4ELc84ELc84ELb0ELb0ELb1EdKPKdKPdEEviiiT16_PT17_ilSA_ilS8_SA_ilPT18_ili26rocblas_geam_ex_operation_
    .private_segment_fixed_size: 404
    .sgpr_count:     26
    .sgpr_spill_count: 0
    .symbol:         _ZN12_GLOBAL__N_120geam_min_plus_kernelId15HIP_vector_typeIdLj2EEdLi8ELi32ELi64ELi256ELi4ELi4ELi64ELi64ELi4ELc84ELc84ELb0ELb0ELb1EdKPKdKPdEEviiiT16_PT17_ilSA_ilS8_SA_ilPT18_ili26rocblas_geam_ex_operation_.kd
    .uniform_work_group_size: 1
    .uses_dynamic_stack: false
    .vgpr_count:     256
    .vgpr_spill_count: 375
    .wavefront_size: 32
    .workgroup_processor_mode: 1
  - .args:
      - .offset:         0
        .size:           4
        .value_kind:     by_value
      - .offset:         4
        .size:           4
        .value_kind:     by_value
      - .offset:         8
        .size:           4
        .value_kind:     by_value
      - .address_space:  global
        .offset:         16
        .size:           8
        .value_kind:     global_buffer
      - .address_space:  global
        .offset:         24
        .size:           8
        .value_kind:     global_buffer
      - .offset:         32
        .size:           4
        .value_kind:     by_value
      - .offset:         40
        .size:           8
        .value_kind:     by_value
      - .address_space:  global
        .offset:         48
        .size:           8
        .value_kind:     global_buffer
      - .offset:         56
        .size:           4
        .value_kind:     by_value
      - .offset:         64
        .size:           8
        .value_kind:     by_value
      - .address_space:  global
        .offset:         72
        .size:           8
        .value_kind:     global_buffer
      - .address_space:  global
        .offset:         80
        .size:           8
        .value_kind:     global_buffer
      - .offset:         88
        .size:           4
        .value_kind:     by_value
      - .offset:         96
        .size:           8
        .value_kind:     by_value
      - .address_space:  global
        .offset:         104
        .size:           8
        .value_kind:     global_buffer
      - .offset:         112
        .size:           4
        .value_kind:     by_value
      - .offset:         120
        .size:           8
        .value_kind:     by_value
      - .offset:         128
        .size:           4
        .value_kind:     by_value
      - .offset:         132
        .size:           4
        .value_kind:     by_value
    .group_segment_fixed_size: 20480
    .kernarg_segment_align: 8
    .kernarg_segment_size: 136
    .language:       OpenCL C
    .language_version:
      - 2
      - 0
    .max_flat_workgroup_size: 256
    .name:           _ZN12_GLOBAL__N_120geam_min_plus_kernelId15HIP_vector_typeIdLj2EEdLi8ELi32ELi64ELi256ELi4ELi4ELi64ELi64ELi4ELc84ELc84ELb0ELb1ELb1EPKdKS4_KPdEEviiiT16_PT17_ilSA_ilS8_SA_ilPT18_ili26rocblas_geam_ex_operation_
    .private_segment_fixed_size: 404
    .sgpr_count:     34
    .sgpr_spill_count: 0
    .symbol:         _ZN12_GLOBAL__N_120geam_min_plus_kernelId15HIP_vector_typeIdLj2EEdLi8ELi32ELi64ELi256ELi4ELi4ELi64ELi64ELi4ELc84ELc84ELb0ELb1ELb1EPKdKS4_KPdEEviiiT16_PT17_ilSA_ilS8_SA_ilPT18_ili26rocblas_geam_ex_operation_.kd
    .uniform_work_group_size: 1
    .uses_dynamic_stack: false
    .vgpr_count:     256
    .vgpr_spill_count: 338
    .wavefront_size: 32
    .workgroup_processor_mode: 1
  - .args:
      - .offset:         0
        .size:           4
        .value_kind:     by_value
      - .offset:         4
        .size:           4
        .value_kind:     by_value
      - .offset:         8
        .size:           4
        .value_kind:     by_value
      - .offset:         16
        .size:           8
        .value_kind:     by_value
      - .address_space:  global
        .offset:         24
        .size:           8
        .value_kind:     global_buffer
      - .offset:         32
        .size:           4
        .value_kind:     by_value
      - .offset:         40
        .size:           8
        .value_kind:     by_value
      - .address_space:  global
        .offset:         48
        .size:           8
        .value_kind:     global_buffer
      - .offset:         56
        .size:           4
        .value_kind:     by_value
      - .offset:         64
        .size:           8
        .value_kind:     by_value
      - .offset:         72
        .size:           8
        .value_kind:     by_value
      - .address_space:  global
        .offset:         80
        .size:           8
        .value_kind:     global_buffer
      - .offset:         88
        .size:           4
        .value_kind:     by_value
      - .offset:         96
        .size:           8
        .value_kind:     by_value
      - .address_space:  global
        .offset:         104
        .size:           8
        .value_kind:     global_buffer
      - .offset:         112
        .size:           4
        .value_kind:     by_value
      - .offset:         120
        .size:           8
        .value_kind:     by_value
      - .offset:         128
        .size:           4
        .value_kind:     by_value
      - .offset:         132
        .size:           4
        .value_kind:     by_value
    .group_segment_fixed_size: 20480
    .kernarg_segment_align: 8
    .kernarg_segment_size: 136
    .language:       OpenCL C
    .language_version:
      - 2
      - 0
    .max_flat_workgroup_size: 256
    .name:           _ZN12_GLOBAL__N_120geam_min_plus_kernelId15HIP_vector_typeIdLj2EEdLi8ELi32ELi64ELi256ELi4ELi4ELi64ELi64ELi4ELc84ELc84ELb1ELb1ELb1EdKPKdKPdEEviiiT16_PT17_ilSA_ilS8_SA_ilPT18_ili26rocblas_geam_ex_operation_
    .private_segment_fixed_size: 424
    .sgpr_count:     32
    .sgpr_spill_count: 0
    .symbol:         _ZN12_GLOBAL__N_120geam_min_plus_kernelId15HIP_vector_typeIdLj2EEdLi8ELi32ELi64ELi256ELi4ELi4ELi64ELi64ELi4ELc84ELc84ELb1ELb1ELb1EdKPKdKPdEEviiiT16_PT17_ilSA_ilS8_SA_ilPT18_ili26rocblas_geam_ex_operation_.kd
    .uniform_work_group_size: 1
    .uses_dynamic_stack: false
    .vgpr_count:     256
    .vgpr_spill_count: 346
    .wavefront_size: 32
    .workgroup_processor_mode: 1
  - .args:
      - .offset:         0
        .size:           4
        .value_kind:     by_value
      - .offset:         4
        .size:           4
        .value_kind:     by_value
      - .offset:         8
        .size:           4
        .value_kind:     by_value
      - .offset:         16
        .size:           8
        .value_kind:     by_value
      - .address_space:  global
        .offset:         24
        .size:           8
        .value_kind:     global_buffer
      - .offset:         32
        .size:           4
        .value_kind:     by_value
      - .offset:         40
        .size:           8
        .value_kind:     by_value
      - .address_space:  global
        .offset:         48
        .size:           8
        .value_kind:     global_buffer
      - .offset:         56
        .size:           4
        .value_kind:     by_value
      - .offset:         64
        .size:           8
        .value_kind:     by_value
      - .offset:         72
        .size:           8
        .value_kind:     by_value
      - .address_space:  global
        .offset:         80
        .size:           8
        .value_kind:     global_buffer
      - .offset:         88
        .size:           4
        .value_kind:     by_value
      - .offset:         96
        .size:           8
        .value_kind:     by_value
      - .address_space:  global
        .offset:         104
        .size:           8
        .value_kind:     global_buffer
      - .offset:         112
        .size:           4
        .value_kind:     by_value
      - .offset:         120
        .size:           8
        .value_kind:     by_value
      - .offset:         128
        .size:           4
        .value_kind:     by_value
      - .offset:         132
        .size:           4
        .value_kind:     by_value
    .group_segment_fixed_size: 20480
    .kernarg_segment_align: 8
    .kernarg_segment_size: 136
    .language:       OpenCL C
    .language_version:
      - 2
      - 0
    .max_flat_workgroup_size: 256
    .name:           _ZN12_GLOBAL__N_120geam_min_plus_kernelId15HIP_vector_typeIdLj2EEdLi8ELi32ELi64ELi256ELi4ELi4ELi64ELi64ELi4ELc84ELc84ELb0ELb1ELb1EdKPKdKPdEEviiiT16_PT17_ilSA_ilS8_SA_ilPT18_ili26rocblas_geam_ex_operation_
    .private_segment_fixed_size: 404
    .sgpr_count:     34
    .sgpr_spill_count: 0
    .symbol:         _ZN12_GLOBAL__N_120geam_min_plus_kernelId15HIP_vector_typeIdLj2EEdLi8ELi32ELi64ELi256ELi4ELi4ELi64ELi64ELi4ELc84ELc84ELb0ELb1ELb1EdKPKdKPdEEviiiT16_PT17_ilSA_ilS8_SA_ilPT18_ili26rocblas_geam_ex_operation_.kd
    .uniform_work_group_size: 1
    .uses_dynamic_stack: false
    .vgpr_count:     256
    .vgpr_spill_count: 338
    .wavefront_size: 32
    .workgroup_processor_mode: 1
  - .args:
      - .offset:         0
        .size:           4
        .value_kind:     by_value
      - .offset:         4
        .size:           4
        .value_kind:     by_value
      - .offset:         8
        .size:           4
        .value_kind:     by_value
      - .address_space:  global
        .offset:         16
        .size:           8
        .value_kind:     global_buffer
      - .address_space:  global
        .offset:         24
        .size:           8
        .value_kind:     global_buffer
      - .offset:         32
        .size:           4
        .value_kind:     by_value
      - .offset:         40
        .size:           8
        .value_kind:     by_value
      - .address_space:  global
        .offset:         48
        .size:           8
        .value_kind:     global_buffer
      - .offset:         56
        .size:           4
        .value_kind:     by_value
      - .offset:         64
        .size:           8
        .value_kind:     by_value
      - .address_space:  global
        .offset:         72
        .size:           8
        .value_kind:     global_buffer
      - .address_space:  global
        .offset:         80
        .size:           8
        .value_kind:     global_buffer
      - .offset:         88
        .size:           4
        .value_kind:     by_value
      - .offset:         96
        .size:           8
        .value_kind:     by_value
      - .address_space:  global
        .offset:         104
        .size:           8
        .value_kind:     global_buffer
      - .offset:         112
        .size:           4
        .value_kind:     by_value
      - .offset:         120
        .size:           8
        .value_kind:     by_value
      - .offset:         128
        .size:           4
        .value_kind:     by_value
      - .offset:         132
        .size:           4
        .value_kind:     by_value
    .group_segment_fixed_size: 16384
    .kernarg_segment_align: 8
    .kernarg_segment_size: 136
    .language:       OpenCL C
    .language_version:
      - 2
      - 0
    .max_flat_workgroup_size: 256
    .name:           _ZN12_GLOBAL__N_120geam_min_plus_kernelIdddLi4ELi64ELi128ELi128ELi4ELi64ELi4ELi4ELi64ELc78ELc78ELb0ELb0ELb0EPKdKS2_KPdEEviiiT16_PT17_ilS8_ilS6_S8_ilPT18_ili26rocblas_geam_ex_operation_
    .private_segment_fixed_size: 528
    .sgpr_count:     29
    .sgpr_spill_count: 0
    .symbol:         _ZN12_GLOBAL__N_120geam_min_plus_kernelIdddLi4ELi64ELi128ELi128ELi4ELi64ELi4ELi4ELi64ELc78ELc78ELb0ELb0ELb0EPKdKS2_KPdEEviiiT16_PT17_ilS8_ilS6_S8_ilPT18_ili26rocblas_geam_ex_operation_.kd
    .uniform_work_group_size: 1
    .uses_dynamic_stack: false
    .vgpr_count:     254
    .vgpr_spill_count: 0
    .wavefront_size: 32
    .workgroup_processor_mode: 1
  - .args:
      - .offset:         0
        .size:           4
        .value_kind:     by_value
      - .offset:         4
        .size:           4
        .value_kind:     by_value
      - .offset:         8
        .size:           4
        .value_kind:     by_value
      - .offset:         16
        .size:           8
        .value_kind:     by_value
      - .address_space:  global
        .offset:         24
        .size:           8
        .value_kind:     global_buffer
      - .offset:         32
        .size:           4
        .value_kind:     by_value
      - .offset:         40
        .size:           8
        .value_kind:     by_value
      - .address_space:  global
        .offset:         48
        .size:           8
        .value_kind:     global_buffer
      - .offset:         56
        .size:           4
        .value_kind:     by_value
      - .offset:         64
        .size:           8
        .value_kind:     by_value
      - .offset:         72
        .size:           8
        .value_kind:     by_value
      - .address_space:  global
        .offset:         80
        .size:           8
        .value_kind:     global_buffer
      - .offset:         88
        .size:           4
        .value_kind:     by_value
      - .offset:         96
        .size:           8
        .value_kind:     by_value
      - .address_space:  global
        .offset:         104
        .size:           8
        .value_kind:     global_buffer
      - .offset:         112
        .size:           4
        .value_kind:     by_value
      - .offset:         120
        .size:           8
        .value_kind:     by_value
      - .offset:         128
        .size:           4
        .value_kind:     by_value
      - .offset:         132
        .size:           4
        .value_kind:     by_value
    .group_segment_fixed_size: 16384
    .kernarg_segment_align: 8
    .kernarg_segment_size: 136
    .language:       OpenCL C
    .language_version:
      - 2
      - 0
    .max_flat_workgroup_size: 256
    .name:           _ZN12_GLOBAL__N_120geam_min_plus_kernelIdddLi4ELi64ELi128ELi128ELi4ELi64ELi4ELi4ELi64ELc78ELc78ELb1ELb0ELb0EdKPKdKPdEEviiiT16_PT17_ilS8_ilS6_S8_ilPT18_ili26rocblas_geam_ex_operation_
    .private_segment_fixed_size: 528
    .sgpr_count:     24
    .sgpr_spill_count: 0
    .symbol:         _ZN12_GLOBAL__N_120geam_min_plus_kernelIdddLi4ELi64ELi128ELi128ELi4ELi64ELi4ELi4ELi64ELc78ELc78ELb1ELb0ELb0EdKPKdKPdEEviiiT16_PT17_ilS8_ilS6_S8_ilPT18_ili26rocblas_geam_ex_operation_.kd
    .uniform_work_group_size: 1
    .uses_dynamic_stack: false
    .vgpr_count:     256
    .vgpr_spill_count: 0
    .wavefront_size: 32
    .workgroup_processor_mode: 1
  - .args:
      - .offset:         0
        .size:           4
        .value_kind:     by_value
      - .offset:         4
        .size:           4
        .value_kind:     by_value
      - .offset:         8
        .size:           4
        .value_kind:     by_value
      - .offset:         16
        .size:           8
        .value_kind:     by_value
      - .address_space:  global
        .offset:         24
        .size:           8
        .value_kind:     global_buffer
      - .offset:         32
        .size:           4
        .value_kind:     by_value
      - .offset:         40
        .size:           8
        .value_kind:     by_value
      - .address_space:  global
        .offset:         48
        .size:           8
        .value_kind:     global_buffer
      - .offset:         56
        .size:           4
        .value_kind:     by_value
      - .offset:         64
        .size:           8
        .value_kind:     by_value
      - .offset:         72
        .size:           8
        .value_kind:     by_value
      - .address_space:  global
        .offset:         80
        .size:           8
        .value_kind:     global_buffer
      - .offset:         88
        .size:           4
        .value_kind:     by_value
      - .offset:         96
        .size:           8
        .value_kind:     by_value
      - .address_space:  global
        .offset:         104
        .size:           8
        .value_kind:     global_buffer
      - .offset:         112
        .size:           4
        .value_kind:     by_value
      - .offset:         120
        .size:           8
        .value_kind:     by_value
      - .offset:         128
        .size:           4
        .value_kind:     by_value
      - .offset:         132
        .size:           4
        .value_kind:     by_value
    .group_segment_fixed_size: 16384
    .kernarg_segment_align: 8
    .kernarg_segment_size: 136
    .language:       OpenCL C
    .language_version:
      - 2
      - 0
    .max_flat_workgroup_size: 256
    .name:           _ZN12_GLOBAL__N_120geam_min_plus_kernelIdddLi4ELi64ELi128ELi128ELi4ELi64ELi4ELi4ELi64ELc78ELc78ELb0ELb0ELb0EdKPKdKPdEEviiiT16_PT17_ilS8_ilS6_S8_ilPT18_ili26rocblas_geam_ex_operation_
    .private_segment_fixed_size: 528
    .sgpr_count:     27
    .sgpr_spill_count: 0
    .symbol:         _ZN12_GLOBAL__N_120geam_min_plus_kernelIdddLi4ELi64ELi128ELi128ELi4ELi64ELi4ELi4ELi64ELc78ELc78ELb0ELb0ELb0EdKPKdKPdEEviiiT16_PT17_ilS8_ilS6_S8_ilPT18_ili26rocblas_geam_ex_operation_.kd
    .uniform_work_group_size: 1
    .uses_dynamic_stack: false
    .vgpr_count:     254
    .vgpr_spill_count: 0
    .wavefront_size: 32
    .workgroup_processor_mode: 1
  - .args:
      - .offset:         0
        .size:           4
        .value_kind:     by_value
      - .offset:         4
        .size:           4
        .value_kind:     by_value
      - .offset:         8
        .size:           4
        .value_kind:     by_value
      - .address_space:  global
        .offset:         16
        .size:           8
        .value_kind:     global_buffer
      - .address_space:  global
        .offset:         24
        .size:           8
        .value_kind:     global_buffer
      - .offset:         32
        .size:           4
        .value_kind:     by_value
      - .offset:         40
        .size:           8
        .value_kind:     by_value
      - .address_space:  global
        .offset:         48
        .size:           8
        .value_kind:     global_buffer
      - .offset:         56
        .size:           4
        .value_kind:     by_value
      - .offset:         64
        .size:           8
        .value_kind:     by_value
      - .address_space:  global
        .offset:         72
        .size:           8
        .value_kind:     global_buffer
      - .address_space:  global
        .offset:         80
        .size:           8
        .value_kind:     global_buffer
      - .offset:         88
        .size:           4
        .value_kind:     by_value
      - .offset:         96
        .size:           8
        .value_kind:     by_value
      - .address_space:  global
        .offset:         104
        .size:           8
        .value_kind:     global_buffer
      - .offset:         112
        .size:           4
        .value_kind:     by_value
      - .offset:         120
        .size:           8
        .value_kind:     by_value
      - .offset:         128
        .size:           4
        .value_kind:     by_value
      - .offset:         132
        .size:           4
        .value_kind:     by_value
    .group_segment_fixed_size: 16384
    .kernarg_segment_align: 8
    .kernarg_segment_size: 136
    .language:       OpenCL C
    .language_version:
      - 2
      - 0
    .max_flat_workgroup_size: 256
    .name:           _ZN12_GLOBAL__N_120geam_min_plus_kernelIdddLi4ELi64ELi128ELi128ELi4ELi64ELi4ELi4ELi64ELc78ELc78ELb0ELb1ELb0EPKdKS2_KPdEEviiiT16_PT17_ilS8_ilS6_S8_ilPT18_ili26rocblas_geam_ex_operation_
    .private_segment_fixed_size: 528
    .sgpr_count:     48
    .sgpr_spill_count: 0
    .symbol:         _ZN12_GLOBAL__N_120geam_min_plus_kernelIdddLi4ELi64ELi128ELi128ELi4ELi64ELi4ELi4ELi64ELc78ELc78ELb0ELb1ELb0EPKdKS2_KPdEEviiiT16_PT17_ilS8_ilS6_S8_ilPT18_ili26rocblas_geam_ex_operation_.kd
    .uniform_work_group_size: 1
    .uses_dynamic_stack: false
    .vgpr_count:     253
    .vgpr_spill_count: 0
    .wavefront_size: 32
    .workgroup_processor_mode: 1
  - .args:
      - .offset:         0
        .size:           4
        .value_kind:     by_value
      - .offset:         4
        .size:           4
        .value_kind:     by_value
      - .offset:         8
        .size:           4
        .value_kind:     by_value
      - .offset:         16
        .size:           8
        .value_kind:     by_value
      - .address_space:  global
        .offset:         24
        .size:           8
        .value_kind:     global_buffer
      - .offset:         32
        .size:           4
        .value_kind:     by_value
      - .offset:         40
        .size:           8
        .value_kind:     by_value
      - .address_space:  global
        .offset:         48
        .size:           8
        .value_kind:     global_buffer
      - .offset:         56
        .size:           4
        .value_kind:     by_value
      - .offset:         64
        .size:           8
        .value_kind:     by_value
      - .offset:         72
        .size:           8
        .value_kind:     by_value
      - .address_space:  global
        .offset:         80
        .size:           8
        .value_kind:     global_buffer
      - .offset:         88
        .size:           4
        .value_kind:     by_value
      - .offset:         96
        .size:           8
        .value_kind:     by_value
      - .address_space:  global
        .offset:         104
        .size:           8
        .value_kind:     global_buffer
      - .offset:         112
        .size:           4
        .value_kind:     by_value
      - .offset:         120
        .size:           8
        .value_kind:     by_value
      - .offset:         128
        .size:           4
        .value_kind:     by_value
      - .offset:         132
        .size:           4
        .value_kind:     by_value
    .group_segment_fixed_size: 16384
    .kernarg_segment_align: 8
    .kernarg_segment_size: 136
    .language:       OpenCL C
    .language_version:
      - 2
      - 0
    .max_flat_workgroup_size: 256
    .name:           _ZN12_GLOBAL__N_120geam_min_plus_kernelIdddLi4ELi64ELi128ELi128ELi4ELi64ELi4ELi4ELi64ELc78ELc78ELb1ELb1ELb0EdKPKdKPdEEviiiT16_PT17_ilS8_ilS6_S8_ilPT18_ili26rocblas_geam_ex_operation_
    .private_segment_fixed_size: 528
    .sgpr_count:     48
    .sgpr_spill_count: 0
    .symbol:         _ZN12_GLOBAL__N_120geam_min_plus_kernelIdddLi4ELi64ELi128ELi128ELi4ELi64ELi4ELi4ELi64ELc78ELc78ELb1ELb1ELb0EdKPKdKPdEEviiiT16_PT17_ilS8_ilS6_S8_ilPT18_ili26rocblas_geam_ex_operation_.kd
    .uniform_work_group_size: 1
    .uses_dynamic_stack: false
    .vgpr_count:     253
    .vgpr_spill_count: 0
    .wavefront_size: 32
    .workgroup_processor_mode: 1
  - .args:
      - .offset:         0
        .size:           4
        .value_kind:     by_value
      - .offset:         4
        .size:           4
        .value_kind:     by_value
      - .offset:         8
        .size:           4
        .value_kind:     by_value
      - .offset:         16
        .size:           8
        .value_kind:     by_value
      - .address_space:  global
        .offset:         24
        .size:           8
        .value_kind:     global_buffer
      - .offset:         32
        .size:           4
        .value_kind:     by_value
      - .offset:         40
        .size:           8
        .value_kind:     by_value
      - .address_space:  global
        .offset:         48
        .size:           8
        .value_kind:     global_buffer
      - .offset:         56
        .size:           4
        .value_kind:     by_value
      - .offset:         64
        .size:           8
        .value_kind:     by_value
      - .offset:         72
        .size:           8
        .value_kind:     by_value
      - .address_space:  global
        .offset:         80
        .size:           8
        .value_kind:     global_buffer
      - .offset:         88
        .size:           4
        .value_kind:     by_value
      - .offset:         96
        .size:           8
        .value_kind:     by_value
      - .address_space:  global
        .offset:         104
        .size:           8
        .value_kind:     global_buffer
      - .offset:         112
        .size:           4
        .value_kind:     by_value
      - .offset:         120
        .size:           8
        .value_kind:     by_value
      - .offset:         128
        .size:           4
        .value_kind:     by_value
      - .offset:         132
        .size:           4
        .value_kind:     by_value
    .group_segment_fixed_size: 16384
    .kernarg_segment_align: 8
    .kernarg_segment_size: 136
    .language:       OpenCL C
    .language_version:
      - 2
      - 0
    .max_flat_workgroup_size: 256
    .name:           _ZN12_GLOBAL__N_120geam_min_plus_kernelIdddLi4ELi64ELi128ELi128ELi4ELi64ELi4ELi4ELi64ELc78ELc78ELb0ELb1ELb0EdKPKdKPdEEviiiT16_PT17_ilS8_ilS6_S8_ilPT18_ili26rocblas_geam_ex_operation_
    .private_segment_fixed_size: 528
    .sgpr_count:     48
    .sgpr_spill_count: 0
    .symbol:         _ZN12_GLOBAL__N_120geam_min_plus_kernelIdddLi4ELi64ELi128ELi128ELi4ELi64ELi4ELi4ELi64ELc78ELc78ELb0ELb1ELb0EdKPKdKPdEEviiiT16_PT17_ilS8_ilS6_S8_ilPT18_ili26rocblas_geam_ex_operation_.kd
    .uniform_work_group_size: 1
    .uses_dynamic_stack: false
    .vgpr_count:     253
    .vgpr_spill_count: 0
    .wavefront_size: 32
    .workgroup_processor_mode: 1
  - .args:
      - .offset:         0
        .size:           4
        .value_kind:     by_value
      - .offset:         4
        .size:           4
        .value_kind:     by_value
      - .offset:         8
        .size:           4
        .value_kind:     by_value
      - .address_space:  global
        .offset:         16
        .size:           8
        .value_kind:     global_buffer
      - .address_space:  global
        .offset:         24
        .size:           8
        .value_kind:     global_buffer
      - .offset:         32
        .size:           4
        .value_kind:     by_value
      - .offset:         40
        .size:           8
        .value_kind:     by_value
      - .address_space:  global
        .offset:         48
        .size:           8
        .value_kind:     global_buffer
      - .offset:         56
        .size:           4
        .value_kind:     by_value
      - .offset:         64
        .size:           8
        .value_kind:     by_value
      - .address_space:  global
        .offset:         72
        .size:           8
        .value_kind:     global_buffer
      - .address_space:  global
        .offset:         80
        .size:           8
        .value_kind:     global_buffer
      - .offset:         88
        .size:           4
        .value_kind:     by_value
      - .offset:         96
        .size:           8
        .value_kind:     by_value
      - .address_space:  global
        .offset:         104
        .size:           8
        .value_kind:     global_buffer
      - .offset:         112
        .size:           4
        .value_kind:     by_value
      - .offset:         120
        .size:           8
        .value_kind:     by_value
      - .offset:         128
        .size:           4
        .value_kind:     by_value
      - .offset:         132
        .size:           4
        .value_kind:     by_value
    .group_segment_fixed_size: 16384
    .kernarg_segment_align: 8
    .kernarg_segment_size: 136
    .language:       OpenCL C
    .language_version:
      - 2
      - 0
    .max_flat_workgroup_size: 256
    .name:           _ZN12_GLOBAL__N_120geam_min_plus_kernelIdddLi4ELi64ELi128ELi128ELi4ELi4ELi64ELi4ELi64ELc84ELc78ELb0ELb0ELb0EPKdKS2_KPdEEviiiT16_PT17_ilS8_ilS6_S8_ilPT18_ili26rocblas_geam_ex_operation_
    .private_segment_fixed_size: 528
    .sgpr_count:     29
    .sgpr_spill_count: 0
    .symbol:         _ZN12_GLOBAL__N_120geam_min_plus_kernelIdddLi4ELi64ELi128ELi128ELi4ELi4ELi64ELi4ELi64ELc84ELc78ELb0ELb0ELb0EPKdKS2_KPdEEviiiT16_PT17_ilS8_ilS6_S8_ilPT18_ili26rocblas_geam_ex_operation_.kd
    .uniform_work_group_size: 1
    .uses_dynamic_stack: false
    .vgpr_count:     250
    .vgpr_spill_count: 0
    .wavefront_size: 32
    .workgroup_processor_mode: 1
  - .args:
      - .offset:         0
        .size:           4
        .value_kind:     by_value
      - .offset:         4
        .size:           4
        .value_kind:     by_value
      - .offset:         8
        .size:           4
        .value_kind:     by_value
      - .offset:         16
        .size:           8
        .value_kind:     by_value
      - .address_space:  global
        .offset:         24
        .size:           8
        .value_kind:     global_buffer
      - .offset:         32
        .size:           4
        .value_kind:     by_value
      - .offset:         40
        .size:           8
        .value_kind:     by_value
      - .address_space:  global
        .offset:         48
        .size:           8
        .value_kind:     global_buffer
      - .offset:         56
        .size:           4
        .value_kind:     by_value
      - .offset:         64
        .size:           8
        .value_kind:     by_value
      - .offset:         72
        .size:           8
        .value_kind:     by_value
      - .address_space:  global
        .offset:         80
        .size:           8
        .value_kind:     global_buffer
      - .offset:         88
        .size:           4
        .value_kind:     by_value
      - .offset:         96
        .size:           8
        .value_kind:     by_value
      - .address_space:  global
        .offset:         104
        .size:           8
        .value_kind:     global_buffer
      - .offset:         112
        .size:           4
        .value_kind:     by_value
      - .offset:         120
        .size:           8
        .value_kind:     by_value
      - .offset:         128
        .size:           4
        .value_kind:     by_value
      - .offset:         132
        .size:           4
        .value_kind:     by_value
    .group_segment_fixed_size: 16384
    .kernarg_segment_align: 8
    .kernarg_segment_size: 136
    .language:       OpenCL C
    .language_version:
      - 2
      - 0
    .max_flat_workgroup_size: 256
    .name:           _ZN12_GLOBAL__N_120geam_min_plus_kernelIdddLi4ELi64ELi128ELi128ELi4ELi4ELi64ELi4ELi64ELc84ELc78ELb1ELb0ELb0EdKPKdKPdEEviiiT16_PT17_ilS8_ilS6_S8_ilPT18_ili26rocblas_geam_ex_operation_
    .private_segment_fixed_size: 528
    .sgpr_count:     24
    .sgpr_spill_count: 0
    .symbol:         _ZN12_GLOBAL__N_120geam_min_plus_kernelIdddLi4ELi64ELi128ELi128ELi4ELi4ELi64ELi4ELi64ELc84ELc78ELb1ELb0ELb0EdKPKdKPdEEviiiT16_PT17_ilS8_ilS6_S8_ilPT18_ili26rocblas_geam_ex_operation_.kd
    .uniform_work_group_size: 1
    .uses_dynamic_stack: false
    .vgpr_count:     254
    .vgpr_spill_count: 0
    .wavefront_size: 32
    .workgroup_processor_mode: 1
  - .args:
      - .offset:         0
        .size:           4
        .value_kind:     by_value
      - .offset:         4
        .size:           4
        .value_kind:     by_value
      - .offset:         8
        .size:           4
        .value_kind:     by_value
      - .offset:         16
        .size:           8
        .value_kind:     by_value
      - .address_space:  global
        .offset:         24
        .size:           8
        .value_kind:     global_buffer
      - .offset:         32
        .size:           4
        .value_kind:     by_value
      - .offset:         40
        .size:           8
        .value_kind:     by_value
      - .address_space:  global
        .offset:         48
        .size:           8
        .value_kind:     global_buffer
      - .offset:         56
        .size:           4
        .value_kind:     by_value
      - .offset:         64
        .size:           8
        .value_kind:     by_value
      - .offset:         72
        .size:           8
        .value_kind:     by_value
      - .address_space:  global
        .offset:         80
        .size:           8
        .value_kind:     global_buffer
      - .offset:         88
        .size:           4
        .value_kind:     by_value
      - .offset:         96
        .size:           8
        .value_kind:     by_value
      - .address_space:  global
        .offset:         104
        .size:           8
        .value_kind:     global_buffer
      - .offset:         112
        .size:           4
        .value_kind:     by_value
      - .offset:         120
        .size:           8
        .value_kind:     by_value
      - .offset:         128
        .size:           4
        .value_kind:     by_value
      - .offset:         132
        .size:           4
        .value_kind:     by_value
    .group_segment_fixed_size: 16384
    .kernarg_segment_align: 8
    .kernarg_segment_size: 136
    .language:       OpenCL C
    .language_version:
      - 2
      - 0
    .max_flat_workgroup_size: 256
    .name:           _ZN12_GLOBAL__N_120geam_min_plus_kernelIdddLi4ELi64ELi128ELi128ELi4ELi4ELi64ELi4ELi64ELc84ELc78ELb0ELb0ELb0EdKPKdKPdEEviiiT16_PT17_ilS8_ilS6_S8_ilPT18_ili26rocblas_geam_ex_operation_
    .private_segment_fixed_size: 528
    .sgpr_count:     27
    .sgpr_spill_count: 0
    .symbol:         _ZN12_GLOBAL__N_120geam_min_plus_kernelIdddLi4ELi64ELi128ELi128ELi4ELi4ELi64ELi4ELi64ELc84ELc78ELb0ELb0ELb0EdKPKdKPdEEviiiT16_PT17_ilS8_ilS6_S8_ilPT18_ili26rocblas_geam_ex_operation_.kd
    .uniform_work_group_size: 1
    .uses_dynamic_stack: false
    .vgpr_count:     250
    .vgpr_spill_count: 0
    .wavefront_size: 32
    .workgroup_processor_mode: 1
  - .args:
      - .offset:         0
        .size:           4
        .value_kind:     by_value
      - .offset:         4
        .size:           4
        .value_kind:     by_value
      - .offset:         8
        .size:           4
        .value_kind:     by_value
      - .address_space:  global
        .offset:         16
        .size:           8
        .value_kind:     global_buffer
      - .address_space:  global
        .offset:         24
        .size:           8
        .value_kind:     global_buffer
      - .offset:         32
        .size:           4
        .value_kind:     by_value
      - .offset:         40
        .size:           8
        .value_kind:     by_value
      - .address_space:  global
        .offset:         48
        .size:           8
        .value_kind:     global_buffer
      - .offset:         56
        .size:           4
        .value_kind:     by_value
      - .offset:         64
        .size:           8
        .value_kind:     by_value
      - .address_space:  global
        .offset:         72
        .size:           8
        .value_kind:     global_buffer
      - .address_space:  global
        .offset:         80
        .size:           8
        .value_kind:     global_buffer
      - .offset:         88
        .size:           4
        .value_kind:     by_value
      - .offset:         96
        .size:           8
        .value_kind:     by_value
      - .address_space:  global
        .offset:         104
        .size:           8
        .value_kind:     global_buffer
      - .offset:         112
        .size:           4
        .value_kind:     by_value
      - .offset:         120
        .size:           8
        .value_kind:     by_value
      - .offset:         128
        .size:           4
        .value_kind:     by_value
      - .offset:         132
        .size:           4
        .value_kind:     by_value
    .group_segment_fixed_size: 16384
    .kernarg_segment_align: 8
    .kernarg_segment_size: 136
    .language:       OpenCL C
    .language_version:
      - 2
      - 0
    .max_flat_workgroup_size: 256
    .name:           _ZN12_GLOBAL__N_120geam_min_plus_kernelIdddLi4ELi64ELi128ELi128ELi4ELi4ELi64ELi4ELi64ELc84ELc78ELb0ELb1ELb0EPKdKS2_KPdEEviiiT16_PT17_ilS8_ilS6_S8_ilPT18_ili26rocblas_geam_ex_operation_
    .private_segment_fixed_size: 528
    .sgpr_count:     48
    .sgpr_spill_count: 0
    .symbol:         _ZN12_GLOBAL__N_120geam_min_plus_kernelIdddLi4ELi64ELi128ELi128ELi4ELi4ELi64ELi4ELi64ELc84ELc78ELb0ELb1ELb0EPKdKS2_KPdEEviiiT16_PT17_ilS8_ilS6_S8_ilPT18_ili26rocblas_geam_ex_operation_.kd
    .uniform_work_group_size: 1
    .uses_dynamic_stack: false
    .vgpr_count:     250
    .vgpr_spill_count: 0
    .wavefront_size: 32
    .workgroup_processor_mode: 1
  - .args:
      - .offset:         0
        .size:           4
        .value_kind:     by_value
      - .offset:         4
        .size:           4
        .value_kind:     by_value
      - .offset:         8
        .size:           4
        .value_kind:     by_value
      - .offset:         16
        .size:           8
        .value_kind:     by_value
      - .address_space:  global
        .offset:         24
        .size:           8
        .value_kind:     global_buffer
      - .offset:         32
        .size:           4
        .value_kind:     by_value
      - .offset:         40
        .size:           8
        .value_kind:     by_value
      - .address_space:  global
        .offset:         48
        .size:           8
        .value_kind:     global_buffer
      - .offset:         56
        .size:           4
        .value_kind:     by_value
      - .offset:         64
        .size:           8
        .value_kind:     by_value
      - .offset:         72
        .size:           8
        .value_kind:     by_value
      - .address_space:  global
        .offset:         80
        .size:           8
        .value_kind:     global_buffer
      - .offset:         88
        .size:           4
        .value_kind:     by_value
      - .offset:         96
        .size:           8
        .value_kind:     by_value
      - .address_space:  global
        .offset:         104
        .size:           8
        .value_kind:     global_buffer
      - .offset:         112
        .size:           4
        .value_kind:     by_value
      - .offset:         120
        .size:           8
        .value_kind:     by_value
      - .offset:         128
        .size:           4
        .value_kind:     by_value
      - .offset:         132
        .size:           4
        .value_kind:     by_value
    .group_segment_fixed_size: 16384
    .kernarg_segment_align: 8
    .kernarg_segment_size: 136
    .language:       OpenCL C
    .language_version:
      - 2
      - 0
    .max_flat_workgroup_size: 256
    .name:           _ZN12_GLOBAL__N_120geam_min_plus_kernelIdddLi4ELi64ELi128ELi128ELi4ELi4ELi64ELi4ELi64ELc84ELc78ELb1ELb1ELb0EdKPKdKPdEEviiiT16_PT17_ilS8_ilS6_S8_ilPT18_ili26rocblas_geam_ex_operation_
    .private_segment_fixed_size: 528
    .sgpr_count:     48
    .sgpr_spill_count: 0
    .symbol:         _ZN12_GLOBAL__N_120geam_min_plus_kernelIdddLi4ELi64ELi128ELi128ELi4ELi4ELi64ELi4ELi64ELc84ELc78ELb1ELb1ELb0EdKPKdKPdEEviiiT16_PT17_ilS8_ilS6_S8_ilPT18_ili26rocblas_geam_ex_operation_.kd
    .uniform_work_group_size: 1
    .uses_dynamic_stack: false
    .vgpr_count:     250
    .vgpr_spill_count: 0
    .wavefront_size: 32
    .workgroup_processor_mode: 1
  - .args:
      - .offset:         0
        .size:           4
        .value_kind:     by_value
      - .offset:         4
        .size:           4
        .value_kind:     by_value
      - .offset:         8
        .size:           4
        .value_kind:     by_value
      - .offset:         16
        .size:           8
        .value_kind:     by_value
      - .address_space:  global
        .offset:         24
        .size:           8
        .value_kind:     global_buffer
      - .offset:         32
        .size:           4
        .value_kind:     by_value
      - .offset:         40
        .size:           8
        .value_kind:     by_value
      - .address_space:  global
        .offset:         48
        .size:           8
        .value_kind:     global_buffer
      - .offset:         56
        .size:           4
        .value_kind:     by_value
      - .offset:         64
        .size:           8
        .value_kind:     by_value
      - .offset:         72
        .size:           8
        .value_kind:     by_value
      - .address_space:  global
        .offset:         80
        .size:           8
        .value_kind:     global_buffer
      - .offset:         88
        .size:           4
        .value_kind:     by_value
      - .offset:         96
        .size:           8
        .value_kind:     by_value
      - .address_space:  global
        .offset:         104
        .size:           8
        .value_kind:     global_buffer
      - .offset:         112
        .size:           4
        .value_kind:     by_value
      - .offset:         120
        .size:           8
        .value_kind:     by_value
      - .offset:         128
        .size:           4
        .value_kind:     by_value
      - .offset:         132
        .size:           4
        .value_kind:     by_value
    .group_segment_fixed_size: 16384
    .kernarg_segment_align: 8
    .kernarg_segment_size: 136
    .language:       OpenCL C
    .language_version:
      - 2
      - 0
    .max_flat_workgroup_size: 256
    .name:           _ZN12_GLOBAL__N_120geam_min_plus_kernelIdddLi4ELi64ELi128ELi128ELi4ELi4ELi64ELi4ELi64ELc84ELc78ELb0ELb1ELb0EdKPKdKPdEEviiiT16_PT17_ilS8_ilS6_S8_ilPT18_ili26rocblas_geam_ex_operation_
    .private_segment_fixed_size: 528
    .sgpr_count:     48
    .sgpr_spill_count: 0
    .symbol:         _ZN12_GLOBAL__N_120geam_min_plus_kernelIdddLi4ELi64ELi128ELi128ELi4ELi4ELi64ELi4ELi64ELc84ELc78ELb0ELb1ELb0EdKPKdKPdEEviiiT16_PT17_ilS8_ilS6_S8_ilPT18_ili26rocblas_geam_ex_operation_.kd
    .uniform_work_group_size: 1
    .uses_dynamic_stack: false
    .vgpr_count:     250
    .vgpr_spill_count: 0
    .wavefront_size: 32
    .workgroup_processor_mode: 1
  - .args:
      - .offset:         0
        .size:           4
        .value_kind:     by_value
      - .offset:         4
        .size:           4
        .value_kind:     by_value
      - .offset:         8
        .size:           4
        .value_kind:     by_value
      - .address_space:  global
        .offset:         16
        .size:           8
        .value_kind:     global_buffer
      - .address_space:  global
        .offset:         24
        .size:           8
        .value_kind:     global_buffer
      - .offset:         32
        .size:           4
        .value_kind:     by_value
      - .offset:         40
        .size:           8
        .value_kind:     by_value
      - .address_space:  global
        .offset:         48
        .size:           8
        .value_kind:     global_buffer
      - .offset:         56
        .size:           4
        .value_kind:     by_value
      - .offset:         64
        .size:           8
        .value_kind:     by_value
      - .address_space:  global
        .offset:         72
        .size:           8
        .value_kind:     global_buffer
      - .address_space:  global
        .offset:         80
        .size:           8
        .value_kind:     global_buffer
      - .offset:         88
        .size:           4
        .value_kind:     by_value
      - .offset:         96
        .size:           8
        .value_kind:     by_value
      - .address_space:  global
        .offset:         104
        .size:           8
        .value_kind:     global_buffer
      - .offset:         112
        .size:           4
        .value_kind:     by_value
      - .offset:         120
        .size:           8
        .value_kind:     by_value
      - .offset:         128
        .size:           4
        .value_kind:     by_value
      - .offset:         132
        .size:           4
        .value_kind:     by_value
    .group_segment_fixed_size: 16384
    .kernarg_segment_align: 8
    .kernarg_segment_size: 136
    .language:       OpenCL C
    .language_version:
      - 2
      - 0
    .max_flat_workgroup_size: 256
    .name:           _ZN12_GLOBAL__N_120geam_min_plus_kernelIdddLi4ELi64ELi128ELi128ELi4ELi64ELi4ELi64ELi4ELc78ELc84ELb0ELb0ELb0EPKdKS2_KPdEEviiiT16_PT17_ilS8_ilS6_S8_ilPT18_ili26rocblas_geam_ex_operation_
    .private_segment_fixed_size: 528
    .sgpr_count:     29
    .sgpr_spill_count: 0
    .symbol:         _ZN12_GLOBAL__N_120geam_min_plus_kernelIdddLi4ELi64ELi128ELi128ELi4ELi64ELi4ELi64ELi4ELc78ELc84ELb0ELb0ELb0EPKdKS2_KPdEEviiiT16_PT17_ilS8_ilS6_S8_ilPT18_ili26rocblas_geam_ex_operation_.kd
    .uniform_work_group_size: 1
    .uses_dynamic_stack: false
    .vgpr_count:     252
    .vgpr_spill_count: 0
    .wavefront_size: 32
    .workgroup_processor_mode: 1
  - .args:
      - .offset:         0
        .size:           4
        .value_kind:     by_value
      - .offset:         4
        .size:           4
        .value_kind:     by_value
      - .offset:         8
        .size:           4
        .value_kind:     by_value
      - .offset:         16
        .size:           8
        .value_kind:     by_value
      - .address_space:  global
        .offset:         24
        .size:           8
        .value_kind:     global_buffer
      - .offset:         32
        .size:           4
        .value_kind:     by_value
      - .offset:         40
        .size:           8
        .value_kind:     by_value
      - .address_space:  global
        .offset:         48
        .size:           8
        .value_kind:     global_buffer
      - .offset:         56
        .size:           4
        .value_kind:     by_value
      - .offset:         64
        .size:           8
        .value_kind:     by_value
      - .offset:         72
        .size:           8
        .value_kind:     by_value
      - .address_space:  global
        .offset:         80
        .size:           8
        .value_kind:     global_buffer
      - .offset:         88
        .size:           4
        .value_kind:     by_value
      - .offset:         96
        .size:           8
        .value_kind:     by_value
      - .address_space:  global
        .offset:         104
        .size:           8
        .value_kind:     global_buffer
      - .offset:         112
        .size:           4
        .value_kind:     by_value
      - .offset:         120
        .size:           8
        .value_kind:     by_value
      - .offset:         128
        .size:           4
        .value_kind:     by_value
      - .offset:         132
        .size:           4
        .value_kind:     by_value
    .group_segment_fixed_size: 16384
    .kernarg_segment_align: 8
    .kernarg_segment_size: 136
    .language:       OpenCL C
    .language_version:
      - 2
      - 0
    .max_flat_workgroup_size: 256
    .name:           _ZN12_GLOBAL__N_120geam_min_plus_kernelIdddLi4ELi64ELi128ELi128ELi4ELi64ELi4ELi64ELi4ELc78ELc84ELb1ELb0ELb0EdKPKdKPdEEviiiT16_PT17_ilS8_ilS6_S8_ilPT18_ili26rocblas_geam_ex_operation_
    .private_segment_fixed_size: 528
    .sgpr_count:     25
    .sgpr_spill_count: 0
    .symbol:         _ZN12_GLOBAL__N_120geam_min_plus_kernelIdddLi4ELi64ELi128ELi128ELi4ELi64ELi4ELi64ELi4ELc78ELc84ELb1ELb0ELb0EdKPKdKPdEEviiiT16_PT17_ilS8_ilS6_S8_ilPT18_ili26rocblas_geam_ex_operation_.kd
    .uniform_work_group_size: 1
    .uses_dynamic_stack: false
    .vgpr_count:     252
    .vgpr_spill_count: 0
    .wavefront_size: 32
    .workgroup_processor_mode: 1
  - .args:
      - .offset:         0
        .size:           4
        .value_kind:     by_value
      - .offset:         4
        .size:           4
        .value_kind:     by_value
      - .offset:         8
        .size:           4
        .value_kind:     by_value
      - .offset:         16
        .size:           8
        .value_kind:     by_value
      - .address_space:  global
        .offset:         24
        .size:           8
        .value_kind:     global_buffer
      - .offset:         32
        .size:           4
        .value_kind:     by_value
      - .offset:         40
        .size:           8
        .value_kind:     by_value
      - .address_space:  global
        .offset:         48
        .size:           8
        .value_kind:     global_buffer
      - .offset:         56
        .size:           4
        .value_kind:     by_value
      - .offset:         64
        .size:           8
        .value_kind:     by_value
      - .offset:         72
        .size:           8
        .value_kind:     by_value
      - .address_space:  global
        .offset:         80
        .size:           8
        .value_kind:     global_buffer
      - .offset:         88
        .size:           4
        .value_kind:     by_value
      - .offset:         96
        .size:           8
        .value_kind:     by_value
      - .address_space:  global
        .offset:         104
        .size:           8
        .value_kind:     global_buffer
      - .offset:         112
        .size:           4
        .value_kind:     by_value
      - .offset:         120
        .size:           8
        .value_kind:     by_value
      - .offset:         128
        .size:           4
        .value_kind:     by_value
      - .offset:         132
        .size:           4
        .value_kind:     by_value
    .group_segment_fixed_size: 16384
    .kernarg_segment_align: 8
    .kernarg_segment_size: 136
    .language:       OpenCL C
    .language_version:
      - 2
      - 0
    .max_flat_workgroup_size: 256
    .name:           _ZN12_GLOBAL__N_120geam_min_plus_kernelIdddLi4ELi64ELi128ELi128ELi4ELi64ELi4ELi64ELi4ELc78ELc84ELb0ELb0ELb0EdKPKdKPdEEviiiT16_PT17_ilS8_ilS6_S8_ilPT18_ili26rocblas_geam_ex_operation_
    .private_segment_fixed_size: 528
    .sgpr_count:     28
    .sgpr_spill_count: 0
    .symbol:         _ZN12_GLOBAL__N_120geam_min_plus_kernelIdddLi4ELi64ELi128ELi128ELi4ELi64ELi4ELi64ELi4ELc78ELc84ELb0ELb0ELb0EdKPKdKPdEEviiiT16_PT17_ilS8_ilS6_S8_ilPT18_ili26rocblas_geam_ex_operation_.kd
    .uniform_work_group_size: 1
    .uses_dynamic_stack: false
    .vgpr_count:     252
    .vgpr_spill_count: 0
    .wavefront_size: 32
    .workgroup_processor_mode: 1
  - .args:
      - .offset:         0
        .size:           4
        .value_kind:     by_value
      - .offset:         4
        .size:           4
        .value_kind:     by_value
      - .offset:         8
        .size:           4
        .value_kind:     by_value
      - .address_space:  global
        .offset:         16
        .size:           8
        .value_kind:     global_buffer
      - .address_space:  global
        .offset:         24
        .size:           8
        .value_kind:     global_buffer
      - .offset:         32
        .size:           4
        .value_kind:     by_value
      - .offset:         40
        .size:           8
        .value_kind:     by_value
      - .address_space:  global
        .offset:         48
        .size:           8
        .value_kind:     global_buffer
      - .offset:         56
        .size:           4
        .value_kind:     by_value
      - .offset:         64
        .size:           8
        .value_kind:     by_value
      - .address_space:  global
        .offset:         72
        .size:           8
        .value_kind:     global_buffer
      - .address_space:  global
        .offset:         80
        .size:           8
        .value_kind:     global_buffer
      - .offset:         88
        .size:           4
        .value_kind:     by_value
      - .offset:         96
        .size:           8
        .value_kind:     by_value
      - .address_space:  global
        .offset:         104
        .size:           8
        .value_kind:     global_buffer
      - .offset:         112
        .size:           4
        .value_kind:     by_value
      - .offset:         120
        .size:           8
        .value_kind:     by_value
      - .offset:         128
        .size:           4
        .value_kind:     by_value
      - .offset:         132
        .size:           4
        .value_kind:     by_value
    .group_segment_fixed_size: 16384
    .kernarg_segment_align: 8
    .kernarg_segment_size: 136
    .language:       OpenCL C
    .language_version:
      - 2
      - 0
    .max_flat_workgroup_size: 256
    .name:           _ZN12_GLOBAL__N_120geam_min_plus_kernelIdddLi4ELi64ELi128ELi128ELi4ELi64ELi4ELi64ELi4ELc78ELc84ELb0ELb1ELb0EPKdKS2_KPdEEviiiT16_PT17_ilS8_ilS6_S8_ilPT18_ili26rocblas_geam_ex_operation_
    .private_segment_fixed_size: 528
    .sgpr_count:     48
    .sgpr_spill_count: 0
    .symbol:         _ZN12_GLOBAL__N_120geam_min_plus_kernelIdddLi4ELi64ELi128ELi128ELi4ELi64ELi4ELi64ELi4ELc78ELc84ELb0ELb1ELb0EPKdKS2_KPdEEviiiT16_PT17_ilS8_ilS6_S8_ilPT18_ili26rocblas_geam_ex_operation_.kd
    .uniform_work_group_size: 1
    .uses_dynamic_stack: false
    .vgpr_count:     251
    .vgpr_spill_count: 0
    .wavefront_size: 32
    .workgroup_processor_mode: 1
  - .args:
      - .offset:         0
        .size:           4
        .value_kind:     by_value
      - .offset:         4
        .size:           4
        .value_kind:     by_value
      - .offset:         8
        .size:           4
        .value_kind:     by_value
      - .offset:         16
        .size:           8
        .value_kind:     by_value
      - .address_space:  global
        .offset:         24
        .size:           8
        .value_kind:     global_buffer
      - .offset:         32
        .size:           4
        .value_kind:     by_value
      - .offset:         40
        .size:           8
        .value_kind:     by_value
      - .address_space:  global
        .offset:         48
        .size:           8
        .value_kind:     global_buffer
      - .offset:         56
        .size:           4
        .value_kind:     by_value
      - .offset:         64
        .size:           8
        .value_kind:     by_value
      - .offset:         72
        .size:           8
        .value_kind:     by_value
      - .address_space:  global
        .offset:         80
        .size:           8
        .value_kind:     global_buffer
      - .offset:         88
        .size:           4
        .value_kind:     by_value
      - .offset:         96
        .size:           8
        .value_kind:     by_value
      - .address_space:  global
        .offset:         104
        .size:           8
        .value_kind:     global_buffer
      - .offset:         112
        .size:           4
        .value_kind:     by_value
      - .offset:         120
        .size:           8
        .value_kind:     by_value
      - .offset:         128
        .size:           4
        .value_kind:     by_value
      - .offset:         132
        .size:           4
        .value_kind:     by_value
    .group_segment_fixed_size: 16384
    .kernarg_segment_align: 8
    .kernarg_segment_size: 136
    .language:       OpenCL C
    .language_version:
      - 2
      - 0
    .max_flat_workgroup_size: 256
    .name:           _ZN12_GLOBAL__N_120geam_min_plus_kernelIdddLi4ELi64ELi128ELi128ELi4ELi64ELi4ELi64ELi4ELc78ELc84ELb1ELb1ELb0EdKPKdKPdEEviiiT16_PT17_ilS8_ilS6_S8_ilPT18_ili26rocblas_geam_ex_operation_
    .private_segment_fixed_size: 528
    .sgpr_count:     48
    .sgpr_spill_count: 0
    .symbol:         _ZN12_GLOBAL__N_120geam_min_plus_kernelIdddLi4ELi64ELi128ELi128ELi4ELi64ELi4ELi64ELi4ELc78ELc84ELb1ELb1ELb0EdKPKdKPdEEviiiT16_PT17_ilS8_ilS6_S8_ilPT18_ili26rocblas_geam_ex_operation_.kd
    .uniform_work_group_size: 1
    .uses_dynamic_stack: false
    .vgpr_count:     251
    .vgpr_spill_count: 0
    .wavefront_size: 32
    .workgroup_processor_mode: 1
  - .args:
      - .offset:         0
        .size:           4
        .value_kind:     by_value
      - .offset:         4
        .size:           4
        .value_kind:     by_value
      - .offset:         8
        .size:           4
        .value_kind:     by_value
      - .offset:         16
        .size:           8
        .value_kind:     by_value
      - .address_space:  global
        .offset:         24
        .size:           8
        .value_kind:     global_buffer
      - .offset:         32
        .size:           4
        .value_kind:     by_value
      - .offset:         40
        .size:           8
        .value_kind:     by_value
      - .address_space:  global
        .offset:         48
        .size:           8
        .value_kind:     global_buffer
      - .offset:         56
        .size:           4
        .value_kind:     by_value
      - .offset:         64
        .size:           8
        .value_kind:     by_value
      - .offset:         72
        .size:           8
        .value_kind:     by_value
      - .address_space:  global
        .offset:         80
        .size:           8
        .value_kind:     global_buffer
      - .offset:         88
        .size:           4
        .value_kind:     by_value
      - .offset:         96
        .size:           8
        .value_kind:     by_value
      - .address_space:  global
        .offset:         104
        .size:           8
        .value_kind:     global_buffer
      - .offset:         112
        .size:           4
        .value_kind:     by_value
      - .offset:         120
        .size:           8
        .value_kind:     by_value
      - .offset:         128
        .size:           4
        .value_kind:     by_value
      - .offset:         132
        .size:           4
        .value_kind:     by_value
    .group_segment_fixed_size: 16384
    .kernarg_segment_align: 8
    .kernarg_segment_size: 136
    .language:       OpenCL C
    .language_version:
      - 2
      - 0
    .max_flat_workgroup_size: 256
    .name:           _ZN12_GLOBAL__N_120geam_min_plus_kernelIdddLi4ELi64ELi128ELi128ELi4ELi64ELi4ELi64ELi4ELc78ELc84ELb0ELb1ELb0EdKPKdKPdEEviiiT16_PT17_ilS8_ilS6_S8_ilPT18_ili26rocblas_geam_ex_operation_
    .private_segment_fixed_size: 528
    .sgpr_count:     48
    .sgpr_spill_count: 0
    .symbol:         _ZN12_GLOBAL__N_120geam_min_plus_kernelIdddLi4ELi64ELi128ELi128ELi4ELi64ELi4ELi64ELi4ELc78ELc84ELb0ELb1ELb0EdKPKdKPdEEviiiT16_PT17_ilS8_ilS6_S8_ilPT18_ili26rocblas_geam_ex_operation_.kd
    .uniform_work_group_size: 1
    .uses_dynamic_stack: false
    .vgpr_count:     251
    .vgpr_spill_count: 0
    .wavefront_size: 32
    .workgroup_processor_mode: 1
  - .args:
      - .offset:         0
        .size:           4
        .value_kind:     by_value
      - .offset:         4
        .size:           4
        .value_kind:     by_value
      - .offset:         8
        .size:           4
        .value_kind:     by_value
      - .address_space:  global
        .offset:         16
        .size:           8
        .value_kind:     global_buffer
      - .address_space:  global
        .offset:         24
        .size:           8
        .value_kind:     global_buffer
      - .offset:         32
        .size:           4
        .value_kind:     by_value
      - .offset:         40
        .size:           8
        .value_kind:     by_value
      - .address_space:  global
        .offset:         48
        .size:           8
        .value_kind:     global_buffer
      - .offset:         56
        .size:           4
        .value_kind:     by_value
      - .offset:         64
        .size:           8
        .value_kind:     by_value
      - .address_space:  global
        .offset:         72
        .size:           8
        .value_kind:     global_buffer
      - .address_space:  global
        .offset:         80
        .size:           8
        .value_kind:     global_buffer
      - .offset:         88
        .size:           4
        .value_kind:     by_value
      - .offset:         96
        .size:           8
        .value_kind:     by_value
      - .address_space:  global
        .offset:         104
        .size:           8
        .value_kind:     global_buffer
      - .offset:         112
        .size:           4
        .value_kind:     by_value
      - .offset:         120
        .size:           8
        .value_kind:     by_value
      - .offset:         128
        .size:           4
        .value_kind:     by_value
      - .offset:         132
        .size:           4
        .value_kind:     by_value
    .group_segment_fixed_size: 16384
    .kernarg_segment_align: 8
    .kernarg_segment_size: 136
    .language:       OpenCL C
    .language_version:
      - 2
      - 0
    .max_flat_workgroup_size: 256
    .name:           _ZN12_GLOBAL__N_120geam_min_plus_kernelIdddLi4ELi64ELi128ELi128ELi4ELi4ELi64ELi64ELi4ELc84ELc84ELb0ELb0ELb0EPKdKS2_KPdEEviiiT16_PT17_ilS8_ilS6_S8_ilPT18_ili26rocblas_geam_ex_operation_
    .private_segment_fixed_size: 528
    .sgpr_count:     29
    .sgpr_spill_count: 0
    .symbol:         _ZN12_GLOBAL__N_120geam_min_plus_kernelIdddLi4ELi64ELi128ELi128ELi4ELi4ELi64ELi64ELi4ELc84ELc84ELb0ELb0ELb0EPKdKS2_KPdEEviiiT16_PT17_ilS8_ilS6_S8_ilPT18_ili26rocblas_geam_ex_operation_.kd
    .uniform_work_group_size: 1
    .uses_dynamic_stack: false
    .vgpr_count:     253
    .vgpr_spill_count: 0
    .wavefront_size: 32
    .workgroup_processor_mode: 1
  - .args:
      - .offset:         0
        .size:           4
        .value_kind:     by_value
      - .offset:         4
        .size:           4
        .value_kind:     by_value
      - .offset:         8
        .size:           4
        .value_kind:     by_value
      - .offset:         16
        .size:           8
        .value_kind:     by_value
      - .address_space:  global
        .offset:         24
        .size:           8
        .value_kind:     global_buffer
      - .offset:         32
        .size:           4
        .value_kind:     by_value
      - .offset:         40
        .size:           8
        .value_kind:     by_value
      - .address_space:  global
        .offset:         48
        .size:           8
        .value_kind:     global_buffer
      - .offset:         56
        .size:           4
        .value_kind:     by_value
      - .offset:         64
        .size:           8
        .value_kind:     by_value
      - .offset:         72
        .size:           8
        .value_kind:     by_value
      - .address_space:  global
        .offset:         80
        .size:           8
        .value_kind:     global_buffer
      - .offset:         88
        .size:           4
        .value_kind:     by_value
      - .offset:         96
        .size:           8
        .value_kind:     by_value
      - .address_space:  global
        .offset:         104
        .size:           8
        .value_kind:     global_buffer
      - .offset:         112
        .size:           4
        .value_kind:     by_value
      - .offset:         120
        .size:           8
        .value_kind:     by_value
      - .offset:         128
        .size:           4
        .value_kind:     by_value
      - .offset:         132
        .size:           4
        .value_kind:     by_value
    .group_segment_fixed_size: 16384
    .kernarg_segment_align: 8
    .kernarg_segment_size: 136
    .language:       OpenCL C
    .language_version:
      - 2
      - 0
    .max_flat_workgroup_size: 256
    .name:           _ZN12_GLOBAL__N_120geam_min_plus_kernelIdddLi4ELi64ELi128ELi128ELi4ELi4ELi64ELi64ELi4ELc84ELc84ELb1ELb0ELb0EdKPKdKPdEEviiiT16_PT17_ilS8_ilS6_S8_ilPT18_ili26rocblas_geam_ex_operation_
    .private_segment_fixed_size: 528
    .sgpr_count:     24
    .sgpr_spill_count: 0
    .symbol:         _ZN12_GLOBAL__N_120geam_min_plus_kernelIdddLi4ELi64ELi128ELi128ELi4ELi4ELi64ELi64ELi4ELc84ELc84ELb1ELb0ELb0EdKPKdKPdEEviiiT16_PT17_ilS8_ilS6_S8_ilPT18_ili26rocblas_geam_ex_operation_.kd
    .uniform_work_group_size: 1
    .uses_dynamic_stack: false
    .vgpr_count:     255
    .vgpr_spill_count: 0
    .wavefront_size: 32
    .workgroup_processor_mode: 1
  - .args:
      - .offset:         0
        .size:           4
        .value_kind:     by_value
      - .offset:         4
        .size:           4
        .value_kind:     by_value
      - .offset:         8
        .size:           4
        .value_kind:     by_value
      - .offset:         16
        .size:           8
        .value_kind:     by_value
      - .address_space:  global
        .offset:         24
        .size:           8
        .value_kind:     global_buffer
      - .offset:         32
        .size:           4
        .value_kind:     by_value
      - .offset:         40
        .size:           8
        .value_kind:     by_value
      - .address_space:  global
        .offset:         48
        .size:           8
        .value_kind:     global_buffer
      - .offset:         56
        .size:           4
        .value_kind:     by_value
      - .offset:         64
        .size:           8
        .value_kind:     by_value
      - .offset:         72
        .size:           8
        .value_kind:     by_value
      - .address_space:  global
        .offset:         80
        .size:           8
        .value_kind:     global_buffer
      - .offset:         88
        .size:           4
        .value_kind:     by_value
      - .offset:         96
        .size:           8
        .value_kind:     by_value
      - .address_space:  global
        .offset:         104
        .size:           8
        .value_kind:     global_buffer
      - .offset:         112
        .size:           4
        .value_kind:     by_value
      - .offset:         120
        .size:           8
        .value_kind:     by_value
      - .offset:         128
        .size:           4
        .value_kind:     by_value
      - .offset:         132
        .size:           4
        .value_kind:     by_value
    .group_segment_fixed_size: 16384
    .kernarg_segment_align: 8
    .kernarg_segment_size: 136
    .language:       OpenCL C
    .language_version:
      - 2
      - 0
    .max_flat_workgroup_size: 256
    .name:           _ZN12_GLOBAL__N_120geam_min_plus_kernelIdddLi4ELi64ELi128ELi128ELi4ELi4ELi64ELi64ELi4ELc84ELc84ELb0ELb0ELb0EdKPKdKPdEEviiiT16_PT17_ilS8_ilS6_S8_ilPT18_ili26rocblas_geam_ex_operation_
    .private_segment_fixed_size: 528
    .sgpr_count:     27
    .sgpr_spill_count: 0
    .symbol:         _ZN12_GLOBAL__N_120geam_min_plus_kernelIdddLi4ELi64ELi128ELi128ELi4ELi4ELi64ELi64ELi4ELc84ELc84ELb0ELb0ELb0EdKPKdKPdEEviiiT16_PT17_ilS8_ilS6_S8_ilPT18_ili26rocblas_geam_ex_operation_.kd
    .uniform_work_group_size: 1
    .uses_dynamic_stack: false
    .vgpr_count:     253
    .vgpr_spill_count: 0
    .wavefront_size: 32
    .workgroup_processor_mode: 1
  - .args:
      - .offset:         0
        .size:           4
        .value_kind:     by_value
      - .offset:         4
        .size:           4
        .value_kind:     by_value
      - .offset:         8
        .size:           4
        .value_kind:     by_value
      - .address_space:  global
        .offset:         16
        .size:           8
        .value_kind:     global_buffer
      - .address_space:  global
        .offset:         24
        .size:           8
        .value_kind:     global_buffer
      - .offset:         32
        .size:           4
        .value_kind:     by_value
      - .offset:         40
        .size:           8
        .value_kind:     by_value
      - .address_space:  global
        .offset:         48
        .size:           8
        .value_kind:     global_buffer
      - .offset:         56
        .size:           4
        .value_kind:     by_value
      - .offset:         64
        .size:           8
        .value_kind:     by_value
      - .address_space:  global
        .offset:         72
        .size:           8
        .value_kind:     global_buffer
      - .address_space:  global
        .offset:         80
        .size:           8
        .value_kind:     global_buffer
      - .offset:         88
        .size:           4
        .value_kind:     by_value
      - .offset:         96
        .size:           8
        .value_kind:     by_value
      - .address_space:  global
        .offset:         104
        .size:           8
        .value_kind:     global_buffer
      - .offset:         112
        .size:           4
        .value_kind:     by_value
      - .offset:         120
        .size:           8
        .value_kind:     by_value
      - .offset:         128
        .size:           4
        .value_kind:     by_value
      - .offset:         132
        .size:           4
        .value_kind:     by_value
    .group_segment_fixed_size: 16384
    .kernarg_segment_align: 8
    .kernarg_segment_size: 136
    .language:       OpenCL C
    .language_version:
      - 2
      - 0
    .max_flat_workgroup_size: 256
    .name:           _ZN12_GLOBAL__N_120geam_min_plus_kernelIdddLi4ELi64ELi128ELi128ELi4ELi4ELi64ELi64ELi4ELc84ELc84ELb0ELb1ELb0EPKdKS2_KPdEEviiiT16_PT17_ilS8_ilS6_S8_ilPT18_ili26rocblas_geam_ex_operation_
    .private_segment_fixed_size: 528
    .sgpr_count:     48
    .sgpr_spill_count: 0
    .symbol:         _ZN12_GLOBAL__N_120geam_min_plus_kernelIdddLi4ELi64ELi128ELi128ELi4ELi4ELi64ELi64ELi4ELc84ELc84ELb0ELb1ELb0EPKdKS2_KPdEEviiiT16_PT17_ilS8_ilS6_S8_ilPT18_ili26rocblas_geam_ex_operation_.kd
    .uniform_work_group_size: 1
    .uses_dynamic_stack: false
    .vgpr_count:     252
    .vgpr_spill_count: 0
    .wavefront_size: 32
    .workgroup_processor_mode: 1
  - .args:
      - .offset:         0
        .size:           4
        .value_kind:     by_value
      - .offset:         4
        .size:           4
        .value_kind:     by_value
      - .offset:         8
        .size:           4
        .value_kind:     by_value
      - .offset:         16
        .size:           8
        .value_kind:     by_value
      - .address_space:  global
        .offset:         24
        .size:           8
        .value_kind:     global_buffer
      - .offset:         32
        .size:           4
        .value_kind:     by_value
      - .offset:         40
        .size:           8
        .value_kind:     by_value
      - .address_space:  global
        .offset:         48
        .size:           8
        .value_kind:     global_buffer
      - .offset:         56
        .size:           4
        .value_kind:     by_value
      - .offset:         64
        .size:           8
        .value_kind:     by_value
      - .offset:         72
        .size:           8
        .value_kind:     by_value
      - .address_space:  global
        .offset:         80
        .size:           8
        .value_kind:     global_buffer
      - .offset:         88
        .size:           4
        .value_kind:     by_value
      - .offset:         96
        .size:           8
        .value_kind:     by_value
      - .address_space:  global
        .offset:         104
        .size:           8
        .value_kind:     global_buffer
      - .offset:         112
        .size:           4
        .value_kind:     by_value
      - .offset:         120
        .size:           8
        .value_kind:     by_value
      - .offset:         128
        .size:           4
        .value_kind:     by_value
      - .offset:         132
        .size:           4
        .value_kind:     by_value
    .group_segment_fixed_size: 16384
    .kernarg_segment_align: 8
    .kernarg_segment_size: 136
    .language:       OpenCL C
    .language_version:
      - 2
      - 0
    .max_flat_workgroup_size: 256
    .name:           _ZN12_GLOBAL__N_120geam_min_plus_kernelIdddLi4ELi64ELi128ELi128ELi4ELi4ELi64ELi64ELi4ELc84ELc84ELb1ELb1ELb0EdKPKdKPdEEviiiT16_PT17_ilS8_ilS6_S8_ilPT18_ili26rocblas_geam_ex_operation_
    .private_segment_fixed_size: 528
    .sgpr_count:     48
    .sgpr_spill_count: 0
    .symbol:         _ZN12_GLOBAL__N_120geam_min_plus_kernelIdddLi4ELi64ELi128ELi128ELi4ELi4ELi64ELi64ELi4ELc84ELc84ELb1ELb1ELb0EdKPKdKPdEEviiiT16_PT17_ilS8_ilS6_S8_ilPT18_ili26rocblas_geam_ex_operation_.kd
    .uniform_work_group_size: 1
    .uses_dynamic_stack: false
    .vgpr_count:     252
    .vgpr_spill_count: 0
    .wavefront_size: 32
    .workgroup_processor_mode: 1
  - .args:
      - .offset:         0
        .size:           4
        .value_kind:     by_value
      - .offset:         4
        .size:           4
        .value_kind:     by_value
      - .offset:         8
        .size:           4
        .value_kind:     by_value
      - .offset:         16
        .size:           8
        .value_kind:     by_value
      - .address_space:  global
        .offset:         24
        .size:           8
        .value_kind:     global_buffer
      - .offset:         32
        .size:           4
        .value_kind:     by_value
      - .offset:         40
        .size:           8
        .value_kind:     by_value
      - .address_space:  global
        .offset:         48
        .size:           8
        .value_kind:     global_buffer
      - .offset:         56
        .size:           4
        .value_kind:     by_value
      - .offset:         64
        .size:           8
        .value_kind:     by_value
      - .offset:         72
        .size:           8
        .value_kind:     by_value
      - .address_space:  global
        .offset:         80
        .size:           8
        .value_kind:     global_buffer
      - .offset:         88
        .size:           4
        .value_kind:     by_value
      - .offset:         96
        .size:           8
        .value_kind:     by_value
      - .address_space:  global
        .offset:         104
        .size:           8
        .value_kind:     global_buffer
      - .offset:         112
        .size:           4
        .value_kind:     by_value
      - .offset:         120
        .size:           8
        .value_kind:     by_value
      - .offset:         128
        .size:           4
        .value_kind:     by_value
      - .offset:         132
        .size:           4
        .value_kind:     by_value
    .group_segment_fixed_size: 16384
    .kernarg_segment_align: 8
    .kernarg_segment_size: 136
    .language:       OpenCL C
    .language_version:
      - 2
      - 0
    .max_flat_workgroup_size: 256
    .name:           _ZN12_GLOBAL__N_120geam_min_plus_kernelIdddLi4ELi64ELi128ELi128ELi4ELi4ELi64ELi64ELi4ELc84ELc84ELb0ELb1ELb0EdKPKdKPdEEviiiT16_PT17_ilS8_ilS6_S8_ilPT18_ili26rocblas_geam_ex_operation_
    .private_segment_fixed_size: 528
    .sgpr_count:     48
    .sgpr_spill_count: 0
    .symbol:         _ZN12_GLOBAL__N_120geam_min_plus_kernelIdddLi4ELi64ELi128ELi128ELi4ELi4ELi64ELi64ELi4ELc84ELc84ELb0ELb1ELb0EdKPKdKPdEEviiiT16_PT17_ilS8_ilS6_S8_ilPT18_ili26rocblas_geam_ex_operation_.kd
    .uniform_work_group_size: 1
    .uses_dynamic_stack: false
    .vgpr_count:     252
    .vgpr_spill_count: 0
    .wavefront_size: 32
    .workgroup_processor_mode: 1
  - .args:
      - .offset:         0
        .size:           4
        .value_kind:     by_value
      - .offset:         4
        .size:           4
        .value_kind:     by_value
      - .offset:         8
        .size:           8
        .value_kind:     by_value
      - .address_space:  global
        .offset:         16
        .size:           8
        .value_kind:     global_buffer
      - .offset:         24
        .size:           8
        .value_kind:     by_value
      - .offset:         32
        .size:           4
        .value_kind:     by_value
      - .offset:         40
        .size:           8
        .value_kind:     by_value
      - .address_space:  global
        .offset:         48
        .size:           8
        .value_kind:     global_buffer
      - .offset:         56
        .size:           8
        .value_kind:     by_value
      - .offset:         64
        .size:           4
        .value_kind:     by_value
      - .offset:         72
        .size:           8
        .value_kind:     by_value
    .group_segment_fixed_size: 0
    .kernarg_segment_align: 8
    .kernarg_segment_size: 80
    .language:       OpenCL C
    .language_version:
      - 2
      - 0
    .max_flat_workgroup_size: 1024
    .name:           _ZN12_GLOBAL__N_120geam_ex_scale_kernelILi32ELi32EddPKdPdEEviiT2_T3_lilT4_lil
    .private_segment_fixed_size: 0
    .sgpr_count:     22
    .sgpr_spill_count: 0
    .symbol:         _ZN12_GLOBAL__N_120geam_ex_scale_kernelILi32ELi32EddPKdPdEEviiT2_T3_lilT4_lil.kd
    .uniform_work_group_size: 1
    .uses_dynamic_stack: false
    .vgpr_count:     9
    .vgpr_spill_count: 0
    .wavefront_size: 32
    .workgroup_processor_mode: 1
  - .args:
      - .offset:         0
        .size:           4
        .value_kind:     by_value
      - .offset:         4
        .size:           4
        .value_kind:     by_value
      - .address_space:  global
        .offset:         8
        .size:           8
        .value_kind:     global_buffer
      - .address_space:  global
        .offset:         16
        .size:           8
        .value_kind:     global_buffer
      - .offset:         24
        .size:           8
        .value_kind:     by_value
      - .offset:         32
        .size:           4
        .value_kind:     by_value
      - .offset:         40
        .size:           8
        .value_kind:     by_value
      - .address_space:  global
        .offset:         48
        .size:           8
        .value_kind:     global_buffer
      - .offset:         56
        .size:           8
        .value_kind:     by_value
      - .offset:         64
        .size:           4
        .value_kind:     by_value
      - .offset:         72
        .size:           8
        .value_kind:     by_value
    .group_segment_fixed_size: 0
    .kernarg_segment_align: 8
    .kernarg_segment_size: 80
    .language:       OpenCL C
    .language_version:
      - 2
      - 0
    .max_flat_workgroup_size: 1024
    .name:           _ZN12_GLOBAL__N_120geam_ex_scale_kernelILi32ELi32EdPKdS2_PdEEviiT2_T3_lilT4_lil
    .private_segment_fixed_size: 0
    .sgpr_count:     22
    .sgpr_spill_count: 0
    .symbol:         _ZN12_GLOBAL__N_120geam_ex_scale_kernelILi32ELi32EdPKdS2_PdEEviiT2_T3_lilT4_lil.kd
    .uniform_work_group_size: 1
    .uses_dynamic_stack: false
    .vgpr_count:     9
    .vgpr_spill_count: 0
    .wavefront_size: 32
    .workgroup_processor_mode: 1
  - .args:
      - .offset:         0
        .size:           4
        .value_kind:     by_value
      - .offset:         4
        .size:           4
        .value_kind:     by_value
      - .offset:         8
        .size:           8
        .value_kind:     by_value
      - .address_space:  global
        .offset:         16
        .size:           8
        .value_kind:     global_buffer
      - .offset:         24
        .size:           8
        .value_kind:     by_value
      - .offset:         32
        .size:           4
        .value_kind:     by_value
      - .offset:         40
        .size:           8
        .value_kind:     by_value
      - .address_space:  global
        .offset:         48
        .size:           8
        .value_kind:     global_buffer
      - .offset:         56
        .size:           8
        .value_kind:     by_value
      - .offset:         64
        .size:           4
        .value_kind:     by_value
      - .offset:         72
        .size:           8
        .value_kind:     by_value
    .group_segment_fixed_size: 0
    .kernarg_segment_align: 8
    .kernarg_segment_size: 80
    .language:       OpenCL C
    .language_version:
      - 2
      - 0
    .max_flat_workgroup_size: 1024
    .name:           _ZN12_GLOBAL__N_120geam_ex_round_kernelILi32ELi32EddPKdPdEEviiT2_T3_lilT4_lil
    .private_segment_fixed_size: 0
    .sgpr_count:     22
    .sgpr_spill_count: 0
    .symbol:         _ZN12_GLOBAL__N_120geam_ex_round_kernelILi32ELi32EddPKdPdEEviiT2_T3_lilT4_lil.kd
    .uniform_work_group_size: 1
    .uses_dynamic_stack: false
    .vgpr_count:     8
    .vgpr_spill_count: 0
    .wavefront_size: 32
    .workgroup_processor_mode: 1
  - .args:
      - .offset:         0
        .size:           4
        .value_kind:     by_value
      - .offset:         4
        .size:           4
        .value_kind:     by_value
      - .offset:         8
        .size:           4
        .value_kind:     by_value
      - .address_space:  global
        .offset:         16
        .size:           8
        .value_kind:     global_buffer
      - .address_space:  global
        .offset:         24
        .size:           8
        .value_kind:     global_buffer
      - .offset:         32
        .size:           4
        .value_kind:     by_value
      - .offset:         40
        .size:           8
        .value_kind:     by_value
      - .address_space:  global
        .offset:         48
        .size:           8
        .value_kind:     global_buffer
      - .offset:         56
        .size:           4
        .value_kind:     by_value
      - .offset:         64
        .size:           8
        .value_kind:     by_value
      - .address_space:  global
        .offset:         72
        .size:           8
        .value_kind:     global_buffer
      - .address_space:  global
        .offset:         80
        .size:           8
        .value_kind:     global_buffer
      - .offset:         88
        .size:           4
        .value_kind:     by_value
      - .offset:         96
        .size:           8
        .value_kind:     by_value
      - .address_space:  global
        .offset:         104
        .size:           8
        .value_kind:     global_buffer
      - .offset:         112
        .size:           4
        .value_kind:     by_value
      - .offset:         120
        .size:           8
        .value_kind:     by_value
      - .offset:         128
        .size:           4
        .value_kind:     by_value
      - .offset:         132
        .size:           4
        .value_kind:     by_value
    .group_segment_fixed_size: 20480
    .kernarg_segment_align: 8
    .kernarg_segment_size: 136
    .language:       OpenCL C
    .language_version:
      - 2
      - 0
    .max_flat_workgroup_size: 256
    .name:           _ZN12_GLOBAL__N_120geam_min_plus_kernelId15HIP_vector_typeIdLj2EEdLi32ELi8ELi256ELi64ELi4ELi64ELi4ELi4ELi64ELc78ELc78ELb0ELb0ELb1EPKdS3_dEEviiiT16_PT17_ilS7_ilS5_S7_ilPT18_ili26rocblas_geam_ex_operation_
    .private_segment_fixed_size: 408
    .sgpr_count:     28
    .sgpr_spill_count: 0
    .symbol:         _ZN12_GLOBAL__N_120geam_min_plus_kernelId15HIP_vector_typeIdLj2EEdLi32ELi8ELi256ELi64ELi4ELi64ELi4ELi4ELi64ELc78ELc78ELb0ELb0ELb1EPKdS3_dEEviiiT16_PT17_ilS7_ilS5_S7_ilPT18_ili26rocblas_geam_ex_operation_.kd
    .uniform_work_group_size: 1
    .uses_dynamic_stack: false
    .vgpr_count:     256
    .vgpr_spill_count: 375
    .wavefront_size: 32
    .workgroup_processor_mode: 1
  - .args:
      - .offset:         0
        .size:           4
        .value_kind:     by_value
      - .offset:         4
        .size:           4
        .value_kind:     by_value
      - .offset:         8
        .size:           4
        .value_kind:     by_value
      - .offset:         16
        .size:           8
        .value_kind:     by_value
      - .address_space:  global
        .offset:         24
        .size:           8
        .value_kind:     global_buffer
      - .offset:         32
        .size:           4
        .value_kind:     by_value
      - .offset:         40
        .size:           8
        .value_kind:     by_value
      - .address_space:  global
        .offset:         48
        .size:           8
        .value_kind:     global_buffer
      - .offset:         56
        .size:           4
        .value_kind:     by_value
      - .offset:         64
        .size:           8
        .value_kind:     by_value
      - .offset:         72
        .size:           8
        .value_kind:     by_value
      - .address_space:  global
        .offset:         80
        .size:           8
        .value_kind:     global_buffer
      - .offset:         88
        .size:           4
        .value_kind:     by_value
      - .offset:         96
        .size:           8
        .value_kind:     by_value
      - .address_space:  global
        .offset:         104
        .size:           8
        .value_kind:     global_buffer
      - .offset:         112
        .size:           4
        .value_kind:     by_value
      - .offset:         120
        .size:           8
        .value_kind:     by_value
      - .offset:         128
        .size:           4
        .value_kind:     by_value
      - .offset:         132
        .size:           4
        .value_kind:     by_value
    .group_segment_fixed_size: 20480
    .kernarg_segment_align: 8
    .kernarg_segment_size: 136
    .language:       OpenCL C
    .language_version:
      - 2
      - 0
    .max_flat_workgroup_size: 256
    .name:           _ZN12_GLOBAL__N_120geam_min_plus_kernelId15HIP_vector_typeIdLj2EEdLi32ELi8ELi256ELi64ELi4ELi64ELi4ELi4ELi64ELc78ELc78ELb1ELb0ELb1EdKddEEviiiT16_PT17_ilS6_ilS4_S6_ilPT18_ili26rocblas_geam_ex_operation_
    .private_segment_fixed_size: 404
    .sgpr_count:     26
    .sgpr_spill_count: 0
    .symbol:         _ZN12_GLOBAL__N_120geam_min_plus_kernelId15HIP_vector_typeIdLj2EEdLi32ELi8ELi256ELi64ELi4ELi64ELi4ELi4ELi64ELc78ELc78ELb1ELb0ELb1EdKddEEviiiT16_PT17_ilS6_ilS4_S6_ilPT18_ili26rocblas_geam_ex_operation_.kd
    .uniform_work_group_size: 1
    .uses_dynamic_stack: false
    .vgpr_count:     256
    .vgpr_spill_count: 348
    .wavefront_size: 32
    .workgroup_processor_mode: 1
  - .args:
      - .offset:         0
        .size:           4
        .value_kind:     by_value
      - .offset:         4
        .size:           4
        .value_kind:     by_value
      - .offset:         8
        .size:           4
        .value_kind:     by_value
      - .offset:         16
        .size:           8
        .value_kind:     by_value
      - .address_space:  global
        .offset:         24
        .size:           8
        .value_kind:     global_buffer
      - .offset:         32
        .size:           4
        .value_kind:     by_value
      - .offset:         40
        .size:           8
        .value_kind:     by_value
      - .address_space:  global
        .offset:         48
        .size:           8
        .value_kind:     global_buffer
      - .offset:         56
        .size:           4
        .value_kind:     by_value
      - .offset:         64
        .size:           8
        .value_kind:     by_value
      - .offset:         72
        .size:           8
        .value_kind:     by_value
      - .address_space:  global
        .offset:         80
        .size:           8
        .value_kind:     global_buffer
      - .offset:         88
        .size:           4
        .value_kind:     by_value
      - .offset:         96
        .size:           8
        .value_kind:     by_value
      - .address_space:  global
        .offset:         104
        .size:           8
        .value_kind:     global_buffer
      - .offset:         112
        .size:           4
        .value_kind:     by_value
      - .offset:         120
        .size:           8
        .value_kind:     by_value
      - .offset:         128
        .size:           4
        .value_kind:     by_value
      - .offset:         132
        .size:           4
        .value_kind:     by_value
    .group_segment_fixed_size: 20480
    .kernarg_segment_align: 8
    .kernarg_segment_size: 136
    .language:       OpenCL C
    .language_version:
      - 2
      - 0
    .max_flat_workgroup_size: 256
    .name:           _ZN12_GLOBAL__N_120geam_min_plus_kernelId15HIP_vector_typeIdLj2EEdLi32ELi8ELi256ELi64ELi4ELi64ELi4ELi4ELi64ELc78ELc78ELb0ELb0ELb1EdKddEEviiiT16_PT17_ilS6_ilS4_S6_ilPT18_ili26rocblas_geam_ex_operation_
    .private_segment_fixed_size: 400
    .sgpr_count:     28
    .sgpr_spill_count: 0
    .symbol:         _ZN12_GLOBAL__N_120geam_min_plus_kernelId15HIP_vector_typeIdLj2EEdLi32ELi8ELi256ELi64ELi4ELi64ELi4ELi4ELi64ELc78ELc78ELb0ELb0ELb1EdKddEEviiiT16_PT17_ilS6_ilS4_S6_ilPT18_ili26rocblas_geam_ex_operation_.kd
    .uniform_work_group_size: 1
    .uses_dynamic_stack: false
    .vgpr_count:     256
    .vgpr_spill_count: 375
    .wavefront_size: 32
    .workgroup_processor_mode: 1
  - .args:
      - .offset:         0
        .size:           4
        .value_kind:     by_value
      - .offset:         4
        .size:           4
        .value_kind:     by_value
      - .offset:         8
        .size:           4
        .value_kind:     by_value
      - .address_space:  global
        .offset:         16
        .size:           8
        .value_kind:     global_buffer
      - .address_space:  global
        .offset:         24
        .size:           8
        .value_kind:     global_buffer
      - .offset:         32
        .size:           4
        .value_kind:     by_value
      - .offset:         40
        .size:           8
        .value_kind:     by_value
      - .address_space:  global
        .offset:         48
        .size:           8
        .value_kind:     global_buffer
      - .offset:         56
        .size:           4
        .value_kind:     by_value
      - .offset:         64
        .size:           8
        .value_kind:     by_value
      - .address_space:  global
        .offset:         72
        .size:           8
        .value_kind:     global_buffer
      - .address_space:  global
        .offset:         80
        .size:           8
        .value_kind:     global_buffer
      - .offset:         88
        .size:           4
        .value_kind:     by_value
      - .offset:         96
        .size:           8
        .value_kind:     by_value
      - .address_space:  global
        .offset:         104
        .size:           8
        .value_kind:     global_buffer
      - .offset:         112
        .size:           4
        .value_kind:     by_value
      - .offset:         120
        .size:           8
        .value_kind:     by_value
      - .offset:         128
        .size:           4
        .value_kind:     by_value
      - .offset:         132
        .size:           4
        .value_kind:     by_value
    .group_segment_fixed_size: 20480
    .kernarg_segment_align: 8
    .kernarg_segment_size: 136
    .language:       OpenCL C
    .language_version:
      - 2
      - 0
    .max_flat_workgroup_size: 256
    .name:           _ZN12_GLOBAL__N_120geam_min_plus_kernelId15HIP_vector_typeIdLj2EEdLi32ELi8ELi256ELi64ELi4ELi64ELi4ELi4ELi64ELc78ELc78ELb0ELb1ELb1EPKdS3_dEEviiiT16_PT17_ilS7_ilS5_S7_ilPT18_ili26rocblas_geam_ex_operation_
    .private_segment_fixed_size: 0
    .sgpr_count:     36
    .sgpr_spill_count: 0
    .symbol:         _ZN12_GLOBAL__N_120geam_min_plus_kernelId15HIP_vector_typeIdLj2EEdLi32ELi8ELi256ELi64ELi4ELi64ELi4ELi4ELi64ELc78ELc78ELb0ELb1ELb1EPKdS3_dEEviiiT16_PT17_ilS7_ilS5_S7_ilPT18_ili26rocblas_geam_ex_operation_.kd
    .uniform_work_group_size: 1
    .uses_dynamic_stack: false
    .vgpr_count:     158
    .vgpr_spill_count: 0
    .wavefront_size: 32
    .workgroup_processor_mode: 1
  - .args:
      - .offset:         0
        .size:           4
        .value_kind:     by_value
      - .offset:         4
        .size:           4
        .value_kind:     by_value
      - .offset:         8
        .size:           4
        .value_kind:     by_value
      - .offset:         16
        .size:           8
        .value_kind:     by_value
      - .address_space:  global
        .offset:         24
        .size:           8
        .value_kind:     global_buffer
      - .offset:         32
        .size:           4
        .value_kind:     by_value
      - .offset:         40
        .size:           8
        .value_kind:     by_value
      - .address_space:  global
        .offset:         48
        .size:           8
        .value_kind:     global_buffer
      - .offset:         56
        .size:           4
        .value_kind:     by_value
      - .offset:         64
        .size:           8
        .value_kind:     by_value
      - .offset:         72
        .size:           8
        .value_kind:     by_value
      - .address_space:  global
        .offset:         80
        .size:           8
        .value_kind:     global_buffer
      - .offset:         88
        .size:           4
        .value_kind:     by_value
      - .offset:         96
        .size:           8
        .value_kind:     by_value
      - .address_space:  global
        .offset:         104
        .size:           8
        .value_kind:     global_buffer
      - .offset:         112
        .size:           4
        .value_kind:     by_value
      - .offset:         120
        .size:           8
        .value_kind:     by_value
      - .offset:         128
        .size:           4
        .value_kind:     by_value
      - .offset:         132
        .size:           4
        .value_kind:     by_value
    .group_segment_fixed_size: 20480
    .kernarg_segment_align: 8
    .kernarg_segment_size: 136
    .language:       OpenCL C
    .language_version:
      - 2
      - 0
    .max_flat_workgroup_size: 256
    .name:           _ZN12_GLOBAL__N_120geam_min_plus_kernelId15HIP_vector_typeIdLj2EEdLi32ELi8ELi256ELi64ELi4ELi64ELi4ELi4ELi64ELc78ELc78ELb1ELb1ELb1EdKddEEviiiT16_PT17_ilS6_ilS4_S6_ilPT18_ili26rocblas_geam_ex_operation_
    .private_segment_fixed_size: 0
    .sgpr_count:     34
    .sgpr_spill_count: 0
    .symbol:         _ZN12_GLOBAL__N_120geam_min_plus_kernelId15HIP_vector_typeIdLj2EEdLi32ELi8ELi256ELi64ELi4ELi64ELi4ELi4ELi64ELc78ELc78ELb1ELb1ELb1EdKddEEviiiT16_PT17_ilS6_ilS4_S6_ilPT18_ili26rocblas_geam_ex_operation_.kd
    .uniform_work_group_size: 1
    .uses_dynamic_stack: false
    .vgpr_count:     158
    .vgpr_spill_count: 0
    .wavefront_size: 32
    .workgroup_processor_mode: 1
  - .args:
      - .offset:         0
        .size:           4
        .value_kind:     by_value
      - .offset:         4
        .size:           4
        .value_kind:     by_value
      - .offset:         8
        .size:           4
        .value_kind:     by_value
      - .offset:         16
        .size:           8
        .value_kind:     by_value
      - .address_space:  global
        .offset:         24
        .size:           8
        .value_kind:     global_buffer
      - .offset:         32
        .size:           4
        .value_kind:     by_value
      - .offset:         40
        .size:           8
        .value_kind:     by_value
      - .address_space:  global
        .offset:         48
        .size:           8
        .value_kind:     global_buffer
      - .offset:         56
        .size:           4
        .value_kind:     by_value
      - .offset:         64
        .size:           8
        .value_kind:     by_value
      - .offset:         72
        .size:           8
        .value_kind:     by_value
      - .address_space:  global
        .offset:         80
        .size:           8
        .value_kind:     global_buffer
      - .offset:         88
        .size:           4
        .value_kind:     by_value
      - .offset:         96
        .size:           8
        .value_kind:     by_value
      - .address_space:  global
        .offset:         104
        .size:           8
        .value_kind:     global_buffer
      - .offset:         112
        .size:           4
        .value_kind:     by_value
      - .offset:         120
        .size:           8
        .value_kind:     by_value
      - .offset:         128
        .size:           4
        .value_kind:     by_value
      - .offset:         132
        .size:           4
        .value_kind:     by_value
    .group_segment_fixed_size: 20480
    .kernarg_segment_align: 8
    .kernarg_segment_size: 136
    .language:       OpenCL C
    .language_version:
      - 2
      - 0
    .max_flat_workgroup_size: 256
    .name:           _ZN12_GLOBAL__N_120geam_min_plus_kernelId15HIP_vector_typeIdLj2EEdLi32ELi8ELi256ELi64ELi4ELi64ELi4ELi4ELi64ELc78ELc78ELb0ELb1ELb1EdKddEEviiiT16_PT17_ilS6_ilS4_S6_ilPT18_ili26rocblas_geam_ex_operation_
    .private_segment_fixed_size: 0
    .sgpr_count:     37
    .sgpr_spill_count: 0
    .symbol:         _ZN12_GLOBAL__N_120geam_min_plus_kernelId15HIP_vector_typeIdLj2EEdLi32ELi8ELi256ELi64ELi4ELi64ELi4ELi4ELi64ELc78ELc78ELb0ELb1ELb1EdKddEEviiiT16_PT17_ilS6_ilS4_S6_ilPT18_ili26rocblas_geam_ex_operation_.kd
    .uniform_work_group_size: 1
    .uses_dynamic_stack: false
    .vgpr_count:     158
    .vgpr_spill_count: 0
    .wavefront_size: 32
    .workgroup_processor_mode: 1
  - .args:
      - .offset:         0
        .size:           4
        .value_kind:     by_value
      - .offset:         4
        .size:           4
        .value_kind:     by_value
      - .offset:         8
        .size:           4
        .value_kind:     by_value
      - .address_space:  global
        .offset:         16
        .size:           8
        .value_kind:     global_buffer
      - .address_space:  global
        .offset:         24
        .size:           8
        .value_kind:     global_buffer
      - .offset:         32
        .size:           4
        .value_kind:     by_value
      - .offset:         40
        .size:           8
        .value_kind:     by_value
      - .address_space:  global
        .offset:         48
        .size:           8
        .value_kind:     global_buffer
      - .offset:         56
        .size:           4
        .value_kind:     by_value
      - .offset:         64
        .size:           8
        .value_kind:     by_value
      - .address_space:  global
        .offset:         72
        .size:           8
        .value_kind:     global_buffer
      - .address_space:  global
        .offset:         80
        .size:           8
        .value_kind:     global_buffer
      - .offset:         88
        .size:           4
        .value_kind:     by_value
      - .offset:         96
        .size:           8
        .value_kind:     by_value
      - .address_space:  global
        .offset:         104
        .size:           8
        .value_kind:     global_buffer
      - .offset:         112
        .size:           4
        .value_kind:     by_value
      - .offset:         120
        .size:           8
        .value_kind:     by_value
      - .offset:         128
        .size:           4
        .value_kind:     by_value
      - .offset:         132
        .size:           4
        .value_kind:     by_value
    .group_segment_fixed_size: 16384
    .kernarg_segment_align: 8
    .kernarg_segment_size: 136
    .language:       OpenCL C
    .language_version:
      - 2
      - 0
    .max_flat_workgroup_size: 256
    .name:           _ZN12_GLOBAL__N_120geam_min_plus_kernelId15HIP_vector_typeIdLj2EEdLi32ELi8ELi128ELi128ELi4ELi4ELi64ELi4ELi64ELc84ELc78ELb0ELb0ELb1EPKdS3_dEEviiiT16_PT17_ilS7_ilS5_S7_ilPT18_ili26rocblas_geam_ex_operation_
    .private_segment_fixed_size: 0
    .sgpr_count:     28
    .sgpr_spill_count: 0
    .symbol:         _ZN12_GLOBAL__N_120geam_min_plus_kernelId15HIP_vector_typeIdLj2EEdLi32ELi8ELi128ELi128ELi4ELi4ELi64ELi4ELi64ELc84ELc78ELb0ELb0ELb1EPKdS3_dEEviiiT16_PT17_ilS7_ilS5_S7_ilPT18_ili26rocblas_geam_ex_operation_.kd
    .uniform_work_group_size: 1
    .uses_dynamic_stack: false
    .vgpr_count:     173
    .vgpr_spill_count: 0
    .wavefront_size: 32
    .workgroup_processor_mode: 1
  - .args:
      - .offset:         0
        .size:           4
        .value_kind:     by_value
      - .offset:         4
        .size:           4
        .value_kind:     by_value
      - .offset:         8
        .size:           4
        .value_kind:     by_value
      - .offset:         16
        .size:           8
        .value_kind:     by_value
      - .address_space:  global
        .offset:         24
        .size:           8
        .value_kind:     global_buffer
      - .offset:         32
        .size:           4
        .value_kind:     by_value
      - .offset:         40
        .size:           8
        .value_kind:     by_value
      - .address_space:  global
        .offset:         48
        .size:           8
        .value_kind:     global_buffer
      - .offset:         56
        .size:           4
        .value_kind:     by_value
      - .offset:         64
        .size:           8
        .value_kind:     by_value
      - .offset:         72
        .size:           8
        .value_kind:     by_value
      - .address_space:  global
        .offset:         80
        .size:           8
        .value_kind:     global_buffer
      - .offset:         88
        .size:           4
        .value_kind:     by_value
      - .offset:         96
        .size:           8
        .value_kind:     by_value
      - .address_space:  global
        .offset:         104
        .size:           8
        .value_kind:     global_buffer
      - .offset:         112
        .size:           4
        .value_kind:     by_value
      - .offset:         120
        .size:           8
        .value_kind:     by_value
      - .offset:         128
        .size:           4
        .value_kind:     by_value
      - .offset:         132
        .size:           4
        .value_kind:     by_value
    .group_segment_fixed_size: 16384
    .kernarg_segment_align: 8
    .kernarg_segment_size: 136
    .language:       OpenCL C
    .language_version:
      - 2
      - 0
    .max_flat_workgroup_size: 256
    .name:           _ZN12_GLOBAL__N_120geam_min_plus_kernelId15HIP_vector_typeIdLj2EEdLi32ELi8ELi128ELi128ELi4ELi4ELi64ELi4ELi64ELc84ELc78ELb1ELb0ELb1EdKddEEviiiT16_PT17_ilS6_ilS4_S6_ilPT18_ili26rocblas_geam_ex_operation_
    .private_segment_fixed_size: 0
    .sgpr_count:     25
    .sgpr_spill_count: 0
    .symbol:         _ZN12_GLOBAL__N_120geam_min_plus_kernelId15HIP_vector_typeIdLj2EEdLi32ELi8ELi128ELi128ELi4ELi4ELi64ELi4ELi64ELc84ELc78ELb1ELb0ELb1EdKddEEviiiT16_PT17_ilS6_ilS4_S6_ilPT18_ili26rocblas_geam_ex_operation_.kd
    .uniform_work_group_size: 1
    .uses_dynamic_stack: false
    .vgpr_count:     181
    .vgpr_spill_count: 0
    .wavefront_size: 32
    .workgroup_processor_mode: 1
  - .args:
      - .offset:         0
        .size:           4
        .value_kind:     by_value
      - .offset:         4
        .size:           4
        .value_kind:     by_value
      - .offset:         8
        .size:           4
        .value_kind:     by_value
      - .offset:         16
        .size:           8
        .value_kind:     by_value
      - .address_space:  global
        .offset:         24
        .size:           8
        .value_kind:     global_buffer
      - .offset:         32
        .size:           4
        .value_kind:     by_value
      - .offset:         40
        .size:           8
        .value_kind:     by_value
      - .address_space:  global
        .offset:         48
        .size:           8
        .value_kind:     global_buffer
      - .offset:         56
        .size:           4
        .value_kind:     by_value
      - .offset:         64
        .size:           8
        .value_kind:     by_value
      - .offset:         72
        .size:           8
        .value_kind:     by_value
      - .address_space:  global
        .offset:         80
        .size:           8
        .value_kind:     global_buffer
      - .offset:         88
        .size:           4
        .value_kind:     by_value
      - .offset:         96
        .size:           8
        .value_kind:     by_value
      - .address_space:  global
        .offset:         104
        .size:           8
        .value_kind:     global_buffer
      - .offset:         112
        .size:           4
        .value_kind:     by_value
      - .offset:         120
        .size:           8
        .value_kind:     by_value
      - .offset:         128
        .size:           4
        .value_kind:     by_value
      - .offset:         132
        .size:           4
        .value_kind:     by_value
    .group_segment_fixed_size: 16384
    .kernarg_segment_align: 8
    .kernarg_segment_size: 136
    .language:       OpenCL C
    .language_version:
      - 2
      - 0
    .max_flat_workgroup_size: 256
    .name:           _ZN12_GLOBAL__N_120geam_min_plus_kernelId15HIP_vector_typeIdLj2EEdLi32ELi8ELi128ELi128ELi4ELi4ELi64ELi4ELi64ELc84ELc78ELb0ELb0ELb1EdKddEEviiiT16_PT17_ilS6_ilS4_S6_ilPT18_ili26rocblas_geam_ex_operation_
    .private_segment_fixed_size: 0
    .sgpr_count:     27
    .sgpr_spill_count: 0
    .symbol:         _ZN12_GLOBAL__N_120geam_min_plus_kernelId15HIP_vector_typeIdLj2EEdLi32ELi8ELi128ELi128ELi4ELi4ELi64ELi4ELi64ELc84ELc78ELb0ELb0ELb1EdKddEEviiiT16_PT17_ilS6_ilS4_S6_ilPT18_ili26rocblas_geam_ex_operation_.kd
    .uniform_work_group_size: 1
    .uses_dynamic_stack: false
    .vgpr_count:     173
    .vgpr_spill_count: 0
    .wavefront_size: 32
    .workgroup_processor_mode: 1
  - .args:
      - .offset:         0
        .size:           4
        .value_kind:     by_value
      - .offset:         4
        .size:           4
        .value_kind:     by_value
      - .offset:         8
        .size:           4
        .value_kind:     by_value
      - .address_space:  global
        .offset:         16
        .size:           8
        .value_kind:     global_buffer
      - .address_space:  global
        .offset:         24
        .size:           8
        .value_kind:     global_buffer
      - .offset:         32
        .size:           4
        .value_kind:     by_value
      - .offset:         40
        .size:           8
        .value_kind:     by_value
      - .address_space:  global
        .offset:         48
        .size:           8
        .value_kind:     global_buffer
      - .offset:         56
        .size:           4
        .value_kind:     by_value
      - .offset:         64
        .size:           8
        .value_kind:     by_value
      - .address_space:  global
        .offset:         72
        .size:           8
        .value_kind:     global_buffer
      - .address_space:  global
        .offset:         80
        .size:           8
        .value_kind:     global_buffer
      - .offset:         88
        .size:           4
        .value_kind:     by_value
      - .offset:         96
        .size:           8
        .value_kind:     by_value
      - .address_space:  global
        .offset:         104
        .size:           8
        .value_kind:     global_buffer
      - .offset:         112
        .size:           4
        .value_kind:     by_value
      - .offset:         120
        .size:           8
        .value_kind:     by_value
      - .offset:         128
        .size:           4
        .value_kind:     by_value
      - .offset:         132
        .size:           4
        .value_kind:     by_value
    .group_segment_fixed_size: 16384
    .kernarg_segment_align: 8
    .kernarg_segment_size: 136
    .language:       OpenCL C
    .language_version:
      - 2
      - 0
    .max_flat_workgroup_size: 256
    .name:           _ZN12_GLOBAL__N_120geam_min_plus_kernelId15HIP_vector_typeIdLj2EEdLi32ELi8ELi128ELi128ELi4ELi4ELi64ELi4ELi64ELc84ELc78ELb0ELb1ELb1EPKdS3_dEEviiiT16_PT17_ilS7_ilS5_S7_ilPT18_ili26rocblas_geam_ex_operation_
    .private_segment_fixed_size: 0
    .sgpr_count:     34
    .sgpr_spill_count: 0
    .symbol:         _ZN12_GLOBAL__N_120geam_min_plus_kernelId15HIP_vector_typeIdLj2EEdLi32ELi8ELi128ELi128ELi4ELi4ELi64ELi4ELi64ELc84ELc78ELb0ELb1ELb1EPKdS3_dEEviiiT16_PT17_ilS7_ilS5_S7_ilPT18_ili26rocblas_geam_ex_operation_.kd
    .uniform_work_group_size: 1
    .uses_dynamic_stack: false
    .vgpr_count:     172
    .vgpr_spill_count: 0
    .wavefront_size: 32
    .workgroup_processor_mode: 1
  - .args:
      - .offset:         0
        .size:           4
        .value_kind:     by_value
      - .offset:         4
        .size:           4
        .value_kind:     by_value
      - .offset:         8
        .size:           4
        .value_kind:     by_value
      - .offset:         16
        .size:           8
        .value_kind:     by_value
      - .address_space:  global
        .offset:         24
        .size:           8
        .value_kind:     global_buffer
      - .offset:         32
        .size:           4
        .value_kind:     by_value
      - .offset:         40
        .size:           8
        .value_kind:     by_value
      - .address_space:  global
        .offset:         48
        .size:           8
        .value_kind:     global_buffer
      - .offset:         56
        .size:           4
        .value_kind:     by_value
      - .offset:         64
        .size:           8
        .value_kind:     by_value
      - .offset:         72
        .size:           8
        .value_kind:     by_value
      - .address_space:  global
        .offset:         80
        .size:           8
        .value_kind:     global_buffer
      - .offset:         88
        .size:           4
        .value_kind:     by_value
      - .offset:         96
        .size:           8
        .value_kind:     by_value
      - .address_space:  global
        .offset:         104
        .size:           8
        .value_kind:     global_buffer
      - .offset:         112
        .size:           4
        .value_kind:     by_value
      - .offset:         120
        .size:           8
        .value_kind:     by_value
      - .offset:         128
        .size:           4
        .value_kind:     by_value
      - .offset:         132
        .size:           4
        .value_kind:     by_value
    .group_segment_fixed_size: 16384
    .kernarg_segment_align: 8
    .kernarg_segment_size: 136
    .language:       OpenCL C
    .language_version:
      - 2
      - 0
    .max_flat_workgroup_size: 256
    .name:           _ZN12_GLOBAL__N_120geam_min_plus_kernelId15HIP_vector_typeIdLj2EEdLi32ELi8ELi128ELi128ELi4ELi4ELi64ELi4ELi64ELc84ELc78ELb1ELb1ELb1EdKddEEviiiT16_PT17_ilS6_ilS4_S6_ilPT18_ili26rocblas_geam_ex_operation_
    .private_segment_fixed_size: 0
    .sgpr_count:     33
    .sgpr_spill_count: 0
    .symbol:         _ZN12_GLOBAL__N_120geam_min_plus_kernelId15HIP_vector_typeIdLj2EEdLi32ELi8ELi128ELi128ELi4ELi4ELi64ELi4ELi64ELc84ELc78ELb1ELb1ELb1EdKddEEviiiT16_PT17_ilS6_ilS4_S6_ilPT18_ili26rocblas_geam_ex_operation_.kd
    .uniform_work_group_size: 1
    .uses_dynamic_stack: false
    .vgpr_count:     177
    .vgpr_spill_count: 0
    .wavefront_size: 32
    .workgroup_processor_mode: 1
  - .args:
      - .offset:         0
        .size:           4
        .value_kind:     by_value
      - .offset:         4
        .size:           4
        .value_kind:     by_value
      - .offset:         8
        .size:           4
        .value_kind:     by_value
      - .offset:         16
        .size:           8
        .value_kind:     by_value
      - .address_space:  global
        .offset:         24
        .size:           8
        .value_kind:     global_buffer
      - .offset:         32
        .size:           4
        .value_kind:     by_value
      - .offset:         40
        .size:           8
        .value_kind:     by_value
      - .address_space:  global
        .offset:         48
        .size:           8
        .value_kind:     global_buffer
      - .offset:         56
        .size:           4
        .value_kind:     by_value
      - .offset:         64
        .size:           8
        .value_kind:     by_value
      - .offset:         72
        .size:           8
        .value_kind:     by_value
      - .address_space:  global
        .offset:         80
        .size:           8
        .value_kind:     global_buffer
      - .offset:         88
        .size:           4
        .value_kind:     by_value
      - .offset:         96
        .size:           8
        .value_kind:     by_value
      - .address_space:  global
        .offset:         104
        .size:           8
        .value_kind:     global_buffer
      - .offset:         112
        .size:           4
        .value_kind:     by_value
      - .offset:         120
        .size:           8
        .value_kind:     by_value
      - .offset:         128
        .size:           4
        .value_kind:     by_value
      - .offset:         132
        .size:           4
        .value_kind:     by_value
    .group_segment_fixed_size: 16384
    .kernarg_segment_align: 8
    .kernarg_segment_size: 136
    .language:       OpenCL C
    .language_version:
      - 2
      - 0
    .max_flat_workgroup_size: 256
    .name:           _ZN12_GLOBAL__N_120geam_min_plus_kernelId15HIP_vector_typeIdLj2EEdLi32ELi8ELi128ELi128ELi4ELi4ELi64ELi4ELi64ELc84ELc78ELb0ELb1ELb1EdKddEEviiiT16_PT17_ilS6_ilS4_S6_ilPT18_ili26rocblas_geam_ex_operation_
    .private_segment_fixed_size: 0
    .sgpr_count:     36
    .sgpr_spill_count: 0
    .symbol:         _ZN12_GLOBAL__N_120geam_min_plus_kernelId15HIP_vector_typeIdLj2EEdLi32ELi8ELi128ELi128ELi4ELi4ELi64ELi4ELi64ELc84ELc78ELb0ELb1ELb1EdKddEEviiiT16_PT17_ilS6_ilS4_S6_ilPT18_ili26rocblas_geam_ex_operation_.kd
    .uniform_work_group_size: 1
    .uses_dynamic_stack: false
    .vgpr_count:     172
    .vgpr_spill_count: 0
    .wavefront_size: 32
    .workgroup_processor_mode: 1
  - .args:
      - .offset:         0
        .size:           4
        .value_kind:     by_value
      - .offset:         4
        .size:           4
        .value_kind:     by_value
      - .offset:         8
        .size:           4
        .value_kind:     by_value
      - .address_space:  global
        .offset:         16
        .size:           8
        .value_kind:     global_buffer
      - .address_space:  global
        .offset:         24
        .size:           8
        .value_kind:     global_buffer
      - .offset:         32
        .size:           4
        .value_kind:     by_value
      - .offset:         40
        .size:           8
        .value_kind:     by_value
      - .address_space:  global
        .offset:         48
        .size:           8
        .value_kind:     global_buffer
      - .offset:         56
        .size:           4
        .value_kind:     by_value
      - .offset:         64
        .size:           8
        .value_kind:     by_value
      - .address_space:  global
        .offset:         72
        .size:           8
        .value_kind:     global_buffer
      - .address_space:  global
        .offset:         80
        .size:           8
        .value_kind:     global_buffer
      - .offset:         88
        .size:           4
        .value_kind:     by_value
      - .offset:         96
        .size:           8
        .value_kind:     by_value
      - .address_space:  global
        .offset:         104
        .size:           8
        .value_kind:     global_buffer
      - .offset:         112
        .size:           4
        .value_kind:     by_value
      - .offset:         120
        .size:           8
        .value_kind:     by_value
      - .offset:         128
        .size:           4
        .value_kind:     by_value
      - .offset:         132
        .size:           4
        .value_kind:     by_value
    .group_segment_fixed_size: 20480
    .kernarg_segment_align: 8
    .kernarg_segment_size: 136
    .language:       OpenCL C
    .language_version:
      - 2
      - 0
    .max_flat_workgroup_size: 256
    .name:           _ZN12_GLOBAL__N_120geam_min_plus_kernelId15HIP_vector_typeIdLj2EEdLi8ELi32ELi64ELi256ELi4ELi64ELi4ELi64ELi4ELc78ELc84ELb0ELb0ELb1EPKdS3_dEEviiiT16_PT17_ilS7_ilS5_S7_ilPT18_ili26rocblas_geam_ex_operation_
    .private_segment_fixed_size: 396
    .sgpr_count:     28
    .sgpr_spill_count: 0
    .symbol:         _ZN12_GLOBAL__N_120geam_min_plus_kernelId15HIP_vector_typeIdLj2EEdLi8ELi32ELi64ELi256ELi4ELi64ELi4ELi64ELi4ELc78ELc84ELb0ELb0ELb1EPKdS3_dEEviiiT16_PT17_ilS7_ilS5_S7_ilPT18_ili26rocblas_geam_ex_operation_.kd
    .uniform_work_group_size: 1
    .uses_dynamic_stack: false
    .vgpr_count:     256
    .vgpr_spill_count: 365
    .wavefront_size: 32
    .workgroup_processor_mode: 1
  - .args:
      - .offset:         0
        .size:           4
        .value_kind:     by_value
      - .offset:         4
        .size:           4
        .value_kind:     by_value
      - .offset:         8
        .size:           4
        .value_kind:     by_value
      - .offset:         16
        .size:           8
        .value_kind:     by_value
      - .address_space:  global
        .offset:         24
        .size:           8
        .value_kind:     global_buffer
      - .offset:         32
        .size:           4
        .value_kind:     by_value
      - .offset:         40
        .size:           8
        .value_kind:     by_value
      - .address_space:  global
        .offset:         48
        .size:           8
        .value_kind:     global_buffer
      - .offset:         56
        .size:           4
        .value_kind:     by_value
      - .offset:         64
        .size:           8
        .value_kind:     by_value
      - .offset:         72
        .size:           8
        .value_kind:     by_value
      - .address_space:  global
        .offset:         80
        .size:           8
        .value_kind:     global_buffer
      - .offset:         88
        .size:           4
        .value_kind:     by_value
      - .offset:         96
        .size:           8
        .value_kind:     by_value
      - .address_space:  global
        .offset:         104
        .size:           8
        .value_kind:     global_buffer
      - .offset:         112
        .size:           4
        .value_kind:     by_value
      - .offset:         120
        .size:           8
        .value_kind:     by_value
      - .offset:         128
        .size:           4
        .value_kind:     by_value
      - .offset:         132
        .size:           4
        .value_kind:     by_value
    .group_segment_fixed_size: 20480
    .kernarg_segment_align: 8
    .kernarg_segment_size: 136
    .language:       OpenCL C
    .language_version:
      - 2
      - 0
    .max_flat_workgroup_size: 256
    .name:           _ZN12_GLOBAL__N_120geam_min_plus_kernelId15HIP_vector_typeIdLj2EEdLi8ELi32ELi64ELi256ELi4ELi64ELi4ELi64ELi4ELc78ELc84ELb1ELb0ELb1EdKddEEviiiT16_PT17_ilS6_ilS4_S6_ilPT18_ili26rocblas_geam_ex_operation_
    .private_segment_fixed_size: 400
    .sgpr_count:     27
    .sgpr_spill_count: 0
    .symbol:         _ZN12_GLOBAL__N_120geam_min_plus_kernelId15HIP_vector_typeIdLj2EEdLi8ELi32ELi64ELi256ELi4ELi64ELi4ELi64ELi4ELc78ELc84ELb1ELb0ELb1EdKddEEviiiT16_PT17_ilS6_ilS4_S6_ilPT18_ili26rocblas_geam_ex_operation_.kd
    .uniform_work_group_size: 1
    .uses_dynamic_stack: false
    .vgpr_count:     256
    .vgpr_spill_count: 330
    .wavefront_size: 32
    .workgroup_processor_mode: 1
  - .args:
      - .offset:         0
        .size:           4
        .value_kind:     by_value
      - .offset:         4
        .size:           4
        .value_kind:     by_value
      - .offset:         8
        .size:           4
        .value_kind:     by_value
      - .offset:         16
        .size:           8
        .value_kind:     by_value
      - .address_space:  global
        .offset:         24
        .size:           8
        .value_kind:     global_buffer
      - .offset:         32
        .size:           4
        .value_kind:     by_value
      - .offset:         40
        .size:           8
        .value_kind:     by_value
      - .address_space:  global
        .offset:         48
        .size:           8
        .value_kind:     global_buffer
      - .offset:         56
        .size:           4
        .value_kind:     by_value
      - .offset:         64
        .size:           8
        .value_kind:     by_value
      - .offset:         72
        .size:           8
        .value_kind:     by_value
      - .address_space:  global
        .offset:         80
        .size:           8
        .value_kind:     global_buffer
      - .offset:         88
        .size:           4
        .value_kind:     by_value
      - .offset:         96
        .size:           8
        .value_kind:     by_value
      - .address_space:  global
        .offset:         104
        .size:           8
        .value_kind:     global_buffer
      - .offset:         112
        .size:           4
        .value_kind:     by_value
      - .offset:         120
        .size:           8
        .value_kind:     by_value
      - .offset:         128
        .size:           4
        .value_kind:     by_value
      - .offset:         132
        .size:           4
        .value_kind:     by_value
    .group_segment_fixed_size: 20480
    .kernarg_segment_align: 8
    .kernarg_segment_size: 136
    .language:       OpenCL C
    .language_version:
      - 2
      - 0
    .max_flat_workgroup_size: 256
    .name:           _ZN12_GLOBAL__N_120geam_min_plus_kernelId15HIP_vector_typeIdLj2EEdLi8ELi32ELi64ELi256ELi4ELi64ELi4ELi64ELi4ELc78ELc84ELb0ELb0ELb1EdKddEEviiiT16_PT17_ilS6_ilS4_S6_ilPT18_ili26rocblas_geam_ex_operation_
    .private_segment_fixed_size: 388
    .sgpr_count:     29
    .sgpr_spill_count: 0
    .symbol:         _ZN12_GLOBAL__N_120geam_min_plus_kernelId15HIP_vector_typeIdLj2EEdLi8ELi32ELi64ELi256ELi4ELi64ELi4ELi64ELi4ELc78ELc84ELb0ELb0ELb1EdKddEEviiiT16_PT17_ilS6_ilS4_S6_ilPT18_ili26rocblas_geam_ex_operation_.kd
    .uniform_work_group_size: 1
    .uses_dynamic_stack: false
    .vgpr_count:     256
    .vgpr_spill_count: 365
    .wavefront_size: 32
    .workgroup_processor_mode: 1
  - .args:
      - .offset:         0
        .size:           4
        .value_kind:     by_value
      - .offset:         4
        .size:           4
        .value_kind:     by_value
      - .offset:         8
        .size:           4
        .value_kind:     by_value
      - .address_space:  global
        .offset:         16
        .size:           8
        .value_kind:     global_buffer
      - .address_space:  global
        .offset:         24
        .size:           8
        .value_kind:     global_buffer
      - .offset:         32
        .size:           4
        .value_kind:     by_value
      - .offset:         40
        .size:           8
        .value_kind:     by_value
      - .address_space:  global
        .offset:         48
        .size:           8
        .value_kind:     global_buffer
      - .offset:         56
        .size:           4
        .value_kind:     by_value
      - .offset:         64
        .size:           8
        .value_kind:     by_value
      - .address_space:  global
        .offset:         72
        .size:           8
        .value_kind:     global_buffer
      - .address_space:  global
        .offset:         80
        .size:           8
        .value_kind:     global_buffer
      - .offset:         88
        .size:           4
        .value_kind:     by_value
      - .offset:         96
        .size:           8
        .value_kind:     by_value
      - .address_space:  global
        .offset:         104
        .size:           8
        .value_kind:     global_buffer
      - .offset:         112
        .size:           4
        .value_kind:     by_value
      - .offset:         120
        .size:           8
        .value_kind:     by_value
      - .offset:         128
        .size:           4
        .value_kind:     by_value
      - .offset:         132
        .size:           4
        .value_kind:     by_value
    .group_segment_fixed_size: 20480
    .kernarg_segment_align: 8
    .kernarg_segment_size: 136
    .language:       OpenCL C
    .language_version:
      - 2
      - 0
    .max_flat_workgroup_size: 256
    .name:           _ZN12_GLOBAL__N_120geam_min_plus_kernelId15HIP_vector_typeIdLj2EEdLi8ELi32ELi64ELi256ELi4ELi64ELi4ELi64ELi4ELc78ELc84ELb0ELb1ELb1EPKdS3_dEEviiiT16_PT17_ilS7_ilS5_S7_ilPT18_ili26rocblas_geam_ex_operation_
    .private_segment_fixed_size: 0
    .sgpr_count:     38
    .sgpr_spill_count: 0
    .symbol:         _ZN12_GLOBAL__N_120geam_min_plus_kernelId15HIP_vector_typeIdLj2EEdLi8ELi32ELi64ELi256ELi4ELi64ELi4ELi64ELi4ELc78ELc84ELb0ELb1ELb1EPKdS3_dEEviiiT16_PT17_ilS7_ilS5_S7_ilPT18_ili26rocblas_geam_ex_operation_.kd
    .uniform_work_group_size: 1
    .uses_dynamic_stack: false
    .vgpr_count:     153
    .vgpr_spill_count: 0
    .wavefront_size: 32
    .workgroup_processor_mode: 1
  - .args:
      - .offset:         0
        .size:           4
        .value_kind:     by_value
      - .offset:         4
        .size:           4
        .value_kind:     by_value
      - .offset:         8
        .size:           4
        .value_kind:     by_value
      - .offset:         16
        .size:           8
        .value_kind:     by_value
      - .address_space:  global
        .offset:         24
        .size:           8
        .value_kind:     global_buffer
      - .offset:         32
        .size:           4
        .value_kind:     by_value
      - .offset:         40
        .size:           8
        .value_kind:     by_value
      - .address_space:  global
        .offset:         48
        .size:           8
        .value_kind:     global_buffer
      - .offset:         56
        .size:           4
        .value_kind:     by_value
      - .offset:         64
        .size:           8
        .value_kind:     by_value
      - .offset:         72
        .size:           8
        .value_kind:     by_value
      - .address_space:  global
        .offset:         80
        .size:           8
        .value_kind:     global_buffer
      - .offset:         88
        .size:           4
        .value_kind:     by_value
      - .offset:         96
        .size:           8
        .value_kind:     by_value
      - .address_space:  global
        .offset:         104
        .size:           8
        .value_kind:     global_buffer
      - .offset:         112
        .size:           4
        .value_kind:     by_value
      - .offset:         120
        .size:           8
        .value_kind:     by_value
      - .offset:         128
        .size:           4
        .value_kind:     by_value
      - .offset:         132
        .size:           4
        .value_kind:     by_value
    .group_segment_fixed_size: 20480
    .kernarg_segment_align: 8
    .kernarg_segment_size: 136
    .language:       OpenCL C
    .language_version:
      - 2
      - 0
    .max_flat_workgroup_size: 256
    .name:           _ZN12_GLOBAL__N_120geam_min_plus_kernelId15HIP_vector_typeIdLj2EEdLi8ELi32ELi64ELi256ELi4ELi64ELi4ELi64ELi4ELc78ELc84ELb1ELb1ELb1EdKddEEviiiT16_PT17_ilS6_ilS4_S6_ilPT18_ili26rocblas_geam_ex_operation_
    .private_segment_fixed_size: 0
    .sgpr_count:     37
    .sgpr_spill_count: 0
    .symbol:         _ZN12_GLOBAL__N_120geam_min_plus_kernelId15HIP_vector_typeIdLj2EEdLi8ELi32ELi64ELi256ELi4ELi64ELi4ELi64ELi4ELc78ELc84ELb1ELb1ELb1EdKddEEviiiT16_PT17_ilS6_ilS4_S6_ilPT18_ili26rocblas_geam_ex_operation_.kd
    .uniform_work_group_size: 1
    .uses_dynamic_stack: false
    .vgpr_count:     153
    .vgpr_spill_count: 0
    .wavefront_size: 32
    .workgroup_processor_mode: 1
  - .args:
      - .offset:         0
        .size:           4
        .value_kind:     by_value
      - .offset:         4
        .size:           4
        .value_kind:     by_value
      - .offset:         8
        .size:           4
        .value_kind:     by_value
      - .offset:         16
        .size:           8
        .value_kind:     by_value
      - .address_space:  global
        .offset:         24
        .size:           8
        .value_kind:     global_buffer
      - .offset:         32
        .size:           4
        .value_kind:     by_value
      - .offset:         40
        .size:           8
        .value_kind:     by_value
      - .address_space:  global
        .offset:         48
        .size:           8
        .value_kind:     global_buffer
      - .offset:         56
        .size:           4
        .value_kind:     by_value
      - .offset:         64
        .size:           8
        .value_kind:     by_value
      - .offset:         72
        .size:           8
        .value_kind:     by_value
      - .address_space:  global
        .offset:         80
        .size:           8
        .value_kind:     global_buffer
      - .offset:         88
        .size:           4
        .value_kind:     by_value
      - .offset:         96
        .size:           8
        .value_kind:     by_value
      - .address_space:  global
        .offset:         104
        .size:           8
        .value_kind:     global_buffer
      - .offset:         112
        .size:           4
        .value_kind:     by_value
      - .offset:         120
        .size:           8
        .value_kind:     by_value
      - .offset:         128
        .size:           4
        .value_kind:     by_value
      - .offset:         132
        .size:           4
        .value_kind:     by_value
    .group_segment_fixed_size: 20480
    .kernarg_segment_align: 8
    .kernarg_segment_size: 136
    .language:       OpenCL C
    .language_version:
      - 2
      - 0
    .max_flat_workgroup_size: 256
    .name:           _ZN12_GLOBAL__N_120geam_min_plus_kernelId15HIP_vector_typeIdLj2EEdLi8ELi32ELi64ELi256ELi4ELi64ELi4ELi64ELi4ELc78ELc84ELb0ELb1ELb1EdKddEEviiiT16_PT17_ilS6_ilS4_S6_ilPT18_ili26rocblas_geam_ex_operation_
    .private_segment_fixed_size: 0
    .sgpr_count:     39
    .sgpr_spill_count: 0
    .symbol:         _ZN12_GLOBAL__N_120geam_min_plus_kernelId15HIP_vector_typeIdLj2EEdLi8ELi32ELi64ELi256ELi4ELi64ELi4ELi64ELi4ELc78ELc84ELb0ELb1ELb1EdKddEEviiiT16_PT17_ilS6_ilS4_S6_ilPT18_ili26rocblas_geam_ex_operation_.kd
    .uniform_work_group_size: 1
    .uses_dynamic_stack: false
    .vgpr_count:     153
    .vgpr_spill_count: 0
    .wavefront_size: 32
    .workgroup_processor_mode: 1
  - .args:
      - .offset:         0
        .size:           4
        .value_kind:     by_value
      - .offset:         4
        .size:           4
        .value_kind:     by_value
      - .offset:         8
        .size:           4
        .value_kind:     by_value
      - .address_space:  global
        .offset:         16
        .size:           8
        .value_kind:     global_buffer
      - .address_space:  global
        .offset:         24
        .size:           8
        .value_kind:     global_buffer
      - .offset:         32
        .size:           4
        .value_kind:     by_value
      - .offset:         40
        .size:           8
        .value_kind:     by_value
      - .address_space:  global
        .offset:         48
        .size:           8
        .value_kind:     global_buffer
      - .offset:         56
        .size:           4
        .value_kind:     by_value
      - .offset:         64
        .size:           8
        .value_kind:     by_value
      - .address_space:  global
        .offset:         72
        .size:           8
        .value_kind:     global_buffer
      - .address_space:  global
        .offset:         80
        .size:           8
        .value_kind:     global_buffer
      - .offset:         88
        .size:           4
        .value_kind:     by_value
      - .offset:         96
        .size:           8
        .value_kind:     by_value
      - .address_space:  global
        .offset:         104
        .size:           8
        .value_kind:     global_buffer
      - .offset:         112
        .size:           4
        .value_kind:     by_value
      - .offset:         120
        .size:           8
        .value_kind:     by_value
      - .offset:         128
        .size:           4
        .value_kind:     by_value
      - .offset:         132
        .size:           4
        .value_kind:     by_value
    .group_segment_fixed_size: 20480
    .kernarg_segment_align: 8
    .kernarg_segment_size: 136
    .language:       OpenCL C
    .language_version:
      - 2
      - 0
    .max_flat_workgroup_size: 256
    .name:           _ZN12_GLOBAL__N_120geam_min_plus_kernelId15HIP_vector_typeIdLj2EEdLi8ELi32ELi64ELi256ELi4ELi4ELi64ELi64ELi4ELc84ELc84ELb0ELb0ELb1EPKdS3_dEEviiiT16_PT17_ilS7_ilS5_S7_ilPT18_ili26rocblas_geam_ex_operation_
    .private_segment_fixed_size: 420
    .sgpr_count:     28
    .sgpr_spill_count: 0
    .symbol:         _ZN12_GLOBAL__N_120geam_min_plus_kernelId15HIP_vector_typeIdLj2EEdLi8ELi32ELi64ELi256ELi4ELi4ELi64ELi64ELi4ELc84ELc84ELb0ELb0ELb1EPKdS3_dEEviiiT16_PT17_ilS7_ilS5_S7_ilPT18_ili26rocblas_geam_ex_operation_.kd
    .uniform_work_group_size: 1
    .uses_dynamic_stack: false
    .vgpr_count:     256
    .vgpr_spill_count: 373
    .wavefront_size: 32
    .workgroup_processor_mode: 1
  - .args:
      - .offset:         0
        .size:           4
        .value_kind:     by_value
      - .offset:         4
        .size:           4
        .value_kind:     by_value
      - .offset:         8
        .size:           4
        .value_kind:     by_value
      - .offset:         16
        .size:           8
        .value_kind:     by_value
      - .address_space:  global
        .offset:         24
        .size:           8
        .value_kind:     global_buffer
      - .offset:         32
        .size:           4
        .value_kind:     by_value
      - .offset:         40
        .size:           8
        .value_kind:     by_value
      - .address_space:  global
        .offset:         48
        .size:           8
        .value_kind:     global_buffer
      - .offset:         56
        .size:           4
        .value_kind:     by_value
      - .offset:         64
        .size:           8
        .value_kind:     by_value
      - .offset:         72
        .size:           8
        .value_kind:     by_value
      - .address_space:  global
        .offset:         80
        .size:           8
        .value_kind:     global_buffer
      - .offset:         88
        .size:           4
        .value_kind:     by_value
      - .offset:         96
        .size:           8
        .value_kind:     by_value
      - .address_space:  global
        .offset:         104
        .size:           8
        .value_kind:     global_buffer
      - .offset:         112
        .size:           4
        .value_kind:     by_value
      - .offset:         120
        .size:           8
        .value_kind:     by_value
      - .offset:         128
        .size:           4
        .value_kind:     by_value
      - .offset:         132
        .size:           4
        .value_kind:     by_value
    .group_segment_fixed_size: 20480
    .kernarg_segment_align: 8
    .kernarg_segment_size: 136
    .language:       OpenCL C
    .language_version:
      - 2
      - 0
    .max_flat_workgroup_size: 256
    .name:           _ZN12_GLOBAL__N_120geam_min_plus_kernelId15HIP_vector_typeIdLj2EEdLi8ELi32ELi64ELi256ELi4ELi4ELi64ELi64ELi4ELc84ELc84ELb1ELb0ELb1EdKddEEviiiT16_PT17_ilS6_ilS4_S6_ilPT18_ili26rocblas_geam_ex_operation_
    .private_segment_fixed_size: 400
    .sgpr_count:     26
    .sgpr_spill_count: 0
    .symbol:         _ZN12_GLOBAL__N_120geam_min_plus_kernelId15HIP_vector_typeIdLj2EEdLi8ELi32ELi64ELi256ELi4ELi4ELi64ELi64ELi4ELc84ELc84ELb1ELb0ELb1EdKddEEviiiT16_PT17_ilS6_ilS4_S6_ilPT18_ili26rocblas_geam_ex_operation_.kd
    .uniform_work_group_size: 1
    .uses_dynamic_stack: false
    .vgpr_count:     256
    .vgpr_spill_count: 344
    .wavefront_size: 32
    .workgroup_processor_mode: 1
  - .args:
      - .offset:         0
        .size:           4
        .value_kind:     by_value
      - .offset:         4
        .size:           4
        .value_kind:     by_value
      - .offset:         8
        .size:           4
        .value_kind:     by_value
      - .offset:         16
        .size:           8
        .value_kind:     by_value
      - .address_space:  global
        .offset:         24
        .size:           8
        .value_kind:     global_buffer
      - .offset:         32
        .size:           4
        .value_kind:     by_value
      - .offset:         40
        .size:           8
        .value_kind:     by_value
      - .address_space:  global
        .offset:         48
        .size:           8
        .value_kind:     global_buffer
      - .offset:         56
        .size:           4
        .value_kind:     by_value
      - .offset:         64
        .size:           8
        .value_kind:     by_value
      - .offset:         72
        .size:           8
        .value_kind:     by_value
      - .address_space:  global
        .offset:         80
        .size:           8
        .value_kind:     global_buffer
      - .offset:         88
        .size:           4
        .value_kind:     by_value
      - .offset:         96
        .size:           8
        .value_kind:     by_value
      - .address_space:  global
        .offset:         104
        .size:           8
        .value_kind:     global_buffer
      - .offset:         112
        .size:           4
        .value_kind:     by_value
      - .offset:         120
        .size:           8
        .value_kind:     by_value
      - .offset:         128
        .size:           4
        .value_kind:     by_value
      - .offset:         132
        .size:           4
        .value_kind:     by_value
    .group_segment_fixed_size: 20480
    .kernarg_segment_align: 8
    .kernarg_segment_size: 136
    .language:       OpenCL C
    .language_version:
      - 2
      - 0
    .max_flat_workgroup_size: 256
    .name:           _ZN12_GLOBAL__N_120geam_min_plus_kernelId15HIP_vector_typeIdLj2EEdLi8ELi32ELi64ELi256ELi4ELi4ELi64ELi64ELi4ELc84ELc84ELb0ELb0ELb1EdKddEEviiiT16_PT17_ilS6_ilS4_S6_ilPT18_ili26rocblas_geam_ex_operation_
    .private_segment_fixed_size: 420
    .sgpr_count:     27
    .sgpr_spill_count: 0
    .symbol:         _ZN12_GLOBAL__N_120geam_min_plus_kernelId15HIP_vector_typeIdLj2EEdLi8ELi32ELi64ELi256ELi4ELi4ELi64ELi64ELi4ELc84ELc84ELb0ELb0ELb1EdKddEEviiiT16_PT17_ilS6_ilS4_S6_ilPT18_ili26rocblas_geam_ex_operation_.kd
    .uniform_work_group_size: 1
    .uses_dynamic_stack: false
    .vgpr_count:     256
    .vgpr_spill_count: 373
    .wavefront_size: 32
    .workgroup_processor_mode: 1
  - .args:
      - .offset:         0
        .size:           4
        .value_kind:     by_value
      - .offset:         4
        .size:           4
        .value_kind:     by_value
      - .offset:         8
        .size:           4
        .value_kind:     by_value
      - .address_space:  global
        .offset:         16
        .size:           8
        .value_kind:     global_buffer
      - .address_space:  global
        .offset:         24
        .size:           8
        .value_kind:     global_buffer
      - .offset:         32
        .size:           4
        .value_kind:     by_value
      - .offset:         40
        .size:           8
        .value_kind:     by_value
      - .address_space:  global
        .offset:         48
        .size:           8
        .value_kind:     global_buffer
      - .offset:         56
        .size:           4
        .value_kind:     by_value
      - .offset:         64
        .size:           8
        .value_kind:     by_value
      - .address_space:  global
        .offset:         72
        .size:           8
        .value_kind:     global_buffer
      - .address_space:  global
        .offset:         80
        .size:           8
        .value_kind:     global_buffer
      - .offset:         88
        .size:           4
        .value_kind:     by_value
      - .offset:         96
        .size:           8
        .value_kind:     by_value
      - .address_space:  global
        .offset:         104
        .size:           8
        .value_kind:     global_buffer
      - .offset:         112
        .size:           4
        .value_kind:     by_value
      - .offset:         120
        .size:           8
        .value_kind:     by_value
      - .offset:         128
        .size:           4
        .value_kind:     by_value
      - .offset:         132
        .size:           4
        .value_kind:     by_value
    .group_segment_fixed_size: 20480
    .kernarg_segment_align: 8
    .kernarg_segment_size: 136
    .language:       OpenCL C
    .language_version:
      - 2
      - 0
    .max_flat_workgroup_size: 256
    .name:           _ZN12_GLOBAL__N_120geam_min_plus_kernelId15HIP_vector_typeIdLj2EEdLi8ELi32ELi64ELi256ELi4ELi4ELi64ELi64ELi4ELc84ELc84ELb0ELb1ELb1EPKdS3_dEEviiiT16_PT17_ilS7_ilS5_S7_ilPT18_ili26rocblas_geam_ex_operation_
    .private_segment_fixed_size: 0
    .sgpr_count:     36
    .sgpr_spill_count: 0
    .symbol:         _ZN12_GLOBAL__N_120geam_min_plus_kernelId15HIP_vector_typeIdLj2EEdLi8ELi32ELi64ELi256ELi4ELi4ELi64ELi64ELi4ELc84ELc84ELb0ELb1ELb1EPKdS3_dEEviiiT16_PT17_ilS7_ilS5_S7_ilPT18_ili26rocblas_geam_ex_operation_.kd
    .uniform_work_group_size: 1
    .uses_dynamic_stack: false
    .vgpr_count:     158
    .vgpr_spill_count: 0
    .wavefront_size: 32
    .workgroup_processor_mode: 1
  - .args:
      - .offset:         0
        .size:           4
        .value_kind:     by_value
      - .offset:         4
        .size:           4
        .value_kind:     by_value
      - .offset:         8
        .size:           4
        .value_kind:     by_value
      - .offset:         16
        .size:           8
        .value_kind:     by_value
      - .address_space:  global
        .offset:         24
        .size:           8
        .value_kind:     global_buffer
      - .offset:         32
        .size:           4
        .value_kind:     by_value
      - .offset:         40
        .size:           8
        .value_kind:     by_value
      - .address_space:  global
        .offset:         48
        .size:           8
        .value_kind:     global_buffer
      - .offset:         56
        .size:           4
        .value_kind:     by_value
      - .offset:         64
        .size:           8
        .value_kind:     by_value
      - .offset:         72
        .size:           8
        .value_kind:     by_value
      - .address_space:  global
        .offset:         80
        .size:           8
        .value_kind:     global_buffer
      - .offset:         88
        .size:           4
        .value_kind:     by_value
      - .offset:         96
        .size:           8
        .value_kind:     by_value
      - .address_space:  global
        .offset:         104
        .size:           8
        .value_kind:     global_buffer
      - .offset:         112
        .size:           4
        .value_kind:     by_value
      - .offset:         120
        .size:           8
        .value_kind:     by_value
      - .offset:         128
        .size:           4
        .value_kind:     by_value
      - .offset:         132
        .size:           4
        .value_kind:     by_value
    .group_segment_fixed_size: 20480
    .kernarg_segment_align: 8
    .kernarg_segment_size: 136
    .language:       OpenCL C
    .language_version:
      - 2
      - 0
    .max_flat_workgroup_size: 256
    .name:           _ZN12_GLOBAL__N_120geam_min_plus_kernelId15HIP_vector_typeIdLj2EEdLi8ELi32ELi64ELi256ELi4ELi4ELi64ELi64ELi4ELc84ELc84ELb1ELb1ELb1EdKddEEviiiT16_PT17_ilS6_ilS4_S6_ilPT18_ili26rocblas_geam_ex_operation_
    .private_segment_fixed_size: 0
    .sgpr_count:     34
    .sgpr_spill_count: 0
    .symbol:         _ZN12_GLOBAL__N_120geam_min_plus_kernelId15HIP_vector_typeIdLj2EEdLi8ELi32ELi64ELi256ELi4ELi4ELi64ELi64ELi4ELc84ELc84ELb1ELb1ELb1EdKddEEviiiT16_PT17_ilS6_ilS4_S6_ilPT18_ili26rocblas_geam_ex_operation_.kd
    .uniform_work_group_size: 1
    .uses_dynamic_stack: false
    .vgpr_count:     158
    .vgpr_spill_count: 0
    .wavefront_size: 32
    .workgroup_processor_mode: 1
  - .args:
      - .offset:         0
        .size:           4
        .value_kind:     by_value
      - .offset:         4
        .size:           4
        .value_kind:     by_value
      - .offset:         8
        .size:           4
        .value_kind:     by_value
      - .offset:         16
        .size:           8
        .value_kind:     by_value
      - .address_space:  global
        .offset:         24
        .size:           8
        .value_kind:     global_buffer
      - .offset:         32
        .size:           4
        .value_kind:     by_value
      - .offset:         40
        .size:           8
        .value_kind:     by_value
      - .address_space:  global
        .offset:         48
        .size:           8
        .value_kind:     global_buffer
      - .offset:         56
        .size:           4
        .value_kind:     by_value
      - .offset:         64
        .size:           8
        .value_kind:     by_value
      - .offset:         72
        .size:           8
        .value_kind:     by_value
      - .address_space:  global
        .offset:         80
        .size:           8
        .value_kind:     global_buffer
      - .offset:         88
        .size:           4
        .value_kind:     by_value
      - .offset:         96
        .size:           8
        .value_kind:     by_value
      - .address_space:  global
        .offset:         104
        .size:           8
        .value_kind:     global_buffer
      - .offset:         112
        .size:           4
        .value_kind:     by_value
      - .offset:         120
        .size:           8
        .value_kind:     by_value
      - .offset:         128
        .size:           4
        .value_kind:     by_value
      - .offset:         132
        .size:           4
        .value_kind:     by_value
    .group_segment_fixed_size: 20480
    .kernarg_segment_align: 8
    .kernarg_segment_size: 136
    .language:       OpenCL C
    .language_version:
      - 2
      - 0
    .max_flat_workgroup_size: 256
    .name:           _ZN12_GLOBAL__N_120geam_min_plus_kernelId15HIP_vector_typeIdLj2EEdLi8ELi32ELi64ELi256ELi4ELi4ELi64ELi64ELi4ELc84ELc84ELb0ELb1ELb1EdKddEEviiiT16_PT17_ilS6_ilS4_S6_ilPT18_ili26rocblas_geam_ex_operation_
    .private_segment_fixed_size: 0
    .sgpr_count:     37
    .sgpr_spill_count: 0
    .symbol:         _ZN12_GLOBAL__N_120geam_min_plus_kernelId15HIP_vector_typeIdLj2EEdLi8ELi32ELi64ELi256ELi4ELi4ELi64ELi64ELi4ELc84ELc84ELb0ELb1ELb1EdKddEEviiiT16_PT17_ilS6_ilS4_S6_ilPT18_ili26rocblas_geam_ex_operation_.kd
    .uniform_work_group_size: 1
    .uses_dynamic_stack: false
    .vgpr_count:     158
    .vgpr_spill_count: 0
    .wavefront_size: 32
    .workgroup_processor_mode: 1
  - .args:
      - .offset:         0
        .size:           4
        .value_kind:     by_value
      - .offset:         4
        .size:           4
        .value_kind:     by_value
      - .offset:         8
        .size:           4
        .value_kind:     by_value
      - .address_space:  global
        .offset:         16
        .size:           8
        .value_kind:     global_buffer
      - .address_space:  global
        .offset:         24
        .size:           8
        .value_kind:     global_buffer
      - .offset:         32
        .size:           4
        .value_kind:     by_value
      - .offset:         40
        .size:           8
        .value_kind:     by_value
      - .address_space:  global
        .offset:         48
        .size:           8
        .value_kind:     global_buffer
      - .offset:         56
        .size:           4
        .value_kind:     by_value
      - .offset:         64
        .size:           8
        .value_kind:     by_value
      - .address_space:  global
        .offset:         72
        .size:           8
        .value_kind:     global_buffer
      - .address_space:  global
        .offset:         80
        .size:           8
        .value_kind:     global_buffer
      - .offset:         88
        .size:           4
        .value_kind:     by_value
      - .offset:         96
        .size:           8
        .value_kind:     by_value
      - .address_space:  global
        .offset:         104
        .size:           8
        .value_kind:     global_buffer
      - .offset:         112
        .size:           4
        .value_kind:     by_value
      - .offset:         120
        .size:           8
        .value_kind:     by_value
      - .offset:         128
        .size:           4
        .value_kind:     by_value
      - .offset:         132
        .size:           4
        .value_kind:     by_value
    .group_segment_fixed_size: 16384
    .kernarg_segment_align: 8
    .kernarg_segment_size: 136
    .language:       OpenCL C
    .language_version:
      - 2
      - 0
    .max_flat_workgroup_size: 256
    .name:           _ZN12_GLOBAL__N_120geam_min_plus_kernelIdddLi4ELi64ELi128ELi128ELi4ELi64ELi4ELi4ELi64ELc78ELc78ELb0ELb0ELb0EPKdS1_dEEviiiT16_PT17_ilS5_ilS3_S5_ilPT18_ili26rocblas_geam_ex_operation_
    .private_segment_fixed_size: 528
    .sgpr_count:     29
    .sgpr_spill_count: 0
    .symbol:         _ZN12_GLOBAL__N_120geam_min_plus_kernelIdddLi4ELi64ELi128ELi128ELi4ELi64ELi4ELi4ELi64ELc78ELc78ELb0ELb0ELb0EPKdS1_dEEviiiT16_PT17_ilS5_ilS3_S5_ilPT18_ili26rocblas_geam_ex_operation_.kd
    .uniform_work_group_size: 1
    .uses_dynamic_stack: false
    .vgpr_count:     254
    .vgpr_spill_count: 0
    .wavefront_size: 32
    .workgroup_processor_mode: 1
  - .args:
      - .offset:         0
        .size:           4
        .value_kind:     by_value
      - .offset:         4
        .size:           4
        .value_kind:     by_value
      - .offset:         8
        .size:           4
        .value_kind:     by_value
      - .offset:         16
        .size:           8
        .value_kind:     by_value
      - .address_space:  global
        .offset:         24
        .size:           8
        .value_kind:     global_buffer
      - .offset:         32
        .size:           4
        .value_kind:     by_value
      - .offset:         40
        .size:           8
        .value_kind:     by_value
      - .address_space:  global
        .offset:         48
        .size:           8
        .value_kind:     global_buffer
      - .offset:         56
        .size:           4
        .value_kind:     by_value
      - .offset:         64
        .size:           8
        .value_kind:     by_value
      - .offset:         72
        .size:           8
        .value_kind:     by_value
      - .address_space:  global
        .offset:         80
        .size:           8
        .value_kind:     global_buffer
      - .offset:         88
        .size:           4
        .value_kind:     by_value
      - .offset:         96
        .size:           8
        .value_kind:     by_value
      - .address_space:  global
        .offset:         104
        .size:           8
        .value_kind:     global_buffer
      - .offset:         112
        .size:           4
        .value_kind:     by_value
      - .offset:         120
        .size:           8
        .value_kind:     by_value
      - .offset:         128
        .size:           4
        .value_kind:     by_value
      - .offset:         132
        .size:           4
        .value_kind:     by_value
    .group_segment_fixed_size: 16384
    .kernarg_segment_align: 8
    .kernarg_segment_size: 136
    .language:       OpenCL C
    .language_version:
      - 2
      - 0
    .max_flat_workgroup_size: 256
    .name:           _ZN12_GLOBAL__N_120geam_min_plus_kernelIdddLi4ELi64ELi128ELi128ELi4ELi64ELi4ELi4ELi64ELc78ELc78ELb1ELb0ELb0EdKddEEviiiT16_PT17_ilS4_ilS2_S4_ilPT18_ili26rocblas_geam_ex_operation_
    .private_segment_fixed_size: 528
    .sgpr_count:     26
    .sgpr_spill_count: 0
    .symbol:         _ZN12_GLOBAL__N_120geam_min_plus_kernelIdddLi4ELi64ELi128ELi128ELi4ELi64ELi4ELi4ELi64ELc78ELc78ELb1ELb0ELb0EdKddEEviiiT16_PT17_ilS4_ilS2_S4_ilPT18_ili26rocblas_geam_ex_operation_.kd
    .uniform_work_group_size: 1
    .uses_dynamic_stack: false
    .vgpr_count:     256
    .vgpr_spill_count: 0
    .wavefront_size: 32
    .workgroup_processor_mode: 1
  - .args:
      - .offset:         0
        .size:           4
        .value_kind:     by_value
      - .offset:         4
        .size:           4
        .value_kind:     by_value
      - .offset:         8
        .size:           4
        .value_kind:     by_value
      - .offset:         16
        .size:           8
        .value_kind:     by_value
      - .address_space:  global
        .offset:         24
        .size:           8
        .value_kind:     global_buffer
      - .offset:         32
        .size:           4
        .value_kind:     by_value
      - .offset:         40
        .size:           8
        .value_kind:     by_value
      - .address_space:  global
        .offset:         48
        .size:           8
        .value_kind:     global_buffer
      - .offset:         56
        .size:           4
        .value_kind:     by_value
      - .offset:         64
        .size:           8
        .value_kind:     by_value
      - .offset:         72
        .size:           8
        .value_kind:     by_value
      - .address_space:  global
        .offset:         80
        .size:           8
        .value_kind:     global_buffer
      - .offset:         88
        .size:           4
        .value_kind:     by_value
      - .offset:         96
        .size:           8
        .value_kind:     by_value
      - .address_space:  global
        .offset:         104
        .size:           8
        .value_kind:     global_buffer
      - .offset:         112
        .size:           4
        .value_kind:     by_value
      - .offset:         120
        .size:           8
        .value_kind:     by_value
      - .offset:         128
        .size:           4
        .value_kind:     by_value
      - .offset:         132
        .size:           4
        .value_kind:     by_value
    .group_segment_fixed_size: 16384
    .kernarg_segment_align: 8
    .kernarg_segment_size: 136
    .language:       OpenCL C
    .language_version:
      - 2
      - 0
    .max_flat_workgroup_size: 256
    .name:           _ZN12_GLOBAL__N_120geam_min_plus_kernelIdddLi4ELi64ELi128ELi128ELi4ELi64ELi4ELi4ELi64ELc78ELc78ELb0ELb0ELb0EdKddEEviiiT16_PT17_ilS4_ilS2_S4_ilPT18_ili26rocblas_geam_ex_operation_
    .private_segment_fixed_size: 528
    .sgpr_count:     29
    .sgpr_spill_count: 0
    .symbol:         _ZN12_GLOBAL__N_120geam_min_plus_kernelIdddLi4ELi64ELi128ELi128ELi4ELi64ELi4ELi4ELi64ELc78ELc78ELb0ELb0ELb0EdKddEEviiiT16_PT17_ilS4_ilS2_S4_ilPT18_ili26rocblas_geam_ex_operation_.kd
    .uniform_work_group_size: 1
    .uses_dynamic_stack: false
    .vgpr_count:     254
    .vgpr_spill_count: 0
    .wavefront_size: 32
    .workgroup_processor_mode: 1
  - .args:
      - .offset:         0
        .size:           4
        .value_kind:     by_value
      - .offset:         4
        .size:           4
        .value_kind:     by_value
      - .offset:         8
        .size:           4
        .value_kind:     by_value
      - .address_space:  global
        .offset:         16
        .size:           8
        .value_kind:     global_buffer
      - .address_space:  global
        .offset:         24
        .size:           8
        .value_kind:     global_buffer
      - .offset:         32
        .size:           4
        .value_kind:     by_value
      - .offset:         40
        .size:           8
        .value_kind:     by_value
      - .address_space:  global
        .offset:         48
        .size:           8
        .value_kind:     global_buffer
      - .offset:         56
        .size:           4
        .value_kind:     by_value
      - .offset:         64
        .size:           8
        .value_kind:     by_value
      - .address_space:  global
        .offset:         72
        .size:           8
        .value_kind:     global_buffer
      - .address_space:  global
        .offset:         80
        .size:           8
        .value_kind:     global_buffer
      - .offset:         88
        .size:           4
        .value_kind:     by_value
      - .offset:         96
        .size:           8
        .value_kind:     by_value
      - .address_space:  global
        .offset:         104
        .size:           8
        .value_kind:     global_buffer
      - .offset:         112
        .size:           4
        .value_kind:     by_value
      - .offset:         120
        .size:           8
        .value_kind:     by_value
      - .offset:         128
        .size:           4
        .value_kind:     by_value
      - .offset:         132
        .size:           4
        .value_kind:     by_value
    .group_segment_fixed_size: 16384
    .kernarg_segment_align: 8
    .kernarg_segment_size: 136
    .language:       OpenCL C
    .language_version:
      - 2
      - 0
    .max_flat_workgroup_size: 256
    .name:           _ZN12_GLOBAL__N_120geam_min_plus_kernelIdddLi4ELi64ELi128ELi128ELi4ELi64ELi4ELi4ELi64ELc78ELc78ELb0ELb1ELb0EPKdS1_dEEviiiT16_PT17_ilS5_ilS3_S5_ilPT18_ili26rocblas_geam_ex_operation_
    .private_segment_fixed_size: 528
    .sgpr_count:     48
    .sgpr_spill_count: 0
    .symbol:         _ZN12_GLOBAL__N_120geam_min_plus_kernelIdddLi4ELi64ELi128ELi128ELi4ELi64ELi4ELi4ELi64ELc78ELc78ELb0ELb1ELb0EPKdS1_dEEviiiT16_PT17_ilS5_ilS3_S5_ilPT18_ili26rocblas_geam_ex_operation_.kd
    .uniform_work_group_size: 1
    .uses_dynamic_stack: false
    .vgpr_count:     253
    .vgpr_spill_count: 0
    .wavefront_size: 32
    .workgroup_processor_mode: 1
  - .args:
      - .offset:         0
        .size:           4
        .value_kind:     by_value
      - .offset:         4
        .size:           4
        .value_kind:     by_value
      - .offset:         8
        .size:           4
        .value_kind:     by_value
      - .offset:         16
        .size:           8
        .value_kind:     by_value
      - .address_space:  global
        .offset:         24
        .size:           8
        .value_kind:     global_buffer
      - .offset:         32
        .size:           4
        .value_kind:     by_value
      - .offset:         40
        .size:           8
        .value_kind:     by_value
      - .address_space:  global
        .offset:         48
        .size:           8
        .value_kind:     global_buffer
      - .offset:         56
        .size:           4
        .value_kind:     by_value
      - .offset:         64
        .size:           8
        .value_kind:     by_value
      - .offset:         72
        .size:           8
        .value_kind:     by_value
      - .address_space:  global
        .offset:         80
        .size:           8
        .value_kind:     global_buffer
      - .offset:         88
        .size:           4
        .value_kind:     by_value
      - .offset:         96
        .size:           8
        .value_kind:     by_value
      - .address_space:  global
        .offset:         104
        .size:           8
        .value_kind:     global_buffer
      - .offset:         112
        .size:           4
        .value_kind:     by_value
      - .offset:         120
        .size:           8
        .value_kind:     by_value
      - .offset:         128
        .size:           4
        .value_kind:     by_value
      - .offset:         132
        .size:           4
        .value_kind:     by_value
    .group_segment_fixed_size: 16384
    .kernarg_segment_align: 8
    .kernarg_segment_size: 136
    .language:       OpenCL C
    .language_version:
      - 2
      - 0
    .max_flat_workgroup_size: 256
    .name:           _ZN12_GLOBAL__N_120geam_min_plus_kernelIdddLi4ELi64ELi128ELi128ELi4ELi64ELi4ELi4ELi64ELc78ELc78ELb1ELb1ELb0EdKddEEviiiT16_PT17_ilS4_ilS2_S4_ilPT18_ili26rocblas_geam_ex_operation_
    .private_segment_fixed_size: 528
    .sgpr_count:     48
    .sgpr_spill_count: 0
    .symbol:         _ZN12_GLOBAL__N_120geam_min_plus_kernelIdddLi4ELi64ELi128ELi128ELi4ELi64ELi4ELi4ELi64ELc78ELc78ELb1ELb1ELb0EdKddEEviiiT16_PT17_ilS4_ilS2_S4_ilPT18_ili26rocblas_geam_ex_operation_.kd
    .uniform_work_group_size: 1
    .uses_dynamic_stack: false
    .vgpr_count:     253
    .vgpr_spill_count: 0
    .wavefront_size: 32
    .workgroup_processor_mode: 1
  - .args:
      - .offset:         0
        .size:           4
        .value_kind:     by_value
      - .offset:         4
        .size:           4
        .value_kind:     by_value
      - .offset:         8
        .size:           4
        .value_kind:     by_value
      - .offset:         16
        .size:           8
        .value_kind:     by_value
      - .address_space:  global
        .offset:         24
        .size:           8
        .value_kind:     global_buffer
      - .offset:         32
        .size:           4
        .value_kind:     by_value
      - .offset:         40
        .size:           8
        .value_kind:     by_value
      - .address_space:  global
        .offset:         48
        .size:           8
        .value_kind:     global_buffer
      - .offset:         56
        .size:           4
        .value_kind:     by_value
      - .offset:         64
        .size:           8
        .value_kind:     by_value
      - .offset:         72
        .size:           8
        .value_kind:     by_value
      - .address_space:  global
        .offset:         80
        .size:           8
        .value_kind:     global_buffer
      - .offset:         88
        .size:           4
        .value_kind:     by_value
      - .offset:         96
        .size:           8
        .value_kind:     by_value
      - .address_space:  global
        .offset:         104
        .size:           8
        .value_kind:     global_buffer
      - .offset:         112
        .size:           4
        .value_kind:     by_value
      - .offset:         120
        .size:           8
        .value_kind:     by_value
      - .offset:         128
        .size:           4
        .value_kind:     by_value
      - .offset:         132
        .size:           4
        .value_kind:     by_value
    .group_segment_fixed_size: 16384
    .kernarg_segment_align: 8
    .kernarg_segment_size: 136
    .language:       OpenCL C
    .language_version:
      - 2
      - 0
    .max_flat_workgroup_size: 256
    .name:           _ZN12_GLOBAL__N_120geam_min_plus_kernelIdddLi4ELi64ELi128ELi128ELi4ELi64ELi4ELi4ELi64ELc78ELc78ELb0ELb1ELb0EdKddEEviiiT16_PT17_ilS4_ilS2_S4_ilPT18_ili26rocblas_geam_ex_operation_
    .private_segment_fixed_size: 528
    .sgpr_count:     48
    .sgpr_spill_count: 0
    .symbol:         _ZN12_GLOBAL__N_120geam_min_plus_kernelIdddLi4ELi64ELi128ELi128ELi4ELi64ELi4ELi4ELi64ELc78ELc78ELb0ELb1ELb0EdKddEEviiiT16_PT17_ilS4_ilS2_S4_ilPT18_ili26rocblas_geam_ex_operation_.kd
    .uniform_work_group_size: 1
    .uses_dynamic_stack: false
    .vgpr_count:     253
    .vgpr_spill_count: 0
    .wavefront_size: 32
    .workgroup_processor_mode: 1
  - .args:
      - .offset:         0
        .size:           4
        .value_kind:     by_value
      - .offset:         4
        .size:           4
        .value_kind:     by_value
      - .offset:         8
        .size:           4
        .value_kind:     by_value
      - .address_space:  global
        .offset:         16
        .size:           8
        .value_kind:     global_buffer
      - .address_space:  global
        .offset:         24
        .size:           8
        .value_kind:     global_buffer
      - .offset:         32
        .size:           4
        .value_kind:     by_value
      - .offset:         40
        .size:           8
        .value_kind:     by_value
      - .address_space:  global
        .offset:         48
        .size:           8
        .value_kind:     global_buffer
      - .offset:         56
        .size:           4
        .value_kind:     by_value
      - .offset:         64
        .size:           8
        .value_kind:     by_value
      - .address_space:  global
        .offset:         72
        .size:           8
        .value_kind:     global_buffer
      - .address_space:  global
        .offset:         80
        .size:           8
        .value_kind:     global_buffer
      - .offset:         88
        .size:           4
        .value_kind:     by_value
      - .offset:         96
        .size:           8
        .value_kind:     by_value
      - .address_space:  global
        .offset:         104
        .size:           8
        .value_kind:     global_buffer
      - .offset:         112
        .size:           4
        .value_kind:     by_value
      - .offset:         120
        .size:           8
        .value_kind:     by_value
      - .offset:         128
        .size:           4
        .value_kind:     by_value
      - .offset:         132
        .size:           4
        .value_kind:     by_value
    .group_segment_fixed_size: 16384
    .kernarg_segment_align: 8
    .kernarg_segment_size: 136
    .language:       OpenCL C
    .language_version:
      - 2
      - 0
    .max_flat_workgroup_size: 256
    .name:           _ZN12_GLOBAL__N_120geam_min_plus_kernelIdddLi4ELi64ELi128ELi128ELi4ELi4ELi64ELi4ELi64ELc84ELc78ELb0ELb0ELb0EPKdS1_dEEviiiT16_PT17_ilS5_ilS3_S5_ilPT18_ili26rocblas_geam_ex_operation_
    .private_segment_fixed_size: 528
    .sgpr_count:     29
    .sgpr_spill_count: 0
    .symbol:         _ZN12_GLOBAL__N_120geam_min_plus_kernelIdddLi4ELi64ELi128ELi128ELi4ELi4ELi64ELi4ELi64ELc84ELc78ELb0ELb0ELb0EPKdS1_dEEviiiT16_PT17_ilS5_ilS3_S5_ilPT18_ili26rocblas_geam_ex_operation_.kd
    .uniform_work_group_size: 1
    .uses_dynamic_stack: false
    .vgpr_count:     250
    .vgpr_spill_count: 0
    .wavefront_size: 32
    .workgroup_processor_mode: 1
  - .args:
      - .offset:         0
        .size:           4
        .value_kind:     by_value
      - .offset:         4
        .size:           4
        .value_kind:     by_value
      - .offset:         8
        .size:           4
        .value_kind:     by_value
      - .offset:         16
        .size:           8
        .value_kind:     by_value
      - .address_space:  global
        .offset:         24
        .size:           8
        .value_kind:     global_buffer
      - .offset:         32
        .size:           4
        .value_kind:     by_value
      - .offset:         40
        .size:           8
        .value_kind:     by_value
      - .address_space:  global
        .offset:         48
        .size:           8
        .value_kind:     global_buffer
      - .offset:         56
        .size:           4
        .value_kind:     by_value
      - .offset:         64
        .size:           8
        .value_kind:     by_value
      - .offset:         72
        .size:           8
        .value_kind:     by_value
      - .address_space:  global
        .offset:         80
        .size:           8
        .value_kind:     global_buffer
      - .offset:         88
        .size:           4
        .value_kind:     by_value
      - .offset:         96
        .size:           8
        .value_kind:     by_value
      - .address_space:  global
        .offset:         104
        .size:           8
        .value_kind:     global_buffer
      - .offset:         112
        .size:           4
        .value_kind:     by_value
      - .offset:         120
        .size:           8
        .value_kind:     by_value
      - .offset:         128
        .size:           4
        .value_kind:     by_value
      - .offset:         132
        .size:           4
        .value_kind:     by_value
    .group_segment_fixed_size: 16384
    .kernarg_segment_align: 8
    .kernarg_segment_size: 136
    .language:       OpenCL C
    .language_version:
      - 2
      - 0
    .max_flat_workgroup_size: 256
    .name:           _ZN12_GLOBAL__N_120geam_min_plus_kernelIdddLi4ELi64ELi128ELi128ELi4ELi4ELi64ELi4ELi64ELc84ELc78ELb1ELb0ELb0EdKddEEviiiT16_PT17_ilS4_ilS2_S4_ilPT18_ili26rocblas_geam_ex_operation_
    .private_segment_fixed_size: 528
    .sgpr_count:     25
    .sgpr_spill_count: 0
    .symbol:         _ZN12_GLOBAL__N_120geam_min_plus_kernelIdddLi4ELi64ELi128ELi128ELi4ELi4ELi64ELi4ELi64ELc84ELc78ELb1ELb0ELb0EdKddEEviiiT16_PT17_ilS4_ilS2_S4_ilPT18_ili26rocblas_geam_ex_operation_.kd
    .uniform_work_group_size: 1
    .uses_dynamic_stack: false
    .vgpr_count:     254
    .vgpr_spill_count: 0
    .wavefront_size: 32
    .workgroup_processor_mode: 1
  - .args:
      - .offset:         0
        .size:           4
        .value_kind:     by_value
      - .offset:         4
        .size:           4
        .value_kind:     by_value
      - .offset:         8
        .size:           4
        .value_kind:     by_value
      - .offset:         16
        .size:           8
        .value_kind:     by_value
      - .address_space:  global
        .offset:         24
        .size:           8
        .value_kind:     global_buffer
      - .offset:         32
        .size:           4
        .value_kind:     by_value
      - .offset:         40
        .size:           8
        .value_kind:     by_value
      - .address_space:  global
        .offset:         48
        .size:           8
        .value_kind:     global_buffer
      - .offset:         56
        .size:           4
        .value_kind:     by_value
      - .offset:         64
        .size:           8
        .value_kind:     by_value
      - .offset:         72
        .size:           8
        .value_kind:     by_value
      - .address_space:  global
        .offset:         80
        .size:           8
        .value_kind:     global_buffer
      - .offset:         88
        .size:           4
        .value_kind:     by_value
      - .offset:         96
        .size:           8
        .value_kind:     by_value
      - .address_space:  global
        .offset:         104
        .size:           8
        .value_kind:     global_buffer
      - .offset:         112
        .size:           4
        .value_kind:     by_value
      - .offset:         120
        .size:           8
        .value_kind:     by_value
      - .offset:         128
        .size:           4
        .value_kind:     by_value
      - .offset:         132
        .size:           4
        .value_kind:     by_value
    .group_segment_fixed_size: 16384
    .kernarg_segment_align: 8
    .kernarg_segment_size: 136
    .language:       OpenCL C
    .language_version:
      - 2
      - 0
    .max_flat_workgroup_size: 256
    .name:           _ZN12_GLOBAL__N_120geam_min_plus_kernelIdddLi4ELi64ELi128ELi128ELi4ELi4ELi64ELi4ELi64ELc84ELc78ELb0ELb0ELb0EdKddEEviiiT16_PT17_ilS4_ilS2_S4_ilPT18_ili26rocblas_geam_ex_operation_
    .private_segment_fixed_size: 528
    .sgpr_count:     29
    .sgpr_spill_count: 0
    .symbol:         _ZN12_GLOBAL__N_120geam_min_plus_kernelIdddLi4ELi64ELi128ELi128ELi4ELi4ELi64ELi4ELi64ELc84ELc78ELb0ELb0ELb0EdKddEEviiiT16_PT17_ilS4_ilS2_S4_ilPT18_ili26rocblas_geam_ex_operation_.kd
    .uniform_work_group_size: 1
    .uses_dynamic_stack: false
    .vgpr_count:     250
    .vgpr_spill_count: 0
    .wavefront_size: 32
    .workgroup_processor_mode: 1
  - .args:
      - .offset:         0
        .size:           4
        .value_kind:     by_value
      - .offset:         4
        .size:           4
        .value_kind:     by_value
      - .offset:         8
        .size:           4
        .value_kind:     by_value
      - .address_space:  global
        .offset:         16
        .size:           8
        .value_kind:     global_buffer
      - .address_space:  global
        .offset:         24
        .size:           8
        .value_kind:     global_buffer
      - .offset:         32
        .size:           4
        .value_kind:     by_value
      - .offset:         40
        .size:           8
        .value_kind:     by_value
      - .address_space:  global
        .offset:         48
        .size:           8
        .value_kind:     global_buffer
      - .offset:         56
        .size:           4
        .value_kind:     by_value
      - .offset:         64
        .size:           8
        .value_kind:     by_value
      - .address_space:  global
        .offset:         72
        .size:           8
        .value_kind:     global_buffer
      - .address_space:  global
        .offset:         80
        .size:           8
        .value_kind:     global_buffer
      - .offset:         88
        .size:           4
        .value_kind:     by_value
      - .offset:         96
        .size:           8
        .value_kind:     by_value
      - .address_space:  global
        .offset:         104
        .size:           8
        .value_kind:     global_buffer
      - .offset:         112
        .size:           4
        .value_kind:     by_value
      - .offset:         120
        .size:           8
        .value_kind:     by_value
      - .offset:         128
        .size:           4
        .value_kind:     by_value
      - .offset:         132
        .size:           4
        .value_kind:     by_value
    .group_segment_fixed_size: 16384
    .kernarg_segment_align: 8
    .kernarg_segment_size: 136
    .language:       OpenCL C
    .language_version:
      - 2
      - 0
    .max_flat_workgroup_size: 256
    .name:           _ZN12_GLOBAL__N_120geam_min_plus_kernelIdddLi4ELi64ELi128ELi128ELi4ELi4ELi64ELi4ELi64ELc84ELc78ELb0ELb1ELb0EPKdS1_dEEviiiT16_PT17_ilS5_ilS3_S5_ilPT18_ili26rocblas_geam_ex_operation_
    .private_segment_fixed_size: 528
    .sgpr_count:     48
    .sgpr_spill_count: 0
    .symbol:         _ZN12_GLOBAL__N_120geam_min_plus_kernelIdddLi4ELi64ELi128ELi128ELi4ELi4ELi64ELi4ELi64ELc84ELc78ELb0ELb1ELb0EPKdS1_dEEviiiT16_PT17_ilS5_ilS3_S5_ilPT18_ili26rocblas_geam_ex_operation_.kd
    .uniform_work_group_size: 1
    .uses_dynamic_stack: false
    .vgpr_count:     250
    .vgpr_spill_count: 0
    .wavefront_size: 32
    .workgroup_processor_mode: 1
  - .args:
      - .offset:         0
        .size:           4
        .value_kind:     by_value
      - .offset:         4
        .size:           4
        .value_kind:     by_value
      - .offset:         8
        .size:           4
        .value_kind:     by_value
      - .offset:         16
        .size:           8
        .value_kind:     by_value
      - .address_space:  global
        .offset:         24
        .size:           8
        .value_kind:     global_buffer
      - .offset:         32
        .size:           4
        .value_kind:     by_value
      - .offset:         40
        .size:           8
        .value_kind:     by_value
      - .address_space:  global
        .offset:         48
        .size:           8
        .value_kind:     global_buffer
      - .offset:         56
        .size:           4
        .value_kind:     by_value
      - .offset:         64
        .size:           8
        .value_kind:     by_value
      - .offset:         72
        .size:           8
        .value_kind:     by_value
      - .address_space:  global
        .offset:         80
        .size:           8
        .value_kind:     global_buffer
      - .offset:         88
        .size:           4
        .value_kind:     by_value
      - .offset:         96
        .size:           8
        .value_kind:     by_value
      - .address_space:  global
        .offset:         104
        .size:           8
        .value_kind:     global_buffer
      - .offset:         112
        .size:           4
        .value_kind:     by_value
      - .offset:         120
        .size:           8
        .value_kind:     by_value
      - .offset:         128
        .size:           4
        .value_kind:     by_value
      - .offset:         132
        .size:           4
        .value_kind:     by_value
    .group_segment_fixed_size: 16384
    .kernarg_segment_align: 8
    .kernarg_segment_size: 136
    .language:       OpenCL C
    .language_version:
      - 2
      - 0
    .max_flat_workgroup_size: 256
    .name:           _ZN12_GLOBAL__N_120geam_min_plus_kernelIdddLi4ELi64ELi128ELi128ELi4ELi4ELi64ELi4ELi64ELc84ELc78ELb1ELb1ELb0EdKddEEviiiT16_PT17_ilS4_ilS2_S4_ilPT18_ili26rocblas_geam_ex_operation_
    .private_segment_fixed_size: 528
    .sgpr_count:     48
    .sgpr_spill_count: 0
    .symbol:         _ZN12_GLOBAL__N_120geam_min_plus_kernelIdddLi4ELi64ELi128ELi128ELi4ELi4ELi64ELi4ELi64ELc84ELc78ELb1ELb1ELb0EdKddEEviiiT16_PT17_ilS4_ilS2_S4_ilPT18_ili26rocblas_geam_ex_operation_.kd
    .uniform_work_group_size: 1
    .uses_dynamic_stack: false
    .vgpr_count:     250
    .vgpr_spill_count: 0
    .wavefront_size: 32
    .workgroup_processor_mode: 1
  - .args:
      - .offset:         0
        .size:           4
        .value_kind:     by_value
      - .offset:         4
        .size:           4
        .value_kind:     by_value
      - .offset:         8
        .size:           4
        .value_kind:     by_value
      - .offset:         16
        .size:           8
        .value_kind:     by_value
      - .address_space:  global
        .offset:         24
        .size:           8
        .value_kind:     global_buffer
      - .offset:         32
        .size:           4
        .value_kind:     by_value
      - .offset:         40
        .size:           8
        .value_kind:     by_value
      - .address_space:  global
        .offset:         48
        .size:           8
        .value_kind:     global_buffer
      - .offset:         56
        .size:           4
        .value_kind:     by_value
      - .offset:         64
        .size:           8
        .value_kind:     by_value
      - .offset:         72
        .size:           8
        .value_kind:     by_value
      - .address_space:  global
        .offset:         80
        .size:           8
        .value_kind:     global_buffer
      - .offset:         88
        .size:           4
        .value_kind:     by_value
      - .offset:         96
        .size:           8
        .value_kind:     by_value
      - .address_space:  global
        .offset:         104
        .size:           8
        .value_kind:     global_buffer
      - .offset:         112
        .size:           4
        .value_kind:     by_value
      - .offset:         120
        .size:           8
        .value_kind:     by_value
      - .offset:         128
        .size:           4
        .value_kind:     by_value
      - .offset:         132
        .size:           4
        .value_kind:     by_value
    .group_segment_fixed_size: 16384
    .kernarg_segment_align: 8
    .kernarg_segment_size: 136
    .language:       OpenCL C
    .language_version:
      - 2
      - 0
    .max_flat_workgroup_size: 256
    .name:           _ZN12_GLOBAL__N_120geam_min_plus_kernelIdddLi4ELi64ELi128ELi128ELi4ELi4ELi64ELi4ELi64ELc84ELc78ELb0ELb1ELb0EdKddEEviiiT16_PT17_ilS4_ilS2_S4_ilPT18_ili26rocblas_geam_ex_operation_
    .private_segment_fixed_size: 528
    .sgpr_count:     48
    .sgpr_spill_count: 0
    .symbol:         _ZN12_GLOBAL__N_120geam_min_plus_kernelIdddLi4ELi64ELi128ELi128ELi4ELi4ELi64ELi4ELi64ELc84ELc78ELb0ELb1ELb0EdKddEEviiiT16_PT17_ilS4_ilS2_S4_ilPT18_ili26rocblas_geam_ex_operation_.kd
    .uniform_work_group_size: 1
    .uses_dynamic_stack: false
    .vgpr_count:     250
    .vgpr_spill_count: 0
    .wavefront_size: 32
    .workgroup_processor_mode: 1
  - .args:
      - .offset:         0
        .size:           4
        .value_kind:     by_value
      - .offset:         4
        .size:           4
        .value_kind:     by_value
      - .offset:         8
        .size:           4
        .value_kind:     by_value
      - .address_space:  global
        .offset:         16
        .size:           8
        .value_kind:     global_buffer
      - .address_space:  global
        .offset:         24
        .size:           8
        .value_kind:     global_buffer
      - .offset:         32
        .size:           4
        .value_kind:     by_value
      - .offset:         40
        .size:           8
        .value_kind:     by_value
      - .address_space:  global
        .offset:         48
        .size:           8
        .value_kind:     global_buffer
      - .offset:         56
        .size:           4
        .value_kind:     by_value
      - .offset:         64
        .size:           8
        .value_kind:     by_value
      - .address_space:  global
        .offset:         72
        .size:           8
        .value_kind:     global_buffer
      - .address_space:  global
        .offset:         80
        .size:           8
        .value_kind:     global_buffer
      - .offset:         88
        .size:           4
        .value_kind:     by_value
      - .offset:         96
        .size:           8
        .value_kind:     by_value
      - .address_space:  global
        .offset:         104
        .size:           8
        .value_kind:     global_buffer
      - .offset:         112
        .size:           4
        .value_kind:     by_value
      - .offset:         120
        .size:           8
        .value_kind:     by_value
      - .offset:         128
        .size:           4
        .value_kind:     by_value
      - .offset:         132
        .size:           4
        .value_kind:     by_value
    .group_segment_fixed_size: 16384
    .kernarg_segment_align: 8
    .kernarg_segment_size: 136
    .language:       OpenCL C
    .language_version:
      - 2
      - 0
    .max_flat_workgroup_size: 256
    .name:           _ZN12_GLOBAL__N_120geam_min_plus_kernelIdddLi4ELi64ELi128ELi128ELi4ELi64ELi4ELi64ELi4ELc78ELc84ELb0ELb0ELb0EPKdS1_dEEviiiT16_PT17_ilS5_ilS3_S5_ilPT18_ili26rocblas_geam_ex_operation_
    .private_segment_fixed_size: 528
    .sgpr_count:     30
    .sgpr_spill_count: 0
    .symbol:         _ZN12_GLOBAL__N_120geam_min_plus_kernelIdddLi4ELi64ELi128ELi128ELi4ELi64ELi4ELi64ELi4ELc78ELc84ELb0ELb0ELb0EPKdS1_dEEviiiT16_PT17_ilS5_ilS3_S5_ilPT18_ili26rocblas_geam_ex_operation_.kd
    .uniform_work_group_size: 1
    .uses_dynamic_stack: false
    .vgpr_count:     252
    .vgpr_spill_count: 0
    .wavefront_size: 32
    .workgroup_processor_mode: 1
  - .args:
      - .offset:         0
        .size:           4
        .value_kind:     by_value
      - .offset:         4
        .size:           4
        .value_kind:     by_value
      - .offset:         8
        .size:           4
        .value_kind:     by_value
      - .offset:         16
        .size:           8
        .value_kind:     by_value
      - .address_space:  global
        .offset:         24
        .size:           8
        .value_kind:     global_buffer
      - .offset:         32
        .size:           4
        .value_kind:     by_value
      - .offset:         40
        .size:           8
        .value_kind:     by_value
      - .address_space:  global
        .offset:         48
        .size:           8
        .value_kind:     global_buffer
      - .offset:         56
        .size:           4
        .value_kind:     by_value
      - .offset:         64
        .size:           8
        .value_kind:     by_value
      - .offset:         72
        .size:           8
        .value_kind:     by_value
      - .address_space:  global
        .offset:         80
        .size:           8
        .value_kind:     global_buffer
      - .offset:         88
        .size:           4
        .value_kind:     by_value
      - .offset:         96
        .size:           8
        .value_kind:     by_value
      - .address_space:  global
        .offset:         104
        .size:           8
        .value_kind:     global_buffer
      - .offset:         112
        .size:           4
        .value_kind:     by_value
      - .offset:         120
        .size:           8
        .value_kind:     by_value
      - .offset:         128
        .size:           4
        .value_kind:     by_value
      - .offset:         132
        .size:           4
        .value_kind:     by_value
    .group_segment_fixed_size: 16384
    .kernarg_segment_align: 8
    .kernarg_segment_size: 136
    .language:       OpenCL C
    .language_version:
      - 2
      - 0
    .max_flat_workgroup_size: 256
    .name:           _ZN12_GLOBAL__N_120geam_min_plus_kernelIdddLi4ELi64ELi128ELi128ELi4ELi64ELi4ELi64ELi4ELc78ELc84ELb1ELb0ELb0EdKddEEviiiT16_PT17_ilS4_ilS2_S4_ilPT18_ili26rocblas_geam_ex_operation_
    .private_segment_fixed_size: 528
    .sgpr_count:     27
    .sgpr_spill_count: 0
    .symbol:         _ZN12_GLOBAL__N_120geam_min_plus_kernelIdddLi4ELi64ELi128ELi128ELi4ELi64ELi4ELi64ELi4ELc78ELc84ELb1ELb0ELb0EdKddEEviiiT16_PT17_ilS4_ilS2_S4_ilPT18_ili26rocblas_geam_ex_operation_.kd
    .uniform_work_group_size: 1
    .uses_dynamic_stack: false
    .vgpr_count:     252
    .vgpr_spill_count: 0
    .wavefront_size: 32
    .workgroup_processor_mode: 1
  - .args:
      - .offset:         0
        .size:           4
        .value_kind:     by_value
      - .offset:         4
        .size:           4
        .value_kind:     by_value
      - .offset:         8
        .size:           4
        .value_kind:     by_value
      - .offset:         16
        .size:           8
        .value_kind:     by_value
      - .address_space:  global
        .offset:         24
        .size:           8
        .value_kind:     global_buffer
      - .offset:         32
        .size:           4
        .value_kind:     by_value
      - .offset:         40
        .size:           8
        .value_kind:     by_value
      - .address_space:  global
        .offset:         48
        .size:           8
        .value_kind:     global_buffer
      - .offset:         56
        .size:           4
        .value_kind:     by_value
      - .offset:         64
        .size:           8
        .value_kind:     by_value
      - .offset:         72
        .size:           8
        .value_kind:     by_value
      - .address_space:  global
        .offset:         80
        .size:           8
        .value_kind:     global_buffer
      - .offset:         88
        .size:           4
        .value_kind:     by_value
      - .offset:         96
        .size:           8
        .value_kind:     by_value
      - .address_space:  global
        .offset:         104
        .size:           8
        .value_kind:     global_buffer
      - .offset:         112
        .size:           4
        .value_kind:     by_value
      - .offset:         120
        .size:           8
        .value_kind:     by_value
      - .offset:         128
        .size:           4
        .value_kind:     by_value
      - .offset:         132
        .size:           4
        .value_kind:     by_value
    .group_segment_fixed_size: 16384
    .kernarg_segment_align: 8
    .kernarg_segment_size: 136
    .language:       OpenCL C
    .language_version:
      - 2
      - 0
    .max_flat_workgroup_size: 256
    .name:           _ZN12_GLOBAL__N_120geam_min_plus_kernelIdddLi4ELi64ELi128ELi128ELi4ELi64ELi4ELi64ELi4ELc78ELc84ELb0ELb0ELb0EdKddEEviiiT16_PT17_ilS4_ilS2_S4_ilPT18_ili26rocblas_geam_ex_operation_
    .private_segment_fixed_size: 528
    .sgpr_count:     31
    .sgpr_spill_count: 0
    .symbol:         _ZN12_GLOBAL__N_120geam_min_plus_kernelIdddLi4ELi64ELi128ELi128ELi4ELi64ELi4ELi64ELi4ELc78ELc84ELb0ELb0ELb0EdKddEEviiiT16_PT17_ilS4_ilS2_S4_ilPT18_ili26rocblas_geam_ex_operation_.kd
    .uniform_work_group_size: 1
    .uses_dynamic_stack: false
    .vgpr_count:     252
    .vgpr_spill_count: 0
    .wavefront_size: 32
    .workgroup_processor_mode: 1
  - .args:
      - .offset:         0
        .size:           4
        .value_kind:     by_value
      - .offset:         4
        .size:           4
        .value_kind:     by_value
      - .offset:         8
        .size:           4
        .value_kind:     by_value
      - .address_space:  global
        .offset:         16
        .size:           8
        .value_kind:     global_buffer
      - .address_space:  global
        .offset:         24
        .size:           8
        .value_kind:     global_buffer
      - .offset:         32
        .size:           4
        .value_kind:     by_value
      - .offset:         40
        .size:           8
        .value_kind:     by_value
      - .address_space:  global
        .offset:         48
        .size:           8
        .value_kind:     global_buffer
      - .offset:         56
        .size:           4
        .value_kind:     by_value
      - .offset:         64
        .size:           8
        .value_kind:     by_value
      - .address_space:  global
        .offset:         72
        .size:           8
        .value_kind:     global_buffer
      - .address_space:  global
        .offset:         80
        .size:           8
        .value_kind:     global_buffer
      - .offset:         88
        .size:           4
        .value_kind:     by_value
      - .offset:         96
        .size:           8
        .value_kind:     by_value
      - .address_space:  global
        .offset:         104
        .size:           8
        .value_kind:     global_buffer
      - .offset:         112
        .size:           4
        .value_kind:     by_value
      - .offset:         120
        .size:           8
        .value_kind:     by_value
      - .offset:         128
        .size:           4
        .value_kind:     by_value
      - .offset:         132
        .size:           4
        .value_kind:     by_value
    .group_segment_fixed_size: 16384
    .kernarg_segment_align: 8
    .kernarg_segment_size: 136
    .language:       OpenCL C
    .language_version:
      - 2
      - 0
    .max_flat_workgroup_size: 256
    .name:           _ZN12_GLOBAL__N_120geam_min_plus_kernelIdddLi4ELi64ELi128ELi128ELi4ELi64ELi4ELi64ELi4ELc78ELc84ELb0ELb1ELb0EPKdS1_dEEviiiT16_PT17_ilS5_ilS3_S5_ilPT18_ili26rocblas_geam_ex_operation_
    .private_segment_fixed_size: 528
    .sgpr_count:     48
    .sgpr_spill_count: 0
    .symbol:         _ZN12_GLOBAL__N_120geam_min_plus_kernelIdddLi4ELi64ELi128ELi128ELi4ELi64ELi4ELi64ELi4ELc78ELc84ELb0ELb1ELb0EPKdS1_dEEviiiT16_PT17_ilS5_ilS3_S5_ilPT18_ili26rocblas_geam_ex_operation_.kd
    .uniform_work_group_size: 1
    .uses_dynamic_stack: false
    .vgpr_count:     251
    .vgpr_spill_count: 0
    .wavefront_size: 32
    .workgroup_processor_mode: 1
  - .args:
      - .offset:         0
        .size:           4
        .value_kind:     by_value
      - .offset:         4
        .size:           4
        .value_kind:     by_value
      - .offset:         8
        .size:           4
        .value_kind:     by_value
      - .offset:         16
        .size:           8
        .value_kind:     by_value
      - .address_space:  global
        .offset:         24
        .size:           8
        .value_kind:     global_buffer
      - .offset:         32
        .size:           4
        .value_kind:     by_value
      - .offset:         40
        .size:           8
        .value_kind:     by_value
      - .address_space:  global
        .offset:         48
        .size:           8
        .value_kind:     global_buffer
      - .offset:         56
        .size:           4
        .value_kind:     by_value
      - .offset:         64
        .size:           8
        .value_kind:     by_value
      - .offset:         72
        .size:           8
        .value_kind:     by_value
      - .address_space:  global
        .offset:         80
        .size:           8
        .value_kind:     global_buffer
      - .offset:         88
        .size:           4
        .value_kind:     by_value
      - .offset:         96
        .size:           8
        .value_kind:     by_value
      - .address_space:  global
        .offset:         104
        .size:           8
        .value_kind:     global_buffer
      - .offset:         112
        .size:           4
        .value_kind:     by_value
      - .offset:         120
        .size:           8
        .value_kind:     by_value
      - .offset:         128
        .size:           4
        .value_kind:     by_value
      - .offset:         132
        .size:           4
        .value_kind:     by_value
    .group_segment_fixed_size: 16384
    .kernarg_segment_align: 8
    .kernarg_segment_size: 136
    .language:       OpenCL C
    .language_version:
      - 2
      - 0
    .max_flat_workgroup_size: 256
    .name:           _ZN12_GLOBAL__N_120geam_min_plus_kernelIdddLi4ELi64ELi128ELi128ELi4ELi64ELi4ELi64ELi4ELc78ELc84ELb1ELb1ELb0EdKddEEviiiT16_PT17_ilS4_ilS2_S4_ilPT18_ili26rocblas_geam_ex_operation_
    .private_segment_fixed_size: 528
    .sgpr_count:     48
    .sgpr_spill_count: 0
    .symbol:         _ZN12_GLOBAL__N_120geam_min_plus_kernelIdddLi4ELi64ELi128ELi128ELi4ELi64ELi4ELi64ELi4ELc78ELc84ELb1ELb1ELb0EdKddEEviiiT16_PT17_ilS4_ilS2_S4_ilPT18_ili26rocblas_geam_ex_operation_.kd
    .uniform_work_group_size: 1
    .uses_dynamic_stack: false
    .vgpr_count:     251
    .vgpr_spill_count: 0
    .wavefront_size: 32
    .workgroup_processor_mode: 1
  - .args:
      - .offset:         0
        .size:           4
        .value_kind:     by_value
      - .offset:         4
        .size:           4
        .value_kind:     by_value
      - .offset:         8
        .size:           4
        .value_kind:     by_value
      - .offset:         16
        .size:           8
        .value_kind:     by_value
      - .address_space:  global
        .offset:         24
        .size:           8
        .value_kind:     global_buffer
      - .offset:         32
        .size:           4
        .value_kind:     by_value
      - .offset:         40
        .size:           8
        .value_kind:     by_value
      - .address_space:  global
        .offset:         48
        .size:           8
        .value_kind:     global_buffer
      - .offset:         56
        .size:           4
        .value_kind:     by_value
      - .offset:         64
        .size:           8
        .value_kind:     by_value
      - .offset:         72
        .size:           8
        .value_kind:     by_value
      - .address_space:  global
        .offset:         80
        .size:           8
        .value_kind:     global_buffer
      - .offset:         88
        .size:           4
        .value_kind:     by_value
      - .offset:         96
        .size:           8
        .value_kind:     by_value
      - .address_space:  global
        .offset:         104
        .size:           8
        .value_kind:     global_buffer
      - .offset:         112
        .size:           4
        .value_kind:     by_value
      - .offset:         120
        .size:           8
        .value_kind:     by_value
      - .offset:         128
        .size:           4
        .value_kind:     by_value
      - .offset:         132
        .size:           4
        .value_kind:     by_value
    .group_segment_fixed_size: 16384
    .kernarg_segment_align: 8
    .kernarg_segment_size: 136
    .language:       OpenCL C
    .language_version:
      - 2
      - 0
    .max_flat_workgroup_size: 256
    .name:           _ZN12_GLOBAL__N_120geam_min_plus_kernelIdddLi4ELi64ELi128ELi128ELi4ELi64ELi4ELi64ELi4ELc78ELc84ELb0ELb1ELb0EdKddEEviiiT16_PT17_ilS4_ilS2_S4_ilPT18_ili26rocblas_geam_ex_operation_
    .private_segment_fixed_size: 528
    .sgpr_count:     48
    .sgpr_spill_count: 0
    .symbol:         _ZN12_GLOBAL__N_120geam_min_plus_kernelIdddLi4ELi64ELi128ELi128ELi4ELi64ELi4ELi64ELi4ELc78ELc84ELb0ELb1ELb0EdKddEEviiiT16_PT17_ilS4_ilS2_S4_ilPT18_ili26rocblas_geam_ex_operation_.kd
    .uniform_work_group_size: 1
    .uses_dynamic_stack: false
    .vgpr_count:     251
    .vgpr_spill_count: 0
    .wavefront_size: 32
    .workgroup_processor_mode: 1
  - .args:
      - .offset:         0
        .size:           4
        .value_kind:     by_value
      - .offset:         4
        .size:           4
        .value_kind:     by_value
      - .offset:         8
        .size:           4
        .value_kind:     by_value
      - .address_space:  global
        .offset:         16
        .size:           8
        .value_kind:     global_buffer
      - .address_space:  global
        .offset:         24
        .size:           8
        .value_kind:     global_buffer
      - .offset:         32
        .size:           4
        .value_kind:     by_value
      - .offset:         40
        .size:           8
        .value_kind:     by_value
      - .address_space:  global
        .offset:         48
        .size:           8
        .value_kind:     global_buffer
      - .offset:         56
        .size:           4
        .value_kind:     by_value
      - .offset:         64
        .size:           8
        .value_kind:     by_value
      - .address_space:  global
        .offset:         72
        .size:           8
        .value_kind:     global_buffer
      - .address_space:  global
        .offset:         80
        .size:           8
        .value_kind:     global_buffer
      - .offset:         88
        .size:           4
        .value_kind:     by_value
      - .offset:         96
        .size:           8
        .value_kind:     by_value
      - .address_space:  global
        .offset:         104
        .size:           8
        .value_kind:     global_buffer
      - .offset:         112
        .size:           4
        .value_kind:     by_value
      - .offset:         120
        .size:           8
        .value_kind:     by_value
      - .offset:         128
        .size:           4
        .value_kind:     by_value
      - .offset:         132
        .size:           4
        .value_kind:     by_value
    .group_segment_fixed_size: 16384
    .kernarg_segment_align: 8
    .kernarg_segment_size: 136
    .language:       OpenCL C
    .language_version:
      - 2
      - 0
    .max_flat_workgroup_size: 256
    .name:           _ZN12_GLOBAL__N_120geam_min_plus_kernelIdddLi4ELi64ELi128ELi128ELi4ELi4ELi64ELi64ELi4ELc84ELc84ELb0ELb0ELb0EPKdS1_dEEviiiT16_PT17_ilS5_ilS3_S5_ilPT18_ili26rocblas_geam_ex_operation_
    .private_segment_fixed_size: 528
    .sgpr_count:     29
    .sgpr_spill_count: 0
    .symbol:         _ZN12_GLOBAL__N_120geam_min_plus_kernelIdddLi4ELi64ELi128ELi128ELi4ELi4ELi64ELi64ELi4ELc84ELc84ELb0ELb0ELb0EPKdS1_dEEviiiT16_PT17_ilS5_ilS3_S5_ilPT18_ili26rocblas_geam_ex_operation_.kd
    .uniform_work_group_size: 1
    .uses_dynamic_stack: false
    .vgpr_count:     253
    .vgpr_spill_count: 0
    .wavefront_size: 32
    .workgroup_processor_mode: 1
  - .args:
      - .offset:         0
        .size:           4
        .value_kind:     by_value
      - .offset:         4
        .size:           4
        .value_kind:     by_value
      - .offset:         8
        .size:           4
        .value_kind:     by_value
      - .offset:         16
        .size:           8
        .value_kind:     by_value
      - .address_space:  global
        .offset:         24
        .size:           8
        .value_kind:     global_buffer
      - .offset:         32
        .size:           4
        .value_kind:     by_value
      - .offset:         40
        .size:           8
        .value_kind:     by_value
      - .address_space:  global
        .offset:         48
        .size:           8
        .value_kind:     global_buffer
      - .offset:         56
        .size:           4
        .value_kind:     by_value
      - .offset:         64
        .size:           8
        .value_kind:     by_value
      - .offset:         72
        .size:           8
        .value_kind:     by_value
      - .address_space:  global
        .offset:         80
        .size:           8
        .value_kind:     global_buffer
      - .offset:         88
        .size:           4
        .value_kind:     by_value
      - .offset:         96
        .size:           8
        .value_kind:     by_value
      - .address_space:  global
        .offset:         104
        .size:           8
        .value_kind:     global_buffer
      - .offset:         112
        .size:           4
        .value_kind:     by_value
      - .offset:         120
        .size:           8
        .value_kind:     by_value
      - .offset:         128
        .size:           4
        .value_kind:     by_value
      - .offset:         132
        .size:           4
        .value_kind:     by_value
    .group_segment_fixed_size: 16384
    .kernarg_segment_align: 8
    .kernarg_segment_size: 136
    .language:       OpenCL C
    .language_version:
      - 2
      - 0
    .max_flat_workgroup_size: 256
    .name:           _ZN12_GLOBAL__N_120geam_min_plus_kernelIdddLi4ELi64ELi128ELi128ELi4ELi4ELi64ELi64ELi4ELc84ELc84ELb1ELb0ELb0EdKddEEviiiT16_PT17_ilS4_ilS2_S4_ilPT18_ili26rocblas_geam_ex_operation_
    .private_segment_fixed_size: 528
    .sgpr_count:     26
    .sgpr_spill_count: 0
    .symbol:         _ZN12_GLOBAL__N_120geam_min_plus_kernelIdddLi4ELi64ELi128ELi128ELi4ELi4ELi64ELi64ELi4ELc84ELc84ELb1ELb0ELb0EdKddEEviiiT16_PT17_ilS4_ilS2_S4_ilPT18_ili26rocblas_geam_ex_operation_.kd
    .uniform_work_group_size: 1
    .uses_dynamic_stack: false
    .vgpr_count:     255
    .vgpr_spill_count: 0
    .wavefront_size: 32
    .workgroup_processor_mode: 1
  - .args:
      - .offset:         0
        .size:           4
        .value_kind:     by_value
      - .offset:         4
        .size:           4
        .value_kind:     by_value
      - .offset:         8
        .size:           4
        .value_kind:     by_value
      - .offset:         16
        .size:           8
        .value_kind:     by_value
      - .address_space:  global
        .offset:         24
        .size:           8
        .value_kind:     global_buffer
      - .offset:         32
        .size:           4
        .value_kind:     by_value
      - .offset:         40
        .size:           8
        .value_kind:     by_value
      - .address_space:  global
        .offset:         48
        .size:           8
        .value_kind:     global_buffer
      - .offset:         56
        .size:           4
        .value_kind:     by_value
      - .offset:         64
        .size:           8
        .value_kind:     by_value
      - .offset:         72
        .size:           8
        .value_kind:     by_value
      - .address_space:  global
        .offset:         80
        .size:           8
        .value_kind:     global_buffer
      - .offset:         88
        .size:           4
        .value_kind:     by_value
      - .offset:         96
        .size:           8
        .value_kind:     by_value
      - .address_space:  global
        .offset:         104
        .size:           8
        .value_kind:     global_buffer
      - .offset:         112
        .size:           4
        .value_kind:     by_value
      - .offset:         120
        .size:           8
        .value_kind:     by_value
      - .offset:         128
        .size:           4
        .value_kind:     by_value
      - .offset:         132
        .size:           4
        .value_kind:     by_value
    .group_segment_fixed_size: 16384
    .kernarg_segment_align: 8
    .kernarg_segment_size: 136
    .language:       OpenCL C
    .language_version:
      - 2
      - 0
    .max_flat_workgroup_size: 256
    .name:           _ZN12_GLOBAL__N_120geam_min_plus_kernelIdddLi4ELi64ELi128ELi128ELi4ELi4ELi64ELi64ELi4ELc84ELc84ELb0ELb0ELb0EdKddEEviiiT16_PT17_ilS4_ilS2_S4_ilPT18_ili26rocblas_geam_ex_operation_
    .private_segment_fixed_size: 528
    .sgpr_count:     29
    .sgpr_spill_count: 0
    .symbol:         _ZN12_GLOBAL__N_120geam_min_plus_kernelIdddLi4ELi64ELi128ELi128ELi4ELi4ELi64ELi64ELi4ELc84ELc84ELb0ELb0ELb0EdKddEEviiiT16_PT17_ilS4_ilS2_S4_ilPT18_ili26rocblas_geam_ex_operation_.kd
    .uniform_work_group_size: 1
    .uses_dynamic_stack: false
    .vgpr_count:     253
    .vgpr_spill_count: 0
    .wavefront_size: 32
    .workgroup_processor_mode: 1
  - .args:
      - .offset:         0
        .size:           4
        .value_kind:     by_value
      - .offset:         4
        .size:           4
        .value_kind:     by_value
      - .offset:         8
        .size:           4
        .value_kind:     by_value
      - .address_space:  global
        .offset:         16
        .size:           8
        .value_kind:     global_buffer
      - .address_space:  global
        .offset:         24
        .size:           8
        .value_kind:     global_buffer
      - .offset:         32
        .size:           4
        .value_kind:     by_value
      - .offset:         40
        .size:           8
        .value_kind:     by_value
      - .address_space:  global
        .offset:         48
        .size:           8
        .value_kind:     global_buffer
      - .offset:         56
        .size:           4
        .value_kind:     by_value
      - .offset:         64
        .size:           8
        .value_kind:     by_value
      - .address_space:  global
        .offset:         72
        .size:           8
        .value_kind:     global_buffer
      - .address_space:  global
        .offset:         80
        .size:           8
        .value_kind:     global_buffer
      - .offset:         88
        .size:           4
        .value_kind:     by_value
      - .offset:         96
        .size:           8
        .value_kind:     by_value
      - .address_space:  global
        .offset:         104
        .size:           8
        .value_kind:     global_buffer
      - .offset:         112
        .size:           4
        .value_kind:     by_value
      - .offset:         120
        .size:           8
        .value_kind:     by_value
      - .offset:         128
        .size:           4
        .value_kind:     by_value
      - .offset:         132
        .size:           4
        .value_kind:     by_value
    .group_segment_fixed_size: 16384
    .kernarg_segment_align: 8
    .kernarg_segment_size: 136
    .language:       OpenCL C
    .language_version:
      - 2
      - 0
    .max_flat_workgroup_size: 256
    .name:           _ZN12_GLOBAL__N_120geam_min_plus_kernelIdddLi4ELi64ELi128ELi128ELi4ELi4ELi64ELi64ELi4ELc84ELc84ELb0ELb1ELb0EPKdS1_dEEviiiT16_PT17_ilS5_ilS3_S5_ilPT18_ili26rocblas_geam_ex_operation_
    .private_segment_fixed_size: 528
    .sgpr_count:     48
    .sgpr_spill_count: 0
    .symbol:         _ZN12_GLOBAL__N_120geam_min_plus_kernelIdddLi4ELi64ELi128ELi128ELi4ELi4ELi64ELi64ELi4ELc84ELc84ELb0ELb1ELb0EPKdS1_dEEviiiT16_PT17_ilS5_ilS3_S5_ilPT18_ili26rocblas_geam_ex_operation_.kd
    .uniform_work_group_size: 1
    .uses_dynamic_stack: false
    .vgpr_count:     252
    .vgpr_spill_count: 0
    .wavefront_size: 32
    .workgroup_processor_mode: 1
  - .args:
      - .offset:         0
        .size:           4
        .value_kind:     by_value
      - .offset:         4
        .size:           4
        .value_kind:     by_value
      - .offset:         8
        .size:           4
        .value_kind:     by_value
      - .offset:         16
        .size:           8
        .value_kind:     by_value
      - .address_space:  global
        .offset:         24
        .size:           8
        .value_kind:     global_buffer
      - .offset:         32
        .size:           4
        .value_kind:     by_value
      - .offset:         40
        .size:           8
        .value_kind:     by_value
      - .address_space:  global
        .offset:         48
        .size:           8
        .value_kind:     global_buffer
      - .offset:         56
        .size:           4
        .value_kind:     by_value
      - .offset:         64
        .size:           8
        .value_kind:     by_value
      - .offset:         72
        .size:           8
        .value_kind:     by_value
      - .address_space:  global
        .offset:         80
        .size:           8
        .value_kind:     global_buffer
      - .offset:         88
        .size:           4
        .value_kind:     by_value
      - .offset:         96
        .size:           8
        .value_kind:     by_value
      - .address_space:  global
        .offset:         104
        .size:           8
        .value_kind:     global_buffer
      - .offset:         112
        .size:           4
        .value_kind:     by_value
      - .offset:         120
        .size:           8
        .value_kind:     by_value
      - .offset:         128
        .size:           4
        .value_kind:     by_value
      - .offset:         132
        .size:           4
        .value_kind:     by_value
    .group_segment_fixed_size: 16384
    .kernarg_segment_align: 8
    .kernarg_segment_size: 136
    .language:       OpenCL C
    .language_version:
      - 2
      - 0
    .max_flat_workgroup_size: 256
    .name:           _ZN12_GLOBAL__N_120geam_min_plus_kernelIdddLi4ELi64ELi128ELi128ELi4ELi4ELi64ELi64ELi4ELc84ELc84ELb1ELb1ELb0EdKddEEviiiT16_PT17_ilS4_ilS2_S4_ilPT18_ili26rocblas_geam_ex_operation_
    .private_segment_fixed_size: 528
    .sgpr_count:     48
    .sgpr_spill_count: 0
    .symbol:         _ZN12_GLOBAL__N_120geam_min_plus_kernelIdddLi4ELi64ELi128ELi128ELi4ELi4ELi64ELi64ELi4ELc84ELc84ELb1ELb1ELb0EdKddEEviiiT16_PT17_ilS4_ilS2_S4_ilPT18_ili26rocblas_geam_ex_operation_.kd
    .uniform_work_group_size: 1
    .uses_dynamic_stack: false
    .vgpr_count:     252
    .vgpr_spill_count: 0
    .wavefront_size: 32
    .workgroup_processor_mode: 1
  - .args:
      - .offset:         0
        .size:           4
        .value_kind:     by_value
      - .offset:         4
        .size:           4
        .value_kind:     by_value
      - .offset:         8
        .size:           4
        .value_kind:     by_value
      - .offset:         16
        .size:           8
        .value_kind:     by_value
      - .address_space:  global
        .offset:         24
        .size:           8
        .value_kind:     global_buffer
      - .offset:         32
        .size:           4
        .value_kind:     by_value
      - .offset:         40
        .size:           8
        .value_kind:     by_value
      - .address_space:  global
        .offset:         48
        .size:           8
        .value_kind:     global_buffer
      - .offset:         56
        .size:           4
        .value_kind:     by_value
      - .offset:         64
        .size:           8
        .value_kind:     by_value
      - .offset:         72
        .size:           8
        .value_kind:     by_value
      - .address_space:  global
        .offset:         80
        .size:           8
        .value_kind:     global_buffer
      - .offset:         88
        .size:           4
        .value_kind:     by_value
      - .offset:         96
        .size:           8
        .value_kind:     by_value
      - .address_space:  global
        .offset:         104
        .size:           8
        .value_kind:     global_buffer
      - .offset:         112
        .size:           4
        .value_kind:     by_value
      - .offset:         120
        .size:           8
        .value_kind:     by_value
      - .offset:         128
        .size:           4
        .value_kind:     by_value
      - .offset:         132
        .size:           4
        .value_kind:     by_value
    .group_segment_fixed_size: 16384
    .kernarg_segment_align: 8
    .kernarg_segment_size: 136
    .language:       OpenCL C
    .language_version:
      - 2
      - 0
    .max_flat_workgroup_size: 256
    .name:           _ZN12_GLOBAL__N_120geam_min_plus_kernelIdddLi4ELi64ELi128ELi128ELi4ELi4ELi64ELi64ELi4ELc84ELc84ELb0ELb1ELb0EdKddEEviiiT16_PT17_ilS4_ilS2_S4_ilPT18_ili26rocblas_geam_ex_operation_
    .private_segment_fixed_size: 528
    .sgpr_count:     48
    .sgpr_spill_count: 0
    .symbol:         _ZN12_GLOBAL__N_120geam_min_plus_kernelIdddLi4ELi64ELi128ELi128ELi4ELi4ELi64ELi64ELi4ELc84ELc84ELb0ELb1ELb0EdKddEEviiiT16_PT17_ilS4_ilS2_S4_ilPT18_ili26rocblas_geam_ex_operation_.kd
    .uniform_work_group_size: 1
    .uses_dynamic_stack: false
    .vgpr_count:     252
    .vgpr_spill_count: 0
    .wavefront_size: 32
    .workgroup_processor_mode: 1
  - .args:
      - .offset:         0
        .size:           4
        .value_kind:     by_value
      - .offset:         4
        .size:           4
        .value_kind:     by_value
      - .offset:         8
        .size:           2
        .value_kind:     by_value
      - .address_space:  global
        .offset:         16
        .size:           8
        .value_kind:     global_buffer
      - .offset:         24
        .size:           8
        .value_kind:     by_value
      - .offset:         32
        .size:           4
        .value_kind:     by_value
      - .offset:         40
        .size:           8
        .value_kind:     by_value
      - .address_space:  global
        .offset:         48
        .size:           8
        .value_kind:     global_buffer
      - .offset:         56
        .size:           8
        .value_kind:     by_value
      - .offset:         64
        .size:           4
        .value_kind:     by_value
      - .offset:         72
        .size:           8
        .value_kind:     by_value
    .group_segment_fixed_size: 0
    .kernarg_segment_align: 8
    .kernarg_segment_size: 80
    .language:       OpenCL C
    .language_version:
      - 2
      - 0
    .max_flat_workgroup_size: 1024
    .name:           _ZN12_GLOBAL__N_120geam_ex_scale_kernelILi32ELi32EDF16_DF16_PKPKDF16_PKPDF16_EEviiT2_T3_lilT4_lil
    .private_segment_fixed_size: 0
    .sgpr_count:     20
    .sgpr_spill_count: 0
    .symbol:         _ZN12_GLOBAL__N_120geam_ex_scale_kernelILi32ELi32EDF16_DF16_PKPKDF16_PKPDF16_EEviiT2_T3_lilT4_lil.kd
    .uniform_work_group_size: 1
    .uses_dynamic_stack: false
    .vgpr_count:     8
    .vgpr_spill_count: 0
    .wavefront_size: 32
    .workgroup_processor_mode: 1
  - .args:
      - .offset:         0
        .size:           4
        .value_kind:     by_value
      - .offset:         4
        .size:           4
        .value_kind:     by_value
      - .address_space:  global
        .offset:         8
        .size:           8
        .value_kind:     global_buffer
      - .address_space:  global
        .offset:         16
        .size:           8
        .value_kind:     global_buffer
      - .offset:         24
        .size:           8
        .value_kind:     by_value
      - .offset:         32
        .size:           4
        .value_kind:     by_value
      - .offset:         40
        .size:           8
        .value_kind:     by_value
      - .address_space:  global
        .offset:         48
        .size:           8
        .value_kind:     global_buffer
      - .offset:         56
        .size:           8
        .value_kind:     by_value
      - .offset:         64
        .size:           4
        .value_kind:     by_value
      - .offset:         72
        .size:           8
        .value_kind:     by_value
    .group_segment_fixed_size: 0
    .kernarg_segment_align: 8
    .kernarg_segment_size: 80
    .language:       OpenCL C
    .language_version:
      - 2
      - 0
    .max_flat_workgroup_size: 1024
    .name:           _ZN12_GLOBAL__N_120geam_ex_scale_kernelILi32ELi32EDF16_PKDF16_PKS2_PKPDF16_EEviiT2_T3_lilT4_lil
    .private_segment_fixed_size: 0
    .sgpr_count:     18
    .sgpr_spill_count: 0
    .symbol:         _ZN12_GLOBAL__N_120geam_ex_scale_kernelILi32ELi32EDF16_PKDF16_PKS2_PKPDF16_EEviiT2_T3_lilT4_lil.kd
    .uniform_work_group_size: 1
    .uses_dynamic_stack: false
    .vgpr_count:     8
    .vgpr_spill_count: 0
    .wavefront_size: 32
    .workgroup_processor_mode: 1
  - .args:
      - .offset:         0
        .size:           4
        .value_kind:     by_value
      - .offset:         4
        .size:           4
        .value_kind:     by_value
      - .offset:         8
        .size:           2
        .value_kind:     by_value
      - .address_space:  global
        .offset:         16
        .size:           8
        .value_kind:     global_buffer
      - .offset:         24
        .size:           8
        .value_kind:     by_value
      - .offset:         32
        .size:           4
        .value_kind:     by_value
      - .offset:         40
        .size:           8
        .value_kind:     by_value
      - .address_space:  global
        .offset:         48
        .size:           8
        .value_kind:     global_buffer
      - .offset:         56
        .size:           8
        .value_kind:     by_value
      - .offset:         64
        .size:           4
        .value_kind:     by_value
      - .offset:         72
        .size:           8
        .value_kind:     by_value
    .group_segment_fixed_size: 0
    .kernarg_segment_align: 8
    .kernarg_segment_size: 80
    .language:       OpenCL C
    .language_version:
      - 2
      - 0
    .max_flat_workgroup_size: 1024
    .name:           _ZN12_GLOBAL__N_120geam_ex_round_kernelILi32ELi32EDF16_DF16_PKPKDF16_PKPDF16_EEviiT2_T3_lilT4_lil
    .private_segment_fixed_size: 0
    .sgpr_count:     20
    .sgpr_spill_count: 0
    .symbol:         _ZN12_GLOBAL__N_120geam_ex_round_kernelILi32ELi32EDF16_DF16_PKPKDF16_PKPDF16_EEviiT2_T3_lilT4_lil.kd
    .uniform_work_group_size: 1
    .uses_dynamic_stack: false
    .vgpr_count:     8
    .vgpr_spill_count: 0
    .wavefront_size: 32
    .workgroup_processor_mode: 1
  - .args:
      - .offset:         0
        .size:           4
        .value_kind:     by_value
      - .offset:         4
        .size:           4
        .value_kind:     by_value
      - .offset:         8
        .size:           4
        .value_kind:     by_value
      - .address_space:  global
        .offset:         16
        .size:           8
        .value_kind:     global_buffer
      - .address_space:  global
        .offset:         24
        .size:           8
        .value_kind:     global_buffer
      - .offset:         32
        .size:           4
        .value_kind:     by_value
      - .offset:         40
        .size:           8
        .value_kind:     by_value
      - .address_space:  global
        .offset:         48
        .size:           8
        .value_kind:     global_buffer
      - .offset:         56
        .size:           4
        .value_kind:     by_value
      - .offset:         64
        .size:           8
        .value_kind:     by_value
      - .address_space:  global
        .offset:         72
        .size:           8
        .value_kind:     global_buffer
      - .address_space:  global
        .offset:         80
        .size:           8
        .value_kind:     global_buffer
      - .offset:         88
        .size:           4
        .value_kind:     by_value
      - .offset:         96
        .size:           8
        .value_kind:     by_value
      - .address_space:  global
        .offset:         104
        .size:           8
        .value_kind:     global_buffer
      - .offset:         112
        .size:           4
        .value_kind:     by_value
      - .offset:         120
        .size:           8
        .value_kind:     by_value
      - .offset:         128
        .size:           4
        .value_kind:     by_value
      - .offset:         132
        .size:           4
        .value_kind:     by_value
    .group_segment_fixed_size: 5120
    .kernarg_segment_align: 8
    .kernarg_segment_size: 136
    .language:       OpenCL C
    .language_version:
      - 2
      - 0
    .max_flat_workgroup_size: 256
    .name:           _ZN12_GLOBAL__N_120geam_min_plus_kernelIDF16_Dv2_DF16_S1_Li32ELi8ELi256ELi64ELi4ELi64ELi4ELi4ELi64ELc78ELc78ELb0ELb0ELb1EPKDF16_KS3_KPDF16_EEviiiT16_PT17_ilS9_ilS7_S9_ilPT18_ili26rocblas_geam_ex_operation_
    .private_segment_fixed_size: 0
    .sgpr_count:     26
    .sgpr_spill_count: 0
    .symbol:         _ZN12_GLOBAL__N_120geam_min_plus_kernelIDF16_Dv2_DF16_S1_Li32ELi8ELi256ELi64ELi4ELi64ELi4ELi4ELi64ELc78ELc78ELb0ELb0ELb1EPKDF16_KS3_KPDF16_EEviiiT16_PT17_ilS9_ilS7_S9_ilPT18_ili26rocblas_geam_ex_operation_.kd
    .uniform_work_group_size: 1
    .uses_dynamic_stack: false
    .vgpr_count:     160
    .vgpr_spill_count: 0
    .wavefront_size: 32
    .workgroup_processor_mode: 1
  - .args:
      - .offset:         0
        .size:           4
        .value_kind:     by_value
      - .offset:         4
        .size:           4
        .value_kind:     by_value
      - .offset:         8
        .size:           4
        .value_kind:     by_value
      - .offset:         12
        .size:           2
        .value_kind:     by_value
      - .address_space:  global
        .offset:         16
        .size:           8
        .value_kind:     global_buffer
      - .offset:         24
        .size:           4
        .value_kind:     by_value
      - .offset:         32
        .size:           8
        .value_kind:     by_value
      - .address_space:  global
        .offset:         40
        .size:           8
        .value_kind:     global_buffer
      - .offset:         48
        .size:           4
        .value_kind:     by_value
      - .offset:         56
        .size:           8
        .value_kind:     by_value
      - .offset:         64
        .size:           2
        .value_kind:     by_value
      - .address_space:  global
        .offset:         72
        .size:           8
        .value_kind:     global_buffer
      - .offset:         80
        .size:           4
        .value_kind:     by_value
      - .offset:         88
        .size:           8
        .value_kind:     by_value
      - .address_space:  global
        .offset:         96
        .size:           8
        .value_kind:     global_buffer
      - .offset:         104
        .size:           4
        .value_kind:     by_value
      - .offset:         112
        .size:           8
        .value_kind:     by_value
      - .offset:         120
        .size:           4
        .value_kind:     by_value
      - .offset:         124
        .size:           4
        .value_kind:     by_value
    .group_segment_fixed_size: 5120
    .kernarg_segment_align: 8
    .kernarg_segment_size: 128
    .language:       OpenCL C
    .language_version:
      - 2
      - 0
    .max_flat_workgroup_size: 256
    .name:           _ZN12_GLOBAL__N_120geam_min_plus_kernelIDF16_Dv2_DF16_S1_Li32ELi8ELi256ELi64ELi4ELi64ELi4ELi4ELi64ELc78ELc78ELb1ELb0ELb1EDF16_KPKDF16_KPDF16_EEviiiT16_PT17_ilS9_ilS7_S9_ilPT18_ili26rocblas_geam_ex_operation_
    .private_segment_fixed_size: 364
    .sgpr_count:     24
    .sgpr_spill_count: 0
    .symbol:         _ZN12_GLOBAL__N_120geam_min_plus_kernelIDF16_Dv2_DF16_S1_Li32ELi8ELi256ELi64ELi4ELi64ELi4ELi4ELi64ELc78ELc78ELb1ELb0ELb1EDF16_KPKDF16_KPDF16_EEviiiT16_PT17_ilS9_ilS7_S9_ilPT18_ili26rocblas_geam_ex_operation_.kd
    .uniform_work_group_size: 1
    .uses_dynamic_stack: false
    .vgpr_count:     256
    .vgpr_spill_count: 90
    .wavefront_size: 32
    .workgroup_processor_mode: 1
  - .args:
      - .offset:         0
        .size:           4
        .value_kind:     by_value
      - .offset:         4
        .size:           4
        .value_kind:     by_value
      - .offset:         8
        .size:           4
        .value_kind:     by_value
      - .offset:         12
        .size:           2
        .value_kind:     by_value
      - .address_space:  global
        .offset:         16
        .size:           8
        .value_kind:     global_buffer
      - .offset:         24
        .size:           4
        .value_kind:     by_value
      - .offset:         32
        .size:           8
        .value_kind:     by_value
      - .address_space:  global
        .offset:         40
        .size:           8
        .value_kind:     global_buffer
      - .offset:         48
        .size:           4
        .value_kind:     by_value
      - .offset:         56
        .size:           8
        .value_kind:     by_value
      - .offset:         64
        .size:           2
        .value_kind:     by_value
      - .address_space:  global
        .offset:         72
        .size:           8
        .value_kind:     global_buffer
      - .offset:         80
        .size:           4
        .value_kind:     by_value
      - .offset:         88
        .size:           8
        .value_kind:     by_value
      - .address_space:  global
        .offset:         96
        .size:           8
        .value_kind:     global_buffer
      - .offset:         104
        .size:           4
        .value_kind:     by_value
      - .offset:         112
        .size:           8
        .value_kind:     by_value
      - .offset:         120
        .size:           4
        .value_kind:     by_value
      - .offset:         124
        .size:           4
        .value_kind:     by_value
    .group_segment_fixed_size: 5120
    .kernarg_segment_align: 8
    .kernarg_segment_size: 128
    .language:       OpenCL C
    .language_version:
      - 2
      - 0
    .max_flat_workgroup_size: 256
    .name:           _ZN12_GLOBAL__N_120geam_min_plus_kernelIDF16_Dv2_DF16_S1_Li32ELi8ELi256ELi64ELi4ELi64ELi4ELi4ELi64ELc78ELc78ELb0ELb0ELb1EDF16_KPKDF16_KPDF16_EEviiiT16_PT17_ilS9_ilS7_S9_ilPT18_ili26rocblas_geam_ex_operation_
    .private_segment_fixed_size: 0
    .sgpr_count:     26
    .sgpr_spill_count: 0
    .symbol:         _ZN12_GLOBAL__N_120geam_min_plus_kernelIDF16_Dv2_DF16_S1_Li32ELi8ELi256ELi64ELi4ELi64ELi4ELi4ELi64ELc78ELc78ELb0ELb0ELb1EDF16_KPKDF16_KPDF16_EEviiiT16_PT17_ilS9_ilS7_S9_ilPT18_ili26rocblas_geam_ex_operation_.kd
    .uniform_work_group_size: 1
    .uses_dynamic_stack: false
    .vgpr_count:     158
    .vgpr_spill_count: 0
    .wavefront_size: 32
    .workgroup_processor_mode: 1
  - .args:
      - .offset:         0
        .size:           4
        .value_kind:     by_value
      - .offset:         4
        .size:           4
        .value_kind:     by_value
      - .offset:         8
        .size:           4
        .value_kind:     by_value
      - .address_space:  global
        .offset:         16
        .size:           8
        .value_kind:     global_buffer
      - .address_space:  global
        .offset:         24
        .size:           8
        .value_kind:     global_buffer
      - .offset:         32
        .size:           4
        .value_kind:     by_value
      - .offset:         40
        .size:           8
        .value_kind:     by_value
      - .address_space:  global
        .offset:         48
        .size:           8
        .value_kind:     global_buffer
      - .offset:         56
        .size:           4
        .value_kind:     by_value
      - .offset:         64
        .size:           8
        .value_kind:     by_value
      - .address_space:  global
        .offset:         72
        .size:           8
        .value_kind:     global_buffer
      - .address_space:  global
        .offset:         80
        .size:           8
        .value_kind:     global_buffer
      - .offset:         88
        .size:           4
        .value_kind:     by_value
      - .offset:         96
        .size:           8
        .value_kind:     by_value
      - .address_space:  global
        .offset:         104
        .size:           8
        .value_kind:     global_buffer
      - .offset:         112
        .size:           4
        .value_kind:     by_value
      - .offset:         120
        .size:           8
        .value_kind:     by_value
      - .offset:         128
        .size:           4
        .value_kind:     by_value
      - .offset:         132
        .size:           4
        .value_kind:     by_value
    .group_segment_fixed_size: 5120
    .kernarg_segment_align: 8
    .kernarg_segment_size: 136
    .language:       OpenCL C
    .language_version:
      - 2
      - 0
    .max_flat_workgroup_size: 256
    .name:           _ZN12_GLOBAL__N_120geam_min_plus_kernelIDF16_Dv2_DF16_S1_Li32ELi8ELi256ELi64ELi4ELi64ELi4ELi4ELi64ELc78ELc78ELb0ELb1ELb1EPKDF16_KS3_KPDF16_EEviiiT16_PT17_ilS9_ilS7_S9_ilPT18_ili26rocblas_geam_ex_operation_
    .private_segment_fixed_size: 0
    .sgpr_count:     29
    .sgpr_spill_count: 0
    .symbol:         _ZN12_GLOBAL__N_120geam_min_plus_kernelIDF16_Dv2_DF16_S1_Li32ELi8ELi256ELi64ELi4ELi64ELi4ELi4ELi64ELc78ELc78ELb0ELb1ELb1EPKDF16_KS3_KPDF16_EEviiiT16_PT17_ilS9_ilS7_S9_ilPT18_ili26rocblas_geam_ex_operation_.kd
    .uniform_work_group_size: 1
    .uses_dynamic_stack: false
    .vgpr_count:     164
    .vgpr_spill_count: 0
    .wavefront_size: 32
    .workgroup_processor_mode: 1
  - .args:
      - .offset:         0
        .size:           4
        .value_kind:     by_value
      - .offset:         4
        .size:           4
        .value_kind:     by_value
      - .offset:         8
        .size:           4
        .value_kind:     by_value
      - .offset:         12
        .size:           2
        .value_kind:     by_value
      - .address_space:  global
        .offset:         16
        .size:           8
        .value_kind:     global_buffer
      - .offset:         24
        .size:           4
        .value_kind:     by_value
      - .offset:         32
        .size:           8
        .value_kind:     by_value
      - .address_space:  global
        .offset:         40
        .size:           8
        .value_kind:     global_buffer
      - .offset:         48
        .size:           4
        .value_kind:     by_value
      - .offset:         56
        .size:           8
        .value_kind:     by_value
      - .offset:         64
        .size:           2
        .value_kind:     by_value
      - .address_space:  global
        .offset:         72
        .size:           8
        .value_kind:     global_buffer
      - .offset:         80
        .size:           4
        .value_kind:     by_value
      - .offset:         88
        .size:           8
        .value_kind:     by_value
      - .address_space:  global
        .offset:         96
        .size:           8
        .value_kind:     global_buffer
      - .offset:         104
        .size:           4
        .value_kind:     by_value
      - .offset:         112
        .size:           8
        .value_kind:     by_value
      - .offset:         120
        .size:           4
        .value_kind:     by_value
      - .offset:         124
        .size:           4
        .value_kind:     by_value
    .group_segment_fixed_size: 5120
    .kernarg_segment_align: 8
    .kernarg_segment_size: 128
    .language:       OpenCL C
    .language_version:
      - 2
      - 0
    .max_flat_workgroup_size: 256
    .name:           _ZN12_GLOBAL__N_120geam_min_plus_kernelIDF16_Dv2_DF16_S1_Li32ELi8ELi256ELi64ELi4ELi64ELi4ELi4ELi64ELc78ELc78ELb1ELb1ELb1EDF16_KPKDF16_KPDF16_EEviiiT16_PT17_ilS9_ilS7_S9_ilPT18_ili26rocblas_geam_ex_operation_
    .private_segment_fixed_size: 0
    .sgpr_count:     29
    .sgpr_spill_count: 0
    .symbol:         _ZN12_GLOBAL__N_120geam_min_plus_kernelIDF16_Dv2_DF16_S1_Li32ELi8ELi256ELi64ELi4ELi64ELi4ELi4ELi64ELc78ELc78ELb1ELb1ELb1EDF16_KPKDF16_KPDF16_EEviiiT16_PT17_ilS9_ilS7_S9_ilPT18_ili26rocblas_geam_ex_operation_.kd
    .uniform_work_group_size: 1
    .uses_dynamic_stack: false
    .vgpr_count:     159
    .vgpr_spill_count: 0
    .wavefront_size: 32
    .workgroup_processor_mode: 1
  - .args:
      - .offset:         0
        .size:           4
        .value_kind:     by_value
      - .offset:         4
        .size:           4
        .value_kind:     by_value
      - .offset:         8
        .size:           4
        .value_kind:     by_value
      - .offset:         12
        .size:           2
        .value_kind:     by_value
      - .address_space:  global
        .offset:         16
        .size:           8
        .value_kind:     global_buffer
      - .offset:         24
        .size:           4
        .value_kind:     by_value
      - .offset:         32
        .size:           8
        .value_kind:     by_value
      - .address_space:  global
        .offset:         40
        .size:           8
        .value_kind:     global_buffer
      - .offset:         48
        .size:           4
        .value_kind:     by_value
      - .offset:         56
        .size:           8
        .value_kind:     by_value
      - .offset:         64
        .size:           2
        .value_kind:     by_value
      - .address_space:  global
        .offset:         72
        .size:           8
        .value_kind:     global_buffer
      - .offset:         80
        .size:           4
        .value_kind:     by_value
      - .offset:         88
        .size:           8
        .value_kind:     by_value
      - .address_space:  global
        .offset:         96
        .size:           8
        .value_kind:     global_buffer
      - .offset:         104
        .size:           4
        .value_kind:     by_value
      - .offset:         112
        .size:           8
        .value_kind:     by_value
      - .offset:         120
        .size:           4
        .value_kind:     by_value
      - .offset:         124
        .size:           4
        .value_kind:     by_value
    .group_segment_fixed_size: 5120
    .kernarg_segment_align: 8
    .kernarg_segment_size: 128
    .language:       OpenCL C
    .language_version:
      - 2
      - 0
    .max_flat_workgroup_size: 256
    .name:           _ZN12_GLOBAL__N_120geam_min_plus_kernelIDF16_Dv2_DF16_S1_Li32ELi8ELi256ELi64ELi4ELi64ELi4ELi4ELi64ELc78ELc78ELb0ELb1ELb1EDF16_KPKDF16_KPDF16_EEviiiT16_PT17_ilS9_ilS7_S9_ilPT18_ili26rocblas_geam_ex_operation_
    .private_segment_fixed_size: 0
    .sgpr_count:     31
    .sgpr_spill_count: 0
    .symbol:         _ZN12_GLOBAL__N_120geam_min_plus_kernelIDF16_Dv2_DF16_S1_Li32ELi8ELi256ELi64ELi4ELi64ELi4ELi4ELi64ELc78ELc78ELb0ELb1ELb1EDF16_KPKDF16_KPDF16_EEviiiT16_PT17_ilS9_ilS7_S9_ilPT18_ili26rocblas_geam_ex_operation_.kd
    .uniform_work_group_size: 1
    .uses_dynamic_stack: false
    .vgpr_count:     163
    .vgpr_spill_count: 0
    .wavefront_size: 32
    .workgroup_processor_mode: 1
  - .args:
      - .offset:         0
        .size:           4
        .value_kind:     by_value
      - .offset:         4
        .size:           4
        .value_kind:     by_value
      - .offset:         8
        .size:           4
        .value_kind:     by_value
      - .address_space:  global
        .offset:         16
        .size:           8
        .value_kind:     global_buffer
      - .address_space:  global
        .offset:         24
        .size:           8
        .value_kind:     global_buffer
      - .offset:         32
        .size:           4
        .value_kind:     by_value
      - .offset:         40
        .size:           8
        .value_kind:     by_value
      - .address_space:  global
        .offset:         48
        .size:           8
        .value_kind:     global_buffer
      - .offset:         56
        .size:           4
        .value_kind:     by_value
      - .offset:         64
        .size:           8
        .value_kind:     by_value
      - .address_space:  global
        .offset:         72
        .size:           8
        .value_kind:     global_buffer
      - .address_space:  global
        .offset:         80
        .size:           8
        .value_kind:     global_buffer
      - .offset:         88
        .size:           4
        .value_kind:     by_value
      - .offset:         96
        .size:           8
        .value_kind:     by_value
      - .address_space:  global
        .offset:         104
        .size:           8
        .value_kind:     global_buffer
      - .offset:         112
        .size:           4
        .value_kind:     by_value
      - .offset:         120
        .size:           8
        .value_kind:     by_value
      - .offset:         128
        .size:           4
        .value_kind:     by_value
      - .offset:         132
        .size:           4
        .value_kind:     by_value
    .group_segment_fixed_size: 4096
    .kernarg_segment_align: 8
    .kernarg_segment_size: 136
    .language:       OpenCL C
    .language_version:
      - 2
      - 0
    .max_flat_workgroup_size: 256
    .name:           _ZN12_GLOBAL__N_120geam_min_plus_kernelIDF16_Dv2_DF16_S1_Li32ELi8ELi128ELi128ELi4ELi4ELi64ELi4ELi64ELc84ELc78ELb0ELb0ELb1EPKDF16_KS3_KPDF16_EEviiiT16_PT17_ilS9_ilS7_S9_ilPT18_ili26rocblas_geam_ex_operation_
    .private_segment_fixed_size: 0
    .sgpr_count:     26
    .sgpr_spill_count: 0
    .symbol:         _ZN12_GLOBAL__N_120geam_min_plus_kernelIDF16_Dv2_DF16_S1_Li32ELi8ELi128ELi128ELi4ELi4ELi64ELi4ELi64ELc84ELc78ELb0ELb0ELb1EPKDF16_KS3_KPDF16_EEviiiT16_PT17_ilS9_ilS7_S9_ilPT18_ili26rocblas_geam_ex_operation_.kd
    .uniform_work_group_size: 1
    .uses_dynamic_stack: false
    .vgpr_count:     156
    .vgpr_spill_count: 0
    .wavefront_size: 32
    .workgroup_processor_mode: 1
  - .args:
      - .offset:         0
        .size:           4
        .value_kind:     by_value
      - .offset:         4
        .size:           4
        .value_kind:     by_value
      - .offset:         8
        .size:           4
        .value_kind:     by_value
      - .offset:         12
        .size:           2
        .value_kind:     by_value
      - .address_space:  global
        .offset:         16
        .size:           8
        .value_kind:     global_buffer
      - .offset:         24
        .size:           4
        .value_kind:     by_value
      - .offset:         32
        .size:           8
        .value_kind:     by_value
      - .address_space:  global
        .offset:         40
        .size:           8
        .value_kind:     global_buffer
      - .offset:         48
        .size:           4
        .value_kind:     by_value
      - .offset:         56
        .size:           8
        .value_kind:     by_value
      - .offset:         64
        .size:           2
        .value_kind:     by_value
      - .address_space:  global
        .offset:         72
        .size:           8
        .value_kind:     global_buffer
      - .offset:         80
        .size:           4
        .value_kind:     by_value
      - .offset:         88
        .size:           8
        .value_kind:     by_value
      - .address_space:  global
        .offset:         96
        .size:           8
        .value_kind:     global_buffer
      - .offset:         104
        .size:           4
        .value_kind:     by_value
      - .offset:         112
        .size:           8
        .value_kind:     by_value
      - .offset:         120
        .size:           4
        .value_kind:     by_value
      - .offset:         124
        .size:           4
        .value_kind:     by_value
    .group_segment_fixed_size: 4096
    .kernarg_segment_align: 8
    .kernarg_segment_size: 128
    .language:       OpenCL C
    .language_version:
      - 2
      - 0
    .max_flat_workgroup_size: 256
    .name:           _ZN12_GLOBAL__N_120geam_min_plus_kernelIDF16_Dv2_DF16_S1_Li32ELi8ELi128ELi128ELi4ELi4ELi64ELi4ELi64ELc84ELc78ELb1ELb0ELb1EDF16_KPKDF16_KPDF16_EEviiiT16_PT17_ilS9_ilS7_S9_ilPT18_ili26rocblas_geam_ex_operation_
    .private_segment_fixed_size: 376
    .sgpr_count:     24
    .sgpr_spill_count: 0
    .symbol:         _ZN12_GLOBAL__N_120geam_min_plus_kernelIDF16_Dv2_DF16_S1_Li32ELi8ELi128ELi128ELi4ELi4ELi64ELi4ELi64ELc84ELc78ELb1ELb0ELb1EDF16_KPKDF16_KPDF16_EEviiiT16_PT17_ilS9_ilS7_S9_ilPT18_ili26rocblas_geam_ex_operation_.kd
    .uniform_work_group_size: 1
    .uses_dynamic_stack: false
    .vgpr_count:     256
    .vgpr_spill_count: 93
    .wavefront_size: 32
    .workgroup_processor_mode: 1
  - .args:
      - .offset:         0
        .size:           4
        .value_kind:     by_value
      - .offset:         4
        .size:           4
        .value_kind:     by_value
      - .offset:         8
        .size:           4
        .value_kind:     by_value
      - .offset:         12
        .size:           2
        .value_kind:     by_value
      - .address_space:  global
        .offset:         16
        .size:           8
        .value_kind:     global_buffer
      - .offset:         24
        .size:           4
        .value_kind:     by_value
      - .offset:         32
        .size:           8
        .value_kind:     by_value
      - .address_space:  global
        .offset:         40
        .size:           8
        .value_kind:     global_buffer
      - .offset:         48
        .size:           4
        .value_kind:     by_value
      - .offset:         56
        .size:           8
        .value_kind:     by_value
      - .offset:         64
        .size:           2
        .value_kind:     by_value
      - .address_space:  global
        .offset:         72
        .size:           8
        .value_kind:     global_buffer
      - .offset:         80
        .size:           4
        .value_kind:     by_value
      - .offset:         88
        .size:           8
        .value_kind:     by_value
      - .address_space:  global
        .offset:         96
        .size:           8
        .value_kind:     global_buffer
      - .offset:         104
        .size:           4
        .value_kind:     by_value
      - .offset:         112
        .size:           8
        .value_kind:     by_value
      - .offset:         120
        .size:           4
        .value_kind:     by_value
      - .offset:         124
        .size:           4
        .value_kind:     by_value
    .group_segment_fixed_size: 4096
    .kernarg_segment_align: 8
    .kernarg_segment_size: 128
    .language:       OpenCL C
    .language_version:
      - 2
      - 0
    .max_flat_workgroup_size: 256
    .name:           _ZN12_GLOBAL__N_120geam_min_plus_kernelIDF16_Dv2_DF16_S1_Li32ELi8ELi128ELi128ELi4ELi4ELi64ELi4ELi64ELc84ELc78ELb0ELb0ELb1EDF16_KPKDF16_KPDF16_EEviiiT16_PT17_ilS9_ilS7_S9_ilPT18_ili26rocblas_geam_ex_operation_
    .private_segment_fixed_size: 0
    .sgpr_count:     26
    .sgpr_spill_count: 0
    .symbol:         _ZN12_GLOBAL__N_120geam_min_plus_kernelIDF16_Dv2_DF16_S1_Li32ELi8ELi128ELi128ELi4ELi4ELi64ELi4ELi64ELc84ELc78ELb0ELb0ELb1EDF16_KPKDF16_KPDF16_EEviiiT16_PT17_ilS9_ilS7_S9_ilPT18_ili26rocblas_geam_ex_operation_.kd
    .uniform_work_group_size: 1
    .uses_dynamic_stack: false
    .vgpr_count:     154
    .vgpr_spill_count: 0
    .wavefront_size: 32
    .workgroup_processor_mode: 1
  - .args:
      - .offset:         0
        .size:           4
        .value_kind:     by_value
      - .offset:         4
        .size:           4
        .value_kind:     by_value
      - .offset:         8
        .size:           4
        .value_kind:     by_value
      - .address_space:  global
        .offset:         16
        .size:           8
        .value_kind:     global_buffer
      - .address_space:  global
        .offset:         24
        .size:           8
        .value_kind:     global_buffer
      - .offset:         32
        .size:           4
        .value_kind:     by_value
      - .offset:         40
        .size:           8
        .value_kind:     by_value
      - .address_space:  global
        .offset:         48
        .size:           8
        .value_kind:     global_buffer
      - .offset:         56
        .size:           4
        .value_kind:     by_value
      - .offset:         64
        .size:           8
        .value_kind:     by_value
      - .address_space:  global
        .offset:         72
        .size:           8
        .value_kind:     global_buffer
      - .address_space:  global
        .offset:         80
        .size:           8
        .value_kind:     global_buffer
      - .offset:         88
        .size:           4
        .value_kind:     by_value
      - .offset:         96
        .size:           8
        .value_kind:     by_value
      - .address_space:  global
        .offset:         104
        .size:           8
        .value_kind:     global_buffer
      - .offset:         112
        .size:           4
        .value_kind:     by_value
      - .offset:         120
        .size:           8
        .value_kind:     by_value
      - .offset:         128
        .size:           4
        .value_kind:     by_value
      - .offset:         132
        .size:           4
        .value_kind:     by_value
    .group_segment_fixed_size: 4096
    .kernarg_segment_align: 8
    .kernarg_segment_size: 136
    .language:       OpenCL C
    .language_version:
      - 2
      - 0
    .max_flat_workgroup_size: 256
    .name:           _ZN12_GLOBAL__N_120geam_min_plus_kernelIDF16_Dv2_DF16_S1_Li32ELi8ELi128ELi128ELi4ELi4ELi64ELi4ELi64ELc84ELc78ELb0ELb1ELb1EPKDF16_KS3_KPDF16_EEviiiT16_PT17_ilS9_ilS7_S9_ilPT18_ili26rocblas_geam_ex_operation_
    .private_segment_fixed_size: 0
    .sgpr_count:     28
    .sgpr_spill_count: 0
    .symbol:         _ZN12_GLOBAL__N_120geam_min_plus_kernelIDF16_Dv2_DF16_S1_Li32ELi8ELi128ELi128ELi4ELi4ELi64ELi4ELi64ELc84ELc78ELb0ELb1ELb1EPKDF16_KS3_KPDF16_EEviiiT16_PT17_ilS9_ilS7_S9_ilPT18_ili26rocblas_geam_ex_operation_.kd
    .uniform_work_group_size: 1
    .uses_dynamic_stack: false
    .vgpr_count:     158
    .vgpr_spill_count: 0
    .wavefront_size: 32
    .workgroup_processor_mode: 1
  - .args:
      - .offset:         0
        .size:           4
        .value_kind:     by_value
      - .offset:         4
        .size:           4
        .value_kind:     by_value
      - .offset:         8
        .size:           4
        .value_kind:     by_value
      - .offset:         12
        .size:           2
        .value_kind:     by_value
      - .address_space:  global
        .offset:         16
        .size:           8
        .value_kind:     global_buffer
      - .offset:         24
        .size:           4
        .value_kind:     by_value
      - .offset:         32
        .size:           8
        .value_kind:     by_value
      - .address_space:  global
        .offset:         40
        .size:           8
        .value_kind:     global_buffer
      - .offset:         48
        .size:           4
        .value_kind:     by_value
      - .offset:         56
        .size:           8
        .value_kind:     by_value
      - .offset:         64
        .size:           2
        .value_kind:     by_value
      - .address_space:  global
        .offset:         72
        .size:           8
        .value_kind:     global_buffer
      - .offset:         80
        .size:           4
        .value_kind:     by_value
      - .offset:         88
        .size:           8
        .value_kind:     by_value
      - .address_space:  global
        .offset:         96
        .size:           8
        .value_kind:     global_buffer
      - .offset:         104
        .size:           4
        .value_kind:     by_value
      - .offset:         112
        .size:           8
        .value_kind:     by_value
      - .offset:         120
        .size:           4
        .value_kind:     by_value
      - .offset:         124
        .size:           4
        .value_kind:     by_value
    .group_segment_fixed_size: 4096
    .kernarg_segment_align: 8
    .kernarg_segment_size: 128
    .language:       OpenCL C
    .language_version:
      - 2
      - 0
    .max_flat_workgroup_size: 256
    .name:           _ZN12_GLOBAL__N_120geam_min_plus_kernelIDF16_Dv2_DF16_S1_Li32ELi8ELi128ELi128ELi4ELi4ELi64ELi4ELi64ELc84ELc78ELb1ELb1ELb1EDF16_KPKDF16_KPDF16_EEviiiT16_PT17_ilS9_ilS7_S9_ilPT18_ili26rocblas_geam_ex_operation_
    .private_segment_fixed_size: 0
    .sgpr_count:     27
    .sgpr_spill_count: 0
    .symbol:         _ZN12_GLOBAL__N_120geam_min_plus_kernelIDF16_Dv2_DF16_S1_Li32ELi8ELi128ELi128ELi4ELi4ELi64ELi4ELi64ELc84ELc78ELb1ELb1ELb1EDF16_KPKDF16_KPDF16_EEviiiT16_PT17_ilS9_ilS7_S9_ilPT18_ili26rocblas_geam_ex_operation_.kd
    .uniform_work_group_size: 1
    .uses_dynamic_stack: false
    .vgpr_count:     157
    .vgpr_spill_count: 0
    .wavefront_size: 32
    .workgroup_processor_mode: 1
  - .args:
      - .offset:         0
        .size:           4
        .value_kind:     by_value
      - .offset:         4
        .size:           4
        .value_kind:     by_value
      - .offset:         8
        .size:           4
        .value_kind:     by_value
      - .offset:         12
        .size:           2
        .value_kind:     by_value
      - .address_space:  global
        .offset:         16
        .size:           8
        .value_kind:     global_buffer
      - .offset:         24
        .size:           4
        .value_kind:     by_value
      - .offset:         32
        .size:           8
        .value_kind:     by_value
      - .address_space:  global
        .offset:         40
        .size:           8
        .value_kind:     global_buffer
      - .offset:         48
        .size:           4
        .value_kind:     by_value
      - .offset:         56
        .size:           8
        .value_kind:     by_value
      - .offset:         64
        .size:           2
        .value_kind:     by_value
      - .address_space:  global
        .offset:         72
        .size:           8
        .value_kind:     global_buffer
      - .offset:         80
        .size:           4
        .value_kind:     by_value
      - .offset:         88
        .size:           8
        .value_kind:     by_value
      - .address_space:  global
        .offset:         96
        .size:           8
        .value_kind:     global_buffer
      - .offset:         104
        .size:           4
        .value_kind:     by_value
      - .offset:         112
        .size:           8
        .value_kind:     by_value
      - .offset:         120
        .size:           4
        .value_kind:     by_value
      - .offset:         124
        .size:           4
        .value_kind:     by_value
    .group_segment_fixed_size: 4096
    .kernarg_segment_align: 8
    .kernarg_segment_size: 128
    .language:       OpenCL C
    .language_version:
      - 2
      - 0
    .max_flat_workgroup_size: 256
    .name:           _ZN12_GLOBAL__N_120geam_min_plus_kernelIDF16_Dv2_DF16_S1_Li32ELi8ELi128ELi128ELi4ELi4ELi64ELi4ELi64ELc84ELc78ELb0ELb1ELb1EDF16_KPKDF16_KPDF16_EEviiiT16_PT17_ilS9_ilS7_S9_ilPT18_ili26rocblas_geam_ex_operation_
    .private_segment_fixed_size: 0
    .sgpr_count:     30
    .sgpr_spill_count: 0
    .symbol:         _ZN12_GLOBAL__N_120geam_min_plus_kernelIDF16_Dv2_DF16_S1_Li32ELi8ELi128ELi128ELi4ELi4ELi64ELi4ELi64ELc84ELc78ELb0ELb1ELb1EDF16_KPKDF16_KPDF16_EEviiiT16_PT17_ilS9_ilS7_S9_ilPT18_ili26rocblas_geam_ex_operation_.kd
    .uniform_work_group_size: 1
    .uses_dynamic_stack: false
    .vgpr_count:     156
    .vgpr_spill_count: 0
    .wavefront_size: 32
    .workgroup_processor_mode: 1
  - .args:
      - .offset:         0
        .size:           4
        .value_kind:     by_value
      - .offset:         4
        .size:           4
        .value_kind:     by_value
      - .offset:         8
        .size:           4
        .value_kind:     by_value
      - .address_space:  global
        .offset:         16
        .size:           8
        .value_kind:     global_buffer
      - .address_space:  global
        .offset:         24
        .size:           8
        .value_kind:     global_buffer
      - .offset:         32
        .size:           4
        .value_kind:     by_value
      - .offset:         40
        .size:           8
        .value_kind:     by_value
      - .address_space:  global
        .offset:         48
        .size:           8
        .value_kind:     global_buffer
      - .offset:         56
        .size:           4
        .value_kind:     by_value
      - .offset:         64
        .size:           8
        .value_kind:     by_value
      - .address_space:  global
        .offset:         72
        .size:           8
        .value_kind:     global_buffer
      - .address_space:  global
        .offset:         80
        .size:           8
        .value_kind:     global_buffer
      - .offset:         88
        .size:           4
        .value_kind:     by_value
      - .offset:         96
        .size:           8
        .value_kind:     by_value
      - .address_space:  global
        .offset:         104
        .size:           8
        .value_kind:     global_buffer
      - .offset:         112
        .size:           4
        .value_kind:     by_value
      - .offset:         120
        .size:           8
        .value_kind:     by_value
      - .offset:         128
        .size:           4
        .value_kind:     by_value
      - .offset:         132
        .size:           4
        .value_kind:     by_value
    .group_segment_fixed_size: 5120
    .kernarg_segment_align: 8
    .kernarg_segment_size: 136
    .language:       OpenCL C
    .language_version:
      - 2
      - 0
    .max_flat_workgroup_size: 256
    .name:           _ZN12_GLOBAL__N_120geam_min_plus_kernelIDF16_Dv2_DF16_S1_Li8ELi32ELi64ELi256ELi4ELi64ELi4ELi64ELi4ELc78ELc84ELb0ELb0ELb1EPKDF16_KS3_KPDF16_EEviiiT16_PT17_ilS9_ilS7_S9_ilPT18_ili26rocblas_geam_ex_operation_
    .private_segment_fixed_size: 0
    .sgpr_count:     26
    .sgpr_spill_count: 0
    .symbol:         _ZN12_GLOBAL__N_120geam_min_plus_kernelIDF16_Dv2_DF16_S1_Li8ELi32ELi64ELi256ELi4ELi64ELi4ELi64ELi4ELc78ELc84ELb0ELb0ELb1EPKDF16_KS3_KPDF16_EEviiiT16_PT17_ilS9_ilS7_S9_ilPT18_ili26rocblas_geam_ex_operation_.kd
    .uniform_work_group_size: 1
    .uses_dynamic_stack: false
    .vgpr_count:     155
    .vgpr_spill_count: 0
    .wavefront_size: 32
    .workgroup_processor_mode: 1
  - .args:
      - .offset:         0
        .size:           4
        .value_kind:     by_value
      - .offset:         4
        .size:           4
        .value_kind:     by_value
      - .offset:         8
        .size:           4
        .value_kind:     by_value
      - .offset:         12
        .size:           2
        .value_kind:     by_value
      - .address_space:  global
        .offset:         16
        .size:           8
        .value_kind:     global_buffer
      - .offset:         24
        .size:           4
        .value_kind:     by_value
      - .offset:         32
        .size:           8
        .value_kind:     by_value
      - .address_space:  global
        .offset:         40
        .size:           8
        .value_kind:     global_buffer
      - .offset:         48
        .size:           4
        .value_kind:     by_value
      - .offset:         56
        .size:           8
        .value_kind:     by_value
      - .offset:         64
        .size:           2
        .value_kind:     by_value
      - .address_space:  global
        .offset:         72
        .size:           8
        .value_kind:     global_buffer
      - .offset:         80
        .size:           4
        .value_kind:     by_value
      - .offset:         88
        .size:           8
        .value_kind:     by_value
      - .address_space:  global
        .offset:         96
        .size:           8
        .value_kind:     global_buffer
      - .offset:         104
        .size:           4
        .value_kind:     by_value
      - .offset:         112
        .size:           8
        .value_kind:     by_value
      - .offset:         120
        .size:           4
        .value_kind:     by_value
      - .offset:         124
        .size:           4
        .value_kind:     by_value
    .group_segment_fixed_size: 5120
    .kernarg_segment_align: 8
    .kernarg_segment_size: 128
    .language:       OpenCL C
    .language_version:
      - 2
      - 0
    .max_flat_workgroup_size: 256
    .name:           _ZN12_GLOBAL__N_120geam_min_plus_kernelIDF16_Dv2_DF16_S1_Li8ELi32ELi64ELi256ELi4ELi64ELi4ELi64ELi4ELc78ELc84ELb1ELb0ELb1EDF16_KPKDF16_KPDF16_EEviiiT16_PT17_ilS9_ilS7_S9_ilPT18_ili26rocblas_geam_ex_operation_
    .private_segment_fixed_size: 380
    .sgpr_count:     24
    .sgpr_spill_count: 0
    .symbol:         _ZN12_GLOBAL__N_120geam_min_plus_kernelIDF16_Dv2_DF16_S1_Li8ELi32ELi64ELi256ELi4ELi64ELi4ELi64ELi4ELc78ELc84ELb1ELb0ELb1EDF16_KPKDF16_KPDF16_EEviiiT16_PT17_ilS9_ilS7_S9_ilPT18_ili26rocblas_geam_ex_operation_.kd
    .uniform_work_group_size: 1
    .uses_dynamic_stack: false
    .vgpr_count:     256
    .vgpr_spill_count: 94
    .wavefront_size: 32
    .workgroup_processor_mode: 1
  - .args:
      - .offset:         0
        .size:           4
        .value_kind:     by_value
      - .offset:         4
        .size:           4
        .value_kind:     by_value
      - .offset:         8
        .size:           4
        .value_kind:     by_value
      - .offset:         12
        .size:           2
        .value_kind:     by_value
      - .address_space:  global
        .offset:         16
        .size:           8
        .value_kind:     global_buffer
      - .offset:         24
        .size:           4
        .value_kind:     by_value
      - .offset:         32
        .size:           8
        .value_kind:     by_value
      - .address_space:  global
        .offset:         40
        .size:           8
        .value_kind:     global_buffer
      - .offset:         48
        .size:           4
        .value_kind:     by_value
      - .offset:         56
        .size:           8
        .value_kind:     by_value
      - .offset:         64
        .size:           2
        .value_kind:     by_value
      - .address_space:  global
        .offset:         72
        .size:           8
        .value_kind:     global_buffer
      - .offset:         80
        .size:           4
        .value_kind:     by_value
      - .offset:         88
        .size:           8
        .value_kind:     by_value
      - .address_space:  global
        .offset:         96
        .size:           8
        .value_kind:     global_buffer
      - .offset:         104
        .size:           4
        .value_kind:     by_value
      - .offset:         112
        .size:           8
        .value_kind:     by_value
      - .offset:         120
        .size:           4
        .value_kind:     by_value
      - .offset:         124
        .size:           4
        .value_kind:     by_value
    .group_segment_fixed_size: 5120
    .kernarg_segment_align: 8
    .kernarg_segment_size: 128
    .language:       OpenCL C
    .language_version:
      - 2
      - 0
    .max_flat_workgroup_size: 256
    .name:           _ZN12_GLOBAL__N_120geam_min_plus_kernelIDF16_Dv2_DF16_S1_Li8ELi32ELi64ELi256ELi4ELi64ELi4ELi64ELi4ELc78ELc84ELb0ELb0ELb1EDF16_KPKDF16_KPDF16_EEviiiT16_PT17_ilS9_ilS7_S9_ilPT18_ili26rocblas_geam_ex_operation_
    .private_segment_fixed_size: 0
    .sgpr_count:     29
    .sgpr_spill_count: 0
    .symbol:         _ZN12_GLOBAL__N_120geam_min_plus_kernelIDF16_Dv2_DF16_S1_Li8ELi32ELi64ELi256ELi4ELi64ELi4ELi64ELi4ELc78ELc84ELb0ELb0ELb1EDF16_KPKDF16_KPDF16_EEviiiT16_PT17_ilS9_ilS7_S9_ilPT18_ili26rocblas_geam_ex_operation_.kd
    .uniform_work_group_size: 1
    .uses_dynamic_stack: false
    .vgpr_count:     153
    .vgpr_spill_count: 0
    .wavefront_size: 32
    .workgroup_processor_mode: 1
  - .args:
      - .offset:         0
        .size:           4
        .value_kind:     by_value
      - .offset:         4
        .size:           4
        .value_kind:     by_value
      - .offset:         8
        .size:           4
        .value_kind:     by_value
      - .address_space:  global
        .offset:         16
        .size:           8
        .value_kind:     global_buffer
      - .address_space:  global
        .offset:         24
        .size:           8
        .value_kind:     global_buffer
      - .offset:         32
        .size:           4
        .value_kind:     by_value
      - .offset:         40
        .size:           8
        .value_kind:     by_value
      - .address_space:  global
        .offset:         48
        .size:           8
        .value_kind:     global_buffer
      - .offset:         56
        .size:           4
        .value_kind:     by_value
      - .offset:         64
        .size:           8
        .value_kind:     by_value
      - .address_space:  global
        .offset:         72
        .size:           8
        .value_kind:     global_buffer
      - .address_space:  global
        .offset:         80
        .size:           8
        .value_kind:     global_buffer
      - .offset:         88
        .size:           4
        .value_kind:     by_value
      - .offset:         96
        .size:           8
        .value_kind:     by_value
      - .address_space:  global
        .offset:         104
        .size:           8
        .value_kind:     global_buffer
      - .offset:         112
        .size:           4
        .value_kind:     by_value
      - .offset:         120
        .size:           8
        .value_kind:     by_value
      - .offset:         128
        .size:           4
        .value_kind:     by_value
      - .offset:         132
        .size:           4
        .value_kind:     by_value
    .group_segment_fixed_size: 5120
    .kernarg_segment_align: 8
    .kernarg_segment_size: 136
    .language:       OpenCL C
    .language_version:
      - 2
      - 0
    .max_flat_workgroup_size: 256
    .name:           _ZN12_GLOBAL__N_120geam_min_plus_kernelIDF16_Dv2_DF16_S1_Li8ELi32ELi64ELi256ELi4ELi64ELi4ELi64ELi4ELc78ELc84ELb0ELb1ELb1EPKDF16_KS3_KPDF16_EEviiiT16_PT17_ilS9_ilS7_S9_ilPT18_ili26rocblas_geam_ex_operation_
    .private_segment_fixed_size: 0
    .sgpr_count:     32
    .sgpr_spill_count: 0
    .symbol:         _ZN12_GLOBAL__N_120geam_min_plus_kernelIDF16_Dv2_DF16_S1_Li8ELi32ELi64ELi256ELi4ELi64ELi4ELi64ELi4ELc78ELc84ELb0ELb1ELb1EPKDF16_KS3_KPDF16_EEviiiT16_PT17_ilS9_ilS7_S9_ilPT18_ili26rocblas_geam_ex_operation_.kd
    .uniform_work_group_size: 1
    .uses_dynamic_stack: false
    .vgpr_count:     160
    .vgpr_spill_count: 0
    .wavefront_size: 32
    .workgroup_processor_mode: 1
  - .args:
      - .offset:         0
        .size:           4
        .value_kind:     by_value
      - .offset:         4
        .size:           4
        .value_kind:     by_value
      - .offset:         8
        .size:           4
        .value_kind:     by_value
      - .offset:         12
        .size:           2
        .value_kind:     by_value
      - .address_space:  global
        .offset:         16
        .size:           8
        .value_kind:     global_buffer
      - .offset:         24
        .size:           4
        .value_kind:     by_value
      - .offset:         32
        .size:           8
        .value_kind:     by_value
      - .address_space:  global
        .offset:         40
        .size:           8
        .value_kind:     global_buffer
      - .offset:         48
        .size:           4
        .value_kind:     by_value
      - .offset:         56
        .size:           8
        .value_kind:     by_value
      - .offset:         64
        .size:           2
        .value_kind:     by_value
      - .address_space:  global
        .offset:         72
        .size:           8
        .value_kind:     global_buffer
      - .offset:         80
        .size:           4
        .value_kind:     by_value
      - .offset:         88
        .size:           8
        .value_kind:     by_value
      - .address_space:  global
        .offset:         96
        .size:           8
        .value_kind:     global_buffer
      - .offset:         104
        .size:           4
        .value_kind:     by_value
      - .offset:         112
        .size:           8
        .value_kind:     by_value
      - .offset:         120
        .size:           4
        .value_kind:     by_value
      - .offset:         124
        .size:           4
        .value_kind:     by_value
    .group_segment_fixed_size: 5120
    .kernarg_segment_align: 8
    .kernarg_segment_size: 128
    .language:       OpenCL C
    .language_version:
      - 2
      - 0
    .max_flat_workgroup_size: 256
    .name:           _ZN12_GLOBAL__N_120geam_min_plus_kernelIDF16_Dv2_DF16_S1_Li8ELi32ELi64ELi256ELi4ELi64ELi4ELi64ELi4ELc78ELc84ELb1ELb1ELb1EDF16_KPKDF16_KPDF16_EEviiiT16_PT17_ilS9_ilS7_S9_ilPT18_ili26rocblas_geam_ex_operation_
    .private_segment_fixed_size: 0
    .sgpr_count:     30
    .sgpr_spill_count: 0
    .symbol:         _ZN12_GLOBAL__N_120geam_min_plus_kernelIDF16_Dv2_DF16_S1_Li8ELi32ELi64ELi256ELi4ELi64ELi4ELi64ELi4ELc78ELc84ELb1ELb1ELb1EDF16_KPKDF16_KPDF16_EEviiiT16_PT17_ilS9_ilS7_S9_ilPT18_ili26rocblas_geam_ex_operation_.kd
    .uniform_work_group_size: 1
    .uses_dynamic_stack: false
    .vgpr_count:     153
    .vgpr_spill_count: 0
    .wavefront_size: 32
    .workgroup_processor_mode: 1
  - .args:
      - .offset:         0
        .size:           4
        .value_kind:     by_value
      - .offset:         4
        .size:           4
        .value_kind:     by_value
      - .offset:         8
        .size:           4
        .value_kind:     by_value
      - .offset:         12
        .size:           2
        .value_kind:     by_value
      - .address_space:  global
        .offset:         16
        .size:           8
        .value_kind:     global_buffer
      - .offset:         24
        .size:           4
        .value_kind:     by_value
      - .offset:         32
        .size:           8
        .value_kind:     by_value
      - .address_space:  global
        .offset:         40
        .size:           8
        .value_kind:     global_buffer
      - .offset:         48
        .size:           4
        .value_kind:     by_value
      - .offset:         56
        .size:           8
        .value_kind:     by_value
      - .offset:         64
        .size:           2
        .value_kind:     by_value
      - .address_space:  global
        .offset:         72
        .size:           8
        .value_kind:     global_buffer
      - .offset:         80
        .size:           4
        .value_kind:     by_value
      - .offset:         88
        .size:           8
        .value_kind:     by_value
      - .address_space:  global
        .offset:         96
        .size:           8
        .value_kind:     global_buffer
      - .offset:         104
        .size:           4
        .value_kind:     by_value
      - .offset:         112
        .size:           8
        .value_kind:     by_value
      - .offset:         120
        .size:           4
        .value_kind:     by_value
      - .offset:         124
        .size:           4
        .value_kind:     by_value
    .group_segment_fixed_size: 5120
    .kernarg_segment_align: 8
    .kernarg_segment_size: 128
    .language:       OpenCL C
    .language_version:
      - 2
      - 0
    .max_flat_workgroup_size: 256
    .name:           _ZN12_GLOBAL__N_120geam_min_plus_kernelIDF16_Dv2_DF16_S1_Li8ELi32ELi64ELi256ELi4ELi64ELi4ELi64ELi4ELc78ELc84ELb0ELb1ELb1EDF16_KPKDF16_KPDF16_EEviiiT16_PT17_ilS9_ilS7_S9_ilPT18_ili26rocblas_geam_ex_operation_
    .private_segment_fixed_size: 0
    .sgpr_count:     34
    .sgpr_spill_count: 0
    .symbol:         _ZN12_GLOBAL__N_120geam_min_plus_kernelIDF16_Dv2_DF16_S1_Li8ELi32ELi64ELi256ELi4ELi64ELi4ELi64ELi4ELc78ELc84ELb0ELb1ELb1EDF16_KPKDF16_KPDF16_EEviiiT16_PT17_ilS9_ilS7_S9_ilPT18_ili26rocblas_geam_ex_operation_.kd
    .uniform_work_group_size: 1
    .uses_dynamic_stack: false
    .vgpr_count:     158
    .vgpr_spill_count: 0
    .wavefront_size: 32
    .workgroup_processor_mode: 1
  - .args:
      - .offset:         0
        .size:           4
        .value_kind:     by_value
      - .offset:         4
        .size:           4
        .value_kind:     by_value
      - .offset:         8
        .size:           4
        .value_kind:     by_value
      - .address_space:  global
        .offset:         16
        .size:           8
        .value_kind:     global_buffer
      - .address_space:  global
        .offset:         24
        .size:           8
        .value_kind:     global_buffer
      - .offset:         32
        .size:           4
        .value_kind:     by_value
      - .offset:         40
        .size:           8
        .value_kind:     by_value
      - .address_space:  global
        .offset:         48
        .size:           8
        .value_kind:     global_buffer
      - .offset:         56
        .size:           4
        .value_kind:     by_value
      - .offset:         64
        .size:           8
        .value_kind:     by_value
      - .address_space:  global
        .offset:         72
        .size:           8
        .value_kind:     global_buffer
      - .address_space:  global
        .offset:         80
        .size:           8
        .value_kind:     global_buffer
      - .offset:         88
        .size:           4
        .value_kind:     by_value
      - .offset:         96
        .size:           8
        .value_kind:     by_value
      - .address_space:  global
        .offset:         104
        .size:           8
        .value_kind:     global_buffer
      - .offset:         112
        .size:           4
        .value_kind:     by_value
      - .offset:         120
        .size:           8
        .value_kind:     by_value
      - .offset:         128
        .size:           4
        .value_kind:     by_value
      - .offset:         132
        .size:           4
        .value_kind:     by_value
    .group_segment_fixed_size: 5120
    .kernarg_segment_align: 8
    .kernarg_segment_size: 136
    .language:       OpenCL C
    .language_version:
      - 2
      - 0
    .max_flat_workgroup_size: 256
    .name:           _ZN12_GLOBAL__N_120geam_min_plus_kernelIDF16_Dv2_DF16_S1_Li8ELi32ELi64ELi256ELi4ELi4ELi64ELi64ELi4ELc84ELc84ELb0ELb0ELb1EPKDF16_KS3_KPDF16_EEviiiT16_PT17_ilS9_ilS7_S9_ilPT18_ili26rocblas_geam_ex_operation_
    .private_segment_fixed_size: 0
    .sgpr_count:     26
    .sgpr_spill_count: 0
    .symbol:         _ZN12_GLOBAL__N_120geam_min_plus_kernelIDF16_Dv2_DF16_S1_Li8ELi32ELi64ELi256ELi4ELi4ELi64ELi64ELi4ELc84ELc84ELb0ELb0ELb1EPKDF16_KS3_KPDF16_EEviiiT16_PT17_ilS9_ilS7_S9_ilPT18_ili26rocblas_geam_ex_operation_.kd
    .uniform_work_group_size: 1
    .uses_dynamic_stack: false
    .vgpr_count:     164
    .vgpr_spill_count: 0
    .wavefront_size: 32
    .workgroup_processor_mode: 1
  - .args:
      - .offset:         0
        .size:           4
        .value_kind:     by_value
      - .offset:         4
        .size:           4
        .value_kind:     by_value
      - .offset:         8
        .size:           4
        .value_kind:     by_value
      - .offset:         12
        .size:           2
        .value_kind:     by_value
      - .address_space:  global
        .offset:         16
        .size:           8
        .value_kind:     global_buffer
      - .offset:         24
        .size:           4
        .value_kind:     by_value
      - .offset:         32
        .size:           8
        .value_kind:     by_value
      - .address_space:  global
        .offset:         40
        .size:           8
        .value_kind:     global_buffer
      - .offset:         48
        .size:           4
        .value_kind:     by_value
      - .offset:         56
        .size:           8
        .value_kind:     by_value
      - .offset:         64
        .size:           2
        .value_kind:     by_value
      - .address_space:  global
        .offset:         72
        .size:           8
        .value_kind:     global_buffer
      - .offset:         80
        .size:           4
        .value_kind:     by_value
      - .offset:         88
        .size:           8
        .value_kind:     by_value
      - .address_space:  global
        .offset:         96
        .size:           8
        .value_kind:     global_buffer
      - .offset:         104
        .size:           4
        .value_kind:     by_value
      - .offset:         112
        .size:           8
        .value_kind:     by_value
      - .offset:         120
        .size:           4
        .value_kind:     by_value
      - .offset:         124
        .size:           4
        .value_kind:     by_value
    .group_segment_fixed_size: 5120
    .kernarg_segment_align: 8
    .kernarg_segment_size: 128
    .language:       OpenCL C
    .language_version:
      - 2
      - 0
    .max_flat_workgroup_size: 256
    .name:           _ZN12_GLOBAL__N_120geam_min_plus_kernelIDF16_Dv2_DF16_S1_Li8ELi32ELi64ELi256ELi4ELi4ELi64ELi64ELi4ELc84ELc84ELb1ELb0ELb1EDF16_KPKDF16_KPDF16_EEviiiT16_PT17_ilS9_ilS7_S9_ilPT18_ili26rocblas_geam_ex_operation_
    .private_segment_fixed_size: 364
    .sgpr_count:     24
    .sgpr_spill_count: 0
    .symbol:         _ZN12_GLOBAL__N_120geam_min_plus_kernelIDF16_Dv2_DF16_S1_Li8ELi32ELi64ELi256ELi4ELi4ELi64ELi64ELi4ELc84ELc84ELb1ELb0ELb1EDF16_KPKDF16_KPDF16_EEviiiT16_PT17_ilS9_ilS7_S9_ilPT18_ili26rocblas_geam_ex_operation_.kd
    .uniform_work_group_size: 1
    .uses_dynamic_stack: false
    .vgpr_count:     256
    .vgpr_spill_count: 90
    .wavefront_size: 32
    .workgroup_processor_mode: 1
  - .args:
      - .offset:         0
        .size:           4
        .value_kind:     by_value
      - .offset:         4
        .size:           4
        .value_kind:     by_value
      - .offset:         8
        .size:           4
        .value_kind:     by_value
      - .offset:         12
        .size:           2
        .value_kind:     by_value
      - .address_space:  global
        .offset:         16
        .size:           8
        .value_kind:     global_buffer
      - .offset:         24
        .size:           4
        .value_kind:     by_value
      - .offset:         32
        .size:           8
        .value_kind:     by_value
      - .address_space:  global
        .offset:         40
        .size:           8
        .value_kind:     global_buffer
      - .offset:         48
        .size:           4
        .value_kind:     by_value
      - .offset:         56
        .size:           8
        .value_kind:     by_value
      - .offset:         64
        .size:           2
        .value_kind:     by_value
      - .address_space:  global
        .offset:         72
        .size:           8
        .value_kind:     global_buffer
      - .offset:         80
        .size:           4
        .value_kind:     by_value
      - .offset:         88
        .size:           8
        .value_kind:     by_value
      - .address_space:  global
        .offset:         96
        .size:           8
        .value_kind:     global_buffer
      - .offset:         104
        .size:           4
        .value_kind:     by_value
      - .offset:         112
        .size:           8
        .value_kind:     by_value
      - .offset:         120
        .size:           4
        .value_kind:     by_value
      - .offset:         124
        .size:           4
        .value_kind:     by_value
    .group_segment_fixed_size: 5120
    .kernarg_segment_align: 8
    .kernarg_segment_size: 128
    .language:       OpenCL C
    .language_version:
      - 2
      - 0
    .max_flat_workgroup_size: 256
    .name:           _ZN12_GLOBAL__N_120geam_min_plus_kernelIDF16_Dv2_DF16_S1_Li8ELi32ELi64ELi256ELi4ELi4ELi64ELi64ELi4ELc84ELc84ELb0ELb0ELb1EDF16_KPKDF16_KPDF16_EEviiiT16_PT17_ilS9_ilS7_S9_ilPT18_ili26rocblas_geam_ex_operation_
    .private_segment_fixed_size: 0
    .sgpr_count:     26
    .sgpr_spill_count: 0
    .symbol:         _ZN12_GLOBAL__N_120geam_min_plus_kernelIDF16_Dv2_DF16_S1_Li8ELi32ELi64ELi256ELi4ELi4ELi64ELi64ELi4ELc84ELc84ELb0ELb0ELb1EDF16_KPKDF16_KPDF16_EEviiiT16_PT17_ilS9_ilS7_S9_ilPT18_ili26rocblas_geam_ex_operation_.kd
    .uniform_work_group_size: 1
    .uses_dynamic_stack: false
    .vgpr_count:     163
    .vgpr_spill_count: 0
    .wavefront_size: 32
    .workgroup_processor_mode: 1
  - .args:
      - .offset:         0
        .size:           4
        .value_kind:     by_value
      - .offset:         4
        .size:           4
        .value_kind:     by_value
      - .offset:         8
        .size:           4
        .value_kind:     by_value
      - .address_space:  global
        .offset:         16
        .size:           8
        .value_kind:     global_buffer
      - .address_space:  global
        .offset:         24
        .size:           8
        .value_kind:     global_buffer
      - .offset:         32
        .size:           4
        .value_kind:     by_value
      - .offset:         40
        .size:           8
        .value_kind:     by_value
      - .address_space:  global
        .offset:         48
        .size:           8
        .value_kind:     global_buffer
      - .offset:         56
        .size:           4
        .value_kind:     by_value
      - .offset:         64
        .size:           8
        .value_kind:     by_value
      - .address_space:  global
        .offset:         72
        .size:           8
        .value_kind:     global_buffer
      - .address_space:  global
        .offset:         80
        .size:           8
        .value_kind:     global_buffer
      - .offset:         88
        .size:           4
        .value_kind:     by_value
      - .offset:         96
        .size:           8
        .value_kind:     by_value
      - .address_space:  global
        .offset:         104
        .size:           8
        .value_kind:     global_buffer
      - .offset:         112
        .size:           4
        .value_kind:     by_value
      - .offset:         120
        .size:           8
        .value_kind:     by_value
      - .offset:         128
        .size:           4
        .value_kind:     by_value
      - .offset:         132
        .size:           4
        .value_kind:     by_value
    .group_segment_fixed_size: 5120
    .kernarg_segment_align: 8
    .kernarg_segment_size: 136
    .language:       OpenCL C
    .language_version:
      - 2
      - 0
    .max_flat_workgroup_size: 256
    .name:           _ZN12_GLOBAL__N_120geam_min_plus_kernelIDF16_Dv2_DF16_S1_Li8ELi32ELi64ELi256ELi4ELi4ELi64ELi64ELi4ELc84ELc84ELb0ELb1ELb1EPKDF16_KS3_KPDF16_EEviiiT16_PT17_ilS9_ilS7_S9_ilPT18_ili26rocblas_geam_ex_operation_
    .private_segment_fixed_size: 0
    .sgpr_count:     29
    .sgpr_spill_count: 0
    .symbol:         _ZN12_GLOBAL__N_120geam_min_plus_kernelIDF16_Dv2_DF16_S1_Li8ELi32ELi64ELi256ELi4ELi4ELi64ELi64ELi4ELc84ELc84ELb0ELb1ELb1EPKDF16_KS3_KPDF16_EEviiiT16_PT17_ilS9_ilS7_S9_ilPT18_ili26rocblas_geam_ex_operation_.kd
    .uniform_work_group_size: 1
    .uses_dynamic_stack: false
    .vgpr_count:     165
    .vgpr_spill_count: 0
    .wavefront_size: 32
    .workgroup_processor_mode: 1
  - .args:
      - .offset:         0
        .size:           4
        .value_kind:     by_value
      - .offset:         4
        .size:           4
        .value_kind:     by_value
      - .offset:         8
        .size:           4
        .value_kind:     by_value
      - .offset:         12
        .size:           2
        .value_kind:     by_value
      - .address_space:  global
        .offset:         16
        .size:           8
        .value_kind:     global_buffer
      - .offset:         24
        .size:           4
        .value_kind:     by_value
      - .offset:         32
        .size:           8
        .value_kind:     by_value
      - .address_space:  global
        .offset:         40
        .size:           8
        .value_kind:     global_buffer
      - .offset:         48
        .size:           4
        .value_kind:     by_value
      - .offset:         56
        .size:           8
        .value_kind:     by_value
      - .offset:         64
        .size:           2
        .value_kind:     by_value
      - .address_space:  global
        .offset:         72
        .size:           8
        .value_kind:     global_buffer
      - .offset:         80
        .size:           4
        .value_kind:     by_value
      - .offset:         88
        .size:           8
        .value_kind:     by_value
      - .address_space:  global
        .offset:         96
        .size:           8
        .value_kind:     global_buffer
      - .offset:         104
        .size:           4
        .value_kind:     by_value
      - .offset:         112
        .size:           8
        .value_kind:     by_value
      - .offset:         120
        .size:           4
        .value_kind:     by_value
      - .offset:         124
        .size:           4
        .value_kind:     by_value
    .group_segment_fixed_size: 5120
    .kernarg_segment_align: 8
    .kernarg_segment_size: 128
    .language:       OpenCL C
    .language_version:
      - 2
      - 0
    .max_flat_workgroup_size: 256
    .name:           _ZN12_GLOBAL__N_120geam_min_plus_kernelIDF16_Dv2_DF16_S1_Li8ELi32ELi64ELi256ELi4ELi4ELi64ELi64ELi4ELc84ELc84ELb1ELb1ELb1EDF16_KPKDF16_KPDF16_EEviiiT16_PT17_ilS9_ilS7_S9_ilPT18_ili26rocblas_geam_ex_operation_
    .private_segment_fixed_size: 0
    .sgpr_count:     31
    .sgpr_spill_count: 0
    .symbol:         _ZN12_GLOBAL__N_120geam_min_plus_kernelIDF16_Dv2_DF16_S1_Li8ELi32ELi64ELi256ELi4ELi4ELi64ELi64ELi4ELc84ELc84ELb1ELb1ELb1EDF16_KPKDF16_KPDF16_EEviiiT16_PT17_ilS9_ilS7_S9_ilPT18_ili26rocblas_geam_ex_operation_.kd
    .uniform_work_group_size: 1
    .uses_dynamic_stack: false
    .vgpr_count:     158
    .vgpr_spill_count: 0
    .wavefront_size: 32
    .workgroup_processor_mode: 1
  - .args:
      - .offset:         0
        .size:           4
        .value_kind:     by_value
      - .offset:         4
        .size:           4
        .value_kind:     by_value
      - .offset:         8
        .size:           4
        .value_kind:     by_value
      - .offset:         12
        .size:           2
        .value_kind:     by_value
      - .address_space:  global
        .offset:         16
        .size:           8
        .value_kind:     global_buffer
      - .offset:         24
        .size:           4
        .value_kind:     by_value
      - .offset:         32
        .size:           8
        .value_kind:     by_value
      - .address_space:  global
        .offset:         40
        .size:           8
        .value_kind:     global_buffer
      - .offset:         48
        .size:           4
        .value_kind:     by_value
      - .offset:         56
        .size:           8
        .value_kind:     by_value
      - .offset:         64
        .size:           2
        .value_kind:     by_value
      - .address_space:  global
        .offset:         72
        .size:           8
        .value_kind:     global_buffer
      - .offset:         80
        .size:           4
        .value_kind:     by_value
      - .offset:         88
        .size:           8
        .value_kind:     by_value
      - .address_space:  global
        .offset:         96
        .size:           8
        .value_kind:     global_buffer
      - .offset:         104
        .size:           4
        .value_kind:     by_value
      - .offset:         112
        .size:           8
        .value_kind:     by_value
      - .offset:         120
        .size:           4
        .value_kind:     by_value
      - .offset:         124
        .size:           4
        .value_kind:     by_value
    .group_segment_fixed_size: 5120
    .kernarg_segment_align: 8
    .kernarg_segment_size: 128
    .language:       OpenCL C
    .language_version:
      - 2
      - 0
    .max_flat_workgroup_size: 256
    .name:           _ZN12_GLOBAL__N_120geam_min_plus_kernelIDF16_Dv2_DF16_S1_Li8ELi32ELi64ELi256ELi4ELi4ELi64ELi64ELi4ELc84ELc84ELb0ELb1ELb1EDF16_KPKDF16_KPDF16_EEviiiT16_PT17_ilS9_ilS7_S9_ilPT18_ili26rocblas_geam_ex_operation_
    .private_segment_fixed_size: 0
    .sgpr_count:     31
    .sgpr_spill_count: 0
    .symbol:         _ZN12_GLOBAL__N_120geam_min_plus_kernelIDF16_Dv2_DF16_S1_Li8ELi32ELi64ELi256ELi4ELi4ELi64ELi64ELi4ELc84ELc84ELb0ELb1ELb1EDF16_KPKDF16_KPDF16_EEviiiT16_PT17_ilS9_ilS7_S9_ilPT18_ili26rocblas_geam_ex_operation_.kd
    .uniform_work_group_size: 1
    .uses_dynamic_stack: false
    .vgpr_count:     163
    .vgpr_spill_count: 0
    .wavefront_size: 32
    .workgroup_processor_mode: 1
  - .args:
      - .offset:         0
        .size:           4
        .value_kind:     by_value
      - .offset:         4
        .size:           4
        .value_kind:     by_value
      - .offset:         8
        .size:           4
        .value_kind:     by_value
      - .address_space:  global
        .offset:         16
        .size:           8
        .value_kind:     global_buffer
      - .address_space:  global
        .offset:         24
        .size:           8
        .value_kind:     global_buffer
      - .offset:         32
        .size:           4
        .value_kind:     by_value
      - .offset:         40
        .size:           8
        .value_kind:     by_value
      - .address_space:  global
        .offset:         48
        .size:           8
        .value_kind:     global_buffer
      - .offset:         56
        .size:           4
        .value_kind:     by_value
      - .offset:         64
        .size:           8
        .value_kind:     by_value
      - .address_space:  global
        .offset:         72
        .size:           8
        .value_kind:     global_buffer
      - .address_space:  global
        .offset:         80
        .size:           8
        .value_kind:     global_buffer
      - .offset:         88
        .size:           4
        .value_kind:     by_value
      - .offset:         96
        .size:           8
        .value_kind:     by_value
      - .address_space:  global
        .offset:         104
        .size:           8
        .value_kind:     global_buffer
      - .offset:         112
        .size:           4
        .value_kind:     by_value
      - .offset:         120
        .size:           8
        .value_kind:     by_value
      - .offset:         128
        .size:           4
        .value_kind:     by_value
      - .offset:         132
        .size:           4
        .value_kind:     by_value
    .group_segment_fixed_size: 3072
    .kernarg_segment_align: 8
    .kernarg_segment_size: 136
    .language:       OpenCL C
    .language_version:
      - 2
      - 0
    .max_flat_workgroup_size: 256
    .name:           _ZN12_GLOBAL__N_120geam_min_plus_kernelIDF16_Dv2_DF16_S1_Li8ELi32ELi64ELi128ELi4ELi64ELi4ELi4ELi64ELc78ELc78ELb0ELb0ELb0EPKDF16_KS3_KPDF16_EEviiiT16_PT17_ilS9_ilS7_S9_ilPT18_ili26rocblas_geam_ex_operation_
    .private_segment_fixed_size: 0
    .sgpr_count:     26
    .sgpr_spill_count: 0
    .symbol:         _ZN12_GLOBAL__N_120geam_min_plus_kernelIDF16_Dv2_DF16_S1_Li8ELi32ELi64ELi128ELi4ELi64ELi4ELi4ELi64ELc78ELc78ELb0ELb0ELb0EPKDF16_KS3_KPDF16_EEviiiT16_PT17_ilS9_ilS7_S9_ilPT18_ili26rocblas_geam_ex_operation_.kd
    .uniform_work_group_size: 1
    .uses_dynamic_stack: false
    .vgpr_count:     125
    .vgpr_spill_count: 0
    .wavefront_size: 32
    .workgroup_processor_mode: 1
  - .args:
      - .offset:         0
        .size:           4
        .value_kind:     by_value
      - .offset:         4
        .size:           4
        .value_kind:     by_value
      - .offset:         8
        .size:           4
        .value_kind:     by_value
      - .offset:         12
        .size:           2
        .value_kind:     by_value
      - .address_space:  global
        .offset:         16
        .size:           8
        .value_kind:     global_buffer
      - .offset:         24
        .size:           4
        .value_kind:     by_value
      - .offset:         32
        .size:           8
        .value_kind:     by_value
      - .address_space:  global
        .offset:         40
        .size:           8
        .value_kind:     global_buffer
      - .offset:         48
        .size:           4
        .value_kind:     by_value
      - .offset:         56
        .size:           8
        .value_kind:     by_value
      - .offset:         64
        .size:           2
        .value_kind:     by_value
      - .address_space:  global
        .offset:         72
        .size:           8
        .value_kind:     global_buffer
      - .offset:         80
        .size:           4
        .value_kind:     by_value
      - .offset:         88
        .size:           8
        .value_kind:     by_value
      - .address_space:  global
        .offset:         96
        .size:           8
        .value_kind:     global_buffer
      - .offset:         104
        .size:           4
        .value_kind:     by_value
      - .offset:         112
        .size:           8
        .value_kind:     by_value
      - .offset:         120
        .size:           4
        .value_kind:     by_value
      - .offset:         124
        .size:           4
        .value_kind:     by_value
    .group_segment_fixed_size: 3072
    .kernarg_segment_align: 8
    .kernarg_segment_size: 128
    .language:       OpenCL C
    .language_version:
      - 2
      - 0
    .max_flat_workgroup_size: 256
    .name:           _ZN12_GLOBAL__N_120geam_min_plus_kernelIDF16_Dv2_DF16_S1_Li8ELi32ELi64ELi128ELi4ELi64ELi4ELi4ELi64ELc78ELc78ELb1ELb0ELb0EDF16_KPKDF16_KPDF16_EEviiiT16_PT17_ilS9_ilS7_S9_ilPT18_ili26rocblas_geam_ex_operation_
    .private_segment_fixed_size: 0
    .sgpr_count:     24
    .sgpr_spill_count: 0
    .symbol:         _ZN12_GLOBAL__N_120geam_min_plus_kernelIDF16_Dv2_DF16_S1_Li8ELi32ELi64ELi128ELi4ELi64ELi4ELi4ELi64ELc78ELc78ELb1ELb0ELb0EDF16_KPKDF16_KPDF16_EEviiiT16_PT17_ilS9_ilS7_S9_ilPT18_ili26rocblas_geam_ex_operation_.kd
    .uniform_work_group_size: 1
    .uses_dynamic_stack: false
    .vgpr_count:     122
    .vgpr_spill_count: 0
    .wavefront_size: 32
    .workgroup_processor_mode: 1
  - .args:
      - .offset:         0
        .size:           4
        .value_kind:     by_value
      - .offset:         4
        .size:           4
        .value_kind:     by_value
      - .offset:         8
        .size:           4
        .value_kind:     by_value
      - .offset:         12
        .size:           2
        .value_kind:     by_value
      - .address_space:  global
        .offset:         16
        .size:           8
        .value_kind:     global_buffer
      - .offset:         24
        .size:           4
        .value_kind:     by_value
      - .offset:         32
        .size:           8
        .value_kind:     by_value
      - .address_space:  global
        .offset:         40
        .size:           8
        .value_kind:     global_buffer
      - .offset:         48
        .size:           4
        .value_kind:     by_value
      - .offset:         56
        .size:           8
        .value_kind:     by_value
      - .offset:         64
        .size:           2
        .value_kind:     by_value
      - .address_space:  global
        .offset:         72
        .size:           8
        .value_kind:     global_buffer
      - .offset:         80
        .size:           4
        .value_kind:     by_value
      - .offset:         88
        .size:           8
        .value_kind:     by_value
      - .address_space:  global
        .offset:         96
        .size:           8
        .value_kind:     global_buffer
      - .offset:         104
        .size:           4
        .value_kind:     by_value
      - .offset:         112
        .size:           8
        .value_kind:     by_value
      - .offset:         120
        .size:           4
        .value_kind:     by_value
      - .offset:         124
        .size:           4
        .value_kind:     by_value
    .group_segment_fixed_size: 3072
    .kernarg_segment_align: 8
    .kernarg_segment_size: 128
    .language:       OpenCL C
    .language_version:
      - 2
      - 0
    .max_flat_workgroup_size: 256
    .name:           _ZN12_GLOBAL__N_120geam_min_plus_kernelIDF16_Dv2_DF16_S1_Li8ELi32ELi64ELi128ELi4ELi64ELi4ELi4ELi64ELc78ELc78ELb0ELb0ELb0EDF16_KPKDF16_KPDF16_EEviiiT16_PT17_ilS9_ilS7_S9_ilPT18_ili26rocblas_geam_ex_operation_
    .private_segment_fixed_size: 0
    .sgpr_count:     26
    .sgpr_spill_count: 0
    .symbol:         _ZN12_GLOBAL__N_120geam_min_plus_kernelIDF16_Dv2_DF16_S1_Li8ELi32ELi64ELi128ELi4ELi64ELi4ELi4ELi64ELc78ELc78ELb0ELb0ELb0EDF16_KPKDF16_KPDF16_EEviiiT16_PT17_ilS9_ilS7_S9_ilPT18_ili26rocblas_geam_ex_operation_.kd
    .uniform_work_group_size: 1
    .uses_dynamic_stack: false
    .vgpr_count:     123
    .vgpr_spill_count: 0
    .wavefront_size: 32
    .workgroup_processor_mode: 1
  - .args:
      - .offset:         0
        .size:           4
        .value_kind:     by_value
      - .offset:         4
        .size:           4
        .value_kind:     by_value
      - .offset:         8
        .size:           4
        .value_kind:     by_value
      - .address_space:  global
        .offset:         16
        .size:           8
        .value_kind:     global_buffer
      - .address_space:  global
        .offset:         24
        .size:           8
        .value_kind:     global_buffer
      - .offset:         32
        .size:           4
        .value_kind:     by_value
      - .offset:         40
        .size:           8
        .value_kind:     by_value
      - .address_space:  global
        .offset:         48
        .size:           8
        .value_kind:     global_buffer
      - .offset:         56
        .size:           4
        .value_kind:     by_value
      - .offset:         64
        .size:           8
        .value_kind:     by_value
      - .address_space:  global
        .offset:         72
        .size:           8
        .value_kind:     global_buffer
      - .address_space:  global
        .offset:         80
        .size:           8
        .value_kind:     global_buffer
      - .offset:         88
        .size:           4
        .value_kind:     by_value
      - .offset:         96
        .size:           8
        .value_kind:     by_value
      - .address_space:  global
        .offset:         104
        .size:           8
        .value_kind:     global_buffer
      - .offset:         112
        .size:           4
        .value_kind:     by_value
      - .offset:         120
        .size:           8
        .value_kind:     by_value
      - .offset:         128
        .size:           4
        .value_kind:     by_value
      - .offset:         132
        .size:           4
        .value_kind:     by_value
    .group_segment_fixed_size: 3072
    .kernarg_segment_align: 8
    .kernarg_segment_size: 136
    .language:       OpenCL C
    .language_version:
      - 2
      - 0
    .max_flat_workgroup_size: 256
    .name:           _ZN12_GLOBAL__N_120geam_min_plus_kernelIDF16_Dv2_DF16_S1_Li8ELi32ELi64ELi128ELi4ELi64ELi4ELi4ELi64ELc78ELc78ELb0ELb1ELb0EPKDF16_KS3_KPDF16_EEviiiT16_PT17_ilS9_ilS7_S9_ilPT18_ili26rocblas_geam_ex_operation_
    .private_segment_fixed_size: 0
    .sgpr_count:     28
    .sgpr_spill_count: 0
    .symbol:         _ZN12_GLOBAL__N_120geam_min_plus_kernelIDF16_Dv2_DF16_S1_Li8ELi32ELi64ELi128ELi4ELi64ELi4ELi4ELi64ELc78ELc78ELb0ELb1ELb0EPKDF16_KS3_KPDF16_EEviiiT16_PT17_ilS9_ilS7_S9_ilPT18_ili26rocblas_geam_ex_operation_.kd
    .uniform_work_group_size: 1
    .uses_dynamic_stack: false
    .vgpr_count:     130
    .vgpr_spill_count: 0
    .wavefront_size: 32
    .workgroup_processor_mode: 1
  - .args:
      - .offset:         0
        .size:           4
        .value_kind:     by_value
      - .offset:         4
        .size:           4
        .value_kind:     by_value
      - .offset:         8
        .size:           4
        .value_kind:     by_value
      - .offset:         12
        .size:           2
        .value_kind:     by_value
      - .address_space:  global
        .offset:         16
        .size:           8
        .value_kind:     global_buffer
      - .offset:         24
        .size:           4
        .value_kind:     by_value
      - .offset:         32
        .size:           8
        .value_kind:     by_value
      - .address_space:  global
        .offset:         40
        .size:           8
        .value_kind:     global_buffer
      - .offset:         48
        .size:           4
        .value_kind:     by_value
      - .offset:         56
        .size:           8
        .value_kind:     by_value
      - .offset:         64
        .size:           2
        .value_kind:     by_value
      - .address_space:  global
        .offset:         72
        .size:           8
        .value_kind:     global_buffer
      - .offset:         80
        .size:           4
        .value_kind:     by_value
      - .offset:         88
        .size:           8
        .value_kind:     by_value
      - .address_space:  global
        .offset:         96
        .size:           8
        .value_kind:     global_buffer
      - .offset:         104
        .size:           4
        .value_kind:     by_value
      - .offset:         112
        .size:           8
        .value_kind:     by_value
      - .offset:         120
        .size:           4
        .value_kind:     by_value
      - .offset:         124
        .size:           4
        .value_kind:     by_value
    .group_segment_fixed_size: 3072
    .kernarg_segment_align: 8
    .kernarg_segment_size: 128
    .language:       OpenCL C
    .language_version:
      - 2
      - 0
    .max_flat_workgroup_size: 256
    .name:           _ZN12_GLOBAL__N_120geam_min_plus_kernelIDF16_Dv2_DF16_S1_Li8ELi32ELi64ELi128ELi4ELi64ELi4ELi4ELi64ELc78ELc78ELb1ELb1ELb0EDF16_KPKDF16_KPDF16_EEviiiT16_PT17_ilS9_ilS7_S9_ilPT18_ili26rocblas_geam_ex_operation_
    .private_segment_fixed_size: 0
    .sgpr_count:     27
    .sgpr_spill_count: 0
    .symbol:         _ZN12_GLOBAL__N_120geam_min_plus_kernelIDF16_Dv2_DF16_S1_Li8ELi32ELi64ELi128ELi4ELi64ELi4ELi4ELi64ELc78ELc78ELb1ELb1ELb0EDF16_KPKDF16_KPDF16_EEviiiT16_PT17_ilS9_ilS7_S9_ilPT18_ili26rocblas_geam_ex_operation_.kd
    .uniform_work_group_size: 1
    .uses_dynamic_stack: false
    .vgpr_count:     125
    .vgpr_spill_count: 0
    .wavefront_size: 32
    .workgroup_processor_mode: 1
  - .args:
      - .offset:         0
        .size:           4
        .value_kind:     by_value
      - .offset:         4
        .size:           4
        .value_kind:     by_value
      - .offset:         8
        .size:           4
        .value_kind:     by_value
      - .offset:         12
        .size:           2
        .value_kind:     by_value
      - .address_space:  global
        .offset:         16
        .size:           8
        .value_kind:     global_buffer
      - .offset:         24
        .size:           4
        .value_kind:     by_value
      - .offset:         32
        .size:           8
        .value_kind:     by_value
      - .address_space:  global
        .offset:         40
        .size:           8
        .value_kind:     global_buffer
      - .offset:         48
        .size:           4
        .value_kind:     by_value
      - .offset:         56
        .size:           8
        .value_kind:     by_value
      - .offset:         64
        .size:           2
        .value_kind:     by_value
      - .address_space:  global
        .offset:         72
        .size:           8
        .value_kind:     global_buffer
      - .offset:         80
        .size:           4
        .value_kind:     by_value
      - .offset:         88
        .size:           8
        .value_kind:     by_value
      - .address_space:  global
        .offset:         96
        .size:           8
        .value_kind:     global_buffer
      - .offset:         104
        .size:           4
        .value_kind:     by_value
      - .offset:         112
        .size:           8
        .value_kind:     by_value
      - .offset:         120
        .size:           4
        .value_kind:     by_value
      - .offset:         124
        .size:           4
        .value_kind:     by_value
    .group_segment_fixed_size: 3072
    .kernarg_segment_align: 8
    .kernarg_segment_size: 128
    .language:       OpenCL C
    .language_version:
      - 2
      - 0
    .max_flat_workgroup_size: 256
    .name:           _ZN12_GLOBAL__N_120geam_min_plus_kernelIDF16_Dv2_DF16_S1_Li8ELi32ELi64ELi128ELi4ELi64ELi4ELi4ELi64ELc78ELc78ELb0ELb1ELb0EDF16_KPKDF16_KPDF16_EEviiiT16_PT17_ilS9_ilS7_S9_ilPT18_ili26rocblas_geam_ex_operation_
    .private_segment_fixed_size: 0
    .sgpr_count:     31
    .sgpr_spill_count: 0
    .symbol:         _ZN12_GLOBAL__N_120geam_min_plus_kernelIDF16_Dv2_DF16_S1_Li8ELi32ELi64ELi128ELi4ELi64ELi4ELi4ELi64ELc78ELc78ELb0ELb1ELb0EDF16_KPKDF16_KPDF16_EEviiiT16_PT17_ilS9_ilS7_S9_ilPT18_ili26rocblas_geam_ex_operation_.kd
    .uniform_work_group_size: 1
    .uses_dynamic_stack: false
    .vgpr_count:     128
    .vgpr_spill_count: 0
    .wavefront_size: 32
    .workgroup_processor_mode: 1
  - .args:
      - .offset:         0
        .size:           4
        .value_kind:     by_value
      - .offset:         4
        .size:           4
        .value_kind:     by_value
      - .offset:         8
        .size:           4
        .value_kind:     by_value
      - .address_space:  global
        .offset:         16
        .size:           8
        .value_kind:     global_buffer
      - .address_space:  global
        .offset:         24
        .size:           8
        .value_kind:     global_buffer
      - .offset:         32
        .size:           4
        .value_kind:     by_value
      - .offset:         40
        .size:           8
        .value_kind:     by_value
      - .address_space:  global
        .offset:         48
        .size:           8
        .value_kind:     global_buffer
      - .offset:         56
        .size:           4
        .value_kind:     by_value
      - .offset:         64
        .size:           8
        .value_kind:     by_value
      - .address_space:  global
        .offset:         72
        .size:           8
        .value_kind:     global_buffer
      - .address_space:  global
        .offset:         80
        .size:           8
        .value_kind:     global_buffer
      - .offset:         88
        .size:           4
        .value_kind:     by_value
      - .offset:         96
        .size:           8
        .value_kind:     by_value
      - .address_space:  global
        .offset:         104
        .size:           8
        .value_kind:     global_buffer
      - .offset:         112
        .size:           4
        .value_kind:     by_value
      - .offset:         120
        .size:           8
        .value_kind:     by_value
      - .offset:         128
        .size:           4
        .value_kind:     by_value
      - .offset:         132
        .size:           4
        .value_kind:     by_value
    .group_segment_fixed_size: 3072
    .kernarg_segment_align: 8
    .kernarg_segment_size: 136
    .language:       OpenCL C
    .language_version:
      - 2
      - 0
    .max_flat_workgroup_size: 256
    .name:           _ZN12_GLOBAL__N_120geam_min_plus_kernelIDF16_Dv2_DF16_S1_Li8ELi32ELi64ELi128ELi4ELi4ELi64ELi4ELi64ELc84ELc78ELb0ELb0ELb0EPKDF16_KS3_KPDF16_EEviiiT16_PT17_ilS9_ilS7_S9_ilPT18_ili26rocblas_geam_ex_operation_
    .private_segment_fixed_size: 0
    .sgpr_count:     26
    .sgpr_spill_count: 0
    .symbol:         _ZN12_GLOBAL__N_120geam_min_plus_kernelIDF16_Dv2_DF16_S1_Li8ELi32ELi64ELi128ELi4ELi4ELi64ELi4ELi64ELc84ELc78ELb0ELb0ELb0EPKDF16_KS3_KPDF16_EEviiiT16_PT17_ilS9_ilS7_S9_ilPT18_ili26rocblas_geam_ex_operation_.kd
    .uniform_work_group_size: 1
    .uses_dynamic_stack: false
    .vgpr_count:     121
    .vgpr_spill_count: 0
    .wavefront_size: 32
    .workgroup_processor_mode: 1
  - .args:
      - .offset:         0
        .size:           4
        .value_kind:     by_value
      - .offset:         4
        .size:           4
        .value_kind:     by_value
      - .offset:         8
        .size:           4
        .value_kind:     by_value
      - .offset:         12
        .size:           2
        .value_kind:     by_value
      - .address_space:  global
        .offset:         16
        .size:           8
        .value_kind:     global_buffer
      - .offset:         24
        .size:           4
        .value_kind:     by_value
      - .offset:         32
        .size:           8
        .value_kind:     by_value
      - .address_space:  global
        .offset:         40
        .size:           8
        .value_kind:     global_buffer
      - .offset:         48
        .size:           4
        .value_kind:     by_value
      - .offset:         56
        .size:           8
        .value_kind:     by_value
      - .offset:         64
        .size:           2
        .value_kind:     by_value
      - .address_space:  global
        .offset:         72
        .size:           8
        .value_kind:     global_buffer
      - .offset:         80
        .size:           4
        .value_kind:     by_value
      - .offset:         88
        .size:           8
        .value_kind:     by_value
      - .address_space:  global
        .offset:         96
        .size:           8
        .value_kind:     global_buffer
      - .offset:         104
        .size:           4
        .value_kind:     by_value
      - .offset:         112
        .size:           8
        .value_kind:     by_value
      - .offset:         120
        .size:           4
        .value_kind:     by_value
      - .offset:         124
        .size:           4
        .value_kind:     by_value
    .group_segment_fixed_size: 3072
    .kernarg_segment_align: 8
    .kernarg_segment_size: 128
    .language:       OpenCL C
    .language_version:
      - 2
      - 0
    .max_flat_workgroup_size: 256
    .name:           _ZN12_GLOBAL__N_120geam_min_plus_kernelIDF16_Dv2_DF16_S1_Li8ELi32ELi64ELi128ELi4ELi4ELi64ELi4ELi64ELc84ELc78ELb1ELb0ELb0EDF16_KPKDF16_KPDF16_EEviiiT16_PT17_ilS9_ilS7_S9_ilPT18_ili26rocblas_geam_ex_operation_
    .private_segment_fixed_size: 0
    .sgpr_count:     24
    .sgpr_spill_count: 0
    .symbol:         _ZN12_GLOBAL__N_120geam_min_plus_kernelIDF16_Dv2_DF16_S1_Li8ELi32ELi64ELi128ELi4ELi4ELi64ELi4ELi64ELc84ELc78ELb1ELb0ELb0EDF16_KPKDF16_KPDF16_EEviiiT16_PT17_ilS9_ilS7_S9_ilPT18_ili26rocblas_geam_ex_operation_.kd
    .uniform_work_group_size: 1
    .uses_dynamic_stack: false
    .vgpr_count:     118
    .vgpr_spill_count: 0
    .wavefront_size: 32
    .workgroup_processor_mode: 1
  - .args:
      - .offset:         0
        .size:           4
        .value_kind:     by_value
      - .offset:         4
        .size:           4
        .value_kind:     by_value
      - .offset:         8
        .size:           4
        .value_kind:     by_value
      - .offset:         12
        .size:           2
        .value_kind:     by_value
      - .address_space:  global
        .offset:         16
        .size:           8
        .value_kind:     global_buffer
      - .offset:         24
        .size:           4
        .value_kind:     by_value
      - .offset:         32
        .size:           8
        .value_kind:     by_value
      - .address_space:  global
        .offset:         40
        .size:           8
        .value_kind:     global_buffer
      - .offset:         48
        .size:           4
        .value_kind:     by_value
      - .offset:         56
        .size:           8
        .value_kind:     by_value
      - .offset:         64
        .size:           2
        .value_kind:     by_value
      - .address_space:  global
        .offset:         72
        .size:           8
        .value_kind:     global_buffer
      - .offset:         80
        .size:           4
        .value_kind:     by_value
      - .offset:         88
        .size:           8
        .value_kind:     by_value
      - .address_space:  global
        .offset:         96
        .size:           8
        .value_kind:     global_buffer
      - .offset:         104
        .size:           4
        .value_kind:     by_value
      - .offset:         112
        .size:           8
        .value_kind:     by_value
      - .offset:         120
        .size:           4
        .value_kind:     by_value
      - .offset:         124
        .size:           4
        .value_kind:     by_value
    .group_segment_fixed_size: 3072
    .kernarg_segment_align: 8
    .kernarg_segment_size: 128
    .language:       OpenCL C
    .language_version:
      - 2
      - 0
    .max_flat_workgroup_size: 256
    .name:           _ZN12_GLOBAL__N_120geam_min_plus_kernelIDF16_Dv2_DF16_S1_Li8ELi32ELi64ELi128ELi4ELi4ELi64ELi4ELi64ELc84ELc78ELb0ELb0ELb0EDF16_KPKDF16_KPDF16_EEviiiT16_PT17_ilS9_ilS7_S9_ilPT18_ili26rocblas_geam_ex_operation_
    .private_segment_fixed_size: 0
    .sgpr_count:     26
    .sgpr_spill_count: 0
    .symbol:         _ZN12_GLOBAL__N_120geam_min_plus_kernelIDF16_Dv2_DF16_S1_Li8ELi32ELi64ELi128ELi4ELi4ELi64ELi4ELi64ELc84ELc78ELb0ELb0ELb0EDF16_KPKDF16_KPDF16_EEviiiT16_PT17_ilS9_ilS7_S9_ilPT18_ili26rocblas_geam_ex_operation_.kd
    .uniform_work_group_size: 1
    .uses_dynamic_stack: false
    .vgpr_count:     119
    .vgpr_spill_count: 0
    .wavefront_size: 32
    .workgroup_processor_mode: 1
  - .args:
      - .offset:         0
        .size:           4
        .value_kind:     by_value
      - .offset:         4
        .size:           4
        .value_kind:     by_value
      - .offset:         8
        .size:           4
        .value_kind:     by_value
      - .address_space:  global
        .offset:         16
        .size:           8
        .value_kind:     global_buffer
      - .address_space:  global
        .offset:         24
        .size:           8
        .value_kind:     global_buffer
      - .offset:         32
        .size:           4
        .value_kind:     by_value
      - .offset:         40
        .size:           8
        .value_kind:     by_value
      - .address_space:  global
        .offset:         48
        .size:           8
        .value_kind:     global_buffer
      - .offset:         56
        .size:           4
        .value_kind:     by_value
      - .offset:         64
        .size:           8
        .value_kind:     by_value
      - .address_space:  global
        .offset:         72
        .size:           8
        .value_kind:     global_buffer
      - .address_space:  global
        .offset:         80
        .size:           8
        .value_kind:     global_buffer
      - .offset:         88
        .size:           4
        .value_kind:     by_value
      - .offset:         96
        .size:           8
        .value_kind:     by_value
      - .address_space:  global
        .offset:         104
        .size:           8
        .value_kind:     global_buffer
      - .offset:         112
        .size:           4
        .value_kind:     by_value
      - .offset:         120
        .size:           8
        .value_kind:     by_value
      - .offset:         128
        .size:           4
        .value_kind:     by_value
      - .offset:         132
        .size:           4
        .value_kind:     by_value
    .group_segment_fixed_size: 3072
    .kernarg_segment_align: 8
    .kernarg_segment_size: 136
    .language:       OpenCL C
    .language_version:
      - 2
      - 0
    .max_flat_workgroup_size: 256
    .name:           _ZN12_GLOBAL__N_120geam_min_plus_kernelIDF16_Dv2_DF16_S1_Li8ELi32ELi64ELi128ELi4ELi4ELi64ELi4ELi64ELc84ELc78ELb0ELb1ELb0EPKDF16_KS3_KPDF16_EEviiiT16_PT17_ilS9_ilS7_S9_ilPT18_ili26rocblas_geam_ex_operation_
    .private_segment_fixed_size: 0
    .sgpr_count:     29
    .sgpr_spill_count: 0
    .symbol:         _ZN12_GLOBAL__N_120geam_min_plus_kernelIDF16_Dv2_DF16_S1_Li8ELi32ELi64ELi128ELi4ELi4ELi64ELi4ELi64ELc84ELc78ELb0ELb1ELb0EPKDF16_KS3_KPDF16_EEviiiT16_PT17_ilS9_ilS7_S9_ilPT18_ili26rocblas_geam_ex_operation_.kd
    .uniform_work_group_size: 1
    .uses_dynamic_stack: false
    .vgpr_count:     123
    .vgpr_spill_count: 0
    .wavefront_size: 32
    .workgroup_processor_mode: 1
  - .args:
      - .offset:         0
        .size:           4
        .value_kind:     by_value
      - .offset:         4
        .size:           4
        .value_kind:     by_value
      - .offset:         8
        .size:           4
        .value_kind:     by_value
      - .offset:         12
        .size:           2
        .value_kind:     by_value
      - .address_space:  global
        .offset:         16
        .size:           8
        .value_kind:     global_buffer
      - .offset:         24
        .size:           4
        .value_kind:     by_value
      - .offset:         32
        .size:           8
        .value_kind:     by_value
      - .address_space:  global
        .offset:         40
        .size:           8
        .value_kind:     global_buffer
      - .offset:         48
        .size:           4
        .value_kind:     by_value
      - .offset:         56
        .size:           8
        .value_kind:     by_value
      - .offset:         64
        .size:           2
        .value_kind:     by_value
      - .address_space:  global
        .offset:         72
        .size:           8
        .value_kind:     global_buffer
      - .offset:         80
        .size:           4
        .value_kind:     by_value
      - .offset:         88
        .size:           8
        .value_kind:     by_value
      - .address_space:  global
        .offset:         96
        .size:           8
        .value_kind:     global_buffer
      - .offset:         104
        .size:           4
        .value_kind:     by_value
      - .offset:         112
        .size:           8
        .value_kind:     by_value
      - .offset:         120
        .size:           4
        .value_kind:     by_value
      - .offset:         124
        .size:           4
        .value_kind:     by_value
    .group_segment_fixed_size: 3072
    .kernarg_segment_align: 8
    .kernarg_segment_size: 128
    .language:       OpenCL C
    .language_version:
      - 2
      - 0
    .max_flat_workgroup_size: 256
    .name:           _ZN12_GLOBAL__N_120geam_min_plus_kernelIDF16_Dv2_DF16_S1_Li8ELi32ELi64ELi128ELi4ELi4ELi64ELi4ELi64ELc84ELc78ELb1ELb1ELb0EDF16_KPKDF16_KPDF16_EEviiiT16_PT17_ilS9_ilS7_S9_ilPT18_ili26rocblas_geam_ex_operation_
    .private_segment_fixed_size: 0
    .sgpr_count:     28
    .sgpr_spill_count: 0
    .symbol:         _ZN12_GLOBAL__N_120geam_min_plus_kernelIDF16_Dv2_DF16_S1_Li8ELi32ELi64ELi128ELi4ELi4ELi64ELi4ELi64ELc84ELc78ELb1ELb1ELb0EDF16_KPKDF16_KPDF16_EEviiiT16_PT17_ilS9_ilS7_S9_ilPT18_ili26rocblas_geam_ex_operation_.kd
    .uniform_work_group_size: 1
    .uses_dynamic_stack: false
    .vgpr_count:     120
    .vgpr_spill_count: 0
    .wavefront_size: 32
    .workgroup_processor_mode: 1
  - .args:
      - .offset:         0
        .size:           4
        .value_kind:     by_value
      - .offset:         4
        .size:           4
        .value_kind:     by_value
      - .offset:         8
        .size:           4
        .value_kind:     by_value
      - .offset:         12
        .size:           2
        .value_kind:     by_value
      - .address_space:  global
        .offset:         16
        .size:           8
        .value_kind:     global_buffer
      - .offset:         24
        .size:           4
        .value_kind:     by_value
      - .offset:         32
        .size:           8
        .value_kind:     by_value
      - .address_space:  global
        .offset:         40
        .size:           8
        .value_kind:     global_buffer
      - .offset:         48
        .size:           4
        .value_kind:     by_value
      - .offset:         56
        .size:           8
        .value_kind:     by_value
      - .offset:         64
        .size:           2
        .value_kind:     by_value
      - .address_space:  global
        .offset:         72
        .size:           8
        .value_kind:     global_buffer
      - .offset:         80
        .size:           4
        .value_kind:     by_value
      - .offset:         88
        .size:           8
        .value_kind:     by_value
      - .address_space:  global
        .offset:         96
        .size:           8
        .value_kind:     global_buffer
      - .offset:         104
        .size:           4
        .value_kind:     by_value
      - .offset:         112
        .size:           8
        .value_kind:     by_value
      - .offset:         120
        .size:           4
        .value_kind:     by_value
      - .offset:         124
        .size:           4
        .value_kind:     by_value
    .group_segment_fixed_size: 3072
    .kernarg_segment_align: 8
    .kernarg_segment_size: 128
    .language:       OpenCL C
    .language_version:
      - 2
      - 0
    .max_flat_workgroup_size: 256
    .name:           _ZN12_GLOBAL__N_120geam_min_plus_kernelIDF16_Dv2_DF16_S1_Li8ELi32ELi64ELi128ELi4ELi4ELi64ELi4ELi64ELc84ELc78ELb0ELb1ELb0EDF16_KPKDF16_KPDF16_EEviiiT16_PT17_ilS9_ilS7_S9_ilPT18_ili26rocblas_geam_ex_operation_
    .private_segment_fixed_size: 0
    .sgpr_count:     31
    .sgpr_spill_count: 0
    .symbol:         _ZN12_GLOBAL__N_120geam_min_plus_kernelIDF16_Dv2_DF16_S1_Li8ELi32ELi64ELi128ELi4ELi4ELi64ELi4ELi64ELc84ELc78ELb0ELb1ELb0EDF16_KPKDF16_KPDF16_EEviiiT16_PT17_ilS9_ilS7_S9_ilPT18_ili26rocblas_geam_ex_operation_.kd
    .uniform_work_group_size: 1
    .uses_dynamic_stack: false
    .vgpr_count:     121
    .vgpr_spill_count: 0
    .wavefront_size: 32
    .workgroup_processor_mode: 1
  - .args:
      - .offset:         0
        .size:           4
        .value_kind:     by_value
      - .offset:         4
        .size:           4
        .value_kind:     by_value
      - .offset:         8
        .size:           4
        .value_kind:     by_value
      - .address_space:  global
        .offset:         16
        .size:           8
        .value_kind:     global_buffer
      - .address_space:  global
        .offset:         24
        .size:           8
        .value_kind:     global_buffer
      - .offset:         32
        .size:           4
        .value_kind:     by_value
      - .offset:         40
        .size:           8
        .value_kind:     by_value
      - .address_space:  global
        .offset:         48
        .size:           8
        .value_kind:     global_buffer
      - .offset:         56
        .size:           4
        .value_kind:     by_value
      - .offset:         64
        .size:           8
        .value_kind:     by_value
      - .address_space:  global
        .offset:         72
        .size:           8
        .value_kind:     global_buffer
      - .address_space:  global
        .offset:         80
        .size:           8
        .value_kind:     global_buffer
      - .offset:         88
        .size:           4
        .value_kind:     by_value
      - .offset:         96
        .size:           8
        .value_kind:     by_value
      - .address_space:  global
        .offset:         104
        .size:           8
        .value_kind:     global_buffer
      - .offset:         112
        .size:           4
        .value_kind:     by_value
      - .offset:         120
        .size:           8
        .value_kind:     by_value
      - .offset:         128
        .size:           4
        .value_kind:     by_value
      - .offset:         132
        .size:           4
        .value_kind:     by_value
    .group_segment_fixed_size: 3072
    .kernarg_segment_align: 8
    .kernarg_segment_size: 136
    .language:       OpenCL C
    .language_version:
      - 2
      - 0
    .max_flat_workgroup_size: 256
    .name:           _ZN12_GLOBAL__N_120geam_min_plus_kernelIDF16_Dv2_DF16_S1_Li8ELi32ELi64ELi128ELi4ELi64ELi4ELi64ELi4ELc78ELc84ELb0ELb0ELb0EPKDF16_KS3_KPDF16_EEviiiT16_PT17_ilS9_ilS7_S9_ilPT18_ili26rocblas_geam_ex_operation_
    .private_segment_fixed_size: 0
    .sgpr_count:     26
    .sgpr_spill_count: 0
    .symbol:         _ZN12_GLOBAL__N_120geam_min_plus_kernelIDF16_Dv2_DF16_S1_Li8ELi32ELi64ELi128ELi4ELi64ELi4ELi64ELi4ELc78ELc84ELb0ELb0ELb0EPKDF16_KS3_KPDF16_EEviiiT16_PT17_ilS9_ilS7_S9_ilPT18_ili26rocblas_geam_ex_operation_.kd
    .uniform_work_group_size: 1
    .uses_dynamic_stack: false
    .vgpr_count:     126
    .vgpr_spill_count: 0
    .wavefront_size: 32
    .workgroup_processor_mode: 1
  - .args:
      - .offset:         0
        .size:           4
        .value_kind:     by_value
      - .offset:         4
        .size:           4
        .value_kind:     by_value
      - .offset:         8
        .size:           4
        .value_kind:     by_value
      - .offset:         12
        .size:           2
        .value_kind:     by_value
      - .address_space:  global
        .offset:         16
        .size:           8
        .value_kind:     global_buffer
      - .offset:         24
        .size:           4
        .value_kind:     by_value
      - .offset:         32
        .size:           8
        .value_kind:     by_value
      - .address_space:  global
        .offset:         40
        .size:           8
        .value_kind:     global_buffer
      - .offset:         48
        .size:           4
        .value_kind:     by_value
      - .offset:         56
        .size:           8
        .value_kind:     by_value
      - .offset:         64
        .size:           2
        .value_kind:     by_value
      - .address_space:  global
        .offset:         72
        .size:           8
        .value_kind:     global_buffer
      - .offset:         80
        .size:           4
        .value_kind:     by_value
      - .offset:         88
        .size:           8
        .value_kind:     by_value
      - .address_space:  global
        .offset:         96
        .size:           8
        .value_kind:     global_buffer
      - .offset:         104
        .size:           4
        .value_kind:     by_value
      - .offset:         112
        .size:           8
        .value_kind:     by_value
      - .offset:         120
        .size:           4
        .value_kind:     by_value
      - .offset:         124
        .size:           4
        .value_kind:     by_value
    .group_segment_fixed_size: 3072
    .kernarg_segment_align: 8
    .kernarg_segment_size: 128
    .language:       OpenCL C
    .language_version:
      - 2
      - 0
    .max_flat_workgroup_size: 256
    .name:           _ZN12_GLOBAL__N_120geam_min_plus_kernelIDF16_Dv2_DF16_S1_Li8ELi32ELi64ELi128ELi4ELi64ELi4ELi64ELi4ELc78ELc84ELb1ELb0ELb0EDF16_KPKDF16_KPDF16_EEviiiT16_PT17_ilS9_ilS7_S9_ilPT18_ili26rocblas_geam_ex_operation_
    .private_segment_fixed_size: 0
    .sgpr_count:     24
    .sgpr_spill_count: 0
    .symbol:         _ZN12_GLOBAL__N_120geam_min_plus_kernelIDF16_Dv2_DF16_S1_Li8ELi32ELi64ELi128ELi4ELi64ELi4ELi64ELi4ELc78ELc84ELb1ELb0ELb0EDF16_KPKDF16_KPDF16_EEviiiT16_PT17_ilS9_ilS7_S9_ilPT18_ili26rocblas_geam_ex_operation_.kd
    .uniform_work_group_size: 1
    .uses_dynamic_stack: false
    .vgpr_count:     123
    .vgpr_spill_count: 0
    .wavefront_size: 32
    .workgroup_processor_mode: 1
  - .args:
      - .offset:         0
        .size:           4
        .value_kind:     by_value
      - .offset:         4
        .size:           4
        .value_kind:     by_value
      - .offset:         8
        .size:           4
        .value_kind:     by_value
      - .offset:         12
        .size:           2
        .value_kind:     by_value
      - .address_space:  global
        .offset:         16
        .size:           8
        .value_kind:     global_buffer
      - .offset:         24
        .size:           4
        .value_kind:     by_value
      - .offset:         32
        .size:           8
        .value_kind:     by_value
      - .address_space:  global
        .offset:         40
        .size:           8
        .value_kind:     global_buffer
      - .offset:         48
        .size:           4
        .value_kind:     by_value
      - .offset:         56
        .size:           8
        .value_kind:     by_value
      - .offset:         64
        .size:           2
        .value_kind:     by_value
      - .address_space:  global
        .offset:         72
        .size:           8
        .value_kind:     global_buffer
      - .offset:         80
        .size:           4
        .value_kind:     by_value
      - .offset:         88
        .size:           8
        .value_kind:     by_value
      - .address_space:  global
        .offset:         96
        .size:           8
        .value_kind:     global_buffer
      - .offset:         104
        .size:           4
        .value_kind:     by_value
      - .offset:         112
        .size:           8
        .value_kind:     by_value
      - .offset:         120
        .size:           4
        .value_kind:     by_value
      - .offset:         124
        .size:           4
        .value_kind:     by_value
    .group_segment_fixed_size: 3072
    .kernarg_segment_align: 8
    .kernarg_segment_size: 128
    .language:       OpenCL C
    .language_version:
      - 2
      - 0
    .max_flat_workgroup_size: 256
    .name:           _ZN12_GLOBAL__N_120geam_min_plus_kernelIDF16_Dv2_DF16_S1_Li8ELi32ELi64ELi128ELi4ELi64ELi4ELi64ELi4ELc78ELc84ELb0ELb0ELb0EDF16_KPKDF16_KPDF16_EEviiiT16_PT17_ilS9_ilS7_S9_ilPT18_ili26rocblas_geam_ex_operation_
    .private_segment_fixed_size: 0
    .sgpr_count:     26
    .sgpr_spill_count: 0
    .symbol:         _ZN12_GLOBAL__N_120geam_min_plus_kernelIDF16_Dv2_DF16_S1_Li8ELi32ELi64ELi128ELi4ELi64ELi4ELi64ELi4ELc78ELc84ELb0ELb0ELb0EDF16_KPKDF16_KPDF16_EEviiiT16_PT17_ilS9_ilS7_S9_ilPT18_ili26rocblas_geam_ex_operation_.kd
    .uniform_work_group_size: 1
    .uses_dynamic_stack: false
    .vgpr_count:     124
    .vgpr_spill_count: 0
    .wavefront_size: 32
    .workgroup_processor_mode: 1
  - .args:
      - .offset:         0
        .size:           4
        .value_kind:     by_value
      - .offset:         4
        .size:           4
        .value_kind:     by_value
      - .offset:         8
        .size:           4
        .value_kind:     by_value
      - .address_space:  global
        .offset:         16
        .size:           8
        .value_kind:     global_buffer
      - .address_space:  global
        .offset:         24
        .size:           8
        .value_kind:     global_buffer
      - .offset:         32
        .size:           4
        .value_kind:     by_value
      - .offset:         40
        .size:           8
        .value_kind:     by_value
      - .address_space:  global
        .offset:         48
        .size:           8
        .value_kind:     global_buffer
      - .offset:         56
        .size:           4
        .value_kind:     by_value
      - .offset:         64
        .size:           8
        .value_kind:     by_value
      - .address_space:  global
        .offset:         72
        .size:           8
        .value_kind:     global_buffer
      - .address_space:  global
        .offset:         80
        .size:           8
        .value_kind:     global_buffer
      - .offset:         88
        .size:           4
        .value_kind:     by_value
      - .offset:         96
        .size:           8
        .value_kind:     by_value
      - .address_space:  global
        .offset:         104
        .size:           8
        .value_kind:     global_buffer
      - .offset:         112
        .size:           4
        .value_kind:     by_value
      - .offset:         120
        .size:           8
        .value_kind:     by_value
      - .offset:         128
        .size:           4
        .value_kind:     by_value
      - .offset:         132
        .size:           4
        .value_kind:     by_value
    .group_segment_fixed_size: 3072
    .kernarg_segment_align: 8
    .kernarg_segment_size: 136
    .language:       OpenCL C
    .language_version:
      - 2
      - 0
    .max_flat_workgroup_size: 256
    .name:           _ZN12_GLOBAL__N_120geam_min_plus_kernelIDF16_Dv2_DF16_S1_Li8ELi32ELi64ELi128ELi4ELi64ELi4ELi64ELi4ELc78ELc84ELb0ELb1ELb0EPKDF16_KS3_KPDF16_EEviiiT16_PT17_ilS9_ilS7_S9_ilPT18_ili26rocblas_geam_ex_operation_
    .private_segment_fixed_size: 0
    .sgpr_count:     29
    .sgpr_spill_count: 0
    .symbol:         _ZN12_GLOBAL__N_120geam_min_plus_kernelIDF16_Dv2_DF16_S1_Li8ELi32ELi64ELi128ELi4ELi64ELi4ELi64ELi4ELc78ELc84ELb0ELb1ELb0EPKDF16_KS3_KPDF16_EEviiiT16_PT17_ilS9_ilS7_S9_ilPT18_ili26rocblas_geam_ex_operation_.kd
    .uniform_work_group_size: 1
    .uses_dynamic_stack: false
    .vgpr_count:     127
    .vgpr_spill_count: 0
    .wavefront_size: 32
    .workgroup_processor_mode: 1
  - .args:
      - .offset:         0
        .size:           4
        .value_kind:     by_value
      - .offset:         4
        .size:           4
        .value_kind:     by_value
      - .offset:         8
        .size:           4
        .value_kind:     by_value
      - .offset:         12
        .size:           2
        .value_kind:     by_value
      - .address_space:  global
        .offset:         16
        .size:           8
        .value_kind:     global_buffer
      - .offset:         24
        .size:           4
        .value_kind:     by_value
      - .offset:         32
        .size:           8
        .value_kind:     by_value
      - .address_space:  global
        .offset:         40
        .size:           8
        .value_kind:     global_buffer
      - .offset:         48
        .size:           4
        .value_kind:     by_value
      - .offset:         56
        .size:           8
        .value_kind:     by_value
      - .offset:         64
        .size:           2
        .value_kind:     by_value
      - .address_space:  global
        .offset:         72
        .size:           8
        .value_kind:     global_buffer
      - .offset:         80
        .size:           4
        .value_kind:     by_value
      - .offset:         88
        .size:           8
        .value_kind:     by_value
      - .address_space:  global
        .offset:         96
        .size:           8
        .value_kind:     global_buffer
      - .offset:         104
        .size:           4
        .value_kind:     by_value
      - .offset:         112
        .size:           8
        .value_kind:     by_value
      - .offset:         120
        .size:           4
        .value_kind:     by_value
      - .offset:         124
        .size:           4
        .value_kind:     by_value
    .group_segment_fixed_size: 3072
    .kernarg_segment_align: 8
    .kernarg_segment_size: 128
    .language:       OpenCL C
    .language_version:
      - 2
      - 0
    .max_flat_workgroup_size: 256
    .name:           _ZN12_GLOBAL__N_120geam_min_plus_kernelIDF16_Dv2_DF16_S1_Li8ELi32ELi64ELi128ELi4ELi64ELi4ELi64ELi4ELc78ELc84ELb1ELb1ELb0EDF16_KPKDF16_KPDF16_EEviiiT16_PT17_ilS9_ilS7_S9_ilPT18_ili26rocblas_geam_ex_operation_
    .private_segment_fixed_size: 0
    .sgpr_count:     29
    .sgpr_spill_count: 0
    .symbol:         _ZN12_GLOBAL__N_120geam_min_plus_kernelIDF16_Dv2_DF16_S1_Li8ELi32ELi64ELi128ELi4ELi64ELi4ELi64ELi4ELc78ELc84ELb1ELb1ELb0EDF16_KPKDF16_KPDF16_EEviiiT16_PT17_ilS9_ilS7_S9_ilPT18_ili26rocblas_geam_ex_operation_.kd
    .uniform_work_group_size: 1
    .uses_dynamic_stack: false
    .vgpr_count:     127
    .vgpr_spill_count: 0
    .wavefront_size: 32
    .workgroup_processor_mode: 1
  - .args:
      - .offset:         0
        .size:           4
        .value_kind:     by_value
      - .offset:         4
        .size:           4
        .value_kind:     by_value
      - .offset:         8
        .size:           4
        .value_kind:     by_value
      - .offset:         12
        .size:           2
        .value_kind:     by_value
      - .address_space:  global
        .offset:         16
        .size:           8
        .value_kind:     global_buffer
      - .offset:         24
        .size:           4
        .value_kind:     by_value
      - .offset:         32
        .size:           8
        .value_kind:     by_value
      - .address_space:  global
        .offset:         40
        .size:           8
        .value_kind:     global_buffer
      - .offset:         48
        .size:           4
        .value_kind:     by_value
      - .offset:         56
        .size:           8
        .value_kind:     by_value
      - .offset:         64
        .size:           2
        .value_kind:     by_value
      - .address_space:  global
        .offset:         72
        .size:           8
        .value_kind:     global_buffer
      - .offset:         80
        .size:           4
        .value_kind:     by_value
      - .offset:         88
        .size:           8
        .value_kind:     by_value
      - .address_space:  global
        .offset:         96
        .size:           8
        .value_kind:     global_buffer
      - .offset:         104
        .size:           4
        .value_kind:     by_value
      - .offset:         112
        .size:           8
        .value_kind:     by_value
      - .offset:         120
        .size:           4
        .value_kind:     by_value
      - .offset:         124
        .size:           4
        .value_kind:     by_value
    .group_segment_fixed_size: 3072
    .kernarg_segment_align: 8
    .kernarg_segment_size: 128
    .language:       OpenCL C
    .language_version:
      - 2
      - 0
    .max_flat_workgroup_size: 256
    .name:           _ZN12_GLOBAL__N_120geam_min_plus_kernelIDF16_Dv2_DF16_S1_Li8ELi32ELi64ELi128ELi4ELi64ELi4ELi64ELi4ELc78ELc84ELb0ELb1ELb0EDF16_KPKDF16_KPDF16_EEviiiT16_PT17_ilS9_ilS7_S9_ilPT18_ili26rocblas_geam_ex_operation_
    .private_segment_fixed_size: 0
    .sgpr_count:     32
    .sgpr_spill_count: 0
    .symbol:         _ZN12_GLOBAL__N_120geam_min_plus_kernelIDF16_Dv2_DF16_S1_Li8ELi32ELi64ELi128ELi4ELi64ELi4ELi64ELi4ELc78ELc84ELb0ELb1ELb0EDF16_KPKDF16_KPDF16_EEviiiT16_PT17_ilS9_ilS7_S9_ilPT18_ili26rocblas_geam_ex_operation_.kd
    .uniform_work_group_size: 1
    .uses_dynamic_stack: false
    .vgpr_count:     125
    .vgpr_spill_count: 0
    .wavefront_size: 32
    .workgroup_processor_mode: 1
  - .args:
      - .offset:         0
        .size:           4
        .value_kind:     by_value
      - .offset:         4
        .size:           4
        .value_kind:     by_value
      - .offset:         8
        .size:           4
        .value_kind:     by_value
      - .address_space:  global
        .offset:         16
        .size:           8
        .value_kind:     global_buffer
      - .address_space:  global
        .offset:         24
        .size:           8
        .value_kind:     global_buffer
      - .offset:         32
        .size:           4
        .value_kind:     by_value
      - .offset:         40
        .size:           8
        .value_kind:     by_value
      - .address_space:  global
        .offset:         48
        .size:           8
        .value_kind:     global_buffer
      - .offset:         56
        .size:           4
        .value_kind:     by_value
      - .offset:         64
        .size:           8
        .value_kind:     by_value
      - .address_space:  global
        .offset:         72
        .size:           8
        .value_kind:     global_buffer
      - .address_space:  global
        .offset:         80
        .size:           8
        .value_kind:     global_buffer
      - .offset:         88
        .size:           4
        .value_kind:     by_value
      - .offset:         96
        .size:           8
        .value_kind:     by_value
      - .address_space:  global
        .offset:         104
        .size:           8
        .value_kind:     global_buffer
      - .offset:         112
        .size:           4
        .value_kind:     by_value
      - .offset:         120
        .size:           8
        .value_kind:     by_value
      - .offset:         128
        .size:           4
        .value_kind:     by_value
      - .offset:         132
        .size:           4
        .value_kind:     by_value
    .group_segment_fixed_size: 3072
    .kernarg_segment_align: 8
    .kernarg_segment_size: 136
    .language:       OpenCL C
    .language_version:
      - 2
      - 0
    .max_flat_workgroup_size: 256
    .name:           _ZN12_GLOBAL__N_120geam_min_plus_kernelIDF16_Dv2_DF16_S1_Li8ELi32ELi64ELi128ELi4ELi4ELi64ELi64ELi4ELc84ELc84ELb0ELb0ELb0EPKDF16_KS3_KPDF16_EEviiiT16_PT17_ilS9_ilS7_S9_ilPT18_ili26rocblas_geam_ex_operation_
    .private_segment_fixed_size: 0
    .sgpr_count:     26
    .sgpr_spill_count: 0
    .symbol:         _ZN12_GLOBAL__N_120geam_min_plus_kernelIDF16_Dv2_DF16_S1_Li8ELi32ELi64ELi128ELi4ELi4ELi64ELi64ELi4ELc84ELc84ELb0ELb0ELb0EPKDF16_KS3_KPDF16_EEviiiT16_PT17_ilS9_ilS7_S9_ilPT18_ili26rocblas_geam_ex_operation_.kd
    .uniform_work_group_size: 1
    .uses_dynamic_stack: false
    .vgpr_count:     122
    .vgpr_spill_count: 0
    .wavefront_size: 32
    .workgroup_processor_mode: 1
  - .args:
      - .offset:         0
        .size:           4
        .value_kind:     by_value
      - .offset:         4
        .size:           4
        .value_kind:     by_value
      - .offset:         8
        .size:           4
        .value_kind:     by_value
      - .offset:         12
        .size:           2
        .value_kind:     by_value
      - .address_space:  global
        .offset:         16
        .size:           8
        .value_kind:     global_buffer
      - .offset:         24
        .size:           4
        .value_kind:     by_value
      - .offset:         32
        .size:           8
        .value_kind:     by_value
      - .address_space:  global
        .offset:         40
        .size:           8
        .value_kind:     global_buffer
      - .offset:         48
        .size:           4
        .value_kind:     by_value
      - .offset:         56
        .size:           8
        .value_kind:     by_value
      - .offset:         64
        .size:           2
        .value_kind:     by_value
      - .address_space:  global
        .offset:         72
        .size:           8
        .value_kind:     global_buffer
      - .offset:         80
        .size:           4
        .value_kind:     by_value
      - .offset:         88
        .size:           8
        .value_kind:     by_value
      - .address_space:  global
        .offset:         96
        .size:           8
        .value_kind:     global_buffer
      - .offset:         104
        .size:           4
        .value_kind:     by_value
      - .offset:         112
        .size:           8
        .value_kind:     by_value
      - .offset:         120
        .size:           4
        .value_kind:     by_value
      - .offset:         124
        .size:           4
        .value_kind:     by_value
    .group_segment_fixed_size: 3072
    .kernarg_segment_align: 8
    .kernarg_segment_size: 128
    .language:       OpenCL C
    .language_version:
      - 2
      - 0
    .max_flat_workgroup_size: 256
    .name:           _ZN12_GLOBAL__N_120geam_min_plus_kernelIDF16_Dv2_DF16_S1_Li8ELi32ELi64ELi128ELi4ELi4ELi64ELi64ELi4ELc84ELc84ELb1ELb0ELb0EDF16_KPKDF16_KPDF16_EEviiiT16_PT17_ilS9_ilS7_S9_ilPT18_ili26rocblas_geam_ex_operation_
    .private_segment_fixed_size: 0
    .sgpr_count:     24
    .sgpr_spill_count: 0
    .symbol:         _ZN12_GLOBAL__N_120geam_min_plus_kernelIDF16_Dv2_DF16_S1_Li8ELi32ELi64ELi128ELi4ELi4ELi64ELi64ELi4ELc84ELc84ELb1ELb0ELb0EDF16_KPKDF16_KPDF16_EEviiiT16_PT17_ilS9_ilS7_S9_ilPT18_ili26rocblas_geam_ex_operation_.kd
    .uniform_work_group_size: 1
    .uses_dynamic_stack: false
    .vgpr_count:     122
    .vgpr_spill_count: 0
    .wavefront_size: 32
    .workgroup_processor_mode: 1
  - .args:
      - .offset:         0
        .size:           4
        .value_kind:     by_value
      - .offset:         4
        .size:           4
        .value_kind:     by_value
      - .offset:         8
        .size:           4
        .value_kind:     by_value
      - .offset:         12
        .size:           2
        .value_kind:     by_value
      - .address_space:  global
        .offset:         16
        .size:           8
        .value_kind:     global_buffer
      - .offset:         24
        .size:           4
        .value_kind:     by_value
      - .offset:         32
        .size:           8
        .value_kind:     by_value
      - .address_space:  global
        .offset:         40
        .size:           8
        .value_kind:     global_buffer
      - .offset:         48
        .size:           4
        .value_kind:     by_value
      - .offset:         56
        .size:           8
        .value_kind:     by_value
      - .offset:         64
        .size:           2
        .value_kind:     by_value
      - .address_space:  global
        .offset:         72
        .size:           8
        .value_kind:     global_buffer
      - .offset:         80
        .size:           4
        .value_kind:     by_value
      - .offset:         88
        .size:           8
        .value_kind:     by_value
      - .address_space:  global
        .offset:         96
        .size:           8
        .value_kind:     global_buffer
      - .offset:         104
        .size:           4
        .value_kind:     by_value
      - .offset:         112
        .size:           8
        .value_kind:     by_value
      - .offset:         120
        .size:           4
        .value_kind:     by_value
      - .offset:         124
        .size:           4
        .value_kind:     by_value
    .group_segment_fixed_size: 3072
    .kernarg_segment_align: 8
    .kernarg_segment_size: 128
    .language:       OpenCL C
    .language_version:
      - 2
      - 0
    .max_flat_workgroup_size: 256
    .name:           _ZN12_GLOBAL__N_120geam_min_plus_kernelIDF16_Dv2_DF16_S1_Li8ELi32ELi64ELi128ELi4ELi4ELi64ELi64ELi4ELc84ELc84ELb0ELb0ELb0EDF16_KPKDF16_KPDF16_EEviiiT16_PT17_ilS9_ilS7_S9_ilPT18_ili26rocblas_geam_ex_operation_
    .private_segment_fixed_size: 0
    .sgpr_count:     26
    .sgpr_spill_count: 0
    .symbol:         _ZN12_GLOBAL__N_120geam_min_plus_kernelIDF16_Dv2_DF16_S1_Li8ELi32ELi64ELi128ELi4ELi4ELi64ELi64ELi4ELc84ELc84ELb0ELb0ELb0EDF16_KPKDF16_KPDF16_EEviiiT16_PT17_ilS9_ilS7_S9_ilPT18_ili26rocblas_geam_ex_operation_.kd
    .uniform_work_group_size: 1
    .uses_dynamic_stack: false
    .vgpr_count:     120
    .vgpr_spill_count: 0
    .wavefront_size: 32
    .workgroup_processor_mode: 1
  - .args:
      - .offset:         0
        .size:           4
        .value_kind:     by_value
      - .offset:         4
        .size:           4
        .value_kind:     by_value
      - .offset:         8
        .size:           4
        .value_kind:     by_value
      - .address_space:  global
        .offset:         16
        .size:           8
        .value_kind:     global_buffer
      - .address_space:  global
        .offset:         24
        .size:           8
        .value_kind:     global_buffer
      - .offset:         32
        .size:           4
        .value_kind:     by_value
      - .offset:         40
        .size:           8
        .value_kind:     by_value
      - .address_space:  global
        .offset:         48
        .size:           8
        .value_kind:     global_buffer
      - .offset:         56
        .size:           4
        .value_kind:     by_value
      - .offset:         64
        .size:           8
        .value_kind:     by_value
      - .address_space:  global
        .offset:         72
        .size:           8
        .value_kind:     global_buffer
      - .address_space:  global
        .offset:         80
        .size:           8
        .value_kind:     global_buffer
      - .offset:         88
        .size:           4
        .value_kind:     by_value
      - .offset:         96
        .size:           8
        .value_kind:     by_value
      - .address_space:  global
        .offset:         104
        .size:           8
        .value_kind:     global_buffer
      - .offset:         112
        .size:           4
        .value_kind:     by_value
      - .offset:         120
        .size:           8
        .value_kind:     by_value
      - .offset:         128
        .size:           4
        .value_kind:     by_value
      - .offset:         132
        .size:           4
        .value_kind:     by_value
    .group_segment_fixed_size: 3072
    .kernarg_segment_align: 8
    .kernarg_segment_size: 136
    .language:       OpenCL C
    .language_version:
      - 2
      - 0
    .max_flat_workgroup_size: 256
    .name:           _ZN12_GLOBAL__N_120geam_min_plus_kernelIDF16_Dv2_DF16_S1_Li8ELi32ELi64ELi128ELi4ELi4ELi64ELi64ELi4ELc84ELc84ELb0ELb1ELb0EPKDF16_KS3_KPDF16_EEviiiT16_PT17_ilS9_ilS7_S9_ilPT18_ili26rocblas_geam_ex_operation_
    .private_segment_fixed_size: 0
    .sgpr_count:     28
    .sgpr_spill_count: 0
    .symbol:         _ZN12_GLOBAL__N_120geam_min_plus_kernelIDF16_Dv2_DF16_S1_Li8ELi32ELi64ELi128ELi4ELi4ELi64ELi64ELi4ELc84ELc84ELb0ELb1ELb0EPKDF16_KS3_KPDF16_EEviiiT16_PT17_ilS9_ilS7_S9_ilPT18_ili26rocblas_geam_ex_operation_.kd
    .uniform_work_group_size: 1
    .uses_dynamic_stack: false
    .vgpr_count:     122
    .vgpr_spill_count: 0
    .wavefront_size: 32
    .workgroup_processor_mode: 1
  - .args:
      - .offset:         0
        .size:           4
        .value_kind:     by_value
      - .offset:         4
        .size:           4
        .value_kind:     by_value
      - .offset:         8
        .size:           4
        .value_kind:     by_value
      - .offset:         12
        .size:           2
        .value_kind:     by_value
      - .address_space:  global
        .offset:         16
        .size:           8
        .value_kind:     global_buffer
      - .offset:         24
        .size:           4
        .value_kind:     by_value
      - .offset:         32
        .size:           8
        .value_kind:     by_value
      - .address_space:  global
        .offset:         40
        .size:           8
        .value_kind:     global_buffer
      - .offset:         48
        .size:           4
        .value_kind:     by_value
      - .offset:         56
        .size:           8
        .value_kind:     by_value
      - .offset:         64
        .size:           2
        .value_kind:     by_value
      - .address_space:  global
        .offset:         72
        .size:           8
        .value_kind:     global_buffer
      - .offset:         80
        .size:           4
        .value_kind:     by_value
      - .offset:         88
        .size:           8
        .value_kind:     by_value
      - .address_space:  global
        .offset:         96
        .size:           8
        .value_kind:     global_buffer
      - .offset:         104
        .size:           4
        .value_kind:     by_value
      - .offset:         112
        .size:           8
        .value_kind:     by_value
      - .offset:         120
        .size:           4
        .value_kind:     by_value
      - .offset:         124
        .size:           4
        .value_kind:     by_value
    .group_segment_fixed_size: 3072
    .kernarg_segment_align: 8
    .kernarg_segment_size: 128
    .language:       OpenCL C
    .language_version:
      - 2
      - 0
    .max_flat_workgroup_size: 256
    .name:           _ZN12_GLOBAL__N_120geam_min_plus_kernelIDF16_Dv2_DF16_S1_Li8ELi32ELi64ELi128ELi4ELi4ELi64ELi64ELi4ELc84ELc84ELb1ELb1ELb0EDF16_KPKDF16_KPDF16_EEviiiT16_PT17_ilS9_ilS7_S9_ilPT18_ili26rocblas_geam_ex_operation_
    .private_segment_fixed_size: 0
    .sgpr_count:     27
    .sgpr_spill_count: 0
    .symbol:         _ZN12_GLOBAL__N_120geam_min_plus_kernelIDF16_Dv2_DF16_S1_Li8ELi32ELi64ELi128ELi4ELi4ELi64ELi64ELi4ELc84ELc84ELb1ELb1ELb0EDF16_KPKDF16_KPDF16_EEviiiT16_PT17_ilS9_ilS7_S9_ilPT18_ili26rocblas_geam_ex_operation_.kd
    .uniform_work_group_size: 1
    .uses_dynamic_stack: false
    .vgpr_count:     122
    .vgpr_spill_count: 0
    .wavefront_size: 32
    .workgroup_processor_mode: 1
  - .args:
      - .offset:         0
        .size:           4
        .value_kind:     by_value
      - .offset:         4
        .size:           4
        .value_kind:     by_value
      - .offset:         8
        .size:           4
        .value_kind:     by_value
      - .offset:         12
        .size:           2
        .value_kind:     by_value
      - .address_space:  global
        .offset:         16
        .size:           8
        .value_kind:     global_buffer
      - .offset:         24
        .size:           4
        .value_kind:     by_value
      - .offset:         32
        .size:           8
        .value_kind:     by_value
      - .address_space:  global
        .offset:         40
        .size:           8
        .value_kind:     global_buffer
      - .offset:         48
        .size:           4
        .value_kind:     by_value
      - .offset:         56
        .size:           8
        .value_kind:     by_value
      - .offset:         64
        .size:           2
        .value_kind:     by_value
      - .address_space:  global
        .offset:         72
        .size:           8
        .value_kind:     global_buffer
      - .offset:         80
        .size:           4
        .value_kind:     by_value
      - .offset:         88
        .size:           8
        .value_kind:     by_value
      - .address_space:  global
        .offset:         96
        .size:           8
        .value_kind:     global_buffer
      - .offset:         104
        .size:           4
        .value_kind:     by_value
      - .offset:         112
        .size:           8
        .value_kind:     by_value
      - .offset:         120
        .size:           4
        .value_kind:     by_value
      - .offset:         124
        .size:           4
        .value_kind:     by_value
    .group_segment_fixed_size: 3072
    .kernarg_segment_align: 8
    .kernarg_segment_size: 128
    .language:       OpenCL C
    .language_version:
      - 2
      - 0
    .max_flat_workgroup_size: 256
    .name:           _ZN12_GLOBAL__N_120geam_min_plus_kernelIDF16_Dv2_DF16_S1_Li8ELi32ELi64ELi128ELi4ELi4ELi64ELi64ELi4ELc84ELc84ELb0ELb1ELb0EDF16_KPKDF16_KPDF16_EEviiiT16_PT17_ilS9_ilS7_S9_ilPT18_ili26rocblas_geam_ex_operation_
    .private_segment_fixed_size: 0
    .sgpr_count:     30
    .sgpr_spill_count: 0
    .symbol:         _ZN12_GLOBAL__N_120geam_min_plus_kernelIDF16_Dv2_DF16_S1_Li8ELi32ELi64ELi128ELi4ELi4ELi64ELi64ELi4ELc84ELc84ELb0ELb1ELb0EDF16_KPKDF16_KPDF16_EEviiiT16_PT17_ilS9_ilS7_S9_ilPT18_ili26rocblas_geam_ex_operation_.kd
    .uniform_work_group_size: 1
    .uses_dynamic_stack: false
    .vgpr_count:     120
    .vgpr_spill_count: 0
    .wavefront_size: 32
    .workgroup_processor_mode: 1
  - .args:
      - .offset:         0
        .size:           4
        .value_kind:     by_value
      - .offset:         4
        .size:           4
        .value_kind:     by_value
      - .offset:         8
        .size:           2
        .value_kind:     by_value
      - .address_space:  global
        .offset:         16
        .size:           8
        .value_kind:     global_buffer
      - .offset:         24
        .size:           8
        .value_kind:     by_value
      - .offset:         32
        .size:           4
        .value_kind:     by_value
      - .offset:         40
        .size:           8
        .value_kind:     by_value
      - .address_space:  global
        .offset:         48
        .size:           8
        .value_kind:     global_buffer
      - .offset:         56
        .size:           8
        .value_kind:     by_value
      - .offset:         64
        .size:           4
        .value_kind:     by_value
      - .offset:         72
        .size:           8
        .value_kind:     by_value
    .group_segment_fixed_size: 0
    .kernarg_segment_align: 8
    .kernarg_segment_size: 80
    .language:       OpenCL C
    .language_version:
      - 2
      - 0
    .max_flat_workgroup_size: 1024
    .name:           _ZN12_GLOBAL__N_120geam_ex_scale_kernelILi32ELi32EDF16_DF16_PKDF16_PDF16_EEviiT2_T3_lilT4_lil
    .private_segment_fixed_size: 0
    .sgpr_count:     22
    .sgpr_spill_count: 0
    .symbol:         _ZN12_GLOBAL__N_120geam_ex_scale_kernelILi32ELi32EDF16_DF16_PKDF16_PDF16_EEviiT2_T3_lilT4_lil.kd
    .uniform_work_group_size: 1
    .uses_dynamic_stack: false
    .vgpr_count:     8
    .vgpr_spill_count: 0
    .wavefront_size: 32
    .workgroup_processor_mode: 1
  - .args:
      - .offset:         0
        .size:           4
        .value_kind:     by_value
      - .offset:         4
        .size:           4
        .value_kind:     by_value
      - .address_space:  global
        .offset:         8
        .size:           8
        .value_kind:     global_buffer
      - .address_space:  global
        .offset:         16
        .size:           8
        .value_kind:     global_buffer
      - .offset:         24
        .size:           8
        .value_kind:     by_value
      - .offset:         32
        .size:           4
        .value_kind:     by_value
      - .offset:         40
        .size:           8
        .value_kind:     by_value
      - .address_space:  global
        .offset:         48
        .size:           8
        .value_kind:     global_buffer
      - .offset:         56
        .size:           8
        .value_kind:     by_value
      - .offset:         64
        .size:           4
        .value_kind:     by_value
      - .offset:         72
        .size:           8
        .value_kind:     by_value
    .group_segment_fixed_size: 0
    .kernarg_segment_align: 8
    .kernarg_segment_size: 80
    .language:       OpenCL C
    .language_version:
      - 2
      - 0
    .max_flat_workgroup_size: 1024
    .name:           _ZN12_GLOBAL__N_120geam_ex_scale_kernelILi32ELi32EDF16_PKDF16_S2_PDF16_EEviiT2_T3_lilT4_lil
    .private_segment_fixed_size: 0
    .sgpr_count:     20
    .sgpr_spill_count: 0
    .symbol:         _ZN12_GLOBAL__N_120geam_ex_scale_kernelILi32ELi32EDF16_PKDF16_S2_PDF16_EEviiT2_T3_lilT4_lil.kd
    .uniform_work_group_size: 1
    .uses_dynamic_stack: false
    .vgpr_count:     8
    .vgpr_spill_count: 0
    .wavefront_size: 32
    .workgroup_processor_mode: 1
  - .args:
      - .offset:         0
        .size:           4
        .value_kind:     by_value
      - .offset:         4
        .size:           4
        .value_kind:     by_value
      - .offset:         8
        .size:           2
        .value_kind:     by_value
      - .address_space:  global
        .offset:         16
        .size:           8
        .value_kind:     global_buffer
      - .offset:         24
        .size:           8
        .value_kind:     by_value
      - .offset:         32
        .size:           4
        .value_kind:     by_value
      - .offset:         40
        .size:           8
        .value_kind:     by_value
      - .address_space:  global
        .offset:         48
        .size:           8
        .value_kind:     global_buffer
      - .offset:         56
        .size:           8
        .value_kind:     by_value
      - .offset:         64
        .size:           4
        .value_kind:     by_value
      - .offset:         72
        .size:           8
        .value_kind:     by_value
    .group_segment_fixed_size: 0
    .kernarg_segment_align: 8
    .kernarg_segment_size: 80
    .language:       OpenCL C
    .language_version:
      - 2
      - 0
    .max_flat_workgroup_size: 1024
    .name:           _ZN12_GLOBAL__N_120geam_ex_round_kernelILi32ELi32EDF16_DF16_PKDF16_PDF16_EEviiT2_T3_lilT4_lil
    .private_segment_fixed_size: 0
    .sgpr_count:     22
    .sgpr_spill_count: 0
    .symbol:         _ZN12_GLOBAL__N_120geam_ex_round_kernelILi32ELi32EDF16_DF16_PKDF16_PDF16_EEviiT2_T3_lilT4_lil.kd
    .uniform_work_group_size: 1
    .uses_dynamic_stack: false
    .vgpr_count:     8
    .vgpr_spill_count: 0
    .wavefront_size: 32
    .workgroup_processor_mode: 1
  - .args:
      - .offset:         0
        .size:           4
        .value_kind:     by_value
      - .offset:         4
        .size:           4
        .value_kind:     by_value
      - .offset:         8
        .size:           4
        .value_kind:     by_value
      - .address_space:  global
        .offset:         16
        .size:           8
        .value_kind:     global_buffer
      - .address_space:  global
        .offset:         24
        .size:           8
        .value_kind:     global_buffer
      - .offset:         32
        .size:           4
        .value_kind:     by_value
      - .offset:         40
        .size:           8
        .value_kind:     by_value
      - .address_space:  global
        .offset:         48
        .size:           8
        .value_kind:     global_buffer
      - .offset:         56
        .size:           4
        .value_kind:     by_value
      - .offset:         64
        .size:           8
        .value_kind:     by_value
      - .address_space:  global
        .offset:         72
        .size:           8
        .value_kind:     global_buffer
      - .address_space:  global
        .offset:         80
        .size:           8
        .value_kind:     global_buffer
      - .offset:         88
        .size:           4
        .value_kind:     by_value
      - .offset:         96
        .size:           8
        .value_kind:     by_value
      - .address_space:  global
        .offset:         104
        .size:           8
        .value_kind:     global_buffer
      - .offset:         112
        .size:           4
        .value_kind:     by_value
      - .offset:         120
        .size:           8
        .value_kind:     by_value
      - .offset:         128
        .size:           4
        .value_kind:     by_value
      - .offset:         132
        .size:           4
        .value_kind:     by_value
    .group_segment_fixed_size: 5120
    .kernarg_segment_align: 8
    .kernarg_segment_size: 136
    .language:       OpenCL C
    .language_version:
      - 2
      - 0
    .max_flat_workgroup_size: 256
    .name:           _ZN12_GLOBAL__N_120geam_min_plus_kernelIDF16_Dv2_DF16_S1_Li32ELi8ELi256ELi64ELi4ELi64ELi4ELi4ELi64ELc78ELc78ELb0ELb0ELb1EPKDF16_S2_DF16_EEviiiT16_PT17_ilS6_ilS4_S6_ilPT18_ili26rocblas_geam_ex_operation_
    .private_segment_fixed_size: 0
    .sgpr_count:     26
    .sgpr_spill_count: 0
    .symbol:         _ZN12_GLOBAL__N_120geam_min_plus_kernelIDF16_Dv2_DF16_S1_Li32ELi8ELi256ELi64ELi4ELi64ELi4ELi4ELi64ELc78ELc78ELb0ELb0ELb1EPKDF16_S2_DF16_EEviiiT16_PT17_ilS6_ilS4_S6_ilPT18_ili26rocblas_geam_ex_operation_.kd
    .uniform_work_group_size: 1
    .uses_dynamic_stack: false
    .vgpr_count:     160
    .vgpr_spill_count: 0
    .wavefront_size: 32
    .workgroup_processor_mode: 1
  - .args:
      - .offset:         0
        .size:           4
        .value_kind:     by_value
      - .offset:         4
        .size:           4
        .value_kind:     by_value
      - .offset:         8
        .size:           4
        .value_kind:     by_value
      - .offset:         12
        .size:           2
        .value_kind:     by_value
      - .address_space:  global
        .offset:         16
        .size:           8
        .value_kind:     global_buffer
      - .offset:         24
        .size:           4
        .value_kind:     by_value
      - .offset:         32
        .size:           8
        .value_kind:     by_value
      - .address_space:  global
        .offset:         40
        .size:           8
        .value_kind:     global_buffer
      - .offset:         48
        .size:           4
        .value_kind:     by_value
      - .offset:         56
        .size:           8
        .value_kind:     by_value
      - .offset:         64
        .size:           2
        .value_kind:     by_value
      - .address_space:  global
        .offset:         72
        .size:           8
        .value_kind:     global_buffer
      - .offset:         80
        .size:           4
        .value_kind:     by_value
      - .offset:         88
        .size:           8
        .value_kind:     by_value
      - .address_space:  global
        .offset:         96
        .size:           8
        .value_kind:     global_buffer
      - .offset:         104
        .size:           4
        .value_kind:     by_value
      - .offset:         112
        .size:           8
        .value_kind:     by_value
      - .offset:         120
        .size:           4
        .value_kind:     by_value
      - .offset:         124
        .size:           4
        .value_kind:     by_value
    .group_segment_fixed_size: 5120
    .kernarg_segment_align: 8
    .kernarg_segment_size: 128
    .language:       OpenCL C
    .language_version:
      - 2
      - 0
    .max_flat_workgroup_size: 256
    .name:           _ZN12_GLOBAL__N_120geam_min_plus_kernelIDF16_Dv2_DF16_S1_Li32ELi8ELi256ELi64ELi4ELi64ELi4ELi4ELi64ELc78ELc78ELb1ELb0ELb1EDF16_KDF16_DF16_EEviiiT16_PT17_ilS5_ilS3_S5_ilPT18_ili26rocblas_geam_ex_operation_
    .private_segment_fixed_size: 356
    .sgpr_count:     25
    .sgpr_spill_count: 0
    .symbol:         _ZN12_GLOBAL__N_120geam_min_plus_kernelIDF16_Dv2_DF16_S1_Li32ELi8ELi256ELi64ELi4ELi64ELi4ELi4ELi64ELc78ELc78ELb1ELb0ELb1EDF16_KDF16_DF16_EEviiiT16_PT17_ilS5_ilS3_S5_ilPT18_ili26rocblas_geam_ex_operation_.kd
    .uniform_work_group_size: 1
    .uses_dynamic_stack: false
    .vgpr_count:     256
    .vgpr_spill_count: 88
    .wavefront_size: 32
    .workgroup_processor_mode: 1
  - .args:
      - .offset:         0
        .size:           4
        .value_kind:     by_value
      - .offset:         4
        .size:           4
        .value_kind:     by_value
      - .offset:         8
        .size:           4
        .value_kind:     by_value
      - .offset:         12
        .size:           2
        .value_kind:     by_value
      - .address_space:  global
        .offset:         16
        .size:           8
        .value_kind:     global_buffer
      - .offset:         24
        .size:           4
        .value_kind:     by_value
      - .offset:         32
        .size:           8
        .value_kind:     by_value
      - .address_space:  global
        .offset:         40
        .size:           8
        .value_kind:     global_buffer
      - .offset:         48
        .size:           4
        .value_kind:     by_value
      - .offset:         56
        .size:           8
        .value_kind:     by_value
      - .offset:         64
        .size:           2
        .value_kind:     by_value
      - .address_space:  global
        .offset:         72
        .size:           8
        .value_kind:     global_buffer
      - .offset:         80
        .size:           4
        .value_kind:     by_value
      - .offset:         88
        .size:           8
        .value_kind:     by_value
      - .address_space:  global
        .offset:         96
        .size:           8
        .value_kind:     global_buffer
      - .offset:         104
        .size:           4
        .value_kind:     by_value
      - .offset:         112
        .size:           8
        .value_kind:     by_value
      - .offset:         120
        .size:           4
        .value_kind:     by_value
      - .offset:         124
        .size:           4
        .value_kind:     by_value
    .group_segment_fixed_size: 5120
    .kernarg_segment_align: 8
    .kernarg_segment_size: 128
    .language:       OpenCL C
    .language_version:
      - 2
      - 0
    .max_flat_workgroup_size: 256
    .name:           _ZN12_GLOBAL__N_120geam_min_plus_kernelIDF16_Dv2_DF16_S1_Li32ELi8ELi256ELi64ELi4ELi64ELi4ELi4ELi64ELc78ELc78ELb0ELb0ELb1EDF16_KDF16_DF16_EEviiiT16_PT17_ilS5_ilS3_S5_ilPT18_ili26rocblas_geam_ex_operation_
    .private_segment_fixed_size: 0
    .sgpr_count:     27
    .sgpr_spill_count: 0
    .symbol:         _ZN12_GLOBAL__N_120geam_min_plus_kernelIDF16_Dv2_DF16_S1_Li32ELi8ELi256ELi64ELi4ELi64ELi4ELi4ELi64ELc78ELc78ELb0ELb0ELb1EDF16_KDF16_DF16_EEviiiT16_PT17_ilS5_ilS3_S5_ilPT18_ili26rocblas_geam_ex_operation_.kd
    .uniform_work_group_size: 1
    .uses_dynamic_stack: false
    .vgpr_count:     158
    .vgpr_spill_count: 0
    .wavefront_size: 32
    .workgroup_processor_mode: 1
  - .args:
      - .offset:         0
        .size:           4
        .value_kind:     by_value
      - .offset:         4
        .size:           4
        .value_kind:     by_value
      - .offset:         8
        .size:           4
        .value_kind:     by_value
      - .address_space:  global
        .offset:         16
        .size:           8
        .value_kind:     global_buffer
      - .address_space:  global
        .offset:         24
        .size:           8
        .value_kind:     global_buffer
      - .offset:         32
        .size:           4
        .value_kind:     by_value
      - .offset:         40
        .size:           8
        .value_kind:     by_value
      - .address_space:  global
        .offset:         48
        .size:           8
        .value_kind:     global_buffer
      - .offset:         56
        .size:           4
        .value_kind:     by_value
      - .offset:         64
        .size:           8
        .value_kind:     by_value
      - .address_space:  global
        .offset:         72
        .size:           8
        .value_kind:     global_buffer
      - .address_space:  global
        .offset:         80
        .size:           8
        .value_kind:     global_buffer
      - .offset:         88
        .size:           4
        .value_kind:     by_value
      - .offset:         96
        .size:           8
        .value_kind:     by_value
      - .address_space:  global
        .offset:         104
        .size:           8
        .value_kind:     global_buffer
      - .offset:         112
        .size:           4
        .value_kind:     by_value
      - .offset:         120
        .size:           8
        .value_kind:     by_value
      - .offset:         128
        .size:           4
        .value_kind:     by_value
      - .offset:         132
        .size:           4
        .value_kind:     by_value
    .group_segment_fixed_size: 5120
    .kernarg_segment_align: 8
    .kernarg_segment_size: 136
    .language:       OpenCL C
    .language_version:
      - 2
      - 0
    .max_flat_workgroup_size: 256
    .name:           _ZN12_GLOBAL__N_120geam_min_plus_kernelIDF16_Dv2_DF16_S1_Li32ELi8ELi256ELi64ELi4ELi64ELi4ELi4ELi64ELc78ELc78ELb0ELb1ELb1EPKDF16_S2_DF16_EEviiiT16_PT17_ilS6_ilS4_S6_ilPT18_ili26rocblas_geam_ex_operation_
    .private_segment_fixed_size: 0
    .sgpr_count:     30
    .sgpr_spill_count: 0
    .symbol:         _ZN12_GLOBAL__N_120geam_min_plus_kernelIDF16_Dv2_DF16_S1_Li32ELi8ELi256ELi64ELi4ELi64ELi4ELi4ELi64ELc78ELc78ELb0ELb1ELb1EPKDF16_S2_DF16_EEviiiT16_PT17_ilS6_ilS4_S6_ilPT18_ili26rocblas_geam_ex_operation_.kd
    .uniform_work_group_size: 1
    .uses_dynamic_stack: false
    .vgpr_count:     156
    .vgpr_spill_count: 0
    .wavefront_size: 32
    .workgroup_processor_mode: 1
  - .args:
      - .offset:         0
        .size:           4
        .value_kind:     by_value
      - .offset:         4
        .size:           4
        .value_kind:     by_value
      - .offset:         8
        .size:           4
        .value_kind:     by_value
      - .offset:         12
        .size:           2
        .value_kind:     by_value
      - .address_space:  global
        .offset:         16
        .size:           8
        .value_kind:     global_buffer
      - .offset:         24
        .size:           4
        .value_kind:     by_value
      - .offset:         32
        .size:           8
        .value_kind:     by_value
      - .address_space:  global
        .offset:         40
        .size:           8
        .value_kind:     global_buffer
      - .offset:         48
        .size:           4
        .value_kind:     by_value
      - .offset:         56
        .size:           8
        .value_kind:     by_value
      - .offset:         64
        .size:           2
        .value_kind:     by_value
      - .address_space:  global
        .offset:         72
        .size:           8
        .value_kind:     global_buffer
      - .offset:         80
        .size:           4
        .value_kind:     by_value
      - .offset:         88
        .size:           8
        .value_kind:     by_value
      - .address_space:  global
        .offset:         96
        .size:           8
        .value_kind:     global_buffer
      - .offset:         104
        .size:           4
        .value_kind:     by_value
      - .offset:         112
        .size:           8
        .value_kind:     by_value
      - .offset:         120
        .size:           4
        .value_kind:     by_value
      - .offset:         124
        .size:           4
        .value_kind:     by_value
    .group_segment_fixed_size: 5120
    .kernarg_segment_align: 8
    .kernarg_segment_size: 128
    .language:       OpenCL C
    .language_version:
      - 2
      - 0
    .max_flat_workgroup_size: 256
    .name:           _ZN12_GLOBAL__N_120geam_min_plus_kernelIDF16_Dv2_DF16_S1_Li32ELi8ELi256ELi64ELi4ELi64ELi4ELi4ELi64ELc78ELc78ELb1ELb1ELb1EDF16_KDF16_DF16_EEviiiT16_PT17_ilS5_ilS3_S5_ilPT18_ili26rocblas_geam_ex_operation_
    .private_segment_fixed_size: 0
    .sgpr_count:     31
    .sgpr_spill_count: 0
    .symbol:         _ZN12_GLOBAL__N_120geam_min_plus_kernelIDF16_Dv2_DF16_S1_Li32ELi8ELi256ELi64ELi4ELi64ELi4ELi4ELi64ELc78ELc78ELb1ELb1ELb1EDF16_KDF16_DF16_EEviiiT16_PT17_ilS5_ilS3_S5_ilPT18_ili26rocblas_geam_ex_operation_.kd
    .uniform_work_group_size: 1
    .uses_dynamic_stack: false
    .vgpr_count:     150
    .vgpr_spill_count: 0
    .wavefront_size: 32
    .workgroup_processor_mode: 1
  - .args:
      - .offset:         0
        .size:           4
        .value_kind:     by_value
      - .offset:         4
        .size:           4
        .value_kind:     by_value
      - .offset:         8
        .size:           4
        .value_kind:     by_value
      - .offset:         12
        .size:           2
        .value_kind:     by_value
      - .address_space:  global
        .offset:         16
        .size:           8
        .value_kind:     global_buffer
      - .offset:         24
        .size:           4
        .value_kind:     by_value
      - .offset:         32
        .size:           8
        .value_kind:     by_value
      - .address_space:  global
        .offset:         40
        .size:           8
        .value_kind:     global_buffer
      - .offset:         48
        .size:           4
        .value_kind:     by_value
      - .offset:         56
        .size:           8
        .value_kind:     by_value
      - .offset:         64
        .size:           2
        .value_kind:     by_value
      - .address_space:  global
        .offset:         72
        .size:           8
        .value_kind:     global_buffer
      - .offset:         80
        .size:           4
        .value_kind:     by_value
      - .offset:         88
        .size:           8
        .value_kind:     by_value
      - .address_space:  global
        .offset:         96
        .size:           8
        .value_kind:     global_buffer
      - .offset:         104
        .size:           4
        .value_kind:     by_value
      - .offset:         112
        .size:           8
        .value_kind:     by_value
      - .offset:         120
        .size:           4
        .value_kind:     by_value
      - .offset:         124
        .size:           4
        .value_kind:     by_value
    .group_segment_fixed_size: 5120
    .kernarg_segment_align: 8
    .kernarg_segment_size: 128
    .language:       OpenCL C
    .language_version:
      - 2
      - 0
    .max_flat_workgroup_size: 256
    .name:           _ZN12_GLOBAL__N_120geam_min_plus_kernelIDF16_Dv2_DF16_S1_Li32ELi8ELi256ELi64ELi4ELi64ELi4ELi4ELi64ELc78ELc78ELb0ELb1ELb1EDF16_KDF16_DF16_EEviiiT16_PT17_ilS5_ilS3_S5_ilPT18_ili26rocblas_geam_ex_operation_
    .private_segment_fixed_size: 0
    .sgpr_count:     33
    .sgpr_spill_count: 0
    .symbol:         _ZN12_GLOBAL__N_120geam_min_plus_kernelIDF16_Dv2_DF16_S1_Li32ELi8ELi256ELi64ELi4ELi64ELi4ELi4ELi64ELc78ELc78ELb0ELb1ELb1EDF16_KDF16_DF16_EEviiiT16_PT17_ilS5_ilS3_S5_ilPT18_ili26rocblas_geam_ex_operation_.kd
    .uniform_work_group_size: 1
    .uses_dynamic_stack: false
    .vgpr_count:     154
    .vgpr_spill_count: 0
    .wavefront_size: 32
    .workgroup_processor_mode: 1
  - .args:
      - .offset:         0
        .size:           4
        .value_kind:     by_value
      - .offset:         4
        .size:           4
        .value_kind:     by_value
      - .offset:         8
        .size:           4
        .value_kind:     by_value
      - .address_space:  global
        .offset:         16
        .size:           8
        .value_kind:     global_buffer
      - .address_space:  global
        .offset:         24
        .size:           8
        .value_kind:     global_buffer
      - .offset:         32
        .size:           4
        .value_kind:     by_value
      - .offset:         40
        .size:           8
        .value_kind:     by_value
      - .address_space:  global
        .offset:         48
        .size:           8
        .value_kind:     global_buffer
      - .offset:         56
        .size:           4
        .value_kind:     by_value
      - .offset:         64
        .size:           8
        .value_kind:     by_value
      - .address_space:  global
        .offset:         72
        .size:           8
        .value_kind:     global_buffer
      - .address_space:  global
        .offset:         80
        .size:           8
        .value_kind:     global_buffer
      - .offset:         88
        .size:           4
        .value_kind:     by_value
      - .offset:         96
        .size:           8
        .value_kind:     by_value
      - .address_space:  global
        .offset:         104
        .size:           8
        .value_kind:     global_buffer
      - .offset:         112
        .size:           4
        .value_kind:     by_value
      - .offset:         120
        .size:           8
        .value_kind:     by_value
      - .offset:         128
        .size:           4
        .value_kind:     by_value
      - .offset:         132
        .size:           4
        .value_kind:     by_value
    .group_segment_fixed_size: 4096
    .kernarg_segment_align: 8
    .kernarg_segment_size: 136
    .language:       OpenCL C
    .language_version:
      - 2
      - 0
    .max_flat_workgroup_size: 256
    .name:           _ZN12_GLOBAL__N_120geam_min_plus_kernelIDF16_Dv2_DF16_S1_Li32ELi8ELi128ELi128ELi4ELi4ELi64ELi4ELi64ELc84ELc78ELb0ELb0ELb1EPKDF16_S2_DF16_EEviiiT16_PT17_ilS6_ilS4_S6_ilPT18_ili26rocblas_geam_ex_operation_
    .private_segment_fixed_size: 0
    .sgpr_count:     26
    .sgpr_spill_count: 0
    .symbol:         _ZN12_GLOBAL__N_120geam_min_plus_kernelIDF16_Dv2_DF16_S1_Li32ELi8ELi128ELi128ELi4ELi4ELi64ELi4ELi64ELc84ELc78ELb0ELb0ELb1EPKDF16_S2_DF16_EEviiiT16_PT17_ilS6_ilS4_S6_ilPT18_ili26rocblas_geam_ex_operation_.kd
    .uniform_work_group_size: 1
    .uses_dynamic_stack: false
    .vgpr_count:     156
    .vgpr_spill_count: 0
    .wavefront_size: 32
    .workgroup_processor_mode: 1
  - .args:
      - .offset:         0
        .size:           4
        .value_kind:     by_value
      - .offset:         4
        .size:           4
        .value_kind:     by_value
      - .offset:         8
        .size:           4
        .value_kind:     by_value
      - .offset:         12
        .size:           2
        .value_kind:     by_value
      - .address_space:  global
        .offset:         16
        .size:           8
        .value_kind:     global_buffer
      - .offset:         24
        .size:           4
        .value_kind:     by_value
      - .offset:         32
        .size:           8
        .value_kind:     by_value
      - .address_space:  global
        .offset:         40
        .size:           8
        .value_kind:     global_buffer
      - .offset:         48
        .size:           4
        .value_kind:     by_value
      - .offset:         56
        .size:           8
        .value_kind:     by_value
      - .offset:         64
        .size:           2
        .value_kind:     by_value
      - .address_space:  global
        .offset:         72
        .size:           8
        .value_kind:     global_buffer
      - .offset:         80
        .size:           4
        .value_kind:     by_value
      - .offset:         88
        .size:           8
        .value_kind:     by_value
      - .address_space:  global
        .offset:         96
        .size:           8
        .value_kind:     global_buffer
      - .offset:         104
        .size:           4
        .value_kind:     by_value
      - .offset:         112
        .size:           8
        .value_kind:     by_value
      - .offset:         120
        .size:           4
        .value_kind:     by_value
      - .offset:         124
        .size:           4
        .value_kind:     by_value
    .group_segment_fixed_size: 4096
    .kernarg_segment_align: 8
    .kernarg_segment_size: 128
    .language:       OpenCL C
    .language_version:
      - 2
      - 0
    .max_flat_workgroup_size: 256
    .name:           _ZN12_GLOBAL__N_120geam_min_plus_kernelIDF16_Dv2_DF16_S1_Li32ELi8ELi128ELi128ELi4ELi4ELi64ELi4ELi64ELc84ELc78ELb1ELb0ELb1EDF16_KDF16_DF16_EEviiiT16_PT17_ilS5_ilS3_S5_ilPT18_ili26rocblas_geam_ex_operation_
    .private_segment_fixed_size: 0
    .sgpr_count:     25
    .sgpr_spill_count: 0
    .symbol:         _ZN12_GLOBAL__N_120geam_min_plus_kernelIDF16_Dv2_DF16_S1_Li32ELi8ELi128ELi128ELi4ELi4ELi64ELi4ELi64ELc84ELc78ELb1ELb0ELb1EDF16_KDF16_DF16_EEviiiT16_PT17_ilS5_ilS3_S5_ilPT18_ili26rocblas_geam_ex_operation_.kd
    .uniform_work_group_size: 1
    .uses_dynamic_stack: false
    .vgpr_count:     136
    .vgpr_spill_count: 0
    .wavefront_size: 32
    .workgroup_processor_mode: 1
  - .args:
      - .offset:         0
        .size:           4
        .value_kind:     by_value
      - .offset:         4
        .size:           4
        .value_kind:     by_value
      - .offset:         8
        .size:           4
        .value_kind:     by_value
      - .offset:         12
        .size:           2
        .value_kind:     by_value
      - .address_space:  global
        .offset:         16
        .size:           8
        .value_kind:     global_buffer
      - .offset:         24
        .size:           4
        .value_kind:     by_value
      - .offset:         32
        .size:           8
        .value_kind:     by_value
      - .address_space:  global
        .offset:         40
        .size:           8
        .value_kind:     global_buffer
      - .offset:         48
        .size:           4
        .value_kind:     by_value
      - .offset:         56
        .size:           8
        .value_kind:     by_value
      - .offset:         64
        .size:           2
        .value_kind:     by_value
      - .address_space:  global
        .offset:         72
        .size:           8
        .value_kind:     global_buffer
      - .offset:         80
        .size:           4
        .value_kind:     by_value
      - .offset:         88
        .size:           8
        .value_kind:     by_value
      - .address_space:  global
        .offset:         96
        .size:           8
        .value_kind:     global_buffer
      - .offset:         104
        .size:           4
        .value_kind:     by_value
      - .offset:         112
        .size:           8
        .value_kind:     by_value
      - .offset:         120
        .size:           4
        .value_kind:     by_value
      - .offset:         124
        .size:           4
        .value_kind:     by_value
    .group_segment_fixed_size: 4096
    .kernarg_segment_align: 8
    .kernarg_segment_size: 128
    .language:       OpenCL C
    .language_version:
      - 2
      - 0
    .max_flat_workgroup_size: 256
    .name:           _ZN12_GLOBAL__N_120geam_min_plus_kernelIDF16_Dv2_DF16_S1_Li32ELi8ELi128ELi128ELi4ELi4ELi64ELi4ELi64ELc84ELc78ELb0ELb0ELb1EDF16_KDF16_DF16_EEviiiT16_PT17_ilS5_ilS3_S5_ilPT18_ili26rocblas_geam_ex_operation_
    .private_segment_fixed_size: 0
    .sgpr_count:     26
    .sgpr_spill_count: 0
    .symbol:         _ZN12_GLOBAL__N_120geam_min_plus_kernelIDF16_Dv2_DF16_S1_Li32ELi8ELi128ELi128ELi4ELi4ELi64ELi4ELi64ELc84ELc78ELb0ELb0ELb1EDF16_KDF16_DF16_EEviiiT16_PT17_ilS5_ilS3_S5_ilPT18_ili26rocblas_geam_ex_operation_.kd
    .uniform_work_group_size: 1
    .uses_dynamic_stack: false
    .vgpr_count:     154
    .vgpr_spill_count: 0
    .wavefront_size: 32
    .workgroup_processor_mode: 1
  - .args:
      - .offset:         0
        .size:           4
        .value_kind:     by_value
      - .offset:         4
        .size:           4
        .value_kind:     by_value
      - .offset:         8
        .size:           4
        .value_kind:     by_value
      - .address_space:  global
        .offset:         16
        .size:           8
        .value_kind:     global_buffer
      - .address_space:  global
        .offset:         24
        .size:           8
        .value_kind:     global_buffer
      - .offset:         32
        .size:           4
        .value_kind:     by_value
      - .offset:         40
        .size:           8
        .value_kind:     by_value
      - .address_space:  global
        .offset:         48
        .size:           8
        .value_kind:     global_buffer
      - .offset:         56
        .size:           4
        .value_kind:     by_value
      - .offset:         64
        .size:           8
        .value_kind:     by_value
      - .address_space:  global
        .offset:         72
        .size:           8
        .value_kind:     global_buffer
      - .address_space:  global
        .offset:         80
        .size:           8
        .value_kind:     global_buffer
      - .offset:         88
        .size:           4
        .value_kind:     by_value
      - .offset:         96
        .size:           8
        .value_kind:     by_value
      - .address_space:  global
        .offset:         104
        .size:           8
        .value_kind:     global_buffer
      - .offset:         112
        .size:           4
        .value_kind:     by_value
      - .offset:         120
        .size:           8
        .value_kind:     by_value
      - .offset:         128
        .size:           4
        .value_kind:     by_value
      - .offset:         132
        .size:           4
        .value_kind:     by_value
    .group_segment_fixed_size: 4096
    .kernarg_segment_align: 8
    .kernarg_segment_size: 136
    .language:       OpenCL C
    .language_version:
      - 2
      - 0
    .max_flat_workgroup_size: 256
    .name:           _ZN12_GLOBAL__N_120geam_min_plus_kernelIDF16_Dv2_DF16_S1_Li32ELi8ELi128ELi128ELi4ELi4ELi64ELi4ELi64ELc84ELc78ELb0ELb1ELb1EPKDF16_S2_DF16_EEviiiT16_PT17_ilS6_ilS4_S6_ilPT18_ili26rocblas_geam_ex_operation_
    .private_segment_fixed_size: 0
    .sgpr_count:     29
    .sgpr_spill_count: 0
    .symbol:         _ZN12_GLOBAL__N_120geam_min_plus_kernelIDF16_Dv2_DF16_S1_Li32ELi8ELi128ELi128ELi4ELi4ELi64ELi4ELi64ELc84ELc78ELb0ELb1ELb1EPKDF16_S2_DF16_EEviiiT16_PT17_ilS6_ilS4_S6_ilPT18_ili26rocblas_geam_ex_operation_.kd
    .uniform_work_group_size: 1
    .uses_dynamic_stack: false
    .vgpr_count:     158
    .vgpr_spill_count: 0
    .wavefront_size: 32
    .workgroup_processor_mode: 1
  - .args:
      - .offset:         0
        .size:           4
        .value_kind:     by_value
      - .offset:         4
        .size:           4
        .value_kind:     by_value
      - .offset:         8
        .size:           4
        .value_kind:     by_value
      - .offset:         12
        .size:           2
        .value_kind:     by_value
      - .address_space:  global
        .offset:         16
        .size:           8
        .value_kind:     global_buffer
      - .offset:         24
        .size:           4
        .value_kind:     by_value
      - .offset:         32
        .size:           8
        .value_kind:     by_value
      - .address_space:  global
        .offset:         40
        .size:           8
        .value_kind:     global_buffer
      - .offset:         48
        .size:           4
        .value_kind:     by_value
      - .offset:         56
        .size:           8
        .value_kind:     by_value
      - .offset:         64
        .size:           2
        .value_kind:     by_value
      - .address_space:  global
        .offset:         72
        .size:           8
        .value_kind:     global_buffer
      - .offset:         80
        .size:           4
        .value_kind:     by_value
      - .offset:         88
        .size:           8
        .value_kind:     by_value
      - .address_space:  global
        .offset:         96
        .size:           8
        .value_kind:     global_buffer
      - .offset:         104
        .size:           4
        .value_kind:     by_value
      - .offset:         112
        .size:           8
        .value_kind:     by_value
      - .offset:         120
        .size:           4
        .value_kind:     by_value
      - .offset:         124
        .size:           4
        .value_kind:     by_value
    .group_segment_fixed_size: 4096
    .kernarg_segment_align: 8
    .kernarg_segment_size: 128
    .language:       OpenCL C
    .language_version:
      - 2
      - 0
    .max_flat_workgroup_size: 256
    .name:           _ZN12_GLOBAL__N_120geam_min_plus_kernelIDF16_Dv2_DF16_S1_Li32ELi8ELi128ELi128ELi4ELi4ELi64ELi4ELi64ELc84ELc78ELb1ELb1ELb1EDF16_KDF16_DF16_EEviiiT16_PT17_ilS5_ilS3_S5_ilPT18_ili26rocblas_geam_ex_operation_
    .private_segment_fixed_size: 0
    .sgpr_count:     29
    .sgpr_spill_count: 0
    .symbol:         _ZN12_GLOBAL__N_120geam_min_plus_kernelIDF16_Dv2_DF16_S1_Li32ELi8ELi128ELi128ELi4ELi4ELi64ELi4ELi64ELc84ELc78ELb1ELb1ELb1EDF16_KDF16_DF16_EEviiiT16_PT17_ilS5_ilS3_S5_ilPT18_ili26rocblas_geam_ex_operation_.kd
    .uniform_work_group_size: 1
    .uses_dynamic_stack: false
    .vgpr_count:     157
    .vgpr_spill_count: 0
    .wavefront_size: 32
    .workgroup_processor_mode: 1
  - .args:
      - .offset:         0
        .size:           4
        .value_kind:     by_value
      - .offset:         4
        .size:           4
        .value_kind:     by_value
      - .offset:         8
        .size:           4
        .value_kind:     by_value
      - .offset:         12
        .size:           2
        .value_kind:     by_value
      - .address_space:  global
        .offset:         16
        .size:           8
        .value_kind:     global_buffer
      - .offset:         24
        .size:           4
        .value_kind:     by_value
      - .offset:         32
        .size:           8
        .value_kind:     by_value
      - .address_space:  global
        .offset:         40
        .size:           8
        .value_kind:     global_buffer
      - .offset:         48
        .size:           4
        .value_kind:     by_value
      - .offset:         56
        .size:           8
        .value_kind:     by_value
      - .offset:         64
        .size:           2
        .value_kind:     by_value
      - .address_space:  global
        .offset:         72
        .size:           8
        .value_kind:     global_buffer
      - .offset:         80
        .size:           4
        .value_kind:     by_value
      - .offset:         88
        .size:           8
        .value_kind:     by_value
      - .address_space:  global
        .offset:         96
        .size:           8
        .value_kind:     global_buffer
      - .offset:         104
        .size:           4
        .value_kind:     by_value
      - .offset:         112
        .size:           8
        .value_kind:     by_value
      - .offset:         120
        .size:           4
        .value_kind:     by_value
      - .offset:         124
        .size:           4
        .value_kind:     by_value
    .group_segment_fixed_size: 4096
    .kernarg_segment_align: 8
    .kernarg_segment_size: 128
    .language:       OpenCL C
    .language_version:
      - 2
      - 0
    .max_flat_workgroup_size: 256
    .name:           _ZN12_GLOBAL__N_120geam_min_plus_kernelIDF16_Dv2_DF16_S1_Li32ELi8ELi128ELi128ELi4ELi4ELi64ELi4ELi64ELc84ELc78ELb0ELb1ELb1EDF16_KDF16_DF16_EEviiiT16_PT17_ilS5_ilS3_S5_ilPT18_ili26rocblas_geam_ex_operation_
    .private_segment_fixed_size: 0
    .sgpr_count:     32
    .sgpr_spill_count: 0
    .symbol:         _ZN12_GLOBAL__N_120geam_min_plus_kernelIDF16_Dv2_DF16_S1_Li32ELi8ELi128ELi128ELi4ELi4ELi64ELi4ELi64ELc84ELc78ELb0ELb1ELb1EDF16_KDF16_DF16_EEviiiT16_PT17_ilS5_ilS3_S5_ilPT18_ili26rocblas_geam_ex_operation_.kd
    .uniform_work_group_size: 1
    .uses_dynamic_stack: false
    .vgpr_count:     156
    .vgpr_spill_count: 0
    .wavefront_size: 32
    .workgroup_processor_mode: 1
  - .args:
      - .offset:         0
        .size:           4
        .value_kind:     by_value
      - .offset:         4
        .size:           4
        .value_kind:     by_value
      - .offset:         8
        .size:           4
        .value_kind:     by_value
      - .address_space:  global
        .offset:         16
        .size:           8
        .value_kind:     global_buffer
      - .address_space:  global
        .offset:         24
        .size:           8
        .value_kind:     global_buffer
      - .offset:         32
        .size:           4
        .value_kind:     by_value
      - .offset:         40
        .size:           8
        .value_kind:     by_value
      - .address_space:  global
        .offset:         48
        .size:           8
        .value_kind:     global_buffer
      - .offset:         56
        .size:           4
        .value_kind:     by_value
      - .offset:         64
        .size:           8
        .value_kind:     by_value
      - .address_space:  global
        .offset:         72
        .size:           8
        .value_kind:     global_buffer
      - .address_space:  global
        .offset:         80
        .size:           8
        .value_kind:     global_buffer
      - .offset:         88
        .size:           4
        .value_kind:     by_value
      - .offset:         96
        .size:           8
        .value_kind:     by_value
      - .address_space:  global
        .offset:         104
        .size:           8
        .value_kind:     global_buffer
      - .offset:         112
        .size:           4
        .value_kind:     by_value
      - .offset:         120
        .size:           8
        .value_kind:     by_value
      - .offset:         128
        .size:           4
        .value_kind:     by_value
      - .offset:         132
        .size:           4
        .value_kind:     by_value
    .group_segment_fixed_size: 5120
    .kernarg_segment_align: 8
    .kernarg_segment_size: 136
    .language:       OpenCL C
    .language_version:
      - 2
      - 0
    .max_flat_workgroup_size: 256
    .name:           _ZN12_GLOBAL__N_120geam_min_plus_kernelIDF16_Dv2_DF16_S1_Li8ELi32ELi64ELi256ELi4ELi64ELi4ELi64ELi4ELc78ELc84ELb0ELb0ELb1EPKDF16_S2_DF16_EEviiiT16_PT17_ilS6_ilS4_S6_ilPT18_ili26rocblas_geam_ex_operation_
    .private_segment_fixed_size: 0
    .sgpr_count:     28
    .sgpr_spill_count: 0
    .symbol:         _ZN12_GLOBAL__N_120geam_min_plus_kernelIDF16_Dv2_DF16_S1_Li8ELi32ELi64ELi256ELi4ELi64ELi4ELi64ELi4ELc78ELc84ELb0ELb0ELb1EPKDF16_S2_DF16_EEviiiT16_PT17_ilS6_ilS4_S6_ilPT18_ili26rocblas_geam_ex_operation_.kd
    .uniform_work_group_size: 1
    .uses_dynamic_stack: false
    .vgpr_count:     155
    .vgpr_spill_count: 0
    .wavefront_size: 32
    .workgroup_processor_mode: 1
  - .args:
      - .offset:         0
        .size:           4
        .value_kind:     by_value
      - .offset:         4
        .size:           4
        .value_kind:     by_value
      - .offset:         8
        .size:           4
        .value_kind:     by_value
      - .offset:         12
        .size:           2
        .value_kind:     by_value
      - .address_space:  global
        .offset:         16
        .size:           8
        .value_kind:     global_buffer
      - .offset:         24
        .size:           4
        .value_kind:     by_value
      - .offset:         32
        .size:           8
        .value_kind:     by_value
      - .address_space:  global
        .offset:         40
        .size:           8
        .value_kind:     global_buffer
      - .offset:         48
        .size:           4
        .value_kind:     by_value
      - .offset:         56
        .size:           8
        .value_kind:     by_value
      - .offset:         64
        .size:           2
        .value_kind:     by_value
      - .address_space:  global
        .offset:         72
        .size:           8
        .value_kind:     global_buffer
      - .offset:         80
        .size:           4
        .value_kind:     by_value
      - .offset:         88
        .size:           8
        .value_kind:     by_value
      - .address_space:  global
        .offset:         96
        .size:           8
        .value_kind:     global_buffer
      - .offset:         104
        .size:           4
        .value_kind:     by_value
      - .offset:         112
        .size:           8
        .value_kind:     by_value
      - .offset:         120
        .size:           4
        .value_kind:     by_value
      - .offset:         124
        .size:           4
        .value_kind:     by_value
    .group_segment_fixed_size: 5120
    .kernarg_segment_align: 8
    .kernarg_segment_size: 128
    .language:       OpenCL C
    .language_version:
      - 2
      - 0
    .max_flat_workgroup_size: 256
    .name:           _ZN12_GLOBAL__N_120geam_min_plus_kernelIDF16_Dv2_DF16_S1_Li8ELi32ELi64ELi256ELi4ELi64ELi4ELi64ELi4ELc78ELc84ELb1ELb0ELb1EDF16_KDF16_DF16_EEviiiT16_PT17_ilS5_ilS3_S5_ilPT18_ili26rocblas_geam_ex_operation_
    .private_segment_fixed_size: 380
    .sgpr_count:     25
    .sgpr_spill_count: 0
    .symbol:         _ZN12_GLOBAL__N_120geam_min_plus_kernelIDF16_Dv2_DF16_S1_Li8ELi32ELi64ELi256ELi4ELi64ELi4ELi64ELi4ELc78ELc84ELb1ELb0ELb1EDF16_KDF16_DF16_EEviiiT16_PT17_ilS5_ilS3_S5_ilPT18_ili26rocblas_geam_ex_operation_.kd
    .uniform_work_group_size: 1
    .uses_dynamic_stack: false
    .vgpr_count:     256
    .vgpr_spill_count: 94
    .wavefront_size: 32
    .workgroup_processor_mode: 1
  - .args:
      - .offset:         0
        .size:           4
        .value_kind:     by_value
      - .offset:         4
        .size:           4
        .value_kind:     by_value
      - .offset:         8
        .size:           4
        .value_kind:     by_value
      - .offset:         12
        .size:           2
        .value_kind:     by_value
      - .address_space:  global
        .offset:         16
        .size:           8
        .value_kind:     global_buffer
      - .offset:         24
        .size:           4
        .value_kind:     by_value
      - .offset:         32
        .size:           8
        .value_kind:     by_value
      - .address_space:  global
        .offset:         40
        .size:           8
        .value_kind:     global_buffer
      - .offset:         48
        .size:           4
        .value_kind:     by_value
      - .offset:         56
        .size:           8
        .value_kind:     by_value
      - .offset:         64
        .size:           2
        .value_kind:     by_value
      - .address_space:  global
        .offset:         72
        .size:           8
        .value_kind:     global_buffer
      - .offset:         80
        .size:           4
        .value_kind:     by_value
      - .offset:         88
        .size:           8
        .value_kind:     by_value
      - .address_space:  global
        .offset:         96
        .size:           8
        .value_kind:     global_buffer
      - .offset:         104
        .size:           4
        .value_kind:     by_value
      - .offset:         112
        .size:           8
        .value_kind:     by_value
      - .offset:         120
        .size:           4
        .value_kind:     by_value
      - .offset:         124
        .size:           4
        .value_kind:     by_value
    .group_segment_fixed_size: 5120
    .kernarg_segment_align: 8
    .kernarg_segment_size: 128
    .language:       OpenCL C
    .language_version:
      - 2
      - 0
    .max_flat_workgroup_size: 256
    .name:           _ZN12_GLOBAL__N_120geam_min_plus_kernelIDF16_Dv2_DF16_S1_Li8ELi32ELi64ELi256ELi4ELi64ELi4ELi64ELi4ELc78ELc84ELb0ELb0ELb1EDF16_KDF16_DF16_EEviiiT16_PT17_ilS5_ilS3_S5_ilPT18_ili26rocblas_geam_ex_operation_
    .private_segment_fixed_size: 0
    .sgpr_count:     29
    .sgpr_spill_count: 0
    .symbol:         _ZN12_GLOBAL__N_120geam_min_plus_kernelIDF16_Dv2_DF16_S1_Li8ELi32ELi64ELi256ELi4ELi64ELi4ELi64ELi4ELc78ELc84ELb0ELb0ELb1EDF16_KDF16_DF16_EEviiiT16_PT17_ilS5_ilS3_S5_ilPT18_ili26rocblas_geam_ex_operation_.kd
    .uniform_work_group_size: 1
    .uses_dynamic_stack: false
    .vgpr_count:     153
    .vgpr_spill_count: 0
    .wavefront_size: 32
    .workgroup_processor_mode: 1
  - .args:
      - .offset:         0
        .size:           4
        .value_kind:     by_value
      - .offset:         4
        .size:           4
        .value_kind:     by_value
      - .offset:         8
        .size:           4
        .value_kind:     by_value
      - .address_space:  global
        .offset:         16
        .size:           8
        .value_kind:     global_buffer
      - .address_space:  global
        .offset:         24
        .size:           8
        .value_kind:     global_buffer
      - .offset:         32
        .size:           4
        .value_kind:     by_value
      - .offset:         40
        .size:           8
        .value_kind:     by_value
      - .address_space:  global
        .offset:         48
        .size:           8
        .value_kind:     global_buffer
      - .offset:         56
        .size:           4
        .value_kind:     by_value
      - .offset:         64
        .size:           8
        .value_kind:     by_value
      - .address_space:  global
        .offset:         72
        .size:           8
        .value_kind:     global_buffer
      - .address_space:  global
        .offset:         80
        .size:           8
        .value_kind:     global_buffer
      - .offset:         88
        .size:           4
        .value_kind:     by_value
      - .offset:         96
        .size:           8
        .value_kind:     by_value
      - .address_space:  global
        .offset:         104
        .size:           8
        .value_kind:     global_buffer
      - .offset:         112
        .size:           4
        .value_kind:     by_value
      - .offset:         120
        .size:           8
        .value_kind:     by_value
      - .offset:         128
        .size:           4
        .value_kind:     by_value
      - .offset:         132
        .size:           4
        .value_kind:     by_value
    .group_segment_fixed_size: 5120
    .kernarg_segment_align: 8
    .kernarg_segment_size: 136
    .language:       OpenCL C
    .language_version:
      - 2
      - 0
    .max_flat_workgroup_size: 256
    .name:           _ZN12_GLOBAL__N_120geam_min_plus_kernelIDF16_Dv2_DF16_S1_Li8ELi32ELi64ELi256ELi4ELi64ELi4ELi64ELi4ELc78ELc84ELb0ELb1ELb1EPKDF16_S2_DF16_EEviiiT16_PT17_ilS6_ilS4_S6_ilPT18_ili26rocblas_geam_ex_operation_
    .private_segment_fixed_size: 0
    .sgpr_count:     33
    .sgpr_spill_count: 0
    .symbol:         _ZN12_GLOBAL__N_120geam_min_plus_kernelIDF16_Dv2_DF16_S1_Li8ELi32ELi64ELi256ELi4ELi64ELi4ELi64ELi4ELc78ELc84ELb0ELb1ELb1EPKDF16_S2_DF16_EEviiiT16_PT17_ilS6_ilS4_S6_ilPT18_ili26rocblas_geam_ex_operation_.kd
    .uniform_work_group_size: 1
    .uses_dynamic_stack: false
    .vgpr_count:     159
    .vgpr_spill_count: 0
    .wavefront_size: 32
    .workgroup_processor_mode: 1
  - .args:
      - .offset:         0
        .size:           4
        .value_kind:     by_value
      - .offset:         4
        .size:           4
        .value_kind:     by_value
      - .offset:         8
        .size:           4
        .value_kind:     by_value
      - .offset:         12
        .size:           2
        .value_kind:     by_value
      - .address_space:  global
        .offset:         16
        .size:           8
        .value_kind:     global_buffer
      - .offset:         24
        .size:           4
        .value_kind:     by_value
      - .offset:         32
        .size:           8
        .value_kind:     by_value
      - .address_space:  global
        .offset:         40
        .size:           8
        .value_kind:     global_buffer
      - .offset:         48
        .size:           4
        .value_kind:     by_value
      - .offset:         56
        .size:           8
        .value_kind:     by_value
      - .offset:         64
        .size:           2
        .value_kind:     by_value
      - .address_space:  global
        .offset:         72
        .size:           8
        .value_kind:     global_buffer
      - .offset:         80
        .size:           4
        .value_kind:     by_value
      - .offset:         88
        .size:           8
        .value_kind:     by_value
      - .address_space:  global
        .offset:         96
        .size:           8
        .value_kind:     global_buffer
      - .offset:         104
        .size:           4
        .value_kind:     by_value
      - .offset:         112
        .size:           8
        .value_kind:     by_value
      - .offset:         120
        .size:           4
        .value_kind:     by_value
      - .offset:         124
        .size:           4
        .value_kind:     by_value
    .group_segment_fixed_size: 5120
    .kernarg_segment_align: 8
    .kernarg_segment_size: 128
    .language:       OpenCL C
    .language_version:
      - 2
      - 0
    .max_flat_workgroup_size: 256
    .name:           _ZN12_GLOBAL__N_120geam_min_plus_kernelIDF16_Dv2_DF16_S1_Li8ELi32ELi64ELi256ELi4ELi64ELi4ELi64ELi4ELc78ELc84ELb1ELb1ELb1EDF16_KDF16_DF16_EEviiiT16_PT17_ilS5_ilS3_S5_ilPT18_ili26rocblas_geam_ex_operation_
    .private_segment_fixed_size: 0
    .sgpr_count:     32
    .sgpr_spill_count: 0
    .symbol:         _ZN12_GLOBAL__N_120geam_min_plus_kernelIDF16_Dv2_DF16_S1_Li8ELi32ELi64ELi256ELi4ELi64ELi4ELi64ELi4ELc78ELc84ELb1ELb1ELb1EDF16_KDF16_DF16_EEviiiT16_PT17_ilS5_ilS3_S5_ilPT18_ili26rocblas_geam_ex_operation_.kd
    .uniform_work_group_size: 1
    .uses_dynamic_stack: false
    .vgpr_count:     153
    .vgpr_spill_count: 0
    .wavefront_size: 32
    .workgroup_processor_mode: 1
  - .args:
      - .offset:         0
        .size:           4
        .value_kind:     by_value
      - .offset:         4
        .size:           4
        .value_kind:     by_value
      - .offset:         8
        .size:           4
        .value_kind:     by_value
      - .offset:         12
        .size:           2
        .value_kind:     by_value
      - .address_space:  global
        .offset:         16
        .size:           8
        .value_kind:     global_buffer
      - .offset:         24
        .size:           4
        .value_kind:     by_value
      - .offset:         32
        .size:           8
        .value_kind:     by_value
      - .address_space:  global
        .offset:         40
        .size:           8
        .value_kind:     global_buffer
      - .offset:         48
        .size:           4
        .value_kind:     by_value
      - .offset:         56
        .size:           8
        .value_kind:     by_value
      - .offset:         64
        .size:           2
        .value_kind:     by_value
      - .address_space:  global
        .offset:         72
        .size:           8
        .value_kind:     global_buffer
      - .offset:         80
        .size:           4
        .value_kind:     by_value
      - .offset:         88
        .size:           8
        .value_kind:     by_value
      - .address_space:  global
        .offset:         96
        .size:           8
        .value_kind:     global_buffer
      - .offset:         104
        .size:           4
        .value_kind:     by_value
      - .offset:         112
        .size:           8
        .value_kind:     by_value
      - .offset:         120
        .size:           4
        .value_kind:     by_value
      - .offset:         124
        .size:           4
        .value_kind:     by_value
    .group_segment_fixed_size: 5120
    .kernarg_segment_align: 8
    .kernarg_segment_size: 128
    .language:       OpenCL C
    .language_version:
      - 2
      - 0
    .max_flat_workgroup_size: 256
    .name:           _ZN12_GLOBAL__N_120geam_min_plus_kernelIDF16_Dv2_DF16_S1_Li8ELi32ELi64ELi256ELi4ELi64ELi4ELi64ELi4ELc78ELc84ELb0ELb1ELb1EDF16_KDF16_DF16_EEviiiT16_PT17_ilS5_ilS3_S5_ilPT18_ili26rocblas_geam_ex_operation_
    .private_segment_fixed_size: 0
    .sgpr_count:     37
    .sgpr_spill_count: 0
    .symbol:         _ZN12_GLOBAL__N_120geam_min_plus_kernelIDF16_Dv2_DF16_S1_Li8ELi32ELi64ELi256ELi4ELi64ELi4ELi64ELi4ELc78ELc84ELb0ELb1ELb1EDF16_KDF16_DF16_EEviiiT16_PT17_ilS5_ilS3_S5_ilPT18_ili26rocblas_geam_ex_operation_.kd
    .uniform_work_group_size: 1
    .uses_dynamic_stack: false
    .vgpr_count:     157
    .vgpr_spill_count: 0
    .wavefront_size: 32
    .workgroup_processor_mode: 1
  - .args:
      - .offset:         0
        .size:           4
        .value_kind:     by_value
      - .offset:         4
        .size:           4
        .value_kind:     by_value
      - .offset:         8
        .size:           4
        .value_kind:     by_value
      - .address_space:  global
        .offset:         16
        .size:           8
        .value_kind:     global_buffer
      - .address_space:  global
        .offset:         24
        .size:           8
        .value_kind:     global_buffer
      - .offset:         32
        .size:           4
        .value_kind:     by_value
      - .offset:         40
        .size:           8
        .value_kind:     by_value
      - .address_space:  global
        .offset:         48
        .size:           8
        .value_kind:     global_buffer
      - .offset:         56
        .size:           4
        .value_kind:     by_value
      - .offset:         64
        .size:           8
        .value_kind:     by_value
      - .address_space:  global
        .offset:         72
        .size:           8
        .value_kind:     global_buffer
      - .address_space:  global
        .offset:         80
        .size:           8
        .value_kind:     global_buffer
      - .offset:         88
        .size:           4
        .value_kind:     by_value
      - .offset:         96
        .size:           8
        .value_kind:     by_value
      - .address_space:  global
        .offset:         104
        .size:           8
        .value_kind:     global_buffer
      - .offset:         112
        .size:           4
        .value_kind:     by_value
      - .offset:         120
        .size:           8
        .value_kind:     by_value
      - .offset:         128
        .size:           4
        .value_kind:     by_value
      - .offset:         132
        .size:           4
        .value_kind:     by_value
    .group_segment_fixed_size: 5120
    .kernarg_segment_align: 8
    .kernarg_segment_size: 136
    .language:       OpenCL C
    .language_version:
      - 2
      - 0
    .max_flat_workgroup_size: 256
    .name:           _ZN12_GLOBAL__N_120geam_min_plus_kernelIDF16_Dv2_DF16_S1_Li8ELi32ELi64ELi256ELi4ELi4ELi64ELi64ELi4ELc84ELc84ELb0ELb0ELb1EPKDF16_S2_DF16_EEviiiT16_PT17_ilS6_ilS4_S6_ilPT18_ili26rocblas_geam_ex_operation_
    .private_segment_fixed_size: 0
    .sgpr_count:     26
    .sgpr_spill_count: 0
    .symbol:         _ZN12_GLOBAL__N_120geam_min_plus_kernelIDF16_Dv2_DF16_S1_Li8ELi32ELi64ELi256ELi4ELi4ELi64ELi64ELi4ELc84ELc84ELb0ELb0ELb1EPKDF16_S2_DF16_EEviiiT16_PT17_ilS6_ilS4_S6_ilPT18_ili26rocblas_geam_ex_operation_.kd
    .uniform_work_group_size: 1
    .uses_dynamic_stack: false
    .vgpr_count:     164
    .vgpr_spill_count: 0
    .wavefront_size: 32
    .workgroup_processor_mode: 1
  - .args:
      - .offset:         0
        .size:           4
        .value_kind:     by_value
      - .offset:         4
        .size:           4
        .value_kind:     by_value
      - .offset:         8
        .size:           4
        .value_kind:     by_value
      - .offset:         12
        .size:           2
        .value_kind:     by_value
      - .address_space:  global
        .offset:         16
        .size:           8
        .value_kind:     global_buffer
      - .offset:         24
        .size:           4
        .value_kind:     by_value
      - .offset:         32
        .size:           8
        .value_kind:     by_value
      - .address_space:  global
        .offset:         40
        .size:           8
        .value_kind:     global_buffer
      - .offset:         48
        .size:           4
        .value_kind:     by_value
      - .offset:         56
        .size:           8
        .value_kind:     by_value
      - .offset:         64
        .size:           2
        .value_kind:     by_value
      - .address_space:  global
        .offset:         72
        .size:           8
        .value_kind:     global_buffer
      - .offset:         80
        .size:           4
        .value_kind:     by_value
      - .offset:         88
        .size:           8
        .value_kind:     by_value
      - .address_space:  global
        .offset:         96
        .size:           8
        .value_kind:     global_buffer
      - .offset:         104
        .size:           4
        .value_kind:     by_value
      - .offset:         112
        .size:           8
        .value_kind:     by_value
      - .offset:         120
        .size:           4
        .value_kind:     by_value
      - .offset:         124
        .size:           4
        .value_kind:     by_value
    .group_segment_fixed_size: 5120
    .kernarg_segment_align: 8
    .kernarg_segment_size: 128
    .language:       OpenCL C
    .language_version:
      - 2
      - 0
    .max_flat_workgroup_size: 256
    .name:           _ZN12_GLOBAL__N_120geam_min_plus_kernelIDF16_Dv2_DF16_S1_Li8ELi32ELi64ELi256ELi4ELi4ELi64ELi64ELi4ELc84ELc84ELb1ELb0ELb1EDF16_KDF16_DF16_EEviiiT16_PT17_ilS5_ilS3_S5_ilPT18_ili26rocblas_geam_ex_operation_
    .private_segment_fixed_size: 356
    .sgpr_count:     25
    .sgpr_spill_count: 0
    .symbol:         _ZN12_GLOBAL__N_120geam_min_plus_kernelIDF16_Dv2_DF16_S1_Li8ELi32ELi64ELi256ELi4ELi4ELi64ELi64ELi4ELc84ELc84ELb1ELb0ELb1EDF16_KDF16_DF16_EEviiiT16_PT17_ilS5_ilS3_S5_ilPT18_ili26rocblas_geam_ex_operation_.kd
    .uniform_work_group_size: 1
    .uses_dynamic_stack: false
    .vgpr_count:     256
    .vgpr_spill_count: 88
    .wavefront_size: 32
    .workgroup_processor_mode: 1
  - .args:
      - .offset:         0
        .size:           4
        .value_kind:     by_value
      - .offset:         4
        .size:           4
        .value_kind:     by_value
      - .offset:         8
        .size:           4
        .value_kind:     by_value
      - .offset:         12
        .size:           2
        .value_kind:     by_value
      - .address_space:  global
        .offset:         16
        .size:           8
        .value_kind:     global_buffer
      - .offset:         24
        .size:           4
        .value_kind:     by_value
      - .offset:         32
        .size:           8
        .value_kind:     by_value
      - .address_space:  global
        .offset:         40
        .size:           8
        .value_kind:     global_buffer
      - .offset:         48
        .size:           4
        .value_kind:     by_value
      - .offset:         56
        .size:           8
        .value_kind:     by_value
      - .offset:         64
        .size:           2
        .value_kind:     by_value
      - .address_space:  global
        .offset:         72
        .size:           8
        .value_kind:     global_buffer
      - .offset:         80
        .size:           4
        .value_kind:     by_value
      - .offset:         88
        .size:           8
        .value_kind:     by_value
      - .address_space:  global
        .offset:         96
        .size:           8
        .value_kind:     global_buffer
      - .offset:         104
        .size:           4
        .value_kind:     by_value
      - .offset:         112
        .size:           8
        .value_kind:     by_value
      - .offset:         120
        .size:           4
        .value_kind:     by_value
      - .offset:         124
        .size:           4
        .value_kind:     by_value
    .group_segment_fixed_size: 5120
    .kernarg_segment_align: 8
    .kernarg_segment_size: 128
    .language:       OpenCL C
    .language_version:
      - 2
      - 0
    .max_flat_workgroup_size: 256
    .name:           _ZN12_GLOBAL__N_120geam_min_plus_kernelIDF16_Dv2_DF16_S1_Li8ELi32ELi64ELi256ELi4ELi4ELi64ELi64ELi4ELc84ELc84ELb0ELb0ELb1EDF16_KDF16_DF16_EEviiiT16_PT17_ilS5_ilS3_S5_ilPT18_ili26rocblas_geam_ex_operation_
    .private_segment_fixed_size: 0
    .sgpr_count:     27
    .sgpr_spill_count: 0
    .symbol:         _ZN12_GLOBAL__N_120geam_min_plus_kernelIDF16_Dv2_DF16_S1_Li8ELi32ELi64ELi256ELi4ELi4ELi64ELi64ELi4ELc84ELc84ELb0ELb0ELb1EDF16_KDF16_DF16_EEviiiT16_PT17_ilS5_ilS3_S5_ilPT18_ili26rocblas_geam_ex_operation_.kd
    .uniform_work_group_size: 1
    .uses_dynamic_stack: false
    .vgpr_count:     163
    .vgpr_spill_count: 0
    .wavefront_size: 32
    .workgroup_processor_mode: 1
  - .args:
      - .offset:         0
        .size:           4
        .value_kind:     by_value
      - .offset:         4
        .size:           4
        .value_kind:     by_value
      - .offset:         8
        .size:           4
        .value_kind:     by_value
      - .address_space:  global
        .offset:         16
        .size:           8
        .value_kind:     global_buffer
      - .address_space:  global
        .offset:         24
        .size:           8
        .value_kind:     global_buffer
      - .offset:         32
        .size:           4
        .value_kind:     by_value
      - .offset:         40
        .size:           8
        .value_kind:     by_value
      - .address_space:  global
        .offset:         48
        .size:           8
        .value_kind:     global_buffer
      - .offset:         56
        .size:           4
        .value_kind:     by_value
      - .offset:         64
        .size:           8
        .value_kind:     by_value
      - .address_space:  global
        .offset:         72
        .size:           8
        .value_kind:     global_buffer
      - .address_space:  global
        .offset:         80
        .size:           8
        .value_kind:     global_buffer
      - .offset:         88
        .size:           4
        .value_kind:     by_value
      - .offset:         96
        .size:           8
        .value_kind:     by_value
      - .address_space:  global
        .offset:         104
        .size:           8
        .value_kind:     global_buffer
      - .offset:         112
        .size:           4
        .value_kind:     by_value
      - .offset:         120
        .size:           8
        .value_kind:     by_value
      - .offset:         128
        .size:           4
        .value_kind:     by_value
      - .offset:         132
        .size:           4
        .value_kind:     by_value
    .group_segment_fixed_size: 5120
    .kernarg_segment_align: 8
    .kernarg_segment_size: 136
    .language:       OpenCL C
    .language_version:
      - 2
      - 0
    .max_flat_workgroup_size: 256
    .name:           _ZN12_GLOBAL__N_120geam_min_plus_kernelIDF16_Dv2_DF16_S1_Li8ELi32ELi64ELi256ELi4ELi4ELi64ELi64ELi4ELc84ELc84ELb0ELb1ELb1EPKDF16_S2_DF16_EEviiiT16_PT17_ilS6_ilS4_S6_ilPT18_ili26rocblas_geam_ex_operation_
    .private_segment_fixed_size: 0
    .sgpr_count:     30
    .sgpr_spill_count: 0
    .symbol:         _ZN12_GLOBAL__N_120geam_min_plus_kernelIDF16_Dv2_DF16_S1_Li8ELi32ELi64ELi256ELi4ELi4ELi64ELi64ELi4ELc84ELc84ELb0ELb1ELb1EPKDF16_S2_DF16_EEviiiT16_PT17_ilS6_ilS4_S6_ilPT18_ili26rocblas_geam_ex_operation_.kd
    .uniform_work_group_size: 1
    .uses_dynamic_stack: false
    .vgpr_count:     156
    .vgpr_spill_count: 0
    .wavefront_size: 32
    .workgroup_processor_mode: 1
  - .args:
      - .offset:         0
        .size:           4
        .value_kind:     by_value
      - .offset:         4
        .size:           4
        .value_kind:     by_value
      - .offset:         8
        .size:           4
        .value_kind:     by_value
      - .offset:         12
        .size:           2
        .value_kind:     by_value
      - .address_space:  global
        .offset:         16
        .size:           8
        .value_kind:     global_buffer
      - .offset:         24
        .size:           4
        .value_kind:     by_value
      - .offset:         32
        .size:           8
        .value_kind:     by_value
      - .address_space:  global
        .offset:         40
        .size:           8
        .value_kind:     global_buffer
      - .offset:         48
        .size:           4
        .value_kind:     by_value
      - .offset:         56
        .size:           8
        .value_kind:     by_value
      - .offset:         64
        .size:           2
        .value_kind:     by_value
      - .address_space:  global
        .offset:         72
        .size:           8
        .value_kind:     global_buffer
      - .offset:         80
        .size:           4
        .value_kind:     by_value
      - .offset:         88
        .size:           8
        .value_kind:     by_value
      - .address_space:  global
        .offset:         96
        .size:           8
        .value_kind:     global_buffer
      - .offset:         104
        .size:           4
        .value_kind:     by_value
      - .offset:         112
        .size:           8
        .value_kind:     by_value
      - .offset:         120
        .size:           4
        .value_kind:     by_value
      - .offset:         124
        .size:           4
        .value_kind:     by_value
    .group_segment_fixed_size: 5120
    .kernarg_segment_align: 8
    .kernarg_segment_size: 128
    .language:       OpenCL C
    .language_version:
      - 2
      - 0
    .max_flat_workgroup_size: 256
    .name:           _ZN12_GLOBAL__N_120geam_min_plus_kernelIDF16_Dv2_DF16_S1_Li8ELi32ELi64ELi256ELi4ELi4ELi64ELi64ELi4ELc84ELc84ELb1ELb1ELb1EDF16_KDF16_DF16_EEviiiT16_PT17_ilS5_ilS3_S5_ilPT18_ili26rocblas_geam_ex_operation_
    .private_segment_fixed_size: 0
    .sgpr_count:     33
    .sgpr_spill_count: 0
    .symbol:         _ZN12_GLOBAL__N_120geam_min_plus_kernelIDF16_Dv2_DF16_S1_Li8ELi32ELi64ELi256ELi4ELi4ELi64ELi64ELi4ELc84ELc84ELb1ELb1ELb1EDF16_KDF16_DF16_EEviiiT16_PT17_ilS5_ilS3_S5_ilPT18_ili26rocblas_geam_ex_operation_.kd
    .uniform_work_group_size: 1
    .uses_dynamic_stack: false
    .vgpr_count:     150
    .vgpr_spill_count: 0
    .wavefront_size: 32
    .workgroup_processor_mode: 1
  - .args:
      - .offset:         0
        .size:           4
        .value_kind:     by_value
      - .offset:         4
        .size:           4
        .value_kind:     by_value
      - .offset:         8
        .size:           4
        .value_kind:     by_value
      - .offset:         12
        .size:           2
        .value_kind:     by_value
      - .address_space:  global
        .offset:         16
        .size:           8
        .value_kind:     global_buffer
      - .offset:         24
        .size:           4
        .value_kind:     by_value
      - .offset:         32
        .size:           8
        .value_kind:     by_value
      - .address_space:  global
        .offset:         40
        .size:           8
        .value_kind:     global_buffer
      - .offset:         48
        .size:           4
        .value_kind:     by_value
      - .offset:         56
        .size:           8
        .value_kind:     by_value
      - .offset:         64
        .size:           2
        .value_kind:     by_value
      - .address_space:  global
        .offset:         72
        .size:           8
        .value_kind:     global_buffer
      - .offset:         80
        .size:           4
        .value_kind:     by_value
      - .offset:         88
        .size:           8
        .value_kind:     by_value
      - .address_space:  global
        .offset:         96
        .size:           8
        .value_kind:     global_buffer
      - .offset:         104
        .size:           4
        .value_kind:     by_value
      - .offset:         112
        .size:           8
        .value_kind:     by_value
      - .offset:         120
        .size:           4
        .value_kind:     by_value
      - .offset:         124
        .size:           4
        .value_kind:     by_value
    .group_segment_fixed_size: 5120
    .kernarg_segment_align: 8
    .kernarg_segment_size: 128
    .language:       OpenCL C
    .language_version:
      - 2
      - 0
    .max_flat_workgroup_size: 256
    .name:           _ZN12_GLOBAL__N_120geam_min_plus_kernelIDF16_Dv2_DF16_S1_Li8ELi32ELi64ELi256ELi4ELi4ELi64ELi64ELi4ELc84ELc84ELb0ELb1ELb1EDF16_KDF16_DF16_EEviiiT16_PT17_ilS5_ilS3_S5_ilPT18_ili26rocblas_geam_ex_operation_
    .private_segment_fixed_size: 0
    .sgpr_count:     33
    .sgpr_spill_count: 0
    .symbol:         _ZN12_GLOBAL__N_120geam_min_plus_kernelIDF16_Dv2_DF16_S1_Li8ELi32ELi64ELi256ELi4ELi4ELi64ELi64ELi4ELc84ELc84ELb0ELb1ELb1EDF16_KDF16_DF16_EEviiiT16_PT17_ilS5_ilS3_S5_ilPT18_ili26rocblas_geam_ex_operation_.kd
    .uniform_work_group_size: 1
    .uses_dynamic_stack: false
    .vgpr_count:     154
    .vgpr_spill_count: 0
    .wavefront_size: 32
    .workgroup_processor_mode: 1
  - .args:
      - .offset:         0
        .size:           4
        .value_kind:     by_value
      - .offset:         4
        .size:           4
        .value_kind:     by_value
      - .offset:         8
        .size:           4
        .value_kind:     by_value
      - .address_space:  global
        .offset:         16
        .size:           8
        .value_kind:     global_buffer
      - .address_space:  global
        .offset:         24
        .size:           8
        .value_kind:     global_buffer
      - .offset:         32
        .size:           4
        .value_kind:     by_value
      - .offset:         40
        .size:           8
        .value_kind:     by_value
      - .address_space:  global
        .offset:         48
        .size:           8
        .value_kind:     global_buffer
      - .offset:         56
        .size:           4
        .value_kind:     by_value
      - .offset:         64
        .size:           8
        .value_kind:     by_value
      - .address_space:  global
        .offset:         72
        .size:           8
        .value_kind:     global_buffer
      - .address_space:  global
        .offset:         80
        .size:           8
        .value_kind:     global_buffer
      - .offset:         88
        .size:           4
        .value_kind:     by_value
      - .offset:         96
        .size:           8
        .value_kind:     by_value
      - .address_space:  global
        .offset:         104
        .size:           8
        .value_kind:     global_buffer
      - .offset:         112
        .size:           4
        .value_kind:     by_value
      - .offset:         120
        .size:           8
        .value_kind:     by_value
      - .offset:         128
        .size:           4
        .value_kind:     by_value
      - .offset:         132
        .size:           4
        .value_kind:     by_value
    .group_segment_fixed_size: 3072
    .kernarg_segment_align: 8
    .kernarg_segment_size: 136
    .language:       OpenCL C
    .language_version:
      - 2
      - 0
    .max_flat_workgroup_size: 256
    .name:           _ZN12_GLOBAL__N_120geam_min_plus_kernelIDF16_Dv2_DF16_S1_Li8ELi32ELi64ELi128ELi4ELi64ELi4ELi4ELi64ELc78ELc78ELb0ELb0ELb0EPKDF16_S2_DF16_EEviiiT16_PT17_ilS6_ilS4_S6_ilPT18_ili26rocblas_geam_ex_operation_
    .private_segment_fixed_size: 0
    .sgpr_count:     26
    .sgpr_spill_count: 0
    .symbol:         _ZN12_GLOBAL__N_120geam_min_plus_kernelIDF16_Dv2_DF16_S1_Li8ELi32ELi64ELi128ELi4ELi64ELi4ELi4ELi64ELc78ELc78ELb0ELb0ELb0EPKDF16_S2_DF16_EEviiiT16_PT17_ilS6_ilS4_S6_ilPT18_ili26rocblas_geam_ex_operation_.kd
    .uniform_work_group_size: 1
    .uses_dynamic_stack: false
    .vgpr_count:     125
    .vgpr_spill_count: 0
    .wavefront_size: 32
    .workgroup_processor_mode: 1
  - .args:
      - .offset:         0
        .size:           4
        .value_kind:     by_value
      - .offset:         4
        .size:           4
        .value_kind:     by_value
      - .offset:         8
        .size:           4
        .value_kind:     by_value
      - .offset:         12
        .size:           2
        .value_kind:     by_value
      - .address_space:  global
        .offset:         16
        .size:           8
        .value_kind:     global_buffer
      - .offset:         24
        .size:           4
        .value_kind:     by_value
      - .offset:         32
        .size:           8
        .value_kind:     by_value
      - .address_space:  global
        .offset:         40
        .size:           8
        .value_kind:     global_buffer
      - .offset:         48
        .size:           4
        .value_kind:     by_value
      - .offset:         56
        .size:           8
        .value_kind:     by_value
      - .offset:         64
        .size:           2
        .value_kind:     by_value
      - .address_space:  global
        .offset:         72
        .size:           8
        .value_kind:     global_buffer
      - .offset:         80
        .size:           4
        .value_kind:     by_value
      - .offset:         88
        .size:           8
        .value_kind:     by_value
      - .address_space:  global
        .offset:         96
        .size:           8
        .value_kind:     global_buffer
      - .offset:         104
        .size:           4
        .value_kind:     by_value
      - .offset:         112
        .size:           8
        .value_kind:     by_value
      - .offset:         120
        .size:           4
        .value_kind:     by_value
      - .offset:         124
        .size:           4
        .value_kind:     by_value
    .group_segment_fixed_size: 3072
    .kernarg_segment_align: 8
    .kernarg_segment_size: 128
    .language:       OpenCL C
    .language_version:
      - 2
      - 0
    .max_flat_workgroup_size: 256
    .name:           _ZN12_GLOBAL__N_120geam_min_plus_kernelIDF16_Dv2_DF16_S1_Li8ELi32ELi64ELi128ELi4ELi64ELi4ELi4ELi64ELc78ELc78ELb1ELb0ELb0EDF16_KDF16_DF16_EEviiiT16_PT17_ilS5_ilS3_S5_ilPT18_ili26rocblas_geam_ex_operation_
    .private_segment_fixed_size: 0
    .sgpr_count:     25
    .sgpr_spill_count: 0
    .symbol:         _ZN12_GLOBAL__N_120geam_min_plus_kernelIDF16_Dv2_DF16_S1_Li8ELi32ELi64ELi128ELi4ELi64ELi4ELi4ELi64ELc78ELc78ELb1ELb0ELb0EDF16_KDF16_DF16_EEviiiT16_PT17_ilS5_ilS3_S5_ilPT18_ili26rocblas_geam_ex_operation_.kd
    .uniform_work_group_size: 1
    .uses_dynamic_stack: false
    .vgpr_count:     91
    .vgpr_spill_count: 0
    .wavefront_size: 32
    .workgroup_processor_mode: 1
  - .args:
      - .offset:         0
        .size:           4
        .value_kind:     by_value
      - .offset:         4
        .size:           4
        .value_kind:     by_value
      - .offset:         8
        .size:           4
        .value_kind:     by_value
      - .offset:         12
        .size:           2
        .value_kind:     by_value
      - .address_space:  global
        .offset:         16
        .size:           8
        .value_kind:     global_buffer
      - .offset:         24
        .size:           4
        .value_kind:     by_value
      - .offset:         32
        .size:           8
        .value_kind:     by_value
      - .address_space:  global
        .offset:         40
        .size:           8
        .value_kind:     global_buffer
      - .offset:         48
        .size:           4
        .value_kind:     by_value
      - .offset:         56
        .size:           8
        .value_kind:     by_value
      - .offset:         64
        .size:           2
        .value_kind:     by_value
      - .address_space:  global
        .offset:         72
        .size:           8
        .value_kind:     global_buffer
      - .offset:         80
        .size:           4
        .value_kind:     by_value
      - .offset:         88
        .size:           8
        .value_kind:     by_value
      - .address_space:  global
        .offset:         96
        .size:           8
        .value_kind:     global_buffer
      - .offset:         104
        .size:           4
        .value_kind:     by_value
      - .offset:         112
        .size:           8
        .value_kind:     by_value
      - .offset:         120
        .size:           4
        .value_kind:     by_value
      - .offset:         124
        .size:           4
        .value_kind:     by_value
    .group_segment_fixed_size: 3072
    .kernarg_segment_align: 8
    .kernarg_segment_size: 128
    .language:       OpenCL C
    .language_version:
      - 2
      - 0
    .max_flat_workgroup_size: 256
    .name:           _ZN12_GLOBAL__N_120geam_min_plus_kernelIDF16_Dv2_DF16_S1_Li8ELi32ELi64ELi128ELi4ELi64ELi4ELi4ELi64ELc78ELc78ELb0ELb0ELb0EDF16_KDF16_DF16_EEviiiT16_PT17_ilS5_ilS3_S5_ilPT18_ili26rocblas_geam_ex_operation_
    .private_segment_fixed_size: 0
    .sgpr_count:     27
    .sgpr_spill_count: 0
    .symbol:         _ZN12_GLOBAL__N_120geam_min_plus_kernelIDF16_Dv2_DF16_S1_Li8ELi32ELi64ELi128ELi4ELi64ELi4ELi4ELi64ELc78ELc78ELb0ELb0ELb0EDF16_KDF16_DF16_EEviiiT16_PT17_ilS5_ilS3_S5_ilPT18_ili26rocblas_geam_ex_operation_.kd
    .uniform_work_group_size: 1
    .uses_dynamic_stack: false
    .vgpr_count:     123
    .vgpr_spill_count: 0
    .wavefront_size: 32
    .workgroup_processor_mode: 1
  - .args:
      - .offset:         0
        .size:           4
        .value_kind:     by_value
      - .offset:         4
        .size:           4
        .value_kind:     by_value
      - .offset:         8
        .size:           4
        .value_kind:     by_value
      - .address_space:  global
        .offset:         16
        .size:           8
        .value_kind:     global_buffer
      - .address_space:  global
        .offset:         24
        .size:           8
        .value_kind:     global_buffer
      - .offset:         32
        .size:           4
        .value_kind:     by_value
      - .offset:         40
        .size:           8
        .value_kind:     by_value
      - .address_space:  global
        .offset:         48
        .size:           8
        .value_kind:     global_buffer
      - .offset:         56
        .size:           4
        .value_kind:     by_value
      - .offset:         64
        .size:           8
        .value_kind:     by_value
      - .address_space:  global
        .offset:         72
        .size:           8
        .value_kind:     global_buffer
      - .address_space:  global
        .offset:         80
        .size:           8
        .value_kind:     global_buffer
      - .offset:         88
        .size:           4
        .value_kind:     by_value
      - .offset:         96
        .size:           8
        .value_kind:     by_value
      - .address_space:  global
        .offset:         104
        .size:           8
        .value_kind:     global_buffer
      - .offset:         112
        .size:           4
        .value_kind:     by_value
      - .offset:         120
        .size:           8
        .value_kind:     by_value
      - .offset:         128
        .size:           4
        .value_kind:     by_value
      - .offset:         132
        .size:           4
        .value_kind:     by_value
    .group_segment_fixed_size: 3072
    .kernarg_segment_align: 8
    .kernarg_segment_size: 136
    .language:       OpenCL C
    .language_version:
      - 2
      - 0
    .max_flat_workgroup_size: 256
    .name:           _ZN12_GLOBAL__N_120geam_min_plus_kernelIDF16_Dv2_DF16_S1_Li8ELi32ELi64ELi128ELi4ELi64ELi4ELi4ELi64ELc78ELc78ELb0ELb1ELb0EPKDF16_S2_DF16_EEviiiT16_PT17_ilS6_ilS4_S6_ilPT18_ili26rocblas_geam_ex_operation_
    .private_segment_fixed_size: 0
    .sgpr_count:     29
    .sgpr_spill_count: 0
    .symbol:         _ZN12_GLOBAL__N_120geam_min_plus_kernelIDF16_Dv2_DF16_S1_Li8ELi32ELi64ELi128ELi4ELi64ELi4ELi4ELi64ELc78ELc78ELb0ELb1ELb0EPKDF16_S2_DF16_EEviiiT16_PT17_ilS6_ilS4_S6_ilPT18_ili26rocblas_geam_ex_operation_.kd
    .uniform_work_group_size: 1
    .uses_dynamic_stack: false
    .vgpr_count:     130
    .vgpr_spill_count: 0
    .wavefront_size: 32
    .workgroup_processor_mode: 1
  - .args:
      - .offset:         0
        .size:           4
        .value_kind:     by_value
      - .offset:         4
        .size:           4
        .value_kind:     by_value
      - .offset:         8
        .size:           4
        .value_kind:     by_value
      - .offset:         12
        .size:           2
        .value_kind:     by_value
      - .address_space:  global
        .offset:         16
        .size:           8
        .value_kind:     global_buffer
      - .offset:         24
        .size:           4
        .value_kind:     by_value
      - .offset:         32
        .size:           8
        .value_kind:     by_value
      - .address_space:  global
        .offset:         40
        .size:           8
        .value_kind:     global_buffer
      - .offset:         48
        .size:           4
        .value_kind:     by_value
      - .offset:         56
        .size:           8
        .value_kind:     by_value
      - .offset:         64
        .size:           2
        .value_kind:     by_value
      - .address_space:  global
        .offset:         72
        .size:           8
        .value_kind:     global_buffer
      - .offset:         80
        .size:           4
        .value_kind:     by_value
      - .offset:         88
        .size:           8
        .value_kind:     by_value
      - .address_space:  global
        .offset:         96
        .size:           8
        .value_kind:     global_buffer
      - .offset:         104
        .size:           4
        .value_kind:     by_value
      - .offset:         112
        .size:           8
        .value_kind:     by_value
      - .offset:         120
        .size:           4
        .value_kind:     by_value
      - .offset:         124
        .size:           4
        .value_kind:     by_value
    .group_segment_fixed_size: 3072
    .kernarg_segment_align: 8
    .kernarg_segment_size: 128
    .language:       OpenCL C
    .language_version:
      - 2
      - 0
    .max_flat_workgroup_size: 256
    .name:           _ZN12_GLOBAL__N_120geam_min_plus_kernelIDF16_Dv2_DF16_S1_Li8ELi32ELi64ELi128ELi4ELi64ELi4ELi4ELi64ELc78ELc78ELb1ELb1ELb0EDF16_KDF16_DF16_EEviiiT16_PT17_ilS5_ilS3_S5_ilPT18_ili26rocblas_geam_ex_operation_
    .private_segment_fixed_size: 0
    .sgpr_count:     29
    .sgpr_spill_count: 0
    .symbol:         _ZN12_GLOBAL__N_120geam_min_plus_kernelIDF16_Dv2_DF16_S1_Li8ELi32ELi64ELi128ELi4ELi64ELi4ELi4ELi64ELc78ELc78ELb1ELb1ELb0EDF16_KDF16_DF16_EEviiiT16_PT17_ilS5_ilS3_S5_ilPT18_ili26rocblas_geam_ex_operation_.kd
    .uniform_work_group_size: 1
    .uses_dynamic_stack: false
    .vgpr_count:     125
    .vgpr_spill_count: 0
    .wavefront_size: 32
    .workgroup_processor_mode: 1
  - .args:
      - .offset:         0
        .size:           4
        .value_kind:     by_value
      - .offset:         4
        .size:           4
        .value_kind:     by_value
      - .offset:         8
        .size:           4
        .value_kind:     by_value
      - .offset:         12
        .size:           2
        .value_kind:     by_value
      - .address_space:  global
        .offset:         16
        .size:           8
        .value_kind:     global_buffer
      - .offset:         24
        .size:           4
        .value_kind:     by_value
      - .offset:         32
        .size:           8
        .value_kind:     by_value
      - .address_space:  global
        .offset:         40
        .size:           8
        .value_kind:     global_buffer
      - .offset:         48
        .size:           4
        .value_kind:     by_value
      - .offset:         56
        .size:           8
        .value_kind:     by_value
      - .offset:         64
        .size:           2
        .value_kind:     by_value
      - .address_space:  global
        .offset:         72
        .size:           8
        .value_kind:     global_buffer
      - .offset:         80
        .size:           4
        .value_kind:     by_value
      - .offset:         88
        .size:           8
        .value_kind:     by_value
      - .address_space:  global
        .offset:         96
        .size:           8
        .value_kind:     global_buffer
      - .offset:         104
        .size:           4
        .value_kind:     by_value
      - .offset:         112
        .size:           8
        .value_kind:     by_value
      - .offset:         120
        .size:           4
        .value_kind:     by_value
      - .offset:         124
        .size:           4
        .value_kind:     by_value
    .group_segment_fixed_size: 3072
    .kernarg_segment_align: 8
    .kernarg_segment_size: 128
    .language:       OpenCL C
    .language_version:
      - 2
      - 0
    .max_flat_workgroup_size: 256
    .name:           _ZN12_GLOBAL__N_120geam_min_plus_kernelIDF16_Dv2_DF16_S1_Li8ELi32ELi64ELi128ELi4ELi64ELi4ELi4ELi64ELc78ELc78ELb0ELb1ELb0EDF16_KDF16_DF16_EEviiiT16_PT17_ilS5_ilS3_S5_ilPT18_ili26rocblas_geam_ex_operation_
    .private_segment_fixed_size: 0
    .sgpr_count:     32
    .sgpr_spill_count: 0
    .symbol:         _ZN12_GLOBAL__N_120geam_min_plus_kernelIDF16_Dv2_DF16_S1_Li8ELi32ELi64ELi128ELi4ELi64ELi4ELi4ELi64ELc78ELc78ELb0ELb1ELb0EDF16_KDF16_DF16_EEviiiT16_PT17_ilS5_ilS3_S5_ilPT18_ili26rocblas_geam_ex_operation_.kd
    .uniform_work_group_size: 1
    .uses_dynamic_stack: false
    .vgpr_count:     128
    .vgpr_spill_count: 0
    .wavefront_size: 32
    .workgroup_processor_mode: 1
  - .args:
      - .offset:         0
        .size:           4
        .value_kind:     by_value
      - .offset:         4
        .size:           4
        .value_kind:     by_value
      - .offset:         8
        .size:           4
        .value_kind:     by_value
      - .address_space:  global
        .offset:         16
        .size:           8
        .value_kind:     global_buffer
      - .address_space:  global
        .offset:         24
        .size:           8
        .value_kind:     global_buffer
      - .offset:         32
        .size:           4
        .value_kind:     by_value
      - .offset:         40
        .size:           8
        .value_kind:     by_value
      - .address_space:  global
        .offset:         48
        .size:           8
        .value_kind:     global_buffer
      - .offset:         56
        .size:           4
        .value_kind:     by_value
      - .offset:         64
        .size:           8
        .value_kind:     by_value
      - .address_space:  global
        .offset:         72
        .size:           8
        .value_kind:     global_buffer
      - .address_space:  global
        .offset:         80
        .size:           8
        .value_kind:     global_buffer
      - .offset:         88
        .size:           4
        .value_kind:     by_value
      - .offset:         96
        .size:           8
        .value_kind:     by_value
      - .address_space:  global
        .offset:         104
        .size:           8
        .value_kind:     global_buffer
      - .offset:         112
        .size:           4
        .value_kind:     by_value
      - .offset:         120
        .size:           8
        .value_kind:     by_value
      - .offset:         128
        .size:           4
        .value_kind:     by_value
      - .offset:         132
        .size:           4
        .value_kind:     by_value
    .group_segment_fixed_size: 3072
    .kernarg_segment_align: 8
    .kernarg_segment_size: 136
    .language:       OpenCL C
    .language_version:
      - 2
      - 0
    .max_flat_workgroup_size: 256
    .name:           _ZN12_GLOBAL__N_120geam_min_plus_kernelIDF16_Dv2_DF16_S1_Li8ELi32ELi64ELi128ELi4ELi4ELi64ELi4ELi64ELc84ELc78ELb0ELb0ELb0EPKDF16_S2_DF16_EEviiiT16_PT17_ilS6_ilS4_S6_ilPT18_ili26rocblas_geam_ex_operation_
    .private_segment_fixed_size: 0
    .sgpr_count:     26
    .sgpr_spill_count: 0
    .symbol:         _ZN12_GLOBAL__N_120geam_min_plus_kernelIDF16_Dv2_DF16_S1_Li8ELi32ELi64ELi128ELi4ELi4ELi64ELi4ELi64ELc84ELc78ELb0ELb0ELb0EPKDF16_S2_DF16_EEviiiT16_PT17_ilS6_ilS4_S6_ilPT18_ili26rocblas_geam_ex_operation_.kd
    .uniform_work_group_size: 1
    .uses_dynamic_stack: false
    .vgpr_count:     121
    .vgpr_spill_count: 0
    .wavefront_size: 32
    .workgroup_processor_mode: 1
  - .args:
      - .offset:         0
        .size:           4
        .value_kind:     by_value
      - .offset:         4
        .size:           4
        .value_kind:     by_value
      - .offset:         8
        .size:           4
        .value_kind:     by_value
      - .offset:         12
        .size:           2
        .value_kind:     by_value
      - .address_space:  global
        .offset:         16
        .size:           8
        .value_kind:     global_buffer
      - .offset:         24
        .size:           4
        .value_kind:     by_value
      - .offset:         32
        .size:           8
        .value_kind:     by_value
      - .address_space:  global
        .offset:         40
        .size:           8
        .value_kind:     global_buffer
      - .offset:         48
        .size:           4
        .value_kind:     by_value
      - .offset:         56
        .size:           8
        .value_kind:     by_value
      - .offset:         64
        .size:           2
        .value_kind:     by_value
      - .address_space:  global
        .offset:         72
        .size:           8
        .value_kind:     global_buffer
      - .offset:         80
        .size:           4
        .value_kind:     by_value
      - .offset:         88
        .size:           8
        .value_kind:     by_value
      - .address_space:  global
        .offset:         96
        .size:           8
        .value_kind:     global_buffer
      - .offset:         104
        .size:           4
        .value_kind:     by_value
      - .offset:         112
        .size:           8
        .value_kind:     by_value
      - .offset:         120
        .size:           4
        .value_kind:     by_value
      - .offset:         124
        .size:           4
        .value_kind:     by_value
    .group_segment_fixed_size: 3072
    .kernarg_segment_align: 8
    .kernarg_segment_size: 128
    .language:       OpenCL C
    .language_version:
      - 2
      - 0
    .max_flat_workgroup_size: 256
    .name:           _ZN12_GLOBAL__N_120geam_min_plus_kernelIDF16_Dv2_DF16_S1_Li8ELi32ELi64ELi128ELi4ELi4ELi64ELi4ELi64ELc84ELc78ELb1ELb0ELb0EDF16_KDF16_DF16_EEviiiT16_PT17_ilS5_ilS3_S5_ilPT18_ili26rocblas_geam_ex_operation_
    .private_segment_fixed_size: 0
    .sgpr_count:     25
    .sgpr_spill_count: 0
    .symbol:         _ZN12_GLOBAL__N_120geam_min_plus_kernelIDF16_Dv2_DF16_S1_Li8ELi32ELi64ELi128ELi4ELi4ELi64ELi4ELi64ELc84ELc78ELb1ELb0ELb0EDF16_KDF16_DF16_EEviiiT16_PT17_ilS5_ilS3_S5_ilPT18_ili26rocblas_geam_ex_operation_.kd
    .uniform_work_group_size: 1
    .uses_dynamic_stack: false
    .vgpr_count:     90
    .vgpr_spill_count: 0
    .wavefront_size: 32
    .workgroup_processor_mode: 1
  - .args:
      - .offset:         0
        .size:           4
        .value_kind:     by_value
      - .offset:         4
        .size:           4
        .value_kind:     by_value
      - .offset:         8
        .size:           4
        .value_kind:     by_value
      - .offset:         12
        .size:           2
        .value_kind:     by_value
      - .address_space:  global
        .offset:         16
        .size:           8
        .value_kind:     global_buffer
      - .offset:         24
        .size:           4
        .value_kind:     by_value
      - .offset:         32
        .size:           8
        .value_kind:     by_value
      - .address_space:  global
        .offset:         40
        .size:           8
        .value_kind:     global_buffer
      - .offset:         48
        .size:           4
        .value_kind:     by_value
      - .offset:         56
        .size:           8
        .value_kind:     by_value
      - .offset:         64
        .size:           2
        .value_kind:     by_value
      - .address_space:  global
        .offset:         72
        .size:           8
        .value_kind:     global_buffer
      - .offset:         80
        .size:           4
        .value_kind:     by_value
      - .offset:         88
        .size:           8
        .value_kind:     by_value
      - .address_space:  global
        .offset:         96
        .size:           8
        .value_kind:     global_buffer
      - .offset:         104
        .size:           4
        .value_kind:     by_value
      - .offset:         112
        .size:           8
        .value_kind:     by_value
      - .offset:         120
        .size:           4
        .value_kind:     by_value
      - .offset:         124
        .size:           4
        .value_kind:     by_value
    .group_segment_fixed_size: 3072
    .kernarg_segment_align: 8
    .kernarg_segment_size: 128
    .language:       OpenCL C
    .language_version:
      - 2
      - 0
    .max_flat_workgroup_size: 256
    .name:           _ZN12_GLOBAL__N_120geam_min_plus_kernelIDF16_Dv2_DF16_S1_Li8ELi32ELi64ELi128ELi4ELi4ELi64ELi4ELi64ELc84ELc78ELb0ELb0ELb0EDF16_KDF16_DF16_EEviiiT16_PT17_ilS5_ilS3_S5_ilPT18_ili26rocblas_geam_ex_operation_
    .private_segment_fixed_size: 0
    .sgpr_count:     26
    .sgpr_spill_count: 0
    .symbol:         _ZN12_GLOBAL__N_120geam_min_plus_kernelIDF16_Dv2_DF16_S1_Li8ELi32ELi64ELi128ELi4ELi4ELi64ELi4ELi64ELc84ELc78ELb0ELb0ELb0EDF16_KDF16_DF16_EEviiiT16_PT17_ilS5_ilS3_S5_ilPT18_ili26rocblas_geam_ex_operation_.kd
    .uniform_work_group_size: 1
    .uses_dynamic_stack: false
    .vgpr_count:     119
    .vgpr_spill_count: 0
    .wavefront_size: 32
    .workgroup_processor_mode: 1
  - .args:
      - .offset:         0
        .size:           4
        .value_kind:     by_value
      - .offset:         4
        .size:           4
        .value_kind:     by_value
      - .offset:         8
        .size:           4
        .value_kind:     by_value
      - .address_space:  global
        .offset:         16
        .size:           8
        .value_kind:     global_buffer
      - .address_space:  global
        .offset:         24
        .size:           8
        .value_kind:     global_buffer
      - .offset:         32
        .size:           4
        .value_kind:     by_value
      - .offset:         40
        .size:           8
        .value_kind:     by_value
      - .address_space:  global
        .offset:         48
        .size:           8
        .value_kind:     global_buffer
      - .offset:         56
        .size:           4
        .value_kind:     by_value
      - .offset:         64
        .size:           8
        .value_kind:     by_value
      - .address_space:  global
        .offset:         72
        .size:           8
        .value_kind:     global_buffer
      - .address_space:  global
        .offset:         80
        .size:           8
        .value_kind:     global_buffer
      - .offset:         88
        .size:           4
        .value_kind:     by_value
      - .offset:         96
        .size:           8
        .value_kind:     by_value
      - .address_space:  global
        .offset:         104
        .size:           8
        .value_kind:     global_buffer
      - .offset:         112
        .size:           4
        .value_kind:     by_value
      - .offset:         120
        .size:           8
        .value_kind:     by_value
      - .offset:         128
        .size:           4
        .value_kind:     by_value
      - .offset:         132
        .size:           4
        .value_kind:     by_value
    .group_segment_fixed_size: 3072
    .kernarg_segment_align: 8
    .kernarg_segment_size: 136
    .language:       OpenCL C
    .language_version:
      - 2
      - 0
    .max_flat_workgroup_size: 256
    .name:           _ZN12_GLOBAL__N_120geam_min_plus_kernelIDF16_Dv2_DF16_S1_Li8ELi32ELi64ELi128ELi4ELi4ELi64ELi4ELi64ELc84ELc78ELb0ELb1ELb0EPKDF16_S2_DF16_EEviiiT16_PT17_ilS6_ilS4_S6_ilPT18_ili26rocblas_geam_ex_operation_
    .private_segment_fixed_size: 0
    .sgpr_count:     30
    .sgpr_spill_count: 0
    .symbol:         _ZN12_GLOBAL__N_120geam_min_plus_kernelIDF16_Dv2_DF16_S1_Li8ELi32ELi64ELi128ELi4ELi4ELi64ELi4ELi64ELc84ELc78ELb0ELb1ELb0EPKDF16_S2_DF16_EEviiiT16_PT17_ilS6_ilS4_S6_ilPT18_ili26rocblas_geam_ex_operation_.kd
    .uniform_work_group_size: 1
    .uses_dynamic_stack: false
    .vgpr_count:     123
    .vgpr_spill_count: 0
    .wavefront_size: 32
    .workgroup_processor_mode: 1
  - .args:
      - .offset:         0
        .size:           4
        .value_kind:     by_value
      - .offset:         4
        .size:           4
        .value_kind:     by_value
      - .offset:         8
        .size:           4
        .value_kind:     by_value
      - .offset:         12
        .size:           2
        .value_kind:     by_value
      - .address_space:  global
        .offset:         16
        .size:           8
        .value_kind:     global_buffer
      - .offset:         24
        .size:           4
        .value_kind:     by_value
      - .offset:         32
        .size:           8
        .value_kind:     by_value
      - .address_space:  global
        .offset:         40
        .size:           8
        .value_kind:     global_buffer
      - .offset:         48
        .size:           4
        .value_kind:     by_value
      - .offset:         56
        .size:           8
        .value_kind:     by_value
      - .offset:         64
        .size:           2
        .value_kind:     by_value
      - .address_space:  global
        .offset:         72
        .size:           8
        .value_kind:     global_buffer
      - .offset:         80
        .size:           4
        .value_kind:     by_value
      - .offset:         88
        .size:           8
        .value_kind:     by_value
      - .address_space:  global
        .offset:         96
        .size:           8
        .value_kind:     global_buffer
      - .offset:         104
        .size:           4
        .value_kind:     by_value
      - .offset:         112
        .size:           8
        .value_kind:     by_value
      - .offset:         120
        .size:           4
        .value_kind:     by_value
      - .offset:         124
        .size:           4
        .value_kind:     by_value
    .group_segment_fixed_size: 3072
    .kernarg_segment_align: 8
    .kernarg_segment_size: 128
    .language:       OpenCL C
    .language_version:
      - 2
      - 0
    .max_flat_workgroup_size: 256
    .name:           _ZN12_GLOBAL__N_120geam_min_plus_kernelIDF16_Dv2_DF16_S1_Li8ELi32ELi64ELi128ELi4ELi4ELi64ELi4ELi64ELc84ELc78ELb1ELb1ELb0EDF16_KDF16_DF16_EEviiiT16_PT17_ilS5_ilS3_S5_ilPT18_ili26rocblas_geam_ex_operation_
    .private_segment_fixed_size: 0
    .sgpr_count:     30
    .sgpr_spill_count: 0
    .symbol:         _ZN12_GLOBAL__N_120geam_min_plus_kernelIDF16_Dv2_DF16_S1_Li8ELi32ELi64ELi128ELi4ELi4ELi64ELi4ELi64ELc84ELc78ELb1ELb1ELb0EDF16_KDF16_DF16_EEviiiT16_PT17_ilS5_ilS3_S5_ilPT18_ili26rocblas_geam_ex_operation_.kd
    .uniform_work_group_size: 1
    .uses_dynamic_stack: false
    .vgpr_count:     120
    .vgpr_spill_count: 0
    .wavefront_size: 32
    .workgroup_processor_mode: 1
  - .args:
      - .offset:         0
        .size:           4
        .value_kind:     by_value
      - .offset:         4
        .size:           4
        .value_kind:     by_value
      - .offset:         8
        .size:           4
        .value_kind:     by_value
      - .offset:         12
        .size:           2
        .value_kind:     by_value
      - .address_space:  global
        .offset:         16
        .size:           8
        .value_kind:     global_buffer
      - .offset:         24
        .size:           4
        .value_kind:     by_value
      - .offset:         32
        .size:           8
        .value_kind:     by_value
      - .address_space:  global
        .offset:         40
        .size:           8
        .value_kind:     global_buffer
      - .offset:         48
        .size:           4
        .value_kind:     by_value
      - .offset:         56
        .size:           8
        .value_kind:     by_value
      - .offset:         64
        .size:           2
        .value_kind:     by_value
      - .address_space:  global
        .offset:         72
        .size:           8
        .value_kind:     global_buffer
      - .offset:         80
        .size:           4
        .value_kind:     by_value
      - .offset:         88
        .size:           8
        .value_kind:     by_value
      - .address_space:  global
        .offset:         96
        .size:           8
        .value_kind:     global_buffer
      - .offset:         104
        .size:           4
        .value_kind:     by_value
      - .offset:         112
        .size:           8
        .value_kind:     by_value
      - .offset:         120
        .size:           4
        .value_kind:     by_value
      - .offset:         124
        .size:           4
        .value_kind:     by_value
    .group_segment_fixed_size: 3072
    .kernarg_segment_align: 8
    .kernarg_segment_size: 128
    .language:       OpenCL C
    .language_version:
      - 2
      - 0
    .max_flat_workgroup_size: 256
    .name:           _ZN12_GLOBAL__N_120geam_min_plus_kernelIDF16_Dv2_DF16_S1_Li8ELi32ELi64ELi128ELi4ELi4ELi64ELi4ELi64ELc84ELc78ELb0ELb1ELb0EDF16_KDF16_DF16_EEviiiT16_PT17_ilS5_ilS3_S5_ilPT18_ili26rocblas_geam_ex_operation_
    .private_segment_fixed_size: 0
    .sgpr_count:     33
    .sgpr_spill_count: 0
    .symbol:         _ZN12_GLOBAL__N_120geam_min_plus_kernelIDF16_Dv2_DF16_S1_Li8ELi32ELi64ELi128ELi4ELi4ELi64ELi4ELi64ELc84ELc78ELb0ELb1ELb0EDF16_KDF16_DF16_EEviiiT16_PT17_ilS5_ilS3_S5_ilPT18_ili26rocblas_geam_ex_operation_.kd
    .uniform_work_group_size: 1
    .uses_dynamic_stack: false
    .vgpr_count:     121
    .vgpr_spill_count: 0
    .wavefront_size: 32
    .workgroup_processor_mode: 1
  - .args:
      - .offset:         0
        .size:           4
        .value_kind:     by_value
      - .offset:         4
        .size:           4
        .value_kind:     by_value
      - .offset:         8
        .size:           4
        .value_kind:     by_value
      - .address_space:  global
        .offset:         16
        .size:           8
        .value_kind:     global_buffer
      - .address_space:  global
        .offset:         24
        .size:           8
        .value_kind:     global_buffer
      - .offset:         32
        .size:           4
        .value_kind:     by_value
      - .offset:         40
        .size:           8
        .value_kind:     by_value
      - .address_space:  global
        .offset:         48
        .size:           8
        .value_kind:     global_buffer
      - .offset:         56
        .size:           4
        .value_kind:     by_value
      - .offset:         64
        .size:           8
        .value_kind:     by_value
      - .address_space:  global
        .offset:         72
        .size:           8
        .value_kind:     global_buffer
      - .address_space:  global
        .offset:         80
        .size:           8
        .value_kind:     global_buffer
      - .offset:         88
        .size:           4
        .value_kind:     by_value
      - .offset:         96
        .size:           8
        .value_kind:     by_value
      - .address_space:  global
        .offset:         104
        .size:           8
        .value_kind:     global_buffer
      - .offset:         112
        .size:           4
        .value_kind:     by_value
      - .offset:         120
        .size:           8
        .value_kind:     by_value
      - .offset:         128
        .size:           4
        .value_kind:     by_value
      - .offset:         132
        .size:           4
        .value_kind:     by_value
    .group_segment_fixed_size: 3072
    .kernarg_segment_align: 8
    .kernarg_segment_size: 136
    .language:       OpenCL C
    .language_version:
      - 2
      - 0
    .max_flat_workgroup_size: 256
    .name:           _ZN12_GLOBAL__N_120geam_min_plus_kernelIDF16_Dv2_DF16_S1_Li8ELi32ELi64ELi128ELi4ELi64ELi4ELi64ELi4ELc78ELc84ELb0ELb0ELb0EPKDF16_S2_DF16_EEviiiT16_PT17_ilS6_ilS4_S6_ilPT18_ili26rocblas_geam_ex_operation_
    .private_segment_fixed_size: 0
    .sgpr_count:     26
    .sgpr_spill_count: 0
    .symbol:         _ZN12_GLOBAL__N_120geam_min_plus_kernelIDF16_Dv2_DF16_S1_Li8ELi32ELi64ELi128ELi4ELi64ELi4ELi64ELi4ELc78ELc84ELb0ELb0ELb0EPKDF16_S2_DF16_EEviiiT16_PT17_ilS6_ilS4_S6_ilPT18_ili26rocblas_geam_ex_operation_.kd
    .uniform_work_group_size: 1
    .uses_dynamic_stack: false
    .vgpr_count:     126
    .vgpr_spill_count: 0
    .wavefront_size: 32
    .workgroup_processor_mode: 1
  - .args:
      - .offset:         0
        .size:           4
        .value_kind:     by_value
      - .offset:         4
        .size:           4
        .value_kind:     by_value
      - .offset:         8
        .size:           4
        .value_kind:     by_value
      - .offset:         12
        .size:           2
        .value_kind:     by_value
      - .address_space:  global
        .offset:         16
        .size:           8
        .value_kind:     global_buffer
      - .offset:         24
        .size:           4
        .value_kind:     by_value
      - .offset:         32
        .size:           8
        .value_kind:     by_value
      - .address_space:  global
        .offset:         40
        .size:           8
        .value_kind:     global_buffer
      - .offset:         48
        .size:           4
        .value_kind:     by_value
      - .offset:         56
        .size:           8
        .value_kind:     by_value
      - .offset:         64
        .size:           2
        .value_kind:     by_value
      - .address_space:  global
        .offset:         72
        .size:           8
        .value_kind:     global_buffer
      - .offset:         80
        .size:           4
        .value_kind:     by_value
      - .offset:         88
        .size:           8
        .value_kind:     by_value
      - .address_space:  global
        .offset:         96
        .size:           8
        .value_kind:     global_buffer
      - .offset:         104
        .size:           4
        .value_kind:     by_value
      - .offset:         112
        .size:           8
        .value_kind:     by_value
      - .offset:         120
        .size:           4
        .value_kind:     by_value
      - .offset:         124
        .size:           4
        .value_kind:     by_value
    .group_segment_fixed_size: 3072
    .kernarg_segment_align: 8
    .kernarg_segment_size: 128
    .language:       OpenCL C
    .language_version:
      - 2
      - 0
    .max_flat_workgroup_size: 256
    .name:           _ZN12_GLOBAL__N_120geam_min_plus_kernelIDF16_Dv2_DF16_S1_Li8ELi32ELi64ELi128ELi4ELi64ELi4ELi64ELi4ELc78ELc84ELb1ELb0ELb0EDF16_KDF16_DF16_EEviiiT16_PT17_ilS5_ilS3_S5_ilPT18_ili26rocblas_geam_ex_operation_
    .private_segment_fixed_size: 0
    .sgpr_count:     25
    .sgpr_spill_count: 0
    .symbol:         _ZN12_GLOBAL__N_120geam_min_plus_kernelIDF16_Dv2_DF16_S1_Li8ELi32ELi64ELi128ELi4ELi64ELi4ELi64ELi4ELc78ELc84ELb1ELb0ELb0EDF16_KDF16_DF16_EEviiiT16_PT17_ilS5_ilS3_S5_ilPT18_ili26rocblas_geam_ex_operation_.kd
    .uniform_work_group_size: 1
    .uses_dynamic_stack: false
    .vgpr_count:     123
    .vgpr_spill_count: 0
    .wavefront_size: 32
    .workgroup_processor_mode: 1
  - .args:
      - .offset:         0
        .size:           4
        .value_kind:     by_value
      - .offset:         4
        .size:           4
        .value_kind:     by_value
      - .offset:         8
        .size:           4
        .value_kind:     by_value
      - .offset:         12
        .size:           2
        .value_kind:     by_value
      - .address_space:  global
        .offset:         16
        .size:           8
        .value_kind:     global_buffer
      - .offset:         24
        .size:           4
        .value_kind:     by_value
      - .offset:         32
        .size:           8
        .value_kind:     by_value
      - .address_space:  global
        .offset:         40
        .size:           8
        .value_kind:     global_buffer
      - .offset:         48
        .size:           4
        .value_kind:     by_value
      - .offset:         56
        .size:           8
        .value_kind:     by_value
      - .offset:         64
        .size:           2
        .value_kind:     by_value
      - .address_space:  global
        .offset:         72
        .size:           8
        .value_kind:     global_buffer
      - .offset:         80
        .size:           4
        .value_kind:     by_value
      - .offset:         88
        .size:           8
        .value_kind:     by_value
      - .address_space:  global
        .offset:         96
        .size:           8
        .value_kind:     global_buffer
      - .offset:         104
        .size:           4
        .value_kind:     by_value
      - .offset:         112
        .size:           8
        .value_kind:     by_value
      - .offset:         120
        .size:           4
        .value_kind:     by_value
      - .offset:         124
        .size:           4
        .value_kind:     by_value
    .group_segment_fixed_size: 3072
    .kernarg_segment_align: 8
    .kernarg_segment_size: 128
    .language:       OpenCL C
    .language_version:
      - 2
      - 0
    .max_flat_workgroup_size: 256
    .name:           _ZN12_GLOBAL__N_120geam_min_plus_kernelIDF16_Dv2_DF16_S1_Li8ELi32ELi64ELi128ELi4ELi64ELi4ELi64ELi4ELc78ELc84ELb0ELb0ELb0EDF16_KDF16_DF16_EEviiiT16_PT17_ilS5_ilS3_S5_ilPT18_ili26rocblas_geam_ex_operation_
    .private_segment_fixed_size: 0
    .sgpr_count:     27
    .sgpr_spill_count: 0
    .symbol:         _ZN12_GLOBAL__N_120geam_min_plus_kernelIDF16_Dv2_DF16_S1_Li8ELi32ELi64ELi128ELi4ELi64ELi4ELi64ELi4ELc78ELc84ELb0ELb0ELb0EDF16_KDF16_DF16_EEviiiT16_PT17_ilS5_ilS3_S5_ilPT18_ili26rocblas_geam_ex_operation_.kd
    .uniform_work_group_size: 1
    .uses_dynamic_stack: false
    .vgpr_count:     124
    .vgpr_spill_count: 0
    .wavefront_size: 32
    .workgroup_processor_mode: 1
  - .args:
      - .offset:         0
        .size:           4
        .value_kind:     by_value
      - .offset:         4
        .size:           4
        .value_kind:     by_value
      - .offset:         8
        .size:           4
        .value_kind:     by_value
      - .address_space:  global
        .offset:         16
        .size:           8
        .value_kind:     global_buffer
      - .address_space:  global
        .offset:         24
        .size:           8
        .value_kind:     global_buffer
      - .offset:         32
        .size:           4
        .value_kind:     by_value
      - .offset:         40
        .size:           8
        .value_kind:     by_value
      - .address_space:  global
        .offset:         48
        .size:           8
        .value_kind:     global_buffer
      - .offset:         56
        .size:           4
        .value_kind:     by_value
      - .offset:         64
        .size:           8
        .value_kind:     by_value
      - .address_space:  global
        .offset:         72
        .size:           8
        .value_kind:     global_buffer
      - .address_space:  global
        .offset:         80
        .size:           8
        .value_kind:     global_buffer
      - .offset:         88
        .size:           4
        .value_kind:     by_value
      - .offset:         96
        .size:           8
        .value_kind:     by_value
      - .address_space:  global
        .offset:         104
        .size:           8
        .value_kind:     global_buffer
      - .offset:         112
        .size:           4
        .value_kind:     by_value
      - .offset:         120
        .size:           8
        .value_kind:     by_value
      - .offset:         128
        .size:           4
        .value_kind:     by_value
      - .offset:         132
        .size:           4
        .value_kind:     by_value
    .group_segment_fixed_size: 3072
    .kernarg_segment_align: 8
    .kernarg_segment_size: 136
    .language:       OpenCL C
    .language_version:
      - 2
      - 0
    .max_flat_workgroup_size: 256
    .name:           _ZN12_GLOBAL__N_120geam_min_plus_kernelIDF16_Dv2_DF16_S1_Li8ELi32ELi64ELi128ELi4ELi64ELi4ELi64ELi4ELc78ELc84ELb0ELb1ELb0EPKDF16_S2_DF16_EEviiiT16_PT17_ilS6_ilS4_S6_ilPT18_ili26rocblas_geam_ex_operation_
    .private_segment_fixed_size: 0
    .sgpr_count:     30
    .sgpr_spill_count: 0
    .symbol:         _ZN12_GLOBAL__N_120geam_min_plus_kernelIDF16_Dv2_DF16_S1_Li8ELi32ELi64ELi128ELi4ELi64ELi4ELi64ELi4ELc78ELc84ELb0ELb1ELb0EPKDF16_S2_DF16_EEviiiT16_PT17_ilS6_ilS4_S6_ilPT18_ili26rocblas_geam_ex_operation_.kd
    .uniform_work_group_size: 1
    .uses_dynamic_stack: false
    .vgpr_count:     127
    .vgpr_spill_count: 0
    .wavefront_size: 32
    .workgroup_processor_mode: 1
  - .args:
      - .offset:         0
        .size:           4
        .value_kind:     by_value
      - .offset:         4
        .size:           4
        .value_kind:     by_value
      - .offset:         8
        .size:           4
        .value_kind:     by_value
      - .offset:         12
        .size:           2
        .value_kind:     by_value
      - .address_space:  global
        .offset:         16
        .size:           8
        .value_kind:     global_buffer
      - .offset:         24
        .size:           4
        .value_kind:     by_value
      - .offset:         32
        .size:           8
        .value_kind:     by_value
      - .address_space:  global
        .offset:         40
        .size:           8
        .value_kind:     global_buffer
      - .offset:         48
        .size:           4
        .value_kind:     by_value
      - .offset:         56
        .size:           8
        .value_kind:     by_value
      - .offset:         64
        .size:           2
        .value_kind:     by_value
      - .address_space:  global
        .offset:         72
        .size:           8
        .value_kind:     global_buffer
      - .offset:         80
        .size:           4
        .value_kind:     by_value
      - .offset:         88
        .size:           8
        .value_kind:     by_value
      - .address_space:  global
        .offset:         96
        .size:           8
        .value_kind:     global_buffer
      - .offset:         104
        .size:           4
        .value_kind:     by_value
      - .offset:         112
        .size:           8
        .value_kind:     by_value
      - .offset:         120
        .size:           4
        .value_kind:     by_value
      - .offset:         124
        .size:           4
        .value_kind:     by_value
    .group_segment_fixed_size: 3072
    .kernarg_segment_align: 8
    .kernarg_segment_size: 128
    .language:       OpenCL C
    .language_version:
      - 2
      - 0
    .max_flat_workgroup_size: 256
    .name:           _ZN12_GLOBAL__N_120geam_min_plus_kernelIDF16_Dv2_DF16_S1_Li8ELi32ELi64ELi128ELi4ELi64ELi4ELi64ELi4ELc78ELc84ELb1ELb1ELb0EDF16_KDF16_DF16_EEviiiT16_PT17_ilS5_ilS3_S5_ilPT18_ili26rocblas_geam_ex_operation_
    .private_segment_fixed_size: 0
    .sgpr_count:     31
    .sgpr_spill_count: 0
    .symbol:         _ZN12_GLOBAL__N_120geam_min_plus_kernelIDF16_Dv2_DF16_S1_Li8ELi32ELi64ELi128ELi4ELi64ELi4ELi64ELi4ELc78ELc84ELb1ELb1ELb0EDF16_KDF16_DF16_EEviiiT16_PT17_ilS5_ilS3_S5_ilPT18_ili26rocblas_geam_ex_operation_.kd
    .uniform_work_group_size: 1
    .uses_dynamic_stack: false
    .vgpr_count:     127
    .vgpr_spill_count: 0
    .wavefront_size: 32
    .workgroup_processor_mode: 1
  - .args:
      - .offset:         0
        .size:           4
        .value_kind:     by_value
      - .offset:         4
        .size:           4
        .value_kind:     by_value
      - .offset:         8
        .size:           4
        .value_kind:     by_value
      - .offset:         12
        .size:           2
        .value_kind:     by_value
      - .address_space:  global
        .offset:         16
        .size:           8
        .value_kind:     global_buffer
      - .offset:         24
        .size:           4
        .value_kind:     by_value
      - .offset:         32
        .size:           8
        .value_kind:     by_value
      - .address_space:  global
        .offset:         40
        .size:           8
        .value_kind:     global_buffer
      - .offset:         48
        .size:           4
        .value_kind:     by_value
      - .offset:         56
        .size:           8
        .value_kind:     by_value
      - .offset:         64
        .size:           2
        .value_kind:     by_value
      - .address_space:  global
        .offset:         72
        .size:           8
        .value_kind:     global_buffer
      - .offset:         80
        .size:           4
        .value_kind:     by_value
      - .offset:         88
        .size:           8
        .value_kind:     by_value
      - .address_space:  global
        .offset:         96
        .size:           8
        .value_kind:     global_buffer
      - .offset:         104
        .size:           4
        .value_kind:     by_value
      - .offset:         112
        .size:           8
        .value_kind:     by_value
      - .offset:         120
        .size:           4
        .value_kind:     by_value
      - .offset:         124
        .size:           4
        .value_kind:     by_value
    .group_segment_fixed_size: 3072
    .kernarg_segment_align: 8
    .kernarg_segment_size: 128
    .language:       OpenCL C
    .language_version:
      - 2
      - 0
    .max_flat_workgroup_size: 256
    .name:           _ZN12_GLOBAL__N_120geam_min_plus_kernelIDF16_Dv2_DF16_S1_Li8ELi32ELi64ELi128ELi4ELi64ELi4ELi64ELi4ELc78ELc84ELb0ELb1ELb0EDF16_KDF16_DF16_EEviiiT16_PT17_ilS5_ilS3_S5_ilPT18_ili26rocblas_geam_ex_operation_
    .private_segment_fixed_size: 0
    .sgpr_count:     34
    .sgpr_spill_count: 0
    .symbol:         _ZN12_GLOBAL__N_120geam_min_plus_kernelIDF16_Dv2_DF16_S1_Li8ELi32ELi64ELi128ELi4ELi64ELi4ELi64ELi4ELc78ELc84ELb0ELb1ELb0EDF16_KDF16_DF16_EEviiiT16_PT17_ilS5_ilS3_S5_ilPT18_ili26rocblas_geam_ex_operation_.kd
    .uniform_work_group_size: 1
    .uses_dynamic_stack: false
    .vgpr_count:     125
    .vgpr_spill_count: 0
    .wavefront_size: 32
    .workgroup_processor_mode: 1
  - .args:
      - .offset:         0
        .size:           4
        .value_kind:     by_value
      - .offset:         4
        .size:           4
        .value_kind:     by_value
      - .offset:         8
        .size:           4
        .value_kind:     by_value
      - .address_space:  global
        .offset:         16
        .size:           8
        .value_kind:     global_buffer
      - .address_space:  global
        .offset:         24
        .size:           8
        .value_kind:     global_buffer
      - .offset:         32
        .size:           4
        .value_kind:     by_value
      - .offset:         40
        .size:           8
        .value_kind:     by_value
      - .address_space:  global
        .offset:         48
        .size:           8
        .value_kind:     global_buffer
      - .offset:         56
        .size:           4
        .value_kind:     by_value
      - .offset:         64
        .size:           8
        .value_kind:     by_value
      - .address_space:  global
        .offset:         72
        .size:           8
        .value_kind:     global_buffer
      - .address_space:  global
        .offset:         80
        .size:           8
        .value_kind:     global_buffer
      - .offset:         88
        .size:           4
        .value_kind:     by_value
      - .offset:         96
        .size:           8
        .value_kind:     by_value
      - .address_space:  global
        .offset:         104
        .size:           8
        .value_kind:     global_buffer
      - .offset:         112
        .size:           4
        .value_kind:     by_value
      - .offset:         120
        .size:           8
        .value_kind:     by_value
      - .offset:         128
        .size:           4
        .value_kind:     by_value
      - .offset:         132
        .size:           4
        .value_kind:     by_value
    .group_segment_fixed_size: 3072
    .kernarg_segment_align: 8
    .kernarg_segment_size: 136
    .language:       OpenCL C
    .language_version:
      - 2
      - 0
    .max_flat_workgroup_size: 256
    .name:           _ZN12_GLOBAL__N_120geam_min_plus_kernelIDF16_Dv2_DF16_S1_Li8ELi32ELi64ELi128ELi4ELi4ELi64ELi64ELi4ELc84ELc84ELb0ELb0ELb0EPKDF16_S2_DF16_EEviiiT16_PT17_ilS6_ilS4_S6_ilPT18_ili26rocblas_geam_ex_operation_
    .private_segment_fixed_size: 0
    .sgpr_count:     26
    .sgpr_spill_count: 0
    .symbol:         _ZN12_GLOBAL__N_120geam_min_plus_kernelIDF16_Dv2_DF16_S1_Li8ELi32ELi64ELi128ELi4ELi4ELi64ELi64ELi4ELc84ELc84ELb0ELb0ELb0EPKDF16_S2_DF16_EEviiiT16_PT17_ilS6_ilS4_S6_ilPT18_ili26rocblas_geam_ex_operation_.kd
    .uniform_work_group_size: 1
    .uses_dynamic_stack: false
    .vgpr_count:     122
    .vgpr_spill_count: 0
    .wavefront_size: 32
    .workgroup_processor_mode: 1
  - .args:
      - .offset:         0
        .size:           4
        .value_kind:     by_value
      - .offset:         4
        .size:           4
        .value_kind:     by_value
      - .offset:         8
        .size:           4
        .value_kind:     by_value
      - .offset:         12
        .size:           2
        .value_kind:     by_value
      - .address_space:  global
        .offset:         16
        .size:           8
        .value_kind:     global_buffer
      - .offset:         24
        .size:           4
        .value_kind:     by_value
      - .offset:         32
        .size:           8
        .value_kind:     by_value
      - .address_space:  global
        .offset:         40
        .size:           8
        .value_kind:     global_buffer
      - .offset:         48
        .size:           4
        .value_kind:     by_value
      - .offset:         56
        .size:           8
        .value_kind:     by_value
      - .offset:         64
        .size:           2
        .value_kind:     by_value
      - .address_space:  global
        .offset:         72
        .size:           8
        .value_kind:     global_buffer
      - .offset:         80
        .size:           4
        .value_kind:     by_value
      - .offset:         88
        .size:           8
        .value_kind:     by_value
      - .address_space:  global
        .offset:         96
        .size:           8
        .value_kind:     global_buffer
      - .offset:         104
        .size:           4
        .value_kind:     by_value
      - .offset:         112
        .size:           8
        .value_kind:     by_value
      - .offset:         120
        .size:           4
        .value_kind:     by_value
      - .offset:         124
        .size:           4
        .value_kind:     by_value
    .group_segment_fixed_size: 3072
    .kernarg_segment_align: 8
    .kernarg_segment_size: 128
    .language:       OpenCL C
    .language_version:
      - 2
      - 0
    .max_flat_workgroup_size: 256
    .name:           _ZN12_GLOBAL__N_120geam_min_plus_kernelIDF16_Dv2_DF16_S1_Li8ELi32ELi64ELi128ELi4ELi4ELi64ELi64ELi4ELc84ELc84ELb1ELb0ELb0EDF16_KDF16_DF16_EEviiiT16_PT17_ilS5_ilS3_S5_ilPT18_ili26rocblas_geam_ex_operation_
    .private_segment_fixed_size: 0
    .sgpr_count:     25
    .sgpr_spill_count: 0
    .symbol:         _ZN12_GLOBAL__N_120geam_min_plus_kernelIDF16_Dv2_DF16_S1_Li8ELi32ELi64ELi128ELi4ELi4ELi64ELi64ELi4ELc84ELc84ELb1ELb0ELb0EDF16_KDF16_DF16_EEviiiT16_PT17_ilS5_ilS3_S5_ilPT18_ili26rocblas_geam_ex_operation_.kd
    .uniform_work_group_size: 1
    .uses_dynamic_stack: false
    .vgpr_count:     122
    .vgpr_spill_count: 0
    .wavefront_size: 32
    .workgroup_processor_mode: 1
  - .args:
      - .offset:         0
        .size:           4
        .value_kind:     by_value
      - .offset:         4
        .size:           4
        .value_kind:     by_value
      - .offset:         8
        .size:           4
        .value_kind:     by_value
      - .offset:         12
        .size:           2
        .value_kind:     by_value
      - .address_space:  global
        .offset:         16
        .size:           8
        .value_kind:     global_buffer
      - .offset:         24
        .size:           4
        .value_kind:     by_value
      - .offset:         32
        .size:           8
        .value_kind:     by_value
      - .address_space:  global
        .offset:         40
        .size:           8
        .value_kind:     global_buffer
      - .offset:         48
        .size:           4
        .value_kind:     by_value
      - .offset:         56
        .size:           8
        .value_kind:     by_value
      - .offset:         64
        .size:           2
        .value_kind:     by_value
      - .address_space:  global
        .offset:         72
        .size:           8
        .value_kind:     global_buffer
      - .offset:         80
        .size:           4
        .value_kind:     by_value
      - .offset:         88
        .size:           8
        .value_kind:     by_value
      - .address_space:  global
        .offset:         96
        .size:           8
        .value_kind:     global_buffer
      - .offset:         104
        .size:           4
        .value_kind:     by_value
      - .offset:         112
        .size:           8
        .value_kind:     by_value
      - .offset:         120
        .size:           4
        .value_kind:     by_value
      - .offset:         124
        .size:           4
        .value_kind:     by_value
    .group_segment_fixed_size: 3072
    .kernarg_segment_align: 8
    .kernarg_segment_size: 128
    .language:       OpenCL C
    .language_version:
      - 2
      - 0
    .max_flat_workgroup_size: 256
    .name:           _ZN12_GLOBAL__N_120geam_min_plus_kernelIDF16_Dv2_DF16_S1_Li8ELi32ELi64ELi128ELi4ELi4ELi64ELi64ELi4ELc84ELc84ELb0ELb0ELb0EDF16_KDF16_DF16_EEviiiT16_PT17_ilS5_ilS3_S5_ilPT18_ili26rocblas_geam_ex_operation_
    .private_segment_fixed_size: 0
    .sgpr_count:     26
    .sgpr_spill_count: 0
    .symbol:         _ZN12_GLOBAL__N_120geam_min_plus_kernelIDF16_Dv2_DF16_S1_Li8ELi32ELi64ELi128ELi4ELi4ELi64ELi64ELi4ELc84ELc84ELb0ELb0ELb0EDF16_KDF16_DF16_EEviiiT16_PT17_ilS5_ilS3_S5_ilPT18_ili26rocblas_geam_ex_operation_.kd
    .uniform_work_group_size: 1
    .uses_dynamic_stack: false
    .vgpr_count:     120
    .vgpr_spill_count: 0
    .wavefront_size: 32
    .workgroup_processor_mode: 1
  - .args:
      - .offset:         0
        .size:           4
        .value_kind:     by_value
      - .offset:         4
        .size:           4
        .value_kind:     by_value
      - .offset:         8
        .size:           4
        .value_kind:     by_value
      - .address_space:  global
        .offset:         16
        .size:           8
        .value_kind:     global_buffer
      - .address_space:  global
        .offset:         24
        .size:           8
        .value_kind:     global_buffer
      - .offset:         32
        .size:           4
        .value_kind:     by_value
      - .offset:         40
        .size:           8
        .value_kind:     by_value
      - .address_space:  global
        .offset:         48
        .size:           8
        .value_kind:     global_buffer
      - .offset:         56
        .size:           4
        .value_kind:     by_value
      - .offset:         64
        .size:           8
        .value_kind:     by_value
      - .address_space:  global
        .offset:         72
        .size:           8
        .value_kind:     global_buffer
      - .address_space:  global
        .offset:         80
        .size:           8
        .value_kind:     global_buffer
      - .offset:         88
        .size:           4
        .value_kind:     by_value
      - .offset:         96
        .size:           8
        .value_kind:     by_value
      - .address_space:  global
        .offset:         104
        .size:           8
        .value_kind:     global_buffer
      - .offset:         112
        .size:           4
        .value_kind:     by_value
      - .offset:         120
        .size:           8
        .value_kind:     by_value
      - .offset:         128
        .size:           4
        .value_kind:     by_value
      - .offset:         132
        .size:           4
        .value_kind:     by_value
    .group_segment_fixed_size: 3072
    .kernarg_segment_align: 8
    .kernarg_segment_size: 136
    .language:       OpenCL C
    .language_version:
      - 2
      - 0
    .max_flat_workgroup_size: 256
    .name:           _ZN12_GLOBAL__N_120geam_min_plus_kernelIDF16_Dv2_DF16_S1_Li8ELi32ELi64ELi128ELi4ELi4ELi64ELi64ELi4ELc84ELc84ELb0ELb1ELb0EPKDF16_S2_DF16_EEviiiT16_PT17_ilS6_ilS4_S6_ilPT18_ili26rocblas_geam_ex_operation_
    .private_segment_fixed_size: 0
    .sgpr_count:     29
    .sgpr_spill_count: 0
    .symbol:         _ZN12_GLOBAL__N_120geam_min_plus_kernelIDF16_Dv2_DF16_S1_Li8ELi32ELi64ELi128ELi4ELi4ELi64ELi64ELi4ELc84ELc84ELb0ELb1ELb0EPKDF16_S2_DF16_EEviiiT16_PT17_ilS6_ilS4_S6_ilPT18_ili26rocblas_geam_ex_operation_.kd
    .uniform_work_group_size: 1
    .uses_dynamic_stack: false
    .vgpr_count:     122
    .vgpr_spill_count: 0
    .wavefront_size: 32
    .workgroup_processor_mode: 1
  - .args:
      - .offset:         0
        .size:           4
        .value_kind:     by_value
      - .offset:         4
        .size:           4
        .value_kind:     by_value
      - .offset:         8
        .size:           4
        .value_kind:     by_value
      - .offset:         12
        .size:           2
        .value_kind:     by_value
      - .address_space:  global
        .offset:         16
        .size:           8
        .value_kind:     global_buffer
      - .offset:         24
        .size:           4
        .value_kind:     by_value
      - .offset:         32
        .size:           8
        .value_kind:     by_value
      - .address_space:  global
        .offset:         40
        .size:           8
        .value_kind:     global_buffer
      - .offset:         48
        .size:           4
        .value_kind:     by_value
      - .offset:         56
        .size:           8
        .value_kind:     by_value
      - .offset:         64
        .size:           2
        .value_kind:     by_value
      - .address_space:  global
        .offset:         72
        .size:           8
        .value_kind:     global_buffer
      - .offset:         80
        .size:           4
        .value_kind:     by_value
      - .offset:         88
        .size:           8
        .value_kind:     by_value
      - .address_space:  global
        .offset:         96
        .size:           8
        .value_kind:     global_buffer
      - .offset:         104
        .size:           4
        .value_kind:     by_value
      - .offset:         112
        .size:           8
        .value_kind:     by_value
      - .offset:         120
        .size:           4
        .value_kind:     by_value
      - .offset:         124
        .size:           4
        .value_kind:     by_value
    .group_segment_fixed_size: 3072
    .kernarg_segment_align: 8
    .kernarg_segment_size: 128
    .language:       OpenCL C
    .language_version:
      - 2
      - 0
    .max_flat_workgroup_size: 256
    .name:           _ZN12_GLOBAL__N_120geam_min_plus_kernelIDF16_Dv2_DF16_S1_Li8ELi32ELi64ELi128ELi4ELi4ELi64ELi64ELi4ELc84ELc84ELb1ELb1ELb0EDF16_KDF16_DF16_EEviiiT16_PT17_ilS5_ilS3_S5_ilPT18_ili26rocblas_geam_ex_operation_
    .private_segment_fixed_size: 0
    .sgpr_count:     29
    .sgpr_spill_count: 0
    .symbol:         _ZN12_GLOBAL__N_120geam_min_plus_kernelIDF16_Dv2_DF16_S1_Li8ELi32ELi64ELi128ELi4ELi4ELi64ELi64ELi4ELc84ELc84ELb1ELb1ELb0EDF16_KDF16_DF16_EEviiiT16_PT17_ilS5_ilS3_S5_ilPT18_ili26rocblas_geam_ex_operation_.kd
    .uniform_work_group_size: 1
    .uses_dynamic_stack: false
    .vgpr_count:     122
    .vgpr_spill_count: 0
    .wavefront_size: 32
    .workgroup_processor_mode: 1
  - .args:
      - .offset:         0
        .size:           4
        .value_kind:     by_value
      - .offset:         4
        .size:           4
        .value_kind:     by_value
      - .offset:         8
        .size:           4
        .value_kind:     by_value
      - .offset:         12
        .size:           2
        .value_kind:     by_value
      - .address_space:  global
        .offset:         16
        .size:           8
        .value_kind:     global_buffer
      - .offset:         24
        .size:           4
        .value_kind:     by_value
      - .offset:         32
        .size:           8
        .value_kind:     by_value
      - .address_space:  global
        .offset:         40
        .size:           8
        .value_kind:     global_buffer
      - .offset:         48
        .size:           4
        .value_kind:     by_value
      - .offset:         56
        .size:           8
        .value_kind:     by_value
      - .offset:         64
        .size:           2
        .value_kind:     by_value
      - .address_space:  global
        .offset:         72
        .size:           8
        .value_kind:     global_buffer
      - .offset:         80
        .size:           4
        .value_kind:     by_value
      - .offset:         88
        .size:           8
        .value_kind:     by_value
      - .address_space:  global
        .offset:         96
        .size:           8
        .value_kind:     global_buffer
      - .offset:         104
        .size:           4
        .value_kind:     by_value
      - .offset:         112
        .size:           8
        .value_kind:     by_value
      - .offset:         120
        .size:           4
        .value_kind:     by_value
      - .offset:         124
        .size:           4
        .value_kind:     by_value
    .group_segment_fixed_size: 3072
    .kernarg_segment_align: 8
    .kernarg_segment_size: 128
    .language:       OpenCL C
    .language_version:
      - 2
      - 0
    .max_flat_workgroup_size: 256
    .name:           _ZN12_GLOBAL__N_120geam_min_plus_kernelIDF16_Dv2_DF16_S1_Li8ELi32ELi64ELi128ELi4ELi4ELi64ELi64ELi4ELc84ELc84ELb0ELb1ELb0EDF16_KDF16_DF16_EEviiiT16_PT17_ilS5_ilS3_S5_ilPT18_ili26rocblas_geam_ex_operation_
    .private_segment_fixed_size: 0
    .sgpr_count:     32
    .sgpr_spill_count: 0
    .symbol:         _ZN12_GLOBAL__N_120geam_min_plus_kernelIDF16_Dv2_DF16_S1_Li8ELi32ELi64ELi128ELi4ELi4ELi64ELi64ELi4ELc84ELc84ELb0ELb1ELb0EDF16_KDF16_DF16_EEviiiT16_PT17_ilS5_ilS3_S5_ilPT18_ili26rocblas_geam_ex_operation_.kd
    .uniform_work_group_size: 1
    .uses_dynamic_stack: false
    .vgpr_count:     120
    .vgpr_spill_count: 0
    .wavefront_size: 32
    .workgroup_processor_mode: 1
amdhsa.target:   amdgcn-amd-amdhsa--gfx1100
amdhsa.version:
  - 1
  - 2
...

	.end_amdgpu_metadata
